;; amdgpu-corpus repo=ROCm/rocSOLVER kind=compiled arch=gfx950 opt=O3
	.amdgcn_target "amdgcn-amd-amdhsa--gfx950"
	.amdhsa_code_object_version 6
	.section	.text._ZN9rocsolver6v33100L18getf2_small_kernelILi1E19rocblas_complex_numIdEiiPS3_EEvT1_T3_lS5_lPS5_llPT2_S5_S5_S7_l,"axG",@progbits,_ZN9rocsolver6v33100L18getf2_small_kernelILi1E19rocblas_complex_numIdEiiPS3_EEvT1_T3_lS5_lPS5_llPT2_S5_S5_S7_l,comdat
	.globl	_ZN9rocsolver6v33100L18getf2_small_kernelILi1E19rocblas_complex_numIdEiiPS3_EEvT1_T3_lS5_lPS5_llPT2_S5_S5_S7_l ; -- Begin function _ZN9rocsolver6v33100L18getf2_small_kernelILi1E19rocblas_complex_numIdEiiPS3_EEvT1_T3_lS5_lPS5_llPT2_S5_S5_S7_l
	.p2align	8
	.type	_ZN9rocsolver6v33100L18getf2_small_kernelILi1E19rocblas_complex_numIdEiiPS3_EEvT1_T3_lS5_lPS5_llPT2_S5_S5_S7_l,@function
_ZN9rocsolver6v33100L18getf2_small_kernelILi1E19rocblas_complex_numIdEiiPS3_EEvT1_T3_lS5_lPS5_llPT2_S5_S5_S7_l: ; @_ZN9rocsolver6v33100L18getf2_small_kernelILi1E19rocblas_complex_numIdEiiPS3_EEvT1_T3_lS5_lPS5_llPT2_S5_S5_S7_l
; %bb.0:
	s_load_dword s2, s[0:1], 0x6c
	s_load_dwordx2 s[12:13], s[0:1], 0x48
	v_bfe_u32 v4, v0, 10, 10
	s_waitcnt lgkmcnt(0)
	s_lshr_b32 s2, s2, 16
	s_mul_i32 s3, s3, s2
	v_add_u32_e32 v8, s3, v4
	v_cmp_gt_i32_e32 vcc, s12, v8
	s_and_saveexec_b64 s[2:3], vcc
	s_cbranch_execz .LBB0_27
; %bb.1:
	s_load_dwordx4 s[4:7], s[0:1], 0x50
	v_ashrrev_i32_e32 v9, 31, v8
	s_waitcnt lgkmcnt(0)
	s_cmp_lg_u64 s[4:5], 0
	s_cselect_b64 s[14:15], -1, 0
	s_cmp_eq_u64 s[4:5], 0
	s_cbranch_scc1 .LBB0_3
; %bb.2:
	v_mul_lo_u32 v1, s7, v8
	v_mul_lo_u32 v5, s6, v9
	v_mad_u64_u32 v[2:3], s[2:3], s6, v8, 0
	v_add3_u32 v3, v3, v5, v1
	v_lshl_add_u64 v[12:13], v[2:3], 2, s[4:5]
	s_branch .LBB0_4
.LBB0_3:
	v_mov_b64_e32 v[12:13], 0
.LBB0_4:
	s_load_dwordx4 s[16:19], s[0:1], 0x8
	s_load_dwordx8 s[4:11], s[0:1], 0x20
	v_and_b32_e32 v16, 0x3ff, v0
	v_lshlrev_b32_e32 v14, 4, v16
	v_mov_b32_e32 v15, 0
	s_waitcnt lgkmcnt(0)
	v_mov_b32_e32 v2, s16
	v_mul_lo_u32 v1, s5, v8
	v_mul_lo_u32 v5, s4, v9
	v_mad_u64_u32 v[6:7], s[2:3], s4, v8, 0
	v_mov_b32_e32 v3, s17
	v_add3_u32 v7, v7, v5, v1
	v_lshl_add_u64 v[2:3], v[6:7], 4, v[2:3]
	v_lshl_add_u64 v[10:11], s[18:19], 4, v[2:3]
	;; [unrolled: 1-line block ×3, first 2 shown]
	global_load_dwordx4 v[0:3], v[0:1], off
	s_load_dword s4, s[0:1], 0x0
	s_load_dwordx2 s[2:3], s[0:1], 0x40
	s_mov_b32 s5, 1
	s_waitcnt lgkmcnt(0)
	s_max_i32 s0, s4, 1
	v_mul_lo_u32 v17, s0, v4
	v_lshl_add_u32 v4, v17, 4, 0
	v_add_u32_e32 v5, v4, v14
	s_cmp_lt_i32 s4, 2
	s_waitcnt vmcnt(0)
	ds_write2_b64 v5, v[0:1], v[2:3] offset1:1
	s_waitcnt lgkmcnt(0)
	s_barrier
	ds_read2_b64 v[4:7], v4 offset1:1
	s_cbranch_scc1 .LBB0_7
; %bb.5:
	v_lshlrev_b32_e32 v14, 4, v17
	v_add3_u32 v14, v14, 0, 16
	v_mov_b32_e32 v15, 0
.LBB0_6:                                ; =>This Inner Loop Header: Depth=1
	ds_read2_b64 v[18:21], v14 offset1:1
	s_waitcnt lgkmcnt(1)
	v_xor_b32_e32 v17, 0x80000000, v5
	v_xor_b32_e32 v25, 0x80000000, v7
	v_cmp_gt_f64_e32 vcc, 0, v[6:7]
	v_cmp_gt_f64_e64 s[0:1], 0, v[4:5]
	v_mov_b32_e32 v22, v4
	v_mov_b32_e32 v24, v6
	v_cndmask_b32_e64 v23, v5, v17, s[0:1]
	v_cndmask_b32_e32 v25, v7, v25, vcc
	s_waitcnt lgkmcnt(0)
	v_xor_b32_e32 v17, 0x80000000, v19
	v_xor_b32_e32 v27, 0x80000000, v21
	v_cmp_gt_f64_e32 vcc, 0, v[20:21]
	v_cmp_gt_f64_e64 s[0:1], 0, v[18:19]
	v_add_f64 v[22:23], v[22:23], v[24:25]
	v_mov_b32_e32 v24, v18
	v_mov_b32_e32 v26, v20
	v_cndmask_b32_e64 v25, v19, v17, s[0:1]
	v_cndmask_b32_e32 v27, v21, v27, vcc
	v_add_f64 v[24:25], v[24:25], v[26:27]
	v_mov_b32_e32 v28, s5
	s_add_i32 s5, s5, 1
	v_cmp_lt_f64_e32 vcc, v[22:23], v[24:25]
	v_add_u32_e32 v14, 16, v14
	s_cmp_eq_u32 s4, s5
	v_cndmask_b32_e32 v5, v5, v19, vcc
	v_cndmask_b32_e32 v4, v4, v18, vcc
	;; [unrolled: 1-line block ×5, first 2 shown]
	s_cbranch_scc0 .LBB0_6
.LBB0_7:
	s_waitcnt lgkmcnt(0)
	v_cmp_eq_f64_e32 vcc, 0, v[4:5]
	v_cmp_eq_f64_e64 s[0:1], 0, v[6:7]
	s_and_b64 s[0:1], vcc, s[0:1]
	s_xor_b64 s[16:17], s[0:1], -1
	s_and_saveexec_b64 s[4:5], s[16:17]
	s_cbranch_execz .LBB0_13
; %bb.8:
	v_cmp_ngt_f64_e64 s[16:17], |v[4:5]|, |v[6:7]|
	s_and_saveexec_b64 s[18:19], s[16:17]
	s_xor_b64 s[16:17], exec, s[18:19]
	s_cbranch_execz .LBB0_10
; %bb.9:
	v_div_scale_f64 v[18:19], s[18:19], v[6:7], v[6:7], v[4:5]
	v_rcp_f64_e32 v[20:21], v[18:19]
	v_div_scale_f64 v[22:23], vcc, v[4:5], v[6:7], v[4:5]
	v_fma_f64 v[24:25], -v[18:19], v[20:21], 1.0
	v_fmac_f64_e32 v[20:21], v[20:21], v[24:25]
	v_fma_f64 v[24:25], -v[18:19], v[20:21], 1.0
	v_fmac_f64_e32 v[20:21], v[20:21], v[24:25]
	v_mul_f64 v[24:25], v[22:23], v[20:21]
	v_fma_f64 v[18:19], -v[18:19], v[24:25], v[22:23]
	v_div_fmas_f64 v[18:19], v[18:19], v[20:21], v[24:25]
	v_div_fixup_f64 v[18:19], v[18:19], v[6:7], v[4:5]
	v_fmac_f64_e32 v[6:7], v[4:5], v[18:19]
	v_div_scale_f64 v[4:5], s[18:19], v[6:7], v[6:7], 1.0
	v_rcp_f64_e32 v[20:21], v[4:5]
	s_nop 0
	v_fma_f64 v[22:23], -v[4:5], v[20:21], 1.0
	v_fmac_f64_e32 v[20:21], v[20:21], v[22:23]
	v_fma_f64 v[22:23], -v[4:5], v[20:21], 1.0
	v_fmac_f64_e32 v[20:21], v[20:21], v[22:23]
	v_div_scale_f64 v[22:23], vcc, 1.0, v[6:7], 1.0
	v_mul_f64 v[24:25], v[22:23], v[20:21]
	v_fma_f64 v[4:5], -v[4:5], v[24:25], v[22:23]
	s_nop 1
	v_div_fmas_f64 v[4:5], v[4:5], v[20:21], v[24:25]
	v_div_fixup_f64 v[6:7], v[4:5], v[6:7], 1.0
	v_mul_f64 v[4:5], v[18:19], v[6:7]
	v_xor_b32_e32 v7, 0x80000000, v7
.LBB0_10:
	s_andn2_saveexec_b64 s[16:17], s[16:17]
	s_cbranch_execz .LBB0_12
; %bb.11:
	v_div_scale_f64 v[18:19], s[18:19], v[4:5], v[4:5], v[6:7]
	v_rcp_f64_e32 v[20:21], v[18:19]
	v_div_scale_f64 v[22:23], vcc, v[6:7], v[4:5], v[6:7]
	v_fma_f64 v[24:25], -v[18:19], v[20:21], 1.0
	v_fmac_f64_e32 v[20:21], v[20:21], v[24:25]
	v_fma_f64 v[24:25], -v[18:19], v[20:21], 1.0
	v_fmac_f64_e32 v[20:21], v[20:21], v[24:25]
	v_mul_f64 v[24:25], v[22:23], v[20:21]
	v_fma_f64 v[18:19], -v[18:19], v[24:25], v[22:23]
	v_div_fmas_f64 v[18:19], v[18:19], v[20:21], v[24:25]
	v_div_fixup_f64 v[18:19], v[18:19], v[4:5], v[6:7]
	v_fmac_f64_e32 v[4:5], v[6:7], v[18:19]
	v_div_scale_f64 v[6:7], s[18:19], v[4:5], v[4:5], 1.0
	v_rcp_f64_e32 v[20:21], v[6:7]
	s_nop 0
	v_fma_f64 v[22:23], -v[6:7], v[20:21], 1.0
	v_fmac_f64_e32 v[20:21], v[20:21], v[22:23]
	v_fma_f64 v[22:23], -v[6:7], v[20:21], 1.0
	v_fmac_f64_e32 v[20:21], v[20:21], v[22:23]
	v_div_scale_f64 v[22:23], vcc, 1.0, v[4:5], 1.0
	v_mul_f64 v[24:25], v[22:23], v[20:21]
	v_fma_f64 v[6:7], -v[6:7], v[24:25], v[22:23]
	s_nop 1
	v_div_fmas_f64 v[6:7], v[6:7], v[20:21], v[24:25]
	v_div_fixup_f64 v[4:5], v[6:7], v[4:5], 1.0
	v_mul_f64 v[6:7], v[18:19], -v[4:5]
.LBB0_12:
	s_or_b64 exec, exec, s[16:17]
.LBB0_13:
	s_or_b64 exec, exec, s[4:5]
	v_add_u32_e32 v17, 1, v16
	v_cmp_ne_u32_e32 vcc, v16, v15
	v_mov_b32_e32 v14, 0
	s_and_saveexec_b64 s[4:5], vcc
	s_cbranch_execz .LBB0_21
; %bb.14:
	v_cmp_eq_u32_e32 vcc, 0, v16
	s_and_saveexec_b64 s[16:17], vcc
	s_cbranch_execz .LBB0_20
; %bb.15:
	s_andn2_b64 vcc, exec, s[14:15]
	v_add_u32_e32 v17, 1, v15
	s_cbranch_vccnz .LBB0_19
; %bb.16:
	v_mov_b32_e32 v14, 0
	v_cmp_ne_u32_e32 vcc, 0, v15
	v_mov_b32_e32 v16, 1
	s_and_saveexec_b64 s[14:15], vcc
	s_cbranch_execz .LBB0_18
; %bb.17:
	v_mov_b32_e32 v19, 0
	v_mov_b32_e32 v18, v15
	v_lshl_add_u64 v[18:19], v[18:19], 2, v[12:13]
	global_load_dword v16, v[18:19], off
	global_load_dword v20, v[12:13], off
	v_mov_b32_e32 v14, v15
	s_waitcnt vmcnt(1)
	global_store_dword v[12:13], v16, off
	s_waitcnt vmcnt(1)
	global_store_dword v[18:19], v20, off
	v_mov_b32_e32 v16, v17
.LBB0_18:
	s_or_b64 exec, exec, s[14:15]
	v_mov_b32_e32 v15, v14
	v_mov_b32_e32 v17, v16
.LBB0_19:
	v_mov_b32_e32 v16, v15
.LBB0_20:
	s_or_b64 exec, exec, s[16:17]
	v_mov_b32_e32 v14, v16
.LBB0_21:
	s_or_b64 exec, exec, s[4:5]
	v_cmp_gt_i32_e32 vcc, 1, v14
	v_ashrrev_i32_e32 v15, 31, v14
	s_barrier
	s_barrier
	s_and_saveexec_b64 s[4:5], vcc
	s_cbranch_execz .LBB0_23
; %bb.22:
	v_mov_b32_e32 v12, s6
	v_mov_b32_e32 v13, s7
	v_mul_lo_u32 v16, s11, v8
	v_mul_lo_u32 v20, s10, v9
	v_mad_u64_u32 v[18:19], s[6:7], s10, v8, 0
	v_add3_u32 v19, v19, v20, v16
	v_lshl_add_u64 v[12:13], v[18:19], 2, v[12:13]
	v_lshl_add_u64 v[12:13], s[8:9], 2, v[12:13]
	;; [unrolled: 1-line block ×3, first 2 shown]
	v_add_u32_e32 v16, s13, v17
	global_store_dword v[12:13], v16, off
.LBB0_23:
	s_or_b64 exec, exec, s[4:5]
	v_cmp_eq_u32_e32 vcc, 0, v14
	s_and_saveexec_b64 s[4:5], vcc
	s_cbranch_execz .LBB0_26
; %bb.24:
	v_mov_b32_e32 v12, s2
	v_mov_b32_e32 v13, s3
	v_lshl_add_u64 v[8:9], v[8:9], 2, v[12:13]
	global_load_dword v12, v[8:9], off
	s_waitcnt vmcnt(0)
	v_cmp_eq_u32_e32 vcc, 0, v12
	s_and_b64 s[0:1], vcc, s[0:1]
	s_and_b64 exec, exec, s[0:1]
	s_cbranch_execz .LBB0_26
; %bb.25:
	s_add_i32 s0, s13, 1
	v_mov_b32_e32 v12, s0
	global_store_dword v[8:9], v12, off
.LBB0_26:
	s_or_b64 exec, exec, s[4:5]
	v_mul_f64 v[8:9], v[2:3], v[6:7]
	v_mul_f64 v[6:7], v[0:1], v[6:7]
	v_fma_f64 v[8:9], v[0:1], v[4:5], -v[8:9]
	v_fmac_f64_e32 v[6:7], v[2:3], v[4:5]
	v_cmp_lt_i32_e32 vcc, 0, v14
	v_lshl_add_u64 v[4:5], v[14:15], 4, v[10:11]
	s_nop 0
	v_cndmask_b32_e32 v1, v1, v9, vcc
	v_cndmask_b32_e32 v0, v0, v8, vcc
	;; [unrolled: 1-line block ×4, first 2 shown]
	global_store_dwordx4 v[4:5], v[0:3], off
.LBB0_27:
	s_endpgm
	.section	.rodata,"a",@progbits
	.p2align	6, 0x0
	.amdhsa_kernel _ZN9rocsolver6v33100L18getf2_small_kernelILi1E19rocblas_complex_numIdEiiPS3_EEvT1_T3_lS5_lPS5_llPT2_S5_S5_S7_l
		.amdhsa_group_segment_fixed_size 0
		.amdhsa_private_segment_fixed_size 0
		.amdhsa_kernarg_size 352
		.amdhsa_user_sgpr_count 2
		.amdhsa_user_sgpr_dispatch_ptr 0
		.amdhsa_user_sgpr_queue_ptr 0
		.amdhsa_user_sgpr_kernarg_segment_ptr 1
		.amdhsa_user_sgpr_dispatch_id 0
		.amdhsa_user_sgpr_kernarg_preload_length 0
		.amdhsa_user_sgpr_kernarg_preload_offset 0
		.amdhsa_user_sgpr_private_segment_size 0
		.amdhsa_uses_dynamic_stack 0
		.amdhsa_enable_private_segment 0
		.amdhsa_system_sgpr_workgroup_id_x 1
		.amdhsa_system_sgpr_workgroup_id_y 1
		.amdhsa_system_sgpr_workgroup_id_z 0
		.amdhsa_system_sgpr_workgroup_info 0
		.amdhsa_system_vgpr_workitem_id 1
		.amdhsa_next_free_vgpr 29
		.amdhsa_next_free_sgpr 20
		.amdhsa_accum_offset 32
		.amdhsa_reserve_vcc 1
		.amdhsa_float_round_mode_32 0
		.amdhsa_float_round_mode_16_64 0
		.amdhsa_float_denorm_mode_32 3
		.amdhsa_float_denorm_mode_16_64 3
		.amdhsa_dx10_clamp 1
		.amdhsa_ieee_mode 1
		.amdhsa_fp16_overflow 0
		.amdhsa_tg_split 0
		.amdhsa_exception_fp_ieee_invalid_op 0
		.amdhsa_exception_fp_denorm_src 0
		.amdhsa_exception_fp_ieee_div_zero 0
		.amdhsa_exception_fp_ieee_overflow 0
		.amdhsa_exception_fp_ieee_underflow 0
		.amdhsa_exception_fp_ieee_inexact 0
		.amdhsa_exception_int_div_zero 0
	.end_amdhsa_kernel
	.section	.text._ZN9rocsolver6v33100L18getf2_small_kernelILi1E19rocblas_complex_numIdEiiPS3_EEvT1_T3_lS5_lPS5_llPT2_S5_S5_S7_l,"axG",@progbits,_ZN9rocsolver6v33100L18getf2_small_kernelILi1E19rocblas_complex_numIdEiiPS3_EEvT1_T3_lS5_lPS5_llPT2_S5_S5_S7_l,comdat
.Lfunc_end0:
	.size	_ZN9rocsolver6v33100L18getf2_small_kernelILi1E19rocblas_complex_numIdEiiPS3_EEvT1_T3_lS5_lPS5_llPT2_S5_S5_S7_l, .Lfunc_end0-_ZN9rocsolver6v33100L18getf2_small_kernelILi1E19rocblas_complex_numIdEiiPS3_EEvT1_T3_lS5_lPS5_llPT2_S5_S5_S7_l
                                        ; -- End function
	.set _ZN9rocsolver6v33100L18getf2_small_kernelILi1E19rocblas_complex_numIdEiiPS3_EEvT1_T3_lS5_lPS5_llPT2_S5_S5_S7_l.num_vgpr, 29
	.set _ZN9rocsolver6v33100L18getf2_small_kernelILi1E19rocblas_complex_numIdEiiPS3_EEvT1_T3_lS5_lPS5_llPT2_S5_S5_S7_l.num_agpr, 0
	.set _ZN9rocsolver6v33100L18getf2_small_kernelILi1E19rocblas_complex_numIdEiiPS3_EEvT1_T3_lS5_lPS5_llPT2_S5_S5_S7_l.numbered_sgpr, 20
	.set _ZN9rocsolver6v33100L18getf2_small_kernelILi1E19rocblas_complex_numIdEiiPS3_EEvT1_T3_lS5_lPS5_llPT2_S5_S5_S7_l.num_named_barrier, 0
	.set _ZN9rocsolver6v33100L18getf2_small_kernelILi1E19rocblas_complex_numIdEiiPS3_EEvT1_T3_lS5_lPS5_llPT2_S5_S5_S7_l.private_seg_size, 0
	.set _ZN9rocsolver6v33100L18getf2_small_kernelILi1E19rocblas_complex_numIdEiiPS3_EEvT1_T3_lS5_lPS5_llPT2_S5_S5_S7_l.uses_vcc, 1
	.set _ZN9rocsolver6v33100L18getf2_small_kernelILi1E19rocblas_complex_numIdEiiPS3_EEvT1_T3_lS5_lPS5_llPT2_S5_S5_S7_l.uses_flat_scratch, 0
	.set _ZN9rocsolver6v33100L18getf2_small_kernelILi1E19rocblas_complex_numIdEiiPS3_EEvT1_T3_lS5_lPS5_llPT2_S5_S5_S7_l.has_dyn_sized_stack, 0
	.set _ZN9rocsolver6v33100L18getf2_small_kernelILi1E19rocblas_complex_numIdEiiPS3_EEvT1_T3_lS5_lPS5_llPT2_S5_S5_S7_l.has_recursion, 0
	.set _ZN9rocsolver6v33100L18getf2_small_kernelILi1E19rocblas_complex_numIdEiiPS3_EEvT1_T3_lS5_lPS5_llPT2_S5_S5_S7_l.has_indirect_call, 0
	.section	.AMDGPU.csdata,"",@progbits
; Kernel info:
; codeLenInByte = 1340
; TotalNumSgprs: 26
; NumVgprs: 29
; NumAgprs: 0
; TotalNumVgprs: 29
; ScratchSize: 0
; MemoryBound: 0
; FloatMode: 240
; IeeeMode: 1
; LDSByteSize: 0 bytes/workgroup (compile time only)
; SGPRBlocks: 3
; VGPRBlocks: 3
; NumSGPRsForWavesPerEU: 26
; NumVGPRsForWavesPerEU: 29
; AccumOffset: 32
; Occupancy: 8
; WaveLimiterHint : 0
; COMPUTE_PGM_RSRC2:SCRATCH_EN: 0
; COMPUTE_PGM_RSRC2:USER_SGPR: 2
; COMPUTE_PGM_RSRC2:TRAP_HANDLER: 0
; COMPUTE_PGM_RSRC2:TGID_X_EN: 1
; COMPUTE_PGM_RSRC2:TGID_Y_EN: 1
; COMPUTE_PGM_RSRC2:TGID_Z_EN: 0
; COMPUTE_PGM_RSRC2:TIDIG_COMP_CNT: 1
; COMPUTE_PGM_RSRC3_GFX90A:ACCUM_OFFSET: 7
; COMPUTE_PGM_RSRC3_GFX90A:TG_SPLIT: 0
	.section	.text._ZN9rocsolver6v33100L23getf2_npvt_small_kernelILi1E19rocblas_complex_numIdEiiPS3_EEvT1_T3_lS5_lPT2_S5_S5_,"axG",@progbits,_ZN9rocsolver6v33100L23getf2_npvt_small_kernelILi1E19rocblas_complex_numIdEiiPS3_EEvT1_T3_lS5_lPT2_S5_S5_,comdat
	.globl	_ZN9rocsolver6v33100L23getf2_npvt_small_kernelILi1E19rocblas_complex_numIdEiiPS3_EEvT1_T3_lS5_lPT2_S5_S5_ ; -- Begin function _ZN9rocsolver6v33100L23getf2_npvt_small_kernelILi1E19rocblas_complex_numIdEiiPS3_EEvT1_T3_lS5_lPT2_S5_S5_
	.p2align	8
	.type	_ZN9rocsolver6v33100L23getf2_npvt_small_kernelILi1E19rocblas_complex_numIdEiiPS3_EEvT1_T3_lS5_lPT2_S5_S5_,@function
_ZN9rocsolver6v33100L23getf2_npvt_small_kernelILi1E19rocblas_complex_numIdEiiPS3_EEvT1_T3_lS5_lPT2_S5_S5_: ; @_ZN9rocsolver6v33100L23getf2_npvt_small_kernelILi1E19rocblas_complex_numIdEiiPS3_EEvT1_T3_lS5_lPT2_S5_S5_
; %bb.0:
	s_load_dword s2, s[0:1], 0x44
	s_load_dwordx2 s[8:9], s[0:1], 0x30
	v_bfe_u32 v4, v0, 10, 10
	s_waitcnt lgkmcnt(0)
	s_lshr_b32 s2, s2, 16
	s_mul_i32 s3, s3, s2
	v_add_u32_e32 v8, s3, v4
	v_cmp_gt_i32_e32 vcc, s8, v8
	s_and_saveexec_b64 s[4:5], vcc
	s_cbranch_execz .LBB1_12
; %bb.1:
	s_load_dwordx4 s[12:15], s[0:1], 0x8
	s_load_dwordx4 s[4:7], s[0:1], 0x20
	v_ashrrev_i32_e32 v9, 31, v8
	s_waitcnt lgkmcnt(0)
	v_mov_b32_e32 v2, s12
	v_mul_lo_u32 v1, s5, v8
	v_mul_lo_u32 v5, s4, v9
	v_mad_u64_u32 v[6:7], s[0:1], s4, v8, 0
	v_mov_b32_e32 v3, s13
	v_add3_u32 v7, v7, v5, v1
	v_lshl_add_u64 v[2:3], v[6:7], 4, v[2:3]
	v_and_b32_e32 v5, 0x3ff, v0
	v_lshl_add_u64 v[2:3], s[14:15], 4, v[2:3]
	v_lshlrev_b32_e32 v0, 4, v5
	v_mov_b32_e32 v1, 0
	v_lshl_add_u64 v[10:11], v[2:3], 0, v[0:1]
	global_load_dwordx4 v[0:3], v[10:11], off
	s_lshl_b32 s0, s2, 4
	s_add_i32 s2, s0, 0
	v_cmp_eq_u32_e64 s[0:1], 0, v5
	v_lshl_add_u32 v12, v4, 4, s2
	s_and_saveexec_b64 s[4:5], s[0:1]
	s_cbranch_execz .LBB1_8
; %bb.2:
	s_waitcnt vmcnt(0)
	v_cmp_neq_f64_e32 vcc, 0, v[0:1]
	v_cmp_neq_f64_e64 s[2:3], 0, v[2:3]
	s_or_b64 s[2:3], vcc, s[2:3]
	ds_write2_b64 v12, v[0:1], v[2:3] offset1:1
	s_and_b64 exec, exec, s[2:3]
	s_cbranch_execz .LBB1_8
; %bb.3:
	v_cmp_ngt_f64_e64 s[2:3], |v[0:1]|, |v[2:3]|
                                        ; implicit-def: $vgpr4_vgpr5
	s_and_saveexec_b64 s[10:11], s[2:3]
	s_xor_b64 s[2:3], exec, s[10:11]
                                        ; implicit-def: $vgpr6_vgpr7
	s_cbranch_execz .LBB1_5
; %bb.4:
	v_div_scale_f64 v[4:5], s[10:11], v[2:3], v[2:3], v[0:1]
	v_rcp_f64_e32 v[6:7], v[4:5]
	v_div_scale_f64 v[14:15], vcc, v[0:1], v[2:3], v[0:1]
	v_fma_f64 v[16:17], -v[4:5], v[6:7], 1.0
	v_fmac_f64_e32 v[6:7], v[6:7], v[16:17]
	v_fma_f64 v[16:17], -v[4:5], v[6:7], 1.0
	v_fmac_f64_e32 v[6:7], v[6:7], v[16:17]
	v_mul_f64 v[16:17], v[14:15], v[6:7]
	v_fma_f64 v[4:5], -v[4:5], v[16:17], v[14:15]
	v_div_fmas_f64 v[4:5], v[4:5], v[6:7], v[16:17]
	v_div_fixup_f64 v[4:5], v[4:5], v[2:3], v[0:1]
	v_fma_f64 v[6:7], v[0:1], v[4:5], v[2:3]
	v_div_scale_f64 v[14:15], s[10:11], v[6:7], v[6:7], 1.0
	v_rcp_f64_e32 v[16:17], v[14:15]
	s_nop 0
	v_fma_f64 v[18:19], -v[14:15], v[16:17], 1.0
	v_fmac_f64_e32 v[16:17], v[16:17], v[18:19]
	v_fma_f64 v[18:19], -v[14:15], v[16:17], 1.0
	v_fmac_f64_e32 v[16:17], v[16:17], v[18:19]
	v_div_scale_f64 v[18:19], vcc, 1.0, v[6:7], 1.0
	v_mul_f64 v[20:21], v[18:19], v[16:17]
	v_fma_f64 v[14:15], -v[14:15], v[20:21], v[18:19]
	s_nop 1
	v_div_fmas_f64 v[14:15], v[14:15], v[16:17], v[20:21]
	v_div_fixup_f64 v[6:7], v[14:15], v[6:7], 1.0
	v_mul_f64 v[4:5], v[4:5], v[6:7]
	v_xor_b32_e32 v7, 0x80000000, v7
.LBB1_5:
	s_andn2_saveexec_b64 s[2:3], s[2:3]
	s_cbranch_execz .LBB1_7
; %bb.6:
	v_div_scale_f64 v[4:5], s[10:11], v[0:1], v[0:1], v[2:3]
	v_rcp_f64_e32 v[6:7], v[4:5]
	v_div_scale_f64 v[14:15], vcc, v[2:3], v[0:1], v[2:3]
	v_fma_f64 v[16:17], -v[4:5], v[6:7], 1.0
	v_fmac_f64_e32 v[6:7], v[6:7], v[16:17]
	v_fma_f64 v[16:17], -v[4:5], v[6:7], 1.0
	v_fmac_f64_e32 v[6:7], v[6:7], v[16:17]
	v_mul_f64 v[16:17], v[14:15], v[6:7]
	v_fma_f64 v[4:5], -v[4:5], v[16:17], v[14:15]
	v_div_fmas_f64 v[4:5], v[4:5], v[6:7], v[16:17]
	v_div_fixup_f64 v[6:7], v[4:5], v[0:1], v[2:3]
	v_fma_f64 v[4:5], v[2:3], v[6:7], v[0:1]
	v_div_scale_f64 v[14:15], s[10:11], v[4:5], v[4:5], 1.0
	v_rcp_f64_e32 v[16:17], v[14:15]
	s_nop 0
	v_fma_f64 v[18:19], -v[14:15], v[16:17], 1.0
	v_fmac_f64_e32 v[16:17], v[16:17], v[18:19]
	v_fma_f64 v[18:19], -v[14:15], v[16:17], 1.0
	v_fmac_f64_e32 v[16:17], v[16:17], v[18:19]
	v_div_scale_f64 v[18:19], vcc, 1.0, v[4:5], 1.0
	v_mul_f64 v[20:21], v[18:19], v[16:17]
	v_fma_f64 v[14:15], -v[14:15], v[20:21], v[18:19]
	s_nop 1
	v_div_fmas_f64 v[14:15], v[14:15], v[16:17], v[20:21]
	v_div_fixup_f64 v[4:5], v[14:15], v[4:5], 1.0
	v_mul_f64 v[6:7], v[6:7], -v[4:5]
.LBB1_7:
	s_or_b64 exec, exec, s[2:3]
	ds_write2_b64 v12, v[4:5], v[6:7] offset1:1
.LBB1_8:
	s_or_b64 exec, exec, s[4:5]
	s_waitcnt lgkmcnt(0)
	s_barrier
	ds_read2_b64 v[4:7], v12 offset1:1
	s_waitcnt lgkmcnt(0)
	s_barrier
	s_and_saveexec_b64 s[10:11], s[0:1]
	s_cbranch_execz .LBB1_11
; %bb.9:
	v_mov_b32_e32 v12, s6
	v_mov_b32_e32 v13, s7
	v_lshl_add_u64 v[8:9], v[8:9], 2, v[12:13]
	global_load_dword v12, v[8:9], off
	v_cmp_eq_f64_e32 vcc, 0, v[4:5]
	v_cmp_eq_f64_e64 s[2:3], 0, v[6:7]
	s_and_b64 s[2:3], vcc, s[2:3]
	s_waitcnt vmcnt(0)
	v_cmp_eq_u32_e64 s[4:5], 0, v12
	s_and_b64 s[2:3], s[2:3], s[4:5]
	s_and_b64 exec, exec, s[2:3]
	s_cbranch_execz .LBB1_11
; %bb.10:
	s_add_i32 s2, s9, 1
	v_mov_b32_e32 v12, s2
	global_store_dword v[8:9], v12, off
.LBB1_11:
	s_or_b64 exec, exec, s[10:11]
	s_waitcnt vmcnt(0)
	v_mul_f64 v[8:9], v[2:3], v[6:7]
	v_mul_f64 v[6:7], v[0:1], v[6:7]
	v_fma_f64 v[8:9], v[0:1], v[4:5], -v[8:9]
	v_fmac_f64_e32 v[6:7], v[2:3], v[4:5]
	v_cndmask_b32_e64 v1, v9, v1, s[0:1]
	v_cndmask_b32_e64 v0, v8, v0, s[0:1]
	;; [unrolled: 1-line block ×4, first 2 shown]
	global_store_dwordx4 v[10:11], v[0:3], off
.LBB1_12:
	s_endpgm
	.section	.rodata,"a",@progbits
	.p2align	6, 0x0
	.amdhsa_kernel _ZN9rocsolver6v33100L23getf2_npvt_small_kernelILi1E19rocblas_complex_numIdEiiPS3_EEvT1_T3_lS5_lPT2_S5_S5_
		.amdhsa_group_segment_fixed_size 0
		.amdhsa_private_segment_fixed_size 0
		.amdhsa_kernarg_size 312
		.amdhsa_user_sgpr_count 2
		.amdhsa_user_sgpr_dispatch_ptr 0
		.amdhsa_user_sgpr_queue_ptr 0
		.amdhsa_user_sgpr_kernarg_segment_ptr 1
		.amdhsa_user_sgpr_dispatch_id 0
		.amdhsa_user_sgpr_kernarg_preload_length 0
		.amdhsa_user_sgpr_kernarg_preload_offset 0
		.amdhsa_user_sgpr_private_segment_size 0
		.amdhsa_uses_dynamic_stack 0
		.amdhsa_enable_private_segment 0
		.amdhsa_system_sgpr_workgroup_id_x 1
		.amdhsa_system_sgpr_workgroup_id_y 1
		.amdhsa_system_sgpr_workgroup_id_z 0
		.amdhsa_system_sgpr_workgroup_info 0
		.amdhsa_system_vgpr_workitem_id 1
		.amdhsa_next_free_vgpr 22
		.amdhsa_next_free_sgpr 16
		.amdhsa_accum_offset 24
		.amdhsa_reserve_vcc 1
		.amdhsa_float_round_mode_32 0
		.amdhsa_float_round_mode_16_64 0
		.amdhsa_float_denorm_mode_32 3
		.amdhsa_float_denorm_mode_16_64 3
		.amdhsa_dx10_clamp 1
		.amdhsa_ieee_mode 1
		.amdhsa_fp16_overflow 0
		.amdhsa_tg_split 0
		.amdhsa_exception_fp_ieee_invalid_op 0
		.amdhsa_exception_fp_denorm_src 0
		.amdhsa_exception_fp_ieee_div_zero 0
		.amdhsa_exception_fp_ieee_overflow 0
		.amdhsa_exception_fp_ieee_underflow 0
		.amdhsa_exception_fp_ieee_inexact 0
		.amdhsa_exception_int_div_zero 0
	.end_amdhsa_kernel
	.section	.text._ZN9rocsolver6v33100L23getf2_npvt_small_kernelILi1E19rocblas_complex_numIdEiiPS3_EEvT1_T3_lS5_lPT2_S5_S5_,"axG",@progbits,_ZN9rocsolver6v33100L23getf2_npvt_small_kernelILi1E19rocblas_complex_numIdEiiPS3_EEvT1_T3_lS5_lPT2_S5_S5_,comdat
.Lfunc_end1:
	.size	_ZN9rocsolver6v33100L23getf2_npvt_small_kernelILi1E19rocblas_complex_numIdEiiPS3_EEvT1_T3_lS5_lPT2_S5_S5_, .Lfunc_end1-_ZN9rocsolver6v33100L23getf2_npvt_small_kernelILi1E19rocblas_complex_numIdEiiPS3_EEvT1_T3_lS5_lPT2_S5_S5_
                                        ; -- End function
	.set _ZN9rocsolver6v33100L23getf2_npvt_small_kernelILi1E19rocblas_complex_numIdEiiPS3_EEvT1_T3_lS5_lPT2_S5_S5_.num_vgpr, 22
	.set _ZN9rocsolver6v33100L23getf2_npvt_small_kernelILi1E19rocblas_complex_numIdEiiPS3_EEvT1_T3_lS5_lPT2_S5_S5_.num_agpr, 0
	.set _ZN9rocsolver6v33100L23getf2_npvt_small_kernelILi1E19rocblas_complex_numIdEiiPS3_EEvT1_T3_lS5_lPT2_S5_S5_.numbered_sgpr, 16
	.set _ZN9rocsolver6v33100L23getf2_npvt_small_kernelILi1E19rocblas_complex_numIdEiiPS3_EEvT1_T3_lS5_lPT2_S5_S5_.num_named_barrier, 0
	.set _ZN9rocsolver6v33100L23getf2_npvt_small_kernelILi1E19rocblas_complex_numIdEiiPS3_EEvT1_T3_lS5_lPT2_S5_S5_.private_seg_size, 0
	.set _ZN9rocsolver6v33100L23getf2_npvt_small_kernelILi1E19rocblas_complex_numIdEiiPS3_EEvT1_T3_lS5_lPT2_S5_S5_.uses_vcc, 1
	.set _ZN9rocsolver6v33100L23getf2_npvt_small_kernelILi1E19rocblas_complex_numIdEiiPS3_EEvT1_T3_lS5_lPT2_S5_S5_.uses_flat_scratch, 0
	.set _ZN9rocsolver6v33100L23getf2_npvt_small_kernelILi1E19rocblas_complex_numIdEiiPS3_EEvT1_T3_lS5_lPT2_S5_S5_.has_dyn_sized_stack, 0
	.set _ZN9rocsolver6v33100L23getf2_npvt_small_kernelILi1E19rocblas_complex_numIdEiiPS3_EEvT1_T3_lS5_lPT2_S5_S5_.has_recursion, 0
	.set _ZN9rocsolver6v33100L23getf2_npvt_small_kernelILi1E19rocblas_complex_numIdEiiPS3_EEvT1_T3_lS5_lPT2_S5_S5_.has_indirect_call, 0
	.section	.AMDGPU.csdata,"",@progbits
; Kernel info:
; codeLenInByte = 828
; TotalNumSgprs: 22
; NumVgprs: 22
; NumAgprs: 0
; TotalNumVgprs: 22
; ScratchSize: 0
; MemoryBound: 0
; FloatMode: 240
; IeeeMode: 1
; LDSByteSize: 0 bytes/workgroup (compile time only)
; SGPRBlocks: 2
; VGPRBlocks: 2
; NumSGPRsForWavesPerEU: 22
; NumVGPRsForWavesPerEU: 22
; AccumOffset: 24
; Occupancy: 8
; WaveLimiterHint : 0
; COMPUTE_PGM_RSRC2:SCRATCH_EN: 0
; COMPUTE_PGM_RSRC2:USER_SGPR: 2
; COMPUTE_PGM_RSRC2:TRAP_HANDLER: 0
; COMPUTE_PGM_RSRC2:TGID_X_EN: 1
; COMPUTE_PGM_RSRC2:TGID_Y_EN: 1
; COMPUTE_PGM_RSRC2:TGID_Z_EN: 0
; COMPUTE_PGM_RSRC2:TIDIG_COMP_CNT: 1
; COMPUTE_PGM_RSRC3_GFX90A:ACCUM_OFFSET: 5
; COMPUTE_PGM_RSRC3_GFX90A:TG_SPLIT: 0
	.section	.text._ZN9rocsolver6v33100L18getf2_small_kernelILi2E19rocblas_complex_numIdEiiPS3_EEvT1_T3_lS5_lPS5_llPT2_S5_S5_S7_l,"axG",@progbits,_ZN9rocsolver6v33100L18getf2_small_kernelILi2E19rocblas_complex_numIdEiiPS3_EEvT1_T3_lS5_lPS5_llPT2_S5_S5_S7_l,comdat
	.globl	_ZN9rocsolver6v33100L18getf2_small_kernelILi2E19rocblas_complex_numIdEiiPS3_EEvT1_T3_lS5_lPS5_llPT2_S5_S5_S7_l ; -- Begin function _ZN9rocsolver6v33100L18getf2_small_kernelILi2E19rocblas_complex_numIdEiiPS3_EEvT1_T3_lS5_lPS5_llPT2_S5_S5_S7_l
	.p2align	8
	.type	_ZN9rocsolver6v33100L18getf2_small_kernelILi2E19rocblas_complex_numIdEiiPS3_EEvT1_T3_lS5_lPS5_llPT2_S5_S5_S7_l,@function
_ZN9rocsolver6v33100L18getf2_small_kernelILi2E19rocblas_complex_numIdEiiPS3_EEvT1_T3_lS5_lPS5_llPT2_S5_S5_S7_l: ; @_ZN9rocsolver6v33100L18getf2_small_kernelILi2E19rocblas_complex_numIdEiiPS3_EEvT1_T3_lS5_lPS5_llPT2_S5_S5_S7_l
; %bb.0:
	s_load_dword s2, s[0:1], 0x6c
	s_load_dwordx2 s[12:13], s[0:1], 0x48
	v_bfe_u32 v8, v0, 10, 10
	s_waitcnt lgkmcnt(0)
	s_lshr_b32 s2, s2, 16
	s_mul_i32 s3, s3, s2
	v_add_u32_e32 v12, s3, v8
	v_cmp_gt_i32_e32 vcc, s12, v12
	s_and_saveexec_b64 s[2:3], vcc
	s_cbranch_execz .LBB2_43
; %bb.1:
	s_load_dwordx4 s[4:7], s[0:1], 0x50
	v_ashrrev_i32_e32 v13, 31, v12
	v_mov_b64_e32 v[16:17], 0
	s_waitcnt lgkmcnt(0)
	s_cmp_eq_u64 s[4:5], 0
	s_cselect_b64 s[14:15], -1, 0
	s_and_b64 vcc, exec, s[14:15]
	s_cbranch_vccnz .LBB2_3
; %bb.2:
	v_mul_lo_u32 v1, s7, v12
	v_mul_lo_u32 v4, s6, v13
	v_mad_u64_u32 v[2:3], s[2:3], s6, v12, 0
	v_add3_u32 v3, v3, v4, v1
	v_lshl_add_u64 v[16:17], v[2:3], 2, s[4:5]
.LBB2_3:
	s_load_dwordx4 s[16:19], s[0:1], 0x8
	s_load_dwordx8 s[4:11], s[0:1], 0x20
	s_load_dword s2, s[0:1], 0x18
	v_and_b32_e32 v22, 0x3ff, v0
	v_lshlrev_b32_e32 v18, 4, v22
	s_waitcnt lgkmcnt(0)
	v_mov_b32_e32 v2, s16
	v_mul_lo_u32 v1, s5, v12
	v_mul_lo_u32 v6, s4, v13
	v_mad_u64_u32 v[4:5], s[4:5], s4, v12, 0
	v_mov_b32_e32 v3, s17
	v_add3_u32 v5, v5, v6, v1
	v_lshl_add_u64 v[2:3], v[4:5], 4, v[2:3]
	v_lshl_add_u64 v[14:15], s[18:19], 4, v[2:3]
	v_mov_b32_e32 v19, 0
	v_lshl_add_u64 v[4:5], v[14:15], 0, v[18:19]
	global_load_dwordx4 v[0:3], v[4:5], off
	s_ashr_i32 s3, s2, 31
	v_lshl_add_u64 v[4:5], s[2:3], 4, v[4:5]
	global_load_dwordx4 v[4:7], v[4:5], off
	s_load_dword s12, s[0:1], 0x0
	s_load_dwordx2 s[4:5], s[0:1], 0x40
	s_waitcnt lgkmcnt(0)
	s_max_i32 s0, s12, 2
	v_mul_lo_u32 v21, s0, v8
	v_lshl_add_u32 v20, v21, 4, 0
	v_add_u32_e32 v8, v20, v18
	s_cmp_lt_i32 s12, 2
	v_lshlrev_b32_e32 v21, 4, v21
	s_waitcnt vmcnt(1)
	ds_write2_b64 v8, v[0:1], v[2:3] offset1:1
	s_waitcnt lgkmcnt(0)
	s_barrier
	ds_read2_b64 v[8:11], v20 offset1:1
	s_cbranch_scc1 .LBB2_6
; %bb.4:
	v_add3_u32 v18, v21, 0, 16
	s_mov_b32 s16, 1
	v_mov_b32_e32 v19, 0
.LBB2_5:                                ; =>This Inner Loop Header: Depth=1
	ds_read2_b64 v[24:27], v18 offset1:1
	s_waitcnt lgkmcnt(1)
	v_xor_b32_e32 v23, 0x80000000, v9
	v_xor_b32_e32 v31, 0x80000000, v11
	v_cmp_gt_f64_e32 vcc, 0, v[10:11]
	v_cmp_gt_f64_e64 s[0:1], 0, v[8:9]
	v_mov_b32_e32 v28, v8
	v_mov_b32_e32 v30, v10
	v_cndmask_b32_e64 v29, v9, v23, s[0:1]
	v_cndmask_b32_e32 v31, v11, v31, vcc
	s_waitcnt lgkmcnt(0)
	v_xor_b32_e32 v23, 0x80000000, v25
	v_xor_b32_e32 v33, 0x80000000, v27
	v_cmp_gt_f64_e32 vcc, 0, v[26:27]
	v_cmp_gt_f64_e64 s[0:1], 0, v[24:25]
	v_add_f64 v[28:29], v[28:29], v[30:31]
	v_mov_b32_e32 v30, v24
	v_mov_b32_e32 v32, v26
	v_cndmask_b32_e64 v31, v25, v23, s[0:1]
	v_cndmask_b32_e32 v33, v27, v33, vcc
	v_add_f64 v[30:31], v[30:31], v[32:33]
	v_mov_b32_e32 v34, s16
	s_add_i32 s16, s16, 1
	v_cmp_lt_f64_e32 vcc, v[28:29], v[30:31]
	v_add_u32_e32 v18, 16, v18
	s_cmp_eq_u32 s12, s16
	v_cndmask_b32_e32 v9, v9, v25, vcc
	v_cndmask_b32_e32 v8, v8, v24, vcc
	;; [unrolled: 1-line block ×5, first 2 shown]
	s_cbranch_scc0 .LBB2_5
.LBB2_6:
	s_waitcnt lgkmcnt(0)
	v_cmp_neq_f64_e32 vcc, 0, v[8:9]
	v_cmp_neq_f64_e64 s[0:1], 0, v[10:11]
	s_or_b64 s[16:17], vcc, s[0:1]
	v_mov_b32_e32 v23, 1
	v_mov_b32_e32 v24, 1
	s_and_saveexec_b64 s[0:1], s[16:17]
	s_cbranch_execz .LBB2_12
; %bb.7:
	v_cmp_ngt_f64_e64 s[16:17], |v[8:9]|, |v[10:11]|
	s_and_saveexec_b64 s[18:19], s[16:17]
	s_xor_b64 s[16:17], exec, s[18:19]
	s_cbranch_execz .LBB2_9
; %bb.8:
	v_div_scale_f64 v[24:25], s[18:19], v[10:11], v[10:11], v[8:9]
	v_rcp_f64_e32 v[26:27], v[24:25]
	v_div_scale_f64 v[28:29], vcc, v[8:9], v[10:11], v[8:9]
	v_fma_f64 v[30:31], -v[24:25], v[26:27], 1.0
	v_fmac_f64_e32 v[26:27], v[26:27], v[30:31]
	v_fma_f64 v[30:31], -v[24:25], v[26:27], 1.0
	v_fmac_f64_e32 v[26:27], v[26:27], v[30:31]
	v_mul_f64 v[30:31], v[28:29], v[26:27]
	v_fma_f64 v[24:25], -v[24:25], v[30:31], v[28:29]
	v_div_fmas_f64 v[24:25], v[24:25], v[26:27], v[30:31]
	v_div_fixup_f64 v[24:25], v[24:25], v[10:11], v[8:9]
	v_fmac_f64_e32 v[10:11], v[8:9], v[24:25]
	v_div_scale_f64 v[8:9], s[18:19], v[10:11], v[10:11], 1.0
	v_rcp_f64_e32 v[26:27], v[8:9]
	s_nop 0
	v_fma_f64 v[28:29], -v[8:9], v[26:27], 1.0
	v_fmac_f64_e32 v[26:27], v[26:27], v[28:29]
	v_fma_f64 v[28:29], -v[8:9], v[26:27], 1.0
	v_fmac_f64_e32 v[26:27], v[26:27], v[28:29]
	v_div_scale_f64 v[28:29], vcc, 1.0, v[10:11], 1.0
	v_mul_f64 v[30:31], v[28:29], v[26:27]
	v_fma_f64 v[8:9], -v[8:9], v[30:31], v[28:29]
	s_nop 1
	v_div_fmas_f64 v[8:9], v[8:9], v[26:27], v[30:31]
	v_div_fixup_f64 v[10:11], v[8:9], v[10:11], 1.0
	v_mul_f64 v[8:9], v[24:25], v[10:11]
	v_xor_b32_e32 v11, 0x80000000, v11
.LBB2_9:
	s_andn2_saveexec_b64 s[16:17], s[16:17]
	s_cbranch_execz .LBB2_11
; %bb.10:
	v_div_scale_f64 v[24:25], s[18:19], v[8:9], v[8:9], v[10:11]
	v_rcp_f64_e32 v[26:27], v[24:25]
	v_div_scale_f64 v[28:29], vcc, v[10:11], v[8:9], v[10:11]
	v_fma_f64 v[30:31], -v[24:25], v[26:27], 1.0
	v_fmac_f64_e32 v[26:27], v[26:27], v[30:31]
	v_fma_f64 v[30:31], -v[24:25], v[26:27], 1.0
	v_fmac_f64_e32 v[26:27], v[26:27], v[30:31]
	v_mul_f64 v[30:31], v[28:29], v[26:27]
	v_fma_f64 v[24:25], -v[24:25], v[30:31], v[28:29]
	v_div_fmas_f64 v[24:25], v[24:25], v[26:27], v[30:31]
	v_div_fixup_f64 v[24:25], v[24:25], v[8:9], v[10:11]
	v_fmac_f64_e32 v[8:9], v[10:11], v[24:25]
	v_div_scale_f64 v[10:11], s[18:19], v[8:9], v[8:9], 1.0
	v_rcp_f64_e32 v[26:27], v[10:11]
	s_nop 0
	v_fma_f64 v[28:29], -v[10:11], v[26:27], 1.0
	v_fmac_f64_e32 v[26:27], v[26:27], v[28:29]
	v_fma_f64 v[28:29], -v[10:11], v[26:27], 1.0
	v_fmac_f64_e32 v[26:27], v[26:27], v[28:29]
	v_div_scale_f64 v[28:29], vcc, 1.0, v[8:9], 1.0
	v_mul_f64 v[30:31], v[28:29], v[26:27]
	v_fma_f64 v[10:11], -v[10:11], v[30:31], v[28:29]
	s_nop 1
	v_div_fmas_f64 v[10:11], v[10:11], v[26:27], v[30:31]
	v_div_fixup_f64 v[8:9], v[10:11], v[8:9], 1.0
	v_mul_f64 v[10:11], v[24:25], -v[8:9]
.LBB2_11:
	s_or_b64 exec, exec, s[16:17]
	v_mov_b32_e32 v24, 0
	v_mov_b32_e32 v23, 2
.LBB2_12:
	s_or_b64 exec, exec, s[0:1]
	v_cmp_ne_u32_e32 vcc, v22, v19
	s_and_saveexec_b64 s[0:1], vcc
	s_xor_b64 s[0:1], exec, s[0:1]
	s_cbranch_execz .LBB2_18
; %bb.13:
	v_cmp_eq_u32_e32 vcc, 0, v22
	s_and_saveexec_b64 s[16:17], vcc
	s_cbranch_execz .LBB2_17
; %bb.14:
	v_cmp_ne_u32_e32 vcc, 0, v19
	s_xor_b64 s[18:19], s[14:15], -1
	s_and_b64 s[20:21], s[18:19], vcc
	s_and_saveexec_b64 s[18:19], s[20:21]
	s_cbranch_execz .LBB2_16
; %bb.15:
	v_ashrrev_i32_e32 v27, 31, v19
	v_mov_b32_e32 v26, v19
	v_lshl_add_u64 v[26:27], v[26:27], 2, v[16:17]
	global_load_dword v18, v[26:27], off
	global_load_dword v22, v[16:17], off
	s_waitcnt vmcnt(1)
	global_store_dword v[16:17], v18, off
	s_waitcnt vmcnt(1)
	global_store_dword v[26:27], v22, off
.LBB2_16:
	s_or_b64 exec, exec, s[18:19]
	v_mov_b32_e32 v22, v19
.LBB2_17:
	s_or_b64 exec, exec, s[16:17]
.LBB2_18:
	s_or_saveexec_b64 s[0:1], s[0:1]
	v_mov_b32_e32 v19, v22
	s_xor_b64 exec, exec, s[0:1]
	s_cbranch_execz .LBB2_20
; %bb.19:
	v_mov_b32_e32 v19, 0
	s_waitcnt vmcnt(0)
	ds_write2_b64 v20, v[4:5], v[6:7] offset0:2 offset1:3
.LBB2_20:
	s_or_b64 exec, exec, s[0:1]
	v_cmp_lt_i32_e32 vcc, 0, v19
	s_waitcnt lgkmcnt(0)
	s_barrier
	s_and_saveexec_b64 s[0:1], vcc
	s_cbranch_execz .LBB2_22
; %bb.21:
	ds_read2_b64 v[26:29], v20 offset0:2 offset1:3
	v_mul_f64 v[30:31], v[8:9], v[2:3]
	v_mul_f64 v[2:3], v[10:11], v[2:3]
	v_fmac_f64_e32 v[30:31], v[10:11], v[0:1]
	v_fma_f64 v[0:1], v[8:9], v[0:1], -v[2:3]
	s_waitcnt lgkmcnt(0)
	v_mul_f64 v[2:3], v[28:29], v[30:31]
	v_mul_f64 v[8:9], v[26:27], v[30:31]
	v_fma_f64 v[2:3], v[26:27], v[0:1], -v[2:3]
	v_fmac_f64_e32 v[8:9], v[28:29], v[0:1]
	s_waitcnt vmcnt(0)
	v_add_f64 v[4:5], v[4:5], -v[2:3]
	v_add_f64 v[6:7], v[6:7], -v[8:9]
	v_mov_b64_e32 v[2:3], v[30:31]
.LBB2_22:
	s_or_b64 exec, exec, s[0:1]
	v_lshl_add_u32 v8, v19, 4, v20
	s_barrier
	s_waitcnt vmcnt(0)
	ds_write2_b64 v8, v[4:5], v[6:7] offset1:1
	s_waitcnt lgkmcnt(0)
	s_barrier
	ds_read2_b64 v[8:11], v20 offset0:2 offset1:3
	s_cmp_lt_i32 s12, 3
	v_mov_b32_e32 v18, 1
	s_cbranch_scc1 .LBB2_25
; %bb.23:
	v_add3_u32 v20, v21, 0, 32
	s_mov_b32 s16, 2
	v_mov_b32_e32 v18, 1
.LBB2_24:                               ; =>This Inner Loop Header: Depth=1
	ds_read2_b64 v[26:29], v20 offset1:1
	s_waitcnt lgkmcnt(1)
	v_xor_b32_e32 v21, 0x80000000, v9
	v_xor_b32_e32 v25, 0x80000000, v11
	v_cmp_gt_f64_e32 vcc, 0, v[10:11]
	v_cmp_gt_f64_e64 s[0:1], 0, v[8:9]
	v_mov_b32_e32 v30, v8
	v_mov_b32_e32 v32, v10
	v_cndmask_b32_e64 v31, v9, v21, s[0:1]
	v_cndmask_b32_e32 v33, v11, v25, vcc
	s_waitcnt lgkmcnt(0)
	v_xor_b32_e32 v21, 0x80000000, v27
	v_xor_b32_e32 v25, 0x80000000, v29
	v_cmp_gt_f64_e32 vcc, 0, v[28:29]
	v_cmp_gt_f64_e64 s[0:1], 0, v[26:27]
	v_add_f64 v[30:31], v[30:31], v[32:33]
	v_mov_b32_e32 v32, v26
	v_mov_b32_e32 v34, v28
	v_cndmask_b32_e64 v33, v27, v21, s[0:1]
	v_cndmask_b32_e32 v35, v29, v25, vcc
	v_add_f64 v[32:33], v[32:33], v[34:35]
	v_mov_b32_e32 v36, s16
	s_add_i32 s16, s16, 1
	v_cmp_lt_f64_e32 vcc, v[30:31], v[32:33]
	v_add_u32_e32 v20, 16, v20
	s_cmp_lg_u32 s12, s16
	v_cndmask_b32_e32 v9, v9, v27, vcc
	v_cndmask_b32_e32 v8, v8, v26, vcc
	;; [unrolled: 1-line block ×5, first 2 shown]
	s_cbranch_scc1 .LBB2_24
.LBB2_25:
	s_waitcnt lgkmcnt(0)
	v_cmp_neq_f64_e32 vcc, 0, v[8:9]
	v_cmp_neq_f64_e64 s[0:1], 0, v[10:11]
	s_or_b64 s[16:17], vcc, s[0:1]
	s_and_saveexec_b64 s[0:1], s[16:17]
	s_cbranch_execz .LBB2_31
; %bb.26:
	v_cmp_ngt_f64_e64 s[16:17], |v[8:9]|, |v[10:11]|
	s_and_saveexec_b64 s[18:19], s[16:17]
	s_xor_b64 s[16:17], exec, s[18:19]
	s_cbranch_execz .LBB2_28
; %bb.27:
	v_div_scale_f64 v[20:21], s[18:19], v[10:11], v[10:11], v[8:9]
	v_rcp_f64_e32 v[26:27], v[20:21]
	v_div_scale_f64 v[28:29], vcc, v[8:9], v[10:11], v[8:9]
	v_fma_f64 v[30:31], -v[20:21], v[26:27], 1.0
	v_fmac_f64_e32 v[26:27], v[26:27], v[30:31]
	v_fma_f64 v[30:31], -v[20:21], v[26:27], 1.0
	v_fmac_f64_e32 v[26:27], v[26:27], v[30:31]
	v_mul_f64 v[30:31], v[28:29], v[26:27]
	v_fma_f64 v[20:21], -v[20:21], v[30:31], v[28:29]
	v_div_fmas_f64 v[20:21], v[20:21], v[26:27], v[30:31]
	v_div_fixup_f64 v[20:21], v[20:21], v[10:11], v[8:9]
	v_fmac_f64_e32 v[10:11], v[8:9], v[20:21]
	v_div_scale_f64 v[8:9], s[18:19], v[10:11], v[10:11], 1.0
	v_rcp_f64_e32 v[26:27], v[8:9]
	s_nop 0
	v_fma_f64 v[28:29], -v[8:9], v[26:27], 1.0
	v_fmac_f64_e32 v[26:27], v[26:27], v[28:29]
	v_fma_f64 v[28:29], -v[8:9], v[26:27], 1.0
	v_fmac_f64_e32 v[26:27], v[26:27], v[28:29]
	v_div_scale_f64 v[28:29], vcc, 1.0, v[10:11], 1.0
	v_mul_f64 v[30:31], v[28:29], v[26:27]
	v_fma_f64 v[8:9], -v[8:9], v[30:31], v[28:29]
	s_nop 1
	v_div_fmas_f64 v[8:9], v[8:9], v[26:27], v[30:31]
	v_div_fixup_f64 v[10:11], v[8:9], v[10:11], 1.0
	v_mul_f64 v[8:9], v[20:21], v[10:11]
	v_xor_b32_e32 v11, 0x80000000, v11
.LBB2_28:
	s_andn2_saveexec_b64 s[16:17], s[16:17]
	s_cbranch_execz .LBB2_30
; %bb.29:
	v_div_scale_f64 v[20:21], s[18:19], v[8:9], v[8:9], v[10:11]
	v_rcp_f64_e32 v[26:27], v[20:21]
	v_div_scale_f64 v[28:29], vcc, v[10:11], v[8:9], v[10:11]
	v_fma_f64 v[30:31], -v[20:21], v[26:27], 1.0
	v_fmac_f64_e32 v[26:27], v[26:27], v[30:31]
	v_fma_f64 v[30:31], -v[20:21], v[26:27], 1.0
	v_fmac_f64_e32 v[26:27], v[26:27], v[30:31]
	v_mul_f64 v[30:31], v[28:29], v[26:27]
	v_fma_f64 v[20:21], -v[20:21], v[30:31], v[28:29]
	v_div_fmas_f64 v[20:21], v[20:21], v[26:27], v[30:31]
	v_div_fixup_f64 v[20:21], v[20:21], v[8:9], v[10:11]
	v_fmac_f64_e32 v[8:9], v[10:11], v[20:21]
	v_div_scale_f64 v[10:11], s[18:19], v[8:9], v[8:9], 1.0
	v_rcp_f64_e32 v[26:27], v[10:11]
	s_nop 0
	v_fma_f64 v[28:29], -v[10:11], v[26:27], 1.0
	v_fmac_f64_e32 v[26:27], v[26:27], v[28:29]
	v_fma_f64 v[28:29], -v[10:11], v[26:27], 1.0
	v_fmac_f64_e32 v[26:27], v[26:27], v[28:29]
	v_div_scale_f64 v[28:29], vcc, 1.0, v[8:9], 1.0
	v_mul_f64 v[30:31], v[28:29], v[26:27]
	v_fma_f64 v[10:11], -v[10:11], v[30:31], v[28:29]
	s_nop 1
	v_div_fmas_f64 v[10:11], v[10:11], v[26:27], v[30:31]
	v_div_fixup_f64 v[8:9], v[10:11], v[8:9], 1.0
	v_mul_f64 v[10:11], v[20:21], -v[8:9]
.LBB2_30:
	s_or_b64 exec, exec, s[16:17]
	v_mov_b32_e32 v23, v24
.LBB2_31:
	s_or_b64 exec, exec, s[0:1]
	v_cmp_ne_u32_e32 vcc, v19, v18
	v_mov_b32_e32 v20, 1
	s_and_saveexec_b64 s[0:1], vcc
	s_cbranch_execz .LBB2_37
; %bb.32:
	v_cmp_eq_u32_e32 vcc, 1, v19
	s_and_saveexec_b64 s[16:17], vcc
	s_cbranch_execz .LBB2_36
; %bb.33:
	v_cmp_ne_u32_e32 vcc, 1, v18
	s_xor_b64 s[14:15], s[14:15], -1
	s_and_b64 s[18:19], s[14:15], vcc
	s_and_saveexec_b64 s[14:15], s[18:19]
	s_cbranch_execz .LBB2_35
; %bb.34:
	v_ashrrev_i32_e32 v19, 31, v18
	v_lshl_add_u64 v[20:21], v[18:19], 2, v[16:17]
	global_load_dword v19, v[20:21], off
	global_load_dword v22, v[16:17], off offset:4
	s_waitcnt vmcnt(1)
	global_store_dword v[16:17], v19, off offset:4
	s_waitcnt vmcnt(1)
	global_store_dword v[20:21], v22, off
.LBB2_35:
	s_or_b64 exec, exec, s[14:15]
	v_mov_b32_e32 v19, v18
	v_mov_b32_e32 v22, v18
.LBB2_36:
	s_or_b64 exec, exec, s[16:17]
	v_mov_b32_e32 v20, v19
.LBB2_37:
	s_or_b64 exec, exec, s[0:1]
	v_cmp_gt_i32_e32 vcc, 2, v20
	v_ashrrev_i32_e32 v21, 31, v20
	s_barrier
	s_barrier
	s_and_saveexec_b64 s[0:1], vcc
	s_cbranch_execz .LBB2_39
; %bb.38:
	v_mov_b32_e32 v16, s6
	v_mov_b32_e32 v17, s7
	v_mul_lo_u32 v24, s11, v12
	v_mul_lo_u32 v25, s10, v13
	v_mad_u64_u32 v[18:19], s[6:7], s10, v12, 0
	v_add3_u32 v19, v19, v25, v24
	v_lshl_add_u64 v[16:17], v[18:19], 2, v[16:17]
	v_lshl_add_u64 v[16:17], s[8:9], 2, v[16:17]
	;; [unrolled: 1-line block ×3, first 2 shown]
	v_add3_u32 v18, v22, s13, 1
	global_store_dword v[16:17], v18, off
.LBB2_39:
	s_or_b64 exec, exec, s[0:1]
	v_cmp_eq_u32_e32 vcc, 0, v20
	s_and_saveexec_b64 s[6:7], vcc
	s_cbranch_execz .LBB2_42
; %bb.40:
	v_mov_b32_e32 v16, s4
	v_mov_b32_e32 v17, s5
	v_lshl_add_u64 v[12:13], v[12:13], 2, v[16:17]
	global_load_dword v16, v[12:13], off
	v_cmp_ne_u32_e64 s[0:1], 0, v23
	s_waitcnt vmcnt(0)
	v_cmp_eq_u32_e32 vcc, 0, v16
	s_and_b64 s[0:1], vcc, s[0:1]
	s_and_b64 exec, exec, s[0:1]
	s_cbranch_execz .LBB2_42
; %bb.41:
	v_add_u32_e32 v16, s13, v23
	global_store_dword v[12:13], v16, off
.LBB2_42:
	s_or_b64 exec, exec, s[6:7]
	v_mul_f64 v[12:13], v[10:11], v[6:7]
	v_fma_f64 v[12:13], v[8:9], v[4:5], -v[12:13]
	v_mul_f64 v[8:9], v[8:9], v[6:7]
	v_fmac_f64_e32 v[8:9], v[10:11], v[4:5]
	v_cmp_lt_i32_e32 vcc, 1, v20
	s_nop 1
	v_cndmask_b32_e32 v7, v7, v9, vcc
	v_cndmask_b32_e32 v6, v6, v8, vcc
	v_lshl_add_u64 v[8:9], v[20:21], 4, v[14:15]
	v_cndmask_b32_e32 v5, v5, v13, vcc
	v_cndmask_b32_e32 v4, v4, v12, vcc
	global_store_dwordx4 v[8:9], v[0:3], off
	s_nop 1
	v_lshl_add_u64 v[0:1], s[2:3], 4, v[8:9]
	global_store_dwordx4 v[0:1], v[4:7], off
.LBB2_43:
	s_endpgm
	.section	.rodata,"a",@progbits
	.p2align	6, 0x0
	.amdhsa_kernel _ZN9rocsolver6v33100L18getf2_small_kernelILi2E19rocblas_complex_numIdEiiPS3_EEvT1_T3_lS5_lPS5_llPT2_S5_S5_S7_l
		.amdhsa_group_segment_fixed_size 0
		.amdhsa_private_segment_fixed_size 0
		.amdhsa_kernarg_size 352
		.amdhsa_user_sgpr_count 2
		.amdhsa_user_sgpr_dispatch_ptr 0
		.amdhsa_user_sgpr_queue_ptr 0
		.amdhsa_user_sgpr_kernarg_segment_ptr 1
		.amdhsa_user_sgpr_dispatch_id 0
		.amdhsa_user_sgpr_kernarg_preload_length 0
		.amdhsa_user_sgpr_kernarg_preload_offset 0
		.amdhsa_user_sgpr_private_segment_size 0
		.amdhsa_uses_dynamic_stack 0
		.amdhsa_enable_private_segment 0
		.amdhsa_system_sgpr_workgroup_id_x 1
		.amdhsa_system_sgpr_workgroup_id_y 1
		.amdhsa_system_sgpr_workgroup_id_z 0
		.amdhsa_system_sgpr_workgroup_info 0
		.amdhsa_system_vgpr_workitem_id 1
		.amdhsa_next_free_vgpr 37
		.amdhsa_next_free_sgpr 22
		.amdhsa_accum_offset 40
		.amdhsa_reserve_vcc 1
		.amdhsa_float_round_mode_32 0
		.amdhsa_float_round_mode_16_64 0
		.amdhsa_float_denorm_mode_32 3
		.amdhsa_float_denorm_mode_16_64 3
		.amdhsa_dx10_clamp 1
		.amdhsa_ieee_mode 1
		.amdhsa_fp16_overflow 0
		.amdhsa_tg_split 0
		.amdhsa_exception_fp_ieee_invalid_op 0
		.amdhsa_exception_fp_denorm_src 0
		.amdhsa_exception_fp_ieee_div_zero 0
		.amdhsa_exception_fp_ieee_overflow 0
		.amdhsa_exception_fp_ieee_underflow 0
		.amdhsa_exception_fp_ieee_inexact 0
		.amdhsa_exception_int_div_zero 0
	.end_amdhsa_kernel
	.section	.text._ZN9rocsolver6v33100L18getf2_small_kernelILi2E19rocblas_complex_numIdEiiPS3_EEvT1_T3_lS5_lPS5_llPT2_S5_S5_S7_l,"axG",@progbits,_ZN9rocsolver6v33100L18getf2_small_kernelILi2E19rocblas_complex_numIdEiiPS3_EEvT1_T3_lS5_lPS5_llPT2_S5_S5_S7_l,comdat
.Lfunc_end2:
	.size	_ZN9rocsolver6v33100L18getf2_small_kernelILi2E19rocblas_complex_numIdEiiPS3_EEvT1_T3_lS5_lPS5_llPT2_S5_S5_S7_l, .Lfunc_end2-_ZN9rocsolver6v33100L18getf2_small_kernelILi2E19rocblas_complex_numIdEiiPS3_EEvT1_T3_lS5_lPS5_llPT2_S5_S5_S7_l
                                        ; -- End function
	.set _ZN9rocsolver6v33100L18getf2_small_kernelILi2E19rocblas_complex_numIdEiiPS3_EEvT1_T3_lS5_lPS5_llPT2_S5_S5_S7_l.num_vgpr, 37
	.set _ZN9rocsolver6v33100L18getf2_small_kernelILi2E19rocblas_complex_numIdEiiPS3_EEvT1_T3_lS5_lPS5_llPT2_S5_S5_S7_l.num_agpr, 0
	.set _ZN9rocsolver6v33100L18getf2_small_kernelILi2E19rocblas_complex_numIdEiiPS3_EEvT1_T3_lS5_lPS5_llPT2_S5_S5_S7_l.numbered_sgpr, 22
	.set _ZN9rocsolver6v33100L18getf2_small_kernelILi2E19rocblas_complex_numIdEiiPS3_EEvT1_T3_lS5_lPS5_llPT2_S5_S5_S7_l.num_named_barrier, 0
	.set _ZN9rocsolver6v33100L18getf2_small_kernelILi2E19rocblas_complex_numIdEiiPS3_EEvT1_T3_lS5_lPS5_llPT2_S5_S5_S7_l.private_seg_size, 0
	.set _ZN9rocsolver6v33100L18getf2_small_kernelILi2E19rocblas_complex_numIdEiiPS3_EEvT1_T3_lS5_lPS5_llPT2_S5_S5_S7_l.uses_vcc, 1
	.set _ZN9rocsolver6v33100L18getf2_small_kernelILi2E19rocblas_complex_numIdEiiPS3_EEvT1_T3_lS5_lPS5_llPT2_S5_S5_S7_l.uses_flat_scratch, 0
	.set _ZN9rocsolver6v33100L18getf2_small_kernelILi2E19rocblas_complex_numIdEiiPS3_EEvT1_T3_lS5_lPS5_llPT2_S5_S5_S7_l.has_dyn_sized_stack, 0
	.set _ZN9rocsolver6v33100L18getf2_small_kernelILi2E19rocblas_complex_numIdEiiPS3_EEvT1_T3_lS5_lPS5_llPT2_S5_S5_S7_l.has_recursion, 0
	.set _ZN9rocsolver6v33100L18getf2_small_kernelILi2E19rocblas_complex_numIdEiiPS3_EEvT1_T3_lS5_lPS5_llPT2_S5_S5_S7_l.has_indirect_call, 0
	.section	.AMDGPU.csdata,"",@progbits
; Kernel info:
; codeLenInByte = 2300
; TotalNumSgprs: 28
; NumVgprs: 37
; NumAgprs: 0
; TotalNumVgprs: 37
; ScratchSize: 0
; MemoryBound: 0
; FloatMode: 240
; IeeeMode: 1
; LDSByteSize: 0 bytes/workgroup (compile time only)
; SGPRBlocks: 3
; VGPRBlocks: 4
; NumSGPRsForWavesPerEU: 28
; NumVGPRsForWavesPerEU: 37
; AccumOffset: 40
; Occupancy: 8
; WaveLimiterHint : 0
; COMPUTE_PGM_RSRC2:SCRATCH_EN: 0
; COMPUTE_PGM_RSRC2:USER_SGPR: 2
; COMPUTE_PGM_RSRC2:TRAP_HANDLER: 0
; COMPUTE_PGM_RSRC2:TGID_X_EN: 1
; COMPUTE_PGM_RSRC2:TGID_Y_EN: 1
; COMPUTE_PGM_RSRC2:TGID_Z_EN: 0
; COMPUTE_PGM_RSRC2:TIDIG_COMP_CNT: 1
; COMPUTE_PGM_RSRC3_GFX90A:ACCUM_OFFSET: 9
; COMPUTE_PGM_RSRC3_GFX90A:TG_SPLIT: 0
	.section	.text._ZN9rocsolver6v33100L23getf2_npvt_small_kernelILi2E19rocblas_complex_numIdEiiPS3_EEvT1_T3_lS5_lPT2_S5_S5_,"axG",@progbits,_ZN9rocsolver6v33100L23getf2_npvt_small_kernelILi2E19rocblas_complex_numIdEiiPS3_EEvT1_T3_lS5_lPT2_S5_S5_,comdat
	.globl	_ZN9rocsolver6v33100L23getf2_npvt_small_kernelILi2E19rocblas_complex_numIdEiiPS3_EEvT1_T3_lS5_lPT2_S5_S5_ ; -- Begin function _ZN9rocsolver6v33100L23getf2_npvt_small_kernelILi2E19rocblas_complex_numIdEiiPS3_EEvT1_T3_lS5_lPT2_S5_S5_
	.p2align	8
	.type	_ZN9rocsolver6v33100L23getf2_npvt_small_kernelILi2E19rocblas_complex_numIdEiiPS3_EEvT1_T3_lS5_lPT2_S5_S5_,@function
_ZN9rocsolver6v33100L23getf2_npvt_small_kernelILi2E19rocblas_complex_numIdEiiPS3_EEvT1_T3_lS5_lPT2_S5_S5_: ; @_ZN9rocsolver6v33100L23getf2_npvt_small_kernelILi2E19rocblas_complex_numIdEiiPS3_EEvT1_T3_lS5_lPT2_S5_S5_
; %bb.0:
	s_load_dword s2, s[0:1], 0x44
	s_load_dwordx2 s[8:9], s[0:1], 0x30
	v_bfe_u32 v8, v0, 10, 10
	s_waitcnt lgkmcnt(0)
	s_lshr_b32 s2, s2, 16
	s_mul_i32 s3, s3, s2
	v_add_u32_e32 v18, s3, v8
	v_cmp_gt_i32_e32 vcc, s8, v18
	s_and_saveexec_b64 s[4:5], vcc
	s_cbranch_execz .LBB3_21
; %bb.1:
	s_load_dwordx4 s[12:15], s[0:1], 0x8
	s_load_dword s10, s[0:1], 0x18
	s_load_dwordx4 s[4:7], s[0:1], 0x20
	v_ashrrev_i32_e32 v19, 31, v18
	v_and_b32_e32 v22, 0x3ff, v0
	s_waitcnt lgkmcnt(0)
	v_mov_b32_e32 v2, s12
	v_mov_b32_e32 v3, s13
	v_mul_lo_u32 v4, s5, v18
	v_mul_lo_u32 v5, s4, v19
	v_mad_u64_u32 v[0:1], s[0:1], s4, v18, 0
	v_add3_u32 v1, v1, v5, v4
	v_lshl_add_u64 v[0:1], v[0:1], 4, v[2:3]
	v_lshl_add_u64 v[0:1], s[14:15], 4, v[0:1]
	v_lshlrev_b32_e32 v2, 4, v22
	v_mov_b32_e32 v3, 0
	s_ashr_i32 s11, s10, 31
	v_lshl_add_u64 v[16:17], v[0:1], 0, v[2:3]
	v_lshl_add_u64 v[20:21], s[10:11], 4, v[16:17]
	global_load_dwordx4 v[0:3], v[16:17], off
	global_load_dwordx4 v[4:7], v[20:21], off
	s_lshl_b32 s0, s2, 5
	v_lshlrev_b32_e32 v9, 5, v8
	s_add_i32 s0, s0, 0
	v_lshl_add_u32 v23, v8, 4, s0
	v_cmp_ne_u32_e64 s[2:3], 0, v22
	v_cmp_eq_u32_e64 s[0:1], 0, v22
	v_add_u32_e32 v24, 0, v9
	s_and_saveexec_b64 s[10:11], s[0:1]
	s_cbranch_execz .LBB3_8
; %bb.2:
	s_waitcnt vmcnt(1)
	ds_write2_b64 v23, v[0:1], v[2:3] offset1:1
	s_waitcnt vmcnt(0)
	ds_write2_b64 v24, v[4:5], v[6:7] offset0:2 offset1:3
	ds_read2_b64 v[8:11], v23 offset1:1
	s_waitcnt lgkmcnt(0)
	v_cmp_neq_f64_e32 vcc, 0, v[8:9]
	v_cmp_neq_f64_e64 s[4:5], 0, v[10:11]
	s_or_b64 s[4:5], vcc, s[4:5]
	s_and_b64 exec, exec, s[4:5]
	s_cbranch_execz .LBB3_8
; %bb.3:
	v_cmp_ngt_f64_e64 s[4:5], |v[8:9]|, |v[10:11]|
                                        ; implicit-def: $vgpr12_vgpr13
	s_and_saveexec_b64 s[12:13], s[4:5]
	s_xor_b64 s[4:5], exec, s[12:13]
                                        ; implicit-def: $vgpr14_vgpr15
	s_cbranch_execz .LBB3_5
; %bb.4:
	v_div_scale_f64 v[12:13], s[12:13], v[10:11], v[10:11], v[8:9]
	v_rcp_f64_e32 v[14:15], v[12:13]
	v_div_scale_f64 v[26:27], vcc, v[8:9], v[10:11], v[8:9]
	v_fma_f64 v[28:29], -v[12:13], v[14:15], 1.0
	v_fmac_f64_e32 v[14:15], v[14:15], v[28:29]
	v_fma_f64 v[28:29], -v[12:13], v[14:15], 1.0
	v_fmac_f64_e32 v[14:15], v[14:15], v[28:29]
	v_mul_f64 v[28:29], v[26:27], v[14:15]
	v_fma_f64 v[12:13], -v[12:13], v[28:29], v[26:27]
	v_div_fmas_f64 v[12:13], v[12:13], v[14:15], v[28:29]
	v_div_fixup_f64 v[12:13], v[12:13], v[10:11], v[8:9]
	v_fmac_f64_e32 v[10:11], v[8:9], v[12:13]
	v_div_scale_f64 v[8:9], s[12:13], v[10:11], v[10:11], 1.0
	v_rcp_f64_e32 v[14:15], v[8:9]
	s_nop 0
	v_fma_f64 v[26:27], -v[8:9], v[14:15], 1.0
	v_fmac_f64_e32 v[14:15], v[14:15], v[26:27]
	v_fma_f64 v[26:27], -v[8:9], v[14:15], 1.0
	v_fmac_f64_e32 v[14:15], v[14:15], v[26:27]
	v_div_scale_f64 v[26:27], vcc, 1.0, v[10:11], 1.0
	v_mul_f64 v[28:29], v[26:27], v[14:15]
	v_fma_f64 v[8:9], -v[8:9], v[28:29], v[26:27]
	s_nop 1
	v_div_fmas_f64 v[8:9], v[8:9], v[14:15], v[28:29]
	v_div_fixup_f64 v[14:15], v[8:9], v[10:11], 1.0
	v_mul_f64 v[12:13], v[12:13], v[14:15]
	v_xor_b32_e32 v15, 0x80000000, v15
                                        ; implicit-def: $vgpr8_vgpr9
.LBB3_5:
	s_andn2_saveexec_b64 s[4:5], s[4:5]
	s_cbranch_execz .LBB3_7
; %bb.6:
	v_div_scale_f64 v[12:13], s[12:13], v[8:9], v[8:9], v[10:11]
	v_rcp_f64_e32 v[14:15], v[12:13]
	v_div_scale_f64 v[26:27], vcc, v[10:11], v[8:9], v[10:11]
	v_fma_f64 v[28:29], -v[12:13], v[14:15], 1.0
	v_fmac_f64_e32 v[14:15], v[14:15], v[28:29]
	v_fma_f64 v[28:29], -v[12:13], v[14:15], 1.0
	v_fmac_f64_e32 v[14:15], v[14:15], v[28:29]
	v_mul_f64 v[28:29], v[26:27], v[14:15]
	v_fma_f64 v[12:13], -v[12:13], v[28:29], v[26:27]
	v_div_fmas_f64 v[12:13], v[12:13], v[14:15], v[28:29]
	v_div_fixup_f64 v[14:15], v[12:13], v[8:9], v[10:11]
	v_fmac_f64_e32 v[8:9], v[10:11], v[14:15]
	v_div_scale_f64 v[10:11], s[12:13], v[8:9], v[8:9], 1.0
	v_rcp_f64_e32 v[12:13], v[10:11]
	s_nop 0
	v_fma_f64 v[26:27], -v[10:11], v[12:13], 1.0
	v_fmac_f64_e32 v[12:13], v[12:13], v[26:27]
	v_fma_f64 v[26:27], -v[10:11], v[12:13], 1.0
	v_fmac_f64_e32 v[12:13], v[12:13], v[26:27]
	v_div_scale_f64 v[26:27], vcc, 1.0, v[8:9], 1.0
	v_mul_f64 v[28:29], v[26:27], v[12:13]
	v_fma_f64 v[10:11], -v[10:11], v[28:29], v[26:27]
	s_nop 1
	v_div_fmas_f64 v[10:11], v[10:11], v[12:13], v[28:29]
	v_div_fixup_f64 v[12:13], v[10:11], v[8:9], 1.0
	v_mul_f64 v[14:15], v[14:15], -v[12:13]
.LBB3_7:
	s_or_b64 exec, exec, s[4:5]
	ds_write2_b64 v23, v[12:13], v[14:15] offset1:1
.LBB3_8:
	s_or_b64 exec, exec, s[10:11]
	s_waitcnt lgkmcnt(0)
	s_barrier
	ds_read2_b64 v[8:11], v23 offset1:1
	s_and_saveexec_b64 s[4:5], s[2:3]
	s_cbranch_execz .LBB3_10
; %bb.9:
	ds_read2_b64 v[12:15], v24 offset0:2 offset1:3
	s_waitcnt vmcnt(1) lgkmcnt(1)
	v_mul_f64 v[24:25], v[8:9], v[2:3]
	v_mul_f64 v[2:3], v[10:11], v[2:3]
	v_fmac_f64_e32 v[24:25], v[10:11], v[0:1]
	v_fma_f64 v[0:1], v[8:9], v[0:1], -v[2:3]
	s_waitcnt lgkmcnt(0)
	v_mul_f64 v[2:3], v[14:15], v[24:25]
	v_fma_f64 v[2:3], v[12:13], v[0:1], -v[2:3]
	v_mul_f64 v[12:13], v[12:13], v[24:25]
	v_fmac_f64_e32 v[12:13], v[14:15], v[0:1]
	s_waitcnt vmcnt(0)
	v_add_f64 v[4:5], v[4:5], -v[2:3]
	v_add_f64 v[6:7], v[6:7], -v[12:13]
	v_mov_b64_e32 v[2:3], v[24:25]
.LBB3_10:
	s_or_b64 exec, exec, s[4:5]
	v_cmp_eq_u32_e32 vcc, 1, v22
	s_waitcnt lgkmcnt(0)
	s_barrier
	s_and_saveexec_b64 s[4:5], vcc
	s_cbranch_execz .LBB3_17
; %bb.11:
	s_waitcnt vmcnt(0)
	v_cmp_neq_f64_e32 vcc, 0, v[4:5]
	v_cmp_neq_f64_e64 s[2:3], 0, v[6:7]
	s_or_b64 s[2:3], vcc, s[2:3]
	ds_write2_b64 v23, v[4:5], v[6:7] offset1:1
	s_and_b64 exec, exec, s[2:3]
	s_cbranch_execz .LBB3_17
; %bb.12:
	v_cmp_ngt_f64_e64 s[2:3], |v[4:5]|, |v[6:7]|
                                        ; implicit-def: $vgpr12_vgpr13
	s_and_saveexec_b64 s[10:11], s[2:3]
	s_xor_b64 s[2:3], exec, s[10:11]
                                        ; implicit-def: $vgpr14_vgpr15
	s_cbranch_execz .LBB3_14
; %bb.13:
	v_div_scale_f64 v[12:13], s[10:11], v[6:7], v[6:7], v[4:5]
	v_rcp_f64_e32 v[14:15], v[12:13]
	v_div_scale_f64 v[24:25], vcc, v[4:5], v[6:7], v[4:5]
	v_fma_f64 v[26:27], -v[12:13], v[14:15], 1.0
	v_fmac_f64_e32 v[14:15], v[14:15], v[26:27]
	v_fma_f64 v[26:27], -v[12:13], v[14:15], 1.0
	v_fmac_f64_e32 v[14:15], v[14:15], v[26:27]
	v_mul_f64 v[26:27], v[24:25], v[14:15]
	v_fma_f64 v[12:13], -v[12:13], v[26:27], v[24:25]
	v_div_fmas_f64 v[12:13], v[12:13], v[14:15], v[26:27]
	v_div_fixup_f64 v[12:13], v[12:13], v[6:7], v[4:5]
	v_fma_f64 v[14:15], v[4:5], v[12:13], v[6:7]
	v_div_scale_f64 v[24:25], s[10:11], v[14:15], v[14:15], 1.0
	v_rcp_f64_e32 v[26:27], v[24:25]
	s_nop 0
	v_fma_f64 v[28:29], -v[24:25], v[26:27], 1.0
	v_fmac_f64_e32 v[26:27], v[26:27], v[28:29]
	v_fma_f64 v[28:29], -v[24:25], v[26:27], 1.0
	v_fmac_f64_e32 v[26:27], v[26:27], v[28:29]
	v_div_scale_f64 v[28:29], vcc, 1.0, v[14:15], 1.0
	v_mul_f64 v[30:31], v[28:29], v[26:27]
	v_fma_f64 v[24:25], -v[24:25], v[30:31], v[28:29]
	s_nop 1
	v_div_fmas_f64 v[24:25], v[24:25], v[26:27], v[30:31]
	v_div_fixup_f64 v[14:15], v[24:25], v[14:15], 1.0
	v_mul_f64 v[12:13], v[12:13], v[14:15]
	v_xor_b32_e32 v15, 0x80000000, v15
.LBB3_14:
	s_andn2_saveexec_b64 s[2:3], s[2:3]
	s_cbranch_execz .LBB3_16
; %bb.15:
	v_div_scale_f64 v[12:13], s[10:11], v[4:5], v[4:5], v[6:7]
	v_rcp_f64_e32 v[14:15], v[12:13]
	v_div_scale_f64 v[24:25], vcc, v[6:7], v[4:5], v[6:7]
	v_fma_f64 v[26:27], -v[12:13], v[14:15], 1.0
	v_fmac_f64_e32 v[14:15], v[14:15], v[26:27]
	v_fma_f64 v[26:27], -v[12:13], v[14:15], 1.0
	v_fmac_f64_e32 v[14:15], v[14:15], v[26:27]
	v_mul_f64 v[26:27], v[24:25], v[14:15]
	v_fma_f64 v[12:13], -v[12:13], v[26:27], v[24:25]
	v_div_fmas_f64 v[12:13], v[12:13], v[14:15], v[26:27]
	v_div_fixup_f64 v[14:15], v[12:13], v[4:5], v[6:7]
	v_fma_f64 v[12:13], v[6:7], v[14:15], v[4:5]
	v_div_scale_f64 v[24:25], s[10:11], v[12:13], v[12:13], 1.0
	v_rcp_f64_e32 v[26:27], v[24:25]
	s_nop 0
	v_fma_f64 v[28:29], -v[24:25], v[26:27], 1.0
	v_fmac_f64_e32 v[26:27], v[26:27], v[28:29]
	v_fma_f64 v[28:29], -v[24:25], v[26:27], 1.0
	v_fmac_f64_e32 v[26:27], v[26:27], v[28:29]
	v_div_scale_f64 v[28:29], vcc, 1.0, v[12:13], 1.0
	v_mul_f64 v[30:31], v[28:29], v[26:27]
	v_fma_f64 v[24:25], -v[24:25], v[30:31], v[28:29]
	s_nop 1
	v_div_fmas_f64 v[24:25], v[24:25], v[26:27], v[30:31]
	v_div_fixup_f64 v[12:13], v[24:25], v[12:13], 1.0
	v_mul_f64 v[14:15], v[14:15], -v[12:13]
.LBB3_16:
	s_or_b64 exec, exec, s[2:3]
	ds_write2_b64 v23, v[12:13], v[14:15] offset1:1
.LBB3_17:
	s_or_b64 exec, exec, s[4:5]
	s_waitcnt lgkmcnt(0)
	s_barrier
	ds_read2_b64 v[12:15], v23 offset1:1
	s_waitcnt lgkmcnt(0)
	s_barrier
	s_and_saveexec_b64 s[10:11], s[0:1]
	s_cbranch_execz .LBB3_20
; %bb.18:
	v_mov_b32_e32 v24, s6
	v_mov_b32_e32 v25, s7
	v_lshl_add_u64 v[18:19], v[18:19], 2, v[24:25]
	global_load_dword v23, v[18:19], off
	v_cmp_eq_f64_e32 vcc, 0, v[8:9]
	v_cmp_eq_f64_e64 s[0:1], 0, v[10:11]
	v_cmp_neq_f64_e64 s[2:3], 0, v[12:13]
	v_cmp_neq_f64_e64 s[4:5], 0, v[14:15]
	s_and_b64 s[6:7], vcc, s[0:1]
	s_or_b64 s[0:1], s[2:3], s[4:5]
	s_or_b64 vcc, s[0:1], s[6:7]
	s_xor_b64 s[2:3], vcc, -1
	s_or_b64 s[2:3], s[2:3], s[6:7]
	s_waitcnt vmcnt(0)
	v_cmp_eq_u32_e64 s[0:1], 0, v23
	s_and_b64 s[0:1], s[0:1], s[2:3]
	s_and_b64 exec, exec, s[0:1]
	s_cbranch_execz .LBB3_20
; %bb.19:
	v_cndmask_b32_e64 v8, 0, 1, s[6:7]
	v_cndmask_b32_e32 v8, 2, v8, vcc
	v_add_u32_e32 v8, s9, v8
	global_store_dword v[18:19], v8, off
.LBB3_20:
	s_or_b64 exec, exec, s[10:11]
	s_waitcnt vmcnt(0)
	v_mul_f64 v[8:9], v[14:15], v[6:7]
	v_mul_f64 v[10:11], v[12:13], v[6:7]
	v_fma_f64 v[8:9], v[12:13], v[4:5], -v[8:9]
	v_fmac_f64_e32 v[10:11], v[14:15], v[4:5]
	v_cmp_lt_u32_e32 vcc, 1, v22
	s_nop 1
	v_cndmask_b32_e32 v7, v7, v11, vcc
	v_cndmask_b32_e32 v6, v6, v10, vcc
	;; [unrolled: 1-line block ×4, first 2 shown]
	global_store_dwordx4 v[16:17], v[0:3], off
	global_store_dwordx4 v[20:21], v[4:7], off
.LBB3_21:
	s_endpgm
	.section	.rodata,"a",@progbits
	.p2align	6, 0x0
	.amdhsa_kernel _ZN9rocsolver6v33100L23getf2_npvt_small_kernelILi2E19rocblas_complex_numIdEiiPS3_EEvT1_T3_lS5_lPT2_S5_S5_
		.amdhsa_group_segment_fixed_size 0
		.amdhsa_private_segment_fixed_size 0
		.amdhsa_kernarg_size 312
		.amdhsa_user_sgpr_count 2
		.amdhsa_user_sgpr_dispatch_ptr 0
		.amdhsa_user_sgpr_queue_ptr 0
		.amdhsa_user_sgpr_kernarg_segment_ptr 1
		.amdhsa_user_sgpr_dispatch_id 0
		.amdhsa_user_sgpr_kernarg_preload_length 0
		.amdhsa_user_sgpr_kernarg_preload_offset 0
		.amdhsa_user_sgpr_private_segment_size 0
		.amdhsa_uses_dynamic_stack 0
		.amdhsa_enable_private_segment 0
		.amdhsa_system_sgpr_workgroup_id_x 1
		.amdhsa_system_sgpr_workgroup_id_y 1
		.amdhsa_system_sgpr_workgroup_id_z 0
		.amdhsa_system_sgpr_workgroup_info 0
		.amdhsa_system_vgpr_workitem_id 1
		.amdhsa_next_free_vgpr 32
		.amdhsa_next_free_sgpr 16
		.amdhsa_accum_offset 32
		.amdhsa_reserve_vcc 1
		.amdhsa_float_round_mode_32 0
		.amdhsa_float_round_mode_16_64 0
		.amdhsa_float_denorm_mode_32 3
		.amdhsa_float_denorm_mode_16_64 3
		.amdhsa_dx10_clamp 1
		.amdhsa_ieee_mode 1
		.amdhsa_fp16_overflow 0
		.amdhsa_tg_split 0
		.amdhsa_exception_fp_ieee_invalid_op 0
		.amdhsa_exception_fp_denorm_src 0
		.amdhsa_exception_fp_ieee_div_zero 0
		.amdhsa_exception_fp_ieee_overflow 0
		.amdhsa_exception_fp_ieee_underflow 0
		.amdhsa_exception_fp_ieee_inexact 0
		.amdhsa_exception_int_div_zero 0
	.end_amdhsa_kernel
	.section	.text._ZN9rocsolver6v33100L23getf2_npvt_small_kernelILi2E19rocblas_complex_numIdEiiPS3_EEvT1_T3_lS5_lPT2_S5_S5_,"axG",@progbits,_ZN9rocsolver6v33100L23getf2_npvt_small_kernelILi2E19rocblas_complex_numIdEiiPS3_EEvT1_T3_lS5_lPT2_S5_S5_,comdat
.Lfunc_end3:
	.size	_ZN9rocsolver6v33100L23getf2_npvt_small_kernelILi2E19rocblas_complex_numIdEiiPS3_EEvT1_T3_lS5_lPT2_S5_S5_, .Lfunc_end3-_ZN9rocsolver6v33100L23getf2_npvt_small_kernelILi2E19rocblas_complex_numIdEiiPS3_EEvT1_T3_lS5_lPT2_S5_S5_
                                        ; -- End function
	.set _ZN9rocsolver6v33100L23getf2_npvt_small_kernelILi2E19rocblas_complex_numIdEiiPS3_EEvT1_T3_lS5_lPT2_S5_S5_.num_vgpr, 32
	.set _ZN9rocsolver6v33100L23getf2_npvt_small_kernelILi2E19rocblas_complex_numIdEiiPS3_EEvT1_T3_lS5_lPT2_S5_S5_.num_agpr, 0
	.set _ZN9rocsolver6v33100L23getf2_npvt_small_kernelILi2E19rocblas_complex_numIdEiiPS3_EEvT1_T3_lS5_lPT2_S5_S5_.numbered_sgpr, 16
	.set _ZN9rocsolver6v33100L23getf2_npvt_small_kernelILi2E19rocblas_complex_numIdEiiPS3_EEvT1_T3_lS5_lPT2_S5_S5_.num_named_barrier, 0
	.set _ZN9rocsolver6v33100L23getf2_npvt_small_kernelILi2E19rocblas_complex_numIdEiiPS3_EEvT1_T3_lS5_lPT2_S5_S5_.private_seg_size, 0
	.set _ZN9rocsolver6v33100L23getf2_npvt_small_kernelILi2E19rocblas_complex_numIdEiiPS3_EEvT1_T3_lS5_lPT2_S5_S5_.uses_vcc, 1
	.set _ZN9rocsolver6v33100L23getf2_npvt_small_kernelILi2E19rocblas_complex_numIdEiiPS3_EEvT1_T3_lS5_lPT2_S5_S5_.uses_flat_scratch, 0
	.set _ZN9rocsolver6v33100L23getf2_npvt_small_kernelILi2E19rocblas_complex_numIdEiiPS3_EEvT1_T3_lS5_lPT2_S5_S5_.has_dyn_sized_stack, 0
	.set _ZN9rocsolver6v33100L23getf2_npvt_small_kernelILi2E19rocblas_complex_numIdEiiPS3_EEvT1_T3_lS5_lPT2_S5_S5_.has_recursion, 0
	.set _ZN9rocsolver6v33100L23getf2_npvt_small_kernelILi2E19rocblas_complex_numIdEiiPS3_EEvT1_T3_lS5_lPT2_S5_S5_.has_indirect_call, 0
	.section	.AMDGPU.csdata,"",@progbits
; Kernel info:
; codeLenInByte = 1512
; TotalNumSgprs: 22
; NumVgprs: 32
; NumAgprs: 0
; TotalNumVgprs: 32
; ScratchSize: 0
; MemoryBound: 0
; FloatMode: 240
; IeeeMode: 1
; LDSByteSize: 0 bytes/workgroup (compile time only)
; SGPRBlocks: 2
; VGPRBlocks: 3
; NumSGPRsForWavesPerEU: 22
; NumVGPRsForWavesPerEU: 32
; AccumOffset: 32
; Occupancy: 8
; WaveLimiterHint : 0
; COMPUTE_PGM_RSRC2:SCRATCH_EN: 0
; COMPUTE_PGM_RSRC2:USER_SGPR: 2
; COMPUTE_PGM_RSRC2:TRAP_HANDLER: 0
; COMPUTE_PGM_RSRC2:TGID_X_EN: 1
; COMPUTE_PGM_RSRC2:TGID_Y_EN: 1
; COMPUTE_PGM_RSRC2:TGID_Z_EN: 0
; COMPUTE_PGM_RSRC2:TIDIG_COMP_CNT: 1
; COMPUTE_PGM_RSRC3_GFX90A:ACCUM_OFFSET: 7
; COMPUTE_PGM_RSRC3_GFX90A:TG_SPLIT: 0
	.section	.text._ZN9rocsolver6v33100L18getf2_small_kernelILi3E19rocblas_complex_numIdEiiPS3_EEvT1_T3_lS5_lPS5_llPT2_S5_S5_S7_l,"axG",@progbits,_ZN9rocsolver6v33100L18getf2_small_kernelILi3E19rocblas_complex_numIdEiiPS3_EEvT1_T3_lS5_lPS5_llPT2_S5_S5_S7_l,comdat
	.globl	_ZN9rocsolver6v33100L18getf2_small_kernelILi3E19rocblas_complex_numIdEiiPS3_EEvT1_T3_lS5_lPS5_llPT2_S5_S5_S7_l ; -- Begin function _ZN9rocsolver6v33100L18getf2_small_kernelILi3E19rocblas_complex_numIdEiiPS3_EEvT1_T3_lS5_lPS5_llPT2_S5_S5_S7_l
	.p2align	8
	.type	_ZN9rocsolver6v33100L18getf2_small_kernelILi3E19rocblas_complex_numIdEiiPS3_EEvT1_T3_lS5_lPS5_llPT2_S5_S5_S7_l,@function
_ZN9rocsolver6v33100L18getf2_small_kernelILi3E19rocblas_complex_numIdEiiPS3_EEvT1_T3_lS5_lPS5_llPT2_S5_S5_S7_l: ; @_ZN9rocsolver6v33100L18getf2_small_kernelILi3E19rocblas_complex_numIdEiiPS3_EEvT1_T3_lS5_lPS5_llPT2_S5_S5_S7_l
; %bb.0:
	s_load_dword s2, s[0:1], 0x6c
	s_load_dwordx2 s[12:13], s[0:1], 0x48
	v_bfe_u32 v12, v0, 10, 10
	s_waitcnt lgkmcnt(0)
	s_lshr_b32 s2, s2, 16
	s_mul_i32 s3, s3, s2
	v_add_u32_e32 v16, s3, v12
	v_cmp_gt_i32_e32 vcc, s12, v16
	s_and_saveexec_b64 s[2:3], vcc
	s_cbranch_execz .LBB4_64
; %bb.1:
	s_load_dwordx4 s[4:7], s[0:1], 0x50
	v_ashrrev_i32_e32 v17, 31, v16
	v_mov_b64_e32 v[20:21], 0
	s_waitcnt lgkmcnt(0)
	s_cmp_eq_u64 s[4:5], 0
	s_cselect_b64 s[14:15], -1, 0
	s_and_b64 vcc, exec, s[14:15]
	s_cbranch_vccnz .LBB4_3
; %bb.2:
	v_mul_lo_u32 v1, s7, v16
	v_mul_lo_u32 v4, s6, v17
	v_mad_u64_u32 v[2:3], s[2:3], s6, v16, 0
	v_add3_u32 v3, v3, v4, v1
	v_lshl_add_u64 v[20:21], v[2:3], 2, s[4:5]
.LBB4_3:
	s_load_dwordx4 s[16:19], s[0:1], 0x8
	s_load_dwordx8 s[4:11], s[0:1], 0x20
	s_load_dword s2, s[0:1], 0x18
	v_and_b32_e32 v26, 0x3ff, v0
	v_lshlrev_b32_e32 v22, 4, v26
	s_waitcnt lgkmcnt(0)
	v_mov_b32_e32 v2, s16
	v_mul_lo_u32 v1, s5, v16
	v_mul_lo_u32 v6, s4, v17
	v_mad_u64_u32 v[4:5], s[4:5], s4, v16, 0
	v_mov_b32_e32 v3, s17
	v_add3_u32 v5, v5, v6, v1
	v_lshl_add_u64 v[2:3], v[4:5], 4, v[2:3]
	v_lshl_add_u64 v[18:19], s[18:19], 4, v[2:3]
	v_mov_b32_e32 v23, 0
	v_lshl_add_u64 v[4:5], v[18:19], 0, v[22:23]
	global_load_dwordx4 v[0:3], v[4:5], off
	s_ashr_i32 s3, s2, 31
	s_add_i32 s12, s2, s2
	v_lshl_add_u64 v[14:15], s[2:3], 4, v[4:5]
	v_add_u32_e32 v4, s12, v26
	v_ashrrev_i32_e32 v5, 31, v4
	v_lshl_add_u64 v[24:25], v[4:5], 4, v[18:19]
	global_load_dwordx4 v[8:11], v[24:25], off
	global_load_dwordx4 v[4:7], v[14:15], off
	s_load_dword s20, s[0:1], 0x0
	s_load_dwordx2 s[4:5], s[0:1], 0x40
	s_waitcnt lgkmcnt(0)
	s_max_i32 s0, s20, 3
	v_mul_lo_u32 v25, s0, v12
	v_lshl_add_u32 v24, v25, 4, 0
	v_add_u32_e32 v12, v24, v22
	s_cmp_lt_i32 s20, 2
	v_lshlrev_b32_e32 v25, 4, v25
	s_waitcnt vmcnt(2)
	ds_write2_b64 v12, v[0:1], v[2:3] offset1:1
	s_waitcnt lgkmcnt(0)
	s_barrier
	ds_read2_b64 v[12:15], v24 offset1:1
	s_cbranch_scc1 .LBB4_6
; %bb.4:
	v_add3_u32 v22, v25, 0, 16
	s_mov_b32 s16, 1
	v_mov_b32_e32 v23, 0
.LBB4_5:                                ; =>This Inner Loop Header: Depth=1
	ds_read2_b64 v[28:31], v22 offset1:1
	s_waitcnt lgkmcnt(1)
	v_xor_b32_e32 v27, 0x80000000, v13
	v_xor_b32_e32 v35, 0x80000000, v15
	v_cmp_gt_f64_e32 vcc, 0, v[14:15]
	v_cmp_gt_f64_e64 s[0:1], 0, v[12:13]
	v_mov_b32_e32 v32, v12
	v_mov_b32_e32 v34, v14
	v_cndmask_b32_e64 v33, v13, v27, s[0:1]
	v_cndmask_b32_e32 v35, v15, v35, vcc
	s_waitcnt lgkmcnt(0)
	v_xor_b32_e32 v27, 0x80000000, v29
	v_xor_b32_e32 v37, 0x80000000, v31
	v_cmp_gt_f64_e32 vcc, 0, v[30:31]
	v_cmp_gt_f64_e64 s[0:1], 0, v[28:29]
	v_add_f64 v[32:33], v[32:33], v[34:35]
	v_mov_b32_e32 v34, v28
	v_mov_b32_e32 v36, v30
	v_cndmask_b32_e64 v35, v29, v27, s[0:1]
	v_cndmask_b32_e32 v37, v31, v37, vcc
	v_add_f64 v[34:35], v[34:35], v[36:37]
	v_mov_b32_e32 v38, s16
	s_add_i32 s16, s16, 1
	v_cmp_lt_f64_e32 vcc, v[32:33], v[34:35]
	v_add_u32_e32 v22, 16, v22
	s_cmp_eq_u32 s20, s16
	v_cndmask_b32_e32 v13, v13, v29, vcc
	v_cndmask_b32_e32 v12, v12, v28, vcc
	;; [unrolled: 1-line block ×5, first 2 shown]
	s_cbranch_scc0 .LBB4_5
.LBB4_6:
	s_waitcnt lgkmcnt(0)
	v_cmp_neq_f64_e32 vcc, 0, v[12:13]
	v_cmp_neq_f64_e64 s[0:1], 0, v[14:15]
	s_or_b64 s[16:17], vcc, s[0:1]
	v_mov_b32_e32 v27, 1
	v_mov_b32_e32 v28, 1
	s_and_saveexec_b64 s[0:1], s[16:17]
	s_cbranch_execz .LBB4_12
; %bb.7:
	v_cmp_ngt_f64_e64 s[16:17], |v[12:13]|, |v[14:15]|
	s_and_saveexec_b64 s[18:19], s[16:17]
	s_xor_b64 s[16:17], exec, s[18:19]
	s_cbranch_execz .LBB4_9
; %bb.8:
	v_div_scale_f64 v[28:29], s[18:19], v[14:15], v[14:15], v[12:13]
	v_rcp_f64_e32 v[30:31], v[28:29]
	v_div_scale_f64 v[32:33], vcc, v[12:13], v[14:15], v[12:13]
	v_fma_f64 v[34:35], -v[28:29], v[30:31], 1.0
	v_fmac_f64_e32 v[30:31], v[30:31], v[34:35]
	v_fma_f64 v[34:35], -v[28:29], v[30:31], 1.0
	v_fmac_f64_e32 v[30:31], v[30:31], v[34:35]
	v_mul_f64 v[34:35], v[32:33], v[30:31]
	v_fma_f64 v[28:29], -v[28:29], v[34:35], v[32:33]
	v_div_fmas_f64 v[28:29], v[28:29], v[30:31], v[34:35]
	v_div_fixup_f64 v[28:29], v[28:29], v[14:15], v[12:13]
	v_fmac_f64_e32 v[14:15], v[12:13], v[28:29]
	v_div_scale_f64 v[12:13], s[18:19], v[14:15], v[14:15], 1.0
	v_rcp_f64_e32 v[30:31], v[12:13]
	s_nop 0
	v_fma_f64 v[32:33], -v[12:13], v[30:31], 1.0
	v_fmac_f64_e32 v[30:31], v[30:31], v[32:33]
	v_fma_f64 v[32:33], -v[12:13], v[30:31], 1.0
	v_fmac_f64_e32 v[30:31], v[30:31], v[32:33]
	v_div_scale_f64 v[32:33], vcc, 1.0, v[14:15], 1.0
	v_mul_f64 v[34:35], v[32:33], v[30:31]
	v_fma_f64 v[12:13], -v[12:13], v[34:35], v[32:33]
	s_nop 1
	v_div_fmas_f64 v[12:13], v[12:13], v[30:31], v[34:35]
	v_div_fixup_f64 v[14:15], v[12:13], v[14:15], 1.0
	v_mul_f64 v[12:13], v[28:29], v[14:15]
	v_xor_b32_e32 v15, 0x80000000, v15
.LBB4_9:
	s_andn2_saveexec_b64 s[16:17], s[16:17]
	s_cbranch_execz .LBB4_11
; %bb.10:
	v_div_scale_f64 v[28:29], s[18:19], v[12:13], v[12:13], v[14:15]
	v_rcp_f64_e32 v[30:31], v[28:29]
	v_div_scale_f64 v[32:33], vcc, v[14:15], v[12:13], v[14:15]
	v_fma_f64 v[34:35], -v[28:29], v[30:31], 1.0
	v_fmac_f64_e32 v[30:31], v[30:31], v[34:35]
	v_fma_f64 v[34:35], -v[28:29], v[30:31], 1.0
	v_fmac_f64_e32 v[30:31], v[30:31], v[34:35]
	v_mul_f64 v[34:35], v[32:33], v[30:31]
	v_fma_f64 v[28:29], -v[28:29], v[34:35], v[32:33]
	v_div_fmas_f64 v[28:29], v[28:29], v[30:31], v[34:35]
	v_div_fixup_f64 v[28:29], v[28:29], v[12:13], v[14:15]
	v_fmac_f64_e32 v[12:13], v[14:15], v[28:29]
	v_div_scale_f64 v[14:15], s[18:19], v[12:13], v[12:13], 1.0
	v_rcp_f64_e32 v[30:31], v[14:15]
	s_nop 0
	v_fma_f64 v[32:33], -v[14:15], v[30:31], 1.0
	v_fmac_f64_e32 v[30:31], v[30:31], v[32:33]
	v_fma_f64 v[32:33], -v[14:15], v[30:31], 1.0
	v_fmac_f64_e32 v[30:31], v[30:31], v[32:33]
	v_div_scale_f64 v[32:33], vcc, 1.0, v[12:13], 1.0
	v_mul_f64 v[34:35], v[32:33], v[30:31]
	v_fma_f64 v[14:15], -v[14:15], v[34:35], v[32:33]
	s_nop 1
	v_div_fmas_f64 v[14:15], v[14:15], v[30:31], v[34:35]
	v_div_fixup_f64 v[12:13], v[14:15], v[12:13], 1.0
	v_mul_f64 v[14:15], v[28:29], -v[12:13]
.LBB4_11:
	s_or_b64 exec, exec, s[16:17]
	v_mov_b32_e32 v28, 0
	v_mov_b32_e32 v27, 2
.LBB4_12:
	s_or_b64 exec, exec, s[0:1]
	v_cmp_ne_u32_e32 vcc, v26, v23
	s_and_saveexec_b64 s[0:1], vcc
	s_xor_b64 s[0:1], exec, s[0:1]
	s_cbranch_execz .LBB4_18
; %bb.13:
	v_cmp_eq_u32_e32 vcc, 0, v26
	s_and_saveexec_b64 s[16:17], vcc
	s_cbranch_execz .LBB4_17
; %bb.14:
	v_cmp_ne_u32_e32 vcc, 0, v23
	s_xor_b64 s[18:19], s[14:15], -1
	s_and_b64 s[22:23], s[18:19], vcc
	s_and_saveexec_b64 s[18:19], s[22:23]
	s_cbranch_execz .LBB4_16
; %bb.15:
	v_ashrrev_i32_e32 v31, 31, v23
	v_mov_b32_e32 v30, v23
	v_lshl_add_u64 v[30:31], v[30:31], 2, v[20:21]
	global_load_dword v22, v[30:31], off
	global_load_dword v26, v[20:21], off
	s_waitcnt vmcnt(1)
	global_store_dword v[20:21], v22, off
	s_waitcnt vmcnt(1)
	global_store_dword v[30:31], v26, off
.LBB4_16:
	s_or_b64 exec, exec, s[18:19]
	v_mov_b32_e32 v26, v23
.LBB4_17:
	s_or_b64 exec, exec, s[16:17]
.LBB4_18:
	s_or_saveexec_b64 s[0:1], s[0:1]
	v_mov_b32_e32 v23, v26
	s_xor_b64 exec, exec, s[0:1]
	s_cbranch_execz .LBB4_20
; %bb.19:
	v_mov_b32_e32 v23, 0
	s_waitcnt vmcnt(0)
	ds_write2_b64 v24, v[4:5], v[6:7] offset0:2 offset1:3
	ds_write2_b64 v24, v[8:9], v[10:11] offset0:4 offset1:5
.LBB4_20:
	s_or_b64 exec, exec, s[0:1]
	v_cmp_lt_i32_e32 vcc, 0, v23
	s_waitcnt lgkmcnt(0)
	s_barrier
	s_and_saveexec_b64 s[0:1], vcc
	s_cbranch_execz .LBB4_22
; %bb.21:
	ds_read2_b64 v[30:33], v24 offset0:2 offset1:3
	v_mul_f64 v[34:35], v[12:13], v[2:3]
	v_mul_f64 v[2:3], v[14:15], v[2:3]
	v_fmac_f64_e32 v[34:35], v[14:15], v[0:1]
	v_fma_f64 v[0:1], v[12:13], v[0:1], -v[2:3]
	ds_read2_b64 v[12:15], v24 offset0:4 offset1:5
	s_waitcnt lgkmcnt(1)
	v_mul_f64 v[2:3], v[32:33], v[34:35]
	v_fma_f64 v[2:3], v[30:31], v[0:1], -v[2:3]
	s_waitcnt vmcnt(0)
	v_add_f64 v[4:5], v[4:5], -v[2:3]
	v_mul_f64 v[30:31], v[30:31], v[34:35]
	s_waitcnt lgkmcnt(0)
	v_mul_f64 v[2:3], v[14:15], v[34:35]
	v_fma_f64 v[2:3], v[12:13], v[0:1], -v[2:3]
	v_mul_f64 v[12:13], v[12:13], v[34:35]
	v_fmac_f64_e32 v[30:31], v[32:33], v[0:1]
	v_fmac_f64_e32 v[12:13], v[14:15], v[0:1]
	v_add_f64 v[6:7], v[6:7], -v[30:31]
	v_add_f64 v[8:9], v[8:9], -v[2:3]
	;; [unrolled: 1-line block ×3, first 2 shown]
	v_mov_b64_e32 v[2:3], v[34:35]
.LBB4_22:
	s_or_b64 exec, exec, s[0:1]
	v_lshl_add_u32 v12, v23, 4, v24
	s_barrier
	s_waitcnt vmcnt(0)
	ds_write2_b64 v12, v[4:5], v[6:7] offset1:1
	s_waitcnt lgkmcnt(0)
	s_barrier
	ds_read2_b64 v[12:15], v24 offset0:2 offset1:3
	s_cmp_lt_i32 s20, 3
	v_mov_b32_e32 v22, 1
	s_cbranch_scc1 .LBB4_25
; %bb.23:
	v_add3_u32 v29, v25, 0, 32
	s_mov_b32 s16, 2
	v_mov_b32_e32 v22, 1
.LBB4_24:                               ; =>This Inner Loop Header: Depth=1
	ds_read2_b64 v[30:33], v29 offset1:1
	s_waitcnt lgkmcnt(1)
	v_xor_b32_e32 v35, 0x80000000, v13
	v_xor_b32_e32 v37, 0x80000000, v15
	v_cmp_gt_f64_e32 vcc, 0, v[14:15]
	v_cmp_gt_f64_e64 s[0:1], 0, v[12:13]
	v_mov_b32_e32 v34, v12
	v_mov_b32_e32 v36, v14
	v_cndmask_b32_e64 v35, v13, v35, s[0:1]
	v_cndmask_b32_e32 v37, v15, v37, vcc
	v_add_f64 v[34:35], v[34:35], v[36:37]
	s_waitcnt lgkmcnt(0)
	v_xor_b32_e32 v37, 0x80000000, v31
	v_xor_b32_e32 v39, 0x80000000, v33
	v_cmp_gt_f64_e32 vcc, 0, v[32:33]
	v_cmp_gt_f64_e64 s[0:1], 0, v[30:31]
	v_mov_b32_e32 v36, v30
	v_mov_b32_e32 v38, v32
	v_cndmask_b32_e64 v37, v31, v37, s[0:1]
	v_cndmask_b32_e32 v39, v33, v39, vcc
	v_add_f64 v[36:37], v[36:37], v[38:39]
	v_mov_b32_e32 v40, s16
	s_add_i32 s16, s16, 1
	v_cmp_lt_f64_e32 vcc, v[34:35], v[36:37]
	v_add_u32_e32 v29, 16, v29
	s_cmp_lg_u32 s20, s16
	v_cndmask_b32_e32 v13, v13, v31, vcc
	v_cndmask_b32_e32 v12, v12, v30, vcc
	;; [unrolled: 1-line block ×5, first 2 shown]
	s_cbranch_scc1 .LBB4_24
.LBB4_25:
	s_waitcnt lgkmcnt(0)
	v_cmp_neq_f64_e32 vcc, 0, v[12:13]
	v_cmp_neq_f64_e64 s[0:1], 0, v[14:15]
	s_or_b64 s[16:17], vcc, s[0:1]
	s_and_saveexec_b64 s[0:1], s[16:17]
	s_cbranch_execz .LBB4_31
; %bb.26:
	v_cmp_ngt_f64_e64 s[16:17], |v[12:13]|, |v[14:15]|
	s_and_saveexec_b64 s[18:19], s[16:17]
	s_xor_b64 s[16:17], exec, s[18:19]
	s_cbranch_execz .LBB4_28
; %bb.27:
	v_div_scale_f64 v[30:31], s[18:19], v[14:15], v[14:15], v[12:13]
	v_rcp_f64_e32 v[32:33], v[30:31]
	v_div_scale_f64 v[34:35], vcc, v[12:13], v[14:15], v[12:13]
	v_fma_f64 v[36:37], -v[30:31], v[32:33], 1.0
	v_fmac_f64_e32 v[32:33], v[32:33], v[36:37]
	v_fma_f64 v[36:37], -v[30:31], v[32:33], 1.0
	v_fmac_f64_e32 v[32:33], v[32:33], v[36:37]
	v_mul_f64 v[36:37], v[34:35], v[32:33]
	v_fma_f64 v[30:31], -v[30:31], v[36:37], v[34:35]
	v_div_fmas_f64 v[30:31], v[30:31], v[32:33], v[36:37]
	v_div_fixup_f64 v[30:31], v[30:31], v[14:15], v[12:13]
	v_fmac_f64_e32 v[14:15], v[12:13], v[30:31]
	v_div_scale_f64 v[12:13], s[18:19], v[14:15], v[14:15], 1.0
	v_rcp_f64_e32 v[32:33], v[12:13]
	s_nop 0
	v_fma_f64 v[34:35], -v[12:13], v[32:33], 1.0
	v_fmac_f64_e32 v[32:33], v[32:33], v[34:35]
	v_fma_f64 v[34:35], -v[12:13], v[32:33], 1.0
	v_fmac_f64_e32 v[32:33], v[32:33], v[34:35]
	v_div_scale_f64 v[34:35], vcc, 1.0, v[14:15], 1.0
	v_mul_f64 v[36:37], v[34:35], v[32:33]
	v_fma_f64 v[12:13], -v[12:13], v[36:37], v[34:35]
	s_nop 1
	v_div_fmas_f64 v[12:13], v[12:13], v[32:33], v[36:37]
	v_div_fixup_f64 v[14:15], v[12:13], v[14:15], 1.0
	v_mul_f64 v[12:13], v[30:31], v[14:15]
	v_xor_b32_e32 v15, 0x80000000, v15
.LBB4_28:
	s_andn2_saveexec_b64 s[16:17], s[16:17]
	s_cbranch_execz .LBB4_30
; %bb.29:
	v_div_scale_f64 v[30:31], s[18:19], v[12:13], v[12:13], v[14:15]
	v_rcp_f64_e32 v[32:33], v[30:31]
	v_div_scale_f64 v[34:35], vcc, v[14:15], v[12:13], v[14:15]
	v_fma_f64 v[36:37], -v[30:31], v[32:33], 1.0
	v_fmac_f64_e32 v[32:33], v[32:33], v[36:37]
	v_fma_f64 v[36:37], -v[30:31], v[32:33], 1.0
	v_fmac_f64_e32 v[32:33], v[32:33], v[36:37]
	v_mul_f64 v[36:37], v[34:35], v[32:33]
	v_fma_f64 v[30:31], -v[30:31], v[36:37], v[34:35]
	v_div_fmas_f64 v[30:31], v[30:31], v[32:33], v[36:37]
	v_div_fixup_f64 v[30:31], v[30:31], v[12:13], v[14:15]
	v_fmac_f64_e32 v[12:13], v[14:15], v[30:31]
	v_div_scale_f64 v[14:15], s[18:19], v[12:13], v[12:13], 1.0
	v_rcp_f64_e32 v[32:33], v[14:15]
	s_nop 0
	v_fma_f64 v[34:35], -v[14:15], v[32:33], 1.0
	v_fmac_f64_e32 v[32:33], v[32:33], v[34:35]
	v_fma_f64 v[34:35], -v[14:15], v[32:33], 1.0
	v_fmac_f64_e32 v[32:33], v[32:33], v[34:35]
	v_div_scale_f64 v[34:35], vcc, 1.0, v[12:13], 1.0
	v_mul_f64 v[36:37], v[34:35], v[32:33]
	v_fma_f64 v[14:15], -v[14:15], v[36:37], v[34:35]
	s_nop 1
	v_div_fmas_f64 v[14:15], v[14:15], v[32:33], v[36:37]
	v_div_fixup_f64 v[12:13], v[14:15], v[12:13], 1.0
	v_mul_f64 v[14:15], v[30:31], -v[12:13]
.LBB4_30:
	s_or_b64 exec, exec, s[16:17]
	v_mov_b32_e32 v27, v28
.LBB4_31:
	s_or_b64 exec, exec, s[0:1]
	v_cmp_ne_u32_e32 vcc, v23, v22
	s_and_saveexec_b64 s[0:1], vcc
	s_xor_b64 s[0:1], exec, s[0:1]
	s_cbranch_execz .LBB4_37
; %bb.32:
	v_cmp_eq_u32_e32 vcc, 1, v23
	s_and_saveexec_b64 s[16:17], vcc
	s_cbranch_execz .LBB4_36
; %bb.33:
	v_cmp_ne_u32_e32 vcc, 1, v22
	s_xor_b64 s[18:19], s[14:15], -1
	s_and_b64 s[22:23], s[18:19], vcc
	s_and_saveexec_b64 s[18:19], s[22:23]
	s_cbranch_execz .LBB4_35
; %bb.34:
	v_ashrrev_i32_e32 v23, 31, v22
	v_lshl_add_u64 v[28:29], v[22:23], 2, v[20:21]
	global_load_dword v23, v[28:29], off
	global_load_dword v26, v[20:21], off offset:4
	s_waitcnt vmcnt(1)
	global_store_dword v[20:21], v23, off offset:4
	s_waitcnt vmcnt(1)
	global_store_dword v[28:29], v26, off
.LBB4_35:
	s_or_b64 exec, exec, s[18:19]
	v_mov_b32_e32 v23, v22
	v_mov_b32_e32 v26, v22
.LBB4_36:
	s_or_b64 exec, exec, s[16:17]
.LBB4_37:
	s_andn2_saveexec_b64 s[0:1], s[0:1]
; %bb.38:
	v_mov_b32_e32 v23, 1
	ds_write2_b64 v24, v[8:9], v[10:11] offset0:4 offset1:5
; %bb.39:
	s_or_b64 exec, exec, s[0:1]
	v_cmp_lt_i32_e32 vcc, 1, v23
	s_waitcnt lgkmcnt(0)
	s_barrier
	s_and_saveexec_b64 s[0:1], vcc
	s_cbranch_execz .LBB4_41
; %bb.40:
	ds_read2_b64 v[28:31], v24 offset0:4 offset1:5
	v_mul_f64 v[32:33], v[12:13], v[6:7]
	v_mul_f64 v[6:7], v[14:15], v[6:7]
	v_fmac_f64_e32 v[32:33], v[14:15], v[4:5]
	v_fma_f64 v[4:5], v[12:13], v[4:5], -v[6:7]
	s_waitcnt lgkmcnt(0)
	v_mul_f64 v[6:7], v[30:31], v[32:33]
	v_mul_f64 v[12:13], v[28:29], v[32:33]
	v_fma_f64 v[6:7], v[28:29], v[4:5], -v[6:7]
	v_fmac_f64_e32 v[12:13], v[30:31], v[4:5]
	v_add_f64 v[8:9], v[8:9], -v[6:7]
	v_add_f64 v[10:11], v[10:11], -v[12:13]
	v_mov_b64_e32 v[6:7], v[32:33]
.LBB4_41:
	s_or_b64 exec, exec, s[0:1]
	v_lshl_add_u32 v12, v23, 4, v24
	s_barrier
	ds_write2_b64 v12, v[8:9], v[10:11] offset1:1
	s_waitcnt lgkmcnt(0)
	s_barrier
	ds_read2_b64 v[12:15], v24 offset0:4 offset1:5
	s_cmp_lt_i32 s20, 4
	v_mov_b32_e32 v22, 2
	s_cbranch_scc1 .LBB4_44
; %bb.42:
	v_add3_u32 v24, v25, 0, 48
	s_mov_b32 s16, 3
	v_mov_b32_e32 v22, 2
.LBB4_43:                               ; =>This Inner Loop Header: Depth=1
	ds_read2_b64 v[28:31], v24 offset1:1
	s_waitcnt lgkmcnt(1)
	v_xor_b32_e32 v25, 0x80000000, v13
	v_xor_b32_e32 v35, 0x80000000, v15
	v_cmp_gt_f64_e32 vcc, 0, v[14:15]
	v_cmp_gt_f64_e64 s[0:1], 0, v[12:13]
	v_mov_b32_e32 v32, v12
	v_mov_b32_e32 v34, v14
	v_cndmask_b32_e64 v33, v13, v25, s[0:1]
	v_cndmask_b32_e32 v35, v15, v35, vcc
	s_waitcnt lgkmcnt(0)
	v_xor_b32_e32 v25, 0x80000000, v29
	v_xor_b32_e32 v37, 0x80000000, v31
	v_cmp_gt_f64_e32 vcc, 0, v[30:31]
	v_cmp_gt_f64_e64 s[0:1], 0, v[28:29]
	v_add_f64 v[32:33], v[32:33], v[34:35]
	v_mov_b32_e32 v34, v28
	v_mov_b32_e32 v36, v30
	v_cndmask_b32_e64 v35, v29, v25, s[0:1]
	v_cndmask_b32_e32 v37, v31, v37, vcc
	v_add_f64 v[34:35], v[34:35], v[36:37]
	v_mov_b32_e32 v38, s16
	s_add_i32 s16, s16, 1
	v_cmp_lt_f64_e32 vcc, v[32:33], v[34:35]
	v_add_u32_e32 v24, 16, v24
	s_cmp_lg_u32 s20, s16
	v_cndmask_b32_e32 v13, v13, v29, vcc
	v_cndmask_b32_e32 v12, v12, v28, vcc
	v_cndmask_b32_e32 v15, v15, v31, vcc
	v_cndmask_b32_e32 v14, v14, v30, vcc
	v_cndmask_b32_e32 v22, v22, v38, vcc
	s_cbranch_scc1 .LBB4_43
.LBB4_44:
	s_waitcnt lgkmcnt(0)
	v_cmp_eq_f64_e32 vcc, 0, v[12:13]
	v_cmp_eq_f64_e64 s[0:1], 0, v[14:15]
	s_and_b64 s[0:1], vcc, s[0:1]
	s_and_saveexec_b64 s[16:17], s[0:1]
	s_xor_b64 s[0:1], exec, s[16:17]
; %bb.45:
	v_cmp_ne_u32_e32 vcc, 0, v27
	s_nop 1
	v_cndmask_b32_e32 v27, 3, v27, vcc
; %bb.46:
	s_andn2_saveexec_b64 s[0:1], s[0:1]
	s_cbranch_execz .LBB4_52
; %bb.47:
	v_cmp_ngt_f64_e64 s[16:17], |v[12:13]|, |v[14:15]|
	s_and_saveexec_b64 s[18:19], s[16:17]
	s_xor_b64 s[16:17], exec, s[18:19]
	s_cbranch_execz .LBB4_49
; %bb.48:
	v_div_scale_f64 v[24:25], s[18:19], v[14:15], v[14:15], v[12:13]
	v_rcp_f64_e32 v[28:29], v[24:25]
	v_div_scale_f64 v[30:31], vcc, v[12:13], v[14:15], v[12:13]
	v_fma_f64 v[32:33], -v[24:25], v[28:29], 1.0
	v_fmac_f64_e32 v[28:29], v[28:29], v[32:33]
	v_fma_f64 v[32:33], -v[24:25], v[28:29], 1.0
	v_fmac_f64_e32 v[28:29], v[28:29], v[32:33]
	v_mul_f64 v[32:33], v[30:31], v[28:29]
	v_fma_f64 v[24:25], -v[24:25], v[32:33], v[30:31]
	v_div_fmas_f64 v[24:25], v[24:25], v[28:29], v[32:33]
	v_div_fixup_f64 v[24:25], v[24:25], v[14:15], v[12:13]
	v_fmac_f64_e32 v[14:15], v[12:13], v[24:25]
	v_div_scale_f64 v[12:13], s[18:19], v[14:15], v[14:15], 1.0
	v_rcp_f64_e32 v[28:29], v[12:13]
	s_nop 0
	v_fma_f64 v[30:31], -v[12:13], v[28:29], 1.0
	v_fmac_f64_e32 v[28:29], v[28:29], v[30:31]
	v_fma_f64 v[30:31], -v[12:13], v[28:29], 1.0
	v_fmac_f64_e32 v[28:29], v[28:29], v[30:31]
	v_div_scale_f64 v[30:31], vcc, 1.0, v[14:15], 1.0
	v_mul_f64 v[32:33], v[30:31], v[28:29]
	v_fma_f64 v[12:13], -v[12:13], v[32:33], v[30:31]
	s_nop 1
	v_div_fmas_f64 v[12:13], v[12:13], v[28:29], v[32:33]
	v_div_fixup_f64 v[14:15], v[12:13], v[14:15], 1.0
	v_mul_f64 v[12:13], v[24:25], v[14:15]
	v_xor_b32_e32 v15, 0x80000000, v15
.LBB4_49:
	s_andn2_saveexec_b64 s[16:17], s[16:17]
	s_cbranch_execz .LBB4_51
; %bb.50:
	v_div_scale_f64 v[24:25], s[18:19], v[12:13], v[12:13], v[14:15]
	v_rcp_f64_e32 v[28:29], v[24:25]
	v_div_scale_f64 v[30:31], vcc, v[14:15], v[12:13], v[14:15]
	v_fma_f64 v[32:33], -v[24:25], v[28:29], 1.0
	v_fmac_f64_e32 v[28:29], v[28:29], v[32:33]
	v_fma_f64 v[32:33], -v[24:25], v[28:29], 1.0
	v_fmac_f64_e32 v[28:29], v[28:29], v[32:33]
	v_mul_f64 v[32:33], v[30:31], v[28:29]
	v_fma_f64 v[24:25], -v[24:25], v[32:33], v[30:31]
	v_div_fmas_f64 v[24:25], v[24:25], v[28:29], v[32:33]
	v_div_fixup_f64 v[24:25], v[24:25], v[12:13], v[14:15]
	v_fmac_f64_e32 v[12:13], v[14:15], v[24:25]
	v_div_scale_f64 v[14:15], s[18:19], v[12:13], v[12:13], 1.0
	v_rcp_f64_e32 v[28:29], v[14:15]
	s_nop 0
	v_fma_f64 v[30:31], -v[14:15], v[28:29], 1.0
	v_fmac_f64_e32 v[28:29], v[28:29], v[30:31]
	v_fma_f64 v[30:31], -v[14:15], v[28:29], 1.0
	v_fmac_f64_e32 v[28:29], v[28:29], v[30:31]
	v_div_scale_f64 v[30:31], vcc, 1.0, v[12:13], 1.0
	v_mul_f64 v[32:33], v[30:31], v[28:29]
	v_fma_f64 v[14:15], -v[14:15], v[32:33], v[30:31]
	s_nop 1
	v_div_fmas_f64 v[14:15], v[14:15], v[28:29], v[32:33]
	v_div_fixup_f64 v[12:13], v[14:15], v[12:13], 1.0
	v_mul_f64 v[14:15], v[24:25], -v[12:13]
.LBB4_51:
	s_or_b64 exec, exec, s[16:17]
.LBB4_52:
	s_or_b64 exec, exec, s[0:1]
	v_cmp_ne_u32_e32 vcc, v23, v22
	v_mov_b32_e32 v24, 2
	s_and_saveexec_b64 s[0:1], vcc
	s_cbranch_execz .LBB4_58
; %bb.53:
	v_cmp_eq_u32_e32 vcc, 2, v23
	s_and_saveexec_b64 s[16:17], vcc
	s_cbranch_execz .LBB4_57
; %bb.54:
	v_cmp_ne_u32_e32 vcc, 2, v22
	s_xor_b64 s[14:15], s[14:15], -1
	s_and_b64 s[18:19], s[14:15], vcc
	s_and_saveexec_b64 s[14:15], s[18:19]
	s_cbranch_execz .LBB4_56
; %bb.55:
	v_ashrrev_i32_e32 v23, 31, v22
	v_lshl_add_u64 v[24:25], v[22:23], 2, v[20:21]
	global_load_dword v23, v[24:25], off
	global_load_dword v26, v[20:21], off offset:8
	s_waitcnt vmcnt(1)
	global_store_dword v[20:21], v23, off offset:8
	s_waitcnt vmcnt(1)
	global_store_dword v[24:25], v26, off
.LBB4_56:
	s_or_b64 exec, exec, s[14:15]
	v_mov_b32_e32 v23, v22
	v_mov_b32_e32 v26, v22
.LBB4_57:
	s_or_b64 exec, exec, s[16:17]
	v_mov_b32_e32 v24, v23
.LBB4_58:
	s_or_b64 exec, exec, s[0:1]
	v_cmp_gt_i32_e32 vcc, 3, v24
	v_ashrrev_i32_e32 v25, 31, v24
	s_barrier
	s_barrier
	s_and_saveexec_b64 s[0:1], vcc
	s_cbranch_execz .LBB4_60
; %bb.59:
	v_mov_b32_e32 v20, s6
	v_mov_b32_e32 v21, s7
	v_mul_lo_u32 v28, s11, v16
	v_mul_lo_u32 v29, s10, v17
	v_mad_u64_u32 v[22:23], s[6:7], s10, v16, 0
	v_add3_u32 v23, v23, v29, v28
	v_lshl_add_u64 v[20:21], v[22:23], 2, v[20:21]
	v_lshl_add_u64 v[20:21], s[8:9], 2, v[20:21]
	;; [unrolled: 1-line block ×3, first 2 shown]
	v_add3_u32 v22, v26, s13, 1
	global_store_dword v[20:21], v22, off
.LBB4_60:
	s_or_b64 exec, exec, s[0:1]
	v_cmp_eq_u32_e32 vcc, 0, v24
	s_and_saveexec_b64 s[6:7], vcc
	s_cbranch_execz .LBB4_63
; %bb.61:
	v_mov_b32_e32 v20, s4
	v_mov_b32_e32 v21, s5
	v_lshl_add_u64 v[16:17], v[16:17], 2, v[20:21]
	global_load_dword v20, v[16:17], off
	v_cmp_ne_u32_e64 s[0:1], 0, v27
	s_waitcnt vmcnt(0)
	v_cmp_eq_u32_e32 vcc, 0, v20
	s_and_b64 s[0:1], vcc, s[0:1]
	s_and_b64 exec, exec, s[0:1]
	s_cbranch_execz .LBB4_63
; %bb.62:
	v_add_u32_e32 v20, s13, v27
	global_store_dword v[16:17], v20, off
.LBB4_63:
	s_or_b64 exec, exec, s[6:7]
	v_mul_f64 v[16:17], v[14:15], v[10:11]
	v_fma_f64 v[16:17], v[12:13], v[8:9], -v[16:17]
	v_mul_f64 v[12:13], v[12:13], v[10:11]
	v_fmac_f64_e32 v[12:13], v[14:15], v[8:9]
	v_cmp_lt_i32_e32 vcc, 2, v24
	s_nop 1
	v_cndmask_b32_e32 v11, v11, v13, vcc
	v_cndmask_b32_e32 v10, v10, v12, vcc
	v_lshl_add_u64 v[12:13], v[24:25], 4, v[18:19]
	global_store_dwordx4 v[12:13], v[0:3], off
	v_cndmask_b32_e32 v9, v9, v17, vcc
	v_cndmask_b32_e32 v8, v8, v16, vcc
	v_lshl_add_u64 v[0:1], s[2:3], 4, v[12:13]
	global_store_dwordx4 v[0:1], v[4:7], off
	v_add_u32_e32 v0, s12, v24
	v_ashrrev_i32_e32 v1, 31, v0
	v_lshl_add_u64 v[0:1], v[0:1], 4, v[18:19]
	global_store_dwordx4 v[0:1], v[8:11], off
.LBB4_64:
	s_endpgm
	.section	.rodata,"a",@progbits
	.p2align	6, 0x0
	.amdhsa_kernel _ZN9rocsolver6v33100L18getf2_small_kernelILi3E19rocblas_complex_numIdEiiPS3_EEvT1_T3_lS5_lPS5_llPT2_S5_S5_S7_l
		.amdhsa_group_segment_fixed_size 0
		.amdhsa_private_segment_fixed_size 0
		.amdhsa_kernarg_size 352
		.amdhsa_user_sgpr_count 2
		.amdhsa_user_sgpr_dispatch_ptr 0
		.amdhsa_user_sgpr_queue_ptr 0
		.amdhsa_user_sgpr_kernarg_segment_ptr 1
		.amdhsa_user_sgpr_dispatch_id 0
		.amdhsa_user_sgpr_kernarg_preload_length 0
		.amdhsa_user_sgpr_kernarg_preload_offset 0
		.amdhsa_user_sgpr_private_segment_size 0
		.amdhsa_uses_dynamic_stack 0
		.amdhsa_enable_private_segment 0
		.amdhsa_system_sgpr_workgroup_id_x 1
		.amdhsa_system_sgpr_workgroup_id_y 1
		.amdhsa_system_sgpr_workgroup_id_z 0
		.amdhsa_system_sgpr_workgroup_info 0
		.amdhsa_system_vgpr_workitem_id 1
		.amdhsa_next_free_vgpr 41
		.amdhsa_next_free_sgpr 24
		.amdhsa_accum_offset 44
		.amdhsa_reserve_vcc 1
		.amdhsa_float_round_mode_32 0
		.amdhsa_float_round_mode_16_64 0
		.amdhsa_float_denorm_mode_32 3
		.amdhsa_float_denorm_mode_16_64 3
		.amdhsa_dx10_clamp 1
		.amdhsa_ieee_mode 1
		.amdhsa_fp16_overflow 0
		.amdhsa_tg_split 0
		.amdhsa_exception_fp_ieee_invalid_op 0
		.amdhsa_exception_fp_denorm_src 0
		.amdhsa_exception_fp_ieee_div_zero 0
		.amdhsa_exception_fp_ieee_overflow 0
		.amdhsa_exception_fp_ieee_underflow 0
		.amdhsa_exception_fp_ieee_inexact 0
		.amdhsa_exception_int_div_zero 0
	.end_amdhsa_kernel
	.section	.text._ZN9rocsolver6v33100L18getf2_small_kernelILi3E19rocblas_complex_numIdEiiPS3_EEvT1_T3_lS5_lPS5_llPT2_S5_S5_S7_l,"axG",@progbits,_ZN9rocsolver6v33100L18getf2_small_kernelILi3E19rocblas_complex_numIdEiiPS3_EEvT1_T3_lS5_lPS5_llPT2_S5_S5_S7_l,comdat
.Lfunc_end4:
	.size	_ZN9rocsolver6v33100L18getf2_small_kernelILi3E19rocblas_complex_numIdEiiPS3_EEvT1_T3_lS5_lPS5_llPT2_S5_S5_S7_l, .Lfunc_end4-_ZN9rocsolver6v33100L18getf2_small_kernelILi3E19rocblas_complex_numIdEiiPS3_EEvT1_T3_lS5_lPS5_llPT2_S5_S5_S7_l
                                        ; -- End function
	.set _ZN9rocsolver6v33100L18getf2_small_kernelILi3E19rocblas_complex_numIdEiiPS3_EEvT1_T3_lS5_lPS5_llPT2_S5_S5_S7_l.num_vgpr, 41
	.set _ZN9rocsolver6v33100L18getf2_small_kernelILi3E19rocblas_complex_numIdEiiPS3_EEvT1_T3_lS5_lPS5_llPT2_S5_S5_S7_l.num_agpr, 0
	.set _ZN9rocsolver6v33100L18getf2_small_kernelILi3E19rocblas_complex_numIdEiiPS3_EEvT1_T3_lS5_lPS5_llPT2_S5_S5_S7_l.numbered_sgpr, 24
	.set _ZN9rocsolver6v33100L18getf2_small_kernelILi3E19rocblas_complex_numIdEiiPS3_EEvT1_T3_lS5_lPS5_llPT2_S5_S5_S7_l.num_named_barrier, 0
	.set _ZN9rocsolver6v33100L18getf2_small_kernelILi3E19rocblas_complex_numIdEiiPS3_EEvT1_T3_lS5_lPS5_llPT2_S5_S5_S7_l.private_seg_size, 0
	.set _ZN9rocsolver6v33100L18getf2_small_kernelILi3E19rocblas_complex_numIdEiiPS3_EEvT1_T3_lS5_lPS5_llPT2_S5_S5_S7_l.uses_vcc, 1
	.set _ZN9rocsolver6v33100L18getf2_small_kernelILi3E19rocblas_complex_numIdEiiPS3_EEvT1_T3_lS5_lPS5_llPT2_S5_S5_S7_l.uses_flat_scratch, 0
	.set _ZN9rocsolver6v33100L18getf2_small_kernelILi3E19rocblas_complex_numIdEiiPS3_EEvT1_T3_lS5_lPS5_llPT2_S5_S5_S7_l.has_dyn_sized_stack, 0
	.set _ZN9rocsolver6v33100L18getf2_small_kernelILi3E19rocblas_complex_numIdEiiPS3_EEvT1_T3_lS5_lPS5_llPT2_S5_S5_S7_l.has_recursion, 0
	.set _ZN9rocsolver6v33100L18getf2_small_kernelILi3E19rocblas_complex_numIdEiiPS3_EEvT1_T3_lS5_lPS5_llPT2_S5_S5_S7_l.has_indirect_call, 0
	.section	.AMDGPU.csdata,"",@progbits
; Kernel info:
; codeLenInByte = 3332
; TotalNumSgprs: 30
; NumVgprs: 41
; NumAgprs: 0
; TotalNumVgprs: 41
; ScratchSize: 0
; MemoryBound: 0
; FloatMode: 240
; IeeeMode: 1
; LDSByteSize: 0 bytes/workgroup (compile time only)
; SGPRBlocks: 3
; VGPRBlocks: 5
; NumSGPRsForWavesPerEU: 30
; NumVGPRsForWavesPerEU: 41
; AccumOffset: 44
; Occupancy: 8
; WaveLimiterHint : 0
; COMPUTE_PGM_RSRC2:SCRATCH_EN: 0
; COMPUTE_PGM_RSRC2:USER_SGPR: 2
; COMPUTE_PGM_RSRC2:TRAP_HANDLER: 0
; COMPUTE_PGM_RSRC2:TGID_X_EN: 1
; COMPUTE_PGM_RSRC2:TGID_Y_EN: 1
; COMPUTE_PGM_RSRC2:TGID_Z_EN: 0
; COMPUTE_PGM_RSRC2:TIDIG_COMP_CNT: 1
; COMPUTE_PGM_RSRC3_GFX90A:ACCUM_OFFSET: 10
; COMPUTE_PGM_RSRC3_GFX90A:TG_SPLIT: 0
	.section	.text._ZN9rocsolver6v33100L23getf2_npvt_small_kernelILi3E19rocblas_complex_numIdEiiPS3_EEvT1_T3_lS5_lPT2_S5_S5_,"axG",@progbits,_ZN9rocsolver6v33100L23getf2_npvt_small_kernelILi3E19rocblas_complex_numIdEiiPS3_EEvT1_T3_lS5_lPT2_S5_S5_,comdat
	.globl	_ZN9rocsolver6v33100L23getf2_npvt_small_kernelILi3E19rocblas_complex_numIdEiiPS3_EEvT1_T3_lS5_lPT2_S5_S5_ ; -- Begin function _ZN9rocsolver6v33100L23getf2_npvt_small_kernelILi3E19rocblas_complex_numIdEiiPS3_EEvT1_T3_lS5_lPT2_S5_S5_
	.p2align	8
	.type	_ZN9rocsolver6v33100L23getf2_npvt_small_kernelILi3E19rocblas_complex_numIdEiiPS3_EEvT1_T3_lS5_lPT2_S5_S5_,@function
_ZN9rocsolver6v33100L23getf2_npvt_small_kernelILi3E19rocblas_complex_numIdEiiPS3_EEvT1_T3_lS5_lPT2_S5_S5_: ; @_ZN9rocsolver6v33100L23getf2_npvt_small_kernelILi3E19rocblas_complex_numIdEiiPS3_EEvT1_T3_lS5_lPT2_S5_S5_
; %bb.0:
	s_load_dword s2, s[0:1], 0x44
	s_load_dwordx2 s[10:11], s[0:1], 0x30
	v_bfe_u32 v12, v0, 10, 10
	s_waitcnt lgkmcnt(0)
	s_lshr_b32 s2, s2, 16
	s_mul_i32 s3, s3, s2
	v_add_u32_e32 v28, s3, v12
	v_cmp_gt_i32_e32 vcc, s10, v28
	s_and_saveexec_b64 s[4:5], vcc
	s_cbranch_execz .LBB5_30
; %bb.1:
	s_load_dwordx4 s[12:15], s[0:1], 0x8
	s_load_dword s8, s[0:1], 0x18
	s_load_dwordx4 s[4:7], s[0:1], 0x20
	v_ashrrev_i32_e32 v29, 31, v28
	v_and_b32_e32 v32, 0x3ff, v0
	s_waitcnt lgkmcnt(0)
	v_mov_b32_e32 v2, s12
	v_mov_b32_e32 v3, s13
	v_mul_lo_u32 v4, s5, v28
	v_mul_lo_u32 v5, s4, v29
	v_mad_u64_u32 v[0:1], s[0:1], s4, v28, 0
	v_add3_u32 v1, v1, v5, v4
	s_add_i32 s0, s8, s8
	v_lshl_add_u64 v[0:1], v[0:1], 4, v[2:3]
	v_add_u32_e32 v10, s0, v32
	v_lshl_add_u64 v[8:9], s[14:15], 4, v[0:1]
	v_lshlrev_b32_e32 v0, 4, v32
	v_mov_b32_e32 v1, 0
	v_ashrrev_i32_e32 v11, 31, v10
	s_ashr_i32 s9, s8, 31
	v_lshl_add_u64 v[24:25], v[8:9], 0, v[0:1]
	v_lshl_add_u64 v[30:31], v[10:11], 4, v[8:9]
	;; [unrolled: 1-line block ×3, first 2 shown]
	global_load_dwordx4 v[4:7], v[24:25], off
	global_load_dwordx4 v[0:3], v[26:27], off
	;; [unrolled: 1-line block ×3, first 2 shown]
	s_mul_i32 s2, s2, 48
	v_mul_u32_u24_e32 v13, 48, v12
	s_add_i32 s0, s2, 0
	v_lshl_add_u32 v33, v12, 4, s0
	v_cmp_ne_u32_e64 s[2:3], 0, v32
	v_cmp_eq_u32_e64 s[0:1], 0, v32
	v_add_u32_e32 v34, 0, v13
	s_and_saveexec_b64 s[8:9], s[0:1]
	s_cbranch_execz .LBB5_8
; %bb.2:
	s_waitcnt vmcnt(2)
	ds_write2_b64 v33, v[4:5], v[6:7] offset1:1
	s_waitcnt vmcnt(1)
	ds_write2_b64 v34, v[0:1], v[2:3] offset0:2 offset1:3
	s_waitcnt vmcnt(0)
	ds_write2_b64 v34, v[8:9], v[10:11] offset0:4 offset1:5
	ds_read2_b64 v[12:15], v33 offset1:1
	s_waitcnt lgkmcnt(0)
	v_cmp_neq_f64_e32 vcc, 0, v[12:13]
	v_cmp_neq_f64_e64 s[4:5], 0, v[14:15]
	s_or_b64 s[4:5], vcc, s[4:5]
	s_and_b64 exec, exec, s[4:5]
	s_cbranch_execz .LBB5_8
; %bb.3:
	v_cmp_ngt_f64_e64 s[4:5], |v[12:13]|, |v[14:15]|
                                        ; implicit-def: $vgpr16_vgpr17
	s_and_saveexec_b64 s[12:13], s[4:5]
	s_xor_b64 s[4:5], exec, s[12:13]
                                        ; implicit-def: $vgpr18_vgpr19
	s_cbranch_execz .LBB5_5
; %bb.4:
	v_div_scale_f64 v[16:17], s[12:13], v[14:15], v[14:15], v[12:13]
	v_rcp_f64_e32 v[18:19], v[16:17]
	v_div_scale_f64 v[20:21], vcc, v[12:13], v[14:15], v[12:13]
	v_fma_f64 v[22:23], -v[16:17], v[18:19], 1.0
	v_fmac_f64_e32 v[18:19], v[18:19], v[22:23]
	v_fma_f64 v[22:23], -v[16:17], v[18:19], 1.0
	v_fmac_f64_e32 v[18:19], v[18:19], v[22:23]
	v_mul_f64 v[22:23], v[20:21], v[18:19]
	v_fma_f64 v[16:17], -v[16:17], v[22:23], v[20:21]
	v_div_fmas_f64 v[16:17], v[16:17], v[18:19], v[22:23]
	v_div_fixup_f64 v[16:17], v[16:17], v[14:15], v[12:13]
	v_fmac_f64_e32 v[14:15], v[12:13], v[16:17]
	v_div_scale_f64 v[12:13], s[12:13], v[14:15], v[14:15], 1.0
	v_rcp_f64_e32 v[18:19], v[12:13]
	s_nop 0
	v_fma_f64 v[20:21], -v[12:13], v[18:19], 1.0
	v_fmac_f64_e32 v[18:19], v[18:19], v[20:21]
	v_fma_f64 v[20:21], -v[12:13], v[18:19], 1.0
	v_fmac_f64_e32 v[18:19], v[18:19], v[20:21]
	v_div_scale_f64 v[20:21], vcc, 1.0, v[14:15], 1.0
	v_mul_f64 v[22:23], v[20:21], v[18:19]
	v_fma_f64 v[12:13], -v[12:13], v[22:23], v[20:21]
	s_nop 1
	v_div_fmas_f64 v[12:13], v[12:13], v[18:19], v[22:23]
	v_div_fixup_f64 v[18:19], v[12:13], v[14:15], 1.0
	v_mul_f64 v[16:17], v[16:17], v[18:19]
	v_xor_b32_e32 v19, 0x80000000, v19
                                        ; implicit-def: $vgpr12_vgpr13
.LBB5_5:
	s_andn2_saveexec_b64 s[4:5], s[4:5]
	s_cbranch_execz .LBB5_7
; %bb.6:
	v_div_scale_f64 v[16:17], s[12:13], v[12:13], v[12:13], v[14:15]
	v_rcp_f64_e32 v[18:19], v[16:17]
	v_div_scale_f64 v[20:21], vcc, v[14:15], v[12:13], v[14:15]
	v_fma_f64 v[22:23], -v[16:17], v[18:19], 1.0
	v_fmac_f64_e32 v[18:19], v[18:19], v[22:23]
	v_fma_f64 v[22:23], -v[16:17], v[18:19], 1.0
	v_fmac_f64_e32 v[18:19], v[18:19], v[22:23]
	v_mul_f64 v[22:23], v[20:21], v[18:19]
	v_fma_f64 v[16:17], -v[16:17], v[22:23], v[20:21]
	v_div_fmas_f64 v[16:17], v[16:17], v[18:19], v[22:23]
	v_div_fixup_f64 v[18:19], v[16:17], v[12:13], v[14:15]
	v_fmac_f64_e32 v[12:13], v[14:15], v[18:19]
	v_div_scale_f64 v[14:15], s[12:13], v[12:13], v[12:13], 1.0
	v_rcp_f64_e32 v[16:17], v[14:15]
	s_nop 0
	v_fma_f64 v[20:21], -v[14:15], v[16:17], 1.0
	v_fmac_f64_e32 v[16:17], v[16:17], v[20:21]
	v_fma_f64 v[20:21], -v[14:15], v[16:17], 1.0
	v_fmac_f64_e32 v[16:17], v[16:17], v[20:21]
	v_div_scale_f64 v[20:21], vcc, 1.0, v[12:13], 1.0
	v_mul_f64 v[22:23], v[20:21], v[16:17]
	v_fma_f64 v[14:15], -v[14:15], v[22:23], v[20:21]
	s_nop 1
	v_div_fmas_f64 v[14:15], v[14:15], v[16:17], v[22:23]
	v_div_fixup_f64 v[16:17], v[14:15], v[12:13], 1.0
	v_mul_f64 v[18:19], v[18:19], -v[16:17]
.LBB5_7:
	s_or_b64 exec, exec, s[4:5]
	ds_write2_b64 v33, v[16:17], v[18:19] offset1:1
.LBB5_8:
	s_or_b64 exec, exec, s[8:9]
	s_waitcnt lgkmcnt(0)
	s_barrier
	ds_read2_b64 v[12:15], v33 offset1:1
	s_and_saveexec_b64 s[4:5], s[2:3]
	s_cbranch_execz .LBB5_10
; %bb.9:
	ds_read2_b64 v[16:19], v34 offset0:2 offset1:3
	ds_read2_b64 v[20:23], v34 offset0:4 offset1:5
	s_waitcnt vmcnt(2) lgkmcnt(2)
	v_mul_f64 v[36:37], v[12:13], v[6:7]
	v_fmac_f64_e32 v[36:37], v[14:15], v[4:5]
	v_mul_f64 v[6:7], v[14:15], v[6:7]
	v_fma_f64 v[4:5], v[12:13], v[4:5], -v[6:7]
	s_waitcnt lgkmcnt(1)
	v_mul_f64 v[6:7], v[18:19], v[36:37]
	v_fma_f64 v[6:7], v[16:17], v[4:5], -v[6:7]
	v_mul_f64 v[16:17], v[16:17], v[36:37]
	v_fmac_f64_e32 v[16:17], v[18:19], v[4:5]
	s_waitcnt vmcnt(1)
	v_add_f64 v[0:1], v[0:1], -v[6:7]
	v_add_f64 v[2:3], v[2:3], -v[16:17]
	s_waitcnt lgkmcnt(0)
	v_mul_f64 v[6:7], v[22:23], v[36:37]
	v_mul_f64 v[16:17], v[20:21], v[36:37]
	v_fma_f64 v[6:7], v[20:21], v[4:5], -v[6:7]
	v_fmac_f64_e32 v[16:17], v[22:23], v[4:5]
	s_waitcnt vmcnt(0)
	v_add_f64 v[8:9], v[8:9], -v[6:7]
	v_add_f64 v[10:11], v[10:11], -v[16:17]
	v_mov_b64_e32 v[6:7], v[36:37]
.LBB5_10:
	s_or_b64 exec, exec, s[4:5]
	v_cmp_eq_u32_e32 vcc, 1, v32
	s_waitcnt lgkmcnt(0)
	s_barrier
	s_and_saveexec_b64 s[4:5], vcc
	s_cbranch_execz .LBB5_17
; %bb.11:
	s_waitcnt vmcnt(1)
	ds_write2_b64 v33, v[0:1], v[2:3] offset1:1
	s_waitcnt vmcnt(0)
	ds_write2_b64 v34, v[8:9], v[10:11] offset0:4 offset1:5
	ds_read2_b64 v[16:19], v33 offset1:1
	s_waitcnt lgkmcnt(0)
	v_cmp_neq_f64_e32 vcc, 0, v[16:17]
	v_cmp_neq_f64_e64 s[2:3], 0, v[18:19]
	s_or_b64 s[2:3], vcc, s[2:3]
	s_and_b64 exec, exec, s[2:3]
	s_cbranch_execz .LBB5_17
; %bb.12:
	v_cmp_ngt_f64_e64 s[2:3], |v[16:17]|, |v[18:19]|
                                        ; implicit-def: $vgpr20_vgpr21
	s_and_saveexec_b64 s[8:9], s[2:3]
	s_xor_b64 s[2:3], exec, s[8:9]
                                        ; implicit-def: $vgpr22_vgpr23
	s_cbranch_execz .LBB5_14
; %bb.13:
	v_div_scale_f64 v[20:21], s[8:9], v[18:19], v[18:19], v[16:17]
	v_rcp_f64_e32 v[22:23], v[20:21]
	v_div_scale_f64 v[36:37], vcc, v[16:17], v[18:19], v[16:17]
	v_fma_f64 v[38:39], -v[20:21], v[22:23], 1.0
	v_fmac_f64_e32 v[22:23], v[22:23], v[38:39]
	v_fma_f64 v[38:39], -v[20:21], v[22:23], 1.0
	v_fmac_f64_e32 v[22:23], v[22:23], v[38:39]
	v_mul_f64 v[38:39], v[36:37], v[22:23]
	v_fma_f64 v[20:21], -v[20:21], v[38:39], v[36:37]
	v_div_fmas_f64 v[20:21], v[20:21], v[22:23], v[38:39]
	v_div_fixup_f64 v[20:21], v[20:21], v[18:19], v[16:17]
	v_fmac_f64_e32 v[18:19], v[16:17], v[20:21]
	v_div_scale_f64 v[16:17], s[8:9], v[18:19], v[18:19], 1.0
	v_rcp_f64_e32 v[22:23], v[16:17]
	s_nop 0
	v_fma_f64 v[36:37], -v[16:17], v[22:23], 1.0
	v_fmac_f64_e32 v[22:23], v[22:23], v[36:37]
	v_fma_f64 v[36:37], -v[16:17], v[22:23], 1.0
	v_fmac_f64_e32 v[22:23], v[22:23], v[36:37]
	v_div_scale_f64 v[36:37], vcc, 1.0, v[18:19], 1.0
	v_mul_f64 v[38:39], v[36:37], v[22:23]
	v_fma_f64 v[16:17], -v[16:17], v[38:39], v[36:37]
	s_nop 1
	v_div_fmas_f64 v[16:17], v[16:17], v[22:23], v[38:39]
	v_div_fixup_f64 v[22:23], v[16:17], v[18:19], 1.0
	v_mul_f64 v[20:21], v[20:21], v[22:23]
	v_xor_b32_e32 v23, 0x80000000, v23
                                        ; implicit-def: $vgpr16_vgpr17
.LBB5_14:
	s_andn2_saveexec_b64 s[2:3], s[2:3]
	s_cbranch_execz .LBB5_16
; %bb.15:
	v_div_scale_f64 v[20:21], s[8:9], v[16:17], v[16:17], v[18:19]
	v_rcp_f64_e32 v[22:23], v[20:21]
	v_div_scale_f64 v[36:37], vcc, v[18:19], v[16:17], v[18:19]
	v_fma_f64 v[38:39], -v[20:21], v[22:23], 1.0
	v_fmac_f64_e32 v[22:23], v[22:23], v[38:39]
	v_fma_f64 v[38:39], -v[20:21], v[22:23], 1.0
	v_fmac_f64_e32 v[22:23], v[22:23], v[38:39]
	v_mul_f64 v[38:39], v[36:37], v[22:23]
	v_fma_f64 v[20:21], -v[20:21], v[38:39], v[36:37]
	v_div_fmas_f64 v[20:21], v[20:21], v[22:23], v[38:39]
	v_div_fixup_f64 v[22:23], v[20:21], v[16:17], v[18:19]
	v_fmac_f64_e32 v[16:17], v[18:19], v[22:23]
	v_div_scale_f64 v[18:19], s[8:9], v[16:17], v[16:17], 1.0
	v_rcp_f64_e32 v[20:21], v[18:19]
	s_nop 0
	v_fma_f64 v[36:37], -v[18:19], v[20:21], 1.0
	v_fmac_f64_e32 v[20:21], v[20:21], v[36:37]
	v_fma_f64 v[36:37], -v[18:19], v[20:21], 1.0
	v_fmac_f64_e32 v[20:21], v[20:21], v[36:37]
	v_div_scale_f64 v[36:37], vcc, 1.0, v[16:17], 1.0
	v_mul_f64 v[38:39], v[36:37], v[20:21]
	v_fma_f64 v[18:19], -v[18:19], v[38:39], v[36:37]
	s_nop 1
	v_div_fmas_f64 v[18:19], v[18:19], v[20:21], v[38:39]
	v_div_fixup_f64 v[20:21], v[18:19], v[16:17], 1.0
	v_mul_f64 v[22:23], v[22:23], -v[20:21]
.LBB5_16:
	s_or_b64 exec, exec, s[2:3]
	ds_write2_b64 v33, v[20:21], v[22:23] offset1:1
.LBB5_17:
	s_or_b64 exec, exec, s[4:5]
	s_waitcnt lgkmcnt(0)
	s_barrier
	ds_read2_b64 v[16:19], v33 offset1:1
	v_cmp_lt_u32_e32 vcc, 1, v32
	s_and_saveexec_b64 s[2:3], vcc
	s_cbranch_execz .LBB5_19
; %bb.18:
	ds_read2_b64 v[20:23], v34 offset0:4 offset1:5
	s_waitcnt vmcnt(1) lgkmcnt(1)
	v_mul_f64 v[34:35], v[16:17], v[2:3]
	v_mul_f64 v[2:3], v[18:19], v[2:3]
	v_fmac_f64_e32 v[34:35], v[18:19], v[0:1]
	v_fma_f64 v[0:1], v[16:17], v[0:1], -v[2:3]
	s_waitcnt lgkmcnt(0)
	v_mul_f64 v[2:3], v[22:23], v[34:35]
	v_fma_f64 v[2:3], v[20:21], v[0:1], -v[2:3]
	v_mul_f64 v[20:21], v[20:21], v[34:35]
	v_fmac_f64_e32 v[20:21], v[22:23], v[0:1]
	s_waitcnt vmcnt(0)
	v_add_f64 v[8:9], v[8:9], -v[2:3]
	v_add_f64 v[10:11], v[10:11], -v[20:21]
	v_mov_b64_e32 v[2:3], v[34:35]
.LBB5_19:
	s_or_b64 exec, exec, s[2:3]
	v_cmp_eq_u32_e32 vcc, 2, v32
	s_waitcnt lgkmcnt(0)
	s_barrier
	s_and_saveexec_b64 s[4:5], vcc
	s_cbranch_execz .LBB5_26
; %bb.20:
	s_waitcnt vmcnt(0)
	v_cmp_neq_f64_e32 vcc, 0, v[8:9]
	v_cmp_neq_f64_e64 s[2:3], 0, v[10:11]
	s_or_b64 s[2:3], vcc, s[2:3]
	ds_write2_b64 v33, v[8:9], v[10:11] offset1:1
	s_and_b64 exec, exec, s[2:3]
	s_cbranch_execz .LBB5_26
; %bb.21:
	v_cmp_ngt_f64_e64 s[2:3], |v[8:9]|, |v[10:11]|
                                        ; implicit-def: $vgpr20_vgpr21
	s_and_saveexec_b64 s[8:9], s[2:3]
	s_xor_b64 s[2:3], exec, s[8:9]
                                        ; implicit-def: $vgpr22_vgpr23
	s_cbranch_execz .LBB5_23
; %bb.22:
	v_div_scale_f64 v[20:21], s[8:9], v[10:11], v[10:11], v[8:9]
	v_rcp_f64_e32 v[22:23], v[20:21]
	v_div_scale_f64 v[34:35], vcc, v[8:9], v[10:11], v[8:9]
	v_fma_f64 v[36:37], -v[20:21], v[22:23], 1.0
	v_fmac_f64_e32 v[22:23], v[22:23], v[36:37]
	v_fma_f64 v[36:37], -v[20:21], v[22:23], 1.0
	v_fmac_f64_e32 v[22:23], v[22:23], v[36:37]
	v_mul_f64 v[36:37], v[34:35], v[22:23]
	v_fma_f64 v[20:21], -v[20:21], v[36:37], v[34:35]
	v_div_fmas_f64 v[20:21], v[20:21], v[22:23], v[36:37]
	v_div_fixup_f64 v[20:21], v[20:21], v[10:11], v[8:9]
	v_fma_f64 v[22:23], v[8:9], v[20:21], v[10:11]
	v_div_scale_f64 v[34:35], s[8:9], v[22:23], v[22:23], 1.0
	v_rcp_f64_e32 v[36:37], v[34:35]
	s_nop 0
	v_fma_f64 v[38:39], -v[34:35], v[36:37], 1.0
	v_fmac_f64_e32 v[36:37], v[36:37], v[38:39]
	v_fma_f64 v[38:39], -v[34:35], v[36:37], 1.0
	v_fmac_f64_e32 v[36:37], v[36:37], v[38:39]
	v_div_scale_f64 v[38:39], vcc, 1.0, v[22:23], 1.0
	v_mul_f64 v[40:41], v[38:39], v[36:37]
	v_fma_f64 v[34:35], -v[34:35], v[40:41], v[38:39]
	s_nop 1
	v_div_fmas_f64 v[34:35], v[34:35], v[36:37], v[40:41]
	v_div_fixup_f64 v[22:23], v[34:35], v[22:23], 1.0
	v_mul_f64 v[20:21], v[20:21], v[22:23]
	v_xor_b32_e32 v23, 0x80000000, v23
.LBB5_23:
	s_andn2_saveexec_b64 s[2:3], s[2:3]
	s_cbranch_execz .LBB5_25
; %bb.24:
	v_div_scale_f64 v[20:21], s[8:9], v[8:9], v[8:9], v[10:11]
	v_rcp_f64_e32 v[22:23], v[20:21]
	v_div_scale_f64 v[34:35], vcc, v[10:11], v[8:9], v[10:11]
	v_fma_f64 v[36:37], -v[20:21], v[22:23], 1.0
	v_fmac_f64_e32 v[22:23], v[22:23], v[36:37]
	v_fma_f64 v[36:37], -v[20:21], v[22:23], 1.0
	v_fmac_f64_e32 v[22:23], v[22:23], v[36:37]
	v_mul_f64 v[36:37], v[34:35], v[22:23]
	v_fma_f64 v[20:21], -v[20:21], v[36:37], v[34:35]
	v_div_fmas_f64 v[20:21], v[20:21], v[22:23], v[36:37]
	v_div_fixup_f64 v[22:23], v[20:21], v[8:9], v[10:11]
	v_fma_f64 v[20:21], v[10:11], v[22:23], v[8:9]
	v_div_scale_f64 v[34:35], s[8:9], v[20:21], v[20:21], 1.0
	v_rcp_f64_e32 v[36:37], v[34:35]
	s_nop 0
	v_fma_f64 v[38:39], -v[34:35], v[36:37], 1.0
	v_fmac_f64_e32 v[36:37], v[36:37], v[38:39]
	v_fma_f64 v[38:39], -v[34:35], v[36:37], 1.0
	v_fmac_f64_e32 v[36:37], v[36:37], v[38:39]
	v_div_scale_f64 v[38:39], vcc, 1.0, v[20:21], 1.0
	v_mul_f64 v[40:41], v[38:39], v[36:37]
	v_fma_f64 v[34:35], -v[34:35], v[40:41], v[38:39]
	s_nop 1
	v_div_fmas_f64 v[34:35], v[34:35], v[36:37], v[40:41]
	v_div_fixup_f64 v[20:21], v[34:35], v[20:21], 1.0
	v_mul_f64 v[22:23], v[22:23], -v[20:21]
.LBB5_25:
	s_or_b64 exec, exec, s[2:3]
	ds_write2_b64 v33, v[20:21], v[22:23] offset1:1
.LBB5_26:
	s_or_b64 exec, exec, s[4:5]
	s_waitcnt lgkmcnt(0)
	s_barrier
	ds_read2_b64 v[20:23], v33 offset1:1
	s_waitcnt lgkmcnt(0)
	s_barrier
	s_and_saveexec_b64 s[12:13], s[0:1]
	s_cbranch_execz .LBB5_29
; %bb.27:
	v_mov_b32_e32 v34, s6
	v_mov_b32_e32 v35, s7
	v_lshl_add_u64 v[28:29], v[28:29], 2, v[34:35]
	global_load_dword v33, v[28:29], off
	v_cmp_eq_f64_e32 vcc, 0, v[12:13]
	v_cmp_eq_f64_e64 s[0:1], 0, v[14:15]
	v_cmp_neq_f64_e64 s[2:3], 0, v[16:17]
	v_cmp_neq_f64_e64 s[4:5], 0, v[18:19]
	s_and_b64 s[0:1], vcc, s[0:1]
	s_or_b64 s[2:3], s[2:3], s[4:5]
	v_cndmask_b32_e64 v12, 0, 1, s[0:1]
	s_or_b64 vcc, s[2:3], s[0:1]
	v_cmp_eq_f64_e64 s[6:7], 0, v[20:21]
	v_cmp_eq_f64_e64 s[8:9], 0, v[22:23]
	v_cndmask_b32_e32 v12, 2, v12, vcc
	s_and_b64 s[4:5], s[6:7], s[8:9]
	v_cmp_eq_u32_e32 vcc, 0, v12
	s_and_b64 s[0:1], s[4:5], vcc
	v_cndmask_b32_e64 v12, v12, 3, s[0:1]
	v_cmp_ne_u32_e64 s[0:1], 0, v12
	s_waitcnt vmcnt(0)
	v_cmp_eq_u32_e32 vcc, 0, v33
	s_and_b64 s[0:1], vcc, s[0:1]
	s_and_b64 exec, exec, s[0:1]
	s_cbranch_execz .LBB5_29
; %bb.28:
	v_add_u32_e32 v12, s11, v12
	global_store_dword v[28:29], v12, off
.LBB5_29:
	s_or_b64 exec, exec, s[12:13]
	s_waitcnt vmcnt(0)
	v_mul_f64 v[12:13], v[22:23], v[10:11]
	v_mul_f64 v[14:15], v[20:21], v[10:11]
	v_fma_f64 v[12:13], v[20:21], v[8:9], -v[12:13]
	v_fmac_f64_e32 v[14:15], v[22:23], v[8:9]
	v_cmp_lt_u32_e32 vcc, 2, v32
	s_nop 1
	v_cndmask_b32_e32 v11, v11, v15, vcc
	v_cndmask_b32_e32 v10, v10, v14, vcc
	;; [unrolled: 1-line block ×4, first 2 shown]
	global_store_dwordx4 v[24:25], v[4:7], off
	global_store_dwordx4 v[26:27], v[0:3], off
	;; [unrolled: 1-line block ×3, first 2 shown]
.LBB5_30:
	s_endpgm
	.section	.rodata,"a",@progbits
	.p2align	6, 0x0
	.amdhsa_kernel _ZN9rocsolver6v33100L23getf2_npvt_small_kernelILi3E19rocblas_complex_numIdEiiPS3_EEvT1_T3_lS5_lPT2_S5_S5_
		.amdhsa_group_segment_fixed_size 0
		.amdhsa_private_segment_fixed_size 0
		.amdhsa_kernarg_size 312
		.amdhsa_user_sgpr_count 2
		.amdhsa_user_sgpr_dispatch_ptr 0
		.amdhsa_user_sgpr_queue_ptr 0
		.amdhsa_user_sgpr_kernarg_segment_ptr 1
		.amdhsa_user_sgpr_dispatch_id 0
		.amdhsa_user_sgpr_kernarg_preload_length 0
		.amdhsa_user_sgpr_kernarg_preload_offset 0
		.amdhsa_user_sgpr_private_segment_size 0
		.amdhsa_uses_dynamic_stack 0
		.amdhsa_enable_private_segment 0
		.amdhsa_system_sgpr_workgroup_id_x 1
		.amdhsa_system_sgpr_workgroup_id_y 1
		.amdhsa_system_sgpr_workgroup_id_z 0
		.amdhsa_system_sgpr_workgroup_info 0
		.amdhsa_system_vgpr_workitem_id 1
		.amdhsa_next_free_vgpr 42
		.amdhsa_next_free_sgpr 16
		.amdhsa_accum_offset 44
		.amdhsa_reserve_vcc 1
		.amdhsa_float_round_mode_32 0
		.amdhsa_float_round_mode_16_64 0
		.amdhsa_float_denorm_mode_32 3
		.amdhsa_float_denorm_mode_16_64 3
		.amdhsa_dx10_clamp 1
		.amdhsa_ieee_mode 1
		.amdhsa_fp16_overflow 0
		.amdhsa_tg_split 0
		.amdhsa_exception_fp_ieee_invalid_op 0
		.amdhsa_exception_fp_denorm_src 0
		.amdhsa_exception_fp_ieee_div_zero 0
		.amdhsa_exception_fp_ieee_overflow 0
		.amdhsa_exception_fp_ieee_underflow 0
		.amdhsa_exception_fp_ieee_inexact 0
		.amdhsa_exception_int_div_zero 0
	.end_amdhsa_kernel
	.section	.text._ZN9rocsolver6v33100L23getf2_npvt_small_kernelILi3E19rocblas_complex_numIdEiiPS3_EEvT1_T3_lS5_lPT2_S5_S5_,"axG",@progbits,_ZN9rocsolver6v33100L23getf2_npvt_small_kernelILi3E19rocblas_complex_numIdEiiPS3_EEvT1_T3_lS5_lPT2_S5_S5_,comdat
.Lfunc_end5:
	.size	_ZN9rocsolver6v33100L23getf2_npvt_small_kernelILi3E19rocblas_complex_numIdEiiPS3_EEvT1_T3_lS5_lPT2_S5_S5_, .Lfunc_end5-_ZN9rocsolver6v33100L23getf2_npvt_small_kernelILi3E19rocblas_complex_numIdEiiPS3_EEvT1_T3_lS5_lPT2_S5_S5_
                                        ; -- End function
	.set _ZN9rocsolver6v33100L23getf2_npvt_small_kernelILi3E19rocblas_complex_numIdEiiPS3_EEvT1_T3_lS5_lPT2_S5_S5_.num_vgpr, 42
	.set _ZN9rocsolver6v33100L23getf2_npvt_small_kernelILi3E19rocblas_complex_numIdEiiPS3_EEvT1_T3_lS5_lPT2_S5_S5_.num_agpr, 0
	.set _ZN9rocsolver6v33100L23getf2_npvt_small_kernelILi3E19rocblas_complex_numIdEiiPS3_EEvT1_T3_lS5_lPT2_S5_S5_.numbered_sgpr, 16
	.set _ZN9rocsolver6v33100L23getf2_npvt_small_kernelILi3E19rocblas_complex_numIdEiiPS3_EEvT1_T3_lS5_lPT2_S5_S5_.num_named_barrier, 0
	.set _ZN9rocsolver6v33100L23getf2_npvt_small_kernelILi3E19rocblas_complex_numIdEiiPS3_EEvT1_T3_lS5_lPT2_S5_S5_.private_seg_size, 0
	.set _ZN9rocsolver6v33100L23getf2_npvt_small_kernelILi3E19rocblas_complex_numIdEiiPS3_EEvT1_T3_lS5_lPT2_S5_S5_.uses_vcc, 1
	.set _ZN9rocsolver6v33100L23getf2_npvt_small_kernelILi3E19rocblas_complex_numIdEiiPS3_EEvT1_T3_lS5_lPT2_S5_S5_.uses_flat_scratch, 0
	.set _ZN9rocsolver6v33100L23getf2_npvt_small_kernelILi3E19rocblas_complex_numIdEiiPS3_EEvT1_T3_lS5_lPT2_S5_S5_.has_dyn_sized_stack, 0
	.set _ZN9rocsolver6v33100L23getf2_npvt_small_kernelILi3E19rocblas_complex_numIdEiiPS3_EEvT1_T3_lS5_lPT2_S5_S5_.has_recursion, 0
	.set _ZN9rocsolver6v33100L23getf2_npvt_small_kernelILi3E19rocblas_complex_numIdEiiPS3_EEvT1_T3_lS5_lPT2_S5_S5_.has_indirect_call, 0
	.section	.AMDGPU.csdata,"",@progbits
; Kernel info:
; codeLenInByte = 2256
; TotalNumSgprs: 22
; NumVgprs: 42
; NumAgprs: 0
; TotalNumVgprs: 42
; ScratchSize: 0
; MemoryBound: 0
; FloatMode: 240
; IeeeMode: 1
; LDSByteSize: 0 bytes/workgroup (compile time only)
; SGPRBlocks: 2
; VGPRBlocks: 5
; NumSGPRsForWavesPerEU: 22
; NumVGPRsForWavesPerEU: 42
; AccumOffset: 44
; Occupancy: 8
; WaveLimiterHint : 0
; COMPUTE_PGM_RSRC2:SCRATCH_EN: 0
; COMPUTE_PGM_RSRC2:USER_SGPR: 2
; COMPUTE_PGM_RSRC2:TRAP_HANDLER: 0
; COMPUTE_PGM_RSRC2:TGID_X_EN: 1
; COMPUTE_PGM_RSRC2:TGID_Y_EN: 1
; COMPUTE_PGM_RSRC2:TGID_Z_EN: 0
; COMPUTE_PGM_RSRC2:TIDIG_COMP_CNT: 1
; COMPUTE_PGM_RSRC3_GFX90A:ACCUM_OFFSET: 10
; COMPUTE_PGM_RSRC3_GFX90A:TG_SPLIT: 0
	.section	.text._ZN9rocsolver6v33100L18getf2_small_kernelILi4E19rocblas_complex_numIdEiiPS3_EEvT1_T3_lS5_lPS5_llPT2_S5_S5_S7_l,"axG",@progbits,_ZN9rocsolver6v33100L18getf2_small_kernelILi4E19rocblas_complex_numIdEiiPS3_EEvT1_T3_lS5_lPS5_llPT2_S5_S5_S7_l,comdat
	.globl	_ZN9rocsolver6v33100L18getf2_small_kernelILi4E19rocblas_complex_numIdEiiPS3_EEvT1_T3_lS5_lPS5_llPT2_S5_S5_S7_l ; -- Begin function _ZN9rocsolver6v33100L18getf2_small_kernelILi4E19rocblas_complex_numIdEiiPS3_EEvT1_T3_lS5_lPS5_llPT2_S5_S5_S7_l
	.p2align	8
	.type	_ZN9rocsolver6v33100L18getf2_small_kernelILi4E19rocblas_complex_numIdEiiPS3_EEvT1_T3_lS5_lPS5_llPT2_S5_S5_S7_l,@function
_ZN9rocsolver6v33100L18getf2_small_kernelILi4E19rocblas_complex_numIdEiiPS3_EEvT1_T3_lS5_lPS5_llPT2_S5_S5_S7_l: ; @_ZN9rocsolver6v33100L18getf2_small_kernelILi4E19rocblas_complex_numIdEiiPS3_EEvT1_T3_lS5_lPS5_llPT2_S5_S5_S7_l
; %bb.0:
	s_load_dword s2, s[0:1], 0x6c
	s_load_dwordx2 s[12:13], s[0:1], 0x48
	v_bfe_u32 v16, v0, 10, 10
	s_waitcnt lgkmcnt(0)
	s_lshr_b32 s2, s2, 16
	s_mul_i32 s3, s3, s2
	v_add_u32_e32 v22, s3, v16
	v_cmp_gt_i32_e32 vcc, s12, v22
	s_and_saveexec_b64 s[2:3], vcc
	s_cbranch_execz .LBB6_85
; %bb.1:
	s_load_dwordx4 s[4:7], s[0:1], 0x50
	v_ashrrev_i32_e32 v23, 31, v22
	v_mov_b64_e32 v[24:25], 0
	s_waitcnt lgkmcnt(0)
	s_cmp_eq_u64 s[4:5], 0
	s_cselect_b64 s[14:15], -1, 0
	s_and_b64 vcc, exec, s[14:15]
	s_cbranch_vccnz .LBB6_3
; %bb.2:
	v_mul_lo_u32 v1, s7, v22
	v_mul_lo_u32 v4, s6, v23
	v_mad_u64_u32 v[2:3], s[2:3], s6, v22, 0
	v_add3_u32 v3, v3, v4, v1
	v_lshl_add_u64 v[24:25], v[2:3], 2, s[4:5]
.LBB6_3:
	s_load_dwordx4 s[16:19], s[0:1], 0x8
	s_load_dwordx8 s[4:11], s[0:1], 0x20
	s_load_dword s2, s[0:1], 0x18
	v_and_b32_e32 v30, 0x3ff, v0
	v_lshlrev_b32_e32 v26, 4, v30
	s_waitcnt lgkmcnt(0)
	v_mov_b32_e32 v2, s16
	v_mul_lo_u32 v1, s5, v22
	v_mul_lo_u32 v6, s4, v23
	v_mad_u64_u32 v[4:5], s[4:5], s4, v22, 0
	v_mov_b32_e32 v3, s17
	v_add3_u32 v5, v5, v6, v1
	v_lshl_add_u64 v[2:3], v[4:5], 4, v[2:3]
	v_lshl_add_u64 v[20:21], s[18:19], 4, v[2:3]
	v_mov_b32_e32 v27, 0
	v_lshl_add_u64 v[4:5], v[20:21], 0, v[26:27]
	s_ashr_i32 s3, s2, 31
	s_add_i32 s12, s2, s2
	global_load_dwordx4 v[0:3], v[4:5], off
	v_lshl_add_u64 v[18:19], s[2:3], 4, v[4:5]
	v_add_u32_e32 v4, s12, v30
	v_ashrrev_i32_e32 v5, 31, v4
	v_lshl_add_u64 v[28:29], v[4:5], 4, v[20:21]
	v_add_u32_e32 v4, s2, v4
	v_ashrrev_i32_e32 v5, 31, v4
	v_lshl_add_u64 v[32:33], v[4:5], 4, v[20:21]
	global_load_dwordx4 v[4:7], v[28:29], off
	global_load_dwordx4 v[12:15], v[32:33], off
	;; [unrolled: 1-line block ×3, first 2 shown]
	s_load_dword s20, s[0:1], 0x0
	s_load_dwordx2 s[4:5], s[0:1], 0x40
	s_waitcnt lgkmcnt(0)
	s_max_i32 s0, s20, 4
	v_mul_lo_u32 v29, s0, v16
	v_lshl_add_u32 v28, v29, 4, 0
	v_add_u32_e32 v16, v28, v26
	s_cmp_lt_i32 s20, 2
	v_lshlrev_b32_e32 v29, 4, v29
	s_waitcnt vmcnt(3)
	ds_write2_b64 v16, v[0:1], v[2:3] offset1:1
	s_waitcnt lgkmcnt(0)
	s_barrier
	ds_read2_b64 v[16:19], v28 offset1:1
	s_cbranch_scc1 .LBB6_6
; %bb.4:
	v_add3_u32 v26, v29, 0, 16
	s_mov_b32 s16, 1
	v_mov_b32_e32 v27, 0
.LBB6_5:                                ; =>This Inner Loop Header: Depth=1
	ds_read2_b64 v[32:35], v26 offset1:1
	s_waitcnt lgkmcnt(1)
	v_xor_b32_e32 v31, 0x80000000, v17
	v_xor_b32_e32 v39, 0x80000000, v19
	v_cmp_gt_f64_e32 vcc, 0, v[18:19]
	v_cmp_gt_f64_e64 s[0:1], 0, v[16:17]
	v_mov_b32_e32 v36, v16
	v_mov_b32_e32 v38, v18
	v_cndmask_b32_e64 v37, v17, v31, s[0:1]
	v_cndmask_b32_e32 v39, v19, v39, vcc
	s_waitcnt lgkmcnt(0)
	v_xor_b32_e32 v31, 0x80000000, v33
	v_xor_b32_e32 v41, 0x80000000, v35
	v_cmp_gt_f64_e32 vcc, 0, v[34:35]
	v_cmp_gt_f64_e64 s[0:1], 0, v[32:33]
	v_add_f64 v[36:37], v[36:37], v[38:39]
	v_mov_b32_e32 v38, v32
	v_mov_b32_e32 v40, v34
	v_cndmask_b32_e64 v39, v33, v31, s[0:1]
	v_cndmask_b32_e32 v41, v35, v41, vcc
	v_add_f64 v[38:39], v[38:39], v[40:41]
	v_mov_b32_e32 v42, s16
	s_add_i32 s16, s16, 1
	v_cmp_lt_f64_e32 vcc, v[36:37], v[38:39]
	v_add_u32_e32 v26, 16, v26
	s_cmp_eq_u32 s20, s16
	v_cndmask_b32_e32 v17, v17, v33, vcc
	v_cndmask_b32_e32 v16, v16, v32, vcc
	;; [unrolled: 1-line block ×5, first 2 shown]
	s_cbranch_scc0 .LBB6_5
.LBB6_6:
	s_waitcnt lgkmcnt(0)
	v_cmp_neq_f64_e32 vcc, 0, v[16:17]
	v_cmp_neq_f64_e64 s[0:1], 0, v[18:19]
	s_or_b64 s[16:17], vcc, s[0:1]
	v_mov_b32_e32 v31, 1
	v_mov_b32_e32 v32, 1
	s_and_saveexec_b64 s[0:1], s[16:17]
	s_cbranch_execz .LBB6_12
; %bb.7:
	v_cmp_ngt_f64_e64 s[16:17], |v[16:17]|, |v[18:19]|
	s_and_saveexec_b64 s[18:19], s[16:17]
	s_xor_b64 s[16:17], exec, s[18:19]
	s_cbranch_execz .LBB6_9
; %bb.8:
	v_div_scale_f64 v[32:33], s[18:19], v[18:19], v[18:19], v[16:17]
	v_rcp_f64_e32 v[34:35], v[32:33]
	v_div_scale_f64 v[36:37], vcc, v[16:17], v[18:19], v[16:17]
	v_fma_f64 v[38:39], -v[32:33], v[34:35], 1.0
	v_fmac_f64_e32 v[34:35], v[34:35], v[38:39]
	v_fma_f64 v[38:39], -v[32:33], v[34:35], 1.0
	v_fmac_f64_e32 v[34:35], v[34:35], v[38:39]
	v_mul_f64 v[38:39], v[36:37], v[34:35]
	v_fma_f64 v[32:33], -v[32:33], v[38:39], v[36:37]
	v_div_fmas_f64 v[32:33], v[32:33], v[34:35], v[38:39]
	v_div_fixup_f64 v[32:33], v[32:33], v[18:19], v[16:17]
	v_fmac_f64_e32 v[18:19], v[16:17], v[32:33]
	v_div_scale_f64 v[16:17], s[18:19], v[18:19], v[18:19], 1.0
	v_rcp_f64_e32 v[34:35], v[16:17]
	s_nop 0
	v_fma_f64 v[36:37], -v[16:17], v[34:35], 1.0
	v_fmac_f64_e32 v[34:35], v[34:35], v[36:37]
	v_fma_f64 v[36:37], -v[16:17], v[34:35], 1.0
	v_fmac_f64_e32 v[34:35], v[34:35], v[36:37]
	v_div_scale_f64 v[36:37], vcc, 1.0, v[18:19], 1.0
	v_mul_f64 v[38:39], v[36:37], v[34:35]
	v_fma_f64 v[16:17], -v[16:17], v[38:39], v[36:37]
	s_nop 1
	v_div_fmas_f64 v[16:17], v[16:17], v[34:35], v[38:39]
	v_div_fixup_f64 v[18:19], v[16:17], v[18:19], 1.0
	v_mul_f64 v[16:17], v[32:33], v[18:19]
	v_xor_b32_e32 v19, 0x80000000, v19
.LBB6_9:
	s_andn2_saveexec_b64 s[16:17], s[16:17]
	s_cbranch_execz .LBB6_11
; %bb.10:
	v_div_scale_f64 v[32:33], s[18:19], v[16:17], v[16:17], v[18:19]
	v_rcp_f64_e32 v[34:35], v[32:33]
	v_div_scale_f64 v[36:37], vcc, v[18:19], v[16:17], v[18:19]
	v_fma_f64 v[38:39], -v[32:33], v[34:35], 1.0
	v_fmac_f64_e32 v[34:35], v[34:35], v[38:39]
	v_fma_f64 v[38:39], -v[32:33], v[34:35], 1.0
	v_fmac_f64_e32 v[34:35], v[34:35], v[38:39]
	v_mul_f64 v[38:39], v[36:37], v[34:35]
	v_fma_f64 v[32:33], -v[32:33], v[38:39], v[36:37]
	v_div_fmas_f64 v[32:33], v[32:33], v[34:35], v[38:39]
	v_div_fixup_f64 v[32:33], v[32:33], v[16:17], v[18:19]
	v_fmac_f64_e32 v[16:17], v[18:19], v[32:33]
	v_div_scale_f64 v[18:19], s[18:19], v[16:17], v[16:17], 1.0
	v_rcp_f64_e32 v[34:35], v[18:19]
	s_nop 0
	v_fma_f64 v[36:37], -v[18:19], v[34:35], 1.0
	v_fmac_f64_e32 v[34:35], v[34:35], v[36:37]
	v_fma_f64 v[36:37], -v[18:19], v[34:35], 1.0
	v_fmac_f64_e32 v[34:35], v[34:35], v[36:37]
	v_div_scale_f64 v[36:37], vcc, 1.0, v[16:17], 1.0
	v_mul_f64 v[38:39], v[36:37], v[34:35]
	v_fma_f64 v[18:19], -v[18:19], v[38:39], v[36:37]
	s_nop 1
	v_div_fmas_f64 v[18:19], v[18:19], v[34:35], v[38:39]
	v_div_fixup_f64 v[16:17], v[18:19], v[16:17], 1.0
	v_mul_f64 v[18:19], v[32:33], -v[16:17]
.LBB6_11:
	s_or_b64 exec, exec, s[16:17]
	v_mov_b32_e32 v32, 0
	v_mov_b32_e32 v31, 2
.LBB6_12:
	s_or_b64 exec, exec, s[0:1]
	v_cmp_ne_u32_e32 vcc, v30, v27
	s_and_saveexec_b64 s[0:1], vcc
	s_xor_b64 s[0:1], exec, s[0:1]
	s_cbranch_execz .LBB6_18
; %bb.13:
	v_cmp_eq_u32_e32 vcc, 0, v30
	s_and_saveexec_b64 s[16:17], vcc
	s_cbranch_execz .LBB6_17
; %bb.14:
	v_cmp_ne_u32_e32 vcc, 0, v27
	s_xor_b64 s[18:19], s[14:15], -1
	s_and_b64 s[22:23], s[18:19], vcc
	s_and_saveexec_b64 s[18:19], s[22:23]
	s_cbranch_execz .LBB6_16
; %bb.15:
	v_ashrrev_i32_e32 v35, 31, v27
	v_mov_b32_e32 v34, v27
	v_lshl_add_u64 v[34:35], v[34:35], 2, v[24:25]
	global_load_dword v26, v[34:35], off
	global_load_dword v30, v[24:25], off
	s_waitcnt vmcnt(1)
	global_store_dword v[24:25], v26, off
	s_waitcnt vmcnt(1)
	global_store_dword v[34:35], v30, off
.LBB6_16:
	s_or_b64 exec, exec, s[18:19]
	v_mov_b32_e32 v30, v27
.LBB6_17:
	s_or_b64 exec, exec, s[16:17]
.LBB6_18:
	s_or_saveexec_b64 s[0:1], s[0:1]
	v_mov_b32_e32 v27, v30
	s_xor_b64 exec, exec, s[0:1]
	s_cbranch_execz .LBB6_20
; %bb.19:
	v_mov_b32_e32 v27, 0
	s_waitcnt vmcnt(0)
	ds_write2_b64 v28, v[8:9], v[10:11] offset0:2 offset1:3
	ds_write2_b64 v28, v[4:5], v[6:7] offset0:4 offset1:5
	;; [unrolled: 1-line block ×3, first 2 shown]
.LBB6_20:
	s_or_b64 exec, exec, s[0:1]
	v_cmp_lt_i32_e32 vcc, 0, v27
	s_waitcnt lgkmcnt(0)
	s_barrier
	s_and_saveexec_b64 s[0:1], vcc
	s_cbranch_execz .LBB6_22
; %bb.21:
	ds_read2_b64 v[34:37], v28 offset0:2 offset1:3
	v_mul_f64 v[38:39], v[16:17], v[2:3]
	v_fmac_f64_e32 v[38:39], v[18:19], v[0:1]
	v_mul_f64 v[2:3], v[18:19], v[2:3]
	v_fma_f64 v[0:1], v[16:17], v[0:1], -v[2:3]
	ds_read2_b64 v[16:19], v28 offset0:4 offset1:5
	s_waitcnt lgkmcnt(1)
	v_mul_f64 v[2:3], v[36:37], v[38:39]
	v_fma_f64 v[2:3], v[34:35], v[0:1], -v[2:3]
	v_mul_f64 v[34:35], v[34:35], v[38:39]
	v_fmac_f64_e32 v[34:35], v[36:37], v[0:1]
	s_waitcnt vmcnt(0)
	v_add_f64 v[10:11], v[10:11], -v[34:35]
	ds_read2_b64 v[34:37], v28 offset0:6 offset1:7
	v_add_f64 v[8:9], v[8:9], -v[2:3]
	s_waitcnt lgkmcnt(1)
	v_mul_f64 v[2:3], v[18:19], v[38:39]
	v_fma_f64 v[2:3], v[16:17], v[0:1], -v[2:3]
	v_mul_f64 v[16:17], v[16:17], v[38:39]
	v_fmac_f64_e32 v[16:17], v[18:19], v[0:1]
	v_add_f64 v[4:5], v[4:5], -v[2:3]
	v_add_f64 v[6:7], v[6:7], -v[16:17]
	s_waitcnt lgkmcnt(0)
	v_mul_f64 v[2:3], v[36:37], v[38:39]
	v_mul_f64 v[16:17], v[34:35], v[38:39]
	v_fma_f64 v[2:3], v[34:35], v[0:1], -v[2:3]
	v_fmac_f64_e32 v[16:17], v[36:37], v[0:1]
	v_add_f64 v[12:13], v[12:13], -v[2:3]
	v_add_f64 v[14:15], v[14:15], -v[16:17]
	v_mov_b64_e32 v[2:3], v[38:39]
.LBB6_22:
	s_or_b64 exec, exec, s[0:1]
	v_lshl_add_u32 v16, v27, 4, v28
	s_barrier
	s_waitcnt vmcnt(0)
	ds_write2_b64 v16, v[8:9], v[10:11] offset1:1
	s_waitcnt lgkmcnt(0)
	s_barrier
	ds_read2_b64 v[16:19], v28 offset0:2 offset1:3
	s_cmp_lt_i32 s20, 3
	v_mov_b32_e32 v26, 1
	s_cbranch_scc1 .LBB6_25
; %bb.23:
	v_add3_u32 v33, v29, 0, 32
	s_mov_b32 s16, 2
	v_mov_b32_e32 v26, 1
.LBB6_24:                               ; =>This Inner Loop Header: Depth=1
	ds_read2_b64 v[34:37], v33 offset1:1
	s_waitcnt lgkmcnt(1)
	v_xor_b32_e32 v39, 0x80000000, v17
	v_xor_b32_e32 v41, 0x80000000, v19
	v_cmp_gt_f64_e32 vcc, 0, v[18:19]
	v_cmp_gt_f64_e64 s[0:1], 0, v[16:17]
	v_mov_b32_e32 v38, v16
	v_mov_b32_e32 v40, v18
	v_cndmask_b32_e64 v39, v17, v39, s[0:1]
	v_cndmask_b32_e32 v41, v19, v41, vcc
	v_add_f64 v[38:39], v[38:39], v[40:41]
	s_waitcnt lgkmcnt(0)
	v_xor_b32_e32 v41, 0x80000000, v35
	v_xor_b32_e32 v43, 0x80000000, v37
	v_cmp_gt_f64_e32 vcc, 0, v[36:37]
	v_cmp_gt_f64_e64 s[0:1], 0, v[34:35]
	v_mov_b32_e32 v40, v34
	v_mov_b32_e32 v42, v36
	v_cndmask_b32_e64 v41, v35, v41, s[0:1]
	v_cndmask_b32_e32 v43, v37, v43, vcc
	v_add_f64 v[40:41], v[40:41], v[42:43]
	v_mov_b32_e32 v44, s16
	s_add_i32 s16, s16, 1
	v_cmp_lt_f64_e32 vcc, v[38:39], v[40:41]
	v_add_u32_e32 v33, 16, v33
	s_cmp_lg_u32 s20, s16
	v_cndmask_b32_e32 v17, v17, v35, vcc
	v_cndmask_b32_e32 v16, v16, v34, vcc
	;; [unrolled: 1-line block ×5, first 2 shown]
	s_cbranch_scc1 .LBB6_24
.LBB6_25:
	s_waitcnt lgkmcnt(0)
	v_cmp_neq_f64_e32 vcc, 0, v[16:17]
	v_cmp_neq_f64_e64 s[0:1], 0, v[18:19]
	s_or_b64 s[16:17], vcc, s[0:1]
	s_and_saveexec_b64 s[0:1], s[16:17]
	s_cbranch_execz .LBB6_31
; %bb.26:
	v_cmp_ngt_f64_e64 s[16:17], |v[16:17]|, |v[18:19]|
	s_and_saveexec_b64 s[18:19], s[16:17]
	s_xor_b64 s[16:17], exec, s[18:19]
	s_cbranch_execz .LBB6_28
; %bb.27:
	v_div_scale_f64 v[34:35], s[18:19], v[18:19], v[18:19], v[16:17]
	v_rcp_f64_e32 v[36:37], v[34:35]
	v_div_scale_f64 v[38:39], vcc, v[16:17], v[18:19], v[16:17]
	v_fma_f64 v[40:41], -v[34:35], v[36:37], 1.0
	v_fmac_f64_e32 v[36:37], v[36:37], v[40:41]
	v_fma_f64 v[40:41], -v[34:35], v[36:37], 1.0
	v_fmac_f64_e32 v[36:37], v[36:37], v[40:41]
	v_mul_f64 v[40:41], v[38:39], v[36:37]
	v_fma_f64 v[34:35], -v[34:35], v[40:41], v[38:39]
	v_div_fmas_f64 v[34:35], v[34:35], v[36:37], v[40:41]
	v_div_fixup_f64 v[34:35], v[34:35], v[18:19], v[16:17]
	v_fmac_f64_e32 v[18:19], v[16:17], v[34:35]
	v_div_scale_f64 v[16:17], s[18:19], v[18:19], v[18:19], 1.0
	v_rcp_f64_e32 v[36:37], v[16:17]
	s_nop 0
	v_fma_f64 v[38:39], -v[16:17], v[36:37], 1.0
	v_fmac_f64_e32 v[36:37], v[36:37], v[38:39]
	v_fma_f64 v[38:39], -v[16:17], v[36:37], 1.0
	v_fmac_f64_e32 v[36:37], v[36:37], v[38:39]
	v_div_scale_f64 v[38:39], vcc, 1.0, v[18:19], 1.0
	v_mul_f64 v[40:41], v[38:39], v[36:37]
	v_fma_f64 v[16:17], -v[16:17], v[40:41], v[38:39]
	s_nop 1
	v_div_fmas_f64 v[16:17], v[16:17], v[36:37], v[40:41]
	v_div_fixup_f64 v[18:19], v[16:17], v[18:19], 1.0
	v_mul_f64 v[16:17], v[34:35], v[18:19]
	v_xor_b32_e32 v19, 0x80000000, v19
.LBB6_28:
	s_andn2_saveexec_b64 s[16:17], s[16:17]
	s_cbranch_execz .LBB6_30
; %bb.29:
	v_div_scale_f64 v[34:35], s[18:19], v[16:17], v[16:17], v[18:19]
	v_rcp_f64_e32 v[36:37], v[34:35]
	v_div_scale_f64 v[38:39], vcc, v[18:19], v[16:17], v[18:19]
	v_fma_f64 v[40:41], -v[34:35], v[36:37], 1.0
	v_fmac_f64_e32 v[36:37], v[36:37], v[40:41]
	v_fma_f64 v[40:41], -v[34:35], v[36:37], 1.0
	v_fmac_f64_e32 v[36:37], v[36:37], v[40:41]
	v_mul_f64 v[40:41], v[38:39], v[36:37]
	v_fma_f64 v[34:35], -v[34:35], v[40:41], v[38:39]
	v_div_fmas_f64 v[34:35], v[34:35], v[36:37], v[40:41]
	v_div_fixup_f64 v[34:35], v[34:35], v[16:17], v[18:19]
	v_fmac_f64_e32 v[16:17], v[18:19], v[34:35]
	v_div_scale_f64 v[18:19], s[18:19], v[16:17], v[16:17], 1.0
	v_rcp_f64_e32 v[36:37], v[18:19]
	s_nop 0
	v_fma_f64 v[38:39], -v[18:19], v[36:37], 1.0
	v_fmac_f64_e32 v[36:37], v[36:37], v[38:39]
	v_fma_f64 v[38:39], -v[18:19], v[36:37], 1.0
	v_fmac_f64_e32 v[36:37], v[36:37], v[38:39]
	v_div_scale_f64 v[38:39], vcc, 1.0, v[16:17], 1.0
	v_mul_f64 v[40:41], v[38:39], v[36:37]
	v_fma_f64 v[18:19], -v[18:19], v[40:41], v[38:39]
	s_nop 1
	v_div_fmas_f64 v[18:19], v[18:19], v[36:37], v[40:41]
	v_div_fixup_f64 v[16:17], v[18:19], v[16:17], 1.0
	v_mul_f64 v[18:19], v[34:35], -v[16:17]
.LBB6_30:
	s_or_b64 exec, exec, s[16:17]
	v_mov_b32_e32 v31, v32
.LBB6_31:
	s_or_b64 exec, exec, s[0:1]
	v_cmp_ne_u32_e32 vcc, v27, v26
	s_and_saveexec_b64 s[0:1], vcc
	s_xor_b64 s[0:1], exec, s[0:1]
	s_cbranch_execz .LBB6_37
; %bb.32:
	v_cmp_eq_u32_e32 vcc, 1, v27
	s_and_saveexec_b64 s[16:17], vcc
	s_cbranch_execz .LBB6_36
; %bb.33:
	v_cmp_ne_u32_e32 vcc, 1, v26
	s_xor_b64 s[18:19], s[14:15], -1
	s_and_b64 s[22:23], s[18:19], vcc
	s_and_saveexec_b64 s[18:19], s[22:23]
	s_cbranch_execz .LBB6_35
; %bb.34:
	v_ashrrev_i32_e32 v27, 31, v26
	v_lshl_add_u64 v[32:33], v[26:27], 2, v[24:25]
	global_load_dword v27, v[32:33], off
	global_load_dword v30, v[24:25], off offset:4
	s_waitcnt vmcnt(1)
	global_store_dword v[24:25], v27, off offset:4
	s_waitcnt vmcnt(1)
	global_store_dword v[32:33], v30, off
.LBB6_35:
	s_or_b64 exec, exec, s[18:19]
	v_mov_b32_e32 v27, v26
	v_mov_b32_e32 v30, v26
.LBB6_36:
	s_or_b64 exec, exec, s[16:17]
.LBB6_37:
	s_andn2_saveexec_b64 s[0:1], s[0:1]
	s_cbranch_execz .LBB6_39
; %bb.38:
	v_mov_b32_e32 v27, 1
	ds_write2_b64 v28, v[4:5], v[6:7] offset0:4 offset1:5
	ds_write2_b64 v28, v[12:13], v[14:15] offset0:6 offset1:7
.LBB6_39:
	s_or_b64 exec, exec, s[0:1]
	v_cmp_lt_i32_e32 vcc, 1, v27
	s_waitcnt lgkmcnt(0)
	s_barrier
	s_and_saveexec_b64 s[0:1], vcc
	s_cbranch_execz .LBB6_41
; %bb.40:
	ds_read2_b64 v[32:35], v28 offset0:4 offset1:5
	v_mul_f64 v[36:37], v[16:17], v[10:11]
	v_mul_f64 v[10:11], v[18:19], v[10:11]
	v_fmac_f64_e32 v[36:37], v[18:19], v[8:9]
	v_fma_f64 v[8:9], v[16:17], v[8:9], -v[10:11]
	ds_read2_b64 v[16:19], v28 offset0:6 offset1:7
	s_waitcnt lgkmcnt(1)
	v_mul_f64 v[10:11], v[34:35], v[36:37]
	v_fma_f64 v[10:11], v[32:33], v[8:9], -v[10:11]
	v_add_f64 v[4:5], v[4:5], -v[10:11]
	v_mul_f64 v[32:33], v[32:33], v[36:37]
	s_waitcnt lgkmcnt(0)
	v_mul_f64 v[10:11], v[18:19], v[36:37]
	v_fma_f64 v[10:11], v[16:17], v[8:9], -v[10:11]
	v_mul_f64 v[16:17], v[16:17], v[36:37]
	v_fmac_f64_e32 v[32:33], v[34:35], v[8:9]
	v_fmac_f64_e32 v[16:17], v[18:19], v[8:9]
	v_add_f64 v[6:7], v[6:7], -v[32:33]
	v_add_f64 v[12:13], v[12:13], -v[10:11]
	;; [unrolled: 1-line block ×3, first 2 shown]
	v_mov_b64_e32 v[10:11], v[36:37]
.LBB6_41:
	s_or_b64 exec, exec, s[0:1]
	v_lshl_add_u32 v16, v27, 4, v28
	s_barrier
	ds_write2_b64 v16, v[4:5], v[6:7] offset1:1
	s_waitcnt lgkmcnt(0)
	s_barrier
	ds_read2_b64 v[16:19], v28 offset0:4 offset1:5
	s_cmp_lt_i32 s20, 4
	v_mov_b32_e32 v26, 2
	s_cbranch_scc1 .LBB6_44
; %bb.42:
	v_add3_u32 v32, v29, 0, 48
	s_mov_b32 s16, 3
	v_mov_b32_e32 v26, 2
.LBB6_43:                               ; =>This Inner Loop Header: Depth=1
	ds_read2_b64 v[34:37], v32 offset1:1
	s_waitcnt lgkmcnt(1)
	v_xor_b32_e32 v33, 0x80000000, v17
	v_xor_b32_e32 v41, 0x80000000, v19
	v_cmp_gt_f64_e32 vcc, 0, v[18:19]
	v_cmp_gt_f64_e64 s[0:1], 0, v[16:17]
	v_mov_b32_e32 v38, v16
	v_mov_b32_e32 v40, v18
	v_cndmask_b32_e64 v39, v17, v33, s[0:1]
	v_cndmask_b32_e32 v41, v19, v41, vcc
	s_waitcnt lgkmcnt(0)
	v_xor_b32_e32 v33, 0x80000000, v35
	v_xor_b32_e32 v43, 0x80000000, v37
	v_cmp_gt_f64_e32 vcc, 0, v[36:37]
	v_cmp_gt_f64_e64 s[0:1], 0, v[34:35]
	v_add_f64 v[38:39], v[38:39], v[40:41]
	v_mov_b32_e32 v40, v34
	v_mov_b32_e32 v42, v36
	v_cndmask_b32_e64 v41, v35, v33, s[0:1]
	v_cndmask_b32_e32 v43, v37, v43, vcc
	v_add_f64 v[40:41], v[40:41], v[42:43]
	v_mov_b32_e32 v44, s16
	s_add_i32 s16, s16, 1
	v_cmp_lt_f64_e32 vcc, v[38:39], v[40:41]
	v_add_u32_e32 v32, 16, v32
	s_cmp_lg_u32 s20, s16
	v_cndmask_b32_e32 v17, v17, v35, vcc
	v_cndmask_b32_e32 v16, v16, v34, vcc
	;; [unrolled: 1-line block ×5, first 2 shown]
	s_cbranch_scc1 .LBB6_43
.LBB6_44:
	s_waitcnt lgkmcnt(0)
	v_cmp_eq_f64_e32 vcc, 0, v[16:17]
	v_cmp_eq_f64_e64 s[0:1], 0, v[18:19]
	s_and_b64 s[0:1], vcc, s[0:1]
	s_and_saveexec_b64 s[16:17], s[0:1]
	s_xor_b64 s[0:1], exec, s[16:17]
; %bb.45:
	v_cmp_ne_u32_e32 vcc, 0, v31
	s_nop 1
	v_cndmask_b32_e32 v31, 3, v31, vcc
; %bb.46:
	s_andn2_saveexec_b64 s[0:1], s[0:1]
	s_cbranch_execz .LBB6_52
; %bb.47:
	v_cmp_ngt_f64_e64 s[16:17], |v[16:17]|, |v[18:19]|
	s_and_saveexec_b64 s[18:19], s[16:17]
	s_xor_b64 s[16:17], exec, s[18:19]
	s_cbranch_execz .LBB6_49
; %bb.48:
	v_div_scale_f64 v[32:33], s[18:19], v[18:19], v[18:19], v[16:17]
	v_rcp_f64_e32 v[34:35], v[32:33]
	v_div_scale_f64 v[36:37], vcc, v[16:17], v[18:19], v[16:17]
	v_fma_f64 v[38:39], -v[32:33], v[34:35], 1.0
	v_fmac_f64_e32 v[34:35], v[34:35], v[38:39]
	v_fma_f64 v[38:39], -v[32:33], v[34:35], 1.0
	v_fmac_f64_e32 v[34:35], v[34:35], v[38:39]
	v_mul_f64 v[38:39], v[36:37], v[34:35]
	v_fma_f64 v[32:33], -v[32:33], v[38:39], v[36:37]
	v_div_fmas_f64 v[32:33], v[32:33], v[34:35], v[38:39]
	v_div_fixup_f64 v[32:33], v[32:33], v[18:19], v[16:17]
	v_fmac_f64_e32 v[18:19], v[16:17], v[32:33]
	v_div_scale_f64 v[16:17], s[18:19], v[18:19], v[18:19], 1.0
	v_rcp_f64_e32 v[34:35], v[16:17]
	s_nop 0
	v_fma_f64 v[36:37], -v[16:17], v[34:35], 1.0
	v_fmac_f64_e32 v[34:35], v[34:35], v[36:37]
	v_fma_f64 v[36:37], -v[16:17], v[34:35], 1.0
	v_fmac_f64_e32 v[34:35], v[34:35], v[36:37]
	v_div_scale_f64 v[36:37], vcc, 1.0, v[18:19], 1.0
	v_mul_f64 v[38:39], v[36:37], v[34:35]
	v_fma_f64 v[16:17], -v[16:17], v[38:39], v[36:37]
	s_nop 1
	v_div_fmas_f64 v[16:17], v[16:17], v[34:35], v[38:39]
	v_div_fixup_f64 v[18:19], v[16:17], v[18:19], 1.0
	v_mul_f64 v[16:17], v[32:33], v[18:19]
	v_xor_b32_e32 v19, 0x80000000, v19
.LBB6_49:
	s_andn2_saveexec_b64 s[16:17], s[16:17]
	s_cbranch_execz .LBB6_51
; %bb.50:
	v_div_scale_f64 v[32:33], s[18:19], v[16:17], v[16:17], v[18:19]
	v_rcp_f64_e32 v[34:35], v[32:33]
	v_div_scale_f64 v[36:37], vcc, v[18:19], v[16:17], v[18:19]
	v_fma_f64 v[38:39], -v[32:33], v[34:35], 1.0
	v_fmac_f64_e32 v[34:35], v[34:35], v[38:39]
	v_fma_f64 v[38:39], -v[32:33], v[34:35], 1.0
	v_fmac_f64_e32 v[34:35], v[34:35], v[38:39]
	v_mul_f64 v[38:39], v[36:37], v[34:35]
	v_fma_f64 v[32:33], -v[32:33], v[38:39], v[36:37]
	v_div_fmas_f64 v[32:33], v[32:33], v[34:35], v[38:39]
	v_div_fixup_f64 v[32:33], v[32:33], v[16:17], v[18:19]
	v_fmac_f64_e32 v[16:17], v[18:19], v[32:33]
	v_div_scale_f64 v[18:19], s[18:19], v[16:17], v[16:17], 1.0
	v_rcp_f64_e32 v[34:35], v[18:19]
	s_nop 0
	v_fma_f64 v[36:37], -v[18:19], v[34:35], 1.0
	v_fmac_f64_e32 v[34:35], v[34:35], v[36:37]
	v_fma_f64 v[36:37], -v[18:19], v[34:35], 1.0
	v_fmac_f64_e32 v[34:35], v[34:35], v[36:37]
	v_div_scale_f64 v[36:37], vcc, 1.0, v[16:17], 1.0
	v_mul_f64 v[38:39], v[36:37], v[34:35]
	v_fma_f64 v[18:19], -v[18:19], v[38:39], v[36:37]
	s_nop 1
	v_div_fmas_f64 v[18:19], v[18:19], v[34:35], v[38:39]
	v_div_fixup_f64 v[16:17], v[18:19], v[16:17], 1.0
	v_mul_f64 v[18:19], v[32:33], -v[16:17]
.LBB6_51:
	s_or_b64 exec, exec, s[16:17]
.LBB6_52:
	s_or_b64 exec, exec, s[0:1]
	v_cmp_ne_u32_e32 vcc, v27, v26
	s_and_saveexec_b64 s[0:1], vcc
	s_xor_b64 s[0:1], exec, s[0:1]
	s_cbranch_execz .LBB6_58
; %bb.53:
	v_cmp_eq_u32_e32 vcc, 2, v27
	s_and_saveexec_b64 s[16:17], vcc
	s_cbranch_execz .LBB6_57
; %bb.54:
	v_cmp_ne_u32_e32 vcc, 2, v26
	s_xor_b64 s[18:19], s[14:15], -1
	s_and_b64 s[22:23], s[18:19], vcc
	s_and_saveexec_b64 s[18:19], s[22:23]
	s_cbranch_execz .LBB6_56
; %bb.55:
	v_ashrrev_i32_e32 v27, 31, v26
	v_lshl_add_u64 v[32:33], v[26:27], 2, v[24:25]
	global_load_dword v27, v[32:33], off
	global_load_dword v30, v[24:25], off offset:8
	s_waitcnt vmcnt(1)
	global_store_dword v[24:25], v27, off offset:8
	s_waitcnt vmcnt(1)
	global_store_dword v[32:33], v30, off
.LBB6_56:
	s_or_b64 exec, exec, s[18:19]
	v_mov_b32_e32 v27, v26
	v_mov_b32_e32 v30, v26
.LBB6_57:
	s_or_b64 exec, exec, s[16:17]
.LBB6_58:
	s_andn2_saveexec_b64 s[0:1], s[0:1]
; %bb.59:
	v_mov_b32_e32 v27, 2
	ds_write2_b64 v28, v[12:13], v[14:15] offset0:6 offset1:7
; %bb.60:
	s_or_b64 exec, exec, s[0:1]
	v_cmp_lt_i32_e32 vcc, 2, v27
	s_waitcnt lgkmcnt(0)
	s_barrier
	s_and_saveexec_b64 s[0:1], vcc
	s_cbranch_execz .LBB6_62
; %bb.61:
	ds_read2_b64 v[32:35], v28 offset0:6 offset1:7
	v_mul_f64 v[36:37], v[16:17], v[6:7]
	v_mul_f64 v[6:7], v[18:19], v[6:7]
	v_fmac_f64_e32 v[36:37], v[18:19], v[4:5]
	v_fma_f64 v[4:5], v[16:17], v[4:5], -v[6:7]
	s_waitcnt lgkmcnt(0)
	v_mul_f64 v[6:7], v[34:35], v[36:37]
	v_mul_f64 v[16:17], v[32:33], v[36:37]
	v_fma_f64 v[6:7], v[32:33], v[4:5], -v[6:7]
	v_fmac_f64_e32 v[16:17], v[34:35], v[4:5]
	v_add_f64 v[12:13], v[12:13], -v[6:7]
	v_add_f64 v[14:15], v[14:15], -v[16:17]
	v_mov_b64_e32 v[6:7], v[36:37]
.LBB6_62:
	s_or_b64 exec, exec, s[0:1]
	v_lshl_add_u32 v16, v27, 4, v28
	s_barrier
	ds_write2_b64 v16, v[12:13], v[14:15] offset1:1
	s_waitcnt lgkmcnt(0)
	s_barrier
	ds_read2_b64 v[16:19], v28 offset0:6 offset1:7
	s_mov_b32 s16, 4
	s_cmp_lt_i32 s20, 5
	v_mov_b32_e32 v26, 3
	s_cbranch_scc1 .LBB6_65
; %bb.63:
	v_add3_u32 v28, v29, 0, 64
	v_mov_b32_e32 v26, 3
.LBB6_64:                               ; =>This Inner Loop Header: Depth=1
	ds_read2_b64 v[32:35], v28 offset1:1
	s_waitcnt lgkmcnt(1)
	v_xor_b32_e32 v29, 0x80000000, v17
	v_xor_b32_e32 v39, 0x80000000, v19
	v_cmp_gt_f64_e32 vcc, 0, v[18:19]
	v_cmp_gt_f64_e64 s[0:1], 0, v[16:17]
	v_mov_b32_e32 v36, v16
	v_mov_b32_e32 v38, v18
	v_cndmask_b32_e64 v37, v17, v29, s[0:1]
	v_cndmask_b32_e32 v39, v19, v39, vcc
	s_waitcnt lgkmcnt(0)
	v_xor_b32_e32 v29, 0x80000000, v33
	v_xor_b32_e32 v41, 0x80000000, v35
	v_cmp_gt_f64_e32 vcc, 0, v[34:35]
	v_cmp_gt_f64_e64 s[0:1], 0, v[32:33]
	v_add_f64 v[36:37], v[36:37], v[38:39]
	v_mov_b32_e32 v38, v32
	v_mov_b32_e32 v40, v34
	v_cndmask_b32_e64 v39, v33, v29, s[0:1]
	v_cndmask_b32_e32 v41, v35, v41, vcc
	v_add_f64 v[38:39], v[38:39], v[40:41]
	v_mov_b32_e32 v42, s16
	s_add_i32 s16, s16, 1
	v_cmp_lt_f64_e32 vcc, v[36:37], v[38:39]
	v_add_u32_e32 v28, 16, v28
	s_cmp_lg_u32 s20, s16
	v_cndmask_b32_e32 v17, v17, v33, vcc
	v_cndmask_b32_e32 v16, v16, v32, vcc
	;; [unrolled: 1-line block ×5, first 2 shown]
	s_cbranch_scc1 .LBB6_64
.LBB6_65:
	s_waitcnt lgkmcnt(0)
	v_cmp_eq_f64_e32 vcc, 0, v[16:17]
	v_cmp_eq_f64_e64 s[0:1], 0, v[18:19]
	s_and_b64 s[0:1], vcc, s[0:1]
	s_and_saveexec_b64 s[16:17], s[0:1]
	s_xor_b64 s[0:1], exec, s[16:17]
; %bb.66:
	v_cmp_ne_u32_e32 vcc, 0, v31
	s_nop 1
	v_cndmask_b32_e32 v31, 4, v31, vcc
; %bb.67:
	s_andn2_saveexec_b64 s[0:1], s[0:1]
	s_cbranch_execz .LBB6_73
; %bb.68:
	v_cmp_ngt_f64_e64 s[16:17], |v[16:17]|, |v[18:19]|
	s_and_saveexec_b64 s[18:19], s[16:17]
	s_xor_b64 s[16:17], exec, s[18:19]
	s_cbranch_execz .LBB6_70
; %bb.69:
	v_div_scale_f64 v[28:29], s[18:19], v[18:19], v[18:19], v[16:17]
	v_rcp_f64_e32 v[32:33], v[28:29]
	v_div_scale_f64 v[34:35], vcc, v[16:17], v[18:19], v[16:17]
	v_fma_f64 v[36:37], -v[28:29], v[32:33], 1.0
	v_fmac_f64_e32 v[32:33], v[32:33], v[36:37]
	v_fma_f64 v[36:37], -v[28:29], v[32:33], 1.0
	v_fmac_f64_e32 v[32:33], v[32:33], v[36:37]
	v_mul_f64 v[36:37], v[34:35], v[32:33]
	v_fma_f64 v[28:29], -v[28:29], v[36:37], v[34:35]
	v_div_fmas_f64 v[28:29], v[28:29], v[32:33], v[36:37]
	v_div_fixup_f64 v[28:29], v[28:29], v[18:19], v[16:17]
	v_fmac_f64_e32 v[18:19], v[16:17], v[28:29]
	v_div_scale_f64 v[16:17], s[18:19], v[18:19], v[18:19], 1.0
	v_rcp_f64_e32 v[32:33], v[16:17]
	s_nop 0
	v_fma_f64 v[34:35], -v[16:17], v[32:33], 1.0
	v_fmac_f64_e32 v[32:33], v[32:33], v[34:35]
	v_fma_f64 v[34:35], -v[16:17], v[32:33], 1.0
	v_fmac_f64_e32 v[32:33], v[32:33], v[34:35]
	v_div_scale_f64 v[34:35], vcc, 1.0, v[18:19], 1.0
	v_mul_f64 v[36:37], v[34:35], v[32:33]
	v_fma_f64 v[16:17], -v[16:17], v[36:37], v[34:35]
	s_nop 1
	v_div_fmas_f64 v[16:17], v[16:17], v[32:33], v[36:37]
	v_div_fixup_f64 v[18:19], v[16:17], v[18:19], 1.0
	v_mul_f64 v[16:17], v[28:29], v[18:19]
	v_xor_b32_e32 v19, 0x80000000, v19
.LBB6_70:
	s_andn2_saveexec_b64 s[16:17], s[16:17]
	s_cbranch_execz .LBB6_72
; %bb.71:
	v_div_scale_f64 v[28:29], s[18:19], v[16:17], v[16:17], v[18:19]
	v_rcp_f64_e32 v[32:33], v[28:29]
	v_div_scale_f64 v[34:35], vcc, v[18:19], v[16:17], v[18:19]
	v_fma_f64 v[36:37], -v[28:29], v[32:33], 1.0
	v_fmac_f64_e32 v[32:33], v[32:33], v[36:37]
	v_fma_f64 v[36:37], -v[28:29], v[32:33], 1.0
	v_fmac_f64_e32 v[32:33], v[32:33], v[36:37]
	v_mul_f64 v[36:37], v[34:35], v[32:33]
	v_fma_f64 v[28:29], -v[28:29], v[36:37], v[34:35]
	v_div_fmas_f64 v[28:29], v[28:29], v[32:33], v[36:37]
	v_div_fixup_f64 v[28:29], v[28:29], v[16:17], v[18:19]
	v_fmac_f64_e32 v[16:17], v[18:19], v[28:29]
	v_div_scale_f64 v[18:19], s[18:19], v[16:17], v[16:17], 1.0
	v_rcp_f64_e32 v[32:33], v[18:19]
	s_nop 0
	v_fma_f64 v[34:35], -v[18:19], v[32:33], 1.0
	v_fmac_f64_e32 v[32:33], v[32:33], v[34:35]
	v_fma_f64 v[34:35], -v[18:19], v[32:33], 1.0
	v_fmac_f64_e32 v[32:33], v[32:33], v[34:35]
	v_div_scale_f64 v[34:35], vcc, 1.0, v[16:17], 1.0
	v_mul_f64 v[36:37], v[34:35], v[32:33]
	v_fma_f64 v[18:19], -v[18:19], v[36:37], v[34:35]
	s_nop 1
	v_div_fmas_f64 v[18:19], v[18:19], v[32:33], v[36:37]
	v_div_fixup_f64 v[16:17], v[18:19], v[16:17], 1.0
	v_mul_f64 v[18:19], v[28:29], -v[16:17]
.LBB6_72:
	s_or_b64 exec, exec, s[16:17]
.LBB6_73:
	s_or_b64 exec, exec, s[0:1]
	v_cmp_ne_u32_e32 vcc, v27, v26
	v_mov_b32_e32 v28, 3
	s_and_saveexec_b64 s[0:1], vcc
	s_cbranch_execz .LBB6_79
; %bb.74:
	v_cmp_eq_u32_e32 vcc, 3, v27
	s_and_saveexec_b64 s[16:17], vcc
	s_cbranch_execz .LBB6_78
; %bb.75:
	v_cmp_ne_u32_e32 vcc, 3, v26
	s_xor_b64 s[14:15], s[14:15], -1
	s_and_b64 s[18:19], s[14:15], vcc
	s_and_saveexec_b64 s[14:15], s[18:19]
	s_cbranch_execz .LBB6_77
; %bb.76:
	v_ashrrev_i32_e32 v27, 31, v26
	v_lshl_add_u64 v[28:29], v[26:27], 2, v[24:25]
	global_load_dword v27, v[28:29], off
	global_load_dword v30, v[24:25], off offset:12
	s_waitcnt vmcnt(1)
	global_store_dword v[24:25], v27, off offset:12
	s_waitcnt vmcnt(1)
	global_store_dword v[28:29], v30, off
.LBB6_77:
	s_or_b64 exec, exec, s[14:15]
	v_mov_b32_e32 v27, v26
	v_mov_b32_e32 v30, v26
.LBB6_78:
	s_or_b64 exec, exec, s[16:17]
	v_mov_b32_e32 v28, v27
.LBB6_79:
	s_or_b64 exec, exec, s[0:1]
	v_cmp_gt_i32_e32 vcc, 4, v28
	v_ashrrev_i32_e32 v29, 31, v28
	s_barrier
	s_barrier
	s_and_saveexec_b64 s[0:1], vcc
	s_cbranch_execz .LBB6_81
; %bb.80:
	v_mov_b32_e32 v24, s6
	v_mov_b32_e32 v25, s7
	v_mul_lo_u32 v32, s11, v22
	v_mul_lo_u32 v33, s10, v23
	v_mad_u64_u32 v[26:27], s[6:7], s10, v22, 0
	v_add3_u32 v27, v27, v33, v32
	v_lshl_add_u64 v[24:25], v[26:27], 2, v[24:25]
	v_lshl_add_u64 v[24:25], s[8:9], 2, v[24:25]
	;; [unrolled: 1-line block ×3, first 2 shown]
	v_add3_u32 v26, v30, s13, 1
	global_store_dword v[24:25], v26, off
.LBB6_81:
	s_or_b64 exec, exec, s[0:1]
	v_cmp_eq_u32_e32 vcc, 0, v28
	s_and_saveexec_b64 s[6:7], vcc
	s_cbranch_execz .LBB6_84
; %bb.82:
	v_mov_b32_e32 v24, s4
	v_mov_b32_e32 v25, s5
	v_lshl_add_u64 v[22:23], v[22:23], 2, v[24:25]
	global_load_dword v24, v[22:23], off
	v_cmp_ne_u32_e64 s[0:1], 0, v31
	s_waitcnt vmcnt(0)
	v_cmp_eq_u32_e32 vcc, 0, v24
	s_and_b64 s[0:1], vcc, s[0:1]
	s_and_b64 exec, exec, s[0:1]
	s_cbranch_execz .LBB6_84
; %bb.83:
	v_add_u32_e32 v24, s13, v31
	global_store_dword v[22:23], v24, off
.LBB6_84:
	s_or_b64 exec, exec, s[6:7]
	v_mul_f64 v[22:23], v[18:19], v[14:15]
	v_fma_f64 v[22:23], v[16:17], v[12:13], -v[22:23]
	v_mul_f64 v[16:17], v[16:17], v[14:15]
	v_fmac_f64_e32 v[16:17], v[18:19], v[12:13]
	v_cmp_lt_i32_e32 vcc, 3, v28
	s_nop 1
	v_cndmask_b32_e32 v15, v15, v17, vcc
	v_cndmask_b32_e32 v14, v14, v16, vcc
	v_lshl_add_u64 v[16:17], v[28:29], 4, v[20:21]
	global_store_dwordx4 v[16:17], v[0:3], off
	v_cndmask_b32_e32 v13, v13, v23, vcc
	v_cndmask_b32_e32 v12, v12, v22, vcc
	v_lshl_add_u64 v[0:1], s[2:3], 4, v[16:17]
	global_store_dwordx4 v[0:1], v[8:11], off
	v_add_u32_e32 v0, s12, v28
	v_ashrrev_i32_e32 v1, 31, v0
	v_lshl_add_u64 v[2:3], v[0:1], 4, v[20:21]
	v_add_u32_e32 v0, s2, v0
	v_ashrrev_i32_e32 v1, 31, v0
	v_lshl_add_u64 v[0:1], v[0:1], 4, v[20:21]
	global_store_dwordx4 v[2:3], v[4:7], off
	global_store_dwordx4 v[0:1], v[12:15], off
.LBB6_85:
	s_endpgm
	.section	.rodata,"a",@progbits
	.p2align	6, 0x0
	.amdhsa_kernel _ZN9rocsolver6v33100L18getf2_small_kernelILi4E19rocblas_complex_numIdEiiPS3_EEvT1_T3_lS5_lPS5_llPT2_S5_S5_S7_l
		.amdhsa_group_segment_fixed_size 0
		.amdhsa_private_segment_fixed_size 0
		.amdhsa_kernarg_size 352
		.amdhsa_user_sgpr_count 2
		.amdhsa_user_sgpr_dispatch_ptr 0
		.amdhsa_user_sgpr_queue_ptr 0
		.amdhsa_user_sgpr_kernarg_segment_ptr 1
		.amdhsa_user_sgpr_dispatch_id 0
		.amdhsa_user_sgpr_kernarg_preload_length 0
		.amdhsa_user_sgpr_kernarg_preload_offset 0
		.amdhsa_user_sgpr_private_segment_size 0
		.amdhsa_uses_dynamic_stack 0
		.amdhsa_enable_private_segment 0
		.amdhsa_system_sgpr_workgroup_id_x 1
		.amdhsa_system_sgpr_workgroup_id_y 1
		.amdhsa_system_sgpr_workgroup_id_z 0
		.amdhsa_system_sgpr_workgroup_info 0
		.amdhsa_system_vgpr_workitem_id 1
		.amdhsa_next_free_vgpr 45
		.amdhsa_next_free_sgpr 24
		.amdhsa_accum_offset 48
		.amdhsa_reserve_vcc 1
		.amdhsa_float_round_mode_32 0
		.amdhsa_float_round_mode_16_64 0
		.amdhsa_float_denorm_mode_32 3
		.amdhsa_float_denorm_mode_16_64 3
		.amdhsa_dx10_clamp 1
		.amdhsa_ieee_mode 1
		.amdhsa_fp16_overflow 0
		.amdhsa_tg_split 0
		.amdhsa_exception_fp_ieee_invalid_op 0
		.amdhsa_exception_fp_denorm_src 0
		.amdhsa_exception_fp_ieee_div_zero 0
		.amdhsa_exception_fp_ieee_overflow 0
		.amdhsa_exception_fp_ieee_underflow 0
		.amdhsa_exception_fp_ieee_inexact 0
		.amdhsa_exception_int_div_zero 0
	.end_amdhsa_kernel
	.section	.text._ZN9rocsolver6v33100L18getf2_small_kernelILi4E19rocblas_complex_numIdEiiPS3_EEvT1_T3_lS5_lPS5_llPT2_S5_S5_S7_l,"axG",@progbits,_ZN9rocsolver6v33100L18getf2_small_kernelILi4E19rocblas_complex_numIdEiiPS3_EEvT1_T3_lS5_lPS5_llPT2_S5_S5_S7_l,comdat
.Lfunc_end6:
	.size	_ZN9rocsolver6v33100L18getf2_small_kernelILi4E19rocblas_complex_numIdEiiPS3_EEvT1_T3_lS5_lPS5_llPT2_S5_S5_S7_l, .Lfunc_end6-_ZN9rocsolver6v33100L18getf2_small_kernelILi4E19rocblas_complex_numIdEiiPS3_EEvT1_T3_lS5_lPS5_llPT2_S5_S5_S7_l
                                        ; -- End function
	.set _ZN9rocsolver6v33100L18getf2_small_kernelILi4E19rocblas_complex_numIdEiiPS3_EEvT1_T3_lS5_lPS5_llPT2_S5_S5_S7_l.num_vgpr, 45
	.set _ZN9rocsolver6v33100L18getf2_small_kernelILi4E19rocblas_complex_numIdEiiPS3_EEvT1_T3_lS5_lPS5_llPT2_S5_S5_S7_l.num_agpr, 0
	.set _ZN9rocsolver6v33100L18getf2_small_kernelILi4E19rocblas_complex_numIdEiiPS3_EEvT1_T3_lS5_lPS5_llPT2_S5_S5_S7_l.numbered_sgpr, 24
	.set _ZN9rocsolver6v33100L18getf2_small_kernelILi4E19rocblas_complex_numIdEiiPS3_EEvT1_T3_lS5_lPS5_llPT2_S5_S5_S7_l.num_named_barrier, 0
	.set _ZN9rocsolver6v33100L18getf2_small_kernelILi4E19rocblas_complex_numIdEiiPS3_EEvT1_T3_lS5_lPS5_llPT2_S5_S5_S7_l.private_seg_size, 0
	.set _ZN9rocsolver6v33100L18getf2_small_kernelILi4E19rocblas_complex_numIdEiiPS3_EEvT1_T3_lS5_lPS5_llPT2_S5_S5_S7_l.uses_vcc, 1
	.set _ZN9rocsolver6v33100L18getf2_small_kernelILi4E19rocblas_complex_numIdEiiPS3_EEvT1_T3_lS5_lPS5_llPT2_S5_S5_S7_l.uses_flat_scratch, 0
	.set _ZN9rocsolver6v33100L18getf2_small_kernelILi4E19rocblas_complex_numIdEiiPS3_EEvT1_T3_lS5_lPS5_llPT2_S5_S5_S7_l.has_dyn_sized_stack, 0
	.set _ZN9rocsolver6v33100L18getf2_small_kernelILi4E19rocblas_complex_numIdEiiPS3_EEvT1_T3_lS5_lPS5_llPT2_S5_S5_S7_l.has_recursion, 0
	.set _ZN9rocsolver6v33100L18getf2_small_kernelILi4E19rocblas_complex_numIdEiiPS3_EEvT1_T3_lS5_lPS5_llPT2_S5_S5_S7_l.has_indirect_call, 0
	.section	.AMDGPU.csdata,"",@progbits
; Kernel info:
; codeLenInByte = 4432
; TotalNumSgprs: 30
; NumVgprs: 45
; NumAgprs: 0
; TotalNumVgprs: 45
; ScratchSize: 0
; MemoryBound: 0
; FloatMode: 240
; IeeeMode: 1
; LDSByteSize: 0 bytes/workgroup (compile time only)
; SGPRBlocks: 3
; VGPRBlocks: 5
; NumSGPRsForWavesPerEU: 30
; NumVGPRsForWavesPerEU: 45
; AccumOffset: 48
; Occupancy: 8
; WaveLimiterHint : 0
; COMPUTE_PGM_RSRC2:SCRATCH_EN: 0
; COMPUTE_PGM_RSRC2:USER_SGPR: 2
; COMPUTE_PGM_RSRC2:TRAP_HANDLER: 0
; COMPUTE_PGM_RSRC2:TGID_X_EN: 1
; COMPUTE_PGM_RSRC2:TGID_Y_EN: 1
; COMPUTE_PGM_RSRC2:TGID_Z_EN: 0
; COMPUTE_PGM_RSRC2:TIDIG_COMP_CNT: 1
; COMPUTE_PGM_RSRC3_GFX90A:ACCUM_OFFSET: 11
; COMPUTE_PGM_RSRC3_GFX90A:TG_SPLIT: 0
	.section	.text._ZN9rocsolver6v33100L23getf2_npvt_small_kernelILi4E19rocblas_complex_numIdEiiPS3_EEvT1_T3_lS5_lPT2_S5_S5_,"axG",@progbits,_ZN9rocsolver6v33100L23getf2_npvt_small_kernelILi4E19rocblas_complex_numIdEiiPS3_EEvT1_T3_lS5_lPT2_S5_S5_,comdat
	.globl	_ZN9rocsolver6v33100L23getf2_npvt_small_kernelILi4E19rocblas_complex_numIdEiiPS3_EEvT1_T3_lS5_lPT2_S5_S5_ ; -- Begin function _ZN9rocsolver6v33100L23getf2_npvt_small_kernelILi4E19rocblas_complex_numIdEiiPS3_EEvT1_T3_lS5_lPT2_S5_S5_
	.p2align	8
	.type	_ZN9rocsolver6v33100L23getf2_npvt_small_kernelILi4E19rocblas_complex_numIdEiiPS3_EEvT1_T3_lS5_lPT2_S5_S5_,@function
_ZN9rocsolver6v33100L23getf2_npvt_small_kernelILi4E19rocblas_complex_numIdEiiPS3_EEvT1_T3_lS5_lPT2_S5_S5_: ; @_ZN9rocsolver6v33100L23getf2_npvt_small_kernelILi4E19rocblas_complex_numIdEiiPS3_EEvT1_T3_lS5_lPT2_S5_S5_
; %bb.0:
	s_load_dword s2, s[0:1], 0x44
	s_load_dwordx2 s[14:15], s[0:1], 0x30
	v_bfe_u32 v16, v0, 10, 10
	s_waitcnt lgkmcnt(0)
	s_lshr_b32 s2, s2, 16
	s_mul_i32 s3, s3, s2
	v_add_u32_e32 v38, s3, v16
	v_cmp_gt_i32_e32 vcc, s14, v38
	s_and_saveexec_b64 s[4:5], vcc
	s_cbranch_execz .LBB7_39
; %bb.1:
	s_load_dwordx4 s[8:11], s[0:1], 0x8
	s_load_dword s12, s[0:1], 0x18
	s_load_dwordx4 s[4:7], s[0:1], 0x20
	v_ashrrev_i32_e32 v39, 31, v38
	v_and_b32_e32 v42, 0x3ff, v0
	s_waitcnt lgkmcnt(0)
	v_mov_b32_e32 v2, s8
	v_mov_b32_e32 v3, s9
	v_mul_lo_u32 v4, s5, v38
	v_mul_lo_u32 v5, s4, v39
	v_mad_u64_u32 v[0:1], s[0:1], s4, v38, 0
	v_add3_u32 v1, v1, v5, v4
	s_add_i32 s0, s12, s12
	v_lshl_add_u64 v[0:1], v[0:1], 4, v[2:3]
	v_add_u32_e32 v10, s0, v42
	v_lshl_add_u64 v[8:9], s[10:11], 4, v[0:1]
	v_ashrrev_i32_e32 v11, 31, v10
	v_lshlrev_b32_e32 v0, 4, v42
	v_mov_b32_e32 v1, 0
	v_lshl_add_u64 v[36:37], v[10:11], 4, v[8:9]
	v_add_u32_e32 v10, s12, v10
	s_ashr_i32 s13, s12, 31
	v_lshl_add_u64 v[32:33], v[8:9], 0, v[0:1]
	v_ashrrev_i32_e32 v11, 31, v10
	v_lshl_add_u64 v[34:35], s[12:13], 4, v[32:33]
	global_load_dwordx4 v[4:7], v[32:33], off
	global_load_dwordx4 v[0:3], v[34:35], off
	v_lshl_add_u64 v[40:41], v[10:11], 4, v[8:9]
	global_load_dwordx4 v[8:11], v[36:37], off
	global_load_dwordx4 v[12:15], v[40:41], off
	s_lshl_b32 s0, s2, 6
	v_lshlrev_b32_e32 v17, 6, v16
	s_add_i32 s0, s0, 0
	v_lshl_add_u32 v43, v16, 4, s0
	v_cmp_ne_u32_e64 s[2:3], 0, v42
	v_cmp_eq_u32_e64 s[0:1], 0, v42
	v_add_u32_e32 v44, 0, v17
	s_and_saveexec_b64 s[8:9], s[0:1]
	s_cbranch_execz .LBB7_8
; %bb.2:
	s_waitcnt vmcnt(3)
	ds_write2_b64 v43, v[4:5], v[6:7] offset1:1
	s_waitcnt vmcnt(2)
	ds_write2_b64 v44, v[0:1], v[2:3] offset0:2 offset1:3
	s_waitcnt vmcnt(1)
	ds_write2_b64 v44, v[8:9], v[10:11] offset0:4 offset1:5
	;; [unrolled: 2-line block ×3, first 2 shown]
	ds_read2_b64 v[16:19], v43 offset1:1
	s_waitcnt lgkmcnt(0)
	v_cmp_neq_f64_e32 vcc, 0, v[16:17]
	v_cmp_neq_f64_e64 s[4:5], 0, v[18:19]
	s_or_b64 s[4:5], vcc, s[4:5]
	s_and_b64 exec, exec, s[4:5]
	s_cbranch_execz .LBB7_8
; %bb.3:
	v_cmp_ngt_f64_e64 s[4:5], |v[16:17]|, |v[18:19]|
                                        ; implicit-def: $vgpr20_vgpr21
	s_and_saveexec_b64 s[10:11], s[4:5]
	s_xor_b64 s[4:5], exec, s[10:11]
                                        ; implicit-def: $vgpr22_vgpr23
	s_cbranch_execz .LBB7_5
; %bb.4:
	v_div_scale_f64 v[20:21], s[10:11], v[18:19], v[18:19], v[16:17]
	v_rcp_f64_e32 v[22:23], v[20:21]
	v_div_scale_f64 v[24:25], vcc, v[16:17], v[18:19], v[16:17]
	v_fma_f64 v[26:27], -v[20:21], v[22:23], 1.0
	v_fmac_f64_e32 v[22:23], v[22:23], v[26:27]
	v_fma_f64 v[26:27], -v[20:21], v[22:23], 1.0
	v_fmac_f64_e32 v[22:23], v[22:23], v[26:27]
	v_mul_f64 v[26:27], v[24:25], v[22:23]
	v_fma_f64 v[20:21], -v[20:21], v[26:27], v[24:25]
	v_div_fmas_f64 v[20:21], v[20:21], v[22:23], v[26:27]
	v_div_fixup_f64 v[20:21], v[20:21], v[18:19], v[16:17]
	v_fmac_f64_e32 v[18:19], v[16:17], v[20:21]
	v_div_scale_f64 v[16:17], s[10:11], v[18:19], v[18:19], 1.0
	v_rcp_f64_e32 v[22:23], v[16:17]
	s_nop 0
	v_fma_f64 v[24:25], -v[16:17], v[22:23], 1.0
	v_fmac_f64_e32 v[22:23], v[22:23], v[24:25]
	v_fma_f64 v[24:25], -v[16:17], v[22:23], 1.0
	v_fmac_f64_e32 v[22:23], v[22:23], v[24:25]
	v_div_scale_f64 v[24:25], vcc, 1.0, v[18:19], 1.0
	v_mul_f64 v[26:27], v[24:25], v[22:23]
	v_fma_f64 v[16:17], -v[16:17], v[26:27], v[24:25]
	s_nop 1
	v_div_fmas_f64 v[16:17], v[16:17], v[22:23], v[26:27]
	v_div_fixup_f64 v[22:23], v[16:17], v[18:19], 1.0
	v_mul_f64 v[20:21], v[20:21], v[22:23]
	v_xor_b32_e32 v23, 0x80000000, v23
                                        ; implicit-def: $vgpr16_vgpr17
.LBB7_5:
	s_andn2_saveexec_b64 s[4:5], s[4:5]
	s_cbranch_execz .LBB7_7
; %bb.6:
	v_div_scale_f64 v[20:21], s[10:11], v[16:17], v[16:17], v[18:19]
	v_rcp_f64_e32 v[22:23], v[20:21]
	v_div_scale_f64 v[24:25], vcc, v[18:19], v[16:17], v[18:19]
	v_fma_f64 v[26:27], -v[20:21], v[22:23], 1.0
	v_fmac_f64_e32 v[22:23], v[22:23], v[26:27]
	v_fma_f64 v[26:27], -v[20:21], v[22:23], 1.0
	v_fmac_f64_e32 v[22:23], v[22:23], v[26:27]
	v_mul_f64 v[26:27], v[24:25], v[22:23]
	v_fma_f64 v[20:21], -v[20:21], v[26:27], v[24:25]
	v_div_fmas_f64 v[20:21], v[20:21], v[22:23], v[26:27]
	v_div_fixup_f64 v[22:23], v[20:21], v[16:17], v[18:19]
	v_fmac_f64_e32 v[16:17], v[18:19], v[22:23]
	v_div_scale_f64 v[18:19], s[10:11], v[16:17], v[16:17], 1.0
	v_rcp_f64_e32 v[20:21], v[18:19]
	s_nop 0
	v_fma_f64 v[24:25], -v[18:19], v[20:21], 1.0
	v_fmac_f64_e32 v[20:21], v[20:21], v[24:25]
	v_fma_f64 v[24:25], -v[18:19], v[20:21], 1.0
	v_fmac_f64_e32 v[20:21], v[20:21], v[24:25]
	v_div_scale_f64 v[24:25], vcc, 1.0, v[16:17], 1.0
	v_mul_f64 v[26:27], v[24:25], v[20:21]
	v_fma_f64 v[18:19], -v[18:19], v[26:27], v[24:25]
	s_nop 1
	v_div_fmas_f64 v[18:19], v[18:19], v[20:21], v[26:27]
	v_div_fixup_f64 v[20:21], v[18:19], v[16:17], 1.0
	v_mul_f64 v[22:23], v[22:23], -v[20:21]
.LBB7_7:
	s_or_b64 exec, exec, s[4:5]
	ds_write2_b64 v43, v[20:21], v[22:23] offset1:1
.LBB7_8:
	s_or_b64 exec, exec, s[8:9]
	s_waitcnt lgkmcnt(0)
	s_barrier
	ds_read2_b64 v[16:19], v43 offset1:1
	s_and_saveexec_b64 s[4:5], s[2:3]
	s_cbranch_execz .LBB7_10
; %bb.9:
	ds_read2_b64 v[20:23], v44 offset0:2 offset1:3
	ds_read2_b64 v[24:27], v44 offset0:4 offset1:5
	s_waitcnt vmcnt(3) lgkmcnt(2)
	v_mul_f64 v[28:29], v[16:17], v[6:7]
	v_fmac_f64_e32 v[28:29], v[18:19], v[4:5]
	v_mul_f64 v[6:7], v[18:19], v[6:7]
	v_fma_f64 v[4:5], v[16:17], v[4:5], -v[6:7]
	s_waitcnt lgkmcnt(1)
	v_mul_f64 v[6:7], v[22:23], v[28:29]
	v_fma_f64 v[6:7], v[20:21], v[4:5], -v[6:7]
	v_mul_f64 v[20:21], v[20:21], v[28:29]
	v_fmac_f64_e32 v[20:21], v[22:23], v[4:5]
	s_waitcnt vmcnt(2)
	v_add_f64 v[2:3], v[2:3], -v[20:21]
	ds_read2_b64 v[20:23], v44 offset0:6 offset1:7
	v_add_f64 v[0:1], v[0:1], -v[6:7]
	s_waitcnt lgkmcnt(1)
	v_mul_f64 v[6:7], v[26:27], v[28:29]
	v_fma_f64 v[6:7], v[24:25], v[4:5], -v[6:7]
	s_waitcnt vmcnt(1)
	v_add_f64 v[8:9], v[8:9], -v[6:7]
	s_waitcnt lgkmcnt(0)
	v_mul_f64 v[6:7], v[22:23], v[28:29]
	v_mul_f64 v[24:25], v[24:25], v[28:29]
	v_fma_f64 v[6:7], v[20:21], v[4:5], -v[6:7]
	v_mul_f64 v[20:21], v[20:21], v[28:29]
	v_fmac_f64_e32 v[24:25], v[26:27], v[4:5]
	v_fmac_f64_e32 v[20:21], v[22:23], v[4:5]
	v_add_f64 v[10:11], v[10:11], -v[24:25]
	s_waitcnt vmcnt(0)
	v_add_f64 v[12:13], v[12:13], -v[6:7]
	v_add_f64 v[14:15], v[14:15], -v[20:21]
	v_mov_b64_e32 v[6:7], v[28:29]
.LBB7_10:
	s_or_b64 exec, exec, s[4:5]
	v_cmp_eq_u32_e32 vcc, 1, v42
	s_waitcnt lgkmcnt(0)
	s_barrier
	s_and_saveexec_b64 s[4:5], vcc
	s_cbranch_execz .LBB7_17
; %bb.11:
	s_waitcnt vmcnt(2)
	ds_write2_b64 v43, v[0:1], v[2:3] offset1:1
	s_waitcnt vmcnt(1)
	ds_write2_b64 v44, v[8:9], v[10:11] offset0:4 offset1:5
	s_waitcnt vmcnt(0)
	ds_write2_b64 v44, v[12:13], v[14:15] offset0:6 offset1:7
	ds_read2_b64 v[20:23], v43 offset1:1
	s_waitcnt lgkmcnt(0)
	v_cmp_neq_f64_e32 vcc, 0, v[20:21]
	v_cmp_neq_f64_e64 s[2:3], 0, v[22:23]
	s_or_b64 s[2:3], vcc, s[2:3]
	s_and_b64 exec, exec, s[2:3]
	s_cbranch_execz .LBB7_17
; %bb.12:
	v_cmp_ngt_f64_e64 s[2:3], |v[20:21]|, |v[22:23]|
                                        ; implicit-def: $vgpr24_vgpr25
	s_and_saveexec_b64 s[8:9], s[2:3]
	s_xor_b64 s[2:3], exec, s[8:9]
                                        ; implicit-def: $vgpr26_vgpr27
	s_cbranch_execz .LBB7_14
; %bb.13:
	v_div_scale_f64 v[24:25], s[8:9], v[22:23], v[22:23], v[20:21]
	v_rcp_f64_e32 v[26:27], v[24:25]
	v_div_scale_f64 v[28:29], vcc, v[20:21], v[22:23], v[20:21]
	v_fma_f64 v[30:31], -v[24:25], v[26:27], 1.0
	v_fmac_f64_e32 v[26:27], v[26:27], v[30:31]
	v_fma_f64 v[30:31], -v[24:25], v[26:27], 1.0
	v_fmac_f64_e32 v[26:27], v[26:27], v[30:31]
	v_mul_f64 v[30:31], v[28:29], v[26:27]
	v_fma_f64 v[24:25], -v[24:25], v[30:31], v[28:29]
	v_div_fmas_f64 v[24:25], v[24:25], v[26:27], v[30:31]
	v_div_fixup_f64 v[24:25], v[24:25], v[22:23], v[20:21]
	v_fmac_f64_e32 v[22:23], v[20:21], v[24:25]
	v_div_scale_f64 v[20:21], s[8:9], v[22:23], v[22:23], 1.0
	v_rcp_f64_e32 v[26:27], v[20:21]
	s_nop 0
	v_fma_f64 v[28:29], -v[20:21], v[26:27], 1.0
	v_fmac_f64_e32 v[26:27], v[26:27], v[28:29]
	v_fma_f64 v[28:29], -v[20:21], v[26:27], 1.0
	v_fmac_f64_e32 v[26:27], v[26:27], v[28:29]
	v_div_scale_f64 v[28:29], vcc, 1.0, v[22:23], 1.0
	v_mul_f64 v[30:31], v[28:29], v[26:27]
	v_fma_f64 v[20:21], -v[20:21], v[30:31], v[28:29]
	s_nop 1
	v_div_fmas_f64 v[20:21], v[20:21], v[26:27], v[30:31]
	v_div_fixup_f64 v[26:27], v[20:21], v[22:23], 1.0
	v_mul_f64 v[24:25], v[24:25], v[26:27]
	v_xor_b32_e32 v27, 0x80000000, v27
                                        ; implicit-def: $vgpr20_vgpr21
.LBB7_14:
	s_andn2_saveexec_b64 s[2:3], s[2:3]
	s_cbranch_execz .LBB7_16
; %bb.15:
	v_div_scale_f64 v[24:25], s[8:9], v[20:21], v[20:21], v[22:23]
	v_rcp_f64_e32 v[26:27], v[24:25]
	v_div_scale_f64 v[28:29], vcc, v[22:23], v[20:21], v[22:23]
	v_fma_f64 v[30:31], -v[24:25], v[26:27], 1.0
	v_fmac_f64_e32 v[26:27], v[26:27], v[30:31]
	v_fma_f64 v[30:31], -v[24:25], v[26:27], 1.0
	v_fmac_f64_e32 v[26:27], v[26:27], v[30:31]
	v_mul_f64 v[30:31], v[28:29], v[26:27]
	v_fma_f64 v[24:25], -v[24:25], v[30:31], v[28:29]
	v_div_fmas_f64 v[24:25], v[24:25], v[26:27], v[30:31]
	v_div_fixup_f64 v[26:27], v[24:25], v[20:21], v[22:23]
	v_fmac_f64_e32 v[20:21], v[22:23], v[26:27]
	v_div_scale_f64 v[22:23], s[8:9], v[20:21], v[20:21], 1.0
	v_rcp_f64_e32 v[24:25], v[22:23]
	s_nop 0
	v_fma_f64 v[28:29], -v[22:23], v[24:25], 1.0
	v_fmac_f64_e32 v[24:25], v[24:25], v[28:29]
	v_fma_f64 v[28:29], -v[22:23], v[24:25], 1.0
	v_fmac_f64_e32 v[24:25], v[24:25], v[28:29]
	v_div_scale_f64 v[28:29], vcc, 1.0, v[20:21], 1.0
	v_mul_f64 v[30:31], v[28:29], v[24:25]
	v_fma_f64 v[22:23], -v[22:23], v[30:31], v[28:29]
	s_nop 1
	v_div_fmas_f64 v[22:23], v[22:23], v[24:25], v[30:31]
	v_div_fixup_f64 v[24:25], v[22:23], v[20:21], 1.0
	v_mul_f64 v[26:27], v[26:27], -v[24:25]
.LBB7_16:
	s_or_b64 exec, exec, s[2:3]
	ds_write2_b64 v43, v[24:25], v[26:27] offset1:1
.LBB7_17:
	s_or_b64 exec, exec, s[4:5]
	s_waitcnt lgkmcnt(0)
	s_barrier
	ds_read2_b64 v[20:23], v43 offset1:1
	v_cmp_lt_u32_e32 vcc, 1, v42
	s_and_saveexec_b64 s[2:3], vcc
	s_cbranch_execz .LBB7_19
; %bb.18:
	ds_read2_b64 v[24:27], v44 offset0:4 offset1:5
	ds_read2_b64 v[28:31], v44 offset0:6 offset1:7
	s_waitcnt vmcnt(2) lgkmcnt(2)
	v_mul_f64 v[46:47], v[20:21], v[2:3]
	v_fmac_f64_e32 v[46:47], v[22:23], v[0:1]
	v_mul_f64 v[2:3], v[22:23], v[2:3]
	v_fma_f64 v[0:1], v[20:21], v[0:1], -v[2:3]
	s_waitcnt lgkmcnt(1)
	v_mul_f64 v[2:3], v[26:27], v[46:47]
	v_fma_f64 v[2:3], v[24:25], v[0:1], -v[2:3]
	v_mul_f64 v[24:25], v[24:25], v[46:47]
	v_fmac_f64_e32 v[24:25], v[26:27], v[0:1]
	s_waitcnt vmcnt(1)
	v_add_f64 v[8:9], v[8:9], -v[2:3]
	v_add_f64 v[10:11], v[10:11], -v[24:25]
	s_waitcnt lgkmcnt(0)
	v_mul_f64 v[2:3], v[30:31], v[46:47]
	v_mul_f64 v[24:25], v[28:29], v[46:47]
	v_fma_f64 v[2:3], v[28:29], v[0:1], -v[2:3]
	v_fmac_f64_e32 v[24:25], v[30:31], v[0:1]
	s_waitcnt vmcnt(0)
	v_add_f64 v[12:13], v[12:13], -v[2:3]
	v_add_f64 v[14:15], v[14:15], -v[24:25]
	v_mov_b64_e32 v[2:3], v[46:47]
.LBB7_19:
	s_or_b64 exec, exec, s[2:3]
	v_cmp_eq_u32_e32 vcc, 2, v42
	s_waitcnt lgkmcnt(0)
	s_barrier
	s_and_saveexec_b64 s[4:5], vcc
	s_cbranch_execz .LBB7_26
; %bb.20:
	s_waitcnt vmcnt(1)
	ds_write2_b64 v43, v[8:9], v[10:11] offset1:1
	s_waitcnt vmcnt(0)
	ds_write2_b64 v44, v[12:13], v[14:15] offset0:6 offset1:7
	ds_read2_b64 v[24:27], v43 offset1:1
	s_waitcnt lgkmcnt(0)
	v_cmp_neq_f64_e32 vcc, 0, v[24:25]
	v_cmp_neq_f64_e64 s[2:3], 0, v[26:27]
	s_or_b64 s[2:3], vcc, s[2:3]
	s_and_b64 exec, exec, s[2:3]
	s_cbranch_execz .LBB7_26
; %bb.21:
	v_cmp_ngt_f64_e64 s[2:3], |v[24:25]|, |v[26:27]|
                                        ; implicit-def: $vgpr28_vgpr29
	s_and_saveexec_b64 s[8:9], s[2:3]
	s_xor_b64 s[2:3], exec, s[8:9]
                                        ; implicit-def: $vgpr30_vgpr31
	s_cbranch_execz .LBB7_23
; %bb.22:
	v_div_scale_f64 v[28:29], s[8:9], v[26:27], v[26:27], v[24:25]
	v_rcp_f64_e32 v[30:31], v[28:29]
	v_div_scale_f64 v[46:47], vcc, v[24:25], v[26:27], v[24:25]
	v_fma_f64 v[48:49], -v[28:29], v[30:31], 1.0
	v_fmac_f64_e32 v[30:31], v[30:31], v[48:49]
	v_fma_f64 v[48:49], -v[28:29], v[30:31], 1.0
	v_fmac_f64_e32 v[30:31], v[30:31], v[48:49]
	v_mul_f64 v[48:49], v[46:47], v[30:31]
	v_fma_f64 v[28:29], -v[28:29], v[48:49], v[46:47]
	v_div_fmas_f64 v[28:29], v[28:29], v[30:31], v[48:49]
	v_div_fixup_f64 v[28:29], v[28:29], v[26:27], v[24:25]
	v_fmac_f64_e32 v[26:27], v[24:25], v[28:29]
	v_div_scale_f64 v[24:25], s[8:9], v[26:27], v[26:27], 1.0
	v_rcp_f64_e32 v[30:31], v[24:25]
	s_nop 0
	v_fma_f64 v[46:47], -v[24:25], v[30:31], 1.0
	v_fmac_f64_e32 v[30:31], v[30:31], v[46:47]
	v_fma_f64 v[46:47], -v[24:25], v[30:31], 1.0
	v_fmac_f64_e32 v[30:31], v[30:31], v[46:47]
	v_div_scale_f64 v[46:47], vcc, 1.0, v[26:27], 1.0
	v_mul_f64 v[48:49], v[46:47], v[30:31]
	v_fma_f64 v[24:25], -v[24:25], v[48:49], v[46:47]
	s_nop 1
	v_div_fmas_f64 v[24:25], v[24:25], v[30:31], v[48:49]
	v_div_fixup_f64 v[30:31], v[24:25], v[26:27], 1.0
	v_mul_f64 v[28:29], v[28:29], v[30:31]
	v_xor_b32_e32 v31, 0x80000000, v31
                                        ; implicit-def: $vgpr24_vgpr25
.LBB7_23:
	s_andn2_saveexec_b64 s[2:3], s[2:3]
	s_cbranch_execz .LBB7_25
; %bb.24:
	v_div_scale_f64 v[28:29], s[8:9], v[24:25], v[24:25], v[26:27]
	v_rcp_f64_e32 v[30:31], v[28:29]
	v_div_scale_f64 v[46:47], vcc, v[26:27], v[24:25], v[26:27]
	v_fma_f64 v[48:49], -v[28:29], v[30:31], 1.0
	v_fmac_f64_e32 v[30:31], v[30:31], v[48:49]
	v_fma_f64 v[48:49], -v[28:29], v[30:31], 1.0
	v_fmac_f64_e32 v[30:31], v[30:31], v[48:49]
	v_mul_f64 v[48:49], v[46:47], v[30:31]
	v_fma_f64 v[28:29], -v[28:29], v[48:49], v[46:47]
	v_div_fmas_f64 v[28:29], v[28:29], v[30:31], v[48:49]
	v_div_fixup_f64 v[30:31], v[28:29], v[24:25], v[26:27]
	v_fmac_f64_e32 v[24:25], v[26:27], v[30:31]
	v_div_scale_f64 v[26:27], s[8:9], v[24:25], v[24:25], 1.0
	v_rcp_f64_e32 v[28:29], v[26:27]
	s_nop 0
	v_fma_f64 v[46:47], -v[26:27], v[28:29], 1.0
	v_fmac_f64_e32 v[28:29], v[28:29], v[46:47]
	v_fma_f64 v[46:47], -v[26:27], v[28:29], 1.0
	v_fmac_f64_e32 v[28:29], v[28:29], v[46:47]
	v_div_scale_f64 v[46:47], vcc, 1.0, v[24:25], 1.0
	v_mul_f64 v[48:49], v[46:47], v[28:29]
	v_fma_f64 v[26:27], -v[26:27], v[48:49], v[46:47]
	s_nop 1
	v_div_fmas_f64 v[26:27], v[26:27], v[28:29], v[48:49]
	v_div_fixup_f64 v[28:29], v[26:27], v[24:25], 1.0
	v_mul_f64 v[30:31], v[30:31], -v[28:29]
.LBB7_25:
	s_or_b64 exec, exec, s[2:3]
	ds_write2_b64 v43, v[28:29], v[30:31] offset1:1
.LBB7_26:
	s_or_b64 exec, exec, s[4:5]
	s_waitcnt lgkmcnt(0)
	s_barrier
	ds_read2_b64 v[24:27], v43 offset1:1
	v_cmp_lt_u32_e32 vcc, 2, v42
	s_and_saveexec_b64 s[2:3], vcc
	s_cbranch_execz .LBB7_28
; %bb.27:
	ds_read2_b64 v[28:31], v44 offset0:6 offset1:7
	s_waitcnt vmcnt(1) lgkmcnt(1)
	v_mul_f64 v[44:45], v[24:25], v[10:11]
	v_mul_f64 v[10:11], v[26:27], v[10:11]
	v_fmac_f64_e32 v[44:45], v[26:27], v[8:9]
	v_fma_f64 v[8:9], v[24:25], v[8:9], -v[10:11]
	s_waitcnt lgkmcnt(0)
	v_mul_f64 v[10:11], v[30:31], v[44:45]
	v_fma_f64 v[10:11], v[28:29], v[8:9], -v[10:11]
	v_mul_f64 v[28:29], v[28:29], v[44:45]
	v_fmac_f64_e32 v[28:29], v[30:31], v[8:9]
	s_waitcnt vmcnt(0)
	v_add_f64 v[12:13], v[12:13], -v[10:11]
	v_add_f64 v[14:15], v[14:15], -v[28:29]
	v_mov_b64_e32 v[10:11], v[44:45]
.LBB7_28:
	s_or_b64 exec, exec, s[2:3]
	v_cmp_eq_u32_e32 vcc, 3, v42
	s_waitcnt lgkmcnt(0)
	s_barrier
	s_and_saveexec_b64 s[4:5], vcc
	s_cbranch_execz .LBB7_35
; %bb.29:
	s_waitcnt vmcnt(0)
	v_cmp_neq_f64_e32 vcc, 0, v[12:13]
	v_cmp_neq_f64_e64 s[2:3], 0, v[14:15]
	s_or_b64 s[2:3], vcc, s[2:3]
	ds_write2_b64 v43, v[12:13], v[14:15] offset1:1
	s_and_b64 exec, exec, s[2:3]
	s_cbranch_execz .LBB7_35
; %bb.30:
	v_cmp_ngt_f64_e64 s[2:3], |v[12:13]|, |v[14:15]|
                                        ; implicit-def: $vgpr28_vgpr29
	s_and_saveexec_b64 s[8:9], s[2:3]
	s_xor_b64 s[2:3], exec, s[8:9]
                                        ; implicit-def: $vgpr30_vgpr31
	s_cbranch_execz .LBB7_32
; %bb.31:
	v_div_scale_f64 v[28:29], s[8:9], v[14:15], v[14:15], v[12:13]
	v_rcp_f64_e32 v[30:31], v[28:29]
	v_div_scale_f64 v[44:45], vcc, v[12:13], v[14:15], v[12:13]
	v_fma_f64 v[46:47], -v[28:29], v[30:31], 1.0
	v_fmac_f64_e32 v[30:31], v[30:31], v[46:47]
	v_fma_f64 v[46:47], -v[28:29], v[30:31], 1.0
	v_fmac_f64_e32 v[30:31], v[30:31], v[46:47]
	v_mul_f64 v[46:47], v[44:45], v[30:31]
	v_fma_f64 v[28:29], -v[28:29], v[46:47], v[44:45]
	v_div_fmas_f64 v[28:29], v[28:29], v[30:31], v[46:47]
	v_div_fixup_f64 v[28:29], v[28:29], v[14:15], v[12:13]
	v_fma_f64 v[30:31], v[12:13], v[28:29], v[14:15]
	v_div_scale_f64 v[44:45], s[8:9], v[30:31], v[30:31], 1.0
	v_rcp_f64_e32 v[46:47], v[44:45]
	s_nop 0
	v_fma_f64 v[48:49], -v[44:45], v[46:47], 1.0
	v_fmac_f64_e32 v[46:47], v[46:47], v[48:49]
	v_fma_f64 v[48:49], -v[44:45], v[46:47], 1.0
	v_fmac_f64_e32 v[46:47], v[46:47], v[48:49]
	v_div_scale_f64 v[48:49], vcc, 1.0, v[30:31], 1.0
	v_mul_f64 v[50:51], v[48:49], v[46:47]
	v_fma_f64 v[44:45], -v[44:45], v[50:51], v[48:49]
	s_nop 1
	v_div_fmas_f64 v[44:45], v[44:45], v[46:47], v[50:51]
	v_div_fixup_f64 v[30:31], v[44:45], v[30:31], 1.0
	v_mul_f64 v[28:29], v[28:29], v[30:31]
	v_xor_b32_e32 v31, 0x80000000, v31
.LBB7_32:
	s_andn2_saveexec_b64 s[2:3], s[2:3]
	s_cbranch_execz .LBB7_34
; %bb.33:
	v_div_scale_f64 v[28:29], s[8:9], v[12:13], v[12:13], v[14:15]
	v_rcp_f64_e32 v[30:31], v[28:29]
	v_div_scale_f64 v[44:45], vcc, v[14:15], v[12:13], v[14:15]
	v_fma_f64 v[46:47], -v[28:29], v[30:31], 1.0
	v_fmac_f64_e32 v[30:31], v[30:31], v[46:47]
	v_fma_f64 v[46:47], -v[28:29], v[30:31], 1.0
	v_fmac_f64_e32 v[30:31], v[30:31], v[46:47]
	v_mul_f64 v[46:47], v[44:45], v[30:31]
	v_fma_f64 v[28:29], -v[28:29], v[46:47], v[44:45]
	v_div_fmas_f64 v[28:29], v[28:29], v[30:31], v[46:47]
	v_div_fixup_f64 v[30:31], v[28:29], v[12:13], v[14:15]
	v_fma_f64 v[28:29], v[14:15], v[30:31], v[12:13]
	v_div_scale_f64 v[44:45], s[8:9], v[28:29], v[28:29], 1.0
	v_rcp_f64_e32 v[46:47], v[44:45]
	s_nop 0
	v_fma_f64 v[48:49], -v[44:45], v[46:47], 1.0
	v_fmac_f64_e32 v[46:47], v[46:47], v[48:49]
	v_fma_f64 v[48:49], -v[44:45], v[46:47], 1.0
	v_fmac_f64_e32 v[46:47], v[46:47], v[48:49]
	v_div_scale_f64 v[48:49], vcc, 1.0, v[28:29], 1.0
	v_mul_f64 v[50:51], v[48:49], v[46:47]
	v_fma_f64 v[44:45], -v[44:45], v[50:51], v[48:49]
	s_nop 1
	v_div_fmas_f64 v[44:45], v[44:45], v[46:47], v[50:51]
	v_div_fixup_f64 v[28:29], v[44:45], v[28:29], 1.0
	v_mul_f64 v[30:31], v[30:31], -v[28:29]
.LBB7_34:
	s_or_b64 exec, exec, s[2:3]
	ds_write2_b64 v43, v[28:29], v[30:31] offset1:1
.LBB7_35:
	s_or_b64 exec, exec, s[4:5]
	s_waitcnt lgkmcnt(0)
	s_barrier
	ds_read2_b64 v[28:31], v43 offset1:1
	s_waitcnt lgkmcnt(0)
	s_barrier
	s_and_saveexec_b64 s[16:17], s[0:1]
	s_cbranch_execz .LBB7_38
; %bb.36:
	v_mov_b32_e32 v44, s6
	v_mov_b32_e32 v45, s7
	v_lshl_add_u64 v[38:39], v[38:39], 2, v[44:45]
	global_load_dword v43, v[38:39], off
	v_cmp_eq_f64_e32 vcc, 0, v[16:17]
	v_cmp_eq_f64_e64 s[0:1], 0, v[18:19]
	v_cmp_neq_f64_e64 s[2:3], 0, v[20:21]
	v_cmp_neq_f64_e64 s[4:5], 0, v[22:23]
	s_and_b64 s[0:1], vcc, s[0:1]
	s_or_b64 s[2:3], s[2:3], s[4:5]
	v_cndmask_b32_e64 v16, 0, 1, s[0:1]
	s_or_b64 vcc, s[2:3], s[0:1]
	v_cmp_eq_f64_e64 s[6:7], 0, v[24:25]
	v_cmp_eq_f64_e64 s[8:9], 0, v[26:27]
	v_cndmask_b32_e32 v16, 2, v16, vcc
	s_and_b64 s[4:5], s[6:7], s[8:9]
	v_cmp_eq_u32_e32 vcc, 0, v16
	s_and_b64 s[0:1], s[4:5], vcc
	v_cmp_eq_f64_e64 s[10:11], 0, v[28:29]
	v_cmp_eq_f64_e64 s[12:13], 0, v[30:31]
	v_cndmask_b32_e64 v16, v16, 3, s[0:1]
	s_and_b64 s[6:7], s[10:11], s[12:13]
	v_cmp_eq_u32_e32 vcc, 0, v16
	s_and_b64 s[0:1], s[6:7], vcc
	v_cndmask_b32_e64 v16, v16, 4, s[0:1]
	v_cmp_ne_u32_e64 s[0:1], 0, v16
	s_waitcnt vmcnt(0)
	v_cmp_eq_u32_e32 vcc, 0, v43
	s_and_b64 s[0:1], vcc, s[0:1]
	s_and_b64 exec, exec, s[0:1]
	s_cbranch_execz .LBB7_38
; %bb.37:
	v_add_u32_e32 v16, s15, v16
	global_store_dword v[38:39], v16, off
.LBB7_38:
	s_or_b64 exec, exec, s[16:17]
	s_waitcnt vmcnt(0)
	v_mul_f64 v[16:17], v[30:31], v[14:15]
	v_mul_f64 v[18:19], v[28:29], v[14:15]
	v_fma_f64 v[16:17], v[28:29], v[12:13], -v[16:17]
	v_fmac_f64_e32 v[18:19], v[30:31], v[12:13]
	v_cmp_lt_u32_e32 vcc, 3, v42
	s_nop 1
	v_cndmask_b32_e32 v15, v15, v19, vcc
	v_cndmask_b32_e32 v14, v14, v18, vcc
	;; [unrolled: 1-line block ×4, first 2 shown]
	global_store_dwordx4 v[32:33], v[4:7], off
	global_store_dwordx4 v[34:35], v[0:3], off
	;; [unrolled: 1-line block ×4, first 2 shown]
.LBB7_39:
	s_endpgm
	.section	.rodata,"a",@progbits
	.p2align	6, 0x0
	.amdhsa_kernel _ZN9rocsolver6v33100L23getf2_npvt_small_kernelILi4E19rocblas_complex_numIdEiiPS3_EEvT1_T3_lS5_lPT2_S5_S5_
		.amdhsa_group_segment_fixed_size 0
		.amdhsa_private_segment_fixed_size 0
		.amdhsa_kernarg_size 312
		.amdhsa_user_sgpr_count 2
		.amdhsa_user_sgpr_dispatch_ptr 0
		.amdhsa_user_sgpr_queue_ptr 0
		.amdhsa_user_sgpr_kernarg_segment_ptr 1
		.amdhsa_user_sgpr_dispatch_id 0
		.amdhsa_user_sgpr_kernarg_preload_length 0
		.amdhsa_user_sgpr_kernarg_preload_offset 0
		.amdhsa_user_sgpr_private_segment_size 0
		.amdhsa_uses_dynamic_stack 0
		.amdhsa_enable_private_segment 0
		.amdhsa_system_sgpr_workgroup_id_x 1
		.amdhsa_system_sgpr_workgroup_id_y 1
		.amdhsa_system_sgpr_workgroup_id_z 0
		.amdhsa_system_sgpr_workgroup_info 0
		.amdhsa_system_vgpr_workitem_id 1
		.amdhsa_next_free_vgpr 52
		.amdhsa_next_free_sgpr 18
		.amdhsa_accum_offset 52
		.amdhsa_reserve_vcc 1
		.amdhsa_float_round_mode_32 0
		.amdhsa_float_round_mode_16_64 0
		.amdhsa_float_denorm_mode_32 3
		.amdhsa_float_denorm_mode_16_64 3
		.amdhsa_dx10_clamp 1
		.amdhsa_ieee_mode 1
		.amdhsa_fp16_overflow 0
		.amdhsa_tg_split 0
		.amdhsa_exception_fp_ieee_invalid_op 0
		.amdhsa_exception_fp_denorm_src 0
		.amdhsa_exception_fp_ieee_div_zero 0
		.amdhsa_exception_fp_ieee_overflow 0
		.amdhsa_exception_fp_ieee_underflow 0
		.amdhsa_exception_fp_ieee_inexact 0
		.amdhsa_exception_int_div_zero 0
	.end_amdhsa_kernel
	.section	.text._ZN9rocsolver6v33100L23getf2_npvt_small_kernelILi4E19rocblas_complex_numIdEiiPS3_EEvT1_T3_lS5_lPT2_S5_S5_,"axG",@progbits,_ZN9rocsolver6v33100L23getf2_npvt_small_kernelILi4E19rocblas_complex_numIdEiiPS3_EEvT1_T3_lS5_lPT2_S5_S5_,comdat
.Lfunc_end7:
	.size	_ZN9rocsolver6v33100L23getf2_npvt_small_kernelILi4E19rocblas_complex_numIdEiiPS3_EEvT1_T3_lS5_lPT2_S5_S5_, .Lfunc_end7-_ZN9rocsolver6v33100L23getf2_npvt_small_kernelILi4E19rocblas_complex_numIdEiiPS3_EEvT1_T3_lS5_lPT2_S5_S5_
                                        ; -- End function
	.set _ZN9rocsolver6v33100L23getf2_npvt_small_kernelILi4E19rocblas_complex_numIdEiiPS3_EEvT1_T3_lS5_lPT2_S5_S5_.num_vgpr, 52
	.set _ZN9rocsolver6v33100L23getf2_npvt_small_kernelILi4E19rocblas_complex_numIdEiiPS3_EEvT1_T3_lS5_lPT2_S5_S5_.num_agpr, 0
	.set _ZN9rocsolver6v33100L23getf2_npvt_small_kernelILi4E19rocblas_complex_numIdEiiPS3_EEvT1_T3_lS5_lPT2_S5_S5_.numbered_sgpr, 18
	.set _ZN9rocsolver6v33100L23getf2_npvt_small_kernelILi4E19rocblas_complex_numIdEiiPS3_EEvT1_T3_lS5_lPT2_S5_S5_.num_named_barrier, 0
	.set _ZN9rocsolver6v33100L23getf2_npvt_small_kernelILi4E19rocblas_complex_numIdEiiPS3_EEvT1_T3_lS5_lPT2_S5_S5_.private_seg_size, 0
	.set _ZN9rocsolver6v33100L23getf2_npvt_small_kernelILi4E19rocblas_complex_numIdEiiPS3_EEvT1_T3_lS5_lPT2_S5_S5_.uses_vcc, 1
	.set _ZN9rocsolver6v33100L23getf2_npvt_small_kernelILi4E19rocblas_complex_numIdEiiPS3_EEvT1_T3_lS5_lPT2_S5_S5_.uses_flat_scratch, 0
	.set _ZN9rocsolver6v33100L23getf2_npvt_small_kernelILi4E19rocblas_complex_numIdEiiPS3_EEvT1_T3_lS5_lPT2_S5_S5_.has_dyn_sized_stack, 0
	.set _ZN9rocsolver6v33100L23getf2_npvt_small_kernelILi4E19rocblas_complex_numIdEiiPS3_EEvT1_T3_lS5_lPT2_S5_S5_.has_recursion, 0
	.set _ZN9rocsolver6v33100L23getf2_npvt_small_kernelILi4E19rocblas_complex_numIdEiiPS3_EEvT1_T3_lS5_lPT2_S5_S5_.has_indirect_call, 0
	.section	.AMDGPU.csdata,"",@progbits
; Kernel info:
; codeLenInByte = 3072
; TotalNumSgprs: 24
; NumVgprs: 52
; NumAgprs: 0
; TotalNumVgprs: 52
; ScratchSize: 0
; MemoryBound: 0
; FloatMode: 240
; IeeeMode: 1
; LDSByteSize: 0 bytes/workgroup (compile time only)
; SGPRBlocks: 2
; VGPRBlocks: 6
; NumSGPRsForWavesPerEU: 24
; NumVGPRsForWavesPerEU: 52
; AccumOffset: 52
; Occupancy: 8
; WaveLimiterHint : 0
; COMPUTE_PGM_RSRC2:SCRATCH_EN: 0
; COMPUTE_PGM_RSRC2:USER_SGPR: 2
; COMPUTE_PGM_RSRC2:TRAP_HANDLER: 0
; COMPUTE_PGM_RSRC2:TGID_X_EN: 1
; COMPUTE_PGM_RSRC2:TGID_Y_EN: 1
; COMPUTE_PGM_RSRC2:TGID_Z_EN: 0
; COMPUTE_PGM_RSRC2:TIDIG_COMP_CNT: 1
; COMPUTE_PGM_RSRC3_GFX90A:ACCUM_OFFSET: 12
; COMPUTE_PGM_RSRC3_GFX90A:TG_SPLIT: 0
	.section	.text._ZN9rocsolver6v33100L18getf2_small_kernelILi5E19rocblas_complex_numIdEiiPS3_EEvT1_T3_lS5_lPS5_llPT2_S5_S5_S7_l,"axG",@progbits,_ZN9rocsolver6v33100L18getf2_small_kernelILi5E19rocblas_complex_numIdEiiPS3_EEvT1_T3_lS5_lPS5_llPT2_S5_S5_S7_l,comdat
	.globl	_ZN9rocsolver6v33100L18getf2_small_kernelILi5E19rocblas_complex_numIdEiiPS3_EEvT1_T3_lS5_lPS5_llPT2_S5_S5_S7_l ; -- Begin function _ZN9rocsolver6v33100L18getf2_small_kernelILi5E19rocblas_complex_numIdEiiPS3_EEvT1_T3_lS5_lPS5_llPT2_S5_S5_S7_l
	.p2align	8
	.type	_ZN9rocsolver6v33100L18getf2_small_kernelILi5E19rocblas_complex_numIdEiiPS3_EEvT1_T3_lS5_lPS5_llPT2_S5_S5_S7_l,@function
_ZN9rocsolver6v33100L18getf2_small_kernelILi5E19rocblas_complex_numIdEiiPS3_EEvT1_T3_lS5_lPS5_llPT2_S5_S5_S7_l: ; @_ZN9rocsolver6v33100L18getf2_small_kernelILi5E19rocblas_complex_numIdEiiPS3_EEvT1_T3_lS5_lPS5_llPT2_S5_S5_S7_l
; %bb.0:
	s_load_dword s2, s[0:1], 0x6c
	s_load_dwordx2 s[12:13], s[0:1], 0x48
	v_bfe_u32 v20, v0, 10, 10
	s_waitcnt lgkmcnt(0)
	s_lshr_b32 s2, s2, 16
	s_mul_i32 s3, s3, s2
	v_add_u32_e32 v26, s3, v20
	v_cmp_gt_i32_e32 vcc, s12, v26
	s_and_saveexec_b64 s[2:3], vcc
	s_cbranch_execz .LBB8_106
; %bb.1:
	s_load_dwordx4 s[4:7], s[0:1], 0x50
	v_ashrrev_i32_e32 v27, 31, v26
	v_mov_b64_e32 v[28:29], 0
	s_waitcnt lgkmcnt(0)
	s_cmp_eq_u64 s[4:5], 0
	s_cselect_b64 s[14:15], -1, 0
	s_and_b64 vcc, exec, s[14:15]
	s_cbranch_vccnz .LBB8_3
; %bb.2:
	v_mul_lo_u32 v1, s7, v26
	v_mul_lo_u32 v4, s6, v27
	v_mad_u64_u32 v[2:3], s[2:3], s6, v26, 0
	v_add3_u32 v3, v3, v4, v1
	v_lshl_add_u64 v[28:29], v[2:3], 2, s[4:5]
.LBB8_3:
	s_load_dwordx4 s[16:19], s[0:1], 0x8
	s_load_dwordx8 s[4:11], s[0:1], 0x20
	s_load_dword s2, s[0:1], 0x18
	v_and_b32_e32 v34, 0x3ff, v0
	v_lshlrev_b32_e32 v30, 4, v34
	s_waitcnt lgkmcnt(0)
	v_mov_b32_e32 v2, s16
	v_mul_lo_u32 v1, s5, v26
	v_mul_lo_u32 v6, s4, v27
	v_mad_u64_u32 v[4:5], s[4:5], s4, v26, 0
	v_mov_b32_e32 v3, s17
	v_add3_u32 v5, v5, v6, v1
	v_lshl_add_u64 v[2:3], v[4:5], 4, v[2:3]
	v_lshl_add_u64 v[24:25], s[18:19], 4, v[2:3]
	v_mov_b32_e32 v31, 0
	v_lshl_add_u64 v[0:1], v[24:25], 0, v[30:31]
	s_ashr_i32 s3, s2, 31
	s_add_i32 s12, s2, s2
	v_lshl_add_u64 v[2:3], s[2:3], 4, v[0:1]
	global_load_dwordx4 v[8:11], v[0:1], off
	global_load_dwordx4 v[4:7], v[2:3], off
	v_add_u32_e32 v0, s12, v34
	v_ashrrev_i32_e32 v1, 31, v0
	v_add_u32_e32 v18, s2, v0
	v_lshl_add_u64 v[16:17], v[0:1], 4, v[24:25]
	v_ashrrev_i32_e32 v19, 31, v18
	v_lshl_add_u64 v[22:23], v[18:19], 4, v[24:25]
	global_load_dwordx4 v[12:15], v[16:17], off
	global_load_dwordx4 v[0:3], v[22:23], off
	v_add_u32_e32 v16, s2, v18
	v_ashrrev_i32_e32 v17, 31, v16
	v_lshl_add_u64 v[16:17], v[16:17], 4, v[24:25]
	global_load_dwordx4 v[16:19], v[16:17], off
	s_load_dword s20, s[0:1], 0x0
	s_load_dwordx2 s[4:5], s[0:1], 0x40
	s_waitcnt lgkmcnt(0)
	s_max_i32 s0, s20, 5
	v_mul_lo_u32 v33, s0, v20
	v_lshl_add_u32 v32, v33, 4, 0
	v_add_u32_e32 v20, v32, v30
	s_cmp_lt_i32 s20, 2
	v_lshlrev_b32_e32 v33, 4, v33
	s_waitcnt vmcnt(4)
	ds_write2_b64 v20, v[8:9], v[10:11] offset1:1
	s_waitcnt lgkmcnt(0)
	s_barrier
	ds_read2_b64 v[20:23], v32 offset1:1
	s_cbranch_scc1 .LBB8_6
; %bb.4:
	v_add3_u32 v30, v33, 0, 16
	s_mov_b32 s16, 1
	v_mov_b32_e32 v31, 0
.LBB8_5:                                ; =>This Inner Loop Header: Depth=1
	ds_read2_b64 v[36:39], v30 offset1:1
	s_waitcnt lgkmcnt(1)
	v_xor_b32_e32 v35, 0x80000000, v21
	v_xor_b32_e32 v43, 0x80000000, v23
	v_cmp_gt_f64_e32 vcc, 0, v[22:23]
	v_cmp_gt_f64_e64 s[0:1], 0, v[20:21]
	v_mov_b32_e32 v40, v20
	v_mov_b32_e32 v42, v22
	v_cndmask_b32_e64 v41, v21, v35, s[0:1]
	v_cndmask_b32_e32 v43, v23, v43, vcc
	s_waitcnt lgkmcnt(0)
	v_xor_b32_e32 v35, 0x80000000, v37
	v_xor_b32_e32 v45, 0x80000000, v39
	v_cmp_gt_f64_e32 vcc, 0, v[38:39]
	v_cmp_gt_f64_e64 s[0:1], 0, v[36:37]
	v_add_f64 v[40:41], v[40:41], v[42:43]
	v_mov_b32_e32 v42, v36
	v_mov_b32_e32 v44, v38
	v_cndmask_b32_e64 v43, v37, v35, s[0:1]
	v_cndmask_b32_e32 v45, v39, v45, vcc
	v_add_f64 v[42:43], v[42:43], v[44:45]
	v_mov_b32_e32 v46, s16
	s_add_i32 s16, s16, 1
	v_cmp_lt_f64_e32 vcc, v[40:41], v[42:43]
	v_add_u32_e32 v30, 16, v30
	s_cmp_eq_u32 s20, s16
	v_cndmask_b32_e32 v21, v21, v37, vcc
	v_cndmask_b32_e32 v20, v20, v36, vcc
	;; [unrolled: 1-line block ×5, first 2 shown]
	s_cbranch_scc0 .LBB8_5
.LBB8_6:
	s_waitcnt lgkmcnt(0)
	v_cmp_neq_f64_e32 vcc, 0, v[20:21]
	v_cmp_neq_f64_e64 s[0:1], 0, v[22:23]
	s_or_b64 s[16:17], vcc, s[0:1]
	v_mov_b32_e32 v35, 1
	v_mov_b32_e32 v36, 1
	s_and_saveexec_b64 s[0:1], s[16:17]
	s_cbranch_execz .LBB8_12
; %bb.7:
	v_cmp_ngt_f64_e64 s[16:17], |v[20:21]|, |v[22:23]|
	s_and_saveexec_b64 s[18:19], s[16:17]
	s_xor_b64 s[16:17], exec, s[18:19]
	s_cbranch_execz .LBB8_9
; %bb.8:
	v_div_scale_f64 v[36:37], s[18:19], v[22:23], v[22:23], v[20:21]
	v_rcp_f64_e32 v[38:39], v[36:37]
	v_div_scale_f64 v[40:41], vcc, v[20:21], v[22:23], v[20:21]
	v_fma_f64 v[42:43], -v[36:37], v[38:39], 1.0
	v_fmac_f64_e32 v[38:39], v[38:39], v[42:43]
	v_fma_f64 v[42:43], -v[36:37], v[38:39], 1.0
	v_fmac_f64_e32 v[38:39], v[38:39], v[42:43]
	v_mul_f64 v[42:43], v[40:41], v[38:39]
	v_fma_f64 v[36:37], -v[36:37], v[42:43], v[40:41]
	v_div_fmas_f64 v[36:37], v[36:37], v[38:39], v[42:43]
	v_div_fixup_f64 v[36:37], v[36:37], v[22:23], v[20:21]
	v_fmac_f64_e32 v[22:23], v[20:21], v[36:37]
	v_div_scale_f64 v[20:21], s[18:19], v[22:23], v[22:23], 1.0
	v_rcp_f64_e32 v[38:39], v[20:21]
	s_nop 0
	v_fma_f64 v[40:41], -v[20:21], v[38:39], 1.0
	v_fmac_f64_e32 v[38:39], v[38:39], v[40:41]
	v_fma_f64 v[40:41], -v[20:21], v[38:39], 1.0
	v_fmac_f64_e32 v[38:39], v[38:39], v[40:41]
	v_div_scale_f64 v[40:41], vcc, 1.0, v[22:23], 1.0
	v_mul_f64 v[42:43], v[40:41], v[38:39]
	v_fma_f64 v[20:21], -v[20:21], v[42:43], v[40:41]
	s_nop 1
	v_div_fmas_f64 v[20:21], v[20:21], v[38:39], v[42:43]
	v_div_fixup_f64 v[22:23], v[20:21], v[22:23], 1.0
	v_mul_f64 v[20:21], v[36:37], v[22:23]
	v_xor_b32_e32 v23, 0x80000000, v23
.LBB8_9:
	s_andn2_saveexec_b64 s[16:17], s[16:17]
	s_cbranch_execz .LBB8_11
; %bb.10:
	v_div_scale_f64 v[36:37], s[18:19], v[20:21], v[20:21], v[22:23]
	v_rcp_f64_e32 v[38:39], v[36:37]
	v_div_scale_f64 v[40:41], vcc, v[22:23], v[20:21], v[22:23]
	v_fma_f64 v[42:43], -v[36:37], v[38:39], 1.0
	v_fmac_f64_e32 v[38:39], v[38:39], v[42:43]
	v_fma_f64 v[42:43], -v[36:37], v[38:39], 1.0
	v_fmac_f64_e32 v[38:39], v[38:39], v[42:43]
	v_mul_f64 v[42:43], v[40:41], v[38:39]
	v_fma_f64 v[36:37], -v[36:37], v[42:43], v[40:41]
	v_div_fmas_f64 v[36:37], v[36:37], v[38:39], v[42:43]
	v_div_fixup_f64 v[36:37], v[36:37], v[20:21], v[22:23]
	v_fmac_f64_e32 v[20:21], v[22:23], v[36:37]
	v_div_scale_f64 v[22:23], s[18:19], v[20:21], v[20:21], 1.0
	v_rcp_f64_e32 v[38:39], v[22:23]
	s_nop 0
	v_fma_f64 v[40:41], -v[22:23], v[38:39], 1.0
	v_fmac_f64_e32 v[38:39], v[38:39], v[40:41]
	v_fma_f64 v[40:41], -v[22:23], v[38:39], 1.0
	v_fmac_f64_e32 v[38:39], v[38:39], v[40:41]
	v_div_scale_f64 v[40:41], vcc, 1.0, v[20:21], 1.0
	v_mul_f64 v[42:43], v[40:41], v[38:39]
	v_fma_f64 v[22:23], -v[22:23], v[42:43], v[40:41]
	s_nop 1
	v_div_fmas_f64 v[22:23], v[22:23], v[38:39], v[42:43]
	v_div_fixup_f64 v[20:21], v[22:23], v[20:21], 1.0
	v_mul_f64 v[22:23], v[36:37], -v[20:21]
.LBB8_11:
	s_or_b64 exec, exec, s[16:17]
	v_mov_b32_e32 v36, 0
	v_mov_b32_e32 v35, 2
.LBB8_12:
	s_or_b64 exec, exec, s[0:1]
	v_cmp_ne_u32_e32 vcc, v34, v31
	s_and_saveexec_b64 s[0:1], vcc
	s_xor_b64 s[0:1], exec, s[0:1]
	s_cbranch_execz .LBB8_18
; %bb.13:
	v_cmp_eq_u32_e32 vcc, 0, v34
	s_and_saveexec_b64 s[16:17], vcc
	s_cbranch_execz .LBB8_17
; %bb.14:
	v_cmp_ne_u32_e32 vcc, 0, v31
	s_xor_b64 s[18:19], s[14:15], -1
	s_and_b64 s[22:23], s[18:19], vcc
	s_and_saveexec_b64 s[18:19], s[22:23]
	s_cbranch_execz .LBB8_16
; %bb.15:
	v_ashrrev_i32_e32 v39, 31, v31
	v_mov_b32_e32 v38, v31
	v_lshl_add_u64 v[38:39], v[38:39], 2, v[28:29]
	global_load_dword v30, v[38:39], off
	global_load_dword v34, v[28:29], off
	s_waitcnt vmcnt(1)
	global_store_dword v[28:29], v30, off
	s_waitcnt vmcnt(1)
	global_store_dword v[38:39], v34, off
.LBB8_16:
	s_or_b64 exec, exec, s[18:19]
	v_mov_b32_e32 v34, v31
.LBB8_17:
	s_or_b64 exec, exec, s[16:17]
.LBB8_18:
	s_or_saveexec_b64 s[0:1], s[0:1]
	v_mov_b32_e32 v31, v34
	s_xor_b64 exec, exec, s[0:1]
	s_cbranch_execz .LBB8_20
; %bb.19:
	v_mov_b32_e32 v31, 0
	s_waitcnt vmcnt(3)
	ds_write2_b64 v32, v[4:5], v[6:7] offset0:2 offset1:3
	s_waitcnt vmcnt(2)
	ds_write2_b64 v32, v[12:13], v[14:15] offset0:4 offset1:5
	;; [unrolled: 2-line block ×4, first 2 shown]
.LBB8_20:
	s_or_b64 exec, exec, s[0:1]
	v_cmp_lt_i32_e32 vcc, 0, v31
	s_waitcnt lgkmcnt(0)
	s_barrier
	s_and_saveexec_b64 s[0:1], vcc
	s_cbranch_execz .LBB8_22
; %bb.21:
	ds_read2_b64 v[38:41], v32 offset0:2 offset1:3
	v_mul_f64 v[42:43], v[20:21], v[10:11]
	v_mul_f64 v[10:11], v[22:23], v[10:11]
	v_fmac_f64_e32 v[42:43], v[22:23], v[8:9]
	v_fma_f64 v[8:9], v[20:21], v[8:9], -v[10:11]
	ds_read2_b64 v[20:23], v32 offset0:4 offset1:5
	s_waitcnt lgkmcnt(1)
	v_mul_f64 v[10:11], v[40:41], v[42:43]
	v_fma_f64 v[10:11], v[38:39], v[8:9], -v[10:11]
	v_mul_f64 v[38:39], v[38:39], v[42:43]
	v_fmac_f64_e32 v[38:39], v[40:41], v[8:9]
	s_waitcnt vmcnt(3)
	v_add_f64 v[4:5], v[4:5], -v[10:11]
	s_waitcnt lgkmcnt(0)
	v_mul_f64 v[10:11], v[22:23], v[42:43]
	v_add_f64 v[6:7], v[6:7], -v[38:39]
	v_fma_f64 v[10:11], v[20:21], v[8:9], -v[10:11]
	v_mul_f64 v[20:21], v[20:21], v[42:43]
	ds_read2_b64 v[38:41], v32 offset0:6 offset1:7
	v_fmac_f64_e32 v[20:21], v[22:23], v[8:9]
	s_waitcnt vmcnt(2)
	v_add_f64 v[14:15], v[14:15], -v[20:21]
	ds_read2_b64 v[20:23], v32 offset0:8 offset1:9
	v_add_f64 v[12:13], v[12:13], -v[10:11]
	s_waitcnt lgkmcnt(1)
	v_mul_f64 v[10:11], v[40:41], v[42:43]
	v_fma_f64 v[10:11], v[38:39], v[8:9], -v[10:11]
	s_waitcnt vmcnt(1)
	v_add_f64 v[0:1], v[0:1], -v[10:11]
	s_waitcnt lgkmcnt(0)
	v_mul_f64 v[10:11], v[22:23], v[42:43]
	v_mul_f64 v[38:39], v[38:39], v[42:43]
	v_fma_f64 v[10:11], v[20:21], v[8:9], -v[10:11]
	v_mul_f64 v[20:21], v[20:21], v[42:43]
	v_fmac_f64_e32 v[38:39], v[40:41], v[8:9]
	v_fmac_f64_e32 v[20:21], v[22:23], v[8:9]
	v_add_f64 v[2:3], v[2:3], -v[38:39]
	s_waitcnt vmcnt(0)
	v_add_f64 v[16:17], v[16:17], -v[10:11]
	v_add_f64 v[18:19], v[18:19], -v[20:21]
	v_mov_b64_e32 v[10:11], v[42:43]
.LBB8_22:
	s_or_b64 exec, exec, s[0:1]
	v_lshl_add_u32 v20, v31, 4, v32
	s_barrier
	s_waitcnt vmcnt(3)
	ds_write2_b64 v20, v[4:5], v[6:7] offset1:1
	s_waitcnt lgkmcnt(0)
	s_barrier
	ds_read2_b64 v[20:23], v32 offset0:2 offset1:3
	s_cmp_lt_i32 s20, 3
	v_mov_b32_e32 v30, 1
	s_cbranch_scc1 .LBB8_25
; %bb.23:
	v_add3_u32 v37, v33, 0, 32
	s_mov_b32 s16, 2
	v_mov_b32_e32 v30, 1
.LBB8_24:                               ; =>This Inner Loop Header: Depth=1
	ds_read2_b64 v[38:41], v37 offset1:1
	s_waitcnt lgkmcnt(1)
	v_xor_b32_e32 v43, 0x80000000, v21
	v_xor_b32_e32 v45, 0x80000000, v23
	v_cmp_gt_f64_e32 vcc, 0, v[22:23]
	v_cmp_gt_f64_e64 s[0:1], 0, v[20:21]
	v_mov_b32_e32 v42, v20
	v_mov_b32_e32 v44, v22
	v_cndmask_b32_e64 v43, v21, v43, s[0:1]
	v_cndmask_b32_e32 v45, v23, v45, vcc
	v_add_f64 v[42:43], v[42:43], v[44:45]
	s_waitcnt lgkmcnt(0)
	v_xor_b32_e32 v45, 0x80000000, v39
	v_xor_b32_e32 v47, 0x80000000, v41
	v_cmp_gt_f64_e32 vcc, 0, v[40:41]
	v_cmp_gt_f64_e64 s[0:1], 0, v[38:39]
	v_mov_b32_e32 v44, v38
	v_mov_b32_e32 v46, v40
	v_cndmask_b32_e64 v45, v39, v45, s[0:1]
	v_cndmask_b32_e32 v47, v41, v47, vcc
	v_add_f64 v[44:45], v[44:45], v[46:47]
	v_mov_b32_e32 v48, s16
	s_add_i32 s16, s16, 1
	v_cmp_lt_f64_e32 vcc, v[42:43], v[44:45]
	v_add_u32_e32 v37, 16, v37
	s_cmp_lg_u32 s20, s16
	v_cndmask_b32_e32 v21, v21, v39, vcc
	v_cndmask_b32_e32 v20, v20, v38, vcc
	;; [unrolled: 1-line block ×5, first 2 shown]
	s_cbranch_scc1 .LBB8_24
.LBB8_25:
	s_waitcnt lgkmcnt(0)
	v_cmp_neq_f64_e32 vcc, 0, v[20:21]
	v_cmp_neq_f64_e64 s[0:1], 0, v[22:23]
	s_or_b64 s[16:17], vcc, s[0:1]
	s_and_saveexec_b64 s[0:1], s[16:17]
	s_cbranch_execz .LBB8_31
; %bb.26:
	v_cmp_ngt_f64_e64 s[16:17], |v[20:21]|, |v[22:23]|
	s_and_saveexec_b64 s[18:19], s[16:17]
	s_xor_b64 s[16:17], exec, s[18:19]
	s_cbranch_execz .LBB8_28
; %bb.27:
	v_div_scale_f64 v[38:39], s[18:19], v[22:23], v[22:23], v[20:21]
	v_rcp_f64_e32 v[40:41], v[38:39]
	v_div_scale_f64 v[42:43], vcc, v[20:21], v[22:23], v[20:21]
	v_fma_f64 v[44:45], -v[38:39], v[40:41], 1.0
	v_fmac_f64_e32 v[40:41], v[40:41], v[44:45]
	v_fma_f64 v[44:45], -v[38:39], v[40:41], 1.0
	v_fmac_f64_e32 v[40:41], v[40:41], v[44:45]
	v_mul_f64 v[44:45], v[42:43], v[40:41]
	v_fma_f64 v[38:39], -v[38:39], v[44:45], v[42:43]
	v_div_fmas_f64 v[38:39], v[38:39], v[40:41], v[44:45]
	v_div_fixup_f64 v[38:39], v[38:39], v[22:23], v[20:21]
	v_fmac_f64_e32 v[22:23], v[20:21], v[38:39]
	v_div_scale_f64 v[20:21], s[18:19], v[22:23], v[22:23], 1.0
	v_rcp_f64_e32 v[40:41], v[20:21]
	s_nop 0
	v_fma_f64 v[42:43], -v[20:21], v[40:41], 1.0
	v_fmac_f64_e32 v[40:41], v[40:41], v[42:43]
	v_fma_f64 v[42:43], -v[20:21], v[40:41], 1.0
	v_fmac_f64_e32 v[40:41], v[40:41], v[42:43]
	v_div_scale_f64 v[42:43], vcc, 1.0, v[22:23], 1.0
	v_mul_f64 v[44:45], v[42:43], v[40:41]
	v_fma_f64 v[20:21], -v[20:21], v[44:45], v[42:43]
	s_nop 1
	v_div_fmas_f64 v[20:21], v[20:21], v[40:41], v[44:45]
	v_div_fixup_f64 v[22:23], v[20:21], v[22:23], 1.0
	v_mul_f64 v[20:21], v[38:39], v[22:23]
	v_xor_b32_e32 v23, 0x80000000, v23
.LBB8_28:
	s_andn2_saveexec_b64 s[16:17], s[16:17]
	s_cbranch_execz .LBB8_30
; %bb.29:
	v_div_scale_f64 v[38:39], s[18:19], v[20:21], v[20:21], v[22:23]
	v_rcp_f64_e32 v[40:41], v[38:39]
	v_div_scale_f64 v[42:43], vcc, v[22:23], v[20:21], v[22:23]
	v_fma_f64 v[44:45], -v[38:39], v[40:41], 1.0
	v_fmac_f64_e32 v[40:41], v[40:41], v[44:45]
	v_fma_f64 v[44:45], -v[38:39], v[40:41], 1.0
	v_fmac_f64_e32 v[40:41], v[40:41], v[44:45]
	v_mul_f64 v[44:45], v[42:43], v[40:41]
	v_fma_f64 v[38:39], -v[38:39], v[44:45], v[42:43]
	v_div_fmas_f64 v[38:39], v[38:39], v[40:41], v[44:45]
	v_div_fixup_f64 v[38:39], v[38:39], v[20:21], v[22:23]
	v_fmac_f64_e32 v[20:21], v[22:23], v[38:39]
	v_div_scale_f64 v[22:23], s[18:19], v[20:21], v[20:21], 1.0
	v_rcp_f64_e32 v[40:41], v[22:23]
	s_nop 0
	v_fma_f64 v[42:43], -v[22:23], v[40:41], 1.0
	v_fmac_f64_e32 v[40:41], v[40:41], v[42:43]
	v_fma_f64 v[42:43], -v[22:23], v[40:41], 1.0
	v_fmac_f64_e32 v[40:41], v[40:41], v[42:43]
	v_div_scale_f64 v[42:43], vcc, 1.0, v[20:21], 1.0
	v_mul_f64 v[44:45], v[42:43], v[40:41]
	v_fma_f64 v[22:23], -v[22:23], v[44:45], v[42:43]
	s_nop 1
	v_div_fmas_f64 v[22:23], v[22:23], v[40:41], v[44:45]
	v_div_fixup_f64 v[20:21], v[22:23], v[20:21], 1.0
	v_mul_f64 v[22:23], v[38:39], -v[20:21]
.LBB8_30:
	s_or_b64 exec, exec, s[16:17]
	v_mov_b32_e32 v35, v36
.LBB8_31:
	s_or_b64 exec, exec, s[0:1]
	v_cmp_ne_u32_e32 vcc, v31, v30
	s_and_saveexec_b64 s[0:1], vcc
	s_xor_b64 s[0:1], exec, s[0:1]
	s_cbranch_execz .LBB8_37
; %bb.32:
	v_cmp_eq_u32_e32 vcc, 1, v31
	s_and_saveexec_b64 s[16:17], vcc
	s_cbranch_execz .LBB8_36
; %bb.33:
	v_cmp_ne_u32_e32 vcc, 1, v30
	s_xor_b64 s[18:19], s[14:15], -1
	s_and_b64 s[22:23], s[18:19], vcc
	s_and_saveexec_b64 s[18:19], s[22:23]
	s_cbranch_execz .LBB8_35
; %bb.34:
	v_ashrrev_i32_e32 v31, 31, v30
	v_lshl_add_u64 v[36:37], v[30:31], 2, v[28:29]
	global_load_dword v31, v[36:37], off
	global_load_dword v34, v[28:29], off offset:4
	s_waitcnt vmcnt(1)
	global_store_dword v[28:29], v31, off offset:4
	s_waitcnt vmcnt(1)
	global_store_dword v[36:37], v34, off
.LBB8_35:
	s_or_b64 exec, exec, s[18:19]
	v_mov_b32_e32 v31, v30
	v_mov_b32_e32 v34, v30
.LBB8_36:
	s_or_b64 exec, exec, s[16:17]
.LBB8_37:
	s_andn2_saveexec_b64 s[0:1], s[0:1]
	s_cbranch_execz .LBB8_39
; %bb.38:
	v_mov_b32_e32 v31, 1
	s_waitcnt vmcnt(2)
	ds_write2_b64 v32, v[12:13], v[14:15] offset0:4 offset1:5
	s_waitcnt vmcnt(1)
	ds_write2_b64 v32, v[0:1], v[2:3] offset0:6 offset1:7
	;; [unrolled: 2-line block ×3, first 2 shown]
.LBB8_39:
	s_or_b64 exec, exec, s[0:1]
	v_cmp_lt_i32_e32 vcc, 1, v31
	s_waitcnt lgkmcnt(0)
	s_barrier
	s_and_saveexec_b64 s[0:1], vcc
	s_cbranch_execz .LBB8_41
; %bb.40:
	ds_read2_b64 v[36:39], v32 offset0:4 offset1:5
	v_mul_f64 v[40:41], v[20:21], v[6:7]
	v_fmac_f64_e32 v[40:41], v[22:23], v[4:5]
	v_mul_f64 v[6:7], v[22:23], v[6:7]
	v_fma_f64 v[4:5], v[20:21], v[4:5], -v[6:7]
	ds_read2_b64 v[20:23], v32 offset0:6 offset1:7
	s_waitcnt lgkmcnt(1)
	v_mul_f64 v[6:7], v[38:39], v[40:41]
	v_fma_f64 v[6:7], v[36:37], v[4:5], -v[6:7]
	v_mul_f64 v[36:37], v[36:37], v[40:41]
	v_fmac_f64_e32 v[36:37], v[38:39], v[4:5]
	s_waitcnt vmcnt(2)
	v_add_f64 v[14:15], v[14:15], -v[36:37]
	ds_read2_b64 v[36:39], v32 offset0:8 offset1:9
	v_add_f64 v[12:13], v[12:13], -v[6:7]
	s_waitcnt lgkmcnt(1)
	v_mul_f64 v[6:7], v[22:23], v[40:41]
	v_fma_f64 v[6:7], v[20:21], v[4:5], -v[6:7]
	v_mul_f64 v[20:21], v[20:21], v[40:41]
	v_fmac_f64_e32 v[20:21], v[22:23], v[4:5]
	s_waitcnt vmcnt(1)
	v_add_f64 v[0:1], v[0:1], -v[6:7]
	v_add_f64 v[2:3], v[2:3], -v[20:21]
	s_waitcnt lgkmcnt(0)
	v_mul_f64 v[6:7], v[38:39], v[40:41]
	v_mul_f64 v[20:21], v[36:37], v[40:41]
	v_fma_f64 v[6:7], v[36:37], v[4:5], -v[6:7]
	v_fmac_f64_e32 v[20:21], v[38:39], v[4:5]
	s_waitcnt vmcnt(0)
	v_add_f64 v[16:17], v[16:17], -v[6:7]
	v_add_f64 v[18:19], v[18:19], -v[20:21]
	v_mov_b64_e32 v[6:7], v[40:41]
.LBB8_41:
	s_or_b64 exec, exec, s[0:1]
	v_lshl_add_u32 v20, v31, 4, v32
	s_barrier
	s_waitcnt vmcnt(2)
	ds_write2_b64 v20, v[12:13], v[14:15] offset1:1
	s_waitcnt lgkmcnt(0)
	s_barrier
	ds_read2_b64 v[20:23], v32 offset0:4 offset1:5
	s_cmp_lt_i32 s20, 4
	v_mov_b32_e32 v30, 2
	s_cbranch_scc1 .LBB8_44
; %bb.42:
	v_add3_u32 v36, v33, 0, 48
	s_mov_b32 s16, 3
	v_mov_b32_e32 v30, 2
.LBB8_43:                               ; =>This Inner Loop Header: Depth=1
	ds_read2_b64 v[38:41], v36 offset1:1
	s_waitcnt lgkmcnt(1)
	v_xor_b32_e32 v37, 0x80000000, v21
	v_xor_b32_e32 v45, 0x80000000, v23
	v_cmp_gt_f64_e32 vcc, 0, v[22:23]
	v_cmp_gt_f64_e64 s[0:1], 0, v[20:21]
	v_mov_b32_e32 v42, v20
	v_mov_b32_e32 v44, v22
	v_cndmask_b32_e64 v43, v21, v37, s[0:1]
	v_cndmask_b32_e32 v45, v23, v45, vcc
	s_waitcnt lgkmcnt(0)
	v_xor_b32_e32 v37, 0x80000000, v39
	v_xor_b32_e32 v47, 0x80000000, v41
	v_cmp_gt_f64_e32 vcc, 0, v[40:41]
	v_cmp_gt_f64_e64 s[0:1], 0, v[38:39]
	v_add_f64 v[42:43], v[42:43], v[44:45]
	v_mov_b32_e32 v44, v38
	v_mov_b32_e32 v46, v40
	v_cndmask_b32_e64 v45, v39, v37, s[0:1]
	v_cndmask_b32_e32 v47, v41, v47, vcc
	v_add_f64 v[44:45], v[44:45], v[46:47]
	v_mov_b32_e32 v48, s16
	s_add_i32 s16, s16, 1
	v_cmp_lt_f64_e32 vcc, v[42:43], v[44:45]
	v_add_u32_e32 v36, 16, v36
	s_cmp_lg_u32 s20, s16
	v_cndmask_b32_e32 v21, v21, v39, vcc
	v_cndmask_b32_e32 v20, v20, v38, vcc
	;; [unrolled: 1-line block ×5, first 2 shown]
	s_cbranch_scc1 .LBB8_43
.LBB8_44:
	s_waitcnt lgkmcnt(0)
	v_cmp_eq_f64_e32 vcc, 0, v[20:21]
	v_cmp_eq_f64_e64 s[0:1], 0, v[22:23]
	s_and_b64 s[0:1], vcc, s[0:1]
	s_and_saveexec_b64 s[16:17], s[0:1]
	s_xor_b64 s[0:1], exec, s[16:17]
; %bb.45:
	v_cmp_ne_u32_e32 vcc, 0, v35
	s_nop 1
	v_cndmask_b32_e32 v35, 3, v35, vcc
; %bb.46:
	s_andn2_saveexec_b64 s[0:1], s[0:1]
	s_cbranch_execz .LBB8_52
; %bb.47:
	v_cmp_ngt_f64_e64 s[16:17], |v[20:21]|, |v[22:23]|
	s_and_saveexec_b64 s[18:19], s[16:17]
	s_xor_b64 s[16:17], exec, s[18:19]
	s_cbranch_execz .LBB8_49
; %bb.48:
	v_div_scale_f64 v[36:37], s[18:19], v[22:23], v[22:23], v[20:21]
	v_rcp_f64_e32 v[38:39], v[36:37]
	v_div_scale_f64 v[40:41], vcc, v[20:21], v[22:23], v[20:21]
	v_fma_f64 v[42:43], -v[36:37], v[38:39], 1.0
	v_fmac_f64_e32 v[38:39], v[38:39], v[42:43]
	v_fma_f64 v[42:43], -v[36:37], v[38:39], 1.0
	v_fmac_f64_e32 v[38:39], v[38:39], v[42:43]
	v_mul_f64 v[42:43], v[40:41], v[38:39]
	v_fma_f64 v[36:37], -v[36:37], v[42:43], v[40:41]
	v_div_fmas_f64 v[36:37], v[36:37], v[38:39], v[42:43]
	v_div_fixup_f64 v[36:37], v[36:37], v[22:23], v[20:21]
	v_fmac_f64_e32 v[22:23], v[20:21], v[36:37]
	v_div_scale_f64 v[20:21], s[18:19], v[22:23], v[22:23], 1.0
	v_rcp_f64_e32 v[38:39], v[20:21]
	s_nop 0
	v_fma_f64 v[40:41], -v[20:21], v[38:39], 1.0
	v_fmac_f64_e32 v[38:39], v[38:39], v[40:41]
	v_fma_f64 v[40:41], -v[20:21], v[38:39], 1.0
	v_fmac_f64_e32 v[38:39], v[38:39], v[40:41]
	v_div_scale_f64 v[40:41], vcc, 1.0, v[22:23], 1.0
	v_mul_f64 v[42:43], v[40:41], v[38:39]
	v_fma_f64 v[20:21], -v[20:21], v[42:43], v[40:41]
	s_nop 1
	v_div_fmas_f64 v[20:21], v[20:21], v[38:39], v[42:43]
	v_div_fixup_f64 v[22:23], v[20:21], v[22:23], 1.0
	v_mul_f64 v[20:21], v[36:37], v[22:23]
	v_xor_b32_e32 v23, 0x80000000, v23
.LBB8_49:
	s_andn2_saveexec_b64 s[16:17], s[16:17]
	s_cbranch_execz .LBB8_51
; %bb.50:
	v_div_scale_f64 v[36:37], s[18:19], v[20:21], v[20:21], v[22:23]
	v_rcp_f64_e32 v[38:39], v[36:37]
	v_div_scale_f64 v[40:41], vcc, v[22:23], v[20:21], v[22:23]
	v_fma_f64 v[42:43], -v[36:37], v[38:39], 1.0
	v_fmac_f64_e32 v[38:39], v[38:39], v[42:43]
	v_fma_f64 v[42:43], -v[36:37], v[38:39], 1.0
	v_fmac_f64_e32 v[38:39], v[38:39], v[42:43]
	v_mul_f64 v[42:43], v[40:41], v[38:39]
	v_fma_f64 v[36:37], -v[36:37], v[42:43], v[40:41]
	v_div_fmas_f64 v[36:37], v[36:37], v[38:39], v[42:43]
	v_div_fixup_f64 v[36:37], v[36:37], v[20:21], v[22:23]
	v_fmac_f64_e32 v[20:21], v[22:23], v[36:37]
	v_div_scale_f64 v[22:23], s[18:19], v[20:21], v[20:21], 1.0
	v_rcp_f64_e32 v[38:39], v[22:23]
	s_nop 0
	v_fma_f64 v[40:41], -v[22:23], v[38:39], 1.0
	v_fmac_f64_e32 v[38:39], v[38:39], v[40:41]
	v_fma_f64 v[40:41], -v[22:23], v[38:39], 1.0
	v_fmac_f64_e32 v[38:39], v[38:39], v[40:41]
	v_div_scale_f64 v[40:41], vcc, 1.0, v[20:21], 1.0
	v_mul_f64 v[42:43], v[40:41], v[38:39]
	v_fma_f64 v[22:23], -v[22:23], v[42:43], v[40:41]
	s_nop 1
	v_div_fmas_f64 v[22:23], v[22:23], v[38:39], v[42:43]
	v_div_fixup_f64 v[20:21], v[22:23], v[20:21], 1.0
	v_mul_f64 v[22:23], v[36:37], -v[20:21]
.LBB8_51:
	s_or_b64 exec, exec, s[16:17]
.LBB8_52:
	s_or_b64 exec, exec, s[0:1]
	v_cmp_ne_u32_e32 vcc, v31, v30
	s_and_saveexec_b64 s[0:1], vcc
	s_xor_b64 s[0:1], exec, s[0:1]
	s_cbranch_execz .LBB8_58
; %bb.53:
	v_cmp_eq_u32_e32 vcc, 2, v31
	s_and_saveexec_b64 s[16:17], vcc
	s_cbranch_execz .LBB8_57
; %bb.54:
	v_cmp_ne_u32_e32 vcc, 2, v30
	s_xor_b64 s[18:19], s[14:15], -1
	s_and_b64 s[22:23], s[18:19], vcc
	s_and_saveexec_b64 s[18:19], s[22:23]
	s_cbranch_execz .LBB8_56
; %bb.55:
	v_ashrrev_i32_e32 v31, 31, v30
	v_lshl_add_u64 v[36:37], v[30:31], 2, v[28:29]
	global_load_dword v31, v[36:37], off
	global_load_dword v34, v[28:29], off offset:8
	s_waitcnt vmcnt(1)
	global_store_dword v[28:29], v31, off offset:8
	s_waitcnt vmcnt(1)
	global_store_dword v[36:37], v34, off
.LBB8_56:
	s_or_b64 exec, exec, s[18:19]
	v_mov_b32_e32 v31, v30
	v_mov_b32_e32 v34, v30
.LBB8_57:
	s_or_b64 exec, exec, s[16:17]
.LBB8_58:
	s_andn2_saveexec_b64 s[0:1], s[0:1]
	s_cbranch_execz .LBB8_60
; %bb.59:
	v_mov_b32_e32 v31, 2
	s_waitcnt vmcnt(1)
	ds_write2_b64 v32, v[0:1], v[2:3] offset0:6 offset1:7
	s_waitcnt vmcnt(0)
	ds_write2_b64 v32, v[16:17], v[18:19] offset0:8 offset1:9
.LBB8_60:
	s_or_b64 exec, exec, s[0:1]
	v_cmp_lt_i32_e32 vcc, 2, v31
	s_waitcnt lgkmcnt(0)
	s_barrier
	s_and_saveexec_b64 s[0:1], vcc
	s_cbranch_execz .LBB8_62
; %bb.61:
	ds_read2_b64 v[36:39], v32 offset0:6 offset1:7
	v_mul_f64 v[40:41], v[20:21], v[14:15]
	v_mul_f64 v[14:15], v[22:23], v[14:15]
	v_fmac_f64_e32 v[40:41], v[22:23], v[12:13]
	v_fma_f64 v[12:13], v[20:21], v[12:13], -v[14:15]
	ds_read2_b64 v[20:23], v32 offset0:8 offset1:9
	s_waitcnt lgkmcnt(1)
	v_mul_f64 v[14:15], v[38:39], v[40:41]
	v_fma_f64 v[14:15], v[36:37], v[12:13], -v[14:15]
	s_waitcnt vmcnt(1)
	v_add_f64 v[0:1], v[0:1], -v[14:15]
	v_mul_f64 v[36:37], v[36:37], v[40:41]
	s_waitcnt lgkmcnt(0)
	v_mul_f64 v[14:15], v[22:23], v[40:41]
	v_fma_f64 v[14:15], v[20:21], v[12:13], -v[14:15]
	v_mul_f64 v[20:21], v[20:21], v[40:41]
	v_fmac_f64_e32 v[36:37], v[38:39], v[12:13]
	v_fmac_f64_e32 v[20:21], v[22:23], v[12:13]
	v_add_f64 v[2:3], v[2:3], -v[36:37]
	s_waitcnt vmcnt(0)
	v_add_f64 v[16:17], v[16:17], -v[14:15]
	v_add_f64 v[18:19], v[18:19], -v[20:21]
	v_mov_b64_e32 v[14:15], v[40:41]
.LBB8_62:
	s_or_b64 exec, exec, s[0:1]
	v_lshl_add_u32 v20, v31, 4, v32
	s_barrier
	s_waitcnt vmcnt(1)
	ds_write2_b64 v20, v[0:1], v[2:3] offset1:1
	s_waitcnt lgkmcnt(0)
	s_barrier
	ds_read2_b64 v[20:23], v32 offset0:6 offset1:7
	s_mov_b32 s16, 4
	s_cmp_lt_i32 s20, 5
	v_mov_b32_e32 v30, 3
	s_cbranch_scc1 .LBB8_65
; %bb.63:
	v_add3_u32 v33, v33, 0, 64
	v_mov_b32_e32 v30, 3
.LBB8_64:                               ; =>This Inner Loop Header: Depth=1
	ds_read2_b64 v[36:39], v33 offset1:1
	s_waitcnt lgkmcnt(1)
	v_xor_b32_e32 v41, 0x80000000, v21
	v_xor_b32_e32 v43, 0x80000000, v23
	v_cmp_gt_f64_e32 vcc, 0, v[22:23]
	v_cmp_gt_f64_e64 s[0:1], 0, v[20:21]
	v_mov_b32_e32 v40, v20
	v_mov_b32_e32 v42, v22
	v_cndmask_b32_e64 v41, v21, v41, s[0:1]
	v_cndmask_b32_e32 v43, v23, v43, vcc
	v_add_f64 v[40:41], v[40:41], v[42:43]
	s_waitcnt lgkmcnt(0)
	v_xor_b32_e32 v43, 0x80000000, v37
	v_xor_b32_e32 v45, 0x80000000, v39
	v_cmp_gt_f64_e32 vcc, 0, v[38:39]
	v_cmp_gt_f64_e64 s[0:1], 0, v[36:37]
	v_mov_b32_e32 v42, v36
	v_mov_b32_e32 v44, v38
	v_cndmask_b32_e64 v43, v37, v43, s[0:1]
	v_cndmask_b32_e32 v45, v39, v45, vcc
	v_add_f64 v[42:43], v[42:43], v[44:45]
	v_mov_b32_e32 v46, s16
	s_add_i32 s16, s16, 1
	v_cmp_lt_f64_e32 vcc, v[40:41], v[42:43]
	v_add_u32_e32 v33, 16, v33
	s_cmp_lg_u32 s20, s16
	v_cndmask_b32_e32 v21, v21, v37, vcc
	v_cndmask_b32_e32 v20, v20, v36, vcc
	;; [unrolled: 1-line block ×5, first 2 shown]
	s_cbranch_scc1 .LBB8_64
.LBB8_65:
	s_waitcnt lgkmcnt(0)
	v_cmp_eq_f64_e32 vcc, 0, v[20:21]
	v_cmp_eq_f64_e64 s[0:1], 0, v[22:23]
	s_and_b64 s[0:1], vcc, s[0:1]
	s_and_saveexec_b64 s[16:17], s[0:1]
	s_xor_b64 s[0:1], exec, s[16:17]
; %bb.66:
	v_cmp_ne_u32_e32 vcc, 0, v35
	s_nop 1
	v_cndmask_b32_e32 v35, 4, v35, vcc
; %bb.67:
	s_andn2_saveexec_b64 s[0:1], s[0:1]
	s_cbranch_execz .LBB8_73
; %bb.68:
	v_cmp_ngt_f64_e64 s[16:17], |v[20:21]|, |v[22:23]|
	s_and_saveexec_b64 s[18:19], s[16:17]
	s_xor_b64 s[16:17], exec, s[18:19]
	s_cbranch_execz .LBB8_70
; %bb.69:
	v_div_scale_f64 v[36:37], s[18:19], v[22:23], v[22:23], v[20:21]
	v_rcp_f64_e32 v[38:39], v[36:37]
	v_div_scale_f64 v[40:41], vcc, v[20:21], v[22:23], v[20:21]
	v_fma_f64 v[42:43], -v[36:37], v[38:39], 1.0
	v_fmac_f64_e32 v[38:39], v[38:39], v[42:43]
	v_fma_f64 v[42:43], -v[36:37], v[38:39], 1.0
	v_fmac_f64_e32 v[38:39], v[38:39], v[42:43]
	v_mul_f64 v[42:43], v[40:41], v[38:39]
	v_fma_f64 v[36:37], -v[36:37], v[42:43], v[40:41]
	v_div_fmas_f64 v[36:37], v[36:37], v[38:39], v[42:43]
	v_div_fixup_f64 v[36:37], v[36:37], v[22:23], v[20:21]
	v_fmac_f64_e32 v[22:23], v[20:21], v[36:37]
	v_div_scale_f64 v[20:21], s[18:19], v[22:23], v[22:23], 1.0
	v_rcp_f64_e32 v[38:39], v[20:21]
	s_nop 0
	v_fma_f64 v[40:41], -v[20:21], v[38:39], 1.0
	v_fmac_f64_e32 v[38:39], v[38:39], v[40:41]
	v_fma_f64 v[40:41], -v[20:21], v[38:39], 1.0
	v_fmac_f64_e32 v[38:39], v[38:39], v[40:41]
	v_div_scale_f64 v[40:41], vcc, 1.0, v[22:23], 1.0
	v_mul_f64 v[42:43], v[40:41], v[38:39]
	v_fma_f64 v[20:21], -v[20:21], v[42:43], v[40:41]
	s_nop 1
	v_div_fmas_f64 v[20:21], v[20:21], v[38:39], v[42:43]
	v_div_fixup_f64 v[22:23], v[20:21], v[22:23], 1.0
	v_mul_f64 v[20:21], v[36:37], v[22:23]
	v_xor_b32_e32 v23, 0x80000000, v23
.LBB8_70:
	s_andn2_saveexec_b64 s[16:17], s[16:17]
	s_cbranch_execz .LBB8_72
; %bb.71:
	v_div_scale_f64 v[36:37], s[18:19], v[20:21], v[20:21], v[22:23]
	v_rcp_f64_e32 v[38:39], v[36:37]
	v_div_scale_f64 v[40:41], vcc, v[22:23], v[20:21], v[22:23]
	v_fma_f64 v[42:43], -v[36:37], v[38:39], 1.0
	v_fmac_f64_e32 v[38:39], v[38:39], v[42:43]
	v_fma_f64 v[42:43], -v[36:37], v[38:39], 1.0
	v_fmac_f64_e32 v[38:39], v[38:39], v[42:43]
	v_mul_f64 v[42:43], v[40:41], v[38:39]
	v_fma_f64 v[36:37], -v[36:37], v[42:43], v[40:41]
	v_div_fmas_f64 v[36:37], v[36:37], v[38:39], v[42:43]
	v_div_fixup_f64 v[36:37], v[36:37], v[20:21], v[22:23]
	v_fmac_f64_e32 v[20:21], v[22:23], v[36:37]
	v_div_scale_f64 v[22:23], s[18:19], v[20:21], v[20:21], 1.0
	v_rcp_f64_e32 v[38:39], v[22:23]
	s_nop 0
	v_fma_f64 v[40:41], -v[22:23], v[38:39], 1.0
	v_fmac_f64_e32 v[38:39], v[38:39], v[40:41]
	v_fma_f64 v[40:41], -v[22:23], v[38:39], 1.0
	v_fmac_f64_e32 v[38:39], v[38:39], v[40:41]
	v_div_scale_f64 v[40:41], vcc, 1.0, v[20:21], 1.0
	v_mul_f64 v[42:43], v[40:41], v[38:39]
	v_fma_f64 v[22:23], -v[22:23], v[42:43], v[40:41]
	s_nop 1
	v_div_fmas_f64 v[22:23], v[22:23], v[38:39], v[42:43]
	v_div_fixup_f64 v[20:21], v[22:23], v[20:21], 1.0
	v_mul_f64 v[22:23], v[36:37], -v[20:21]
.LBB8_72:
	s_or_b64 exec, exec, s[16:17]
.LBB8_73:
	s_or_b64 exec, exec, s[0:1]
	v_cmp_ne_u32_e32 vcc, v31, v30
	s_and_saveexec_b64 s[0:1], vcc
	s_xor_b64 s[0:1], exec, s[0:1]
	s_cbranch_execz .LBB8_79
; %bb.74:
	v_cmp_eq_u32_e32 vcc, 3, v31
	s_and_saveexec_b64 s[16:17], vcc
	s_cbranch_execz .LBB8_78
; %bb.75:
	v_cmp_ne_u32_e32 vcc, 3, v30
	s_xor_b64 s[18:19], s[14:15], -1
	s_and_b64 s[22:23], s[18:19], vcc
	s_and_saveexec_b64 s[18:19], s[22:23]
	s_cbranch_execz .LBB8_77
; %bb.76:
	v_ashrrev_i32_e32 v31, 31, v30
	v_lshl_add_u64 v[36:37], v[30:31], 2, v[28:29]
	global_load_dword v31, v[36:37], off
	global_load_dword v33, v[28:29], off offset:12
	s_waitcnt vmcnt(1)
	global_store_dword v[28:29], v31, off offset:12
	s_waitcnt vmcnt(1)
	global_store_dword v[36:37], v33, off
.LBB8_77:
	s_or_b64 exec, exec, s[18:19]
	v_mov_b32_e32 v31, v30
	v_mov_b32_e32 v34, v30
.LBB8_78:
	s_or_b64 exec, exec, s[16:17]
.LBB8_79:
	s_andn2_saveexec_b64 s[0:1], s[0:1]
	s_cbranch_execz .LBB8_81
; %bb.80:
	v_mov_b32_e32 v31, 3
	s_waitcnt vmcnt(0)
	ds_write2_b64 v32, v[16:17], v[18:19] offset0:8 offset1:9
.LBB8_81:
	s_or_b64 exec, exec, s[0:1]
	v_cmp_lt_i32_e32 vcc, 3, v31
	s_waitcnt lgkmcnt(0)
	s_barrier
	s_and_saveexec_b64 s[0:1], vcc
	s_cbranch_execz .LBB8_83
; %bb.82:
	ds_read2_b64 v[36:39], v32 offset0:8 offset1:9
	v_mul_f64 v[40:41], v[20:21], v[2:3]
	v_mul_f64 v[2:3], v[22:23], v[2:3]
	v_fmac_f64_e32 v[40:41], v[22:23], v[0:1]
	v_fma_f64 v[0:1], v[20:21], v[0:1], -v[2:3]
	s_waitcnt lgkmcnt(0)
	v_mul_f64 v[2:3], v[38:39], v[40:41]
	v_mul_f64 v[20:21], v[36:37], v[40:41]
	v_fma_f64 v[2:3], v[36:37], v[0:1], -v[2:3]
	v_fmac_f64_e32 v[20:21], v[38:39], v[0:1]
	s_waitcnt vmcnt(0)
	v_add_f64 v[16:17], v[16:17], -v[2:3]
	v_add_f64 v[18:19], v[18:19], -v[20:21]
	v_mov_b64_e32 v[2:3], v[40:41]
.LBB8_83:
	s_or_b64 exec, exec, s[0:1]
	v_lshl_add_u32 v20, v31, 4, v32
	s_barrier
	s_waitcnt vmcnt(0)
	ds_write2_b64 v20, v[16:17], v[18:19] offset1:1
	s_waitcnt lgkmcnt(0)
	s_barrier
	ds_read2_b64 v[20:23], v32 offset0:8 offset1:9
	s_cmp_lt_i32 s20, 6
	v_mov_b32_e32 v30, 4
	s_cbranch_scc1 .LBB8_86
; %bb.84:
	v_mov_b32_e32 v30, 4
	v_add_u32_e32 v32, 0x50, v32
	s_mov_b32 s16, 5
.LBB8_85:                               ; =>This Inner Loop Header: Depth=1
	ds_read2_b64 v[36:39], v32 offset1:1
	s_waitcnt lgkmcnt(1)
	v_xor_b32_e32 v33, 0x80000000, v21
	v_xor_b32_e32 v43, 0x80000000, v23
	v_cmp_gt_f64_e32 vcc, 0, v[22:23]
	v_cmp_gt_f64_e64 s[0:1], 0, v[20:21]
	v_mov_b32_e32 v40, v20
	v_mov_b32_e32 v42, v22
	v_cndmask_b32_e64 v41, v21, v33, s[0:1]
	v_cndmask_b32_e32 v43, v23, v43, vcc
	s_waitcnt lgkmcnt(0)
	v_xor_b32_e32 v33, 0x80000000, v37
	v_xor_b32_e32 v45, 0x80000000, v39
	v_cmp_gt_f64_e32 vcc, 0, v[38:39]
	v_cmp_gt_f64_e64 s[0:1], 0, v[36:37]
	v_add_f64 v[40:41], v[40:41], v[42:43]
	v_mov_b32_e32 v42, v36
	v_mov_b32_e32 v44, v38
	v_cndmask_b32_e64 v43, v37, v33, s[0:1]
	v_cndmask_b32_e32 v45, v39, v45, vcc
	v_add_f64 v[42:43], v[42:43], v[44:45]
	v_mov_b32_e32 v46, s16
	s_add_i32 s16, s16, 1
	v_cmp_lt_f64_e32 vcc, v[40:41], v[42:43]
	v_add_u32_e32 v32, 16, v32
	s_cmp_lg_u32 s20, s16
	v_cndmask_b32_e32 v21, v21, v37, vcc
	v_cndmask_b32_e32 v20, v20, v36, vcc
	;; [unrolled: 1-line block ×5, first 2 shown]
	s_cbranch_scc1 .LBB8_85
.LBB8_86:
	s_waitcnt lgkmcnt(0)
	v_cmp_eq_f64_e32 vcc, 0, v[20:21]
	v_cmp_eq_f64_e64 s[0:1], 0, v[22:23]
	s_and_b64 s[0:1], vcc, s[0:1]
	s_and_saveexec_b64 s[16:17], s[0:1]
	s_xor_b64 s[0:1], exec, s[16:17]
; %bb.87:
	v_cmp_ne_u32_e32 vcc, 0, v35
	s_nop 1
	v_cndmask_b32_e32 v35, 5, v35, vcc
; %bb.88:
	s_andn2_saveexec_b64 s[0:1], s[0:1]
	s_cbranch_execz .LBB8_94
; %bb.89:
	v_cmp_ngt_f64_e64 s[16:17], |v[20:21]|, |v[22:23]|
	s_and_saveexec_b64 s[18:19], s[16:17]
	s_xor_b64 s[16:17], exec, s[18:19]
	s_cbranch_execz .LBB8_91
; %bb.90:
	v_div_scale_f64 v[32:33], s[18:19], v[22:23], v[22:23], v[20:21]
	v_rcp_f64_e32 v[36:37], v[32:33]
	v_div_scale_f64 v[38:39], vcc, v[20:21], v[22:23], v[20:21]
	v_fma_f64 v[40:41], -v[32:33], v[36:37], 1.0
	v_fmac_f64_e32 v[36:37], v[36:37], v[40:41]
	v_fma_f64 v[40:41], -v[32:33], v[36:37], 1.0
	v_fmac_f64_e32 v[36:37], v[36:37], v[40:41]
	v_mul_f64 v[40:41], v[38:39], v[36:37]
	v_fma_f64 v[32:33], -v[32:33], v[40:41], v[38:39]
	v_div_fmas_f64 v[32:33], v[32:33], v[36:37], v[40:41]
	v_div_fixup_f64 v[32:33], v[32:33], v[22:23], v[20:21]
	v_fmac_f64_e32 v[22:23], v[20:21], v[32:33]
	v_div_scale_f64 v[20:21], s[18:19], v[22:23], v[22:23], 1.0
	v_rcp_f64_e32 v[36:37], v[20:21]
	s_nop 0
	v_fma_f64 v[38:39], -v[20:21], v[36:37], 1.0
	v_fmac_f64_e32 v[36:37], v[36:37], v[38:39]
	v_fma_f64 v[38:39], -v[20:21], v[36:37], 1.0
	v_fmac_f64_e32 v[36:37], v[36:37], v[38:39]
	v_div_scale_f64 v[38:39], vcc, 1.0, v[22:23], 1.0
	v_mul_f64 v[40:41], v[38:39], v[36:37]
	v_fma_f64 v[20:21], -v[20:21], v[40:41], v[38:39]
	s_nop 1
	v_div_fmas_f64 v[20:21], v[20:21], v[36:37], v[40:41]
	v_div_fixup_f64 v[22:23], v[20:21], v[22:23], 1.0
	v_mul_f64 v[20:21], v[32:33], v[22:23]
	v_xor_b32_e32 v23, 0x80000000, v23
.LBB8_91:
	s_andn2_saveexec_b64 s[16:17], s[16:17]
	s_cbranch_execz .LBB8_93
; %bb.92:
	v_div_scale_f64 v[32:33], s[18:19], v[20:21], v[20:21], v[22:23]
	v_rcp_f64_e32 v[36:37], v[32:33]
	v_div_scale_f64 v[38:39], vcc, v[22:23], v[20:21], v[22:23]
	v_fma_f64 v[40:41], -v[32:33], v[36:37], 1.0
	v_fmac_f64_e32 v[36:37], v[36:37], v[40:41]
	v_fma_f64 v[40:41], -v[32:33], v[36:37], 1.0
	v_fmac_f64_e32 v[36:37], v[36:37], v[40:41]
	v_mul_f64 v[40:41], v[38:39], v[36:37]
	v_fma_f64 v[32:33], -v[32:33], v[40:41], v[38:39]
	v_div_fmas_f64 v[32:33], v[32:33], v[36:37], v[40:41]
	v_div_fixup_f64 v[32:33], v[32:33], v[20:21], v[22:23]
	v_fmac_f64_e32 v[20:21], v[22:23], v[32:33]
	v_div_scale_f64 v[22:23], s[18:19], v[20:21], v[20:21], 1.0
	v_rcp_f64_e32 v[36:37], v[22:23]
	s_nop 0
	v_fma_f64 v[38:39], -v[22:23], v[36:37], 1.0
	v_fmac_f64_e32 v[36:37], v[36:37], v[38:39]
	v_fma_f64 v[38:39], -v[22:23], v[36:37], 1.0
	v_fmac_f64_e32 v[36:37], v[36:37], v[38:39]
	v_div_scale_f64 v[38:39], vcc, 1.0, v[20:21], 1.0
	v_mul_f64 v[40:41], v[38:39], v[36:37]
	v_fma_f64 v[22:23], -v[22:23], v[40:41], v[38:39]
	s_nop 1
	v_div_fmas_f64 v[22:23], v[22:23], v[36:37], v[40:41]
	v_div_fixup_f64 v[20:21], v[22:23], v[20:21], 1.0
	v_mul_f64 v[22:23], v[32:33], -v[20:21]
.LBB8_93:
	s_or_b64 exec, exec, s[16:17]
.LBB8_94:
	s_or_b64 exec, exec, s[0:1]
	v_cmp_ne_u32_e32 vcc, v31, v30
	v_mov_b32_e32 v32, 4
	s_and_saveexec_b64 s[0:1], vcc
	s_cbranch_execz .LBB8_100
; %bb.95:
	v_cmp_eq_u32_e32 vcc, 4, v31
	s_and_saveexec_b64 s[16:17], vcc
	s_cbranch_execz .LBB8_99
; %bb.96:
	v_cmp_ne_u32_e32 vcc, 4, v30
	s_xor_b64 s[14:15], s[14:15], -1
	s_and_b64 s[18:19], s[14:15], vcc
	s_and_saveexec_b64 s[14:15], s[18:19]
	s_cbranch_execz .LBB8_98
; %bb.97:
	v_ashrrev_i32_e32 v31, 31, v30
	v_lshl_add_u64 v[32:33], v[30:31], 2, v[28:29]
	global_load_dword v31, v[32:33], off
	global_load_dword v34, v[28:29], off offset:16
	s_waitcnt vmcnt(1)
	global_store_dword v[28:29], v31, off offset:16
	s_waitcnt vmcnt(1)
	global_store_dword v[32:33], v34, off
.LBB8_98:
	s_or_b64 exec, exec, s[14:15]
	v_mov_b32_e32 v31, v30
	v_mov_b32_e32 v34, v30
.LBB8_99:
	s_or_b64 exec, exec, s[16:17]
	v_mov_b32_e32 v32, v31
.LBB8_100:
	s_or_b64 exec, exec, s[0:1]
	v_cmp_gt_i32_e32 vcc, 5, v32
	v_ashrrev_i32_e32 v33, 31, v32
	s_barrier
	s_barrier
	s_and_saveexec_b64 s[0:1], vcc
	s_cbranch_execz .LBB8_102
; %bb.101:
	v_mov_b32_e32 v28, s6
	v_mov_b32_e32 v29, s7
	v_mul_lo_u32 v36, s11, v26
	v_mul_lo_u32 v37, s10, v27
	v_mad_u64_u32 v[30:31], s[6:7], s10, v26, 0
	v_add3_u32 v31, v31, v37, v36
	v_lshl_add_u64 v[28:29], v[30:31], 2, v[28:29]
	v_lshl_add_u64 v[28:29], s[8:9], 2, v[28:29]
	;; [unrolled: 1-line block ×3, first 2 shown]
	v_add3_u32 v30, v34, s13, 1
	global_store_dword v[28:29], v30, off
.LBB8_102:
	s_or_b64 exec, exec, s[0:1]
	v_cmp_eq_u32_e32 vcc, 0, v32
	s_and_saveexec_b64 s[6:7], vcc
	s_cbranch_execz .LBB8_105
; %bb.103:
	v_mov_b32_e32 v28, s4
	v_mov_b32_e32 v29, s5
	v_lshl_add_u64 v[26:27], v[26:27], 2, v[28:29]
	global_load_dword v28, v[26:27], off
	v_cmp_ne_u32_e64 s[0:1], 0, v35
	s_waitcnt vmcnt(0)
	v_cmp_eq_u32_e32 vcc, 0, v28
	s_and_b64 s[0:1], vcc, s[0:1]
	s_and_b64 exec, exec, s[0:1]
	s_cbranch_execz .LBB8_105
; %bb.104:
	v_add_u32_e32 v28, s13, v35
	global_store_dword v[26:27], v28, off
.LBB8_105:
	s_or_b64 exec, exec, s[6:7]
	v_mul_f64 v[26:27], v[22:23], v[18:19]
	v_fma_f64 v[26:27], v[20:21], v[16:17], -v[26:27]
	v_mul_f64 v[20:21], v[20:21], v[18:19]
	v_fmac_f64_e32 v[20:21], v[22:23], v[16:17]
	v_cmp_lt_i32_e32 vcc, 4, v32
	s_nop 1
	v_cndmask_b32_e32 v19, v19, v21, vcc
	v_cndmask_b32_e32 v18, v18, v20, vcc
	v_lshl_add_u64 v[20:21], v[32:33], 4, v[24:25]
	global_store_dwordx4 v[20:21], v[8:11], off
	v_cndmask_b32_e32 v17, v17, v27, vcc
	v_cndmask_b32_e32 v16, v16, v26, vcc
	v_lshl_add_u64 v[8:9], s[2:3], 4, v[20:21]
	global_store_dwordx4 v[8:9], v[4:7], off
	s_nop 1
	v_add_u32_e32 v4, s12, v32
	v_ashrrev_i32_e32 v5, 31, v4
	v_lshl_add_u64 v[6:7], v[4:5], 4, v[24:25]
	v_add_u32_e32 v4, s2, v4
	v_ashrrev_i32_e32 v5, 31, v4
	global_store_dwordx4 v[6:7], v[12:15], off
	v_lshl_add_u64 v[6:7], v[4:5], 4, v[24:25]
	global_store_dwordx4 v[6:7], v[0:3], off
	s_nop 1
	v_add_u32_e32 v0, s2, v4
	v_ashrrev_i32_e32 v1, 31, v0
	v_lshl_add_u64 v[0:1], v[0:1], 4, v[24:25]
	global_store_dwordx4 v[0:1], v[16:19], off
.LBB8_106:
	s_endpgm
	.section	.rodata,"a",@progbits
	.p2align	6, 0x0
	.amdhsa_kernel _ZN9rocsolver6v33100L18getf2_small_kernelILi5E19rocblas_complex_numIdEiiPS3_EEvT1_T3_lS5_lPS5_llPT2_S5_S5_S7_l
		.amdhsa_group_segment_fixed_size 0
		.amdhsa_private_segment_fixed_size 0
		.amdhsa_kernarg_size 352
		.amdhsa_user_sgpr_count 2
		.amdhsa_user_sgpr_dispatch_ptr 0
		.amdhsa_user_sgpr_queue_ptr 0
		.amdhsa_user_sgpr_kernarg_segment_ptr 1
		.amdhsa_user_sgpr_dispatch_id 0
		.amdhsa_user_sgpr_kernarg_preload_length 0
		.amdhsa_user_sgpr_kernarg_preload_offset 0
		.amdhsa_user_sgpr_private_segment_size 0
		.amdhsa_uses_dynamic_stack 0
		.amdhsa_enable_private_segment 0
		.amdhsa_system_sgpr_workgroup_id_x 1
		.amdhsa_system_sgpr_workgroup_id_y 1
		.amdhsa_system_sgpr_workgroup_id_z 0
		.amdhsa_system_sgpr_workgroup_info 0
		.amdhsa_system_vgpr_workitem_id 1
		.amdhsa_next_free_vgpr 49
		.amdhsa_next_free_sgpr 24
		.amdhsa_accum_offset 52
		.amdhsa_reserve_vcc 1
		.amdhsa_float_round_mode_32 0
		.amdhsa_float_round_mode_16_64 0
		.amdhsa_float_denorm_mode_32 3
		.amdhsa_float_denorm_mode_16_64 3
		.amdhsa_dx10_clamp 1
		.amdhsa_ieee_mode 1
		.amdhsa_fp16_overflow 0
		.amdhsa_tg_split 0
		.amdhsa_exception_fp_ieee_invalid_op 0
		.amdhsa_exception_fp_denorm_src 0
		.amdhsa_exception_fp_ieee_div_zero 0
		.amdhsa_exception_fp_ieee_overflow 0
		.amdhsa_exception_fp_ieee_underflow 0
		.amdhsa_exception_fp_ieee_inexact 0
		.amdhsa_exception_int_div_zero 0
	.end_amdhsa_kernel
	.section	.text._ZN9rocsolver6v33100L18getf2_small_kernelILi5E19rocblas_complex_numIdEiiPS3_EEvT1_T3_lS5_lPS5_llPT2_S5_S5_S7_l,"axG",@progbits,_ZN9rocsolver6v33100L18getf2_small_kernelILi5E19rocblas_complex_numIdEiiPS3_EEvT1_T3_lS5_lPS5_llPT2_S5_S5_S7_l,comdat
.Lfunc_end8:
	.size	_ZN9rocsolver6v33100L18getf2_small_kernelILi5E19rocblas_complex_numIdEiiPS3_EEvT1_T3_lS5_lPS5_llPT2_S5_S5_S7_l, .Lfunc_end8-_ZN9rocsolver6v33100L18getf2_small_kernelILi5E19rocblas_complex_numIdEiiPS3_EEvT1_T3_lS5_lPS5_llPT2_S5_S5_S7_l
                                        ; -- End function
	.set _ZN9rocsolver6v33100L18getf2_small_kernelILi5E19rocblas_complex_numIdEiiPS3_EEvT1_T3_lS5_lPS5_llPT2_S5_S5_S7_l.num_vgpr, 49
	.set _ZN9rocsolver6v33100L18getf2_small_kernelILi5E19rocblas_complex_numIdEiiPS3_EEvT1_T3_lS5_lPS5_llPT2_S5_S5_S7_l.num_agpr, 0
	.set _ZN9rocsolver6v33100L18getf2_small_kernelILi5E19rocblas_complex_numIdEiiPS3_EEvT1_T3_lS5_lPS5_llPT2_S5_S5_S7_l.numbered_sgpr, 24
	.set _ZN9rocsolver6v33100L18getf2_small_kernelILi5E19rocblas_complex_numIdEiiPS3_EEvT1_T3_lS5_lPS5_llPT2_S5_S5_S7_l.num_named_barrier, 0
	.set _ZN9rocsolver6v33100L18getf2_small_kernelILi5E19rocblas_complex_numIdEiiPS3_EEvT1_T3_lS5_lPS5_llPT2_S5_S5_S7_l.private_seg_size, 0
	.set _ZN9rocsolver6v33100L18getf2_small_kernelILi5E19rocblas_complex_numIdEiiPS3_EEvT1_T3_lS5_lPS5_llPT2_S5_S5_S7_l.uses_vcc, 1
	.set _ZN9rocsolver6v33100L18getf2_small_kernelILi5E19rocblas_complex_numIdEiiPS3_EEvT1_T3_lS5_lPS5_llPT2_S5_S5_S7_l.uses_flat_scratch, 0
	.set _ZN9rocsolver6v33100L18getf2_small_kernelILi5E19rocblas_complex_numIdEiiPS3_EEvT1_T3_lS5_lPS5_llPT2_S5_S5_S7_l.has_dyn_sized_stack, 0
	.set _ZN9rocsolver6v33100L18getf2_small_kernelILi5E19rocblas_complex_numIdEiiPS3_EEvT1_T3_lS5_lPS5_llPT2_S5_S5_S7_l.has_recursion, 0
	.set _ZN9rocsolver6v33100L18getf2_small_kernelILi5E19rocblas_complex_numIdEiiPS3_EEvT1_T3_lS5_lPS5_llPT2_S5_S5_S7_l.has_indirect_call, 0
	.section	.AMDGPU.csdata,"",@progbits
; Kernel info:
; codeLenInByte = 5692
; TotalNumSgprs: 30
; NumVgprs: 49
; NumAgprs: 0
; TotalNumVgprs: 49
; ScratchSize: 0
; MemoryBound: 0
; FloatMode: 240
; IeeeMode: 1
; LDSByteSize: 0 bytes/workgroup (compile time only)
; SGPRBlocks: 3
; VGPRBlocks: 6
; NumSGPRsForWavesPerEU: 30
; NumVGPRsForWavesPerEU: 49
; AccumOffset: 52
; Occupancy: 8
; WaveLimiterHint : 0
; COMPUTE_PGM_RSRC2:SCRATCH_EN: 0
; COMPUTE_PGM_RSRC2:USER_SGPR: 2
; COMPUTE_PGM_RSRC2:TRAP_HANDLER: 0
; COMPUTE_PGM_RSRC2:TGID_X_EN: 1
; COMPUTE_PGM_RSRC2:TGID_Y_EN: 1
; COMPUTE_PGM_RSRC2:TGID_Z_EN: 0
; COMPUTE_PGM_RSRC2:TIDIG_COMP_CNT: 1
; COMPUTE_PGM_RSRC3_GFX90A:ACCUM_OFFSET: 12
; COMPUTE_PGM_RSRC3_GFX90A:TG_SPLIT: 0
	.section	.text._ZN9rocsolver6v33100L23getf2_npvt_small_kernelILi5E19rocblas_complex_numIdEiiPS3_EEvT1_T3_lS5_lPT2_S5_S5_,"axG",@progbits,_ZN9rocsolver6v33100L23getf2_npvt_small_kernelILi5E19rocblas_complex_numIdEiiPS3_EEvT1_T3_lS5_lPT2_S5_S5_,comdat
	.globl	_ZN9rocsolver6v33100L23getf2_npvt_small_kernelILi5E19rocblas_complex_numIdEiiPS3_EEvT1_T3_lS5_lPT2_S5_S5_ ; -- Begin function _ZN9rocsolver6v33100L23getf2_npvt_small_kernelILi5E19rocblas_complex_numIdEiiPS3_EEvT1_T3_lS5_lPT2_S5_S5_
	.p2align	8
	.type	_ZN9rocsolver6v33100L23getf2_npvt_small_kernelILi5E19rocblas_complex_numIdEiiPS3_EEvT1_T3_lS5_lPT2_S5_S5_,@function
_ZN9rocsolver6v33100L23getf2_npvt_small_kernelILi5E19rocblas_complex_numIdEiiPS3_EEvT1_T3_lS5_lPT2_S5_S5_: ; @_ZN9rocsolver6v33100L23getf2_npvt_small_kernelILi5E19rocblas_complex_numIdEiiPS3_EEvT1_T3_lS5_lPT2_S5_S5_
; %bb.0:
	s_load_dword s2, s[0:1], 0x44
	s_load_dwordx2 s[18:19], s[0:1], 0x30
	v_bfe_u32 v20, v0, 10, 10
	s_waitcnt lgkmcnt(0)
	s_lshr_b32 s2, s2, 16
	s_mul_i32 s3, s3, s2
	v_add_u32_e32 v46, s3, v20
	v_cmp_gt_i32_e32 vcc, s18, v46
	s_and_saveexec_b64 s[4:5], vcc
	s_cbranch_execz .LBB9_48
; %bb.1:
	s_load_dwordx4 s[8:11], s[0:1], 0x8
	s_load_dword s12, s[0:1], 0x18
	s_load_dwordx4 s[4:7], s[0:1], 0x20
	v_and_b32_e32 v52, 0x3ff, v0
	v_ashrrev_i32_e32 v47, 31, v46
	s_waitcnt lgkmcnt(0)
	v_mov_b32_e32 v2, s8
	v_mov_b32_e32 v3, s9
	v_mad_u64_u32 v[0:1], s[0:1], s4, v46, 0
	v_mul_lo_u32 v4, s5, v46
	v_mul_lo_u32 v5, s4, v47
	s_add_i32 s0, s12, s12
	v_add3_u32 v1, v1, v5, v4
	v_add_u32_e32 v8, s0, v52
	v_lshl_add_u64 v[0:1], v[0:1], 4, v[2:3]
	v_add_u32_e32 v18, s12, v8
	v_lshl_add_u64 v[16:17], s[10:11], 4, v[0:1]
	v_ashrrev_i32_e32 v19, 31, v18
	v_lshl_add_u64 v[48:49], v[18:19], 4, v[16:17]
	v_add_u32_e32 v18, s12, v18
	v_lshlrev_b32_e32 v0, 4, v52
	v_mov_b32_e32 v1, 0
	v_ashrrev_i32_e32 v9, 31, v8
	v_ashrrev_i32_e32 v19, 31, v18
	s_ashr_i32 s13, s12, 31
	v_lshl_add_u64 v[40:41], v[16:17], 0, v[0:1]
	v_lshl_add_u64 v[44:45], v[8:9], 4, v[16:17]
	;; [unrolled: 1-line block ×4, first 2 shown]
	global_load_dwordx4 v[4:7], v[40:41], off
	global_load_dwordx4 v[0:3], v[42:43], off
	;; [unrolled: 1-line block ×5, first 2 shown]
	s_mulk_i32 s2, 0x50
	v_mul_u32_u24_e32 v21, 0x50, v20
	s_add_i32 s0, s2, 0
	v_lshl_add_u32 v53, v20, 4, s0
	v_cmp_ne_u32_e64 s[2:3], 0, v52
	v_cmp_eq_u32_e64 s[0:1], 0, v52
	v_add_u32_e32 v54, 0, v21
	s_and_saveexec_b64 s[8:9], s[0:1]
	s_cbranch_execz .LBB9_8
; %bb.2:
	s_waitcnt vmcnt(4)
	ds_write2_b64 v53, v[4:5], v[6:7] offset1:1
	s_waitcnt vmcnt(3)
	ds_write2_b64 v54, v[0:1], v[2:3] offset0:2 offset1:3
	s_waitcnt vmcnt(2)
	ds_write2_b64 v54, v[12:13], v[14:15] offset0:4 offset1:5
	;; [unrolled: 2-line block ×4, first 2 shown]
	ds_read2_b64 v[20:23], v53 offset1:1
	s_waitcnt lgkmcnt(0)
	v_cmp_neq_f64_e32 vcc, 0, v[20:21]
	v_cmp_neq_f64_e64 s[4:5], 0, v[22:23]
	s_or_b64 s[4:5], vcc, s[4:5]
	s_and_b64 exec, exec, s[4:5]
	s_cbranch_execz .LBB9_8
; %bb.3:
	v_cmp_ngt_f64_e64 s[4:5], |v[20:21]|, |v[22:23]|
                                        ; implicit-def: $vgpr24_vgpr25
	s_and_saveexec_b64 s[10:11], s[4:5]
	s_xor_b64 s[4:5], exec, s[10:11]
                                        ; implicit-def: $vgpr26_vgpr27
	s_cbranch_execz .LBB9_5
; %bb.4:
	v_div_scale_f64 v[24:25], s[10:11], v[22:23], v[22:23], v[20:21]
	v_rcp_f64_e32 v[26:27], v[24:25]
	v_div_scale_f64 v[28:29], vcc, v[20:21], v[22:23], v[20:21]
	v_fma_f64 v[30:31], -v[24:25], v[26:27], 1.0
	v_fmac_f64_e32 v[26:27], v[26:27], v[30:31]
	v_fma_f64 v[30:31], -v[24:25], v[26:27], 1.0
	v_fmac_f64_e32 v[26:27], v[26:27], v[30:31]
	v_mul_f64 v[30:31], v[28:29], v[26:27]
	v_fma_f64 v[24:25], -v[24:25], v[30:31], v[28:29]
	v_div_fmas_f64 v[24:25], v[24:25], v[26:27], v[30:31]
	v_div_fixup_f64 v[24:25], v[24:25], v[22:23], v[20:21]
	v_fmac_f64_e32 v[22:23], v[20:21], v[24:25]
	v_div_scale_f64 v[20:21], s[10:11], v[22:23], v[22:23], 1.0
	v_rcp_f64_e32 v[26:27], v[20:21]
	s_nop 0
	v_fma_f64 v[28:29], -v[20:21], v[26:27], 1.0
	v_fmac_f64_e32 v[26:27], v[26:27], v[28:29]
	v_fma_f64 v[28:29], -v[20:21], v[26:27], 1.0
	v_fmac_f64_e32 v[26:27], v[26:27], v[28:29]
	v_div_scale_f64 v[28:29], vcc, 1.0, v[22:23], 1.0
	v_mul_f64 v[30:31], v[28:29], v[26:27]
	v_fma_f64 v[20:21], -v[20:21], v[30:31], v[28:29]
	s_nop 1
	v_div_fmas_f64 v[20:21], v[20:21], v[26:27], v[30:31]
	v_div_fixup_f64 v[26:27], v[20:21], v[22:23], 1.0
	v_mul_f64 v[24:25], v[24:25], v[26:27]
	v_xor_b32_e32 v27, 0x80000000, v27
                                        ; implicit-def: $vgpr20_vgpr21
.LBB9_5:
	s_andn2_saveexec_b64 s[4:5], s[4:5]
	s_cbranch_execz .LBB9_7
; %bb.6:
	v_div_scale_f64 v[24:25], s[10:11], v[20:21], v[20:21], v[22:23]
	v_rcp_f64_e32 v[26:27], v[24:25]
	v_div_scale_f64 v[28:29], vcc, v[22:23], v[20:21], v[22:23]
	v_fma_f64 v[30:31], -v[24:25], v[26:27], 1.0
	v_fmac_f64_e32 v[26:27], v[26:27], v[30:31]
	v_fma_f64 v[30:31], -v[24:25], v[26:27], 1.0
	v_fmac_f64_e32 v[26:27], v[26:27], v[30:31]
	v_mul_f64 v[30:31], v[28:29], v[26:27]
	v_fma_f64 v[24:25], -v[24:25], v[30:31], v[28:29]
	v_div_fmas_f64 v[24:25], v[24:25], v[26:27], v[30:31]
	v_div_fixup_f64 v[26:27], v[24:25], v[20:21], v[22:23]
	v_fmac_f64_e32 v[20:21], v[22:23], v[26:27]
	v_div_scale_f64 v[22:23], s[10:11], v[20:21], v[20:21], 1.0
	v_rcp_f64_e32 v[24:25], v[22:23]
	s_nop 0
	v_fma_f64 v[28:29], -v[22:23], v[24:25], 1.0
	v_fmac_f64_e32 v[24:25], v[24:25], v[28:29]
	v_fma_f64 v[28:29], -v[22:23], v[24:25], 1.0
	v_fmac_f64_e32 v[24:25], v[24:25], v[28:29]
	v_div_scale_f64 v[28:29], vcc, 1.0, v[20:21], 1.0
	v_mul_f64 v[30:31], v[28:29], v[24:25]
	v_fma_f64 v[22:23], -v[22:23], v[30:31], v[28:29]
	s_nop 1
	v_div_fmas_f64 v[22:23], v[22:23], v[24:25], v[30:31]
	v_div_fixup_f64 v[24:25], v[22:23], v[20:21], 1.0
	v_mul_f64 v[26:27], v[26:27], -v[24:25]
.LBB9_7:
	s_or_b64 exec, exec, s[4:5]
	ds_write2_b64 v53, v[24:25], v[26:27] offset1:1
.LBB9_8:
	s_or_b64 exec, exec, s[8:9]
	s_waitcnt lgkmcnt(0)
	s_barrier
	ds_read2_b64 v[20:23], v53 offset1:1
	s_and_saveexec_b64 s[4:5], s[2:3]
	s_cbranch_execz .LBB9_10
; %bb.9:
	ds_read2_b64 v[24:27], v54 offset0:2 offset1:3
	ds_read2_b64 v[28:31], v54 offset0:4 offset1:5
	s_waitcnt vmcnt(4) lgkmcnt(2)
	v_mul_f64 v[32:33], v[20:21], v[6:7]
	v_fmac_f64_e32 v[32:33], v[22:23], v[4:5]
	v_mul_f64 v[6:7], v[22:23], v[6:7]
	v_fma_f64 v[4:5], v[20:21], v[4:5], -v[6:7]
	s_waitcnt lgkmcnt(1)
	v_mul_f64 v[6:7], v[26:27], v[32:33]
	v_fma_f64 v[6:7], v[24:25], v[4:5], -v[6:7]
	v_mul_f64 v[24:25], v[24:25], v[32:33]
	v_fmac_f64_e32 v[24:25], v[26:27], v[4:5]
	s_waitcnt vmcnt(3)
	v_add_f64 v[0:1], v[0:1], -v[6:7]
	v_add_f64 v[2:3], v[2:3], -v[24:25]
	s_waitcnt lgkmcnt(0)
	v_mul_f64 v[6:7], v[30:31], v[32:33]
	ds_read2_b64 v[24:27], v54 offset0:6 offset1:7
	v_fma_f64 v[6:7], v[28:29], v[4:5], -v[6:7]
	v_mul_f64 v[28:29], v[28:29], v[32:33]
	v_fmac_f64_e32 v[28:29], v[30:31], v[4:5]
	s_waitcnt vmcnt(2)
	v_add_f64 v[14:15], v[14:15], -v[28:29]
	ds_read2_b64 v[28:31], v54 offset0:8 offset1:9
	v_add_f64 v[12:13], v[12:13], -v[6:7]
	s_waitcnt lgkmcnt(1)
	v_mul_f64 v[6:7], v[26:27], v[32:33]
	v_fma_f64 v[6:7], v[24:25], v[4:5], -v[6:7]
	v_mul_f64 v[24:25], v[24:25], v[32:33]
	v_fmac_f64_e32 v[24:25], v[26:27], v[4:5]
	s_waitcnt vmcnt(1)
	v_add_f64 v[8:9], v[8:9], -v[6:7]
	v_add_f64 v[10:11], v[10:11], -v[24:25]
	s_waitcnt lgkmcnt(0)
	v_mul_f64 v[6:7], v[30:31], v[32:33]
	v_mul_f64 v[24:25], v[28:29], v[32:33]
	v_fma_f64 v[6:7], v[28:29], v[4:5], -v[6:7]
	v_fmac_f64_e32 v[24:25], v[30:31], v[4:5]
	s_waitcnt vmcnt(0)
	v_add_f64 v[16:17], v[16:17], -v[6:7]
	v_add_f64 v[18:19], v[18:19], -v[24:25]
	v_mov_b64_e32 v[6:7], v[32:33]
.LBB9_10:
	s_or_b64 exec, exec, s[4:5]
	v_cmp_eq_u32_e32 vcc, 1, v52
	s_waitcnt lgkmcnt(0)
	s_barrier
	s_and_saveexec_b64 s[4:5], vcc
	s_cbranch_execz .LBB9_17
; %bb.11:
	s_waitcnt vmcnt(3)
	ds_write2_b64 v53, v[0:1], v[2:3] offset1:1
	s_waitcnt vmcnt(2)
	ds_write2_b64 v54, v[12:13], v[14:15] offset0:4 offset1:5
	s_waitcnt vmcnt(1)
	ds_write2_b64 v54, v[8:9], v[10:11] offset0:6 offset1:7
	;; [unrolled: 2-line block ×3, first 2 shown]
	ds_read2_b64 v[24:27], v53 offset1:1
	s_waitcnt lgkmcnt(0)
	v_cmp_neq_f64_e32 vcc, 0, v[24:25]
	v_cmp_neq_f64_e64 s[2:3], 0, v[26:27]
	s_or_b64 s[2:3], vcc, s[2:3]
	s_and_b64 exec, exec, s[2:3]
	s_cbranch_execz .LBB9_17
; %bb.12:
	v_cmp_ngt_f64_e64 s[2:3], |v[24:25]|, |v[26:27]|
                                        ; implicit-def: $vgpr28_vgpr29
	s_and_saveexec_b64 s[8:9], s[2:3]
	s_xor_b64 s[2:3], exec, s[8:9]
                                        ; implicit-def: $vgpr30_vgpr31
	s_cbranch_execz .LBB9_14
; %bb.13:
	v_div_scale_f64 v[28:29], s[8:9], v[26:27], v[26:27], v[24:25]
	v_rcp_f64_e32 v[30:31], v[28:29]
	v_div_scale_f64 v[32:33], vcc, v[24:25], v[26:27], v[24:25]
	v_fma_f64 v[34:35], -v[28:29], v[30:31], 1.0
	v_fmac_f64_e32 v[30:31], v[30:31], v[34:35]
	v_fma_f64 v[34:35], -v[28:29], v[30:31], 1.0
	v_fmac_f64_e32 v[30:31], v[30:31], v[34:35]
	v_mul_f64 v[34:35], v[32:33], v[30:31]
	v_fma_f64 v[28:29], -v[28:29], v[34:35], v[32:33]
	v_div_fmas_f64 v[28:29], v[28:29], v[30:31], v[34:35]
	v_div_fixup_f64 v[28:29], v[28:29], v[26:27], v[24:25]
	v_fmac_f64_e32 v[26:27], v[24:25], v[28:29]
	v_div_scale_f64 v[24:25], s[8:9], v[26:27], v[26:27], 1.0
	v_rcp_f64_e32 v[30:31], v[24:25]
	s_nop 0
	v_fma_f64 v[32:33], -v[24:25], v[30:31], 1.0
	v_fmac_f64_e32 v[30:31], v[30:31], v[32:33]
	v_fma_f64 v[32:33], -v[24:25], v[30:31], 1.0
	v_fmac_f64_e32 v[30:31], v[30:31], v[32:33]
	v_div_scale_f64 v[32:33], vcc, 1.0, v[26:27], 1.0
	v_mul_f64 v[34:35], v[32:33], v[30:31]
	v_fma_f64 v[24:25], -v[24:25], v[34:35], v[32:33]
	s_nop 1
	v_div_fmas_f64 v[24:25], v[24:25], v[30:31], v[34:35]
	v_div_fixup_f64 v[30:31], v[24:25], v[26:27], 1.0
	v_mul_f64 v[28:29], v[28:29], v[30:31]
	v_xor_b32_e32 v31, 0x80000000, v31
                                        ; implicit-def: $vgpr24_vgpr25
.LBB9_14:
	s_andn2_saveexec_b64 s[2:3], s[2:3]
	s_cbranch_execz .LBB9_16
; %bb.15:
	v_div_scale_f64 v[28:29], s[8:9], v[24:25], v[24:25], v[26:27]
	v_rcp_f64_e32 v[30:31], v[28:29]
	v_div_scale_f64 v[32:33], vcc, v[26:27], v[24:25], v[26:27]
	v_fma_f64 v[34:35], -v[28:29], v[30:31], 1.0
	v_fmac_f64_e32 v[30:31], v[30:31], v[34:35]
	v_fma_f64 v[34:35], -v[28:29], v[30:31], 1.0
	v_fmac_f64_e32 v[30:31], v[30:31], v[34:35]
	v_mul_f64 v[34:35], v[32:33], v[30:31]
	v_fma_f64 v[28:29], -v[28:29], v[34:35], v[32:33]
	v_div_fmas_f64 v[28:29], v[28:29], v[30:31], v[34:35]
	v_div_fixup_f64 v[30:31], v[28:29], v[24:25], v[26:27]
	v_fmac_f64_e32 v[24:25], v[26:27], v[30:31]
	v_div_scale_f64 v[26:27], s[8:9], v[24:25], v[24:25], 1.0
	v_rcp_f64_e32 v[28:29], v[26:27]
	s_nop 0
	v_fma_f64 v[32:33], -v[26:27], v[28:29], 1.0
	v_fmac_f64_e32 v[28:29], v[28:29], v[32:33]
	v_fma_f64 v[32:33], -v[26:27], v[28:29], 1.0
	v_fmac_f64_e32 v[28:29], v[28:29], v[32:33]
	v_div_scale_f64 v[32:33], vcc, 1.0, v[24:25], 1.0
	v_mul_f64 v[34:35], v[32:33], v[28:29]
	v_fma_f64 v[26:27], -v[26:27], v[34:35], v[32:33]
	s_nop 1
	v_div_fmas_f64 v[26:27], v[26:27], v[28:29], v[34:35]
	v_div_fixup_f64 v[28:29], v[26:27], v[24:25], 1.0
	v_mul_f64 v[30:31], v[30:31], -v[28:29]
.LBB9_16:
	s_or_b64 exec, exec, s[2:3]
	ds_write2_b64 v53, v[28:29], v[30:31] offset1:1
.LBB9_17:
	s_or_b64 exec, exec, s[4:5]
	s_waitcnt lgkmcnt(0)
	s_barrier
	ds_read2_b64 v[24:27], v53 offset1:1
	v_cmp_lt_u32_e32 vcc, 1, v52
	s_and_saveexec_b64 s[2:3], vcc
	s_cbranch_execz .LBB9_19
; %bb.18:
	ds_read2_b64 v[28:31], v54 offset0:4 offset1:5
	ds_read2_b64 v[32:35], v54 offset0:6 offset1:7
	s_waitcnt vmcnt(3) lgkmcnt(2)
	v_mul_f64 v[36:37], v[24:25], v[2:3]
	v_fmac_f64_e32 v[36:37], v[26:27], v[0:1]
	v_mul_f64 v[2:3], v[26:27], v[2:3]
	v_fma_f64 v[0:1], v[24:25], v[0:1], -v[2:3]
	s_waitcnt lgkmcnt(1)
	v_mul_f64 v[2:3], v[30:31], v[36:37]
	v_fma_f64 v[2:3], v[28:29], v[0:1], -v[2:3]
	v_mul_f64 v[28:29], v[28:29], v[36:37]
	v_fmac_f64_e32 v[28:29], v[30:31], v[0:1]
	s_waitcnt vmcnt(2)
	v_add_f64 v[14:15], v[14:15], -v[28:29]
	ds_read2_b64 v[28:31], v54 offset0:8 offset1:9
	v_add_f64 v[12:13], v[12:13], -v[2:3]
	s_waitcnt lgkmcnt(1)
	v_mul_f64 v[2:3], v[34:35], v[36:37]
	v_fma_f64 v[2:3], v[32:33], v[0:1], -v[2:3]
	s_waitcnt vmcnt(1)
	v_add_f64 v[8:9], v[8:9], -v[2:3]
	s_waitcnt lgkmcnt(0)
	v_mul_f64 v[2:3], v[30:31], v[36:37]
	v_mul_f64 v[32:33], v[32:33], v[36:37]
	v_fma_f64 v[2:3], v[28:29], v[0:1], -v[2:3]
	v_mul_f64 v[28:29], v[28:29], v[36:37]
	v_fmac_f64_e32 v[32:33], v[34:35], v[0:1]
	v_fmac_f64_e32 v[28:29], v[30:31], v[0:1]
	v_add_f64 v[10:11], v[10:11], -v[32:33]
	s_waitcnt vmcnt(0)
	v_add_f64 v[16:17], v[16:17], -v[2:3]
	v_add_f64 v[18:19], v[18:19], -v[28:29]
	v_mov_b64_e32 v[2:3], v[36:37]
.LBB9_19:
	s_or_b64 exec, exec, s[2:3]
	v_cmp_eq_u32_e32 vcc, 2, v52
	s_waitcnt lgkmcnt(0)
	s_barrier
	s_and_saveexec_b64 s[4:5], vcc
	s_cbranch_execz .LBB9_26
; %bb.20:
	s_waitcnt vmcnt(2)
	ds_write2_b64 v53, v[12:13], v[14:15] offset1:1
	s_waitcnt vmcnt(1)
	ds_write2_b64 v54, v[8:9], v[10:11] offset0:6 offset1:7
	s_waitcnt vmcnt(0)
	ds_write2_b64 v54, v[16:17], v[18:19] offset0:8 offset1:9
	ds_read2_b64 v[28:31], v53 offset1:1
	s_waitcnt lgkmcnt(0)
	v_cmp_neq_f64_e32 vcc, 0, v[28:29]
	v_cmp_neq_f64_e64 s[2:3], 0, v[30:31]
	s_or_b64 s[2:3], vcc, s[2:3]
	s_and_b64 exec, exec, s[2:3]
	s_cbranch_execz .LBB9_26
; %bb.21:
	v_cmp_ngt_f64_e64 s[2:3], |v[28:29]|, |v[30:31]|
                                        ; implicit-def: $vgpr32_vgpr33
	s_and_saveexec_b64 s[8:9], s[2:3]
	s_xor_b64 s[2:3], exec, s[8:9]
                                        ; implicit-def: $vgpr34_vgpr35
	s_cbranch_execz .LBB9_23
; %bb.22:
	v_div_scale_f64 v[32:33], s[8:9], v[30:31], v[30:31], v[28:29]
	v_rcp_f64_e32 v[34:35], v[32:33]
	v_div_scale_f64 v[36:37], vcc, v[28:29], v[30:31], v[28:29]
	v_fma_f64 v[38:39], -v[32:33], v[34:35], 1.0
	v_fmac_f64_e32 v[34:35], v[34:35], v[38:39]
	v_fma_f64 v[38:39], -v[32:33], v[34:35], 1.0
	v_fmac_f64_e32 v[34:35], v[34:35], v[38:39]
	v_mul_f64 v[38:39], v[36:37], v[34:35]
	v_fma_f64 v[32:33], -v[32:33], v[38:39], v[36:37]
	v_div_fmas_f64 v[32:33], v[32:33], v[34:35], v[38:39]
	v_div_fixup_f64 v[32:33], v[32:33], v[30:31], v[28:29]
	v_fmac_f64_e32 v[30:31], v[28:29], v[32:33]
	v_div_scale_f64 v[28:29], s[8:9], v[30:31], v[30:31], 1.0
	v_rcp_f64_e32 v[34:35], v[28:29]
	s_nop 0
	v_fma_f64 v[36:37], -v[28:29], v[34:35], 1.0
	v_fmac_f64_e32 v[34:35], v[34:35], v[36:37]
	v_fma_f64 v[36:37], -v[28:29], v[34:35], 1.0
	v_fmac_f64_e32 v[34:35], v[34:35], v[36:37]
	v_div_scale_f64 v[36:37], vcc, 1.0, v[30:31], 1.0
	v_mul_f64 v[38:39], v[36:37], v[34:35]
	v_fma_f64 v[28:29], -v[28:29], v[38:39], v[36:37]
	s_nop 1
	v_div_fmas_f64 v[28:29], v[28:29], v[34:35], v[38:39]
	v_div_fixup_f64 v[34:35], v[28:29], v[30:31], 1.0
	v_mul_f64 v[32:33], v[32:33], v[34:35]
	v_xor_b32_e32 v35, 0x80000000, v35
                                        ; implicit-def: $vgpr28_vgpr29
.LBB9_23:
	s_andn2_saveexec_b64 s[2:3], s[2:3]
	s_cbranch_execz .LBB9_25
; %bb.24:
	v_div_scale_f64 v[32:33], s[8:9], v[28:29], v[28:29], v[30:31]
	v_rcp_f64_e32 v[34:35], v[32:33]
	v_div_scale_f64 v[36:37], vcc, v[30:31], v[28:29], v[30:31]
	v_fma_f64 v[38:39], -v[32:33], v[34:35], 1.0
	v_fmac_f64_e32 v[34:35], v[34:35], v[38:39]
	v_fma_f64 v[38:39], -v[32:33], v[34:35], 1.0
	v_fmac_f64_e32 v[34:35], v[34:35], v[38:39]
	v_mul_f64 v[38:39], v[36:37], v[34:35]
	v_fma_f64 v[32:33], -v[32:33], v[38:39], v[36:37]
	v_div_fmas_f64 v[32:33], v[32:33], v[34:35], v[38:39]
	v_div_fixup_f64 v[34:35], v[32:33], v[28:29], v[30:31]
	v_fmac_f64_e32 v[28:29], v[30:31], v[34:35]
	v_div_scale_f64 v[30:31], s[8:9], v[28:29], v[28:29], 1.0
	v_rcp_f64_e32 v[32:33], v[30:31]
	s_nop 0
	v_fma_f64 v[36:37], -v[30:31], v[32:33], 1.0
	v_fmac_f64_e32 v[32:33], v[32:33], v[36:37]
	v_fma_f64 v[36:37], -v[30:31], v[32:33], 1.0
	v_fmac_f64_e32 v[32:33], v[32:33], v[36:37]
	v_div_scale_f64 v[36:37], vcc, 1.0, v[28:29], 1.0
	v_mul_f64 v[38:39], v[36:37], v[32:33]
	v_fma_f64 v[30:31], -v[30:31], v[38:39], v[36:37]
	s_nop 1
	v_div_fmas_f64 v[30:31], v[30:31], v[32:33], v[38:39]
	v_div_fixup_f64 v[32:33], v[30:31], v[28:29], 1.0
	v_mul_f64 v[34:35], v[34:35], -v[32:33]
.LBB9_25:
	s_or_b64 exec, exec, s[2:3]
	ds_write2_b64 v53, v[32:33], v[34:35] offset1:1
.LBB9_26:
	s_or_b64 exec, exec, s[4:5]
	s_waitcnt lgkmcnt(0)
	s_barrier
	ds_read2_b64 v[28:31], v53 offset1:1
	v_cmp_lt_u32_e32 vcc, 2, v52
	s_and_saveexec_b64 s[2:3], vcc
	s_cbranch_execz .LBB9_28
; %bb.27:
	ds_read2_b64 v[32:35], v54 offset0:6 offset1:7
	ds_read2_b64 v[36:39], v54 offset0:8 offset1:9
	s_waitcnt vmcnt(2) lgkmcnt(2)
	v_mul_f64 v[56:57], v[28:29], v[14:15]
	v_fmac_f64_e32 v[56:57], v[30:31], v[12:13]
	v_mul_f64 v[14:15], v[30:31], v[14:15]
	v_fma_f64 v[12:13], v[28:29], v[12:13], -v[14:15]
	s_waitcnt lgkmcnt(1)
	v_mul_f64 v[14:15], v[34:35], v[56:57]
	v_fma_f64 v[14:15], v[32:33], v[12:13], -v[14:15]
	v_mul_f64 v[32:33], v[32:33], v[56:57]
	v_fmac_f64_e32 v[32:33], v[34:35], v[12:13]
	s_waitcnt vmcnt(1)
	v_add_f64 v[8:9], v[8:9], -v[14:15]
	v_add_f64 v[10:11], v[10:11], -v[32:33]
	s_waitcnt lgkmcnt(0)
	v_mul_f64 v[14:15], v[38:39], v[56:57]
	v_mul_f64 v[32:33], v[36:37], v[56:57]
	v_fma_f64 v[14:15], v[36:37], v[12:13], -v[14:15]
	v_fmac_f64_e32 v[32:33], v[38:39], v[12:13]
	s_waitcnt vmcnt(0)
	v_add_f64 v[16:17], v[16:17], -v[14:15]
	v_add_f64 v[18:19], v[18:19], -v[32:33]
	v_mov_b64_e32 v[14:15], v[56:57]
.LBB9_28:
	s_or_b64 exec, exec, s[2:3]
	v_cmp_eq_u32_e32 vcc, 3, v52
	s_waitcnt lgkmcnt(0)
	s_barrier
	s_and_saveexec_b64 s[4:5], vcc
	s_cbranch_execz .LBB9_35
; %bb.29:
	s_waitcnt vmcnt(1)
	ds_write2_b64 v53, v[8:9], v[10:11] offset1:1
	s_waitcnt vmcnt(0)
	ds_write2_b64 v54, v[16:17], v[18:19] offset0:8 offset1:9
	ds_read2_b64 v[32:35], v53 offset1:1
	s_waitcnt lgkmcnt(0)
	v_cmp_neq_f64_e32 vcc, 0, v[32:33]
	v_cmp_neq_f64_e64 s[2:3], 0, v[34:35]
	s_or_b64 s[2:3], vcc, s[2:3]
	s_and_b64 exec, exec, s[2:3]
	s_cbranch_execz .LBB9_35
; %bb.30:
	v_cmp_ngt_f64_e64 s[2:3], |v[32:33]|, |v[34:35]|
                                        ; implicit-def: $vgpr36_vgpr37
	s_and_saveexec_b64 s[8:9], s[2:3]
	s_xor_b64 s[2:3], exec, s[8:9]
                                        ; implicit-def: $vgpr38_vgpr39
	s_cbranch_execz .LBB9_32
; %bb.31:
	v_div_scale_f64 v[36:37], s[8:9], v[34:35], v[34:35], v[32:33]
	v_rcp_f64_e32 v[38:39], v[36:37]
	v_div_scale_f64 v[56:57], vcc, v[32:33], v[34:35], v[32:33]
	v_fma_f64 v[58:59], -v[36:37], v[38:39], 1.0
	v_fmac_f64_e32 v[38:39], v[38:39], v[58:59]
	v_fma_f64 v[58:59], -v[36:37], v[38:39], 1.0
	v_fmac_f64_e32 v[38:39], v[38:39], v[58:59]
	v_mul_f64 v[58:59], v[56:57], v[38:39]
	v_fma_f64 v[36:37], -v[36:37], v[58:59], v[56:57]
	v_div_fmas_f64 v[36:37], v[36:37], v[38:39], v[58:59]
	v_div_fixup_f64 v[36:37], v[36:37], v[34:35], v[32:33]
	v_fmac_f64_e32 v[34:35], v[32:33], v[36:37]
	v_div_scale_f64 v[32:33], s[8:9], v[34:35], v[34:35], 1.0
	v_rcp_f64_e32 v[38:39], v[32:33]
	s_nop 0
	v_fma_f64 v[56:57], -v[32:33], v[38:39], 1.0
	v_fmac_f64_e32 v[38:39], v[38:39], v[56:57]
	v_fma_f64 v[56:57], -v[32:33], v[38:39], 1.0
	v_fmac_f64_e32 v[38:39], v[38:39], v[56:57]
	v_div_scale_f64 v[56:57], vcc, 1.0, v[34:35], 1.0
	v_mul_f64 v[58:59], v[56:57], v[38:39]
	v_fma_f64 v[32:33], -v[32:33], v[58:59], v[56:57]
	s_nop 1
	v_div_fmas_f64 v[32:33], v[32:33], v[38:39], v[58:59]
	v_div_fixup_f64 v[38:39], v[32:33], v[34:35], 1.0
	v_mul_f64 v[36:37], v[36:37], v[38:39]
	v_xor_b32_e32 v39, 0x80000000, v39
                                        ; implicit-def: $vgpr32_vgpr33
.LBB9_32:
	s_andn2_saveexec_b64 s[2:3], s[2:3]
	s_cbranch_execz .LBB9_34
; %bb.33:
	v_div_scale_f64 v[36:37], s[8:9], v[32:33], v[32:33], v[34:35]
	v_rcp_f64_e32 v[38:39], v[36:37]
	v_div_scale_f64 v[56:57], vcc, v[34:35], v[32:33], v[34:35]
	v_fma_f64 v[58:59], -v[36:37], v[38:39], 1.0
	v_fmac_f64_e32 v[38:39], v[38:39], v[58:59]
	v_fma_f64 v[58:59], -v[36:37], v[38:39], 1.0
	v_fmac_f64_e32 v[38:39], v[38:39], v[58:59]
	v_mul_f64 v[58:59], v[56:57], v[38:39]
	v_fma_f64 v[36:37], -v[36:37], v[58:59], v[56:57]
	v_div_fmas_f64 v[36:37], v[36:37], v[38:39], v[58:59]
	v_div_fixup_f64 v[38:39], v[36:37], v[32:33], v[34:35]
	v_fmac_f64_e32 v[32:33], v[34:35], v[38:39]
	v_div_scale_f64 v[34:35], s[8:9], v[32:33], v[32:33], 1.0
	v_rcp_f64_e32 v[36:37], v[34:35]
	s_nop 0
	v_fma_f64 v[56:57], -v[34:35], v[36:37], 1.0
	v_fmac_f64_e32 v[36:37], v[36:37], v[56:57]
	v_fma_f64 v[56:57], -v[34:35], v[36:37], 1.0
	v_fmac_f64_e32 v[36:37], v[36:37], v[56:57]
	v_div_scale_f64 v[56:57], vcc, 1.0, v[32:33], 1.0
	v_mul_f64 v[58:59], v[56:57], v[36:37]
	v_fma_f64 v[34:35], -v[34:35], v[58:59], v[56:57]
	s_nop 1
	v_div_fmas_f64 v[34:35], v[34:35], v[36:37], v[58:59]
	v_div_fixup_f64 v[36:37], v[34:35], v[32:33], 1.0
	v_mul_f64 v[38:39], v[38:39], -v[36:37]
.LBB9_34:
	s_or_b64 exec, exec, s[2:3]
	ds_write2_b64 v53, v[36:37], v[38:39] offset1:1
.LBB9_35:
	s_or_b64 exec, exec, s[4:5]
	s_waitcnt lgkmcnt(0)
	s_barrier
	ds_read2_b64 v[32:35], v53 offset1:1
	v_cmp_lt_u32_e32 vcc, 3, v52
	s_and_saveexec_b64 s[2:3], vcc
	s_cbranch_execz .LBB9_37
; %bb.36:
	ds_read2_b64 v[36:39], v54 offset0:8 offset1:9
	s_waitcnt vmcnt(1) lgkmcnt(1)
	v_mul_f64 v[54:55], v[32:33], v[10:11]
	v_mul_f64 v[10:11], v[34:35], v[10:11]
	v_fmac_f64_e32 v[54:55], v[34:35], v[8:9]
	v_fma_f64 v[8:9], v[32:33], v[8:9], -v[10:11]
	s_waitcnt lgkmcnt(0)
	v_mul_f64 v[10:11], v[38:39], v[54:55]
	v_fma_f64 v[10:11], v[36:37], v[8:9], -v[10:11]
	v_mul_f64 v[36:37], v[36:37], v[54:55]
	v_fmac_f64_e32 v[36:37], v[38:39], v[8:9]
	s_waitcnt vmcnt(0)
	v_add_f64 v[16:17], v[16:17], -v[10:11]
	v_add_f64 v[18:19], v[18:19], -v[36:37]
	v_mov_b64_e32 v[10:11], v[54:55]
.LBB9_37:
	s_or_b64 exec, exec, s[2:3]
	v_cmp_eq_u32_e32 vcc, 4, v52
	s_waitcnt lgkmcnt(0)
	s_barrier
	s_and_saveexec_b64 s[4:5], vcc
	s_cbranch_execz .LBB9_44
; %bb.38:
	s_waitcnt vmcnt(0)
	v_cmp_neq_f64_e32 vcc, 0, v[16:17]
	v_cmp_neq_f64_e64 s[2:3], 0, v[18:19]
	s_or_b64 s[2:3], vcc, s[2:3]
	ds_write2_b64 v53, v[16:17], v[18:19] offset1:1
	s_and_b64 exec, exec, s[2:3]
	s_cbranch_execz .LBB9_44
; %bb.39:
	v_cmp_ngt_f64_e64 s[2:3], |v[16:17]|, |v[18:19]|
                                        ; implicit-def: $vgpr36_vgpr37
	s_and_saveexec_b64 s[8:9], s[2:3]
	s_xor_b64 s[2:3], exec, s[8:9]
                                        ; implicit-def: $vgpr38_vgpr39
	s_cbranch_execz .LBB9_41
; %bb.40:
	v_div_scale_f64 v[36:37], s[8:9], v[18:19], v[18:19], v[16:17]
	v_rcp_f64_e32 v[38:39], v[36:37]
	v_div_scale_f64 v[54:55], vcc, v[16:17], v[18:19], v[16:17]
	v_fma_f64 v[56:57], -v[36:37], v[38:39], 1.0
	v_fmac_f64_e32 v[38:39], v[38:39], v[56:57]
	v_fma_f64 v[56:57], -v[36:37], v[38:39], 1.0
	v_fmac_f64_e32 v[38:39], v[38:39], v[56:57]
	v_mul_f64 v[56:57], v[54:55], v[38:39]
	v_fma_f64 v[36:37], -v[36:37], v[56:57], v[54:55]
	v_div_fmas_f64 v[36:37], v[36:37], v[38:39], v[56:57]
	v_div_fixup_f64 v[36:37], v[36:37], v[18:19], v[16:17]
	v_fma_f64 v[38:39], v[16:17], v[36:37], v[18:19]
	v_div_scale_f64 v[54:55], s[8:9], v[38:39], v[38:39], 1.0
	v_rcp_f64_e32 v[56:57], v[54:55]
	s_nop 0
	v_fma_f64 v[58:59], -v[54:55], v[56:57], 1.0
	v_fmac_f64_e32 v[56:57], v[56:57], v[58:59]
	v_fma_f64 v[58:59], -v[54:55], v[56:57], 1.0
	v_fmac_f64_e32 v[56:57], v[56:57], v[58:59]
	v_div_scale_f64 v[58:59], vcc, 1.0, v[38:39], 1.0
	v_mul_f64 v[60:61], v[58:59], v[56:57]
	v_fma_f64 v[54:55], -v[54:55], v[60:61], v[58:59]
	s_nop 1
	v_div_fmas_f64 v[54:55], v[54:55], v[56:57], v[60:61]
	v_div_fixup_f64 v[38:39], v[54:55], v[38:39], 1.0
	v_mul_f64 v[36:37], v[36:37], v[38:39]
	v_xor_b32_e32 v39, 0x80000000, v39
.LBB9_41:
	s_andn2_saveexec_b64 s[2:3], s[2:3]
	s_cbranch_execz .LBB9_43
; %bb.42:
	v_div_scale_f64 v[36:37], s[8:9], v[16:17], v[16:17], v[18:19]
	v_rcp_f64_e32 v[38:39], v[36:37]
	v_div_scale_f64 v[54:55], vcc, v[18:19], v[16:17], v[18:19]
	v_fma_f64 v[56:57], -v[36:37], v[38:39], 1.0
	v_fmac_f64_e32 v[38:39], v[38:39], v[56:57]
	v_fma_f64 v[56:57], -v[36:37], v[38:39], 1.0
	v_fmac_f64_e32 v[38:39], v[38:39], v[56:57]
	v_mul_f64 v[56:57], v[54:55], v[38:39]
	v_fma_f64 v[36:37], -v[36:37], v[56:57], v[54:55]
	v_div_fmas_f64 v[36:37], v[36:37], v[38:39], v[56:57]
	v_div_fixup_f64 v[38:39], v[36:37], v[16:17], v[18:19]
	v_fma_f64 v[36:37], v[18:19], v[38:39], v[16:17]
	v_div_scale_f64 v[54:55], s[8:9], v[36:37], v[36:37], 1.0
	v_rcp_f64_e32 v[56:57], v[54:55]
	s_nop 0
	v_fma_f64 v[58:59], -v[54:55], v[56:57], 1.0
	v_fmac_f64_e32 v[56:57], v[56:57], v[58:59]
	v_fma_f64 v[58:59], -v[54:55], v[56:57], 1.0
	v_fmac_f64_e32 v[56:57], v[56:57], v[58:59]
	v_div_scale_f64 v[58:59], vcc, 1.0, v[36:37], 1.0
	v_mul_f64 v[60:61], v[58:59], v[56:57]
	v_fma_f64 v[54:55], -v[54:55], v[60:61], v[58:59]
	s_nop 1
	v_div_fmas_f64 v[54:55], v[54:55], v[56:57], v[60:61]
	v_div_fixup_f64 v[36:37], v[54:55], v[36:37], 1.0
	v_mul_f64 v[38:39], v[38:39], -v[36:37]
.LBB9_43:
	s_or_b64 exec, exec, s[2:3]
	ds_write2_b64 v53, v[36:37], v[38:39] offset1:1
.LBB9_44:
	s_or_b64 exec, exec, s[4:5]
	s_waitcnt lgkmcnt(0)
	s_barrier
	ds_read2_b64 v[36:39], v53 offset1:1
	s_waitcnt lgkmcnt(0)
	s_barrier
	s_and_saveexec_b64 s[20:21], s[0:1]
	s_cbranch_execz .LBB9_47
; %bb.45:
	v_mov_b32_e32 v54, s6
	v_mov_b32_e32 v55, s7
	v_lshl_add_u64 v[46:47], v[46:47], 2, v[54:55]
	global_load_dword v53, v[46:47], off
	v_cmp_eq_f64_e32 vcc, 0, v[20:21]
	v_cmp_eq_f64_e64 s[0:1], 0, v[22:23]
	v_cmp_neq_f64_e64 s[2:3], 0, v[24:25]
	v_cmp_neq_f64_e64 s[4:5], 0, v[26:27]
	s_and_b64 s[0:1], vcc, s[0:1]
	s_or_b64 s[2:3], s[2:3], s[4:5]
	v_cndmask_b32_e64 v20, 0, 1, s[0:1]
	s_or_b64 vcc, s[2:3], s[0:1]
	v_cmp_eq_f64_e64 s[6:7], 0, v[28:29]
	v_cmp_eq_f64_e64 s[8:9], 0, v[30:31]
	v_cndmask_b32_e32 v20, 2, v20, vcc
	s_and_b64 s[4:5], s[6:7], s[8:9]
	v_cmp_eq_u32_e32 vcc, 0, v20
	s_and_b64 s[0:1], s[4:5], vcc
	v_cmp_eq_f64_e64 s[10:11], 0, v[32:33]
	v_cmp_eq_f64_e64 s[12:13], 0, v[34:35]
	v_cndmask_b32_e64 v20, v20, 3, s[0:1]
	s_and_b64 s[6:7], s[10:11], s[12:13]
	v_cmp_eq_u32_e32 vcc, 0, v20
	s_and_b64 s[0:1], s[6:7], vcc
	v_cmp_eq_f64_e64 s[14:15], 0, v[36:37]
	v_cmp_eq_f64_e64 s[16:17], 0, v[38:39]
	v_cndmask_b32_e64 v20, v20, 4, s[0:1]
	s_and_b64 s[8:9], s[14:15], s[16:17]
	v_cmp_eq_u32_e32 vcc, 0, v20
	s_and_b64 s[0:1], s[8:9], vcc
	v_cndmask_b32_e64 v20, v20, 5, s[0:1]
	v_cmp_ne_u32_e64 s[0:1], 0, v20
	s_waitcnt vmcnt(0)
	v_cmp_eq_u32_e32 vcc, 0, v53
	s_and_b64 s[0:1], vcc, s[0:1]
	s_and_b64 exec, exec, s[0:1]
	s_cbranch_execz .LBB9_47
; %bb.46:
	v_add_u32_e32 v20, s19, v20
	global_store_dword v[46:47], v20, off
.LBB9_47:
	s_or_b64 exec, exec, s[20:21]
	s_waitcnt vmcnt(0)
	v_mul_f64 v[20:21], v[38:39], v[18:19]
	v_mul_f64 v[22:23], v[36:37], v[18:19]
	v_fma_f64 v[20:21], v[36:37], v[16:17], -v[20:21]
	v_fmac_f64_e32 v[22:23], v[38:39], v[16:17]
	v_cmp_lt_u32_e32 vcc, 4, v52
	s_nop 1
	v_cndmask_b32_e32 v19, v19, v23, vcc
	v_cndmask_b32_e32 v18, v18, v22, vcc
	v_cndmask_b32_e32 v17, v17, v21, vcc
	v_cndmask_b32_e32 v16, v16, v20, vcc
	global_store_dwordx4 v[40:41], v[4:7], off
	global_store_dwordx4 v[42:43], v[0:3], off
	;; [unrolled: 1-line block ×5, first 2 shown]
.LBB9_48:
	s_endpgm
	.section	.rodata,"a",@progbits
	.p2align	6, 0x0
	.amdhsa_kernel _ZN9rocsolver6v33100L23getf2_npvt_small_kernelILi5E19rocblas_complex_numIdEiiPS3_EEvT1_T3_lS5_lPT2_S5_S5_
		.amdhsa_group_segment_fixed_size 0
		.amdhsa_private_segment_fixed_size 0
		.amdhsa_kernarg_size 312
		.amdhsa_user_sgpr_count 2
		.amdhsa_user_sgpr_dispatch_ptr 0
		.amdhsa_user_sgpr_queue_ptr 0
		.amdhsa_user_sgpr_kernarg_segment_ptr 1
		.amdhsa_user_sgpr_dispatch_id 0
		.amdhsa_user_sgpr_kernarg_preload_length 0
		.amdhsa_user_sgpr_kernarg_preload_offset 0
		.amdhsa_user_sgpr_private_segment_size 0
		.amdhsa_uses_dynamic_stack 0
		.amdhsa_enable_private_segment 0
		.amdhsa_system_sgpr_workgroup_id_x 1
		.amdhsa_system_sgpr_workgroup_id_y 1
		.amdhsa_system_sgpr_workgroup_id_z 0
		.amdhsa_system_sgpr_workgroup_info 0
		.amdhsa_system_vgpr_workitem_id 1
		.amdhsa_next_free_vgpr 62
		.amdhsa_next_free_sgpr 22
		.amdhsa_accum_offset 64
		.amdhsa_reserve_vcc 1
		.amdhsa_float_round_mode_32 0
		.amdhsa_float_round_mode_16_64 0
		.amdhsa_float_denorm_mode_32 3
		.amdhsa_float_denorm_mode_16_64 3
		.amdhsa_dx10_clamp 1
		.amdhsa_ieee_mode 1
		.amdhsa_fp16_overflow 0
		.amdhsa_tg_split 0
		.amdhsa_exception_fp_ieee_invalid_op 0
		.amdhsa_exception_fp_denorm_src 0
		.amdhsa_exception_fp_ieee_div_zero 0
		.amdhsa_exception_fp_ieee_overflow 0
		.amdhsa_exception_fp_ieee_underflow 0
		.amdhsa_exception_fp_ieee_inexact 0
		.amdhsa_exception_int_div_zero 0
	.end_amdhsa_kernel
	.section	.text._ZN9rocsolver6v33100L23getf2_npvt_small_kernelILi5E19rocblas_complex_numIdEiiPS3_EEvT1_T3_lS5_lPT2_S5_S5_,"axG",@progbits,_ZN9rocsolver6v33100L23getf2_npvt_small_kernelILi5E19rocblas_complex_numIdEiiPS3_EEvT1_T3_lS5_lPT2_S5_S5_,comdat
.Lfunc_end9:
	.size	_ZN9rocsolver6v33100L23getf2_npvt_small_kernelILi5E19rocblas_complex_numIdEiiPS3_EEvT1_T3_lS5_lPT2_S5_S5_, .Lfunc_end9-_ZN9rocsolver6v33100L23getf2_npvt_small_kernelILi5E19rocblas_complex_numIdEiiPS3_EEvT1_T3_lS5_lPT2_S5_S5_
                                        ; -- End function
	.set _ZN9rocsolver6v33100L23getf2_npvt_small_kernelILi5E19rocblas_complex_numIdEiiPS3_EEvT1_T3_lS5_lPT2_S5_S5_.num_vgpr, 62
	.set _ZN9rocsolver6v33100L23getf2_npvt_small_kernelILi5E19rocblas_complex_numIdEiiPS3_EEvT1_T3_lS5_lPT2_S5_S5_.num_agpr, 0
	.set _ZN9rocsolver6v33100L23getf2_npvt_small_kernelILi5E19rocblas_complex_numIdEiiPS3_EEvT1_T3_lS5_lPT2_S5_S5_.numbered_sgpr, 22
	.set _ZN9rocsolver6v33100L23getf2_npvt_small_kernelILi5E19rocblas_complex_numIdEiiPS3_EEvT1_T3_lS5_lPT2_S5_S5_.num_named_barrier, 0
	.set _ZN9rocsolver6v33100L23getf2_npvt_small_kernelILi5E19rocblas_complex_numIdEiiPS3_EEvT1_T3_lS5_lPT2_S5_S5_.private_seg_size, 0
	.set _ZN9rocsolver6v33100L23getf2_npvt_small_kernelILi5E19rocblas_complex_numIdEiiPS3_EEvT1_T3_lS5_lPT2_S5_S5_.uses_vcc, 1
	.set _ZN9rocsolver6v33100L23getf2_npvt_small_kernelILi5E19rocblas_complex_numIdEiiPS3_EEvT1_T3_lS5_lPT2_S5_S5_.uses_flat_scratch, 0
	.set _ZN9rocsolver6v33100L23getf2_npvt_small_kernelILi5E19rocblas_complex_numIdEiiPS3_EEvT1_T3_lS5_lPT2_S5_S5_.has_dyn_sized_stack, 0
	.set _ZN9rocsolver6v33100L23getf2_npvt_small_kernelILi5E19rocblas_complex_numIdEiiPS3_EEvT1_T3_lS5_lPT2_S5_S5_.has_recursion, 0
	.set _ZN9rocsolver6v33100L23getf2_npvt_small_kernelILi5E19rocblas_complex_numIdEiiPS3_EEvT1_T3_lS5_lPT2_S5_S5_.has_indirect_call, 0
	.section	.AMDGPU.csdata,"",@progbits
; Kernel info:
; codeLenInByte = 3964
; TotalNumSgprs: 28
; NumVgprs: 62
; NumAgprs: 0
; TotalNumVgprs: 62
; ScratchSize: 0
; MemoryBound: 0
; FloatMode: 240
; IeeeMode: 1
; LDSByteSize: 0 bytes/workgroup (compile time only)
; SGPRBlocks: 3
; VGPRBlocks: 7
; NumSGPRsForWavesPerEU: 28
; NumVGPRsForWavesPerEU: 62
; AccumOffset: 64
; Occupancy: 8
; WaveLimiterHint : 0
; COMPUTE_PGM_RSRC2:SCRATCH_EN: 0
; COMPUTE_PGM_RSRC2:USER_SGPR: 2
; COMPUTE_PGM_RSRC2:TRAP_HANDLER: 0
; COMPUTE_PGM_RSRC2:TGID_X_EN: 1
; COMPUTE_PGM_RSRC2:TGID_Y_EN: 1
; COMPUTE_PGM_RSRC2:TGID_Z_EN: 0
; COMPUTE_PGM_RSRC2:TIDIG_COMP_CNT: 1
; COMPUTE_PGM_RSRC3_GFX90A:ACCUM_OFFSET: 15
; COMPUTE_PGM_RSRC3_GFX90A:TG_SPLIT: 0
	.section	.text._ZN9rocsolver6v33100L18getf2_small_kernelILi6E19rocblas_complex_numIdEiiPS3_EEvT1_T3_lS5_lPS5_llPT2_S5_S5_S7_l,"axG",@progbits,_ZN9rocsolver6v33100L18getf2_small_kernelILi6E19rocblas_complex_numIdEiiPS3_EEvT1_T3_lS5_lPS5_llPT2_S5_S5_S7_l,comdat
	.globl	_ZN9rocsolver6v33100L18getf2_small_kernelILi6E19rocblas_complex_numIdEiiPS3_EEvT1_T3_lS5_lPS5_llPT2_S5_S5_S7_l ; -- Begin function _ZN9rocsolver6v33100L18getf2_small_kernelILi6E19rocblas_complex_numIdEiiPS3_EEvT1_T3_lS5_lPS5_llPT2_S5_S5_S7_l
	.p2align	8
	.type	_ZN9rocsolver6v33100L18getf2_small_kernelILi6E19rocblas_complex_numIdEiiPS3_EEvT1_T3_lS5_lPS5_llPT2_S5_S5_S7_l,@function
_ZN9rocsolver6v33100L18getf2_small_kernelILi6E19rocblas_complex_numIdEiiPS3_EEvT1_T3_lS5_lPS5_llPT2_S5_S5_S7_l: ; @_ZN9rocsolver6v33100L18getf2_small_kernelILi6E19rocblas_complex_numIdEiiPS3_EEvT1_T3_lS5_lPS5_llPT2_S5_S5_S7_l
; %bb.0:
	s_load_dword s2, s[0:1], 0x6c
	s_load_dwordx2 s[12:13], s[0:1], 0x48
	v_bfe_u32 v24, v0, 10, 10
	s_waitcnt lgkmcnt(0)
	s_lshr_b32 s2, s2, 16
	s_mul_i32 s3, s3, s2
	v_add_u32_e32 v30, s3, v24
	v_cmp_gt_i32_e32 vcc, s12, v30
	s_and_saveexec_b64 s[2:3], vcc
	s_cbranch_execz .LBB10_127
; %bb.1:
	s_load_dwordx4 s[4:7], s[0:1], 0x50
	v_ashrrev_i32_e32 v31, 31, v30
	v_mov_b64_e32 v[32:33], 0
	s_waitcnt lgkmcnt(0)
	s_cmp_eq_u64 s[4:5], 0
	s_cselect_b64 s[14:15], -1, 0
	s_and_b64 vcc, exec, s[14:15]
	s_cbranch_vccnz .LBB10_3
; %bb.2:
	v_mul_lo_u32 v1, s7, v30
	v_mul_lo_u32 v4, s6, v31
	v_mad_u64_u32 v[2:3], s[2:3], s6, v30, 0
	v_add3_u32 v3, v3, v4, v1
	v_lshl_add_u64 v[32:33], v[2:3], 2, s[4:5]
.LBB10_3:
	s_load_dwordx4 s[16:19], s[0:1], 0x8
	s_load_dwordx8 s[4:11], s[0:1], 0x20
	s_load_dword s2, s[0:1], 0x18
	v_and_b32_e32 v38, 0x3ff, v0
	v_lshlrev_b32_e32 v34, 4, v38
	s_waitcnt lgkmcnt(0)
	v_mov_b32_e32 v2, s16
	v_mul_lo_u32 v1, s5, v30
	v_mul_lo_u32 v6, s4, v31
	v_mad_u64_u32 v[4:5], s[4:5], s4, v30, 0
	v_mov_b32_e32 v3, s17
	v_add3_u32 v5, v5, v6, v1
	v_lshl_add_u64 v[2:3], v[4:5], 4, v[2:3]
	v_lshl_add_u64 v[28:29], s[18:19], 4, v[2:3]
	v_mov_b32_e32 v35, 0
	v_lshl_add_u64 v[0:1], v[28:29], 0, v[34:35]
	s_ashr_i32 s3, s2, 31
	s_add_i32 s12, s2, s2
	v_lshl_add_u64 v[2:3], s[2:3], 4, v[0:1]
	global_load_dwordx4 v[12:15], v[0:1], off
	global_load_dwordx4 v[8:11], v[2:3], off
	v_add_u32_e32 v0, s12, v38
	v_ashrrev_i32_e32 v1, 31, v0
	v_add_u32_e32 v6, s2, v0
	v_lshl_add_u64 v[4:5], v[0:1], 4, v[28:29]
	v_ashrrev_i32_e32 v7, 31, v6
	v_lshl_add_u64 v[20:21], v[6:7], 4, v[28:29]
	global_load_dwordx4 v[16:19], v[4:5], off
	global_load_dwordx4 v[0:3], v[20:21], off
	v_add_u32_e32 v4, s2, v6
	v_ashrrev_i32_e32 v5, 31, v4
	v_lshl_add_u64 v[26:27], v[4:5], 4, v[28:29]
	v_add_u32_e32 v4, s2, v4
	v_ashrrev_i32_e32 v5, 31, v4
	v_lshl_add_u64 v[36:37], v[4:5], 4, v[28:29]
	global_load_dwordx4 v[4:7], v[26:27], off
	global_load_dwordx4 v[20:23], v[36:37], off
	s_load_dword s20, s[0:1], 0x0
	s_load_dwordx2 s[4:5], s[0:1], 0x40
	s_waitcnt lgkmcnt(0)
	s_max_i32 s0, s20, 6
	v_mul_lo_u32 v37, s0, v24
	v_lshl_add_u32 v36, v37, 4, 0
	v_add_u32_e32 v24, v36, v34
	s_cmp_lt_i32 s20, 2
	v_lshlrev_b32_e32 v37, 4, v37
	s_waitcnt vmcnt(5)
	ds_write2_b64 v24, v[12:13], v[14:15] offset1:1
	s_waitcnt lgkmcnt(0)
	s_barrier
	ds_read2_b64 v[24:27], v36 offset1:1
	s_cbranch_scc1 .LBB10_6
; %bb.4:
	v_add3_u32 v34, v37, 0, 16
	s_mov_b32 s16, 1
	v_mov_b32_e32 v35, 0
.LBB10_5:                               ; =>This Inner Loop Header: Depth=1
	ds_read2_b64 v[40:43], v34 offset1:1
	s_waitcnt lgkmcnt(1)
	v_xor_b32_e32 v39, 0x80000000, v25
	v_xor_b32_e32 v47, 0x80000000, v27
	v_cmp_gt_f64_e32 vcc, 0, v[26:27]
	v_cmp_gt_f64_e64 s[0:1], 0, v[24:25]
	v_mov_b32_e32 v44, v24
	v_mov_b32_e32 v46, v26
	v_cndmask_b32_e64 v45, v25, v39, s[0:1]
	v_cndmask_b32_e32 v47, v27, v47, vcc
	s_waitcnt lgkmcnt(0)
	v_xor_b32_e32 v39, 0x80000000, v41
	v_xor_b32_e32 v49, 0x80000000, v43
	v_cmp_gt_f64_e32 vcc, 0, v[42:43]
	v_cmp_gt_f64_e64 s[0:1], 0, v[40:41]
	v_add_f64 v[44:45], v[44:45], v[46:47]
	v_mov_b32_e32 v46, v40
	v_mov_b32_e32 v48, v42
	v_cndmask_b32_e64 v47, v41, v39, s[0:1]
	v_cndmask_b32_e32 v49, v43, v49, vcc
	v_add_f64 v[46:47], v[46:47], v[48:49]
	v_mov_b32_e32 v50, s16
	s_add_i32 s16, s16, 1
	v_cmp_lt_f64_e32 vcc, v[44:45], v[46:47]
	v_add_u32_e32 v34, 16, v34
	s_cmp_eq_u32 s20, s16
	v_cndmask_b32_e32 v25, v25, v41, vcc
	v_cndmask_b32_e32 v24, v24, v40, vcc
	v_cndmask_b32_e32 v27, v27, v43, vcc
	v_cndmask_b32_e32 v26, v26, v42, vcc
	v_cndmask_b32_e32 v35, v35, v50, vcc
	s_cbranch_scc0 .LBB10_5
.LBB10_6:
	s_waitcnt lgkmcnt(0)
	v_cmp_neq_f64_e32 vcc, 0, v[24:25]
	v_cmp_neq_f64_e64 s[0:1], 0, v[26:27]
	s_or_b64 s[16:17], vcc, s[0:1]
	v_mov_b32_e32 v39, 1
	v_mov_b32_e32 v40, 1
	s_and_saveexec_b64 s[0:1], s[16:17]
	s_cbranch_execz .LBB10_12
; %bb.7:
	v_cmp_ngt_f64_e64 s[16:17], |v[24:25]|, |v[26:27]|
	s_and_saveexec_b64 s[18:19], s[16:17]
	s_xor_b64 s[16:17], exec, s[18:19]
	s_cbranch_execz .LBB10_9
; %bb.8:
	v_div_scale_f64 v[40:41], s[18:19], v[26:27], v[26:27], v[24:25]
	v_rcp_f64_e32 v[42:43], v[40:41]
	v_div_scale_f64 v[44:45], vcc, v[24:25], v[26:27], v[24:25]
	v_fma_f64 v[46:47], -v[40:41], v[42:43], 1.0
	v_fmac_f64_e32 v[42:43], v[42:43], v[46:47]
	v_fma_f64 v[46:47], -v[40:41], v[42:43], 1.0
	v_fmac_f64_e32 v[42:43], v[42:43], v[46:47]
	v_mul_f64 v[46:47], v[44:45], v[42:43]
	v_fma_f64 v[40:41], -v[40:41], v[46:47], v[44:45]
	v_div_fmas_f64 v[40:41], v[40:41], v[42:43], v[46:47]
	v_div_fixup_f64 v[40:41], v[40:41], v[26:27], v[24:25]
	v_fmac_f64_e32 v[26:27], v[24:25], v[40:41]
	v_div_scale_f64 v[24:25], s[18:19], v[26:27], v[26:27], 1.0
	v_rcp_f64_e32 v[42:43], v[24:25]
	s_nop 0
	v_fma_f64 v[44:45], -v[24:25], v[42:43], 1.0
	v_fmac_f64_e32 v[42:43], v[42:43], v[44:45]
	v_fma_f64 v[44:45], -v[24:25], v[42:43], 1.0
	v_fmac_f64_e32 v[42:43], v[42:43], v[44:45]
	v_div_scale_f64 v[44:45], vcc, 1.0, v[26:27], 1.0
	v_mul_f64 v[46:47], v[44:45], v[42:43]
	v_fma_f64 v[24:25], -v[24:25], v[46:47], v[44:45]
	s_nop 1
	v_div_fmas_f64 v[24:25], v[24:25], v[42:43], v[46:47]
	v_div_fixup_f64 v[26:27], v[24:25], v[26:27], 1.0
	v_mul_f64 v[24:25], v[40:41], v[26:27]
	v_xor_b32_e32 v27, 0x80000000, v27
.LBB10_9:
	s_andn2_saveexec_b64 s[16:17], s[16:17]
	s_cbranch_execz .LBB10_11
; %bb.10:
	v_div_scale_f64 v[40:41], s[18:19], v[24:25], v[24:25], v[26:27]
	v_rcp_f64_e32 v[42:43], v[40:41]
	v_div_scale_f64 v[44:45], vcc, v[26:27], v[24:25], v[26:27]
	v_fma_f64 v[46:47], -v[40:41], v[42:43], 1.0
	v_fmac_f64_e32 v[42:43], v[42:43], v[46:47]
	v_fma_f64 v[46:47], -v[40:41], v[42:43], 1.0
	v_fmac_f64_e32 v[42:43], v[42:43], v[46:47]
	v_mul_f64 v[46:47], v[44:45], v[42:43]
	v_fma_f64 v[40:41], -v[40:41], v[46:47], v[44:45]
	v_div_fmas_f64 v[40:41], v[40:41], v[42:43], v[46:47]
	v_div_fixup_f64 v[40:41], v[40:41], v[24:25], v[26:27]
	v_fmac_f64_e32 v[24:25], v[26:27], v[40:41]
	v_div_scale_f64 v[26:27], s[18:19], v[24:25], v[24:25], 1.0
	v_rcp_f64_e32 v[42:43], v[26:27]
	s_nop 0
	v_fma_f64 v[44:45], -v[26:27], v[42:43], 1.0
	v_fmac_f64_e32 v[42:43], v[42:43], v[44:45]
	v_fma_f64 v[44:45], -v[26:27], v[42:43], 1.0
	v_fmac_f64_e32 v[42:43], v[42:43], v[44:45]
	v_div_scale_f64 v[44:45], vcc, 1.0, v[24:25], 1.0
	v_mul_f64 v[46:47], v[44:45], v[42:43]
	v_fma_f64 v[26:27], -v[26:27], v[46:47], v[44:45]
	s_nop 1
	v_div_fmas_f64 v[26:27], v[26:27], v[42:43], v[46:47]
	v_div_fixup_f64 v[24:25], v[26:27], v[24:25], 1.0
	v_mul_f64 v[26:27], v[40:41], -v[24:25]
.LBB10_11:
	s_or_b64 exec, exec, s[16:17]
	v_mov_b32_e32 v40, 0
	v_mov_b32_e32 v39, 2
.LBB10_12:
	s_or_b64 exec, exec, s[0:1]
	v_cmp_ne_u32_e32 vcc, v38, v35
	s_and_saveexec_b64 s[0:1], vcc
	s_xor_b64 s[0:1], exec, s[0:1]
	s_cbranch_execz .LBB10_18
; %bb.13:
	v_cmp_eq_u32_e32 vcc, 0, v38
	s_and_saveexec_b64 s[16:17], vcc
	s_cbranch_execz .LBB10_17
; %bb.14:
	v_cmp_ne_u32_e32 vcc, 0, v35
	s_xor_b64 s[18:19], s[14:15], -1
	s_and_b64 s[22:23], s[18:19], vcc
	s_and_saveexec_b64 s[18:19], s[22:23]
	s_cbranch_execz .LBB10_16
; %bb.15:
	v_ashrrev_i32_e32 v43, 31, v35
	v_mov_b32_e32 v42, v35
	v_lshl_add_u64 v[42:43], v[42:43], 2, v[32:33]
	global_load_dword v34, v[42:43], off
	global_load_dword v38, v[32:33], off
	s_waitcnt vmcnt(1)
	global_store_dword v[32:33], v34, off
	s_waitcnt vmcnt(1)
	global_store_dword v[42:43], v38, off
.LBB10_16:
	s_or_b64 exec, exec, s[18:19]
	v_mov_b32_e32 v38, v35
.LBB10_17:
	s_or_b64 exec, exec, s[16:17]
.LBB10_18:
	s_or_saveexec_b64 s[0:1], s[0:1]
	v_mov_b32_e32 v35, v38
	s_xor_b64 exec, exec, s[0:1]
	s_cbranch_execz .LBB10_20
; %bb.19:
	v_mov_b32_e32 v35, 0
	s_waitcnt vmcnt(4)
	ds_write2_b64 v36, v[8:9], v[10:11] offset0:2 offset1:3
	s_waitcnt vmcnt(3)
	ds_write2_b64 v36, v[16:17], v[18:19] offset0:4 offset1:5
	;; [unrolled: 2-line block ×5, first 2 shown]
.LBB10_20:
	s_or_b64 exec, exec, s[0:1]
	v_cmp_lt_i32_e32 vcc, 0, v35
	s_waitcnt lgkmcnt(0)
	s_barrier
	s_and_saveexec_b64 s[0:1], vcc
	s_cbranch_execz .LBB10_22
; %bb.21:
	ds_read2_b64 v[42:45], v36 offset0:2 offset1:3
	v_mul_f64 v[46:47], v[24:25], v[14:15]
	v_fmac_f64_e32 v[46:47], v[26:27], v[12:13]
	v_mul_f64 v[14:15], v[26:27], v[14:15]
	v_fma_f64 v[12:13], v[24:25], v[12:13], -v[14:15]
	ds_read2_b64 v[24:27], v36 offset0:4 offset1:5
	s_waitcnt lgkmcnt(1)
	v_mul_f64 v[14:15], v[44:45], v[46:47]
	v_fma_f64 v[14:15], v[42:43], v[12:13], -v[14:15]
	v_mul_f64 v[42:43], v[42:43], v[46:47]
	v_fmac_f64_e32 v[42:43], v[44:45], v[12:13]
	s_waitcnt vmcnt(4)
	v_add_f64 v[10:11], v[10:11], -v[42:43]
	ds_read2_b64 v[42:45], v36 offset0:6 offset1:7
	v_add_f64 v[8:9], v[8:9], -v[14:15]
	s_waitcnt lgkmcnt(1)
	v_mul_f64 v[14:15], v[26:27], v[46:47]
	v_fma_f64 v[14:15], v[24:25], v[12:13], -v[14:15]
	v_mul_f64 v[24:25], v[24:25], v[46:47]
	v_fmac_f64_e32 v[24:25], v[26:27], v[12:13]
	s_waitcnt vmcnt(3)
	v_add_f64 v[16:17], v[16:17], -v[14:15]
	v_add_f64 v[18:19], v[18:19], -v[24:25]
	ds_read2_b64 v[24:27], v36 offset0:8 offset1:9
	s_waitcnt lgkmcnt(1)
	v_mul_f64 v[14:15], v[44:45], v[46:47]
	v_fma_f64 v[14:15], v[42:43], v[12:13], -v[14:15]
	v_mul_f64 v[42:43], v[42:43], v[46:47]
	v_fmac_f64_e32 v[42:43], v[44:45], v[12:13]
	s_waitcnt vmcnt(2)
	v_add_f64 v[2:3], v[2:3], -v[42:43]
	ds_read2_b64 v[42:45], v36 offset0:10 offset1:11
	v_add_f64 v[0:1], v[0:1], -v[14:15]
	s_waitcnt lgkmcnt(1)
	v_mul_f64 v[14:15], v[26:27], v[46:47]
	v_fma_f64 v[14:15], v[24:25], v[12:13], -v[14:15]
	v_mul_f64 v[24:25], v[24:25], v[46:47]
	v_fmac_f64_e32 v[24:25], v[26:27], v[12:13]
	s_waitcnt vmcnt(1)
	v_add_f64 v[4:5], v[4:5], -v[14:15]
	v_add_f64 v[6:7], v[6:7], -v[24:25]
	s_waitcnt lgkmcnt(0)
	v_mul_f64 v[14:15], v[44:45], v[46:47]
	v_mul_f64 v[24:25], v[42:43], v[46:47]
	v_fma_f64 v[14:15], v[42:43], v[12:13], -v[14:15]
	v_fmac_f64_e32 v[24:25], v[44:45], v[12:13]
	s_waitcnt vmcnt(0)
	v_add_f64 v[20:21], v[20:21], -v[14:15]
	v_add_f64 v[22:23], v[22:23], -v[24:25]
	v_mov_b64_e32 v[14:15], v[46:47]
.LBB10_22:
	s_or_b64 exec, exec, s[0:1]
	v_lshl_add_u32 v24, v35, 4, v36
	s_barrier
	s_waitcnt vmcnt(4)
	ds_write2_b64 v24, v[8:9], v[10:11] offset1:1
	s_waitcnt lgkmcnt(0)
	s_barrier
	ds_read2_b64 v[24:27], v36 offset0:2 offset1:3
	s_cmp_lt_i32 s20, 3
	v_mov_b32_e32 v34, 1
	s_cbranch_scc1 .LBB10_25
; %bb.23:
	v_add3_u32 v41, v37, 0, 32
	s_mov_b32 s16, 2
	v_mov_b32_e32 v34, 1
.LBB10_24:                              ; =>This Inner Loop Header: Depth=1
	ds_read2_b64 v[42:45], v41 offset1:1
	s_waitcnt lgkmcnt(1)
	v_xor_b32_e32 v47, 0x80000000, v25
	v_xor_b32_e32 v49, 0x80000000, v27
	v_cmp_gt_f64_e32 vcc, 0, v[26:27]
	v_cmp_gt_f64_e64 s[0:1], 0, v[24:25]
	v_mov_b32_e32 v46, v24
	v_mov_b32_e32 v48, v26
	v_cndmask_b32_e64 v47, v25, v47, s[0:1]
	v_cndmask_b32_e32 v49, v27, v49, vcc
	v_add_f64 v[46:47], v[46:47], v[48:49]
	s_waitcnt lgkmcnt(0)
	v_xor_b32_e32 v49, 0x80000000, v43
	v_xor_b32_e32 v51, 0x80000000, v45
	v_cmp_gt_f64_e32 vcc, 0, v[44:45]
	v_cmp_gt_f64_e64 s[0:1], 0, v[42:43]
	v_mov_b32_e32 v48, v42
	v_mov_b32_e32 v50, v44
	v_cndmask_b32_e64 v49, v43, v49, s[0:1]
	v_cndmask_b32_e32 v51, v45, v51, vcc
	v_add_f64 v[48:49], v[48:49], v[50:51]
	v_mov_b32_e32 v52, s16
	s_add_i32 s16, s16, 1
	v_cmp_lt_f64_e32 vcc, v[46:47], v[48:49]
	v_add_u32_e32 v41, 16, v41
	s_cmp_lg_u32 s20, s16
	v_cndmask_b32_e32 v25, v25, v43, vcc
	v_cndmask_b32_e32 v24, v24, v42, vcc
	;; [unrolled: 1-line block ×5, first 2 shown]
	s_cbranch_scc1 .LBB10_24
.LBB10_25:
	s_waitcnt lgkmcnt(0)
	v_cmp_neq_f64_e32 vcc, 0, v[24:25]
	v_cmp_neq_f64_e64 s[0:1], 0, v[26:27]
	s_or_b64 s[16:17], vcc, s[0:1]
	s_and_saveexec_b64 s[0:1], s[16:17]
	s_cbranch_execz .LBB10_31
; %bb.26:
	v_cmp_ngt_f64_e64 s[16:17], |v[24:25]|, |v[26:27]|
	s_and_saveexec_b64 s[18:19], s[16:17]
	s_xor_b64 s[16:17], exec, s[18:19]
	s_cbranch_execz .LBB10_28
; %bb.27:
	v_div_scale_f64 v[42:43], s[18:19], v[26:27], v[26:27], v[24:25]
	v_rcp_f64_e32 v[44:45], v[42:43]
	v_div_scale_f64 v[46:47], vcc, v[24:25], v[26:27], v[24:25]
	v_fma_f64 v[48:49], -v[42:43], v[44:45], 1.0
	v_fmac_f64_e32 v[44:45], v[44:45], v[48:49]
	v_fma_f64 v[48:49], -v[42:43], v[44:45], 1.0
	v_fmac_f64_e32 v[44:45], v[44:45], v[48:49]
	v_mul_f64 v[48:49], v[46:47], v[44:45]
	v_fma_f64 v[42:43], -v[42:43], v[48:49], v[46:47]
	v_div_fmas_f64 v[42:43], v[42:43], v[44:45], v[48:49]
	v_div_fixup_f64 v[42:43], v[42:43], v[26:27], v[24:25]
	v_fmac_f64_e32 v[26:27], v[24:25], v[42:43]
	v_div_scale_f64 v[24:25], s[18:19], v[26:27], v[26:27], 1.0
	v_rcp_f64_e32 v[44:45], v[24:25]
	s_nop 0
	v_fma_f64 v[46:47], -v[24:25], v[44:45], 1.0
	v_fmac_f64_e32 v[44:45], v[44:45], v[46:47]
	v_fma_f64 v[46:47], -v[24:25], v[44:45], 1.0
	v_fmac_f64_e32 v[44:45], v[44:45], v[46:47]
	v_div_scale_f64 v[46:47], vcc, 1.0, v[26:27], 1.0
	v_mul_f64 v[48:49], v[46:47], v[44:45]
	v_fma_f64 v[24:25], -v[24:25], v[48:49], v[46:47]
	s_nop 1
	v_div_fmas_f64 v[24:25], v[24:25], v[44:45], v[48:49]
	v_div_fixup_f64 v[26:27], v[24:25], v[26:27], 1.0
	v_mul_f64 v[24:25], v[42:43], v[26:27]
	v_xor_b32_e32 v27, 0x80000000, v27
.LBB10_28:
	s_andn2_saveexec_b64 s[16:17], s[16:17]
	s_cbranch_execz .LBB10_30
; %bb.29:
	v_div_scale_f64 v[42:43], s[18:19], v[24:25], v[24:25], v[26:27]
	v_rcp_f64_e32 v[44:45], v[42:43]
	v_div_scale_f64 v[46:47], vcc, v[26:27], v[24:25], v[26:27]
	v_fma_f64 v[48:49], -v[42:43], v[44:45], 1.0
	v_fmac_f64_e32 v[44:45], v[44:45], v[48:49]
	v_fma_f64 v[48:49], -v[42:43], v[44:45], 1.0
	v_fmac_f64_e32 v[44:45], v[44:45], v[48:49]
	v_mul_f64 v[48:49], v[46:47], v[44:45]
	v_fma_f64 v[42:43], -v[42:43], v[48:49], v[46:47]
	v_div_fmas_f64 v[42:43], v[42:43], v[44:45], v[48:49]
	v_div_fixup_f64 v[42:43], v[42:43], v[24:25], v[26:27]
	v_fmac_f64_e32 v[24:25], v[26:27], v[42:43]
	v_div_scale_f64 v[26:27], s[18:19], v[24:25], v[24:25], 1.0
	v_rcp_f64_e32 v[44:45], v[26:27]
	s_nop 0
	v_fma_f64 v[46:47], -v[26:27], v[44:45], 1.0
	v_fmac_f64_e32 v[44:45], v[44:45], v[46:47]
	v_fma_f64 v[46:47], -v[26:27], v[44:45], 1.0
	v_fmac_f64_e32 v[44:45], v[44:45], v[46:47]
	v_div_scale_f64 v[46:47], vcc, 1.0, v[24:25], 1.0
	v_mul_f64 v[48:49], v[46:47], v[44:45]
	v_fma_f64 v[26:27], -v[26:27], v[48:49], v[46:47]
	s_nop 1
	v_div_fmas_f64 v[26:27], v[26:27], v[44:45], v[48:49]
	v_div_fixup_f64 v[24:25], v[26:27], v[24:25], 1.0
	v_mul_f64 v[26:27], v[42:43], -v[24:25]
.LBB10_30:
	s_or_b64 exec, exec, s[16:17]
	v_mov_b32_e32 v39, v40
.LBB10_31:
	s_or_b64 exec, exec, s[0:1]
	v_cmp_ne_u32_e32 vcc, v35, v34
	s_and_saveexec_b64 s[0:1], vcc
	s_xor_b64 s[0:1], exec, s[0:1]
	s_cbranch_execz .LBB10_37
; %bb.32:
	v_cmp_eq_u32_e32 vcc, 1, v35
	s_and_saveexec_b64 s[16:17], vcc
	s_cbranch_execz .LBB10_36
; %bb.33:
	v_cmp_ne_u32_e32 vcc, 1, v34
	s_xor_b64 s[18:19], s[14:15], -1
	s_and_b64 s[22:23], s[18:19], vcc
	s_and_saveexec_b64 s[18:19], s[22:23]
	s_cbranch_execz .LBB10_35
; %bb.34:
	v_ashrrev_i32_e32 v35, 31, v34
	v_lshl_add_u64 v[40:41], v[34:35], 2, v[32:33]
	global_load_dword v35, v[40:41], off
	global_load_dword v38, v[32:33], off offset:4
	s_waitcnt vmcnt(1)
	global_store_dword v[32:33], v35, off offset:4
	s_waitcnt vmcnt(1)
	global_store_dword v[40:41], v38, off
.LBB10_35:
	s_or_b64 exec, exec, s[18:19]
	v_mov_b32_e32 v35, v34
	v_mov_b32_e32 v38, v34
.LBB10_36:
	s_or_b64 exec, exec, s[16:17]
.LBB10_37:
	s_andn2_saveexec_b64 s[0:1], s[0:1]
	s_cbranch_execz .LBB10_39
; %bb.38:
	v_mov_b32_e32 v35, 1
	s_waitcnt vmcnt(3)
	ds_write2_b64 v36, v[16:17], v[18:19] offset0:4 offset1:5
	s_waitcnt vmcnt(2)
	ds_write2_b64 v36, v[0:1], v[2:3] offset0:6 offset1:7
	;; [unrolled: 2-line block ×4, first 2 shown]
.LBB10_39:
	s_or_b64 exec, exec, s[0:1]
	v_cmp_lt_i32_e32 vcc, 1, v35
	s_waitcnt lgkmcnt(0)
	s_barrier
	s_and_saveexec_b64 s[0:1], vcc
	s_cbranch_execz .LBB10_41
; %bb.40:
	ds_read2_b64 v[40:43], v36 offset0:4 offset1:5
	v_mul_f64 v[44:45], v[24:25], v[10:11]
	v_mul_f64 v[10:11], v[26:27], v[10:11]
	v_fmac_f64_e32 v[44:45], v[26:27], v[8:9]
	v_fma_f64 v[8:9], v[24:25], v[8:9], -v[10:11]
	ds_read2_b64 v[24:27], v36 offset0:6 offset1:7
	s_waitcnt lgkmcnt(1)
	v_mul_f64 v[10:11], v[42:43], v[44:45]
	v_fma_f64 v[10:11], v[40:41], v[8:9], -v[10:11]
	v_mul_f64 v[40:41], v[40:41], v[44:45]
	v_fmac_f64_e32 v[40:41], v[42:43], v[8:9]
	s_waitcnt vmcnt(3)
	v_add_f64 v[16:17], v[16:17], -v[10:11]
	s_waitcnt lgkmcnt(0)
	v_mul_f64 v[10:11], v[26:27], v[44:45]
	v_add_f64 v[18:19], v[18:19], -v[40:41]
	v_fma_f64 v[10:11], v[24:25], v[8:9], -v[10:11]
	v_mul_f64 v[24:25], v[24:25], v[44:45]
	ds_read2_b64 v[40:43], v36 offset0:8 offset1:9
	v_fmac_f64_e32 v[24:25], v[26:27], v[8:9]
	s_waitcnt vmcnt(2)
	v_add_f64 v[2:3], v[2:3], -v[24:25]
	ds_read2_b64 v[24:27], v36 offset0:10 offset1:11
	v_add_f64 v[0:1], v[0:1], -v[10:11]
	s_waitcnt lgkmcnt(1)
	v_mul_f64 v[10:11], v[42:43], v[44:45]
	v_fma_f64 v[10:11], v[40:41], v[8:9], -v[10:11]
	s_waitcnt vmcnt(1)
	v_add_f64 v[4:5], v[4:5], -v[10:11]
	s_waitcnt lgkmcnt(0)
	v_mul_f64 v[10:11], v[26:27], v[44:45]
	v_mul_f64 v[40:41], v[40:41], v[44:45]
	v_fma_f64 v[10:11], v[24:25], v[8:9], -v[10:11]
	v_mul_f64 v[24:25], v[24:25], v[44:45]
	v_fmac_f64_e32 v[40:41], v[42:43], v[8:9]
	v_fmac_f64_e32 v[24:25], v[26:27], v[8:9]
	v_add_f64 v[6:7], v[6:7], -v[40:41]
	s_waitcnt vmcnt(0)
	v_add_f64 v[20:21], v[20:21], -v[10:11]
	v_add_f64 v[22:23], v[22:23], -v[24:25]
	v_mov_b64_e32 v[10:11], v[44:45]
.LBB10_41:
	s_or_b64 exec, exec, s[0:1]
	v_lshl_add_u32 v24, v35, 4, v36
	s_barrier
	s_waitcnt vmcnt(3)
	ds_write2_b64 v24, v[16:17], v[18:19] offset1:1
	s_waitcnt lgkmcnt(0)
	s_barrier
	ds_read2_b64 v[24:27], v36 offset0:4 offset1:5
	s_cmp_lt_i32 s20, 4
	v_mov_b32_e32 v34, 2
	s_cbranch_scc1 .LBB10_44
; %bb.42:
	v_add3_u32 v40, v37, 0, 48
	s_mov_b32 s16, 3
	v_mov_b32_e32 v34, 2
.LBB10_43:                              ; =>This Inner Loop Header: Depth=1
	ds_read2_b64 v[42:45], v40 offset1:1
	s_waitcnt lgkmcnt(1)
	v_xor_b32_e32 v41, 0x80000000, v25
	v_xor_b32_e32 v49, 0x80000000, v27
	v_cmp_gt_f64_e32 vcc, 0, v[26:27]
	v_cmp_gt_f64_e64 s[0:1], 0, v[24:25]
	v_mov_b32_e32 v46, v24
	v_mov_b32_e32 v48, v26
	v_cndmask_b32_e64 v47, v25, v41, s[0:1]
	v_cndmask_b32_e32 v49, v27, v49, vcc
	s_waitcnt lgkmcnt(0)
	v_xor_b32_e32 v41, 0x80000000, v43
	v_xor_b32_e32 v51, 0x80000000, v45
	v_cmp_gt_f64_e32 vcc, 0, v[44:45]
	v_cmp_gt_f64_e64 s[0:1], 0, v[42:43]
	v_add_f64 v[46:47], v[46:47], v[48:49]
	v_mov_b32_e32 v48, v42
	v_mov_b32_e32 v50, v44
	v_cndmask_b32_e64 v49, v43, v41, s[0:1]
	v_cndmask_b32_e32 v51, v45, v51, vcc
	v_add_f64 v[48:49], v[48:49], v[50:51]
	v_mov_b32_e32 v52, s16
	s_add_i32 s16, s16, 1
	v_cmp_lt_f64_e32 vcc, v[46:47], v[48:49]
	v_add_u32_e32 v40, 16, v40
	s_cmp_lg_u32 s20, s16
	v_cndmask_b32_e32 v25, v25, v43, vcc
	v_cndmask_b32_e32 v24, v24, v42, vcc
	;; [unrolled: 1-line block ×5, first 2 shown]
	s_cbranch_scc1 .LBB10_43
.LBB10_44:
	s_waitcnt lgkmcnt(0)
	v_cmp_eq_f64_e32 vcc, 0, v[24:25]
	v_cmp_eq_f64_e64 s[0:1], 0, v[26:27]
	s_and_b64 s[0:1], vcc, s[0:1]
	s_and_saveexec_b64 s[16:17], s[0:1]
	s_xor_b64 s[0:1], exec, s[16:17]
; %bb.45:
	v_cmp_ne_u32_e32 vcc, 0, v39
	s_nop 1
	v_cndmask_b32_e32 v39, 3, v39, vcc
; %bb.46:
	s_andn2_saveexec_b64 s[0:1], s[0:1]
	s_cbranch_execz .LBB10_52
; %bb.47:
	v_cmp_ngt_f64_e64 s[16:17], |v[24:25]|, |v[26:27]|
	s_and_saveexec_b64 s[18:19], s[16:17]
	s_xor_b64 s[16:17], exec, s[18:19]
	s_cbranch_execz .LBB10_49
; %bb.48:
	v_div_scale_f64 v[40:41], s[18:19], v[26:27], v[26:27], v[24:25]
	v_rcp_f64_e32 v[42:43], v[40:41]
	v_div_scale_f64 v[44:45], vcc, v[24:25], v[26:27], v[24:25]
	v_fma_f64 v[46:47], -v[40:41], v[42:43], 1.0
	v_fmac_f64_e32 v[42:43], v[42:43], v[46:47]
	v_fma_f64 v[46:47], -v[40:41], v[42:43], 1.0
	v_fmac_f64_e32 v[42:43], v[42:43], v[46:47]
	v_mul_f64 v[46:47], v[44:45], v[42:43]
	v_fma_f64 v[40:41], -v[40:41], v[46:47], v[44:45]
	v_div_fmas_f64 v[40:41], v[40:41], v[42:43], v[46:47]
	v_div_fixup_f64 v[40:41], v[40:41], v[26:27], v[24:25]
	v_fmac_f64_e32 v[26:27], v[24:25], v[40:41]
	v_div_scale_f64 v[24:25], s[18:19], v[26:27], v[26:27], 1.0
	v_rcp_f64_e32 v[42:43], v[24:25]
	s_nop 0
	v_fma_f64 v[44:45], -v[24:25], v[42:43], 1.0
	v_fmac_f64_e32 v[42:43], v[42:43], v[44:45]
	v_fma_f64 v[44:45], -v[24:25], v[42:43], 1.0
	v_fmac_f64_e32 v[42:43], v[42:43], v[44:45]
	v_div_scale_f64 v[44:45], vcc, 1.0, v[26:27], 1.0
	v_mul_f64 v[46:47], v[44:45], v[42:43]
	v_fma_f64 v[24:25], -v[24:25], v[46:47], v[44:45]
	s_nop 1
	v_div_fmas_f64 v[24:25], v[24:25], v[42:43], v[46:47]
	v_div_fixup_f64 v[26:27], v[24:25], v[26:27], 1.0
	v_mul_f64 v[24:25], v[40:41], v[26:27]
	v_xor_b32_e32 v27, 0x80000000, v27
.LBB10_49:
	s_andn2_saveexec_b64 s[16:17], s[16:17]
	s_cbranch_execz .LBB10_51
; %bb.50:
	v_div_scale_f64 v[40:41], s[18:19], v[24:25], v[24:25], v[26:27]
	v_rcp_f64_e32 v[42:43], v[40:41]
	v_div_scale_f64 v[44:45], vcc, v[26:27], v[24:25], v[26:27]
	v_fma_f64 v[46:47], -v[40:41], v[42:43], 1.0
	v_fmac_f64_e32 v[42:43], v[42:43], v[46:47]
	v_fma_f64 v[46:47], -v[40:41], v[42:43], 1.0
	v_fmac_f64_e32 v[42:43], v[42:43], v[46:47]
	v_mul_f64 v[46:47], v[44:45], v[42:43]
	v_fma_f64 v[40:41], -v[40:41], v[46:47], v[44:45]
	v_div_fmas_f64 v[40:41], v[40:41], v[42:43], v[46:47]
	v_div_fixup_f64 v[40:41], v[40:41], v[24:25], v[26:27]
	v_fmac_f64_e32 v[24:25], v[26:27], v[40:41]
	v_div_scale_f64 v[26:27], s[18:19], v[24:25], v[24:25], 1.0
	v_rcp_f64_e32 v[42:43], v[26:27]
	s_nop 0
	v_fma_f64 v[44:45], -v[26:27], v[42:43], 1.0
	v_fmac_f64_e32 v[42:43], v[42:43], v[44:45]
	v_fma_f64 v[44:45], -v[26:27], v[42:43], 1.0
	v_fmac_f64_e32 v[42:43], v[42:43], v[44:45]
	v_div_scale_f64 v[44:45], vcc, 1.0, v[24:25], 1.0
	v_mul_f64 v[46:47], v[44:45], v[42:43]
	v_fma_f64 v[26:27], -v[26:27], v[46:47], v[44:45]
	s_nop 1
	v_div_fmas_f64 v[26:27], v[26:27], v[42:43], v[46:47]
	v_div_fixup_f64 v[24:25], v[26:27], v[24:25], 1.0
	v_mul_f64 v[26:27], v[40:41], -v[24:25]
.LBB10_51:
	s_or_b64 exec, exec, s[16:17]
.LBB10_52:
	s_or_b64 exec, exec, s[0:1]
	v_cmp_ne_u32_e32 vcc, v35, v34
	s_and_saveexec_b64 s[0:1], vcc
	s_xor_b64 s[0:1], exec, s[0:1]
	s_cbranch_execz .LBB10_58
; %bb.53:
	v_cmp_eq_u32_e32 vcc, 2, v35
	s_and_saveexec_b64 s[16:17], vcc
	s_cbranch_execz .LBB10_57
; %bb.54:
	v_cmp_ne_u32_e32 vcc, 2, v34
	s_xor_b64 s[18:19], s[14:15], -1
	s_and_b64 s[22:23], s[18:19], vcc
	s_and_saveexec_b64 s[18:19], s[22:23]
	s_cbranch_execz .LBB10_56
; %bb.55:
	v_ashrrev_i32_e32 v35, 31, v34
	v_lshl_add_u64 v[40:41], v[34:35], 2, v[32:33]
	global_load_dword v35, v[40:41], off
	global_load_dword v38, v[32:33], off offset:8
	s_waitcnt vmcnt(1)
	global_store_dword v[32:33], v35, off offset:8
	s_waitcnt vmcnt(1)
	global_store_dword v[40:41], v38, off
.LBB10_56:
	s_or_b64 exec, exec, s[18:19]
	v_mov_b32_e32 v35, v34
	v_mov_b32_e32 v38, v34
.LBB10_57:
	s_or_b64 exec, exec, s[16:17]
.LBB10_58:
	s_andn2_saveexec_b64 s[0:1], s[0:1]
	s_cbranch_execz .LBB10_60
; %bb.59:
	v_mov_b32_e32 v35, 2
	s_waitcnt vmcnt(2)
	ds_write2_b64 v36, v[0:1], v[2:3] offset0:6 offset1:7
	s_waitcnt vmcnt(1)
	ds_write2_b64 v36, v[4:5], v[6:7] offset0:8 offset1:9
	;; [unrolled: 2-line block ×3, first 2 shown]
.LBB10_60:
	s_or_b64 exec, exec, s[0:1]
	v_cmp_lt_i32_e32 vcc, 2, v35
	s_waitcnt lgkmcnt(0)
	s_barrier
	s_and_saveexec_b64 s[0:1], vcc
	s_cbranch_execz .LBB10_62
; %bb.61:
	ds_read2_b64 v[40:43], v36 offset0:6 offset1:7
	v_mul_f64 v[44:45], v[24:25], v[18:19]
	v_fmac_f64_e32 v[44:45], v[26:27], v[16:17]
	v_mul_f64 v[18:19], v[26:27], v[18:19]
	v_fma_f64 v[16:17], v[24:25], v[16:17], -v[18:19]
	ds_read2_b64 v[24:27], v36 offset0:8 offset1:9
	s_waitcnt lgkmcnt(1)
	v_mul_f64 v[18:19], v[42:43], v[44:45]
	v_fma_f64 v[18:19], v[40:41], v[16:17], -v[18:19]
	v_mul_f64 v[40:41], v[40:41], v[44:45]
	v_fmac_f64_e32 v[40:41], v[42:43], v[16:17]
	s_waitcnt vmcnt(2)
	v_add_f64 v[2:3], v[2:3], -v[40:41]
	ds_read2_b64 v[40:43], v36 offset0:10 offset1:11
	v_add_f64 v[0:1], v[0:1], -v[18:19]
	s_waitcnt lgkmcnt(1)
	v_mul_f64 v[18:19], v[26:27], v[44:45]
	v_fma_f64 v[18:19], v[24:25], v[16:17], -v[18:19]
	v_mul_f64 v[24:25], v[24:25], v[44:45]
	v_fmac_f64_e32 v[24:25], v[26:27], v[16:17]
	s_waitcnt vmcnt(1)
	v_add_f64 v[4:5], v[4:5], -v[18:19]
	v_add_f64 v[6:7], v[6:7], -v[24:25]
	s_waitcnt lgkmcnt(0)
	v_mul_f64 v[18:19], v[42:43], v[44:45]
	v_mul_f64 v[24:25], v[40:41], v[44:45]
	v_fma_f64 v[18:19], v[40:41], v[16:17], -v[18:19]
	v_fmac_f64_e32 v[24:25], v[42:43], v[16:17]
	s_waitcnt vmcnt(0)
	v_add_f64 v[20:21], v[20:21], -v[18:19]
	v_add_f64 v[22:23], v[22:23], -v[24:25]
	v_mov_b64_e32 v[18:19], v[44:45]
.LBB10_62:
	s_or_b64 exec, exec, s[0:1]
	v_lshl_add_u32 v24, v35, 4, v36
	s_barrier
	s_waitcnt vmcnt(2)
	ds_write2_b64 v24, v[0:1], v[2:3] offset1:1
	s_waitcnt lgkmcnt(0)
	s_barrier
	ds_read2_b64 v[24:27], v36 offset0:6 offset1:7
	s_mov_b32 s16, 4
	s_cmp_lt_i32 s20, 5
	v_mov_b32_e32 v34, 3
	s_cbranch_scc1 .LBB10_65
; %bb.63:
	v_add3_u32 v37, v37, 0, 64
	v_mov_b32_e32 v34, 3
.LBB10_64:                              ; =>This Inner Loop Header: Depth=1
	ds_read2_b64 v[40:43], v37 offset1:1
	s_waitcnt lgkmcnt(1)
	v_xor_b32_e32 v45, 0x80000000, v25
	v_xor_b32_e32 v47, 0x80000000, v27
	v_cmp_gt_f64_e32 vcc, 0, v[26:27]
	v_cmp_gt_f64_e64 s[0:1], 0, v[24:25]
	v_mov_b32_e32 v44, v24
	v_mov_b32_e32 v46, v26
	v_cndmask_b32_e64 v45, v25, v45, s[0:1]
	v_cndmask_b32_e32 v47, v27, v47, vcc
	v_add_f64 v[44:45], v[44:45], v[46:47]
	s_waitcnt lgkmcnt(0)
	v_xor_b32_e32 v47, 0x80000000, v41
	v_xor_b32_e32 v49, 0x80000000, v43
	v_cmp_gt_f64_e32 vcc, 0, v[42:43]
	v_cmp_gt_f64_e64 s[0:1], 0, v[40:41]
	v_mov_b32_e32 v46, v40
	v_mov_b32_e32 v48, v42
	v_cndmask_b32_e64 v47, v41, v47, s[0:1]
	v_cndmask_b32_e32 v49, v43, v49, vcc
	v_add_f64 v[46:47], v[46:47], v[48:49]
	v_mov_b32_e32 v50, s16
	s_add_i32 s16, s16, 1
	v_cmp_lt_f64_e32 vcc, v[44:45], v[46:47]
	v_add_u32_e32 v37, 16, v37
	s_cmp_lg_u32 s20, s16
	v_cndmask_b32_e32 v25, v25, v41, vcc
	v_cndmask_b32_e32 v24, v24, v40, vcc
	;; [unrolled: 1-line block ×5, first 2 shown]
	s_cbranch_scc1 .LBB10_64
.LBB10_65:
	s_waitcnt lgkmcnt(0)
	v_cmp_eq_f64_e32 vcc, 0, v[24:25]
	v_cmp_eq_f64_e64 s[0:1], 0, v[26:27]
	s_and_b64 s[0:1], vcc, s[0:1]
	s_and_saveexec_b64 s[16:17], s[0:1]
	s_xor_b64 s[0:1], exec, s[16:17]
; %bb.66:
	v_cmp_ne_u32_e32 vcc, 0, v39
	s_nop 1
	v_cndmask_b32_e32 v39, 4, v39, vcc
; %bb.67:
	s_andn2_saveexec_b64 s[0:1], s[0:1]
	s_cbranch_execz .LBB10_73
; %bb.68:
	v_cmp_ngt_f64_e64 s[16:17], |v[24:25]|, |v[26:27]|
	s_and_saveexec_b64 s[18:19], s[16:17]
	s_xor_b64 s[16:17], exec, s[18:19]
	s_cbranch_execz .LBB10_70
; %bb.69:
	v_div_scale_f64 v[40:41], s[18:19], v[26:27], v[26:27], v[24:25]
	v_rcp_f64_e32 v[42:43], v[40:41]
	v_div_scale_f64 v[44:45], vcc, v[24:25], v[26:27], v[24:25]
	v_fma_f64 v[46:47], -v[40:41], v[42:43], 1.0
	v_fmac_f64_e32 v[42:43], v[42:43], v[46:47]
	v_fma_f64 v[46:47], -v[40:41], v[42:43], 1.0
	v_fmac_f64_e32 v[42:43], v[42:43], v[46:47]
	v_mul_f64 v[46:47], v[44:45], v[42:43]
	v_fma_f64 v[40:41], -v[40:41], v[46:47], v[44:45]
	v_div_fmas_f64 v[40:41], v[40:41], v[42:43], v[46:47]
	v_div_fixup_f64 v[40:41], v[40:41], v[26:27], v[24:25]
	v_fmac_f64_e32 v[26:27], v[24:25], v[40:41]
	v_div_scale_f64 v[24:25], s[18:19], v[26:27], v[26:27], 1.0
	v_rcp_f64_e32 v[42:43], v[24:25]
	s_nop 0
	v_fma_f64 v[44:45], -v[24:25], v[42:43], 1.0
	v_fmac_f64_e32 v[42:43], v[42:43], v[44:45]
	v_fma_f64 v[44:45], -v[24:25], v[42:43], 1.0
	v_fmac_f64_e32 v[42:43], v[42:43], v[44:45]
	v_div_scale_f64 v[44:45], vcc, 1.0, v[26:27], 1.0
	v_mul_f64 v[46:47], v[44:45], v[42:43]
	v_fma_f64 v[24:25], -v[24:25], v[46:47], v[44:45]
	s_nop 1
	v_div_fmas_f64 v[24:25], v[24:25], v[42:43], v[46:47]
	v_div_fixup_f64 v[26:27], v[24:25], v[26:27], 1.0
	v_mul_f64 v[24:25], v[40:41], v[26:27]
	v_xor_b32_e32 v27, 0x80000000, v27
.LBB10_70:
	s_andn2_saveexec_b64 s[16:17], s[16:17]
	s_cbranch_execz .LBB10_72
; %bb.71:
	v_div_scale_f64 v[40:41], s[18:19], v[24:25], v[24:25], v[26:27]
	v_rcp_f64_e32 v[42:43], v[40:41]
	v_div_scale_f64 v[44:45], vcc, v[26:27], v[24:25], v[26:27]
	v_fma_f64 v[46:47], -v[40:41], v[42:43], 1.0
	v_fmac_f64_e32 v[42:43], v[42:43], v[46:47]
	v_fma_f64 v[46:47], -v[40:41], v[42:43], 1.0
	v_fmac_f64_e32 v[42:43], v[42:43], v[46:47]
	v_mul_f64 v[46:47], v[44:45], v[42:43]
	v_fma_f64 v[40:41], -v[40:41], v[46:47], v[44:45]
	v_div_fmas_f64 v[40:41], v[40:41], v[42:43], v[46:47]
	v_div_fixup_f64 v[40:41], v[40:41], v[24:25], v[26:27]
	v_fmac_f64_e32 v[24:25], v[26:27], v[40:41]
	v_div_scale_f64 v[26:27], s[18:19], v[24:25], v[24:25], 1.0
	v_rcp_f64_e32 v[42:43], v[26:27]
	s_nop 0
	v_fma_f64 v[44:45], -v[26:27], v[42:43], 1.0
	v_fmac_f64_e32 v[42:43], v[42:43], v[44:45]
	v_fma_f64 v[44:45], -v[26:27], v[42:43], 1.0
	v_fmac_f64_e32 v[42:43], v[42:43], v[44:45]
	v_div_scale_f64 v[44:45], vcc, 1.0, v[24:25], 1.0
	v_mul_f64 v[46:47], v[44:45], v[42:43]
	v_fma_f64 v[26:27], -v[26:27], v[46:47], v[44:45]
	s_nop 1
	v_div_fmas_f64 v[26:27], v[26:27], v[42:43], v[46:47]
	v_div_fixup_f64 v[24:25], v[26:27], v[24:25], 1.0
	v_mul_f64 v[26:27], v[40:41], -v[24:25]
.LBB10_72:
	s_or_b64 exec, exec, s[16:17]
.LBB10_73:
	s_or_b64 exec, exec, s[0:1]
	v_cmp_ne_u32_e32 vcc, v35, v34
	s_and_saveexec_b64 s[0:1], vcc
	s_xor_b64 s[0:1], exec, s[0:1]
	s_cbranch_execz .LBB10_79
; %bb.74:
	v_cmp_eq_u32_e32 vcc, 3, v35
	s_and_saveexec_b64 s[16:17], vcc
	s_cbranch_execz .LBB10_78
; %bb.75:
	v_cmp_ne_u32_e32 vcc, 3, v34
	s_xor_b64 s[18:19], s[14:15], -1
	s_and_b64 s[22:23], s[18:19], vcc
	s_and_saveexec_b64 s[18:19], s[22:23]
	s_cbranch_execz .LBB10_77
; %bb.76:
	v_ashrrev_i32_e32 v35, 31, v34
	v_lshl_add_u64 v[40:41], v[34:35], 2, v[32:33]
	global_load_dword v35, v[40:41], off
	global_load_dword v37, v[32:33], off offset:12
	s_waitcnt vmcnt(1)
	global_store_dword v[32:33], v35, off offset:12
	s_waitcnt vmcnt(1)
	global_store_dword v[40:41], v37, off
.LBB10_77:
	s_or_b64 exec, exec, s[18:19]
	v_mov_b32_e32 v35, v34
	v_mov_b32_e32 v38, v34
.LBB10_78:
	s_or_b64 exec, exec, s[16:17]
.LBB10_79:
	s_andn2_saveexec_b64 s[0:1], s[0:1]
	s_cbranch_execz .LBB10_81
; %bb.80:
	v_mov_b32_e32 v35, 3
	s_waitcnt vmcnt(1)
	ds_write2_b64 v36, v[4:5], v[6:7] offset0:8 offset1:9
	s_waitcnt vmcnt(0)
	ds_write2_b64 v36, v[20:21], v[22:23] offset0:10 offset1:11
.LBB10_81:
	s_or_b64 exec, exec, s[0:1]
	v_cmp_lt_i32_e32 vcc, 3, v35
	s_waitcnt lgkmcnt(0)
	s_barrier
	s_and_saveexec_b64 s[0:1], vcc
	s_cbranch_execz .LBB10_83
; %bb.82:
	ds_read2_b64 v[40:43], v36 offset0:8 offset1:9
	v_mul_f64 v[44:45], v[24:25], v[2:3]
	v_mul_f64 v[2:3], v[26:27], v[2:3]
	v_fmac_f64_e32 v[44:45], v[26:27], v[0:1]
	v_fma_f64 v[0:1], v[24:25], v[0:1], -v[2:3]
	ds_read2_b64 v[24:27], v36 offset0:10 offset1:11
	s_waitcnt lgkmcnt(1)
	v_mul_f64 v[2:3], v[42:43], v[44:45]
	v_fma_f64 v[2:3], v[40:41], v[0:1], -v[2:3]
	s_waitcnt vmcnt(1)
	v_add_f64 v[4:5], v[4:5], -v[2:3]
	v_mul_f64 v[40:41], v[40:41], v[44:45]
	s_waitcnt lgkmcnt(0)
	v_mul_f64 v[2:3], v[26:27], v[44:45]
	v_fma_f64 v[2:3], v[24:25], v[0:1], -v[2:3]
	v_mul_f64 v[24:25], v[24:25], v[44:45]
	v_fmac_f64_e32 v[40:41], v[42:43], v[0:1]
	v_fmac_f64_e32 v[24:25], v[26:27], v[0:1]
	v_add_f64 v[6:7], v[6:7], -v[40:41]
	s_waitcnt vmcnt(0)
	v_add_f64 v[20:21], v[20:21], -v[2:3]
	v_add_f64 v[22:23], v[22:23], -v[24:25]
	v_mov_b64_e32 v[2:3], v[44:45]
.LBB10_83:
	s_or_b64 exec, exec, s[0:1]
	v_lshl_add_u32 v24, v35, 4, v36
	s_barrier
	s_waitcnt vmcnt(1)
	ds_write2_b64 v24, v[4:5], v[6:7] offset1:1
	s_waitcnt lgkmcnt(0)
	s_barrier
	ds_read2_b64 v[24:27], v36 offset0:8 offset1:9
	s_cmp_lt_i32 s20, 6
	v_mov_b32_e32 v34, 4
	s_cbranch_scc1 .LBB10_86
; %bb.84:
	v_mov_b32_e32 v34, 4
	v_add_u32_e32 v37, 0x50, v36
	s_mov_b32 s16, 5
.LBB10_85:                              ; =>This Inner Loop Header: Depth=1
	ds_read2_b64 v[40:43], v37 offset1:1
	s_waitcnt lgkmcnt(1)
	v_xor_b32_e32 v45, 0x80000000, v25
	v_xor_b32_e32 v47, 0x80000000, v27
	v_cmp_gt_f64_e32 vcc, 0, v[26:27]
	v_cmp_gt_f64_e64 s[0:1], 0, v[24:25]
	v_mov_b32_e32 v44, v24
	v_mov_b32_e32 v46, v26
	v_cndmask_b32_e64 v45, v25, v45, s[0:1]
	v_cndmask_b32_e32 v47, v27, v47, vcc
	v_add_f64 v[44:45], v[44:45], v[46:47]
	s_waitcnt lgkmcnt(0)
	v_xor_b32_e32 v47, 0x80000000, v41
	v_xor_b32_e32 v49, 0x80000000, v43
	v_cmp_gt_f64_e32 vcc, 0, v[42:43]
	v_cmp_gt_f64_e64 s[0:1], 0, v[40:41]
	v_mov_b32_e32 v46, v40
	v_mov_b32_e32 v48, v42
	v_cndmask_b32_e64 v47, v41, v47, s[0:1]
	v_cndmask_b32_e32 v49, v43, v49, vcc
	v_add_f64 v[46:47], v[46:47], v[48:49]
	v_mov_b32_e32 v50, s16
	s_add_i32 s16, s16, 1
	v_cmp_lt_f64_e32 vcc, v[44:45], v[46:47]
	v_add_u32_e32 v37, 16, v37
	s_cmp_lg_u32 s20, s16
	v_cndmask_b32_e32 v25, v25, v41, vcc
	v_cndmask_b32_e32 v24, v24, v40, vcc
	;; [unrolled: 1-line block ×5, first 2 shown]
	s_cbranch_scc1 .LBB10_85
.LBB10_86:
	s_waitcnt lgkmcnt(0)
	v_cmp_eq_f64_e32 vcc, 0, v[24:25]
	v_cmp_eq_f64_e64 s[0:1], 0, v[26:27]
	s_and_b64 s[0:1], vcc, s[0:1]
	s_and_saveexec_b64 s[16:17], s[0:1]
	s_xor_b64 s[0:1], exec, s[16:17]
; %bb.87:
	v_cmp_ne_u32_e32 vcc, 0, v39
	s_nop 1
	v_cndmask_b32_e32 v39, 5, v39, vcc
; %bb.88:
	s_andn2_saveexec_b64 s[0:1], s[0:1]
	s_cbranch_execz .LBB10_94
; %bb.89:
	v_cmp_ngt_f64_e64 s[16:17], |v[24:25]|, |v[26:27]|
	s_and_saveexec_b64 s[18:19], s[16:17]
	s_xor_b64 s[16:17], exec, s[18:19]
	s_cbranch_execz .LBB10_91
; %bb.90:
	v_div_scale_f64 v[40:41], s[18:19], v[26:27], v[26:27], v[24:25]
	v_rcp_f64_e32 v[42:43], v[40:41]
	v_div_scale_f64 v[44:45], vcc, v[24:25], v[26:27], v[24:25]
	v_fma_f64 v[46:47], -v[40:41], v[42:43], 1.0
	v_fmac_f64_e32 v[42:43], v[42:43], v[46:47]
	v_fma_f64 v[46:47], -v[40:41], v[42:43], 1.0
	v_fmac_f64_e32 v[42:43], v[42:43], v[46:47]
	v_mul_f64 v[46:47], v[44:45], v[42:43]
	v_fma_f64 v[40:41], -v[40:41], v[46:47], v[44:45]
	v_div_fmas_f64 v[40:41], v[40:41], v[42:43], v[46:47]
	v_div_fixup_f64 v[40:41], v[40:41], v[26:27], v[24:25]
	v_fmac_f64_e32 v[26:27], v[24:25], v[40:41]
	v_div_scale_f64 v[24:25], s[18:19], v[26:27], v[26:27], 1.0
	v_rcp_f64_e32 v[42:43], v[24:25]
	s_nop 0
	v_fma_f64 v[44:45], -v[24:25], v[42:43], 1.0
	v_fmac_f64_e32 v[42:43], v[42:43], v[44:45]
	v_fma_f64 v[44:45], -v[24:25], v[42:43], 1.0
	v_fmac_f64_e32 v[42:43], v[42:43], v[44:45]
	v_div_scale_f64 v[44:45], vcc, 1.0, v[26:27], 1.0
	v_mul_f64 v[46:47], v[44:45], v[42:43]
	v_fma_f64 v[24:25], -v[24:25], v[46:47], v[44:45]
	s_nop 1
	v_div_fmas_f64 v[24:25], v[24:25], v[42:43], v[46:47]
	v_div_fixup_f64 v[26:27], v[24:25], v[26:27], 1.0
	v_mul_f64 v[24:25], v[40:41], v[26:27]
	v_xor_b32_e32 v27, 0x80000000, v27
.LBB10_91:
	s_andn2_saveexec_b64 s[16:17], s[16:17]
	s_cbranch_execz .LBB10_93
; %bb.92:
	v_div_scale_f64 v[40:41], s[18:19], v[24:25], v[24:25], v[26:27]
	v_rcp_f64_e32 v[42:43], v[40:41]
	v_div_scale_f64 v[44:45], vcc, v[26:27], v[24:25], v[26:27]
	v_fma_f64 v[46:47], -v[40:41], v[42:43], 1.0
	v_fmac_f64_e32 v[42:43], v[42:43], v[46:47]
	v_fma_f64 v[46:47], -v[40:41], v[42:43], 1.0
	v_fmac_f64_e32 v[42:43], v[42:43], v[46:47]
	v_mul_f64 v[46:47], v[44:45], v[42:43]
	v_fma_f64 v[40:41], -v[40:41], v[46:47], v[44:45]
	v_div_fmas_f64 v[40:41], v[40:41], v[42:43], v[46:47]
	v_div_fixup_f64 v[40:41], v[40:41], v[24:25], v[26:27]
	v_fmac_f64_e32 v[24:25], v[26:27], v[40:41]
	v_div_scale_f64 v[26:27], s[18:19], v[24:25], v[24:25], 1.0
	v_rcp_f64_e32 v[42:43], v[26:27]
	s_nop 0
	v_fma_f64 v[44:45], -v[26:27], v[42:43], 1.0
	v_fmac_f64_e32 v[42:43], v[42:43], v[44:45]
	v_fma_f64 v[44:45], -v[26:27], v[42:43], 1.0
	v_fmac_f64_e32 v[42:43], v[42:43], v[44:45]
	v_div_scale_f64 v[44:45], vcc, 1.0, v[24:25], 1.0
	v_mul_f64 v[46:47], v[44:45], v[42:43]
	v_fma_f64 v[26:27], -v[26:27], v[46:47], v[44:45]
	s_nop 1
	v_div_fmas_f64 v[26:27], v[26:27], v[42:43], v[46:47]
	v_div_fixup_f64 v[24:25], v[26:27], v[24:25], 1.0
	v_mul_f64 v[26:27], v[40:41], -v[24:25]
.LBB10_93:
	s_or_b64 exec, exec, s[16:17]
.LBB10_94:
	s_or_b64 exec, exec, s[0:1]
	v_cmp_ne_u32_e32 vcc, v35, v34
	s_and_saveexec_b64 s[0:1], vcc
	s_xor_b64 s[0:1], exec, s[0:1]
	s_cbranch_execz .LBB10_100
; %bb.95:
	v_cmp_eq_u32_e32 vcc, 4, v35
	s_and_saveexec_b64 s[16:17], vcc
	s_cbranch_execz .LBB10_99
; %bb.96:
	v_cmp_ne_u32_e32 vcc, 4, v34
	s_xor_b64 s[18:19], s[14:15], -1
	s_and_b64 s[22:23], s[18:19], vcc
	s_and_saveexec_b64 s[18:19], s[22:23]
	s_cbranch_execz .LBB10_98
; %bb.97:
	v_ashrrev_i32_e32 v35, 31, v34
	v_lshl_add_u64 v[40:41], v[34:35], 2, v[32:33]
	global_load_dword v35, v[40:41], off
	global_load_dword v37, v[32:33], off offset:16
	s_waitcnt vmcnt(1)
	global_store_dword v[32:33], v35, off offset:16
	s_waitcnt vmcnt(1)
	global_store_dword v[40:41], v37, off
.LBB10_98:
	s_or_b64 exec, exec, s[18:19]
	v_mov_b32_e32 v35, v34
	v_mov_b32_e32 v38, v34
.LBB10_99:
	s_or_b64 exec, exec, s[16:17]
.LBB10_100:
	s_andn2_saveexec_b64 s[0:1], s[0:1]
	s_cbranch_execz .LBB10_102
; %bb.101:
	v_mov_b32_e32 v35, 4
	s_waitcnt vmcnt(0)
	ds_write2_b64 v36, v[20:21], v[22:23] offset0:10 offset1:11
.LBB10_102:
	s_or_b64 exec, exec, s[0:1]
	v_cmp_lt_i32_e32 vcc, 4, v35
	s_waitcnt lgkmcnt(0)
	s_barrier
	s_and_saveexec_b64 s[0:1], vcc
	s_cbranch_execz .LBB10_104
; %bb.103:
	ds_read2_b64 v[40:43], v36 offset0:10 offset1:11
	v_mul_f64 v[44:45], v[24:25], v[6:7]
	v_mul_f64 v[6:7], v[26:27], v[6:7]
	v_fmac_f64_e32 v[44:45], v[26:27], v[4:5]
	v_fma_f64 v[4:5], v[24:25], v[4:5], -v[6:7]
	s_waitcnt lgkmcnt(0)
	v_mul_f64 v[6:7], v[42:43], v[44:45]
	v_mul_f64 v[24:25], v[40:41], v[44:45]
	v_fma_f64 v[6:7], v[40:41], v[4:5], -v[6:7]
	v_fmac_f64_e32 v[24:25], v[42:43], v[4:5]
	s_waitcnt vmcnt(0)
	v_add_f64 v[20:21], v[20:21], -v[6:7]
	v_add_f64 v[22:23], v[22:23], -v[24:25]
	v_mov_b64_e32 v[6:7], v[44:45]
.LBB10_104:
	s_or_b64 exec, exec, s[0:1]
	v_lshl_add_u32 v24, v35, 4, v36
	s_barrier
	s_waitcnt vmcnt(0)
	ds_write2_b64 v24, v[20:21], v[22:23] offset1:1
	s_waitcnt lgkmcnt(0)
	s_barrier
	ds_read2_b64 v[24:27], v36 offset0:10 offset1:11
	s_cmp_lt_i32 s20, 7
	v_mov_b32_e32 v34, 5
	s_cbranch_scc1 .LBB10_107
; %bb.105:
	v_add_u32_e32 v36, 0x60, v36
	s_mov_b32 s16, 6
	v_mov_b32_e32 v34, 5
.LBB10_106:                             ; =>This Inner Loop Header: Depth=1
	ds_read2_b64 v[40:43], v36 offset1:1
	s_waitcnt lgkmcnt(1)
	v_xor_b32_e32 v37, 0x80000000, v25
	v_xor_b32_e32 v47, 0x80000000, v27
	v_cmp_gt_f64_e32 vcc, 0, v[26:27]
	v_cmp_gt_f64_e64 s[0:1], 0, v[24:25]
	v_mov_b32_e32 v44, v24
	v_mov_b32_e32 v46, v26
	v_cndmask_b32_e64 v45, v25, v37, s[0:1]
	v_cndmask_b32_e32 v47, v27, v47, vcc
	s_waitcnt lgkmcnt(0)
	v_xor_b32_e32 v37, 0x80000000, v41
	v_xor_b32_e32 v49, 0x80000000, v43
	v_cmp_gt_f64_e32 vcc, 0, v[42:43]
	v_cmp_gt_f64_e64 s[0:1], 0, v[40:41]
	v_add_f64 v[44:45], v[44:45], v[46:47]
	v_mov_b32_e32 v46, v40
	v_mov_b32_e32 v48, v42
	v_cndmask_b32_e64 v47, v41, v37, s[0:1]
	v_cndmask_b32_e32 v49, v43, v49, vcc
	v_add_f64 v[46:47], v[46:47], v[48:49]
	v_mov_b32_e32 v50, s16
	s_add_i32 s16, s16, 1
	v_cmp_lt_f64_e32 vcc, v[44:45], v[46:47]
	v_add_u32_e32 v36, 16, v36
	s_cmp_lg_u32 s20, s16
	v_cndmask_b32_e32 v25, v25, v41, vcc
	v_cndmask_b32_e32 v24, v24, v40, vcc
	;; [unrolled: 1-line block ×5, first 2 shown]
	s_cbranch_scc1 .LBB10_106
.LBB10_107:
	s_waitcnt lgkmcnt(0)
	v_cmp_eq_f64_e32 vcc, 0, v[24:25]
	v_cmp_eq_f64_e64 s[0:1], 0, v[26:27]
	s_and_b64 s[0:1], vcc, s[0:1]
	s_and_saveexec_b64 s[16:17], s[0:1]
	s_xor_b64 s[0:1], exec, s[16:17]
; %bb.108:
	v_cmp_ne_u32_e32 vcc, 0, v39
	s_nop 1
	v_cndmask_b32_e32 v39, 6, v39, vcc
; %bb.109:
	s_andn2_saveexec_b64 s[0:1], s[0:1]
	s_cbranch_execz .LBB10_115
; %bb.110:
	v_cmp_ngt_f64_e64 s[16:17], |v[24:25]|, |v[26:27]|
	s_and_saveexec_b64 s[18:19], s[16:17]
	s_xor_b64 s[16:17], exec, s[18:19]
	s_cbranch_execz .LBB10_112
; %bb.111:
	v_div_scale_f64 v[36:37], s[18:19], v[26:27], v[26:27], v[24:25]
	v_rcp_f64_e32 v[40:41], v[36:37]
	v_div_scale_f64 v[42:43], vcc, v[24:25], v[26:27], v[24:25]
	v_fma_f64 v[44:45], -v[36:37], v[40:41], 1.0
	v_fmac_f64_e32 v[40:41], v[40:41], v[44:45]
	v_fma_f64 v[44:45], -v[36:37], v[40:41], 1.0
	v_fmac_f64_e32 v[40:41], v[40:41], v[44:45]
	v_mul_f64 v[44:45], v[42:43], v[40:41]
	v_fma_f64 v[36:37], -v[36:37], v[44:45], v[42:43]
	v_div_fmas_f64 v[36:37], v[36:37], v[40:41], v[44:45]
	v_div_fixup_f64 v[36:37], v[36:37], v[26:27], v[24:25]
	v_fmac_f64_e32 v[26:27], v[24:25], v[36:37]
	v_div_scale_f64 v[24:25], s[18:19], v[26:27], v[26:27], 1.0
	v_rcp_f64_e32 v[40:41], v[24:25]
	s_nop 0
	v_fma_f64 v[42:43], -v[24:25], v[40:41], 1.0
	v_fmac_f64_e32 v[40:41], v[40:41], v[42:43]
	v_fma_f64 v[42:43], -v[24:25], v[40:41], 1.0
	v_fmac_f64_e32 v[40:41], v[40:41], v[42:43]
	v_div_scale_f64 v[42:43], vcc, 1.0, v[26:27], 1.0
	v_mul_f64 v[44:45], v[42:43], v[40:41]
	v_fma_f64 v[24:25], -v[24:25], v[44:45], v[42:43]
	s_nop 1
	v_div_fmas_f64 v[24:25], v[24:25], v[40:41], v[44:45]
	v_div_fixup_f64 v[26:27], v[24:25], v[26:27], 1.0
	v_mul_f64 v[24:25], v[36:37], v[26:27]
	v_xor_b32_e32 v27, 0x80000000, v27
.LBB10_112:
	s_andn2_saveexec_b64 s[16:17], s[16:17]
	s_cbranch_execz .LBB10_114
; %bb.113:
	v_div_scale_f64 v[36:37], s[18:19], v[24:25], v[24:25], v[26:27]
	v_rcp_f64_e32 v[40:41], v[36:37]
	v_div_scale_f64 v[42:43], vcc, v[26:27], v[24:25], v[26:27]
	v_fma_f64 v[44:45], -v[36:37], v[40:41], 1.0
	v_fmac_f64_e32 v[40:41], v[40:41], v[44:45]
	v_fma_f64 v[44:45], -v[36:37], v[40:41], 1.0
	v_fmac_f64_e32 v[40:41], v[40:41], v[44:45]
	v_mul_f64 v[44:45], v[42:43], v[40:41]
	v_fma_f64 v[36:37], -v[36:37], v[44:45], v[42:43]
	v_div_fmas_f64 v[36:37], v[36:37], v[40:41], v[44:45]
	v_div_fixup_f64 v[36:37], v[36:37], v[24:25], v[26:27]
	v_fmac_f64_e32 v[24:25], v[26:27], v[36:37]
	v_div_scale_f64 v[26:27], s[18:19], v[24:25], v[24:25], 1.0
	v_rcp_f64_e32 v[40:41], v[26:27]
	s_nop 0
	v_fma_f64 v[42:43], -v[26:27], v[40:41], 1.0
	v_fmac_f64_e32 v[40:41], v[40:41], v[42:43]
	v_fma_f64 v[42:43], -v[26:27], v[40:41], 1.0
	v_fmac_f64_e32 v[40:41], v[40:41], v[42:43]
	v_div_scale_f64 v[42:43], vcc, 1.0, v[24:25], 1.0
	v_mul_f64 v[44:45], v[42:43], v[40:41]
	v_fma_f64 v[26:27], -v[26:27], v[44:45], v[42:43]
	s_nop 1
	v_div_fmas_f64 v[26:27], v[26:27], v[40:41], v[44:45]
	v_div_fixup_f64 v[24:25], v[26:27], v[24:25], 1.0
	v_mul_f64 v[26:27], v[36:37], -v[24:25]
.LBB10_114:
	s_or_b64 exec, exec, s[16:17]
.LBB10_115:
	s_or_b64 exec, exec, s[0:1]
	v_cmp_ne_u32_e32 vcc, v35, v34
	v_mov_b32_e32 v36, 5
	s_and_saveexec_b64 s[0:1], vcc
	s_cbranch_execz .LBB10_121
; %bb.116:
	v_cmp_eq_u32_e32 vcc, 5, v35
	s_and_saveexec_b64 s[16:17], vcc
	s_cbranch_execz .LBB10_120
; %bb.117:
	v_cmp_ne_u32_e32 vcc, 5, v34
	s_xor_b64 s[14:15], s[14:15], -1
	s_and_b64 s[18:19], s[14:15], vcc
	s_and_saveexec_b64 s[14:15], s[18:19]
	s_cbranch_execz .LBB10_119
; %bb.118:
	v_ashrrev_i32_e32 v35, 31, v34
	v_lshl_add_u64 v[36:37], v[34:35], 2, v[32:33]
	global_load_dword v35, v[36:37], off
	global_load_dword v38, v[32:33], off offset:20
	s_waitcnt vmcnt(1)
	global_store_dword v[32:33], v35, off offset:20
	s_waitcnt vmcnt(1)
	global_store_dword v[36:37], v38, off
.LBB10_119:
	s_or_b64 exec, exec, s[14:15]
	v_mov_b32_e32 v35, v34
	v_mov_b32_e32 v38, v34
.LBB10_120:
	s_or_b64 exec, exec, s[16:17]
	v_mov_b32_e32 v36, v35
.LBB10_121:
	s_or_b64 exec, exec, s[0:1]
	v_cmp_gt_i32_e32 vcc, 6, v36
	v_ashrrev_i32_e32 v37, 31, v36
	s_barrier
	s_barrier
	s_and_saveexec_b64 s[0:1], vcc
	s_cbranch_execz .LBB10_123
; %bb.122:
	v_mov_b32_e32 v32, s6
	v_mov_b32_e32 v33, s7
	v_mul_lo_u32 v40, s11, v30
	v_mul_lo_u32 v41, s10, v31
	v_mad_u64_u32 v[34:35], s[6:7], s10, v30, 0
	v_add3_u32 v35, v35, v41, v40
	v_lshl_add_u64 v[32:33], v[34:35], 2, v[32:33]
	v_lshl_add_u64 v[32:33], s[8:9], 2, v[32:33]
	;; [unrolled: 1-line block ×3, first 2 shown]
	v_add3_u32 v34, v38, s13, 1
	global_store_dword v[32:33], v34, off
.LBB10_123:
	s_or_b64 exec, exec, s[0:1]
	v_cmp_eq_u32_e32 vcc, 0, v36
	s_and_saveexec_b64 s[6:7], vcc
	s_cbranch_execz .LBB10_126
; %bb.124:
	v_mov_b32_e32 v32, s4
	v_mov_b32_e32 v33, s5
	v_lshl_add_u64 v[30:31], v[30:31], 2, v[32:33]
	global_load_dword v32, v[30:31], off
	v_cmp_ne_u32_e64 s[0:1], 0, v39
	s_waitcnt vmcnt(0)
	v_cmp_eq_u32_e32 vcc, 0, v32
	s_and_b64 s[0:1], vcc, s[0:1]
	s_and_b64 exec, exec, s[0:1]
	s_cbranch_execz .LBB10_126
; %bb.125:
	v_add_u32_e32 v32, s13, v39
	global_store_dword v[30:31], v32, off
.LBB10_126:
	s_or_b64 exec, exec, s[6:7]
	v_mul_f64 v[30:31], v[26:27], v[22:23]
	v_fma_f64 v[30:31], v[24:25], v[20:21], -v[30:31]
	v_mul_f64 v[24:25], v[24:25], v[22:23]
	v_fmac_f64_e32 v[24:25], v[26:27], v[20:21]
	v_cmp_lt_i32_e32 vcc, 5, v36
	s_nop 1
	v_cndmask_b32_e32 v23, v23, v25, vcc
	v_cndmask_b32_e32 v22, v22, v24, vcc
	v_lshl_add_u64 v[24:25], v[36:37], 4, v[28:29]
	global_store_dwordx4 v[24:25], v[12:15], off
	v_cndmask_b32_e32 v21, v21, v31, vcc
	v_cndmask_b32_e32 v20, v20, v30, vcc
	v_lshl_add_u64 v[12:13], s[2:3], 4, v[24:25]
	global_store_dwordx4 v[12:13], v[8:11], off
	s_nop 1
	v_add_u32_e32 v8, s12, v36
	v_ashrrev_i32_e32 v9, 31, v8
	v_lshl_add_u64 v[10:11], v[8:9], 4, v[28:29]
	v_add_u32_e32 v8, s2, v8
	v_ashrrev_i32_e32 v9, 31, v8
	global_store_dwordx4 v[10:11], v[16:19], off
	v_lshl_add_u64 v[10:11], v[8:9], 4, v[28:29]
	global_store_dwordx4 v[10:11], v[0:3], off
	s_nop 1
	v_add_u32_e32 v0, s2, v8
	v_ashrrev_i32_e32 v1, 31, v0
	v_lshl_add_u64 v[2:3], v[0:1], 4, v[28:29]
	v_add_u32_e32 v0, s2, v0
	v_ashrrev_i32_e32 v1, 31, v0
	v_lshl_add_u64 v[0:1], v[0:1], 4, v[28:29]
	global_store_dwordx4 v[2:3], v[4:7], off
	global_store_dwordx4 v[0:1], v[20:23], off
.LBB10_127:
	s_endpgm
	.section	.rodata,"a",@progbits
	.p2align	6, 0x0
	.amdhsa_kernel _ZN9rocsolver6v33100L18getf2_small_kernelILi6E19rocblas_complex_numIdEiiPS3_EEvT1_T3_lS5_lPS5_llPT2_S5_S5_S7_l
		.amdhsa_group_segment_fixed_size 0
		.amdhsa_private_segment_fixed_size 0
		.amdhsa_kernarg_size 352
		.amdhsa_user_sgpr_count 2
		.amdhsa_user_sgpr_dispatch_ptr 0
		.amdhsa_user_sgpr_queue_ptr 0
		.amdhsa_user_sgpr_kernarg_segment_ptr 1
		.amdhsa_user_sgpr_dispatch_id 0
		.amdhsa_user_sgpr_kernarg_preload_length 0
		.amdhsa_user_sgpr_kernarg_preload_offset 0
		.amdhsa_user_sgpr_private_segment_size 0
		.amdhsa_uses_dynamic_stack 0
		.amdhsa_enable_private_segment 0
		.amdhsa_system_sgpr_workgroup_id_x 1
		.amdhsa_system_sgpr_workgroup_id_y 1
		.amdhsa_system_sgpr_workgroup_id_z 0
		.amdhsa_system_sgpr_workgroup_info 0
		.amdhsa_system_vgpr_workitem_id 1
		.amdhsa_next_free_vgpr 53
		.amdhsa_next_free_sgpr 24
		.amdhsa_accum_offset 56
		.amdhsa_reserve_vcc 1
		.amdhsa_float_round_mode_32 0
		.amdhsa_float_round_mode_16_64 0
		.amdhsa_float_denorm_mode_32 3
		.amdhsa_float_denorm_mode_16_64 3
		.amdhsa_dx10_clamp 1
		.amdhsa_ieee_mode 1
		.amdhsa_fp16_overflow 0
		.amdhsa_tg_split 0
		.amdhsa_exception_fp_ieee_invalid_op 0
		.amdhsa_exception_fp_denorm_src 0
		.amdhsa_exception_fp_ieee_div_zero 0
		.amdhsa_exception_fp_ieee_overflow 0
		.amdhsa_exception_fp_ieee_underflow 0
		.amdhsa_exception_fp_ieee_inexact 0
		.amdhsa_exception_int_div_zero 0
	.end_amdhsa_kernel
	.section	.text._ZN9rocsolver6v33100L18getf2_small_kernelILi6E19rocblas_complex_numIdEiiPS3_EEvT1_T3_lS5_lPS5_llPT2_S5_S5_S7_l,"axG",@progbits,_ZN9rocsolver6v33100L18getf2_small_kernelILi6E19rocblas_complex_numIdEiiPS3_EEvT1_T3_lS5_lPS5_llPT2_S5_S5_S7_l,comdat
.Lfunc_end10:
	.size	_ZN9rocsolver6v33100L18getf2_small_kernelILi6E19rocblas_complex_numIdEiiPS3_EEvT1_T3_lS5_lPS5_llPT2_S5_S5_S7_l, .Lfunc_end10-_ZN9rocsolver6v33100L18getf2_small_kernelILi6E19rocblas_complex_numIdEiiPS3_EEvT1_T3_lS5_lPS5_llPT2_S5_S5_S7_l
                                        ; -- End function
	.set _ZN9rocsolver6v33100L18getf2_small_kernelILi6E19rocblas_complex_numIdEiiPS3_EEvT1_T3_lS5_lPS5_llPT2_S5_S5_S7_l.num_vgpr, 53
	.set _ZN9rocsolver6v33100L18getf2_small_kernelILi6E19rocblas_complex_numIdEiiPS3_EEvT1_T3_lS5_lPS5_llPT2_S5_S5_S7_l.num_agpr, 0
	.set _ZN9rocsolver6v33100L18getf2_small_kernelILi6E19rocblas_complex_numIdEiiPS3_EEvT1_T3_lS5_lPS5_llPT2_S5_S5_S7_l.numbered_sgpr, 24
	.set _ZN9rocsolver6v33100L18getf2_small_kernelILi6E19rocblas_complex_numIdEiiPS3_EEvT1_T3_lS5_lPS5_llPT2_S5_S5_S7_l.num_named_barrier, 0
	.set _ZN9rocsolver6v33100L18getf2_small_kernelILi6E19rocblas_complex_numIdEiiPS3_EEvT1_T3_lS5_lPS5_llPT2_S5_S5_S7_l.private_seg_size, 0
	.set _ZN9rocsolver6v33100L18getf2_small_kernelILi6E19rocblas_complex_numIdEiiPS3_EEvT1_T3_lS5_lPS5_llPT2_S5_S5_S7_l.uses_vcc, 1
	.set _ZN9rocsolver6v33100L18getf2_small_kernelILi6E19rocblas_complex_numIdEiiPS3_EEvT1_T3_lS5_lPS5_llPT2_S5_S5_S7_l.uses_flat_scratch, 0
	.set _ZN9rocsolver6v33100L18getf2_small_kernelILi6E19rocblas_complex_numIdEiiPS3_EEvT1_T3_lS5_lPS5_llPT2_S5_S5_S7_l.has_dyn_sized_stack, 0
	.set _ZN9rocsolver6v33100L18getf2_small_kernelILi6E19rocblas_complex_numIdEiiPS3_EEvT1_T3_lS5_lPS5_llPT2_S5_S5_S7_l.has_recursion, 0
	.set _ZN9rocsolver6v33100L18getf2_small_kernelILi6E19rocblas_complex_numIdEiiPS3_EEvT1_T3_lS5_lPS5_llPT2_S5_S5_S7_l.has_indirect_call, 0
	.section	.AMDGPU.csdata,"",@progbits
; Kernel info:
; codeLenInByte = 6964
; TotalNumSgprs: 30
; NumVgprs: 53
; NumAgprs: 0
; TotalNumVgprs: 53
; ScratchSize: 0
; MemoryBound: 0
; FloatMode: 240
; IeeeMode: 1
; LDSByteSize: 0 bytes/workgroup (compile time only)
; SGPRBlocks: 3
; VGPRBlocks: 6
; NumSGPRsForWavesPerEU: 30
; NumVGPRsForWavesPerEU: 53
; AccumOffset: 56
; Occupancy: 8
; WaveLimiterHint : 0
; COMPUTE_PGM_RSRC2:SCRATCH_EN: 0
; COMPUTE_PGM_RSRC2:USER_SGPR: 2
; COMPUTE_PGM_RSRC2:TRAP_HANDLER: 0
; COMPUTE_PGM_RSRC2:TGID_X_EN: 1
; COMPUTE_PGM_RSRC2:TGID_Y_EN: 1
; COMPUTE_PGM_RSRC2:TGID_Z_EN: 0
; COMPUTE_PGM_RSRC2:TIDIG_COMP_CNT: 1
; COMPUTE_PGM_RSRC3_GFX90A:ACCUM_OFFSET: 13
; COMPUTE_PGM_RSRC3_GFX90A:TG_SPLIT: 0
	.section	.text._ZN9rocsolver6v33100L23getf2_npvt_small_kernelILi6E19rocblas_complex_numIdEiiPS3_EEvT1_T3_lS5_lPT2_S5_S5_,"axG",@progbits,_ZN9rocsolver6v33100L23getf2_npvt_small_kernelILi6E19rocblas_complex_numIdEiiPS3_EEvT1_T3_lS5_lPT2_S5_S5_,comdat
	.globl	_ZN9rocsolver6v33100L23getf2_npvt_small_kernelILi6E19rocblas_complex_numIdEiiPS3_EEvT1_T3_lS5_lPT2_S5_S5_ ; -- Begin function _ZN9rocsolver6v33100L23getf2_npvt_small_kernelILi6E19rocblas_complex_numIdEiiPS3_EEvT1_T3_lS5_lPT2_S5_S5_
	.p2align	8
	.type	_ZN9rocsolver6v33100L23getf2_npvt_small_kernelILi6E19rocblas_complex_numIdEiiPS3_EEvT1_T3_lS5_lPT2_S5_S5_,@function
_ZN9rocsolver6v33100L23getf2_npvt_small_kernelILi6E19rocblas_complex_numIdEiiPS3_EEvT1_T3_lS5_lPT2_S5_S5_: ; @_ZN9rocsolver6v33100L23getf2_npvt_small_kernelILi6E19rocblas_complex_numIdEiiPS3_EEvT1_T3_lS5_lPT2_S5_S5_
; %bb.0:
	s_load_dword s2, s[0:1], 0x44
	s_load_dwordx2 s[22:23], s[0:1], 0x30
	v_bfe_u32 v24, v0, 10, 10
	s_waitcnt lgkmcnt(0)
	s_lshr_b32 s2, s2, 16
	s_mul_i32 s3, s3, s2
	v_add_u32_e32 v56, s3, v24
	v_cmp_gt_i32_e32 vcc, s22, v56
	s_and_saveexec_b64 s[4:5], vcc
	s_cbranch_execz .LBB11_57
; %bb.1:
	s_load_dwordx4 s[8:11], s[0:1], 0x8
	s_load_dword s12, s[0:1], 0x18
	s_load_dwordx4 s[4:7], s[0:1], 0x20
	v_and_b32_e32 v62, 0x3ff, v0
	v_ashrrev_i32_e32 v57, 31, v56
	s_waitcnt lgkmcnt(0)
	v_mov_b32_e32 v2, s8
	v_mov_b32_e32 v3, s9
	v_mad_u64_u32 v[0:1], s[0:1], s4, v56, 0
	v_mul_lo_u32 v4, s5, v56
	v_mul_lo_u32 v5, s4, v57
	s_add_i32 s0, s12, s12
	v_add3_u32 v1, v1, v5, v4
	v_add_u32_e32 v8, s0, v62
	v_lshl_add_u64 v[0:1], v[0:1], 4, v[2:3]
	v_add_u32_e32 v18, s12, v8
	v_lshl_add_u64 v[16:17], s[10:11], 4, v[0:1]
	v_ashrrev_i32_e32 v19, 31, v18
	v_lshl_add_u64 v[54:55], v[18:19], 4, v[16:17]
	v_add_u32_e32 v18, s12, v18
	v_ashrrev_i32_e32 v19, 31, v18
	v_lshlrev_b32_e32 v0, 4, v62
	v_mov_b32_e32 v1, 0
	v_ashrrev_i32_e32 v9, 31, v8
	v_lshl_add_u64 v[58:59], v[18:19], 4, v[16:17]
	v_add_u32_e32 v18, s12, v18
	s_ashr_i32 s13, s12, 31
	v_lshl_add_u64 v[48:49], v[16:17], 0, v[0:1]
	v_lshl_add_u64 v[52:53], v[8:9], 4, v[16:17]
	v_ashrrev_i32_e32 v19, 31, v18
	v_lshl_add_u64 v[50:51], s[12:13], 4, v[48:49]
	global_load_dwordx4 v[4:7], v[48:49], off
	global_load_dwordx4 v[0:3], v[50:51], off
	;; [unrolled: 1-line block ×4, first 2 shown]
	v_lshl_add_u64 v[60:61], v[18:19], 4, v[16:17]
	global_load_dwordx4 v[16:19], v[58:59], off
	global_load_dwordx4 v[20:23], v[60:61], off
	s_mulk_i32 s2, 0x60
	s_movk_i32 s0, 0x60
	s_add_i32 s1, s2, 0
	v_mad_u32_u24 v64, v24, s0, 0
	v_lshl_add_u32 v63, v24, 4, s1
	v_cmp_ne_u32_e64 s[2:3], 0, v62
	v_cmp_eq_u32_e64 s[0:1], 0, v62
	s_and_saveexec_b64 s[8:9], s[0:1]
	s_cbranch_execz .LBB11_8
; %bb.2:
	s_waitcnt vmcnt(5)
	ds_write2_b64 v63, v[4:5], v[6:7] offset1:1
	s_waitcnt vmcnt(4)
	ds_write2_b64 v64, v[0:1], v[2:3] offset0:2 offset1:3
	s_waitcnt vmcnt(3)
	ds_write2_b64 v64, v[12:13], v[14:15] offset0:4 offset1:5
	;; [unrolled: 2-line block ×5, first 2 shown]
	ds_read2_b64 v[24:27], v63 offset1:1
	s_waitcnt lgkmcnt(0)
	v_cmp_neq_f64_e32 vcc, 0, v[24:25]
	v_cmp_neq_f64_e64 s[4:5], 0, v[26:27]
	s_or_b64 s[4:5], vcc, s[4:5]
	s_and_b64 exec, exec, s[4:5]
	s_cbranch_execz .LBB11_8
; %bb.3:
	v_cmp_ngt_f64_e64 s[4:5], |v[24:25]|, |v[26:27]|
                                        ; implicit-def: $vgpr28_vgpr29
	s_and_saveexec_b64 s[10:11], s[4:5]
	s_xor_b64 s[4:5], exec, s[10:11]
                                        ; implicit-def: $vgpr30_vgpr31
	s_cbranch_execz .LBB11_5
; %bb.4:
	v_div_scale_f64 v[28:29], s[10:11], v[26:27], v[26:27], v[24:25]
	v_rcp_f64_e32 v[30:31], v[28:29]
	v_div_scale_f64 v[32:33], vcc, v[24:25], v[26:27], v[24:25]
	v_fma_f64 v[34:35], -v[28:29], v[30:31], 1.0
	v_fmac_f64_e32 v[30:31], v[30:31], v[34:35]
	v_fma_f64 v[34:35], -v[28:29], v[30:31], 1.0
	v_fmac_f64_e32 v[30:31], v[30:31], v[34:35]
	v_mul_f64 v[34:35], v[32:33], v[30:31]
	v_fma_f64 v[28:29], -v[28:29], v[34:35], v[32:33]
	v_div_fmas_f64 v[28:29], v[28:29], v[30:31], v[34:35]
	v_div_fixup_f64 v[28:29], v[28:29], v[26:27], v[24:25]
	v_fmac_f64_e32 v[26:27], v[24:25], v[28:29]
	v_div_scale_f64 v[24:25], s[10:11], v[26:27], v[26:27], 1.0
	v_rcp_f64_e32 v[30:31], v[24:25]
	s_nop 0
	v_fma_f64 v[32:33], -v[24:25], v[30:31], 1.0
	v_fmac_f64_e32 v[30:31], v[30:31], v[32:33]
	v_fma_f64 v[32:33], -v[24:25], v[30:31], 1.0
	v_fmac_f64_e32 v[30:31], v[30:31], v[32:33]
	v_div_scale_f64 v[32:33], vcc, 1.0, v[26:27], 1.0
	v_mul_f64 v[34:35], v[32:33], v[30:31]
	v_fma_f64 v[24:25], -v[24:25], v[34:35], v[32:33]
	s_nop 1
	v_div_fmas_f64 v[24:25], v[24:25], v[30:31], v[34:35]
	v_div_fixup_f64 v[30:31], v[24:25], v[26:27], 1.0
	v_mul_f64 v[28:29], v[28:29], v[30:31]
	v_xor_b32_e32 v31, 0x80000000, v31
                                        ; implicit-def: $vgpr24_vgpr25
.LBB11_5:
	s_andn2_saveexec_b64 s[4:5], s[4:5]
	s_cbranch_execz .LBB11_7
; %bb.6:
	v_div_scale_f64 v[28:29], s[10:11], v[24:25], v[24:25], v[26:27]
	v_rcp_f64_e32 v[30:31], v[28:29]
	v_div_scale_f64 v[32:33], vcc, v[26:27], v[24:25], v[26:27]
	v_fma_f64 v[34:35], -v[28:29], v[30:31], 1.0
	v_fmac_f64_e32 v[30:31], v[30:31], v[34:35]
	v_fma_f64 v[34:35], -v[28:29], v[30:31], 1.0
	v_fmac_f64_e32 v[30:31], v[30:31], v[34:35]
	v_mul_f64 v[34:35], v[32:33], v[30:31]
	v_fma_f64 v[28:29], -v[28:29], v[34:35], v[32:33]
	v_div_fmas_f64 v[28:29], v[28:29], v[30:31], v[34:35]
	v_div_fixup_f64 v[30:31], v[28:29], v[24:25], v[26:27]
	v_fmac_f64_e32 v[24:25], v[26:27], v[30:31]
	v_div_scale_f64 v[26:27], s[10:11], v[24:25], v[24:25], 1.0
	v_rcp_f64_e32 v[28:29], v[26:27]
	s_nop 0
	v_fma_f64 v[32:33], -v[26:27], v[28:29], 1.0
	v_fmac_f64_e32 v[28:29], v[28:29], v[32:33]
	v_fma_f64 v[32:33], -v[26:27], v[28:29], 1.0
	v_fmac_f64_e32 v[28:29], v[28:29], v[32:33]
	v_div_scale_f64 v[32:33], vcc, 1.0, v[24:25], 1.0
	v_mul_f64 v[34:35], v[32:33], v[28:29]
	v_fma_f64 v[26:27], -v[26:27], v[34:35], v[32:33]
	s_nop 1
	v_div_fmas_f64 v[26:27], v[26:27], v[28:29], v[34:35]
	v_div_fixup_f64 v[28:29], v[26:27], v[24:25], 1.0
	v_mul_f64 v[30:31], v[30:31], -v[28:29]
.LBB11_7:
	s_or_b64 exec, exec, s[4:5]
	ds_write2_b64 v63, v[28:29], v[30:31] offset1:1
.LBB11_8:
	s_or_b64 exec, exec, s[8:9]
	s_waitcnt lgkmcnt(0)
	s_barrier
	ds_read2_b64 v[24:27], v63 offset1:1
	s_and_saveexec_b64 s[4:5], s[2:3]
	s_cbranch_execz .LBB11_10
; %bb.9:
	ds_read2_b64 v[28:31], v64 offset0:2 offset1:3
	ds_read2_b64 v[32:35], v64 offset0:4 offset1:5
	s_waitcnt vmcnt(5) lgkmcnt(2)
	v_mul_f64 v[36:37], v[24:25], v[6:7]
	v_fmac_f64_e32 v[36:37], v[26:27], v[4:5]
	v_mul_f64 v[6:7], v[26:27], v[6:7]
	v_fma_f64 v[4:5], v[24:25], v[4:5], -v[6:7]
	s_waitcnt lgkmcnt(1)
	v_mul_f64 v[6:7], v[30:31], v[36:37]
	v_fma_f64 v[6:7], v[28:29], v[4:5], -v[6:7]
	v_mul_f64 v[28:29], v[28:29], v[36:37]
	v_fmac_f64_e32 v[28:29], v[30:31], v[4:5]
	s_waitcnt vmcnt(4)
	v_add_f64 v[2:3], v[2:3], -v[28:29]
	ds_read2_b64 v[28:31], v64 offset0:6 offset1:7
	v_add_f64 v[0:1], v[0:1], -v[6:7]
	s_waitcnt lgkmcnt(1)
	v_mul_f64 v[6:7], v[34:35], v[36:37]
	v_fma_f64 v[6:7], v[32:33], v[4:5], -v[6:7]
	v_mul_f64 v[32:33], v[32:33], v[36:37]
	v_fmac_f64_e32 v[32:33], v[34:35], v[4:5]
	s_waitcnt vmcnt(3)
	v_add_f64 v[12:13], v[12:13], -v[6:7]
	v_add_f64 v[14:15], v[14:15], -v[32:33]
	ds_read2_b64 v[32:35], v64 offset0:8 offset1:9
	s_waitcnt lgkmcnt(1)
	v_mul_f64 v[6:7], v[30:31], v[36:37]
	v_fma_f64 v[6:7], v[28:29], v[4:5], -v[6:7]
	v_mul_f64 v[28:29], v[28:29], v[36:37]
	v_fmac_f64_e32 v[28:29], v[30:31], v[4:5]
	s_waitcnt vmcnt(2)
	v_add_f64 v[10:11], v[10:11], -v[28:29]
	ds_read2_b64 v[28:31], v64 offset0:10 offset1:11
	v_add_f64 v[8:9], v[8:9], -v[6:7]
	s_waitcnt lgkmcnt(1)
	v_mul_f64 v[6:7], v[34:35], v[36:37]
	v_fma_f64 v[6:7], v[32:33], v[4:5], -v[6:7]
	s_waitcnt vmcnt(1)
	v_add_f64 v[16:17], v[16:17], -v[6:7]
	s_waitcnt lgkmcnt(0)
	v_mul_f64 v[6:7], v[30:31], v[36:37]
	v_mul_f64 v[32:33], v[32:33], v[36:37]
	v_fma_f64 v[6:7], v[28:29], v[4:5], -v[6:7]
	v_mul_f64 v[28:29], v[28:29], v[36:37]
	v_fmac_f64_e32 v[32:33], v[34:35], v[4:5]
	v_fmac_f64_e32 v[28:29], v[30:31], v[4:5]
	v_add_f64 v[18:19], v[18:19], -v[32:33]
	s_waitcnt vmcnt(0)
	v_add_f64 v[20:21], v[20:21], -v[6:7]
	v_add_f64 v[22:23], v[22:23], -v[28:29]
	v_mov_b64_e32 v[6:7], v[36:37]
.LBB11_10:
	s_or_b64 exec, exec, s[4:5]
	v_cmp_eq_u32_e32 vcc, 1, v62
	s_waitcnt lgkmcnt(0)
	s_barrier
	s_and_saveexec_b64 s[4:5], vcc
	s_cbranch_execz .LBB11_17
; %bb.11:
	s_waitcnt vmcnt(4)
	ds_write2_b64 v63, v[0:1], v[2:3] offset1:1
	s_waitcnt vmcnt(3)
	ds_write2_b64 v64, v[12:13], v[14:15] offset0:4 offset1:5
	s_waitcnt vmcnt(2)
	ds_write2_b64 v64, v[8:9], v[10:11] offset0:6 offset1:7
	;; [unrolled: 2-line block ×4, first 2 shown]
	ds_read2_b64 v[28:31], v63 offset1:1
	s_waitcnt lgkmcnt(0)
	v_cmp_neq_f64_e32 vcc, 0, v[28:29]
	v_cmp_neq_f64_e64 s[2:3], 0, v[30:31]
	s_or_b64 s[2:3], vcc, s[2:3]
	s_and_b64 exec, exec, s[2:3]
	s_cbranch_execz .LBB11_17
; %bb.12:
	v_cmp_ngt_f64_e64 s[2:3], |v[28:29]|, |v[30:31]|
                                        ; implicit-def: $vgpr32_vgpr33
	s_and_saveexec_b64 s[8:9], s[2:3]
	s_xor_b64 s[2:3], exec, s[8:9]
                                        ; implicit-def: $vgpr34_vgpr35
	s_cbranch_execz .LBB11_14
; %bb.13:
	v_div_scale_f64 v[32:33], s[8:9], v[30:31], v[30:31], v[28:29]
	v_rcp_f64_e32 v[34:35], v[32:33]
	v_div_scale_f64 v[36:37], vcc, v[28:29], v[30:31], v[28:29]
	v_fma_f64 v[38:39], -v[32:33], v[34:35], 1.0
	v_fmac_f64_e32 v[34:35], v[34:35], v[38:39]
	v_fma_f64 v[38:39], -v[32:33], v[34:35], 1.0
	v_fmac_f64_e32 v[34:35], v[34:35], v[38:39]
	v_mul_f64 v[38:39], v[36:37], v[34:35]
	v_fma_f64 v[32:33], -v[32:33], v[38:39], v[36:37]
	v_div_fmas_f64 v[32:33], v[32:33], v[34:35], v[38:39]
	v_div_fixup_f64 v[32:33], v[32:33], v[30:31], v[28:29]
	v_fmac_f64_e32 v[30:31], v[28:29], v[32:33]
	v_div_scale_f64 v[28:29], s[8:9], v[30:31], v[30:31], 1.0
	v_rcp_f64_e32 v[34:35], v[28:29]
	s_nop 0
	v_fma_f64 v[36:37], -v[28:29], v[34:35], 1.0
	v_fmac_f64_e32 v[34:35], v[34:35], v[36:37]
	v_fma_f64 v[36:37], -v[28:29], v[34:35], 1.0
	v_fmac_f64_e32 v[34:35], v[34:35], v[36:37]
	v_div_scale_f64 v[36:37], vcc, 1.0, v[30:31], 1.0
	v_mul_f64 v[38:39], v[36:37], v[34:35]
	v_fma_f64 v[28:29], -v[28:29], v[38:39], v[36:37]
	s_nop 1
	v_div_fmas_f64 v[28:29], v[28:29], v[34:35], v[38:39]
	v_div_fixup_f64 v[34:35], v[28:29], v[30:31], 1.0
	v_mul_f64 v[32:33], v[32:33], v[34:35]
	v_xor_b32_e32 v35, 0x80000000, v35
                                        ; implicit-def: $vgpr28_vgpr29
.LBB11_14:
	s_andn2_saveexec_b64 s[2:3], s[2:3]
	s_cbranch_execz .LBB11_16
; %bb.15:
	v_div_scale_f64 v[32:33], s[8:9], v[28:29], v[28:29], v[30:31]
	v_rcp_f64_e32 v[34:35], v[32:33]
	v_div_scale_f64 v[36:37], vcc, v[30:31], v[28:29], v[30:31]
	v_fma_f64 v[38:39], -v[32:33], v[34:35], 1.0
	v_fmac_f64_e32 v[34:35], v[34:35], v[38:39]
	v_fma_f64 v[38:39], -v[32:33], v[34:35], 1.0
	v_fmac_f64_e32 v[34:35], v[34:35], v[38:39]
	v_mul_f64 v[38:39], v[36:37], v[34:35]
	v_fma_f64 v[32:33], -v[32:33], v[38:39], v[36:37]
	v_div_fmas_f64 v[32:33], v[32:33], v[34:35], v[38:39]
	v_div_fixup_f64 v[34:35], v[32:33], v[28:29], v[30:31]
	v_fmac_f64_e32 v[28:29], v[30:31], v[34:35]
	v_div_scale_f64 v[30:31], s[8:9], v[28:29], v[28:29], 1.0
	v_rcp_f64_e32 v[32:33], v[30:31]
	s_nop 0
	v_fma_f64 v[36:37], -v[30:31], v[32:33], 1.0
	v_fmac_f64_e32 v[32:33], v[32:33], v[36:37]
	v_fma_f64 v[36:37], -v[30:31], v[32:33], 1.0
	v_fmac_f64_e32 v[32:33], v[32:33], v[36:37]
	v_div_scale_f64 v[36:37], vcc, 1.0, v[28:29], 1.0
	v_mul_f64 v[38:39], v[36:37], v[32:33]
	v_fma_f64 v[30:31], -v[30:31], v[38:39], v[36:37]
	s_nop 1
	v_div_fmas_f64 v[30:31], v[30:31], v[32:33], v[38:39]
	v_div_fixup_f64 v[32:33], v[30:31], v[28:29], 1.0
	v_mul_f64 v[34:35], v[34:35], -v[32:33]
.LBB11_16:
	s_or_b64 exec, exec, s[2:3]
	ds_write2_b64 v63, v[32:33], v[34:35] offset1:1
.LBB11_17:
	s_or_b64 exec, exec, s[4:5]
	s_waitcnt lgkmcnt(0)
	s_barrier
	ds_read2_b64 v[28:31], v63 offset1:1
	v_cmp_lt_u32_e32 vcc, 1, v62
	s_and_saveexec_b64 s[2:3], vcc
	s_cbranch_execz .LBB11_19
; %bb.18:
	ds_read2_b64 v[32:35], v64 offset0:4 offset1:5
	ds_read2_b64 v[36:39], v64 offset0:6 offset1:7
	s_waitcnt vmcnt(4) lgkmcnt(2)
	v_mul_f64 v[40:41], v[28:29], v[2:3]
	v_fmac_f64_e32 v[40:41], v[30:31], v[0:1]
	v_mul_f64 v[2:3], v[30:31], v[2:3]
	v_fma_f64 v[0:1], v[28:29], v[0:1], -v[2:3]
	s_waitcnt lgkmcnt(1)
	v_mul_f64 v[2:3], v[34:35], v[40:41]
	v_fma_f64 v[2:3], v[32:33], v[0:1], -v[2:3]
	v_mul_f64 v[32:33], v[32:33], v[40:41]
	v_fmac_f64_e32 v[32:33], v[34:35], v[0:1]
	s_waitcnt vmcnt(3)
	v_add_f64 v[12:13], v[12:13], -v[2:3]
	v_add_f64 v[14:15], v[14:15], -v[32:33]
	s_waitcnt lgkmcnt(0)
	v_mul_f64 v[2:3], v[38:39], v[40:41]
	ds_read2_b64 v[32:35], v64 offset0:8 offset1:9
	v_fma_f64 v[2:3], v[36:37], v[0:1], -v[2:3]
	v_mul_f64 v[36:37], v[36:37], v[40:41]
	v_fmac_f64_e32 v[36:37], v[38:39], v[0:1]
	s_waitcnt vmcnt(2)
	v_add_f64 v[10:11], v[10:11], -v[36:37]
	ds_read2_b64 v[36:39], v64 offset0:10 offset1:11
	v_add_f64 v[8:9], v[8:9], -v[2:3]
	s_waitcnt lgkmcnt(1)
	v_mul_f64 v[2:3], v[34:35], v[40:41]
	v_fma_f64 v[2:3], v[32:33], v[0:1], -v[2:3]
	v_mul_f64 v[32:33], v[32:33], v[40:41]
	v_fmac_f64_e32 v[32:33], v[34:35], v[0:1]
	s_waitcnt vmcnt(1)
	v_add_f64 v[16:17], v[16:17], -v[2:3]
	v_add_f64 v[18:19], v[18:19], -v[32:33]
	s_waitcnt lgkmcnt(0)
	v_mul_f64 v[2:3], v[38:39], v[40:41]
	v_mul_f64 v[32:33], v[36:37], v[40:41]
	v_fma_f64 v[2:3], v[36:37], v[0:1], -v[2:3]
	v_fmac_f64_e32 v[32:33], v[38:39], v[0:1]
	s_waitcnt vmcnt(0)
	v_add_f64 v[20:21], v[20:21], -v[2:3]
	v_add_f64 v[22:23], v[22:23], -v[32:33]
	v_mov_b64_e32 v[2:3], v[40:41]
.LBB11_19:
	s_or_b64 exec, exec, s[2:3]
	v_cmp_eq_u32_e32 vcc, 2, v62
	s_waitcnt lgkmcnt(0)
	s_barrier
	s_and_saveexec_b64 s[4:5], vcc
	s_cbranch_execz .LBB11_26
; %bb.20:
	s_waitcnt vmcnt(3)
	ds_write2_b64 v63, v[12:13], v[14:15] offset1:1
	s_waitcnt vmcnt(2)
	ds_write2_b64 v64, v[8:9], v[10:11] offset0:6 offset1:7
	s_waitcnt vmcnt(1)
	ds_write2_b64 v64, v[16:17], v[18:19] offset0:8 offset1:9
	;; [unrolled: 2-line block ×3, first 2 shown]
	ds_read2_b64 v[32:35], v63 offset1:1
	s_waitcnt lgkmcnt(0)
	v_cmp_neq_f64_e32 vcc, 0, v[32:33]
	v_cmp_neq_f64_e64 s[2:3], 0, v[34:35]
	s_or_b64 s[2:3], vcc, s[2:3]
	s_and_b64 exec, exec, s[2:3]
	s_cbranch_execz .LBB11_26
; %bb.21:
	v_cmp_ngt_f64_e64 s[2:3], |v[32:33]|, |v[34:35]|
                                        ; implicit-def: $vgpr36_vgpr37
	s_and_saveexec_b64 s[8:9], s[2:3]
	s_xor_b64 s[2:3], exec, s[8:9]
                                        ; implicit-def: $vgpr38_vgpr39
	s_cbranch_execz .LBB11_23
; %bb.22:
	v_div_scale_f64 v[36:37], s[8:9], v[34:35], v[34:35], v[32:33]
	v_rcp_f64_e32 v[38:39], v[36:37]
	v_div_scale_f64 v[40:41], vcc, v[32:33], v[34:35], v[32:33]
	v_fma_f64 v[42:43], -v[36:37], v[38:39], 1.0
	v_fmac_f64_e32 v[38:39], v[38:39], v[42:43]
	v_fma_f64 v[42:43], -v[36:37], v[38:39], 1.0
	v_fmac_f64_e32 v[38:39], v[38:39], v[42:43]
	v_mul_f64 v[42:43], v[40:41], v[38:39]
	v_fma_f64 v[36:37], -v[36:37], v[42:43], v[40:41]
	v_div_fmas_f64 v[36:37], v[36:37], v[38:39], v[42:43]
	v_div_fixup_f64 v[36:37], v[36:37], v[34:35], v[32:33]
	v_fmac_f64_e32 v[34:35], v[32:33], v[36:37]
	v_div_scale_f64 v[32:33], s[8:9], v[34:35], v[34:35], 1.0
	v_rcp_f64_e32 v[38:39], v[32:33]
	s_nop 0
	v_fma_f64 v[40:41], -v[32:33], v[38:39], 1.0
	v_fmac_f64_e32 v[38:39], v[38:39], v[40:41]
	v_fma_f64 v[40:41], -v[32:33], v[38:39], 1.0
	v_fmac_f64_e32 v[38:39], v[38:39], v[40:41]
	v_div_scale_f64 v[40:41], vcc, 1.0, v[34:35], 1.0
	v_mul_f64 v[42:43], v[40:41], v[38:39]
	v_fma_f64 v[32:33], -v[32:33], v[42:43], v[40:41]
	s_nop 1
	v_div_fmas_f64 v[32:33], v[32:33], v[38:39], v[42:43]
	v_div_fixup_f64 v[38:39], v[32:33], v[34:35], 1.0
	v_mul_f64 v[36:37], v[36:37], v[38:39]
	v_xor_b32_e32 v39, 0x80000000, v39
                                        ; implicit-def: $vgpr32_vgpr33
.LBB11_23:
	s_andn2_saveexec_b64 s[2:3], s[2:3]
	s_cbranch_execz .LBB11_25
; %bb.24:
	v_div_scale_f64 v[36:37], s[8:9], v[32:33], v[32:33], v[34:35]
	v_rcp_f64_e32 v[38:39], v[36:37]
	v_div_scale_f64 v[40:41], vcc, v[34:35], v[32:33], v[34:35]
	v_fma_f64 v[42:43], -v[36:37], v[38:39], 1.0
	v_fmac_f64_e32 v[38:39], v[38:39], v[42:43]
	v_fma_f64 v[42:43], -v[36:37], v[38:39], 1.0
	v_fmac_f64_e32 v[38:39], v[38:39], v[42:43]
	v_mul_f64 v[42:43], v[40:41], v[38:39]
	v_fma_f64 v[36:37], -v[36:37], v[42:43], v[40:41]
	v_div_fmas_f64 v[36:37], v[36:37], v[38:39], v[42:43]
	v_div_fixup_f64 v[38:39], v[36:37], v[32:33], v[34:35]
	v_fmac_f64_e32 v[32:33], v[34:35], v[38:39]
	v_div_scale_f64 v[34:35], s[8:9], v[32:33], v[32:33], 1.0
	v_rcp_f64_e32 v[36:37], v[34:35]
	s_nop 0
	v_fma_f64 v[40:41], -v[34:35], v[36:37], 1.0
	v_fmac_f64_e32 v[36:37], v[36:37], v[40:41]
	v_fma_f64 v[40:41], -v[34:35], v[36:37], 1.0
	v_fmac_f64_e32 v[36:37], v[36:37], v[40:41]
	v_div_scale_f64 v[40:41], vcc, 1.0, v[32:33], 1.0
	v_mul_f64 v[42:43], v[40:41], v[36:37]
	v_fma_f64 v[34:35], -v[34:35], v[42:43], v[40:41]
	s_nop 1
	v_div_fmas_f64 v[34:35], v[34:35], v[36:37], v[42:43]
	v_div_fixup_f64 v[36:37], v[34:35], v[32:33], 1.0
	v_mul_f64 v[38:39], v[38:39], -v[36:37]
.LBB11_25:
	s_or_b64 exec, exec, s[2:3]
	ds_write2_b64 v63, v[36:37], v[38:39] offset1:1
.LBB11_26:
	s_or_b64 exec, exec, s[4:5]
	s_waitcnt lgkmcnt(0)
	s_barrier
	ds_read2_b64 v[32:35], v63 offset1:1
	v_cmp_lt_u32_e32 vcc, 2, v62
	s_and_saveexec_b64 s[2:3], vcc
	s_cbranch_execz .LBB11_28
; %bb.27:
	ds_read2_b64 v[36:39], v64 offset0:6 offset1:7
	s_waitcnt vmcnt(3) lgkmcnt(1)
	v_mul_f64 v[40:41], v[32:33], v[14:15]
	v_fmac_f64_e32 v[40:41], v[34:35], v[12:13]
	v_mul_f64 v[14:15], v[34:35], v[14:15]
	v_fma_f64 v[12:13], v[32:33], v[12:13], -v[14:15]
	s_waitcnt lgkmcnt(0)
	v_mul_f64 v[14:15], v[38:39], v[40:41]
	v_fma_f64 v[14:15], v[36:37], v[12:13], -v[14:15]
	v_mul_f64 v[36:37], v[36:37], v[40:41]
	v_fmac_f64_e32 v[36:37], v[38:39], v[12:13]
	s_waitcnt vmcnt(2)
	v_add_f64 v[10:11], v[10:11], -v[36:37]
	ds_read2_b64 v[36:39], v64 offset0:8 offset1:9
	v_add_f64 v[8:9], v[8:9], -v[14:15]
	s_waitcnt lgkmcnt(0)
	v_mul_f64 v[14:15], v[38:39], v[40:41]
	v_fma_f64 v[14:15], v[36:37], v[12:13], -v[14:15]
	v_mul_f64 v[36:37], v[36:37], v[40:41]
	v_fmac_f64_e32 v[36:37], v[38:39], v[12:13]
	s_waitcnt vmcnt(1)
	v_add_f64 v[18:19], v[18:19], -v[36:37]
	ds_read2_b64 v[36:39], v64 offset0:10 offset1:11
	v_add_f64 v[16:17], v[16:17], -v[14:15]
	s_waitcnt lgkmcnt(0)
	v_mul_f64 v[14:15], v[38:39], v[40:41]
	v_fma_f64 v[14:15], v[36:37], v[12:13], -v[14:15]
	v_mul_f64 v[36:37], v[36:37], v[40:41]
	v_fmac_f64_e32 v[36:37], v[38:39], v[12:13]
	s_waitcnt vmcnt(0)
	v_add_f64 v[20:21], v[20:21], -v[14:15]
	v_add_f64 v[22:23], v[22:23], -v[36:37]
	v_mov_b64_e32 v[14:15], v[40:41]
.LBB11_28:
	s_or_b64 exec, exec, s[2:3]
	v_cmp_eq_u32_e32 vcc, 3, v62
	s_waitcnt lgkmcnt(0)
	s_barrier
	s_and_saveexec_b64 s[4:5], vcc
	s_cbranch_execz .LBB11_35
; %bb.29:
	s_waitcnt vmcnt(2)
	ds_write2_b64 v63, v[8:9], v[10:11] offset1:1
	s_waitcnt vmcnt(1)
	ds_write2_b64 v64, v[16:17], v[18:19] offset0:8 offset1:9
	s_waitcnt vmcnt(0)
	ds_write2_b64 v64, v[20:21], v[22:23] offset0:10 offset1:11
	ds_read2_b64 v[36:39], v63 offset1:1
	s_waitcnt lgkmcnt(0)
	v_cmp_neq_f64_e32 vcc, 0, v[36:37]
	v_cmp_neq_f64_e64 s[2:3], 0, v[38:39]
	s_or_b64 s[2:3], vcc, s[2:3]
	s_and_b64 exec, exec, s[2:3]
	s_cbranch_execz .LBB11_35
; %bb.30:
	v_cmp_ngt_f64_e64 s[2:3], |v[36:37]|, |v[38:39]|
                                        ; implicit-def: $vgpr40_vgpr41
	s_and_saveexec_b64 s[8:9], s[2:3]
	s_xor_b64 s[2:3], exec, s[8:9]
                                        ; implicit-def: $vgpr42_vgpr43
	s_cbranch_execz .LBB11_32
; %bb.31:
	v_div_scale_f64 v[40:41], s[8:9], v[38:39], v[38:39], v[36:37]
	v_rcp_f64_e32 v[42:43], v[40:41]
	v_div_scale_f64 v[44:45], vcc, v[36:37], v[38:39], v[36:37]
	v_fma_f64 v[46:47], -v[40:41], v[42:43], 1.0
	v_fmac_f64_e32 v[42:43], v[42:43], v[46:47]
	v_fma_f64 v[46:47], -v[40:41], v[42:43], 1.0
	v_fmac_f64_e32 v[42:43], v[42:43], v[46:47]
	v_mul_f64 v[46:47], v[44:45], v[42:43]
	v_fma_f64 v[40:41], -v[40:41], v[46:47], v[44:45]
	v_div_fmas_f64 v[40:41], v[40:41], v[42:43], v[46:47]
	v_div_fixup_f64 v[40:41], v[40:41], v[38:39], v[36:37]
	v_fmac_f64_e32 v[38:39], v[36:37], v[40:41]
	v_div_scale_f64 v[36:37], s[8:9], v[38:39], v[38:39], 1.0
	v_rcp_f64_e32 v[42:43], v[36:37]
	s_nop 0
	v_fma_f64 v[44:45], -v[36:37], v[42:43], 1.0
	v_fmac_f64_e32 v[42:43], v[42:43], v[44:45]
	v_fma_f64 v[44:45], -v[36:37], v[42:43], 1.0
	v_fmac_f64_e32 v[42:43], v[42:43], v[44:45]
	v_div_scale_f64 v[44:45], vcc, 1.0, v[38:39], 1.0
	v_mul_f64 v[46:47], v[44:45], v[42:43]
	v_fma_f64 v[36:37], -v[36:37], v[46:47], v[44:45]
	s_nop 1
	v_div_fmas_f64 v[36:37], v[36:37], v[42:43], v[46:47]
	v_div_fixup_f64 v[42:43], v[36:37], v[38:39], 1.0
	v_mul_f64 v[40:41], v[40:41], v[42:43]
	v_xor_b32_e32 v43, 0x80000000, v43
                                        ; implicit-def: $vgpr36_vgpr37
.LBB11_32:
	s_andn2_saveexec_b64 s[2:3], s[2:3]
	s_cbranch_execz .LBB11_34
; %bb.33:
	v_div_scale_f64 v[40:41], s[8:9], v[36:37], v[36:37], v[38:39]
	v_rcp_f64_e32 v[42:43], v[40:41]
	v_div_scale_f64 v[44:45], vcc, v[38:39], v[36:37], v[38:39]
	v_fma_f64 v[46:47], -v[40:41], v[42:43], 1.0
	v_fmac_f64_e32 v[42:43], v[42:43], v[46:47]
	v_fma_f64 v[46:47], -v[40:41], v[42:43], 1.0
	v_fmac_f64_e32 v[42:43], v[42:43], v[46:47]
	v_mul_f64 v[46:47], v[44:45], v[42:43]
	v_fma_f64 v[40:41], -v[40:41], v[46:47], v[44:45]
	v_div_fmas_f64 v[40:41], v[40:41], v[42:43], v[46:47]
	v_div_fixup_f64 v[42:43], v[40:41], v[36:37], v[38:39]
	v_fmac_f64_e32 v[36:37], v[38:39], v[42:43]
	v_div_scale_f64 v[38:39], s[8:9], v[36:37], v[36:37], 1.0
	v_rcp_f64_e32 v[40:41], v[38:39]
	s_nop 0
	v_fma_f64 v[44:45], -v[38:39], v[40:41], 1.0
	v_fmac_f64_e32 v[40:41], v[40:41], v[44:45]
	v_fma_f64 v[44:45], -v[38:39], v[40:41], 1.0
	v_fmac_f64_e32 v[40:41], v[40:41], v[44:45]
	v_div_scale_f64 v[44:45], vcc, 1.0, v[36:37], 1.0
	v_mul_f64 v[46:47], v[44:45], v[40:41]
	v_fma_f64 v[38:39], -v[38:39], v[46:47], v[44:45]
	s_nop 1
	v_div_fmas_f64 v[38:39], v[38:39], v[40:41], v[46:47]
	v_div_fixup_f64 v[40:41], v[38:39], v[36:37], 1.0
	v_mul_f64 v[42:43], v[42:43], -v[40:41]
.LBB11_34:
	s_or_b64 exec, exec, s[2:3]
	ds_write2_b64 v63, v[40:41], v[42:43] offset1:1
.LBB11_35:
	s_or_b64 exec, exec, s[4:5]
	s_waitcnt lgkmcnt(0)
	s_barrier
	ds_read2_b64 v[36:39], v63 offset1:1
	v_cmp_lt_u32_e32 vcc, 3, v62
	s_and_saveexec_b64 s[2:3], vcc
	s_cbranch_execz .LBB11_37
; %bb.36:
	ds_read2_b64 v[40:43], v64 offset0:8 offset1:9
	ds_read2_b64 v[44:47], v64 offset0:10 offset1:11
	s_waitcnt vmcnt(2) lgkmcnt(2)
	v_mul_f64 v[66:67], v[36:37], v[10:11]
	v_fmac_f64_e32 v[66:67], v[38:39], v[8:9]
	v_mul_f64 v[10:11], v[38:39], v[10:11]
	v_fma_f64 v[8:9], v[36:37], v[8:9], -v[10:11]
	s_waitcnt lgkmcnt(1)
	v_mul_f64 v[10:11], v[42:43], v[66:67]
	v_fma_f64 v[10:11], v[40:41], v[8:9], -v[10:11]
	v_mul_f64 v[40:41], v[40:41], v[66:67]
	v_fmac_f64_e32 v[40:41], v[42:43], v[8:9]
	s_waitcnt vmcnt(1)
	v_add_f64 v[16:17], v[16:17], -v[10:11]
	v_add_f64 v[18:19], v[18:19], -v[40:41]
	s_waitcnt lgkmcnt(0)
	v_mul_f64 v[10:11], v[46:47], v[66:67]
	v_mul_f64 v[40:41], v[44:45], v[66:67]
	v_fma_f64 v[10:11], v[44:45], v[8:9], -v[10:11]
	v_fmac_f64_e32 v[40:41], v[46:47], v[8:9]
	s_waitcnt vmcnt(0)
	v_add_f64 v[20:21], v[20:21], -v[10:11]
	v_add_f64 v[22:23], v[22:23], -v[40:41]
	v_mov_b64_e32 v[10:11], v[66:67]
.LBB11_37:
	s_or_b64 exec, exec, s[2:3]
	v_cmp_eq_u32_e32 vcc, 4, v62
	s_waitcnt lgkmcnt(0)
	s_barrier
	s_and_saveexec_b64 s[4:5], vcc
	s_cbranch_execz .LBB11_44
; %bb.38:
	s_waitcnt vmcnt(1)
	ds_write2_b64 v63, v[16:17], v[18:19] offset1:1
	s_waitcnt vmcnt(0)
	ds_write2_b64 v64, v[20:21], v[22:23] offset0:10 offset1:11
	ds_read2_b64 v[40:43], v63 offset1:1
	s_waitcnt lgkmcnt(0)
	v_cmp_neq_f64_e32 vcc, 0, v[40:41]
	v_cmp_neq_f64_e64 s[2:3], 0, v[42:43]
	s_or_b64 s[2:3], vcc, s[2:3]
	s_and_b64 exec, exec, s[2:3]
	s_cbranch_execz .LBB11_44
; %bb.39:
	v_cmp_ngt_f64_e64 s[2:3], |v[40:41]|, |v[42:43]|
                                        ; implicit-def: $vgpr44_vgpr45
	s_and_saveexec_b64 s[8:9], s[2:3]
	s_xor_b64 s[2:3], exec, s[8:9]
                                        ; implicit-def: $vgpr46_vgpr47
	s_cbranch_execz .LBB11_41
; %bb.40:
	v_div_scale_f64 v[44:45], s[8:9], v[42:43], v[42:43], v[40:41]
	v_rcp_f64_e32 v[46:47], v[44:45]
	v_div_scale_f64 v[66:67], vcc, v[40:41], v[42:43], v[40:41]
	v_fma_f64 v[68:69], -v[44:45], v[46:47], 1.0
	v_fmac_f64_e32 v[46:47], v[46:47], v[68:69]
	v_fma_f64 v[68:69], -v[44:45], v[46:47], 1.0
	v_fmac_f64_e32 v[46:47], v[46:47], v[68:69]
	v_mul_f64 v[68:69], v[66:67], v[46:47]
	v_fma_f64 v[44:45], -v[44:45], v[68:69], v[66:67]
	v_div_fmas_f64 v[44:45], v[44:45], v[46:47], v[68:69]
	v_div_fixup_f64 v[44:45], v[44:45], v[42:43], v[40:41]
	v_fmac_f64_e32 v[42:43], v[40:41], v[44:45]
	v_div_scale_f64 v[40:41], s[8:9], v[42:43], v[42:43], 1.0
	v_rcp_f64_e32 v[46:47], v[40:41]
	s_nop 0
	v_fma_f64 v[66:67], -v[40:41], v[46:47], 1.0
	v_fmac_f64_e32 v[46:47], v[46:47], v[66:67]
	v_fma_f64 v[66:67], -v[40:41], v[46:47], 1.0
	v_fmac_f64_e32 v[46:47], v[46:47], v[66:67]
	v_div_scale_f64 v[66:67], vcc, 1.0, v[42:43], 1.0
	v_mul_f64 v[68:69], v[66:67], v[46:47]
	v_fma_f64 v[40:41], -v[40:41], v[68:69], v[66:67]
	s_nop 1
	v_div_fmas_f64 v[40:41], v[40:41], v[46:47], v[68:69]
	v_div_fixup_f64 v[46:47], v[40:41], v[42:43], 1.0
	v_mul_f64 v[44:45], v[44:45], v[46:47]
	v_xor_b32_e32 v47, 0x80000000, v47
                                        ; implicit-def: $vgpr40_vgpr41
.LBB11_41:
	s_andn2_saveexec_b64 s[2:3], s[2:3]
	s_cbranch_execz .LBB11_43
; %bb.42:
	v_div_scale_f64 v[44:45], s[8:9], v[40:41], v[40:41], v[42:43]
	v_rcp_f64_e32 v[46:47], v[44:45]
	v_div_scale_f64 v[66:67], vcc, v[42:43], v[40:41], v[42:43]
	v_fma_f64 v[68:69], -v[44:45], v[46:47], 1.0
	v_fmac_f64_e32 v[46:47], v[46:47], v[68:69]
	v_fma_f64 v[68:69], -v[44:45], v[46:47], 1.0
	v_fmac_f64_e32 v[46:47], v[46:47], v[68:69]
	v_mul_f64 v[68:69], v[66:67], v[46:47]
	v_fma_f64 v[44:45], -v[44:45], v[68:69], v[66:67]
	v_div_fmas_f64 v[44:45], v[44:45], v[46:47], v[68:69]
	v_div_fixup_f64 v[46:47], v[44:45], v[40:41], v[42:43]
	v_fmac_f64_e32 v[40:41], v[42:43], v[46:47]
	v_div_scale_f64 v[42:43], s[8:9], v[40:41], v[40:41], 1.0
	v_rcp_f64_e32 v[44:45], v[42:43]
	s_nop 0
	v_fma_f64 v[66:67], -v[42:43], v[44:45], 1.0
	v_fmac_f64_e32 v[44:45], v[44:45], v[66:67]
	v_fma_f64 v[66:67], -v[42:43], v[44:45], 1.0
	v_fmac_f64_e32 v[44:45], v[44:45], v[66:67]
	v_div_scale_f64 v[66:67], vcc, 1.0, v[40:41], 1.0
	v_mul_f64 v[68:69], v[66:67], v[44:45]
	v_fma_f64 v[42:43], -v[42:43], v[68:69], v[66:67]
	s_nop 1
	v_div_fmas_f64 v[42:43], v[42:43], v[44:45], v[68:69]
	v_div_fixup_f64 v[44:45], v[42:43], v[40:41], 1.0
	v_mul_f64 v[46:47], v[46:47], -v[44:45]
.LBB11_43:
	s_or_b64 exec, exec, s[2:3]
	ds_write2_b64 v63, v[44:45], v[46:47] offset1:1
.LBB11_44:
	s_or_b64 exec, exec, s[4:5]
	s_waitcnt lgkmcnt(0)
	s_barrier
	ds_read2_b64 v[40:43], v63 offset1:1
	v_cmp_lt_u32_e32 vcc, 4, v62
	s_and_saveexec_b64 s[2:3], vcc
	s_cbranch_execz .LBB11_46
; %bb.45:
	ds_read2_b64 v[44:47], v64 offset0:10 offset1:11
	s_waitcnt vmcnt(1) lgkmcnt(1)
	v_mul_f64 v[64:65], v[40:41], v[18:19]
	v_mul_f64 v[18:19], v[42:43], v[18:19]
	v_fmac_f64_e32 v[64:65], v[42:43], v[16:17]
	v_fma_f64 v[16:17], v[40:41], v[16:17], -v[18:19]
	s_waitcnt lgkmcnt(0)
	v_mul_f64 v[18:19], v[46:47], v[64:65]
	v_fma_f64 v[18:19], v[44:45], v[16:17], -v[18:19]
	v_mul_f64 v[44:45], v[44:45], v[64:65]
	v_fmac_f64_e32 v[44:45], v[46:47], v[16:17]
	s_waitcnt vmcnt(0)
	v_add_f64 v[20:21], v[20:21], -v[18:19]
	v_add_f64 v[22:23], v[22:23], -v[44:45]
	v_mov_b64_e32 v[18:19], v[64:65]
.LBB11_46:
	s_or_b64 exec, exec, s[2:3]
	v_cmp_eq_u32_e32 vcc, 5, v62
	s_waitcnt lgkmcnt(0)
	s_barrier
	s_and_saveexec_b64 s[4:5], vcc
	s_cbranch_execz .LBB11_53
; %bb.47:
	s_waitcnt vmcnt(0)
	v_cmp_neq_f64_e32 vcc, 0, v[20:21]
	v_cmp_neq_f64_e64 s[2:3], 0, v[22:23]
	s_or_b64 s[2:3], vcc, s[2:3]
	ds_write2_b64 v63, v[20:21], v[22:23] offset1:1
	s_and_b64 exec, exec, s[2:3]
	s_cbranch_execz .LBB11_53
; %bb.48:
	v_cmp_ngt_f64_e64 s[2:3], |v[20:21]|, |v[22:23]|
                                        ; implicit-def: $vgpr44_vgpr45
	s_and_saveexec_b64 s[8:9], s[2:3]
	s_xor_b64 s[2:3], exec, s[8:9]
                                        ; implicit-def: $vgpr46_vgpr47
	s_cbranch_execz .LBB11_50
; %bb.49:
	v_div_scale_f64 v[44:45], s[8:9], v[22:23], v[22:23], v[20:21]
	v_rcp_f64_e32 v[46:47], v[44:45]
	v_div_scale_f64 v[64:65], vcc, v[20:21], v[22:23], v[20:21]
	v_fma_f64 v[66:67], -v[44:45], v[46:47], 1.0
	v_fmac_f64_e32 v[46:47], v[46:47], v[66:67]
	v_fma_f64 v[66:67], -v[44:45], v[46:47], 1.0
	v_fmac_f64_e32 v[46:47], v[46:47], v[66:67]
	v_mul_f64 v[66:67], v[64:65], v[46:47]
	v_fma_f64 v[44:45], -v[44:45], v[66:67], v[64:65]
	v_div_fmas_f64 v[44:45], v[44:45], v[46:47], v[66:67]
	v_div_fixup_f64 v[44:45], v[44:45], v[22:23], v[20:21]
	v_fma_f64 v[46:47], v[20:21], v[44:45], v[22:23]
	v_div_scale_f64 v[64:65], s[8:9], v[46:47], v[46:47], 1.0
	v_rcp_f64_e32 v[66:67], v[64:65]
	s_nop 0
	v_fma_f64 v[68:69], -v[64:65], v[66:67], 1.0
	v_fmac_f64_e32 v[66:67], v[66:67], v[68:69]
	v_fma_f64 v[68:69], -v[64:65], v[66:67], 1.0
	v_fmac_f64_e32 v[66:67], v[66:67], v[68:69]
	v_div_scale_f64 v[68:69], vcc, 1.0, v[46:47], 1.0
	v_mul_f64 v[70:71], v[68:69], v[66:67]
	v_fma_f64 v[64:65], -v[64:65], v[70:71], v[68:69]
	s_nop 1
	v_div_fmas_f64 v[64:65], v[64:65], v[66:67], v[70:71]
	v_div_fixup_f64 v[46:47], v[64:65], v[46:47], 1.0
	v_mul_f64 v[44:45], v[44:45], v[46:47]
	v_xor_b32_e32 v47, 0x80000000, v47
.LBB11_50:
	s_andn2_saveexec_b64 s[2:3], s[2:3]
	s_cbranch_execz .LBB11_52
; %bb.51:
	v_div_scale_f64 v[44:45], s[8:9], v[20:21], v[20:21], v[22:23]
	v_rcp_f64_e32 v[46:47], v[44:45]
	v_div_scale_f64 v[64:65], vcc, v[22:23], v[20:21], v[22:23]
	v_fma_f64 v[66:67], -v[44:45], v[46:47], 1.0
	v_fmac_f64_e32 v[46:47], v[46:47], v[66:67]
	v_fma_f64 v[66:67], -v[44:45], v[46:47], 1.0
	v_fmac_f64_e32 v[46:47], v[46:47], v[66:67]
	v_mul_f64 v[66:67], v[64:65], v[46:47]
	v_fma_f64 v[44:45], -v[44:45], v[66:67], v[64:65]
	v_div_fmas_f64 v[44:45], v[44:45], v[46:47], v[66:67]
	v_div_fixup_f64 v[46:47], v[44:45], v[20:21], v[22:23]
	v_fma_f64 v[44:45], v[22:23], v[46:47], v[20:21]
	v_div_scale_f64 v[64:65], s[8:9], v[44:45], v[44:45], 1.0
	v_rcp_f64_e32 v[66:67], v[64:65]
	s_nop 0
	v_fma_f64 v[68:69], -v[64:65], v[66:67], 1.0
	v_fmac_f64_e32 v[66:67], v[66:67], v[68:69]
	v_fma_f64 v[68:69], -v[64:65], v[66:67], 1.0
	v_fmac_f64_e32 v[66:67], v[66:67], v[68:69]
	v_div_scale_f64 v[68:69], vcc, 1.0, v[44:45], 1.0
	v_mul_f64 v[70:71], v[68:69], v[66:67]
	v_fma_f64 v[64:65], -v[64:65], v[70:71], v[68:69]
	s_nop 1
	v_div_fmas_f64 v[64:65], v[64:65], v[66:67], v[70:71]
	v_div_fixup_f64 v[44:45], v[64:65], v[44:45], 1.0
	v_mul_f64 v[46:47], v[46:47], -v[44:45]
.LBB11_52:
	s_or_b64 exec, exec, s[2:3]
	ds_write2_b64 v63, v[44:45], v[46:47] offset1:1
.LBB11_53:
	s_or_b64 exec, exec, s[4:5]
	s_waitcnt lgkmcnt(0)
	s_barrier
	ds_read2_b64 v[44:47], v63 offset1:1
	s_waitcnt lgkmcnt(0)
	s_barrier
	s_and_saveexec_b64 s[24:25], s[0:1]
	s_cbranch_execz .LBB11_56
; %bb.54:
	v_mov_b32_e32 v64, s6
	v_mov_b32_e32 v65, s7
	v_lshl_add_u64 v[56:57], v[56:57], 2, v[64:65]
	global_load_dword v63, v[56:57], off
	v_cmp_eq_f64_e32 vcc, 0, v[24:25]
	v_cmp_eq_f64_e64 s[0:1], 0, v[26:27]
	v_cmp_neq_f64_e64 s[2:3], 0, v[28:29]
	v_cmp_neq_f64_e64 s[4:5], 0, v[30:31]
	s_and_b64 s[0:1], vcc, s[0:1]
	s_or_b64 s[2:3], s[2:3], s[4:5]
	v_cndmask_b32_e64 v24, 0, 1, s[0:1]
	s_or_b64 vcc, s[2:3], s[0:1]
	v_cmp_eq_f64_e64 s[6:7], 0, v[32:33]
	v_cmp_eq_f64_e64 s[8:9], 0, v[34:35]
	v_cndmask_b32_e32 v24, 2, v24, vcc
	s_and_b64 s[4:5], s[6:7], s[8:9]
	v_cmp_eq_u32_e32 vcc, 0, v24
	s_and_b64 s[0:1], s[4:5], vcc
	v_cmp_eq_f64_e64 s[10:11], 0, v[36:37]
	v_cmp_eq_f64_e64 s[12:13], 0, v[38:39]
	v_cndmask_b32_e64 v24, v24, 3, s[0:1]
	s_and_b64 s[6:7], s[10:11], s[12:13]
	v_cmp_eq_u32_e32 vcc, 0, v24
	s_and_b64 s[0:1], s[6:7], vcc
	v_cmp_eq_f64_e64 s[14:15], 0, v[40:41]
	v_cmp_eq_f64_e64 s[16:17], 0, v[42:43]
	v_cndmask_b32_e64 v24, v24, 4, s[0:1]
	;; [unrolled: 6-line block ×3, first 2 shown]
	s_and_b64 s[10:11], s[18:19], s[20:21]
	v_cmp_eq_u32_e32 vcc, 0, v24
	s_and_b64 s[0:1], s[10:11], vcc
	v_cndmask_b32_e64 v24, v24, 6, s[0:1]
	v_cmp_ne_u32_e64 s[0:1], 0, v24
	s_waitcnt vmcnt(0)
	v_cmp_eq_u32_e32 vcc, 0, v63
	s_and_b64 s[0:1], vcc, s[0:1]
	s_and_b64 exec, exec, s[0:1]
	s_cbranch_execz .LBB11_56
; %bb.55:
	v_add_u32_e32 v24, s23, v24
	global_store_dword v[56:57], v24, off
.LBB11_56:
	s_or_b64 exec, exec, s[24:25]
	s_waitcnt vmcnt(0)
	v_mul_f64 v[24:25], v[46:47], v[22:23]
	v_mul_f64 v[26:27], v[44:45], v[22:23]
	v_fma_f64 v[24:25], v[44:45], v[20:21], -v[24:25]
	v_fmac_f64_e32 v[26:27], v[46:47], v[20:21]
	v_cmp_lt_u32_e32 vcc, 5, v62
	s_nop 1
	v_cndmask_b32_e32 v23, v23, v27, vcc
	v_cndmask_b32_e32 v22, v22, v26, vcc
	;; [unrolled: 1-line block ×4, first 2 shown]
	global_store_dwordx4 v[48:49], v[4:7], off
	global_store_dwordx4 v[50:51], v[0:3], off
	;; [unrolled: 1-line block ×6, first 2 shown]
.LBB11_57:
	s_endpgm
	.section	.rodata,"a",@progbits
	.p2align	6, 0x0
	.amdhsa_kernel _ZN9rocsolver6v33100L23getf2_npvt_small_kernelILi6E19rocblas_complex_numIdEiiPS3_EEvT1_T3_lS5_lPT2_S5_S5_
		.amdhsa_group_segment_fixed_size 0
		.amdhsa_private_segment_fixed_size 0
		.amdhsa_kernarg_size 312
		.amdhsa_user_sgpr_count 2
		.amdhsa_user_sgpr_dispatch_ptr 0
		.amdhsa_user_sgpr_queue_ptr 0
		.amdhsa_user_sgpr_kernarg_segment_ptr 1
		.amdhsa_user_sgpr_dispatch_id 0
		.amdhsa_user_sgpr_kernarg_preload_length 0
		.amdhsa_user_sgpr_kernarg_preload_offset 0
		.amdhsa_user_sgpr_private_segment_size 0
		.amdhsa_uses_dynamic_stack 0
		.amdhsa_enable_private_segment 0
		.amdhsa_system_sgpr_workgroup_id_x 1
		.amdhsa_system_sgpr_workgroup_id_y 1
		.amdhsa_system_sgpr_workgroup_id_z 0
		.amdhsa_system_sgpr_workgroup_info 0
		.amdhsa_system_vgpr_workitem_id 1
		.amdhsa_next_free_vgpr 72
		.amdhsa_next_free_sgpr 26
		.amdhsa_accum_offset 72
		.amdhsa_reserve_vcc 1
		.amdhsa_float_round_mode_32 0
		.amdhsa_float_round_mode_16_64 0
		.amdhsa_float_denorm_mode_32 3
		.amdhsa_float_denorm_mode_16_64 3
		.amdhsa_dx10_clamp 1
		.amdhsa_ieee_mode 1
		.amdhsa_fp16_overflow 0
		.amdhsa_tg_split 0
		.amdhsa_exception_fp_ieee_invalid_op 0
		.amdhsa_exception_fp_denorm_src 0
		.amdhsa_exception_fp_ieee_div_zero 0
		.amdhsa_exception_fp_ieee_overflow 0
		.amdhsa_exception_fp_ieee_underflow 0
		.amdhsa_exception_fp_ieee_inexact 0
		.amdhsa_exception_int_div_zero 0
	.end_amdhsa_kernel
	.section	.text._ZN9rocsolver6v33100L23getf2_npvt_small_kernelILi6E19rocblas_complex_numIdEiiPS3_EEvT1_T3_lS5_lPT2_S5_S5_,"axG",@progbits,_ZN9rocsolver6v33100L23getf2_npvt_small_kernelILi6E19rocblas_complex_numIdEiiPS3_EEvT1_T3_lS5_lPT2_S5_S5_,comdat
.Lfunc_end11:
	.size	_ZN9rocsolver6v33100L23getf2_npvt_small_kernelILi6E19rocblas_complex_numIdEiiPS3_EEvT1_T3_lS5_lPT2_S5_S5_, .Lfunc_end11-_ZN9rocsolver6v33100L23getf2_npvt_small_kernelILi6E19rocblas_complex_numIdEiiPS3_EEvT1_T3_lS5_lPT2_S5_S5_
                                        ; -- End function
	.set _ZN9rocsolver6v33100L23getf2_npvt_small_kernelILi6E19rocblas_complex_numIdEiiPS3_EEvT1_T3_lS5_lPT2_S5_S5_.num_vgpr, 72
	.set _ZN9rocsolver6v33100L23getf2_npvt_small_kernelILi6E19rocblas_complex_numIdEiiPS3_EEvT1_T3_lS5_lPT2_S5_S5_.num_agpr, 0
	.set _ZN9rocsolver6v33100L23getf2_npvt_small_kernelILi6E19rocblas_complex_numIdEiiPS3_EEvT1_T3_lS5_lPT2_S5_S5_.numbered_sgpr, 26
	.set _ZN9rocsolver6v33100L23getf2_npvt_small_kernelILi6E19rocblas_complex_numIdEiiPS3_EEvT1_T3_lS5_lPT2_S5_S5_.num_named_barrier, 0
	.set _ZN9rocsolver6v33100L23getf2_npvt_small_kernelILi6E19rocblas_complex_numIdEiiPS3_EEvT1_T3_lS5_lPT2_S5_S5_.private_seg_size, 0
	.set _ZN9rocsolver6v33100L23getf2_npvt_small_kernelILi6E19rocblas_complex_numIdEiiPS3_EEvT1_T3_lS5_lPT2_S5_S5_.uses_vcc, 1
	.set _ZN9rocsolver6v33100L23getf2_npvt_small_kernelILi6E19rocblas_complex_numIdEiiPS3_EEvT1_T3_lS5_lPT2_S5_S5_.uses_flat_scratch, 0
	.set _ZN9rocsolver6v33100L23getf2_npvt_small_kernelILi6E19rocblas_complex_numIdEiiPS3_EEvT1_T3_lS5_lPT2_S5_S5_.has_dyn_sized_stack, 0
	.set _ZN9rocsolver6v33100L23getf2_npvt_small_kernelILi6E19rocblas_complex_numIdEiiPS3_EEvT1_T3_lS5_lPT2_S5_S5_.has_recursion, 0
	.set _ZN9rocsolver6v33100L23getf2_npvt_small_kernelILi6E19rocblas_complex_numIdEiiPS3_EEvT1_T3_lS5_lPT2_S5_S5_.has_indirect_call, 0
	.section	.AMDGPU.csdata,"",@progbits
; Kernel info:
; codeLenInByte = 4924
; TotalNumSgprs: 32
; NumVgprs: 72
; NumAgprs: 0
; TotalNumVgprs: 72
; ScratchSize: 0
; MemoryBound: 0
; FloatMode: 240
; IeeeMode: 1
; LDSByteSize: 0 bytes/workgroup (compile time only)
; SGPRBlocks: 3
; VGPRBlocks: 8
; NumSGPRsForWavesPerEU: 32
; NumVGPRsForWavesPerEU: 72
; AccumOffset: 72
; Occupancy: 7
; WaveLimiterHint : 0
; COMPUTE_PGM_RSRC2:SCRATCH_EN: 0
; COMPUTE_PGM_RSRC2:USER_SGPR: 2
; COMPUTE_PGM_RSRC2:TRAP_HANDLER: 0
; COMPUTE_PGM_RSRC2:TGID_X_EN: 1
; COMPUTE_PGM_RSRC2:TGID_Y_EN: 1
; COMPUTE_PGM_RSRC2:TGID_Z_EN: 0
; COMPUTE_PGM_RSRC2:TIDIG_COMP_CNT: 1
; COMPUTE_PGM_RSRC3_GFX90A:ACCUM_OFFSET: 17
; COMPUTE_PGM_RSRC3_GFX90A:TG_SPLIT: 0
	.section	.text._ZN9rocsolver6v33100L18getf2_small_kernelILi7E19rocblas_complex_numIdEiiPS3_EEvT1_T3_lS5_lPS5_llPT2_S5_S5_S7_l,"axG",@progbits,_ZN9rocsolver6v33100L18getf2_small_kernelILi7E19rocblas_complex_numIdEiiPS3_EEvT1_T3_lS5_lPS5_llPT2_S5_S5_S7_l,comdat
	.globl	_ZN9rocsolver6v33100L18getf2_small_kernelILi7E19rocblas_complex_numIdEiiPS3_EEvT1_T3_lS5_lPS5_llPT2_S5_S5_S7_l ; -- Begin function _ZN9rocsolver6v33100L18getf2_small_kernelILi7E19rocblas_complex_numIdEiiPS3_EEvT1_T3_lS5_lPS5_llPT2_S5_S5_S7_l
	.p2align	8
	.type	_ZN9rocsolver6v33100L18getf2_small_kernelILi7E19rocblas_complex_numIdEiiPS3_EEvT1_T3_lS5_lPS5_llPT2_S5_S5_S7_l,@function
_ZN9rocsolver6v33100L18getf2_small_kernelILi7E19rocblas_complex_numIdEiiPS3_EEvT1_T3_lS5_lPS5_llPT2_S5_S5_S7_l: ; @_ZN9rocsolver6v33100L18getf2_small_kernelILi7E19rocblas_complex_numIdEiiPS3_EEvT1_T3_lS5_lPS5_llPT2_S5_S5_S7_l
; %bb.0:
	s_load_dword s2, s[0:1], 0x6c
	s_load_dwordx2 s[12:13], s[0:1], 0x48
	v_bfe_u32 v28, v0, 10, 10
	s_waitcnt lgkmcnt(0)
	s_lshr_b32 s2, s2, 16
	s_mul_i32 s3, s3, s2
	v_add_u32_e32 v34, s3, v28
	v_cmp_gt_i32_e32 vcc, s12, v34
	s_and_saveexec_b64 s[2:3], vcc
	s_cbranch_execz .LBB12_148
; %bb.1:
	s_load_dwordx4 s[4:7], s[0:1], 0x50
	v_ashrrev_i32_e32 v35, 31, v34
	v_mov_b64_e32 v[36:37], 0
	s_waitcnt lgkmcnt(0)
	s_cmp_eq_u64 s[4:5], 0
	s_cselect_b64 s[14:15], -1, 0
	s_and_b64 vcc, exec, s[14:15]
	s_cbranch_vccnz .LBB12_3
; %bb.2:
	v_mul_lo_u32 v1, s7, v34
	v_mul_lo_u32 v4, s6, v35
	v_mad_u64_u32 v[2:3], s[2:3], s6, v34, 0
	v_add3_u32 v3, v3, v4, v1
	v_lshl_add_u64 v[36:37], v[2:3], 2, s[4:5]
.LBB12_3:
	s_load_dwordx4 s[16:19], s[0:1], 0x8
	s_load_dwordx8 s[4:11], s[0:1], 0x20
	s_load_dword s2, s[0:1], 0x18
	v_and_b32_e32 v42, 0x3ff, v0
	v_lshlrev_b32_e32 v38, 4, v42
	s_waitcnt lgkmcnt(0)
	v_mov_b32_e32 v2, s16
	v_mul_lo_u32 v1, s5, v34
	v_mul_lo_u32 v6, s4, v35
	v_mad_u64_u32 v[4:5], s[4:5], s4, v34, 0
	v_mov_b32_e32 v3, s17
	v_add3_u32 v5, v5, v6, v1
	v_lshl_add_u64 v[2:3], v[4:5], 4, v[2:3]
	v_lshl_add_u64 v[32:33], s[18:19], 4, v[2:3]
	v_mov_b32_e32 v39, 0
	v_lshl_add_u64 v[0:1], v[32:33], 0, v[38:39]
	s_ashr_i32 s3, s2, 31
	s_add_i32 s12, s2, s2
	v_lshl_add_u64 v[2:3], s[2:3], 4, v[0:1]
	global_load_dwordx4 v[16:19], v[0:1], off
	global_load_dwordx4 v[12:15], v[2:3], off
	v_add_u32_e32 v0, s12, v42
	v_ashrrev_i32_e32 v1, 31, v0
	v_lshl_add_u64 v[2:3], v[0:1], 4, v[32:33]
	v_add_u32_e32 v0, s2, v0
	v_ashrrev_i32_e32 v1, 31, v0
	v_lshl_add_u64 v[8:9], v[0:1], 4, v[32:33]
	v_add_u32_e32 v0, s2, v0
	v_ashrrev_i32_e32 v1, 31, v0
	v_add_u32_e32 v26, s2, v0
	v_lshl_add_u64 v[24:25], v[0:1], 4, v[32:33]
	v_ashrrev_i32_e32 v27, 31, v26
	global_load_dwordx4 v[20:23], v[2:3], off
	global_load_dwordx4 v[4:7], v[8:9], off
	v_lshl_add_u64 v[30:31], v[26:27], 4, v[32:33]
	global_load_dwordx4 v[8:11], v[24:25], off
	global_load_dwordx4 v[0:3], v[30:31], off
	v_add_u32_e32 v24, s2, v26
	v_ashrrev_i32_e32 v25, 31, v24
	v_lshl_add_u64 v[24:25], v[24:25], 4, v[32:33]
	global_load_dwordx4 v[24:27], v[24:25], off
	s_load_dword s20, s[0:1], 0x0
	s_load_dwordx2 s[4:5], s[0:1], 0x40
	s_waitcnt lgkmcnt(0)
	s_max_i32 s0, s20, 7
	v_mul_lo_u32 v41, s0, v28
	v_lshl_add_u32 v40, v41, 4, 0
	v_add_u32_e32 v28, v40, v38
	s_cmp_lt_i32 s20, 2
	v_lshlrev_b32_e32 v41, 4, v41
	s_waitcnt vmcnt(6)
	ds_write2_b64 v28, v[16:17], v[18:19] offset1:1
	s_waitcnt lgkmcnt(0)
	s_barrier
	ds_read2_b64 v[28:31], v40 offset1:1
	s_cbranch_scc1 .LBB12_6
; %bb.4:
	v_add3_u32 v38, v41, 0, 16
	s_mov_b32 s16, 1
	v_mov_b32_e32 v39, 0
.LBB12_5:                               ; =>This Inner Loop Header: Depth=1
	ds_read2_b64 v[44:47], v38 offset1:1
	s_waitcnt lgkmcnt(1)
	v_xor_b32_e32 v43, 0x80000000, v29
	v_xor_b32_e32 v51, 0x80000000, v31
	v_cmp_gt_f64_e32 vcc, 0, v[30:31]
	v_cmp_gt_f64_e64 s[0:1], 0, v[28:29]
	v_mov_b32_e32 v48, v28
	v_mov_b32_e32 v50, v30
	v_cndmask_b32_e64 v49, v29, v43, s[0:1]
	v_cndmask_b32_e32 v51, v31, v51, vcc
	s_waitcnt lgkmcnt(0)
	v_xor_b32_e32 v43, 0x80000000, v45
	v_xor_b32_e32 v53, 0x80000000, v47
	v_cmp_gt_f64_e32 vcc, 0, v[46:47]
	v_cmp_gt_f64_e64 s[0:1], 0, v[44:45]
	v_add_f64 v[48:49], v[48:49], v[50:51]
	v_mov_b32_e32 v50, v44
	v_mov_b32_e32 v52, v46
	v_cndmask_b32_e64 v51, v45, v43, s[0:1]
	v_cndmask_b32_e32 v53, v47, v53, vcc
	v_add_f64 v[50:51], v[50:51], v[52:53]
	v_mov_b32_e32 v54, s16
	s_add_i32 s16, s16, 1
	v_cmp_lt_f64_e32 vcc, v[48:49], v[50:51]
	v_add_u32_e32 v38, 16, v38
	s_cmp_eq_u32 s20, s16
	v_cndmask_b32_e32 v29, v29, v45, vcc
	v_cndmask_b32_e32 v28, v28, v44, vcc
	;; [unrolled: 1-line block ×5, first 2 shown]
	s_cbranch_scc0 .LBB12_5
.LBB12_6:
	s_waitcnt lgkmcnt(0)
	v_cmp_neq_f64_e32 vcc, 0, v[28:29]
	v_cmp_neq_f64_e64 s[0:1], 0, v[30:31]
	s_or_b64 s[16:17], vcc, s[0:1]
	v_mov_b32_e32 v43, 1
	v_mov_b32_e32 v44, 1
	s_and_saveexec_b64 s[0:1], s[16:17]
	s_cbranch_execz .LBB12_12
; %bb.7:
	v_cmp_ngt_f64_e64 s[16:17], |v[28:29]|, |v[30:31]|
	s_and_saveexec_b64 s[18:19], s[16:17]
	s_xor_b64 s[16:17], exec, s[18:19]
	s_cbranch_execz .LBB12_9
; %bb.8:
	v_div_scale_f64 v[44:45], s[18:19], v[30:31], v[30:31], v[28:29]
	v_rcp_f64_e32 v[46:47], v[44:45]
	v_div_scale_f64 v[48:49], vcc, v[28:29], v[30:31], v[28:29]
	v_fma_f64 v[50:51], -v[44:45], v[46:47], 1.0
	v_fmac_f64_e32 v[46:47], v[46:47], v[50:51]
	v_fma_f64 v[50:51], -v[44:45], v[46:47], 1.0
	v_fmac_f64_e32 v[46:47], v[46:47], v[50:51]
	v_mul_f64 v[50:51], v[48:49], v[46:47]
	v_fma_f64 v[44:45], -v[44:45], v[50:51], v[48:49]
	v_div_fmas_f64 v[44:45], v[44:45], v[46:47], v[50:51]
	v_div_fixup_f64 v[44:45], v[44:45], v[30:31], v[28:29]
	v_fmac_f64_e32 v[30:31], v[28:29], v[44:45]
	v_div_scale_f64 v[28:29], s[18:19], v[30:31], v[30:31], 1.0
	v_rcp_f64_e32 v[46:47], v[28:29]
	s_nop 0
	v_fma_f64 v[48:49], -v[28:29], v[46:47], 1.0
	v_fmac_f64_e32 v[46:47], v[46:47], v[48:49]
	v_fma_f64 v[48:49], -v[28:29], v[46:47], 1.0
	v_fmac_f64_e32 v[46:47], v[46:47], v[48:49]
	v_div_scale_f64 v[48:49], vcc, 1.0, v[30:31], 1.0
	v_mul_f64 v[50:51], v[48:49], v[46:47]
	v_fma_f64 v[28:29], -v[28:29], v[50:51], v[48:49]
	s_nop 1
	v_div_fmas_f64 v[28:29], v[28:29], v[46:47], v[50:51]
	v_div_fixup_f64 v[30:31], v[28:29], v[30:31], 1.0
	v_mul_f64 v[28:29], v[44:45], v[30:31]
	v_xor_b32_e32 v31, 0x80000000, v31
.LBB12_9:
	s_andn2_saveexec_b64 s[16:17], s[16:17]
	s_cbranch_execz .LBB12_11
; %bb.10:
	v_div_scale_f64 v[44:45], s[18:19], v[28:29], v[28:29], v[30:31]
	v_rcp_f64_e32 v[46:47], v[44:45]
	v_div_scale_f64 v[48:49], vcc, v[30:31], v[28:29], v[30:31]
	v_fma_f64 v[50:51], -v[44:45], v[46:47], 1.0
	v_fmac_f64_e32 v[46:47], v[46:47], v[50:51]
	v_fma_f64 v[50:51], -v[44:45], v[46:47], 1.0
	v_fmac_f64_e32 v[46:47], v[46:47], v[50:51]
	v_mul_f64 v[50:51], v[48:49], v[46:47]
	v_fma_f64 v[44:45], -v[44:45], v[50:51], v[48:49]
	v_div_fmas_f64 v[44:45], v[44:45], v[46:47], v[50:51]
	v_div_fixup_f64 v[44:45], v[44:45], v[28:29], v[30:31]
	v_fmac_f64_e32 v[28:29], v[30:31], v[44:45]
	v_div_scale_f64 v[30:31], s[18:19], v[28:29], v[28:29], 1.0
	v_rcp_f64_e32 v[46:47], v[30:31]
	s_nop 0
	v_fma_f64 v[48:49], -v[30:31], v[46:47], 1.0
	v_fmac_f64_e32 v[46:47], v[46:47], v[48:49]
	v_fma_f64 v[48:49], -v[30:31], v[46:47], 1.0
	v_fmac_f64_e32 v[46:47], v[46:47], v[48:49]
	v_div_scale_f64 v[48:49], vcc, 1.0, v[28:29], 1.0
	v_mul_f64 v[50:51], v[48:49], v[46:47]
	v_fma_f64 v[30:31], -v[30:31], v[50:51], v[48:49]
	s_nop 1
	v_div_fmas_f64 v[30:31], v[30:31], v[46:47], v[50:51]
	v_div_fixup_f64 v[28:29], v[30:31], v[28:29], 1.0
	v_mul_f64 v[30:31], v[44:45], -v[28:29]
.LBB12_11:
	s_or_b64 exec, exec, s[16:17]
	v_mov_b32_e32 v44, 0
	v_mov_b32_e32 v43, 2
.LBB12_12:
	s_or_b64 exec, exec, s[0:1]
	v_cmp_ne_u32_e32 vcc, v42, v39
	s_and_saveexec_b64 s[0:1], vcc
	s_xor_b64 s[0:1], exec, s[0:1]
	s_cbranch_execz .LBB12_18
; %bb.13:
	v_cmp_eq_u32_e32 vcc, 0, v42
	s_and_saveexec_b64 s[16:17], vcc
	s_cbranch_execz .LBB12_17
; %bb.14:
	v_cmp_ne_u32_e32 vcc, 0, v39
	s_xor_b64 s[18:19], s[14:15], -1
	s_and_b64 s[22:23], s[18:19], vcc
	s_and_saveexec_b64 s[18:19], s[22:23]
	s_cbranch_execz .LBB12_16
; %bb.15:
	v_ashrrev_i32_e32 v47, 31, v39
	v_mov_b32_e32 v46, v39
	v_lshl_add_u64 v[46:47], v[46:47], 2, v[36:37]
	global_load_dword v38, v[46:47], off
	global_load_dword v42, v[36:37], off
	s_waitcnt vmcnt(1)
	global_store_dword v[36:37], v38, off
	s_waitcnt vmcnt(1)
	global_store_dword v[46:47], v42, off
.LBB12_16:
	s_or_b64 exec, exec, s[18:19]
	v_mov_b32_e32 v42, v39
.LBB12_17:
	s_or_b64 exec, exec, s[16:17]
.LBB12_18:
	s_or_saveexec_b64 s[0:1], s[0:1]
	v_mov_b32_e32 v39, v42
	s_xor_b64 exec, exec, s[0:1]
	s_cbranch_execz .LBB12_20
; %bb.19:
	v_mov_b32_e32 v39, 0
	s_waitcnt vmcnt(5)
	ds_write2_b64 v40, v[12:13], v[14:15] offset0:2 offset1:3
	s_waitcnt vmcnt(4)
	ds_write2_b64 v40, v[20:21], v[22:23] offset0:4 offset1:5
	s_waitcnt vmcnt(3)
	ds_write2_b64 v40, v[4:5], v[6:7] offset0:6 offset1:7
	s_waitcnt vmcnt(2)
	ds_write2_b64 v40, v[8:9], v[10:11] offset0:8 offset1:9
	s_waitcnt vmcnt(1)
	ds_write2_b64 v40, v[0:1], v[2:3] offset0:10 offset1:11
	s_waitcnt vmcnt(0)
	ds_write2_b64 v40, v[24:25], v[26:27] offset0:12 offset1:13
.LBB12_20:
	s_or_b64 exec, exec, s[0:1]
	v_cmp_lt_i32_e32 vcc, 0, v39
	s_waitcnt lgkmcnt(0)
	s_barrier
	s_and_saveexec_b64 s[0:1], vcc
	s_cbranch_execz .LBB12_22
; %bb.21:
	ds_read2_b64 v[46:49], v40 offset0:2 offset1:3
	v_mul_f64 v[50:51], v[28:29], v[18:19]
	v_mul_f64 v[18:19], v[30:31], v[18:19]
	v_fmac_f64_e32 v[50:51], v[30:31], v[16:17]
	v_fma_f64 v[16:17], v[28:29], v[16:17], -v[18:19]
	ds_read2_b64 v[28:31], v40 offset0:4 offset1:5
	s_waitcnt lgkmcnt(1)
	v_mul_f64 v[18:19], v[48:49], v[50:51]
	v_fma_f64 v[18:19], v[46:47], v[16:17], -v[18:19]
	v_mul_f64 v[46:47], v[46:47], v[50:51]
	v_fmac_f64_e32 v[46:47], v[48:49], v[16:17]
	s_waitcnt vmcnt(5)
	v_add_f64 v[12:13], v[12:13], -v[18:19]
	s_waitcnt lgkmcnt(0)
	v_mul_f64 v[18:19], v[30:31], v[50:51]
	v_add_f64 v[14:15], v[14:15], -v[46:47]
	v_fma_f64 v[18:19], v[28:29], v[16:17], -v[18:19]
	v_mul_f64 v[28:29], v[28:29], v[50:51]
	ds_read2_b64 v[46:49], v40 offset0:6 offset1:7
	v_fmac_f64_e32 v[28:29], v[30:31], v[16:17]
	s_waitcnt vmcnt(4)
	v_add_f64 v[22:23], v[22:23], -v[28:29]
	ds_read2_b64 v[28:31], v40 offset0:8 offset1:9
	v_add_f64 v[20:21], v[20:21], -v[18:19]
	s_waitcnt lgkmcnt(1)
	v_mul_f64 v[18:19], v[48:49], v[50:51]
	v_fma_f64 v[18:19], v[46:47], v[16:17], -v[18:19]
	v_mul_f64 v[46:47], v[46:47], v[50:51]
	v_fmac_f64_e32 v[46:47], v[48:49], v[16:17]
	s_waitcnt vmcnt(3)
	v_add_f64 v[4:5], v[4:5], -v[18:19]
	s_waitcnt lgkmcnt(0)
	v_mul_f64 v[18:19], v[30:31], v[50:51]
	v_add_f64 v[6:7], v[6:7], -v[46:47]
	v_fma_f64 v[18:19], v[28:29], v[16:17], -v[18:19]
	v_mul_f64 v[28:29], v[28:29], v[50:51]
	ds_read2_b64 v[46:49], v40 offset0:10 offset1:11
	v_fmac_f64_e32 v[28:29], v[30:31], v[16:17]
	s_waitcnt vmcnt(2)
	v_add_f64 v[10:11], v[10:11], -v[28:29]
	ds_read2_b64 v[28:31], v40 offset0:12 offset1:13
	v_add_f64 v[8:9], v[8:9], -v[18:19]
	s_waitcnt lgkmcnt(1)
	v_mul_f64 v[18:19], v[48:49], v[50:51]
	v_fma_f64 v[18:19], v[46:47], v[16:17], -v[18:19]
	s_waitcnt vmcnt(1)
	v_add_f64 v[0:1], v[0:1], -v[18:19]
	s_waitcnt lgkmcnt(0)
	v_mul_f64 v[18:19], v[30:31], v[50:51]
	v_mul_f64 v[46:47], v[46:47], v[50:51]
	v_fma_f64 v[18:19], v[28:29], v[16:17], -v[18:19]
	v_mul_f64 v[28:29], v[28:29], v[50:51]
	v_fmac_f64_e32 v[46:47], v[48:49], v[16:17]
	v_fmac_f64_e32 v[28:29], v[30:31], v[16:17]
	v_add_f64 v[2:3], v[2:3], -v[46:47]
	s_waitcnt vmcnt(0)
	v_add_f64 v[24:25], v[24:25], -v[18:19]
	v_add_f64 v[26:27], v[26:27], -v[28:29]
	v_mov_b64_e32 v[18:19], v[50:51]
.LBB12_22:
	s_or_b64 exec, exec, s[0:1]
	v_lshl_add_u32 v28, v39, 4, v40
	s_barrier
	s_waitcnt vmcnt(5)
	ds_write2_b64 v28, v[12:13], v[14:15] offset1:1
	s_waitcnt lgkmcnt(0)
	s_barrier
	ds_read2_b64 v[28:31], v40 offset0:2 offset1:3
	s_cmp_lt_i32 s20, 3
	v_mov_b32_e32 v38, 1
	s_cbranch_scc1 .LBB12_25
; %bb.23:
	v_add3_u32 v45, v41, 0, 32
	s_mov_b32 s16, 2
	v_mov_b32_e32 v38, 1
.LBB12_24:                              ; =>This Inner Loop Header: Depth=1
	ds_read2_b64 v[46:49], v45 offset1:1
	s_waitcnt lgkmcnt(1)
	v_xor_b32_e32 v51, 0x80000000, v29
	v_xor_b32_e32 v53, 0x80000000, v31
	v_cmp_gt_f64_e32 vcc, 0, v[30:31]
	v_cmp_gt_f64_e64 s[0:1], 0, v[28:29]
	v_mov_b32_e32 v50, v28
	v_mov_b32_e32 v52, v30
	v_cndmask_b32_e64 v51, v29, v51, s[0:1]
	v_cndmask_b32_e32 v53, v31, v53, vcc
	v_add_f64 v[50:51], v[50:51], v[52:53]
	s_waitcnt lgkmcnt(0)
	v_xor_b32_e32 v53, 0x80000000, v47
	v_xor_b32_e32 v55, 0x80000000, v49
	v_cmp_gt_f64_e32 vcc, 0, v[48:49]
	v_cmp_gt_f64_e64 s[0:1], 0, v[46:47]
	v_mov_b32_e32 v52, v46
	v_mov_b32_e32 v54, v48
	v_cndmask_b32_e64 v53, v47, v53, s[0:1]
	v_cndmask_b32_e32 v55, v49, v55, vcc
	v_add_f64 v[52:53], v[52:53], v[54:55]
	v_mov_b32_e32 v56, s16
	s_add_i32 s16, s16, 1
	v_cmp_lt_f64_e32 vcc, v[50:51], v[52:53]
	v_add_u32_e32 v45, 16, v45
	s_cmp_lg_u32 s20, s16
	v_cndmask_b32_e32 v29, v29, v47, vcc
	v_cndmask_b32_e32 v28, v28, v46, vcc
	;; [unrolled: 1-line block ×5, first 2 shown]
	s_cbranch_scc1 .LBB12_24
.LBB12_25:
	s_waitcnt lgkmcnt(0)
	v_cmp_neq_f64_e32 vcc, 0, v[28:29]
	v_cmp_neq_f64_e64 s[0:1], 0, v[30:31]
	s_or_b64 s[16:17], vcc, s[0:1]
	s_and_saveexec_b64 s[0:1], s[16:17]
	s_cbranch_execz .LBB12_31
; %bb.26:
	v_cmp_ngt_f64_e64 s[16:17], |v[28:29]|, |v[30:31]|
	s_and_saveexec_b64 s[18:19], s[16:17]
	s_xor_b64 s[16:17], exec, s[18:19]
	s_cbranch_execz .LBB12_28
; %bb.27:
	v_div_scale_f64 v[46:47], s[18:19], v[30:31], v[30:31], v[28:29]
	v_rcp_f64_e32 v[48:49], v[46:47]
	v_div_scale_f64 v[50:51], vcc, v[28:29], v[30:31], v[28:29]
	v_fma_f64 v[52:53], -v[46:47], v[48:49], 1.0
	v_fmac_f64_e32 v[48:49], v[48:49], v[52:53]
	v_fma_f64 v[52:53], -v[46:47], v[48:49], 1.0
	v_fmac_f64_e32 v[48:49], v[48:49], v[52:53]
	v_mul_f64 v[52:53], v[50:51], v[48:49]
	v_fma_f64 v[46:47], -v[46:47], v[52:53], v[50:51]
	v_div_fmas_f64 v[46:47], v[46:47], v[48:49], v[52:53]
	v_div_fixup_f64 v[46:47], v[46:47], v[30:31], v[28:29]
	v_fmac_f64_e32 v[30:31], v[28:29], v[46:47]
	v_div_scale_f64 v[28:29], s[18:19], v[30:31], v[30:31], 1.0
	v_rcp_f64_e32 v[48:49], v[28:29]
	s_nop 0
	v_fma_f64 v[50:51], -v[28:29], v[48:49], 1.0
	v_fmac_f64_e32 v[48:49], v[48:49], v[50:51]
	v_fma_f64 v[50:51], -v[28:29], v[48:49], 1.0
	v_fmac_f64_e32 v[48:49], v[48:49], v[50:51]
	v_div_scale_f64 v[50:51], vcc, 1.0, v[30:31], 1.0
	v_mul_f64 v[52:53], v[50:51], v[48:49]
	v_fma_f64 v[28:29], -v[28:29], v[52:53], v[50:51]
	s_nop 1
	v_div_fmas_f64 v[28:29], v[28:29], v[48:49], v[52:53]
	v_div_fixup_f64 v[30:31], v[28:29], v[30:31], 1.0
	v_mul_f64 v[28:29], v[46:47], v[30:31]
	v_xor_b32_e32 v31, 0x80000000, v31
.LBB12_28:
	s_andn2_saveexec_b64 s[16:17], s[16:17]
	s_cbranch_execz .LBB12_30
; %bb.29:
	v_div_scale_f64 v[46:47], s[18:19], v[28:29], v[28:29], v[30:31]
	v_rcp_f64_e32 v[48:49], v[46:47]
	v_div_scale_f64 v[50:51], vcc, v[30:31], v[28:29], v[30:31]
	v_fma_f64 v[52:53], -v[46:47], v[48:49], 1.0
	v_fmac_f64_e32 v[48:49], v[48:49], v[52:53]
	v_fma_f64 v[52:53], -v[46:47], v[48:49], 1.0
	v_fmac_f64_e32 v[48:49], v[48:49], v[52:53]
	v_mul_f64 v[52:53], v[50:51], v[48:49]
	v_fma_f64 v[46:47], -v[46:47], v[52:53], v[50:51]
	v_div_fmas_f64 v[46:47], v[46:47], v[48:49], v[52:53]
	v_div_fixup_f64 v[46:47], v[46:47], v[28:29], v[30:31]
	v_fmac_f64_e32 v[28:29], v[30:31], v[46:47]
	v_div_scale_f64 v[30:31], s[18:19], v[28:29], v[28:29], 1.0
	v_rcp_f64_e32 v[48:49], v[30:31]
	s_nop 0
	v_fma_f64 v[50:51], -v[30:31], v[48:49], 1.0
	v_fmac_f64_e32 v[48:49], v[48:49], v[50:51]
	v_fma_f64 v[50:51], -v[30:31], v[48:49], 1.0
	v_fmac_f64_e32 v[48:49], v[48:49], v[50:51]
	v_div_scale_f64 v[50:51], vcc, 1.0, v[28:29], 1.0
	v_mul_f64 v[52:53], v[50:51], v[48:49]
	v_fma_f64 v[30:31], -v[30:31], v[52:53], v[50:51]
	s_nop 1
	v_div_fmas_f64 v[30:31], v[30:31], v[48:49], v[52:53]
	v_div_fixup_f64 v[28:29], v[30:31], v[28:29], 1.0
	v_mul_f64 v[30:31], v[46:47], -v[28:29]
.LBB12_30:
	s_or_b64 exec, exec, s[16:17]
	v_mov_b32_e32 v43, v44
.LBB12_31:
	s_or_b64 exec, exec, s[0:1]
	v_cmp_ne_u32_e32 vcc, v39, v38
	s_and_saveexec_b64 s[0:1], vcc
	s_xor_b64 s[0:1], exec, s[0:1]
	s_cbranch_execz .LBB12_37
; %bb.32:
	v_cmp_eq_u32_e32 vcc, 1, v39
	s_and_saveexec_b64 s[16:17], vcc
	s_cbranch_execz .LBB12_36
; %bb.33:
	v_cmp_ne_u32_e32 vcc, 1, v38
	s_xor_b64 s[18:19], s[14:15], -1
	s_and_b64 s[22:23], s[18:19], vcc
	s_and_saveexec_b64 s[18:19], s[22:23]
	s_cbranch_execz .LBB12_35
; %bb.34:
	v_ashrrev_i32_e32 v39, 31, v38
	v_lshl_add_u64 v[44:45], v[38:39], 2, v[36:37]
	global_load_dword v39, v[44:45], off
	global_load_dword v42, v[36:37], off offset:4
	s_waitcnt vmcnt(1)
	global_store_dword v[36:37], v39, off offset:4
	s_waitcnt vmcnt(1)
	global_store_dword v[44:45], v42, off
.LBB12_35:
	s_or_b64 exec, exec, s[18:19]
	v_mov_b32_e32 v39, v38
	v_mov_b32_e32 v42, v38
.LBB12_36:
	s_or_b64 exec, exec, s[16:17]
.LBB12_37:
	s_andn2_saveexec_b64 s[0:1], s[0:1]
	s_cbranch_execz .LBB12_39
; %bb.38:
	v_mov_b32_e32 v39, 1
	s_waitcnt vmcnt(4)
	ds_write2_b64 v40, v[20:21], v[22:23] offset0:4 offset1:5
	s_waitcnt vmcnt(3)
	ds_write2_b64 v40, v[4:5], v[6:7] offset0:6 offset1:7
	;; [unrolled: 2-line block ×5, first 2 shown]
.LBB12_39:
	s_or_b64 exec, exec, s[0:1]
	v_cmp_lt_i32_e32 vcc, 1, v39
	s_waitcnt lgkmcnt(0)
	s_barrier
	s_and_saveexec_b64 s[0:1], vcc
	s_cbranch_execz .LBB12_41
; %bb.40:
	ds_read2_b64 v[44:47], v40 offset0:4 offset1:5
	v_mul_f64 v[48:49], v[28:29], v[14:15]
	v_fmac_f64_e32 v[48:49], v[30:31], v[12:13]
	v_mul_f64 v[14:15], v[30:31], v[14:15]
	v_fma_f64 v[12:13], v[28:29], v[12:13], -v[14:15]
	ds_read2_b64 v[28:31], v40 offset0:6 offset1:7
	s_waitcnt lgkmcnt(1)
	v_mul_f64 v[14:15], v[46:47], v[48:49]
	v_fma_f64 v[14:15], v[44:45], v[12:13], -v[14:15]
	v_mul_f64 v[44:45], v[44:45], v[48:49]
	v_fmac_f64_e32 v[44:45], v[46:47], v[12:13]
	s_waitcnt vmcnt(4)
	v_add_f64 v[22:23], v[22:23], -v[44:45]
	ds_read2_b64 v[44:47], v40 offset0:8 offset1:9
	v_add_f64 v[20:21], v[20:21], -v[14:15]
	s_waitcnt lgkmcnt(1)
	v_mul_f64 v[14:15], v[30:31], v[48:49]
	v_fma_f64 v[14:15], v[28:29], v[12:13], -v[14:15]
	v_mul_f64 v[28:29], v[28:29], v[48:49]
	v_fmac_f64_e32 v[28:29], v[30:31], v[12:13]
	s_waitcnt vmcnt(3)
	v_add_f64 v[4:5], v[4:5], -v[14:15]
	v_add_f64 v[6:7], v[6:7], -v[28:29]
	ds_read2_b64 v[28:31], v40 offset0:10 offset1:11
	s_waitcnt lgkmcnt(1)
	v_mul_f64 v[14:15], v[46:47], v[48:49]
	v_fma_f64 v[14:15], v[44:45], v[12:13], -v[14:15]
	v_mul_f64 v[44:45], v[44:45], v[48:49]
	v_fmac_f64_e32 v[44:45], v[46:47], v[12:13]
	s_waitcnt vmcnt(2)
	v_add_f64 v[10:11], v[10:11], -v[44:45]
	ds_read2_b64 v[44:47], v40 offset0:12 offset1:13
	v_add_f64 v[8:9], v[8:9], -v[14:15]
	s_waitcnt lgkmcnt(1)
	v_mul_f64 v[14:15], v[30:31], v[48:49]
	v_fma_f64 v[14:15], v[28:29], v[12:13], -v[14:15]
	v_mul_f64 v[28:29], v[28:29], v[48:49]
	v_fmac_f64_e32 v[28:29], v[30:31], v[12:13]
	s_waitcnt vmcnt(1)
	v_add_f64 v[0:1], v[0:1], -v[14:15]
	v_add_f64 v[2:3], v[2:3], -v[28:29]
	s_waitcnt lgkmcnt(0)
	v_mul_f64 v[14:15], v[46:47], v[48:49]
	v_mul_f64 v[28:29], v[44:45], v[48:49]
	v_fma_f64 v[14:15], v[44:45], v[12:13], -v[14:15]
	v_fmac_f64_e32 v[28:29], v[46:47], v[12:13]
	s_waitcnt vmcnt(0)
	v_add_f64 v[24:25], v[24:25], -v[14:15]
	v_add_f64 v[26:27], v[26:27], -v[28:29]
	v_mov_b64_e32 v[14:15], v[48:49]
.LBB12_41:
	s_or_b64 exec, exec, s[0:1]
	v_lshl_add_u32 v28, v39, 4, v40
	s_barrier
	s_waitcnt vmcnt(4)
	ds_write2_b64 v28, v[20:21], v[22:23] offset1:1
	s_waitcnt lgkmcnt(0)
	s_barrier
	ds_read2_b64 v[28:31], v40 offset0:4 offset1:5
	s_cmp_lt_i32 s20, 4
	v_mov_b32_e32 v38, 2
	s_cbranch_scc1 .LBB12_44
; %bb.42:
	v_add3_u32 v44, v41, 0, 48
	s_mov_b32 s16, 3
	v_mov_b32_e32 v38, 2
.LBB12_43:                              ; =>This Inner Loop Header: Depth=1
	ds_read2_b64 v[46:49], v44 offset1:1
	s_waitcnt lgkmcnt(1)
	v_xor_b32_e32 v45, 0x80000000, v29
	v_xor_b32_e32 v53, 0x80000000, v31
	v_cmp_gt_f64_e32 vcc, 0, v[30:31]
	v_cmp_gt_f64_e64 s[0:1], 0, v[28:29]
	v_mov_b32_e32 v50, v28
	v_mov_b32_e32 v52, v30
	v_cndmask_b32_e64 v51, v29, v45, s[0:1]
	v_cndmask_b32_e32 v53, v31, v53, vcc
	s_waitcnt lgkmcnt(0)
	v_xor_b32_e32 v45, 0x80000000, v47
	v_xor_b32_e32 v55, 0x80000000, v49
	v_cmp_gt_f64_e32 vcc, 0, v[48:49]
	v_cmp_gt_f64_e64 s[0:1], 0, v[46:47]
	v_add_f64 v[50:51], v[50:51], v[52:53]
	v_mov_b32_e32 v52, v46
	v_mov_b32_e32 v54, v48
	v_cndmask_b32_e64 v53, v47, v45, s[0:1]
	v_cndmask_b32_e32 v55, v49, v55, vcc
	v_add_f64 v[52:53], v[52:53], v[54:55]
	v_mov_b32_e32 v56, s16
	s_add_i32 s16, s16, 1
	v_cmp_lt_f64_e32 vcc, v[50:51], v[52:53]
	v_add_u32_e32 v44, 16, v44
	s_cmp_lg_u32 s20, s16
	v_cndmask_b32_e32 v29, v29, v47, vcc
	v_cndmask_b32_e32 v28, v28, v46, vcc
	v_cndmask_b32_e32 v31, v31, v49, vcc
	v_cndmask_b32_e32 v30, v30, v48, vcc
	v_cndmask_b32_e32 v38, v38, v56, vcc
	s_cbranch_scc1 .LBB12_43
.LBB12_44:
	s_waitcnt lgkmcnt(0)
	v_cmp_eq_f64_e32 vcc, 0, v[28:29]
	v_cmp_eq_f64_e64 s[0:1], 0, v[30:31]
	s_and_b64 s[0:1], vcc, s[0:1]
	s_and_saveexec_b64 s[16:17], s[0:1]
	s_xor_b64 s[0:1], exec, s[16:17]
; %bb.45:
	v_cmp_ne_u32_e32 vcc, 0, v43
	s_nop 1
	v_cndmask_b32_e32 v43, 3, v43, vcc
; %bb.46:
	s_andn2_saveexec_b64 s[0:1], s[0:1]
	s_cbranch_execz .LBB12_52
; %bb.47:
	v_cmp_ngt_f64_e64 s[16:17], |v[28:29]|, |v[30:31]|
	s_and_saveexec_b64 s[18:19], s[16:17]
	s_xor_b64 s[16:17], exec, s[18:19]
	s_cbranch_execz .LBB12_49
; %bb.48:
	v_div_scale_f64 v[44:45], s[18:19], v[30:31], v[30:31], v[28:29]
	v_rcp_f64_e32 v[46:47], v[44:45]
	v_div_scale_f64 v[48:49], vcc, v[28:29], v[30:31], v[28:29]
	v_fma_f64 v[50:51], -v[44:45], v[46:47], 1.0
	v_fmac_f64_e32 v[46:47], v[46:47], v[50:51]
	v_fma_f64 v[50:51], -v[44:45], v[46:47], 1.0
	v_fmac_f64_e32 v[46:47], v[46:47], v[50:51]
	v_mul_f64 v[50:51], v[48:49], v[46:47]
	v_fma_f64 v[44:45], -v[44:45], v[50:51], v[48:49]
	v_div_fmas_f64 v[44:45], v[44:45], v[46:47], v[50:51]
	v_div_fixup_f64 v[44:45], v[44:45], v[30:31], v[28:29]
	v_fmac_f64_e32 v[30:31], v[28:29], v[44:45]
	v_div_scale_f64 v[28:29], s[18:19], v[30:31], v[30:31], 1.0
	v_rcp_f64_e32 v[46:47], v[28:29]
	s_nop 0
	v_fma_f64 v[48:49], -v[28:29], v[46:47], 1.0
	v_fmac_f64_e32 v[46:47], v[46:47], v[48:49]
	v_fma_f64 v[48:49], -v[28:29], v[46:47], 1.0
	v_fmac_f64_e32 v[46:47], v[46:47], v[48:49]
	v_div_scale_f64 v[48:49], vcc, 1.0, v[30:31], 1.0
	v_mul_f64 v[50:51], v[48:49], v[46:47]
	v_fma_f64 v[28:29], -v[28:29], v[50:51], v[48:49]
	s_nop 1
	v_div_fmas_f64 v[28:29], v[28:29], v[46:47], v[50:51]
	v_div_fixup_f64 v[30:31], v[28:29], v[30:31], 1.0
	v_mul_f64 v[28:29], v[44:45], v[30:31]
	v_xor_b32_e32 v31, 0x80000000, v31
.LBB12_49:
	s_andn2_saveexec_b64 s[16:17], s[16:17]
	s_cbranch_execz .LBB12_51
; %bb.50:
	v_div_scale_f64 v[44:45], s[18:19], v[28:29], v[28:29], v[30:31]
	v_rcp_f64_e32 v[46:47], v[44:45]
	v_div_scale_f64 v[48:49], vcc, v[30:31], v[28:29], v[30:31]
	v_fma_f64 v[50:51], -v[44:45], v[46:47], 1.0
	v_fmac_f64_e32 v[46:47], v[46:47], v[50:51]
	v_fma_f64 v[50:51], -v[44:45], v[46:47], 1.0
	v_fmac_f64_e32 v[46:47], v[46:47], v[50:51]
	v_mul_f64 v[50:51], v[48:49], v[46:47]
	v_fma_f64 v[44:45], -v[44:45], v[50:51], v[48:49]
	v_div_fmas_f64 v[44:45], v[44:45], v[46:47], v[50:51]
	v_div_fixup_f64 v[44:45], v[44:45], v[28:29], v[30:31]
	v_fmac_f64_e32 v[28:29], v[30:31], v[44:45]
	v_div_scale_f64 v[30:31], s[18:19], v[28:29], v[28:29], 1.0
	v_rcp_f64_e32 v[46:47], v[30:31]
	s_nop 0
	v_fma_f64 v[48:49], -v[30:31], v[46:47], 1.0
	v_fmac_f64_e32 v[46:47], v[46:47], v[48:49]
	v_fma_f64 v[48:49], -v[30:31], v[46:47], 1.0
	v_fmac_f64_e32 v[46:47], v[46:47], v[48:49]
	v_div_scale_f64 v[48:49], vcc, 1.0, v[28:29], 1.0
	v_mul_f64 v[50:51], v[48:49], v[46:47]
	v_fma_f64 v[30:31], -v[30:31], v[50:51], v[48:49]
	s_nop 1
	v_div_fmas_f64 v[30:31], v[30:31], v[46:47], v[50:51]
	v_div_fixup_f64 v[28:29], v[30:31], v[28:29], 1.0
	v_mul_f64 v[30:31], v[44:45], -v[28:29]
.LBB12_51:
	s_or_b64 exec, exec, s[16:17]
.LBB12_52:
	s_or_b64 exec, exec, s[0:1]
	v_cmp_ne_u32_e32 vcc, v39, v38
	s_and_saveexec_b64 s[0:1], vcc
	s_xor_b64 s[0:1], exec, s[0:1]
	s_cbranch_execz .LBB12_58
; %bb.53:
	v_cmp_eq_u32_e32 vcc, 2, v39
	s_and_saveexec_b64 s[16:17], vcc
	s_cbranch_execz .LBB12_57
; %bb.54:
	v_cmp_ne_u32_e32 vcc, 2, v38
	s_xor_b64 s[18:19], s[14:15], -1
	s_and_b64 s[22:23], s[18:19], vcc
	s_and_saveexec_b64 s[18:19], s[22:23]
	s_cbranch_execz .LBB12_56
; %bb.55:
	v_ashrrev_i32_e32 v39, 31, v38
	v_lshl_add_u64 v[44:45], v[38:39], 2, v[36:37]
	global_load_dword v39, v[44:45], off
	global_load_dword v42, v[36:37], off offset:8
	s_waitcnt vmcnt(1)
	global_store_dword v[36:37], v39, off offset:8
	s_waitcnt vmcnt(1)
	global_store_dword v[44:45], v42, off
.LBB12_56:
	s_or_b64 exec, exec, s[18:19]
	v_mov_b32_e32 v39, v38
	v_mov_b32_e32 v42, v38
.LBB12_57:
	s_or_b64 exec, exec, s[16:17]
.LBB12_58:
	s_andn2_saveexec_b64 s[0:1], s[0:1]
	s_cbranch_execz .LBB12_60
; %bb.59:
	v_mov_b32_e32 v39, 2
	s_waitcnt vmcnt(3)
	ds_write2_b64 v40, v[4:5], v[6:7] offset0:6 offset1:7
	s_waitcnt vmcnt(2)
	ds_write2_b64 v40, v[8:9], v[10:11] offset0:8 offset1:9
	;; [unrolled: 2-line block ×4, first 2 shown]
.LBB12_60:
	s_or_b64 exec, exec, s[0:1]
	v_cmp_lt_i32_e32 vcc, 2, v39
	s_waitcnt lgkmcnt(0)
	s_barrier
	s_and_saveexec_b64 s[0:1], vcc
	s_cbranch_execz .LBB12_62
; %bb.61:
	ds_read2_b64 v[44:47], v40 offset0:6 offset1:7
	v_mul_f64 v[48:49], v[28:29], v[22:23]
	v_mul_f64 v[22:23], v[30:31], v[22:23]
	v_fmac_f64_e32 v[48:49], v[30:31], v[20:21]
	v_fma_f64 v[20:21], v[28:29], v[20:21], -v[22:23]
	ds_read2_b64 v[28:31], v40 offset0:8 offset1:9
	s_waitcnt lgkmcnt(1)
	v_mul_f64 v[22:23], v[46:47], v[48:49]
	v_fma_f64 v[22:23], v[44:45], v[20:21], -v[22:23]
	v_mul_f64 v[44:45], v[44:45], v[48:49]
	v_fmac_f64_e32 v[44:45], v[46:47], v[20:21]
	s_waitcnt vmcnt(3)
	v_add_f64 v[4:5], v[4:5], -v[22:23]
	s_waitcnt lgkmcnt(0)
	v_mul_f64 v[22:23], v[30:31], v[48:49]
	v_add_f64 v[6:7], v[6:7], -v[44:45]
	v_fma_f64 v[22:23], v[28:29], v[20:21], -v[22:23]
	v_mul_f64 v[28:29], v[28:29], v[48:49]
	ds_read2_b64 v[44:47], v40 offset0:10 offset1:11
	v_fmac_f64_e32 v[28:29], v[30:31], v[20:21]
	s_waitcnt vmcnt(2)
	v_add_f64 v[10:11], v[10:11], -v[28:29]
	ds_read2_b64 v[28:31], v40 offset0:12 offset1:13
	v_add_f64 v[8:9], v[8:9], -v[22:23]
	s_waitcnt lgkmcnt(1)
	v_mul_f64 v[22:23], v[46:47], v[48:49]
	v_fma_f64 v[22:23], v[44:45], v[20:21], -v[22:23]
	s_waitcnt vmcnt(1)
	v_add_f64 v[0:1], v[0:1], -v[22:23]
	s_waitcnt lgkmcnt(0)
	v_mul_f64 v[22:23], v[30:31], v[48:49]
	v_mul_f64 v[44:45], v[44:45], v[48:49]
	v_fma_f64 v[22:23], v[28:29], v[20:21], -v[22:23]
	v_mul_f64 v[28:29], v[28:29], v[48:49]
	v_fmac_f64_e32 v[44:45], v[46:47], v[20:21]
	v_fmac_f64_e32 v[28:29], v[30:31], v[20:21]
	v_add_f64 v[2:3], v[2:3], -v[44:45]
	s_waitcnt vmcnt(0)
	v_add_f64 v[24:25], v[24:25], -v[22:23]
	v_add_f64 v[26:27], v[26:27], -v[28:29]
	v_mov_b64_e32 v[22:23], v[48:49]
.LBB12_62:
	s_or_b64 exec, exec, s[0:1]
	v_lshl_add_u32 v28, v39, 4, v40
	s_barrier
	s_waitcnt vmcnt(3)
	ds_write2_b64 v28, v[4:5], v[6:7] offset1:1
	s_waitcnt lgkmcnt(0)
	s_barrier
	ds_read2_b64 v[28:31], v40 offset0:6 offset1:7
	s_mov_b32 s16, 4
	s_cmp_lt_i32 s20, 5
	v_mov_b32_e32 v38, 3
	s_cbranch_scc1 .LBB12_65
; %bb.63:
	v_add3_u32 v41, v41, 0, 64
	v_mov_b32_e32 v38, 3
.LBB12_64:                              ; =>This Inner Loop Header: Depth=1
	ds_read2_b64 v[44:47], v41 offset1:1
	s_waitcnt lgkmcnt(1)
	v_xor_b32_e32 v49, 0x80000000, v29
	v_xor_b32_e32 v51, 0x80000000, v31
	v_cmp_gt_f64_e32 vcc, 0, v[30:31]
	v_cmp_gt_f64_e64 s[0:1], 0, v[28:29]
	v_mov_b32_e32 v48, v28
	v_mov_b32_e32 v50, v30
	v_cndmask_b32_e64 v49, v29, v49, s[0:1]
	v_cndmask_b32_e32 v51, v31, v51, vcc
	v_add_f64 v[48:49], v[48:49], v[50:51]
	s_waitcnt lgkmcnt(0)
	v_xor_b32_e32 v51, 0x80000000, v45
	v_xor_b32_e32 v53, 0x80000000, v47
	v_cmp_gt_f64_e32 vcc, 0, v[46:47]
	v_cmp_gt_f64_e64 s[0:1], 0, v[44:45]
	v_mov_b32_e32 v50, v44
	v_mov_b32_e32 v52, v46
	v_cndmask_b32_e64 v51, v45, v51, s[0:1]
	v_cndmask_b32_e32 v53, v47, v53, vcc
	v_add_f64 v[50:51], v[50:51], v[52:53]
	v_mov_b32_e32 v54, s16
	s_add_i32 s16, s16, 1
	v_cmp_lt_f64_e32 vcc, v[48:49], v[50:51]
	v_add_u32_e32 v41, 16, v41
	s_cmp_lg_u32 s20, s16
	v_cndmask_b32_e32 v29, v29, v45, vcc
	v_cndmask_b32_e32 v28, v28, v44, vcc
	;; [unrolled: 1-line block ×5, first 2 shown]
	s_cbranch_scc1 .LBB12_64
.LBB12_65:
	s_waitcnt lgkmcnt(0)
	v_cmp_eq_f64_e32 vcc, 0, v[28:29]
	v_cmp_eq_f64_e64 s[0:1], 0, v[30:31]
	s_and_b64 s[0:1], vcc, s[0:1]
	s_and_saveexec_b64 s[16:17], s[0:1]
	s_xor_b64 s[0:1], exec, s[16:17]
; %bb.66:
	v_cmp_ne_u32_e32 vcc, 0, v43
	s_nop 1
	v_cndmask_b32_e32 v43, 4, v43, vcc
; %bb.67:
	s_andn2_saveexec_b64 s[0:1], s[0:1]
	s_cbranch_execz .LBB12_73
; %bb.68:
	v_cmp_ngt_f64_e64 s[16:17], |v[28:29]|, |v[30:31]|
	s_and_saveexec_b64 s[18:19], s[16:17]
	s_xor_b64 s[16:17], exec, s[18:19]
	s_cbranch_execz .LBB12_70
; %bb.69:
	v_div_scale_f64 v[44:45], s[18:19], v[30:31], v[30:31], v[28:29]
	v_rcp_f64_e32 v[46:47], v[44:45]
	v_div_scale_f64 v[48:49], vcc, v[28:29], v[30:31], v[28:29]
	v_fma_f64 v[50:51], -v[44:45], v[46:47], 1.0
	v_fmac_f64_e32 v[46:47], v[46:47], v[50:51]
	v_fma_f64 v[50:51], -v[44:45], v[46:47], 1.0
	v_fmac_f64_e32 v[46:47], v[46:47], v[50:51]
	v_mul_f64 v[50:51], v[48:49], v[46:47]
	v_fma_f64 v[44:45], -v[44:45], v[50:51], v[48:49]
	v_div_fmas_f64 v[44:45], v[44:45], v[46:47], v[50:51]
	v_div_fixup_f64 v[44:45], v[44:45], v[30:31], v[28:29]
	v_fmac_f64_e32 v[30:31], v[28:29], v[44:45]
	v_div_scale_f64 v[28:29], s[18:19], v[30:31], v[30:31], 1.0
	v_rcp_f64_e32 v[46:47], v[28:29]
	s_nop 0
	v_fma_f64 v[48:49], -v[28:29], v[46:47], 1.0
	v_fmac_f64_e32 v[46:47], v[46:47], v[48:49]
	v_fma_f64 v[48:49], -v[28:29], v[46:47], 1.0
	v_fmac_f64_e32 v[46:47], v[46:47], v[48:49]
	v_div_scale_f64 v[48:49], vcc, 1.0, v[30:31], 1.0
	v_mul_f64 v[50:51], v[48:49], v[46:47]
	v_fma_f64 v[28:29], -v[28:29], v[50:51], v[48:49]
	s_nop 1
	v_div_fmas_f64 v[28:29], v[28:29], v[46:47], v[50:51]
	v_div_fixup_f64 v[30:31], v[28:29], v[30:31], 1.0
	v_mul_f64 v[28:29], v[44:45], v[30:31]
	v_xor_b32_e32 v31, 0x80000000, v31
.LBB12_70:
	s_andn2_saveexec_b64 s[16:17], s[16:17]
	s_cbranch_execz .LBB12_72
; %bb.71:
	v_div_scale_f64 v[44:45], s[18:19], v[28:29], v[28:29], v[30:31]
	v_rcp_f64_e32 v[46:47], v[44:45]
	v_div_scale_f64 v[48:49], vcc, v[30:31], v[28:29], v[30:31]
	v_fma_f64 v[50:51], -v[44:45], v[46:47], 1.0
	v_fmac_f64_e32 v[46:47], v[46:47], v[50:51]
	v_fma_f64 v[50:51], -v[44:45], v[46:47], 1.0
	v_fmac_f64_e32 v[46:47], v[46:47], v[50:51]
	v_mul_f64 v[50:51], v[48:49], v[46:47]
	v_fma_f64 v[44:45], -v[44:45], v[50:51], v[48:49]
	v_div_fmas_f64 v[44:45], v[44:45], v[46:47], v[50:51]
	v_div_fixup_f64 v[44:45], v[44:45], v[28:29], v[30:31]
	v_fmac_f64_e32 v[28:29], v[30:31], v[44:45]
	v_div_scale_f64 v[30:31], s[18:19], v[28:29], v[28:29], 1.0
	v_rcp_f64_e32 v[46:47], v[30:31]
	s_nop 0
	v_fma_f64 v[48:49], -v[30:31], v[46:47], 1.0
	v_fmac_f64_e32 v[46:47], v[46:47], v[48:49]
	v_fma_f64 v[48:49], -v[30:31], v[46:47], 1.0
	v_fmac_f64_e32 v[46:47], v[46:47], v[48:49]
	v_div_scale_f64 v[48:49], vcc, 1.0, v[28:29], 1.0
	v_mul_f64 v[50:51], v[48:49], v[46:47]
	v_fma_f64 v[30:31], -v[30:31], v[50:51], v[48:49]
	s_nop 1
	v_div_fmas_f64 v[30:31], v[30:31], v[46:47], v[50:51]
	v_div_fixup_f64 v[28:29], v[30:31], v[28:29], 1.0
	v_mul_f64 v[30:31], v[44:45], -v[28:29]
.LBB12_72:
	s_or_b64 exec, exec, s[16:17]
.LBB12_73:
	s_or_b64 exec, exec, s[0:1]
	v_cmp_ne_u32_e32 vcc, v39, v38
	s_and_saveexec_b64 s[0:1], vcc
	s_xor_b64 s[0:1], exec, s[0:1]
	s_cbranch_execz .LBB12_79
; %bb.74:
	v_cmp_eq_u32_e32 vcc, 3, v39
	s_and_saveexec_b64 s[16:17], vcc
	s_cbranch_execz .LBB12_78
; %bb.75:
	v_cmp_ne_u32_e32 vcc, 3, v38
	s_xor_b64 s[18:19], s[14:15], -1
	s_and_b64 s[22:23], s[18:19], vcc
	s_and_saveexec_b64 s[18:19], s[22:23]
	s_cbranch_execz .LBB12_77
; %bb.76:
	v_ashrrev_i32_e32 v39, 31, v38
	v_lshl_add_u64 v[44:45], v[38:39], 2, v[36:37]
	global_load_dword v39, v[44:45], off
	global_load_dword v41, v[36:37], off offset:12
	s_waitcnt vmcnt(1)
	global_store_dword v[36:37], v39, off offset:12
	s_waitcnt vmcnt(1)
	global_store_dword v[44:45], v41, off
.LBB12_77:
	s_or_b64 exec, exec, s[18:19]
	v_mov_b32_e32 v39, v38
	v_mov_b32_e32 v42, v38
.LBB12_78:
	s_or_b64 exec, exec, s[16:17]
.LBB12_79:
	s_andn2_saveexec_b64 s[0:1], s[0:1]
	s_cbranch_execz .LBB12_81
; %bb.80:
	v_mov_b32_e32 v39, 3
	s_waitcnt vmcnt(2)
	ds_write2_b64 v40, v[8:9], v[10:11] offset0:8 offset1:9
	s_waitcnt vmcnt(1)
	ds_write2_b64 v40, v[0:1], v[2:3] offset0:10 offset1:11
	;; [unrolled: 2-line block ×3, first 2 shown]
.LBB12_81:
	s_or_b64 exec, exec, s[0:1]
	v_cmp_lt_i32_e32 vcc, 3, v39
	s_waitcnt lgkmcnt(0)
	s_barrier
	s_and_saveexec_b64 s[0:1], vcc
	s_cbranch_execz .LBB12_83
; %bb.82:
	ds_read2_b64 v[44:47], v40 offset0:8 offset1:9
	v_mul_f64 v[48:49], v[28:29], v[6:7]
	v_fmac_f64_e32 v[48:49], v[30:31], v[4:5]
	v_mul_f64 v[6:7], v[30:31], v[6:7]
	v_fma_f64 v[4:5], v[28:29], v[4:5], -v[6:7]
	ds_read2_b64 v[28:31], v40 offset0:10 offset1:11
	s_waitcnt lgkmcnt(1)
	v_mul_f64 v[6:7], v[46:47], v[48:49]
	v_fma_f64 v[6:7], v[44:45], v[4:5], -v[6:7]
	v_mul_f64 v[44:45], v[44:45], v[48:49]
	v_fmac_f64_e32 v[44:45], v[46:47], v[4:5]
	s_waitcnt vmcnt(2)
	v_add_f64 v[10:11], v[10:11], -v[44:45]
	ds_read2_b64 v[44:47], v40 offset0:12 offset1:13
	v_add_f64 v[8:9], v[8:9], -v[6:7]
	s_waitcnt lgkmcnt(1)
	v_mul_f64 v[6:7], v[30:31], v[48:49]
	v_fma_f64 v[6:7], v[28:29], v[4:5], -v[6:7]
	v_mul_f64 v[28:29], v[28:29], v[48:49]
	v_fmac_f64_e32 v[28:29], v[30:31], v[4:5]
	s_waitcnt vmcnt(1)
	v_add_f64 v[0:1], v[0:1], -v[6:7]
	v_add_f64 v[2:3], v[2:3], -v[28:29]
	s_waitcnt lgkmcnt(0)
	v_mul_f64 v[6:7], v[46:47], v[48:49]
	v_mul_f64 v[28:29], v[44:45], v[48:49]
	v_fma_f64 v[6:7], v[44:45], v[4:5], -v[6:7]
	v_fmac_f64_e32 v[28:29], v[46:47], v[4:5]
	s_waitcnt vmcnt(0)
	v_add_f64 v[24:25], v[24:25], -v[6:7]
	v_add_f64 v[26:27], v[26:27], -v[28:29]
	v_mov_b64_e32 v[6:7], v[48:49]
.LBB12_83:
	s_or_b64 exec, exec, s[0:1]
	v_lshl_add_u32 v28, v39, 4, v40
	s_barrier
	s_waitcnt vmcnt(2)
	ds_write2_b64 v28, v[8:9], v[10:11] offset1:1
	s_waitcnt lgkmcnt(0)
	s_barrier
	ds_read2_b64 v[28:31], v40 offset0:8 offset1:9
	s_cmp_lt_i32 s20, 6
	v_mov_b32_e32 v38, 4
	s_cbranch_scc1 .LBB12_86
; %bb.84:
	v_mov_b32_e32 v38, 4
	v_add_u32_e32 v41, 0x50, v40
	s_mov_b32 s16, 5
.LBB12_85:                              ; =>This Inner Loop Header: Depth=1
	ds_read2_b64 v[44:47], v41 offset1:1
	s_waitcnt lgkmcnt(1)
	v_xor_b32_e32 v49, 0x80000000, v29
	v_xor_b32_e32 v51, 0x80000000, v31
	v_cmp_gt_f64_e32 vcc, 0, v[30:31]
	v_cmp_gt_f64_e64 s[0:1], 0, v[28:29]
	v_mov_b32_e32 v48, v28
	v_mov_b32_e32 v50, v30
	v_cndmask_b32_e64 v49, v29, v49, s[0:1]
	v_cndmask_b32_e32 v51, v31, v51, vcc
	v_add_f64 v[48:49], v[48:49], v[50:51]
	s_waitcnt lgkmcnt(0)
	v_xor_b32_e32 v51, 0x80000000, v45
	v_xor_b32_e32 v53, 0x80000000, v47
	v_cmp_gt_f64_e32 vcc, 0, v[46:47]
	v_cmp_gt_f64_e64 s[0:1], 0, v[44:45]
	v_mov_b32_e32 v50, v44
	v_mov_b32_e32 v52, v46
	v_cndmask_b32_e64 v51, v45, v51, s[0:1]
	v_cndmask_b32_e32 v53, v47, v53, vcc
	v_add_f64 v[50:51], v[50:51], v[52:53]
	v_mov_b32_e32 v54, s16
	s_add_i32 s16, s16, 1
	v_cmp_lt_f64_e32 vcc, v[48:49], v[50:51]
	v_add_u32_e32 v41, 16, v41
	s_cmp_lg_u32 s20, s16
	v_cndmask_b32_e32 v29, v29, v45, vcc
	v_cndmask_b32_e32 v28, v28, v44, vcc
	;; [unrolled: 1-line block ×5, first 2 shown]
	s_cbranch_scc1 .LBB12_85
.LBB12_86:
	s_waitcnt lgkmcnt(0)
	v_cmp_eq_f64_e32 vcc, 0, v[28:29]
	v_cmp_eq_f64_e64 s[0:1], 0, v[30:31]
	s_and_b64 s[0:1], vcc, s[0:1]
	s_and_saveexec_b64 s[16:17], s[0:1]
	s_xor_b64 s[0:1], exec, s[16:17]
; %bb.87:
	v_cmp_ne_u32_e32 vcc, 0, v43
	s_nop 1
	v_cndmask_b32_e32 v43, 5, v43, vcc
; %bb.88:
	s_andn2_saveexec_b64 s[0:1], s[0:1]
	s_cbranch_execz .LBB12_94
; %bb.89:
	v_cmp_ngt_f64_e64 s[16:17], |v[28:29]|, |v[30:31]|
	s_and_saveexec_b64 s[18:19], s[16:17]
	s_xor_b64 s[16:17], exec, s[18:19]
	s_cbranch_execz .LBB12_91
; %bb.90:
	v_div_scale_f64 v[44:45], s[18:19], v[30:31], v[30:31], v[28:29]
	v_rcp_f64_e32 v[46:47], v[44:45]
	v_div_scale_f64 v[48:49], vcc, v[28:29], v[30:31], v[28:29]
	v_fma_f64 v[50:51], -v[44:45], v[46:47], 1.0
	v_fmac_f64_e32 v[46:47], v[46:47], v[50:51]
	v_fma_f64 v[50:51], -v[44:45], v[46:47], 1.0
	v_fmac_f64_e32 v[46:47], v[46:47], v[50:51]
	v_mul_f64 v[50:51], v[48:49], v[46:47]
	v_fma_f64 v[44:45], -v[44:45], v[50:51], v[48:49]
	v_div_fmas_f64 v[44:45], v[44:45], v[46:47], v[50:51]
	v_div_fixup_f64 v[44:45], v[44:45], v[30:31], v[28:29]
	v_fmac_f64_e32 v[30:31], v[28:29], v[44:45]
	v_div_scale_f64 v[28:29], s[18:19], v[30:31], v[30:31], 1.0
	v_rcp_f64_e32 v[46:47], v[28:29]
	s_nop 0
	v_fma_f64 v[48:49], -v[28:29], v[46:47], 1.0
	v_fmac_f64_e32 v[46:47], v[46:47], v[48:49]
	v_fma_f64 v[48:49], -v[28:29], v[46:47], 1.0
	v_fmac_f64_e32 v[46:47], v[46:47], v[48:49]
	v_div_scale_f64 v[48:49], vcc, 1.0, v[30:31], 1.0
	v_mul_f64 v[50:51], v[48:49], v[46:47]
	v_fma_f64 v[28:29], -v[28:29], v[50:51], v[48:49]
	s_nop 1
	v_div_fmas_f64 v[28:29], v[28:29], v[46:47], v[50:51]
	v_div_fixup_f64 v[30:31], v[28:29], v[30:31], 1.0
	v_mul_f64 v[28:29], v[44:45], v[30:31]
	v_xor_b32_e32 v31, 0x80000000, v31
.LBB12_91:
	s_andn2_saveexec_b64 s[16:17], s[16:17]
	s_cbranch_execz .LBB12_93
; %bb.92:
	v_div_scale_f64 v[44:45], s[18:19], v[28:29], v[28:29], v[30:31]
	v_rcp_f64_e32 v[46:47], v[44:45]
	v_div_scale_f64 v[48:49], vcc, v[30:31], v[28:29], v[30:31]
	v_fma_f64 v[50:51], -v[44:45], v[46:47], 1.0
	v_fmac_f64_e32 v[46:47], v[46:47], v[50:51]
	v_fma_f64 v[50:51], -v[44:45], v[46:47], 1.0
	v_fmac_f64_e32 v[46:47], v[46:47], v[50:51]
	v_mul_f64 v[50:51], v[48:49], v[46:47]
	v_fma_f64 v[44:45], -v[44:45], v[50:51], v[48:49]
	v_div_fmas_f64 v[44:45], v[44:45], v[46:47], v[50:51]
	v_div_fixup_f64 v[44:45], v[44:45], v[28:29], v[30:31]
	v_fmac_f64_e32 v[28:29], v[30:31], v[44:45]
	v_div_scale_f64 v[30:31], s[18:19], v[28:29], v[28:29], 1.0
	v_rcp_f64_e32 v[46:47], v[30:31]
	s_nop 0
	v_fma_f64 v[48:49], -v[30:31], v[46:47], 1.0
	v_fmac_f64_e32 v[46:47], v[46:47], v[48:49]
	v_fma_f64 v[48:49], -v[30:31], v[46:47], 1.0
	v_fmac_f64_e32 v[46:47], v[46:47], v[48:49]
	v_div_scale_f64 v[48:49], vcc, 1.0, v[28:29], 1.0
	v_mul_f64 v[50:51], v[48:49], v[46:47]
	v_fma_f64 v[30:31], -v[30:31], v[50:51], v[48:49]
	s_nop 1
	v_div_fmas_f64 v[30:31], v[30:31], v[46:47], v[50:51]
	v_div_fixup_f64 v[28:29], v[30:31], v[28:29], 1.0
	v_mul_f64 v[30:31], v[44:45], -v[28:29]
.LBB12_93:
	s_or_b64 exec, exec, s[16:17]
.LBB12_94:
	s_or_b64 exec, exec, s[0:1]
	v_cmp_ne_u32_e32 vcc, v39, v38
	s_and_saveexec_b64 s[0:1], vcc
	s_xor_b64 s[0:1], exec, s[0:1]
	s_cbranch_execz .LBB12_100
; %bb.95:
	v_cmp_eq_u32_e32 vcc, 4, v39
	s_and_saveexec_b64 s[16:17], vcc
	s_cbranch_execz .LBB12_99
; %bb.96:
	v_cmp_ne_u32_e32 vcc, 4, v38
	s_xor_b64 s[18:19], s[14:15], -1
	s_and_b64 s[22:23], s[18:19], vcc
	s_and_saveexec_b64 s[18:19], s[22:23]
	s_cbranch_execz .LBB12_98
; %bb.97:
	v_ashrrev_i32_e32 v39, 31, v38
	v_lshl_add_u64 v[44:45], v[38:39], 2, v[36:37]
	global_load_dword v39, v[44:45], off
	global_load_dword v41, v[36:37], off offset:16
	s_waitcnt vmcnt(1)
	global_store_dword v[36:37], v39, off offset:16
	s_waitcnt vmcnt(1)
	global_store_dword v[44:45], v41, off
.LBB12_98:
	s_or_b64 exec, exec, s[18:19]
	v_mov_b32_e32 v39, v38
	v_mov_b32_e32 v42, v38
.LBB12_99:
	s_or_b64 exec, exec, s[16:17]
.LBB12_100:
	s_andn2_saveexec_b64 s[0:1], s[0:1]
	s_cbranch_execz .LBB12_102
; %bb.101:
	v_mov_b32_e32 v39, 4
	s_waitcnt vmcnt(1)
	ds_write2_b64 v40, v[0:1], v[2:3] offset0:10 offset1:11
	s_waitcnt vmcnt(0)
	ds_write2_b64 v40, v[24:25], v[26:27] offset0:12 offset1:13
.LBB12_102:
	s_or_b64 exec, exec, s[0:1]
	v_cmp_lt_i32_e32 vcc, 4, v39
	s_waitcnt lgkmcnt(0)
	s_barrier
	s_and_saveexec_b64 s[0:1], vcc
	s_cbranch_execz .LBB12_104
; %bb.103:
	ds_read2_b64 v[44:47], v40 offset0:10 offset1:11
	v_mul_f64 v[48:49], v[28:29], v[10:11]
	v_mul_f64 v[10:11], v[30:31], v[10:11]
	v_fmac_f64_e32 v[48:49], v[30:31], v[8:9]
	v_fma_f64 v[8:9], v[28:29], v[8:9], -v[10:11]
	ds_read2_b64 v[28:31], v40 offset0:12 offset1:13
	s_waitcnt lgkmcnt(1)
	v_mul_f64 v[10:11], v[46:47], v[48:49]
	v_fma_f64 v[10:11], v[44:45], v[8:9], -v[10:11]
	s_waitcnt vmcnt(1)
	v_add_f64 v[0:1], v[0:1], -v[10:11]
	v_mul_f64 v[44:45], v[44:45], v[48:49]
	s_waitcnt lgkmcnt(0)
	v_mul_f64 v[10:11], v[30:31], v[48:49]
	v_fma_f64 v[10:11], v[28:29], v[8:9], -v[10:11]
	v_mul_f64 v[28:29], v[28:29], v[48:49]
	v_fmac_f64_e32 v[44:45], v[46:47], v[8:9]
	v_fmac_f64_e32 v[28:29], v[30:31], v[8:9]
	v_add_f64 v[2:3], v[2:3], -v[44:45]
	s_waitcnt vmcnt(0)
	v_add_f64 v[24:25], v[24:25], -v[10:11]
	v_add_f64 v[26:27], v[26:27], -v[28:29]
	v_mov_b64_e32 v[10:11], v[48:49]
.LBB12_104:
	s_or_b64 exec, exec, s[0:1]
	v_lshl_add_u32 v28, v39, 4, v40
	s_barrier
	s_waitcnt vmcnt(1)
	ds_write2_b64 v28, v[0:1], v[2:3] offset1:1
	s_waitcnt lgkmcnt(0)
	s_barrier
	ds_read2_b64 v[28:31], v40 offset0:10 offset1:11
	s_cmp_lt_i32 s20, 7
	v_mov_b32_e32 v38, 5
	s_cbranch_scc1 .LBB12_107
; %bb.105:
	v_add_u32_e32 v41, 0x60, v40
	s_mov_b32 s16, 6
	v_mov_b32_e32 v38, 5
.LBB12_106:                             ; =>This Inner Loop Header: Depth=1
	ds_read2_b64 v[44:47], v41 offset1:1
	s_waitcnt lgkmcnt(1)
	v_xor_b32_e32 v49, 0x80000000, v29
	v_xor_b32_e32 v51, 0x80000000, v31
	v_cmp_gt_f64_e32 vcc, 0, v[30:31]
	v_cmp_gt_f64_e64 s[0:1], 0, v[28:29]
	v_mov_b32_e32 v48, v28
	v_mov_b32_e32 v50, v30
	v_cndmask_b32_e64 v49, v29, v49, s[0:1]
	v_cndmask_b32_e32 v51, v31, v51, vcc
	v_add_f64 v[48:49], v[48:49], v[50:51]
	s_waitcnt lgkmcnt(0)
	v_xor_b32_e32 v51, 0x80000000, v45
	v_xor_b32_e32 v53, 0x80000000, v47
	v_cmp_gt_f64_e32 vcc, 0, v[46:47]
	v_cmp_gt_f64_e64 s[0:1], 0, v[44:45]
	v_mov_b32_e32 v50, v44
	v_mov_b32_e32 v52, v46
	v_cndmask_b32_e64 v51, v45, v51, s[0:1]
	v_cndmask_b32_e32 v53, v47, v53, vcc
	v_add_f64 v[50:51], v[50:51], v[52:53]
	v_mov_b32_e32 v54, s16
	s_add_i32 s16, s16, 1
	v_cmp_lt_f64_e32 vcc, v[48:49], v[50:51]
	v_add_u32_e32 v41, 16, v41
	s_cmp_lg_u32 s20, s16
	v_cndmask_b32_e32 v29, v29, v45, vcc
	v_cndmask_b32_e32 v28, v28, v44, vcc
	;; [unrolled: 1-line block ×5, first 2 shown]
	s_cbranch_scc1 .LBB12_106
.LBB12_107:
	s_waitcnt lgkmcnt(0)
	v_cmp_eq_f64_e32 vcc, 0, v[28:29]
	v_cmp_eq_f64_e64 s[0:1], 0, v[30:31]
	s_and_b64 s[0:1], vcc, s[0:1]
	s_and_saveexec_b64 s[16:17], s[0:1]
	s_xor_b64 s[0:1], exec, s[16:17]
; %bb.108:
	v_cmp_ne_u32_e32 vcc, 0, v43
	s_nop 1
	v_cndmask_b32_e32 v43, 6, v43, vcc
; %bb.109:
	s_andn2_saveexec_b64 s[0:1], s[0:1]
	s_cbranch_execz .LBB12_115
; %bb.110:
	v_cmp_ngt_f64_e64 s[16:17], |v[28:29]|, |v[30:31]|
	s_and_saveexec_b64 s[18:19], s[16:17]
	s_xor_b64 s[16:17], exec, s[18:19]
	s_cbranch_execz .LBB12_112
; %bb.111:
	v_div_scale_f64 v[44:45], s[18:19], v[30:31], v[30:31], v[28:29]
	v_rcp_f64_e32 v[46:47], v[44:45]
	v_div_scale_f64 v[48:49], vcc, v[28:29], v[30:31], v[28:29]
	v_fma_f64 v[50:51], -v[44:45], v[46:47], 1.0
	v_fmac_f64_e32 v[46:47], v[46:47], v[50:51]
	v_fma_f64 v[50:51], -v[44:45], v[46:47], 1.0
	v_fmac_f64_e32 v[46:47], v[46:47], v[50:51]
	v_mul_f64 v[50:51], v[48:49], v[46:47]
	v_fma_f64 v[44:45], -v[44:45], v[50:51], v[48:49]
	v_div_fmas_f64 v[44:45], v[44:45], v[46:47], v[50:51]
	v_div_fixup_f64 v[44:45], v[44:45], v[30:31], v[28:29]
	v_fmac_f64_e32 v[30:31], v[28:29], v[44:45]
	v_div_scale_f64 v[28:29], s[18:19], v[30:31], v[30:31], 1.0
	v_rcp_f64_e32 v[46:47], v[28:29]
	s_nop 0
	v_fma_f64 v[48:49], -v[28:29], v[46:47], 1.0
	v_fmac_f64_e32 v[46:47], v[46:47], v[48:49]
	v_fma_f64 v[48:49], -v[28:29], v[46:47], 1.0
	v_fmac_f64_e32 v[46:47], v[46:47], v[48:49]
	v_div_scale_f64 v[48:49], vcc, 1.0, v[30:31], 1.0
	v_mul_f64 v[50:51], v[48:49], v[46:47]
	v_fma_f64 v[28:29], -v[28:29], v[50:51], v[48:49]
	s_nop 1
	v_div_fmas_f64 v[28:29], v[28:29], v[46:47], v[50:51]
	v_div_fixup_f64 v[30:31], v[28:29], v[30:31], 1.0
	v_mul_f64 v[28:29], v[44:45], v[30:31]
	v_xor_b32_e32 v31, 0x80000000, v31
.LBB12_112:
	s_andn2_saveexec_b64 s[16:17], s[16:17]
	s_cbranch_execz .LBB12_114
; %bb.113:
	v_div_scale_f64 v[44:45], s[18:19], v[28:29], v[28:29], v[30:31]
	v_rcp_f64_e32 v[46:47], v[44:45]
	v_div_scale_f64 v[48:49], vcc, v[30:31], v[28:29], v[30:31]
	v_fma_f64 v[50:51], -v[44:45], v[46:47], 1.0
	v_fmac_f64_e32 v[46:47], v[46:47], v[50:51]
	v_fma_f64 v[50:51], -v[44:45], v[46:47], 1.0
	v_fmac_f64_e32 v[46:47], v[46:47], v[50:51]
	v_mul_f64 v[50:51], v[48:49], v[46:47]
	v_fma_f64 v[44:45], -v[44:45], v[50:51], v[48:49]
	v_div_fmas_f64 v[44:45], v[44:45], v[46:47], v[50:51]
	v_div_fixup_f64 v[44:45], v[44:45], v[28:29], v[30:31]
	v_fmac_f64_e32 v[28:29], v[30:31], v[44:45]
	v_div_scale_f64 v[30:31], s[18:19], v[28:29], v[28:29], 1.0
	v_rcp_f64_e32 v[46:47], v[30:31]
	s_nop 0
	v_fma_f64 v[48:49], -v[30:31], v[46:47], 1.0
	v_fmac_f64_e32 v[46:47], v[46:47], v[48:49]
	v_fma_f64 v[48:49], -v[30:31], v[46:47], 1.0
	v_fmac_f64_e32 v[46:47], v[46:47], v[48:49]
	v_div_scale_f64 v[48:49], vcc, 1.0, v[28:29], 1.0
	v_mul_f64 v[50:51], v[48:49], v[46:47]
	v_fma_f64 v[30:31], -v[30:31], v[50:51], v[48:49]
	s_nop 1
	v_div_fmas_f64 v[30:31], v[30:31], v[46:47], v[50:51]
	v_div_fixup_f64 v[28:29], v[30:31], v[28:29], 1.0
	v_mul_f64 v[30:31], v[44:45], -v[28:29]
.LBB12_114:
	s_or_b64 exec, exec, s[16:17]
.LBB12_115:
	s_or_b64 exec, exec, s[0:1]
	v_cmp_ne_u32_e32 vcc, v39, v38
	s_and_saveexec_b64 s[0:1], vcc
	s_xor_b64 s[0:1], exec, s[0:1]
	s_cbranch_execz .LBB12_121
; %bb.116:
	v_cmp_eq_u32_e32 vcc, 5, v39
	s_and_saveexec_b64 s[16:17], vcc
	s_cbranch_execz .LBB12_120
; %bb.117:
	v_cmp_ne_u32_e32 vcc, 5, v38
	s_xor_b64 s[18:19], s[14:15], -1
	s_and_b64 s[22:23], s[18:19], vcc
	s_and_saveexec_b64 s[18:19], s[22:23]
	s_cbranch_execz .LBB12_119
; %bb.118:
	v_ashrrev_i32_e32 v39, 31, v38
	v_lshl_add_u64 v[44:45], v[38:39], 2, v[36:37]
	global_load_dword v39, v[44:45], off
	global_load_dword v41, v[36:37], off offset:20
	s_waitcnt vmcnt(1)
	global_store_dword v[36:37], v39, off offset:20
	s_waitcnt vmcnt(1)
	global_store_dword v[44:45], v41, off
.LBB12_119:
	s_or_b64 exec, exec, s[18:19]
	v_mov_b32_e32 v39, v38
	v_mov_b32_e32 v42, v38
.LBB12_120:
	s_or_b64 exec, exec, s[16:17]
.LBB12_121:
	s_andn2_saveexec_b64 s[0:1], s[0:1]
	s_cbranch_execz .LBB12_123
; %bb.122:
	v_mov_b32_e32 v39, 5
	s_waitcnt vmcnt(0)
	ds_write2_b64 v40, v[24:25], v[26:27] offset0:12 offset1:13
.LBB12_123:
	s_or_b64 exec, exec, s[0:1]
	v_cmp_lt_i32_e32 vcc, 5, v39
	s_waitcnt lgkmcnt(0)
	s_barrier
	s_and_saveexec_b64 s[0:1], vcc
	s_cbranch_execz .LBB12_125
; %bb.124:
	ds_read2_b64 v[44:47], v40 offset0:12 offset1:13
	v_mul_f64 v[48:49], v[28:29], v[2:3]
	v_mul_f64 v[2:3], v[30:31], v[2:3]
	v_fmac_f64_e32 v[48:49], v[30:31], v[0:1]
	v_fma_f64 v[0:1], v[28:29], v[0:1], -v[2:3]
	s_waitcnt lgkmcnt(0)
	v_mul_f64 v[2:3], v[46:47], v[48:49]
	v_mul_f64 v[28:29], v[44:45], v[48:49]
	v_fma_f64 v[2:3], v[44:45], v[0:1], -v[2:3]
	v_fmac_f64_e32 v[28:29], v[46:47], v[0:1]
	s_waitcnt vmcnt(0)
	v_add_f64 v[24:25], v[24:25], -v[2:3]
	v_add_f64 v[26:27], v[26:27], -v[28:29]
	v_mov_b64_e32 v[2:3], v[48:49]
.LBB12_125:
	s_or_b64 exec, exec, s[0:1]
	v_lshl_add_u32 v28, v39, 4, v40
	s_barrier
	s_waitcnt vmcnt(0)
	ds_write2_b64 v28, v[24:25], v[26:27] offset1:1
	s_waitcnt lgkmcnt(0)
	s_barrier
	ds_read2_b64 v[28:31], v40 offset0:12 offset1:13
	s_cmp_lt_i32 s20, 8
	v_mov_b32_e32 v38, 6
	s_cbranch_scc1 .LBB12_128
; %bb.126:
	v_add_u32_e32 v40, 0x70, v40
	s_mov_b32 s16, 7
	v_mov_b32_e32 v38, 6
.LBB12_127:                             ; =>This Inner Loop Header: Depth=1
	ds_read2_b64 v[44:47], v40 offset1:1
	s_waitcnt lgkmcnt(1)
	v_xor_b32_e32 v41, 0x80000000, v29
	v_xor_b32_e32 v51, 0x80000000, v31
	v_cmp_gt_f64_e32 vcc, 0, v[30:31]
	v_cmp_gt_f64_e64 s[0:1], 0, v[28:29]
	v_mov_b32_e32 v48, v28
	v_mov_b32_e32 v50, v30
	v_cndmask_b32_e64 v49, v29, v41, s[0:1]
	v_cndmask_b32_e32 v51, v31, v51, vcc
	s_waitcnt lgkmcnt(0)
	v_xor_b32_e32 v41, 0x80000000, v45
	v_xor_b32_e32 v53, 0x80000000, v47
	v_cmp_gt_f64_e32 vcc, 0, v[46:47]
	v_cmp_gt_f64_e64 s[0:1], 0, v[44:45]
	v_add_f64 v[48:49], v[48:49], v[50:51]
	v_mov_b32_e32 v50, v44
	v_mov_b32_e32 v52, v46
	v_cndmask_b32_e64 v51, v45, v41, s[0:1]
	v_cndmask_b32_e32 v53, v47, v53, vcc
	v_add_f64 v[50:51], v[50:51], v[52:53]
	v_mov_b32_e32 v54, s16
	s_add_i32 s16, s16, 1
	v_cmp_lt_f64_e32 vcc, v[48:49], v[50:51]
	v_add_u32_e32 v40, 16, v40
	s_cmp_lg_u32 s20, s16
	v_cndmask_b32_e32 v29, v29, v45, vcc
	v_cndmask_b32_e32 v28, v28, v44, vcc
	;; [unrolled: 1-line block ×5, first 2 shown]
	s_cbranch_scc1 .LBB12_127
.LBB12_128:
	s_waitcnt lgkmcnt(0)
	v_cmp_eq_f64_e32 vcc, 0, v[28:29]
	v_cmp_eq_f64_e64 s[0:1], 0, v[30:31]
	s_and_b64 s[0:1], vcc, s[0:1]
	s_and_saveexec_b64 s[16:17], s[0:1]
	s_xor_b64 s[0:1], exec, s[16:17]
; %bb.129:
	v_cmp_ne_u32_e32 vcc, 0, v43
	s_nop 1
	v_cndmask_b32_e32 v43, 7, v43, vcc
; %bb.130:
	s_andn2_saveexec_b64 s[0:1], s[0:1]
	s_cbranch_execz .LBB12_136
; %bb.131:
	v_cmp_ngt_f64_e64 s[16:17], |v[28:29]|, |v[30:31]|
	s_and_saveexec_b64 s[18:19], s[16:17]
	s_xor_b64 s[16:17], exec, s[18:19]
	s_cbranch_execz .LBB12_133
; %bb.132:
	v_div_scale_f64 v[40:41], s[18:19], v[30:31], v[30:31], v[28:29]
	v_rcp_f64_e32 v[44:45], v[40:41]
	v_div_scale_f64 v[46:47], vcc, v[28:29], v[30:31], v[28:29]
	v_fma_f64 v[48:49], -v[40:41], v[44:45], 1.0
	v_fmac_f64_e32 v[44:45], v[44:45], v[48:49]
	v_fma_f64 v[48:49], -v[40:41], v[44:45], 1.0
	v_fmac_f64_e32 v[44:45], v[44:45], v[48:49]
	v_mul_f64 v[48:49], v[46:47], v[44:45]
	v_fma_f64 v[40:41], -v[40:41], v[48:49], v[46:47]
	v_div_fmas_f64 v[40:41], v[40:41], v[44:45], v[48:49]
	v_div_fixup_f64 v[40:41], v[40:41], v[30:31], v[28:29]
	v_fmac_f64_e32 v[30:31], v[28:29], v[40:41]
	v_div_scale_f64 v[28:29], s[18:19], v[30:31], v[30:31], 1.0
	v_rcp_f64_e32 v[44:45], v[28:29]
	s_nop 0
	v_fma_f64 v[46:47], -v[28:29], v[44:45], 1.0
	v_fmac_f64_e32 v[44:45], v[44:45], v[46:47]
	v_fma_f64 v[46:47], -v[28:29], v[44:45], 1.0
	v_fmac_f64_e32 v[44:45], v[44:45], v[46:47]
	v_div_scale_f64 v[46:47], vcc, 1.0, v[30:31], 1.0
	v_mul_f64 v[48:49], v[46:47], v[44:45]
	v_fma_f64 v[28:29], -v[28:29], v[48:49], v[46:47]
	s_nop 1
	v_div_fmas_f64 v[28:29], v[28:29], v[44:45], v[48:49]
	v_div_fixup_f64 v[30:31], v[28:29], v[30:31], 1.0
	v_mul_f64 v[28:29], v[40:41], v[30:31]
	v_xor_b32_e32 v31, 0x80000000, v31
.LBB12_133:
	s_andn2_saveexec_b64 s[16:17], s[16:17]
	s_cbranch_execz .LBB12_135
; %bb.134:
	v_div_scale_f64 v[40:41], s[18:19], v[28:29], v[28:29], v[30:31]
	v_rcp_f64_e32 v[44:45], v[40:41]
	v_div_scale_f64 v[46:47], vcc, v[30:31], v[28:29], v[30:31]
	v_fma_f64 v[48:49], -v[40:41], v[44:45], 1.0
	v_fmac_f64_e32 v[44:45], v[44:45], v[48:49]
	v_fma_f64 v[48:49], -v[40:41], v[44:45], 1.0
	v_fmac_f64_e32 v[44:45], v[44:45], v[48:49]
	v_mul_f64 v[48:49], v[46:47], v[44:45]
	v_fma_f64 v[40:41], -v[40:41], v[48:49], v[46:47]
	v_div_fmas_f64 v[40:41], v[40:41], v[44:45], v[48:49]
	v_div_fixup_f64 v[40:41], v[40:41], v[28:29], v[30:31]
	v_fmac_f64_e32 v[28:29], v[30:31], v[40:41]
	v_div_scale_f64 v[30:31], s[18:19], v[28:29], v[28:29], 1.0
	v_rcp_f64_e32 v[44:45], v[30:31]
	s_nop 0
	v_fma_f64 v[46:47], -v[30:31], v[44:45], 1.0
	v_fmac_f64_e32 v[44:45], v[44:45], v[46:47]
	v_fma_f64 v[46:47], -v[30:31], v[44:45], 1.0
	v_fmac_f64_e32 v[44:45], v[44:45], v[46:47]
	v_div_scale_f64 v[46:47], vcc, 1.0, v[28:29], 1.0
	v_mul_f64 v[48:49], v[46:47], v[44:45]
	v_fma_f64 v[30:31], -v[30:31], v[48:49], v[46:47]
	s_nop 1
	v_div_fmas_f64 v[30:31], v[30:31], v[44:45], v[48:49]
	v_div_fixup_f64 v[28:29], v[30:31], v[28:29], 1.0
	v_mul_f64 v[30:31], v[40:41], -v[28:29]
.LBB12_135:
	s_or_b64 exec, exec, s[16:17]
.LBB12_136:
	s_or_b64 exec, exec, s[0:1]
	v_cmp_ne_u32_e32 vcc, v39, v38
	v_mov_b32_e32 v40, 6
	s_and_saveexec_b64 s[0:1], vcc
	s_cbranch_execz .LBB12_142
; %bb.137:
	v_cmp_eq_u32_e32 vcc, 6, v39
	s_and_saveexec_b64 s[16:17], vcc
	s_cbranch_execz .LBB12_141
; %bb.138:
	v_cmp_ne_u32_e32 vcc, 6, v38
	s_xor_b64 s[14:15], s[14:15], -1
	s_and_b64 s[18:19], s[14:15], vcc
	s_and_saveexec_b64 s[14:15], s[18:19]
	s_cbranch_execz .LBB12_140
; %bb.139:
	v_ashrrev_i32_e32 v39, 31, v38
	v_lshl_add_u64 v[40:41], v[38:39], 2, v[36:37]
	global_load_dword v39, v[40:41], off
	global_load_dword v42, v[36:37], off offset:24
	s_waitcnt vmcnt(1)
	global_store_dword v[36:37], v39, off offset:24
	s_waitcnt vmcnt(1)
	global_store_dword v[40:41], v42, off
.LBB12_140:
	s_or_b64 exec, exec, s[14:15]
	v_mov_b32_e32 v39, v38
	v_mov_b32_e32 v42, v38
.LBB12_141:
	s_or_b64 exec, exec, s[16:17]
	v_mov_b32_e32 v40, v39
.LBB12_142:
	s_or_b64 exec, exec, s[0:1]
	v_cmp_gt_i32_e32 vcc, 7, v40
	v_ashrrev_i32_e32 v41, 31, v40
	s_barrier
	s_barrier
	s_and_saveexec_b64 s[0:1], vcc
	s_cbranch_execz .LBB12_144
; %bb.143:
	v_mov_b32_e32 v36, s6
	v_mov_b32_e32 v37, s7
	v_mul_lo_u32 v44, s11, v34
	v_mul_lo_u32 v45, s10, v35
	v_mad_u64_u32 v[38:39], s[6:7], s10, v34, 0
	v_add3_u32 v39, v39, v45, v44
	v_lshl_add_u64 v[36:37], v[38:39], 2, v[36:37]
	v_lshl_add_u64 v[36:37], s[8:9], 2, v[36:37]
	;; [unrolled: 1-line block ×3, first 2 shown]
	v_add3_u32 v38, v42, s13, 1
	global_store_dword v[36:37], v38, off
.LBB12_144:
	s_or_b64 exec, exec, s[0:1]
	v_cmp_eq_u32_e32 vcc, 0, v40
	s_and_saveexec_b64 s[6:7], vcc
	s_cbranch_execz .LBB12_147
; %bb.145:
	v_mov_b32_e32 v36, s4
	v_mov_b32_e32 v37, s5
	v_lshl_add_u64 v[34:35], v[34:35], 2, v[36:37]
	global_load_dword v36, v[34:35], off
	v_cmp_ne_u32_e64 s[0:1], 0, v43
	s_waitcnt vmcnt(0)
	v_cmp_eq_u32_e32 vcc, 0, v36
	s_and_b64 s[0:1], vcc, s[0:1]
	s_and_b64 exec, exec, s[0:1]
	s_cbranch_execz .LBB12_147
; %bb.146:
	v_add_u32_e32 v36, s13, v43
	global_store_dword v[34:35], v36, off
.LBB12_147:
	s_or_b64 exec, exec, s[6:7]
	v_mul_f64 v[34:35], v[30:31], v[26:27]
	v_fma_f64 v[34:35], v[28:29], v[24:25], -v[34:35]
	v_mul_f64 v[28:29], v[28:29], v[26:27]
	v_fmac_f64_e32 v[28:29], v[30:31], v[24:25]
	v_cmp_lt_i32_e32 vcc, 6, v40
	s_nop 1
	v_cndmask_b32_e32 v27, v27, v29, vcc
	v_cndmask_b32_e32 v26, v26, v28, vcc
	v_lshl_add_u64 v[28:29], v[40:41], 4, v[32:33]
	global_store_dwordx4 v[28:29], v[16:19], off
	v_cndmask_b32_e32 v25, v25, v35, vcc
	v_cndmask_b32_e32 v24, v24, v34, vcc
	v_lshl_add_u64 v[16:17], s[2:3], 4, v[28:29]
	global_store_dwordx4 v[16:17], v[12:15], off
	s_nop 1
	v_add_u32_e32 v12, s12, v40
	v_ashrrev_i32_e32 v13, 31, v12
	v_lshl_add_u64 v[14:15], v[12:13], 4, v[32:33]
	v_add_u32_e32 v12, s2, v12
	v_ashrrev_i32_e32 v13, 31, v12
	global_store_dwordx4 v[14:15], v[20:23], off
	v_lshl_add_u64 v[14:15], v[12:13], 4, v[32:33]
	global_store_dwordx4 v[14:15], v[4:7], off
	s_nop 1
	v_add_u32_e32 v4, s2, v12
	v_ashrrev_i32_e32 v5, 31, v4
	v_lshl_add_u64 v[6:7], v[4:5], 4, v[32:33]
	v_add_u32_e32 v4, s2, v4
	v_ashrrev_i32_e32 v5, 31, v4
	global_store_dwordx4 v[6:7], v[8:11], off
	v_lshl_add_u64 v[6:7], v[4:5], 4, v[32:33]
	global_store_dwordx4 v[6:7], v[0:3], off
	s_nop 1
	v_add_u32_e32 v0, s2, v4
	v_ashrrev_i32_e32 v1, 31, v0
	v_lshl_add_u64 v[0:1], v[0:1], 4, v[32:33]
	global_store_dwordx4 v[0:1], v[24:27], off
.LBB12_148:
	s_endpgm
	.section	.rodata,"a",@progbits
	.p2align	6, 0x0
	.amdhsa_kernel _ZN9rocsolver6v33100L18getf2_small_kernelILi7E19rocblas_complex_numIdEiiPS3_EEvT1_T3_lS5_lPS5_llPT2_S5_S5_S7_l
		.amdhsa_group_segment_fixed_size 0
		.amdhsa_private_segment_fixed_size 0
		.amdhsa_kernarg_size 352
		.amdhsa_user_sgpr_count 2
		.amdhsa_user_sgpr_dispatch_ptr 0
		.amdhsa_user_sgpr_queue_ptr 0
		.amdhsa_user_sgpr_kernarg_segment_ptr 1
		.amdhsa_user_sgpr_dispatch_id 0
		.amdhsa_user_sgpr_kernarg_preload_length 0
		.amdhsa_user_sgpr_kernarg_preload_offset 0
		.amdhsa_user_sgpr_private_segment_size 0
		.amdhsa_uses_dynamic_stack 0
		.amdhsa_enable_private_segment 0
		.amdhsa_system_sgpr_workgroup_id_x 1
		.amdhsa_system_sgpr_workgroup_id_y 1
		.amdhsa_system_sgpr_workgroup_id_z 0
		.amdhsa_system_sgpr_workgroup_info 0
		.amdhsa_system_vgpr_workitem_id 1
		.amdhsa_next_free_vgpr 57
		.amdhsa_next_free_sgpr 24
		.amdhsa_accum_offset 60
		.amdhsa_reserve_vcc 1
		.amdhsa_float_round_mode_32 0
		.amdhsa_float_round_mode_16_64 0
		.amdhsa_float_denorm_mode_32 3
		.amdhsa_float_denorm_mode_16_64 3
		.amdhsa_dx10_clamp 1
		.amdhsa_ieee_mode 1
		.amdhsa_fp16_overflow 0
		.amdhsa_tg_split 0
		.amdhsa_exception_fp_ieee_invalid_op 0
		.amdhsa_exception_fp_denorm_src 0
		.amdhsa_exception_fp_ieee_div_zero 0
		.amdhsa_exception_fp_ieee_overflow 0
		.amdhsa_exception_fp_ieee_underflow 0
		.amdhsa_exception_fp_ieee_inexact 0
		.amdhsa_exception_int_div_zero 0
	.end_amdhsa_kernel
	.section	.text._ZN9rocsolver6v33100L18getf2_small_kernelILi7E19rocblas_complex_numIdEiiPS3_EEvT1_T3_lS5_lPS5_llPT2_S5_S5_S7_l,"axG",@progbits,_ZN9rocsolver6v33100L18getf2_small_kernelILi7E19rocblas_complex_numIdEiiPS3_EEvT1_T3_lS5_lPS5_llPT2_S5_S5_S7_l,comdat
.Lfunc_end12:
	.size	_ZN9rocsolver6v33100L18getf2_small_kernelILi7E19rocblas_complex_numIdEiiPS3_EEvT1_T3_lS5_lPS5_llPT2_S5_S5_S7_l, .Lfunc_end12-_ZN9rocsolver6v33100L18getf2_small_kernelILi7E19rocblas_complex_numIdEiiPS3_EEvT1_T3_lS5_lPS5_llPT2_S5_S5_S7_l
                                        ; -- End function
	.set _ZN9rocsolver6v33100L18getf2_small_kernelILi7E19rocblas_complex_numIdEiiPS3_EEvT1_T3_lS5_lPS5_llPT2_S5_S5_S7_l.num_vgpr, 57
	.set _ZN9rocsolver6v33100L18getf2_small_kernelILi7E19rocblas_complex_numIdEiiPS3_EEvT1_T3_lS5_lPS5_llPT2_S5_S5_S7_l.num_agpr, 0
	.set _ZN9rocsolver6v33100L18getf2_small_kernelILi7E19rocblas_complex_numIdEiiPS3_EEvT1_T3_lS5_lPS5_llPT2_S5_S5_S7_l.numbered_sgpr, 24
	.set _ZN9rocsolver6v33100L18getf2_small_kernelILi7E19rocblas_complex_numIdEiiPS3_EEvT1_T3_lS5_lPS5_llPT2_S5_S5_S7_l.num_named_barrier, 0
	.set _ZN9rocsolver6v33100L18getf2_small_kernelILi7E19rocblas_complex_numIdEiiPS3_EEvT1_T3_lS5_lPS5_llPT2_S5_S5_S7_l.private_seg_size, 0
	.set _ZN9rocsolver6v33100L18getf2_small_kernelILi7E19rocblas_complex_numIdEiiPS3_EEvT1_T3_lS5_lPS5_llPT2_S5_S5_S7_l.uses_vcc, 1
	.set _ZN9rocsolver6v33100L18getf2_small_kernelILi7E19rocblas_complex_numIdEiiPS3_EEvT1_T3_lS5_lPS5_llPT2_S5_S5_S7_l.uses_flat_scratch, 0
	.set _ZN9rocsolver6v33100L18getf2_small_kernelILi7E19rocblas_complex_numIdEiiPS3_EEvT1_T3_lS5_lPS5_llPT2_S5_S5_S7_l.has_dyn_sized_stack, 0
	.set _ZN9rocsolver6v33100L18getf2_small_kernelILi7E19rocblas_complex_numIdEiiPS3_EEvT1_T3_lS5_lPS5_llPT2_S5_S5_S7_l.has_recursion, 0
	.set _ZN9rocsolver6v33100L18getf2_small_kernelILi7E19rocblas_complex_numIdEiiPS3_EEvT1_T3_lS5_lPS5_llPT2_S5_S5_S7_l.has_indirect_call, 0
	.section	.AMDGPU.csdata,"",@progbits
; Kernel info:
; codeLenInByte = 8312
; TotalNumSgprs: 30
; NumVgprs: 57
; NumAgprs: 0
; TotalNumVgprs: 57
; ScratchSize: 0
; MemoryBound: 0
; FloatMode: 240
; IeeeMode: 1
; LDSByteSize: 0 bytes/workgroup (compile time only)
; SGPRBlocks: 3
; VGPRBlocks: 7
; NumSGPRsForWavesPerEU: 30
; NumVGPRsForWavesPerEU: 57
; AccumOffset: 60
; Occupancy: 8
; WaveLimiterHint : 0
; COMPUTE_PGM_RSRC2:SCRATCH_EN: 0
; COMPUTE_PGM_RSRC2:USER_SGPR: 2
; COMPUTE_PGM_RSRC2:TRAP_HANDLER: 0
; COMPUTE_PGM_RSRC2:TGID_X_EN: 1
; COMPUTE_PGM_RSRC2:TGID_Y_EN: 1
; COMPUTE_PGM_RSRC2:TGID_Z_EN: 0
; COMPUTE_PGM_RSRC2:TIDIG_COMP_CNT: 1
; COMPUTE_PGM_RSRC3_GFX90A:ACCUM_OFFSET: 14
; COMPUTE_PGM_RSRC3_GFX90A:TG_SPLIT: 0
	.section	.text._ZN9rocsolver6v33100L23getf2_npvt_small_kernelILi7E19rocblas_complex_numIdEiiPS3_EEvT1_T3_lS5_lPT2_S5_S5_,"axG",@progbits,_ZN9rocsolver6v33100L23getf2_npvt_small_kernelILi7E19rocblas_complex_numIdEiiPS3_EEvT1_T3_lS5_lPT2_S5_S5_,comdat
	.globl	_ZN9rocsolver6v33100L23getf2_npvt_small_kernelILi7E19rocblas_complex_numIdEiiPS3_EEvT1_T3_lS5_lPT2_S5_S5_ ; -- Begin function _ZN9rocsolver6v33100L23getf2_npvt_small_kernelILi7E19rocblas_complex_numIdEiiPS3_EEvT1_T3_lS5_lPT2_S5_S5_
	.p2align	8
	.type	_ZN9rocsolver6v33100L23getf2_npvt_small_kernelILi7E19rocblas_complex_numIdEiiPS3_EEvT1_T3_lS5_lPT2_S5_S5_,@function
_ZN9rocsolver6v33100L23getf2_npvt_small_kernelILi7E19rocblas_complex_numIdEiiPS3_EEvT1_T3_lS5_lPT2_S5_S5_: ; @_ZN9rocsolver6v33100L23getf2_npvt_small_kernelILi7E19rocblas_complex_numIdEiiPS3_EEvT1_T3_lS5_lPT2_S5_S5_
; %bb.0:
	s_load_dword s2, s[0:1], 0x44
	s_load_dwordx2 s[26:27], s[0:1], 0x30
	v_bfe_u32 v28, v0, 10, 10
	s_waitcnt lgkmcnt(0)
	s_lshr_b32 s2, s2, 16
	s_mul_i32 s3, s3, s2
	v_add_u32_e32 v66, s3, v28
	v_cmp_gt_i32_e32 vcc, s26, v66
	s_and_saveexec_b64 s[4:5], vcc
	s_cbranch_execz .LBB13_66
; %bb.1:
	s_load_dwordx4 s[8:11], s[0:1], 0x8
	s_load_dword s12, s[0:1], 0x18
	s_load_dwordx4 s[4:7], s[0:1], 0x20
	v_and_b32_e32 v72, 0x3ff, v0
	v_ashrrev_i32_e32 v67, 31, v66
	s_waitcnt lgkmcnt(0)
	v_mov_b32_e32 v2, s8
	v_mov_b32_e32 v3, s9
	v_mad_u64_u32 v[0:1], s[0:1], s4, v66, 0
	v_mul_lo_u32 v4, s5, v66
	v_mul_lo_u32 v5, s4, v67
	s_add_i32 s0, s12, s12
	v_add3_u32 v1, v1, v5, v4
	v_add_u32_e32 v8, s0, v72
	v_lshl_add_u64 v[0:1], v[0:1], 4, v[2:3]
	v_add_u32_e32 v16, s12, v8
	v_lshl_add_u64 v[24:25], s[10:11], 4, v[0:1]
	v_ashrrev_i32_e32 v17, 31, v16
	v_lshl_add_u64 v[62:63], v[16:17], 4, v[24:25]
	v_add_u32_e32 v16, s12, v16
	v_add_u32_e32 v26, s12, v16
	v_ashrrev_i32_e32 v27, 31, v26
	v_lshl_add_u64 v[68:69], v[26:27], 4, v[24:25]
	v_add_u32_e32 v26, s12, v26
	v_lshlrev_b32_e32 v0, 4, v72
	v_mov_b32_e32 v1, 0
	v_ashrrev_i32_e32 v9, 31, v8
	v_ashrrev_i32_e32 v17, 31, v16
	v_ashrrev_i32_e32 v27, 31, v26
	s_ashr_i32 s13, s12, 31
	v_lshl_add_u64 v[56:57], v[24:25], 0, v[0:1]
	v_lshl_add_u64 v[60:61], v[8:9], 4, v[24:25]
	;; [unrolled: 1-line block ×5, first 2 shown]
	global_load_dwordx4 v[4:7], v[56:57], off
	global_load_dwordx4 v[0:3], v[58:59], off
	;; [unrolled: 1-line block ×7, first 2 shown]
	s_mulk_i32 s2, 0x70
	s_movk_i32 s0, 0x70
	s_add_i32 s1, s2, 0
	v_mad_u32_u24 v74, v28, s0, 0
	v_lshl_add_u32 v73, v28, 4, s1
	v_cmp_ne_u32_e64 s[2:3], 0, v72
	v_cmp_eq_u32_e64 s[0:1], 0, v72
	s_and_saveexec_b64 s[8:9], s[0:1]
	s_cbranch_execz .LBB13_8
; %bb.2:
	s_waitcnt vmcnt(6)
	ds_write2_b64 v73, v[4:5], v[6:7] offset1:1
	s_waitcnt vmcnt(5)
	ds_write2_b64 v74, v[0:1], v[2:3] offset0:2 offset1:3
	s_waitcnt vmcnt(4)
	ds_write2_b64 v74, v[12:13], v[14:15] offset0:4 offset1:5
	;; [unrolled: 2-line block ×6, first 2 shown]
	ds_read2_b64 v[28:31], v73 offset1:1
	s_waitcnt lgkmcnt(0)
	v_cmp_neq_f64_e32 vcc, 0, v[28:29]
	v_cmp_neq_f64_e64 s[4:5], 0, v[30:31]
	s_or_b64 s[4:5], vcc, s[4:5]
	s_and_b64 exec, exec, s[4:5]
	s_cbranch_execz .LBB13_8
; %bb.3:
	v_cmp_ngt_f64_e64 s[4:5], |v[28:29]|, |v[30:31]|
                                        ; implicit-def: $vgpr32_vgpr33
	s_and_saveexec_b64 s[10:11], s[4:5]
	s_xor_b64 s[4:5], exec, s[10:11]
                                        ; implicit-def: $vgpr34_vgpr35
	s_cbranch_execz .LBB13_5
; %bb.4:
	v_div_scale_f64 v[32:33], s[10:11], v[30:31], v[30:31], v[28:29]
	v_rcp_f64_e32 v[34:35], v[32:33]
	v_div_scale_f64 v[36:37], vcc, v[28:29], v[30:31], v[28:29]
	v_fma_f64 v[38:39], -v[32:33], v[34:35], 1.0
	v_fmac_f64_e32 v[34:35], v[34:35], v[38:39]
	v_fma_f64 v[38:39], -v[32:33], v[34:35], 1.0
	v_fmac_f64_e32 v[34:35], v[34:35], v[38:39]
	v_mul_f64 v[38:39], v[36:37], v[34:35]
	v_fma_f64 v[32:33], -v[32:33], v[38:39], v[36:37]
	v_div_fmas_f64 v[32:33], v[32:33], v[34:35], v[38:39]
	v_div_fixup_f64 v[32:33], v[32:33], v[30:31], v[28:29]
	v_fmac_f64_e32 v[30:31], v[28:29], v[32:33]
	v_div_scale_f64 v[28:29], s[10:11], v[30:31], v[30:31], 1.0
	v_rcp_f64_e32 v[34:35], v[28:29]
	s_nop 0
	v_fma_f64 v[36:37], -v[28:29], v[34:35], 1.0
	v_fmac_f64_e32 v[34:35], v[34:35], v[36:37]
	v_fma_f64 v[36:37], -v[28:29], v[34:35], 1.0
	v_fmac_f64_e32 v[34:35], v[34:35], v[36:37]
	v_div_scale_f64 v[36:37], vcc, 1.0, v[30:31], 1.0
	v_mul_f64 v[38:39], v[36:37], v[34:35]
	v_fma_f64 v[28:29], -v[28:29], v[38:39], v[36:37]
	s_nop 1
	v_div_fmas_f64 v[28:29], v[28:29], v[34:35], v[38:39]
	v_div_fixup_f64 v[34:35], v[28:29], v[30:31], 1.0
	v_mul_f64 v[32:33], v[32:33], v[34:35]
	v_xor_b32_e32 v35, 0x80000000, v35
                                        ; implicit-def: $vgpr28_vgpr29
.LBB13_5:
	s_andn2_saveexec_b64 s[4:5], s[4:5]
	s_cbranch_execz .LBB13_7
; %bb.6:
	v_div_scale_f64 v[32:33], s[10:11], v[28:29], v[28:29], v[30:31]
	v_rcp_f64_e32 v[34:35], v[32:33]
	v_div_scale_f64 v[36:37], vcc, v[30:31], v[28:29], v[30:31]
	v_fma_f64 v[38:39], -v[32:33], v[34:35], 1.0
	v_fmac_f64_e32 v[34:35], v[34:35], v[38:39]
	v_fma_f64 v[38:39], -v[32:33], v[34:35], 1.0
	v_fmac_f64_e32 v[34:35], v[34:35], v[38:39]
	v_mul_f64 v[38:39], v[36:37], v[34:35]
	v_fma_f64 v[32:33], -v[32:33], v[38:39], v[36:37]
	v_div_fmas_f64 v[32:33], v[32:33], v[34:35], v[38:39]
	v_div_fixup_f64 v[34:35], v[32:33], v[28:29], v[30:31]
	v_fmac_f64_e32 v[28:29], v[30:31], v[34:35]
	v_div_scale_f64 v[30:31], s[10:11], v[28:29], v[28:29], 1.0
	v_rcp_f64_e32 v[32:33], v[30:31]
	s_nop 0
	v_fma_f64 v[36:37], -v[30:31], v[32:33], 1.0
	v_fmac_f64_e32 v[32:33], v[32:33], v[36:37]
	v_fma_f64 v[36:37], -v[30:31], v[32:33], 1.0
	v_fmac_f64_e32 v[32:33], v[32:33], v[36:37]
	v_div_scale_f64 v[36:37], vcc, 1.0, v[28:29], 1.0
	v_mul_f64 v[38:39], v[36:37], v[32:33]
	v_fma_f64 v[30:31], -v[30:31], v[38:39], v[36:37]
	s_nop 1
	v_div_fmas_f64 v[30:31], v[30:31], v[32:33], v[38:39]
	v_div_fixup_f64 v[32:33], v[30:31], v[28:29], 1.0
	v_mul_f64 v[34:35], v[34:35], -v[32:33]
.LBB13_7:
	s_or_b64 exec, exec, s[4:5]
	ds_write2_b64 v73, v[32:33], v[34:35] offset1:1
.LBB13_8:
	s_or_b64 exec, exec, s[8:9]
	s_waitcnt lgkmcnt(0)
	s_barrier
	ds_read2_b64 v[28:31], v73 offset1:1
	s_and_saveexec_b64 s[4:5], s[2:3]
	s_cbranch_execz .LBB13_10
; %bb.9:
	ds_read2_b64 v[32:35], v74 offset0:2 offset1:3
	ds_read2_b64 v[36:39], v74 offset0:4 offset1:5
	s_waitcnt vmcnt(6) lgkmcnt(2)
	v_mul_f64 v[40:41], v[28:29], v[6:7]
	v_fmac_f64_e32 v[40:41], v[30:31], v[4:5]
	v_mul_f64 v[6:7], v[30:31], v[6:7]
	v_fma_f64 v[4:5], v[28:29], v[4:5], -v[6:7]
	s_waitcnt lgkmcnt(1)
	v_mul_f64 v[6:7], v[34:35], v[40:41]
	v_fma_f64 v[6:7], v[32:33], v[4:5], -v[6:7]
	v_mul_f64 v[32:33], v[32:33], v[40:41]
	v_fmac_f64_e32 v[32:33], v[34:35], v[4:5]
	s_waitcnt vmcnt(5)
	v_add_f64 v[0:1], v[0:1], -v[6:7]
	v_add_f64 v[2:3], v[2:3], -v[32:33]
	s_waitcnt lgkmcnt(0)
	v_mul_f64 v[6:7], v[38:39], v[40:41]
	ds_read2_b64 v[32:35], v74 offset0:6 offset1:7
	v_fma_f64 v[6:7], v[36:37], v[4:5], -v[6:7]
	v_mul_f64 v[36:37], v[36:37], v[40:41]
	v_fmac_f64_e32 v[36:37], v[38:39], v[4:5]
	s_waitcnt vmcnt(4)
	v_add_f64 v[14:15], v[14:15], -v[36:37]
	ds_read2_b64 v[36:39], v74 offset0:8 offset1:9
	v_add_f64 v[12:13], v[12:13], -v[6:7]
	s_waitcnt lgkmcnt(1)
	v_mul_f64 v[6:7], v[34:35], v[40:41]
	v_fma_f64 v[6:7], v[32:33], v[4:5], -v[6:7]
	v_mul_f64 v[32:33], v[32:33], v[40:41]
	v_fmac_f64_e32 v[32:33], v[34:35], v[4:5]
	s_waitcnt vmcnt(3)
	v_add_f64 v[8:9], v[8:9], -v[6:7]
	v_add_f64 v[10:11], v[10:11], -v[32:33]
	s_waitcnt lgkmcnt(0)
	v_mul_f64 v[6:7], v[38:39], v[40:41]
	ds_read2_b64 v[32:35], v74 offset0:10 offset1:11
	v_fma_f64 v[6:7], v[36:37], v[4:5], -v[6:7]
	v_mul_f64 v[36:37], v[36:37], v[40:41]
	v_fmac_f64_e32 v[36:37], v[38:39], v[4:5]
	s_waitcnt vmcnt(2)
	v_add_f64 v[22:23], v[22:23], -v[36:37]
	ds_read2_b64 v[36:39], v74 offset0:12 offset1:13
	v_add_f64 v[20:21], v[20:21], -v[6:7]
	s_waitcnt lgkmcnt(1)
	v_mul_f64 v[6:7], v[34:35], v[40:41]
	v_fma_f64 v[6:7], v[32:33], v[4:5], -v[6:7]
	v_mul_f64 v[32:33], v[32:33], v[40:41]
	v_fmac_f64_e32 v[32:33], v[34:35], v[4:5]
	s_waitcnt vmcnt(1)
	v_add_f64 v[16:17], v[16:17], -v[6:7]
	v_add_f64 v[18:19], v[18:19], -v[32:33]
	s_waitcnt lgkmcnt(0)
	v_mul_f64 v[6:7], v[38:39], v[40:41]
	v_mul_f64 v[32:33], v[36:37], v[40:41]
	v_fma_f64 v[6:7], v[36:37], v[4:5], -v[6:7]
	v_fmac_f64_e32 v[32:33], v[38:39], v[4:5]
	s_waitcnt vmcnt(0)
	v_add_f64 v[24:25], v[24:25], -v[6:7]
	v_add_f64 v[26:27], v[26:27], -v[32:33]
	v_mov_b64_e32 v[6:7], v[40:41]
.LBB13_10:
	s_or_b64 exec, exec, s[4:5]
	v_cmp_eq_u32_e32 vcc, 1, v72
	s_waitcnt lgkmcnt(0)
	s_barrier
	s_and_saveexec_b64 s[4:5], vcc
	s_cbranch_execz .LBB13_17
; %bb.11:
	s_waitcnt vmcnt(5)
	ds_write2_b64 v73, v[0:1], v[2:3] offset1:1
	s_waitcnt vmcnt(4)
	ds_write2_b64 v74, v[12:13], v[14:15] offset0:4 offset1:5
	s_waitcnt vmcnt(3)
	ds_write2_b64 v74, v[8:9], v[10:11] offset0:6 offset1:7
	;; [unrolled: 2-line block ×5, first 2 shown]
	ds_read2_b64 v[32:35], v73 offset1:1
	s_waitcnt lgkmcnt(0)
	v_cmp_neq_f64_e32 vcc, 0, v[32:33]
	v_cmp_neq_f64_e64 s[2:3], 0, v[34:35]
	s_or_b64 s[2:3], vcc, s[2:3]
	s_and_b64 exec, exec, s[2:3]
	s_cbranch_execz .LBB13_17
; %bb.12:
	v_cmp_ngt_f64_e64 s[2:3], |v[32:33]|, |v[34:35]|
                                        ; implicit-def: $vgpr36_vgpr37
	s_and_saveexec_b64 s[8:9], s[2:3]
	s_xor_b64 s[2:3], exec, s[8:9]
                                        ; implicit-def: $vgpr38_vgpr39
	s_cbranch_execz .LBB13_14
; %bb.13:
	v_div_scale_f64 v[36:37], s[8:9], v[34:35], v[34:35], v[32:33]
	v_rcp_f64_e32 v[38:39], v[36:37]
	v_div_scale_f64 v[40:41], vcc, v[32:33], v[34:35], v[32:33]
	v_fma_f64 v[42:43], -v[36:37], v[38:39], 1.0
	v_fmac_f64_e32 v[38:39], v[38:39], v[42:43]
	v_fma_f64 v[42:43], -v[36:37], v[38:39], 1.0
	v_fmac_f64_e32 v[38:39], v[38:39], v[42:43]
	v_mul_f64 v[42:43], v[40:41], v[38:39]
	v_fma_f64 v[36:37], -v[36:37], v[42:43], v[40:41]
	v_div_fmas_f64 v[36:37], v[36:37], v[38:39], v[42:43]
	v_div_fixup_f64 v[36:37], v[36:37], v[34:35], v[32:33]
	v_fmac_f64_e32 v[34:35], v[32:33], v[36:37]
	v_div_scale_f64 v[32:33], s[8:9], v[34:35], v[34:35], 1.0
	v_rcp_f64_e32 v[38:39], v[32:33]
	s_nop 0
	v_fma_f64 v[40:41], -v[32:33], v[38:39], 1.0
	v_fmac_f64_e32 v[38:39], v[38:39], v[40:41]
	v_fma_f64 v[40:41], -v[32:33], v[38:39], 1.0
	v_fmac_f64_e32 v[38:39], v[38:39], v[40:41]
	v_div_scale_f64 v[40:41], vcc, 1.0, v[34:35], 1.0
	v_mul_f64 v[42:43], v[40:41], v[38:39]
	v_fma_f64 v[32:33], -v[32:33], v[42:43], v[40:41]
	s_nop 1
	v_div_fmas_f64 v[32:33], v[32:33], v[38:39], v[42:43]
	v_div_fixup_f64 v[38:39], v[32:33], v[34:35], 1.0
	v_mul_f64 v[36:37], v[36:37], v[38:39]
	v_xor_b32_e32 v39, 0x80000000, v39
                                        ; implicit-def: $vgpr32_vgpr33
.LBB13_14:
	s_andn2_saveexec_b64 s[2:3], s[2:3]
	s_cbranch_execz .LBB13_16
; %bb.15:
	v_div_scale_f64 v[36:37], s[8:9], v[32:33], v[32:33], v[34:35]
	v_rcp_f64_e32 v[38:39], v[36:37]
	v_div_scale_f64 v[40:41], vcc, v[34:35], v[32:33], v[34:35]
	v_fma_f64 v[42:43], -v[36:37], v[38:39], 1.0
	v_fmac_f64_e32 v[38:39], v[38:39], v[42:43]
	v_fma_f64 v[42:43], -v[36:37], v[38:39], 1.0
	v_fmac_f64_e32 v[38:39], v[38:39], v[42:43]
	v_mul_f64 v[42:43], v[40:41], v[38:39]
	v_fma_f64 v[36:37], -v[36:37], v[42:43], v[40:41]
	v_div_fmas_f64 v[36:37], v[36:37], v[38:39], v[42:43]
	v_div_fixup_f64 v[38:39], v[36:37], v[32:33], v[34:35]
	v_fmac_f64_e32 v[32:33], v[34:35], v[38:39]
	v_div_scale_f64 v[34:35], s[8:9], v[32:33], v[32:33], 1.0
	v_rcp_f64_e32 v[36:37], v[34:35]
	s_nop 0
	v_fma_f64 v[40:41], -v[34:35], v[36:37], 1.0
	v_fmac_f64_e32 v[36:37], v[36:37], v[40:41]
	v_fma_f64 v[40:41], -v[34:35], v[36:37], 1.0
	v_fmac_f64_e32 v[36:37], v[36:37], v[40:41]
	v_div_scale_f64 v[40:41], vcc, 1.0, v[32:33], 1.0
	v_mul_f64 v[42:43], v[40:41], v[36:37]
	v_fma_f64 v[34:35], -v[34:35], v[42:43], v[40:41]
	s_nop 1
	v_div_fmas_f64 v[34:35], v[34:35], v[36:37], v[42:43]
	v_div_fixup_f64 v[36:37], v[34:35], v[32:33], 1.0
	v_mul_f64 v[38:39], v[38:39], -v[36:37]
.LBB13_16:
	s_or_b64 exec, exec, s[2:3]
	ds_write2_b64 v73, v[36:37], v[38:39] offset1:1
.LBB13_17:
	s_or_b64 exec, exec, s[4:5]
	s_waitcnt lgkmcnt(0)
	s_barrier
	ds_read2_b64 v[32:35], v73 offset1:1
	v_cmp_lt_u32_e32 vcc, 1, v72
	s_and_saveexec_b64 s[2:3], vcc
	s_cbranch_execz .LBB13_19
; %bb.18:
	ds_read2_b64 v[36:39], v74 offset0:4 offset1:5
	ds_read2_b64 v[40:43], v74 offset0:6 offset1:7
	s_waitcnt vmcnt(5) lgkmcnt(2)
	v_mul_f64 v[44:45], v[32:33], v[2:3]
	v_fmac_f64_e32 v[44:45], v[34:35], v[0:1]
	v_mul_f64 v[2:3], v[34:35], v[2:3]
	v_fma_f64 v[0:1], v[32:33], v[0:1], -v[2:3]
	s_waitcnt lgkmcnt(1)
	v_mul_f64 v[2:3], v[38:39], v[44:45]
	v_fma_f64 v[2:3], v[36:37], v[0:1], -v[2:3]
	v_mul_f64 v[36:37], v[36:37], v[44:45]
	v_fmac_f64_e32 v[36:37], v[38:39], v[0:1]
	s_waitcnt vmcnt(4)
	v_add_f64 v[14:15], v[14:15], -v[36:37]
	ds_read2_b64 v[36:39], v74 offset0:8 offset1:9
	v_add_f64 v[12:13], v[12:13], -v[2:3]
	s_waitcnt lgkmcnt(1)
	v_mul_f64 v[2:3], v[42:43], v[44:45]
	v_fma_f64 v[2:3], v[40:41], v[0:1], -v[2:3]
	v_mul_f64 v[40:41], v[40:41], v[44:45]
	v_fmac_f64_e32 v[40:41], v[42:43], v[0:1]
	s_waitcnt vmcnt(3)
	v_add_f64 v[8:9], v[8:9], -v[2:3]
	v_add_f64 v[10:11], v[10:11], -v[40:41]
	ds_read2_b64 v[40:43], v74 offset0:10 offset1:11
	s_waitcnt lgkmcnt(1)
	v_mul_f64 v[2:3], v[38:39], v[44:45]
	v_fma_f64 v[2:3], v[36:37], v[0:1], -v[2:3]
	v_mul_f64 v[36:37], v[36:37], v[44:45]
	v_fmac_f64_e32 v[36:37], v[38:39], v[0:1]
	s_waitcnt vmcnt(2)
	v_add_f64 v[22:23], v[22:23], -v[36:37]
	ds_read2_b64 v[36:39], v74 offset0:12 offset1:13
	v_add_f64 v[20:21], v[20:21], -v[2:3]
	s_waitcnt lgkmcnt(1)
	v_mul_f64 v[2:3], v[42:43], v[44:45]
	v_fma_f64 v[2:3], v[40:41], v[0:1], -v[2:3]
	s_waitcnt vmcnt(1)
	v_add_f64 v[16:17], v[16:17], -v[2:3]
	s_waitcnt lgkmcnt(0)
	v_mul_f64 v[2:3], v[38:39], v[44:45]
	v_mul_f64 v[40:41], v[40:41], v[44:45]
	v_fma_f64 v[2:3], v[36:37], v[0:1], -v[2:3]
	v_mul_f64 v[36:37], v[36:37], v[44:45]
	v_fmac_f64_e32 v[40:41], v[42:43], v[0:1]
	v_fmac_f64_e32 v[36:37], v[38:39], v[0:1]
	v_add_f64 v[18:19], v[18:19], -v[40:41]
	s_waitcnt vmcnt(0)
	v_add_f64 v[24:25], v[24:25], -v[2:3]
	v_add_f64 v[26:27], v[26:27], -v[36:37]
	v_mov_b64_e32 v[2:3], v[44:45]
.LBB13_19:
	s_or_b64 exec, exec, s[2:3]
	v_cmp_eq_u32_e32 vcc, 2, v72
	s_waitcnt lgkmcnt(0)
	s_barrier
	s_and_saveexec_b64 s[4:5], vcc
	s_cbranch_execz .LBB13_26
; %bb.20:
	s_waitcnt vmcnt(4)
	ds_write2_b64 v73, v[12:13], v[14:15] offset1:1
	s_waitcnt vmcnt(3)
	ds_write2_b64 v74, v[8:9], v[10:11] offset0:6 offset1:7
	s_waitcnt vmcnt(2)
	ds_write2_b64 v74, v[20:21], v[22:23] offset0:8 offset1:9
	;; [unrolled: 2-line block ×4, first 2 shown]
	ds_read2_b64 v[36:39], v73 offset1:1
	s_waitcnt lgkmcnt(0)
	v_cmp_neq_f64_e32 vcc, 0, v[36:37]
	v_cmp_neq_f64_e64 s[2:3], 0, v[38:39]
	s_or_b64 s[2:3], vcc, s[2:3]
	s_and_b64 exec, exec, s[2:3]
	s_cbranch_execz .LBB13_26
; %bb.21:
	v_cmp_ngt_f64_e64 s[2:3], |v[36:37]|, |v[38:39]|
                                        ; implicit-def: $vgpr40_vgpr41
	s_and_saveexec_b64 s[8:9], s[2:3]
	s_xor_b64 s[2:3], exec, s[8:9]
                                        ; implicit-def: $vgpr42_vgpr43
	s_cbranch_execz .LBB13_23
; %bb.22:
	v_div_scale_f64 v[40:41], s[8:9], v[38:39], v[38:39], v[36:37]
	v_rcp_f64_e32 v[42:43], v[40:41]
	v_div_scale_f64 v[44:45], vcc, v[36:37], v[38:39], v[36:37]
	v_fma_f64 v[46:47], -v[40:41], v[42:43], 1.0
	v_fmac_f64_e32 v[42:43], v[42:43], v[46:47]
	v_fma_f64 v[46:47], -v[40:41], v[42:43], 1.0
	v_fmac_f64_e32 v[42:43], v[42:43], v[46:47]
	v_mul_f64 v[46:47], v[44:45], v[42:43]
	v_fma_f64 v[40:41], -v[40:41], v[46:47], v[44:45]
	v_div_fmas_f64 v[40:41], v[40:41], v[42:43], v[46:47]
	v_div_fixup_f64 v[40:41], v[40:41], v[38:39], v[36:37]
	v_fmac_f64_e32 v[38:39], v[36:37], v[40:41]
	v_div_scale_f64 v[36:37], s[8:9], v[38:39], v[38:39], 1.0
	v_rcp_f64_e32 v[42:43], v[36:37]
	s_nop 0
	v_fma_f64 v[44:45], -v[36:37], v[42:43], 1.0
	v_fmac_f64_e32 v[42:43], v[42:43], v[44:45]
	v_fma_f64 v[44:45], -v[36:37], v[42:43], 1.0
	v_fmac_f64_e32 v[42:43], v[42:43], v[44:45]
	v_div_scale_f64 v[44:45], vcc, 1.0, v[38:39], 1.0
	v_mul_f64 v[46:47], v[44:45], v[42:43]
	v_fma_f64 v[36:37], -v[36:37], v[46:47], v[44:45]
	s_nop 1
	v_div_fmas_f64 v[36:37], v[36:37], v[42:43], v[46:47]
	v_div_fixup_f64 v[42:43], v[36:37], v[38:39], 1.0
	v_mul_f64 v[40:41], v[40:41], v[42:43]
	v_xor_b32_e32 v43, 0x80000000, v43
                                        ; implicit-def: $vgpr36_vgpr37
.LBB13_23:
	s_andn2_saveexec_b64 s[2:3], s[2:3]
	s_cbranch_execz .LBB13_25
; %bb.24:
	v_div_scale_f64 v[40:41], s[8:9], v[36:37], v[36:37], v[38:39]
	v_rcp_f64_e32 v[42:43], v[40:41]
	v_div_scale_f64 v[44:45], vcc, v[38:39], v[36:37], v[38:39]
	v_fma_f64 v[46:47], -v[40:41], v[42:43], 1.0
	v_fmac_f64_e32 v[42:43], v[42:43], v[46:47]
	v_fma_f64 v[46:47], -v[40:41], v[42:43], 1.0
	v_fmac_f64_e32 v[42:43], v[42:43], v[46:47]
	v_mul_f64 v[46:47], v[44:45], v[42:43]
	v_fma_f64 v[40:41], -v[40:41], v[46:47], v[44:45]
	v_div_fmas_f64 v[40:41], v[40:41], v[42:43], v[46:47]
	v_div_fixup_f64 v[42:43], v[40:41], v[36:37], v[38:39]
	v_fmac_f64_e32 v[36:37], v[38:39], v[42:43]
	v_div_scale_f64 v[38:39], s[8:9], v[36:37], v[36:37], 1.0
	v_rcp_f64_e32 v[40:41], v[38:39]
	s_nop 0
	v_fma_f64 v[44:45], -v[38:39], v[40:41], 1.0
	v_fmac_f64_e32 v[40:41], v[40:41], v[44:45]
	v_fma_f64 v[44:45], -v[38:39], v[40:41], 1.0
	v_fmac_f64_e32 v[40:41], v[40:41], v[44:45]
	v_div_scale_f64 v[44:45], vcc, 1.0, v[36:37], 1.0
	v_mul_f64 v[46:47], v[44:45], v[40:41]
	v_fma_f64 v[38:39], -v[38:39], v[46:47], v[44:45]
	s_nop 1
	v_div_fmas_f64 v[38:39], v[38:39], v[40:41], v[46:47]
	v_div_fixup_f64 v[40:41], v[38:39], v[36:37], 1.0
	v_mul_f64 v[42:43], v[42:43], -v[40:41]
.LBB13_25:
	s_or_b64 exec, exec, s[2:3]
	ds_write2_b64 v73, v[40:41], v[42:43] offset1:1
.LBB13_26:
	s_or_b64 exec, exec, s[4:5]
	s_waitcnt lgkmcnt(0)
	s_barrier
	ds_read2_b64 v[36:39], v73 offset1:1
	v_cmp_lt_u32_e32 vcc, 2, v72
	s_and_saveexec_b64 s[2:3], vcc
	s_cbranch_execz .LBB13_28
; %bb.27:
	ds_read2_b64 v[40:43], v74 offset0:6 offset1:7
	ds_read2_b64 v[44:47], v74 offset0:8 offset1:9
	s_waitcnt vmcnt(4) lgkmcnt(2)
	v_mul_f64 v[48:49], v[36:37], v[14:15]
	v_fmac_f64_e32 v[48:49], v[38:39], v[12:13]
	v_mul_f64 v[14:15], v[38:39], v[14:15]
	v_fma_f64 v[12:13], v[36:37], v[12:13], -v[14:15]
	s_waitcnt lgkmcnt(1)
	v_mul_f64 v[14:15], v[42:43], v[48:49]
	v_fma_f64 v[14:15], v[40:41], v[12:13], -v[14:15]
	v_mul_f64 v[40:41], v[40:41], v[48:49]
	v_fmac_f64_e32 v[40:41], v[42:43], v[12:13]
	s_waitcnt vmcnt(3)
	v_add_f64 v[8:9], v[8:9], -v[14:15]
	v_add_f64 v[10:11], v[10:11], -v[40:41]
	s_waitcnt lgkmcnt(0)
	v_mul_f64 v[14:15], v[46:47], v[48:49]
	ds_read2_b64 v[40:43], v74 offset0:10 offset1:11
	v_fma_f64 v[14:15], v[44:45], v[12:13], -v[14:15]
	v_mul_f64 v[44:45], v[44:45], v[48:49]
	v_fmac_f64_e32 v[44:45], v[46:47], v[12:13]
	s_waitcnt vmcnt(2)
	v_add_f64 v[22:23], v[22:23], -v[44:45]
	ds_read2_b64 v[44:47], v74 offset0:12 offset1:13
	v_add_f64 v[20:21], v[20:21], -v[14:15]
	s_waitcnt lgkmcnt(1)
	v_mul_f64 v[14:15], v[42:43], v[48:49]
	v_fma_f64 v[14:15], v[40:41], v[12:13], -v[14:15]
	v_mul_f64 v[40:41], v[40:41], v[48:49]
	v_fmac_f64_e32 v[40:41], v[42:43], v[12:13]
	s_waitcnt vmcnt(1)
	v_add_f64 v[16:17], v[16:17], -v[14:15]
	v_add_f64 v[18:19], v[18:19], -v[40:41]
	s_waitcnt lgkmcnt(0)
	v_mul_f64 v[14:15], v[46:47], v[48:49]
	v_mul_f64 v[40:41], v[44:45], v[48:49]
	v_fma_f64 v[14:15], v[44:45], v[12:13], -v[14:15]
	v_fmac_f64_e32 v[40:41], v[46:47], v[12:13]
	s_waitcnt vmcnt(0)
	v_add_f64 v[24:25], v[24:25], -v[14:15]
	v_add_f64 v[26:27], v[26:27], -v[40:41]
	v_mov_b64_e32 v[14:15], v[48:49]
.LBB13_28:
	s_or_b64 exec, exec, s[2:3]
	v_cmp_eq_u32_e32 vcc, 3, v72
	s_waitcnt lgkmcnt(0)
	s_barrier
	s_and_saveexec_b64 s[4:5], vcc
	s_cbranch_execz .LBB13_35
; %bb.29:
	s_waitcnt vmcnt(3)
	ds_write2_b64 v73, v[8:9], v[10:11] offset1:1
	s_waitcnt vmcnt(2)
	ds_write2_b64 v74, v[20:21], v[22:23] offset0:8 offset1:9
	s_waitcnt vmcnt(1)
	ds_write2_b64 v74, v[16:17], v[18:19] offset0:10 offset1:11
	;; [unrolled: 2-line block ×3, first 2 shown]
	ds_read2_b64 v[40:43], v73 offset1:1
	s_waitcnt lgkmcnt(0)
	v_cmp_neq_f64_e32 vcc, 0, v[40:41]
	v_cmp_neq_f64_e64 s[2:3], 0, v[42:43]
	s_or_b64 s[2:3], vcc, s[2:3]
	s_and_b64 exec, exec, s[2:3]
	s_cbranch_execz .LBB13_35
; %bb.30:
	v_cmp_ngt_f64_e64 s[2:3], |v[40:41]|, |v[42:43]|
                                        ; implicit-def: $vgpr44_vgpr45
	s_and_saveexec_b64 s[8:9], s[2:3]
	s_xor_b64 s[2:3], exec, s[8:9]
                                        ; implicit-def: $vgpr46_vgpr47
	s_cbranch_execz .LBB13_32
; %bb.31:
	v_div_scale_f64 v[44:45], s[8:9], v[42:43], v[42:43], v[40:41]
	v_rcp_f64_e32 v[46:47], v[44:45]
	v_div_scale_f64 v[48:49], vcc, v[40:41], v[42:43], v[40:41]
	v_fma_f64 v[50:51], -v[44:45], v[46:47], 1.0
	v_fmac_f64_e32 v[46:47], v[46:47], v[50:51]
	v_fma_f64 v[50:51], -v[44:45], v[46:47], 1.0
	v_fmac_f64_e32 v[46:47], v[46:47], v[50:51]
	v_mul_f64 v[50:51], v[48:49], v[46:47]
	v_fma_f64 v[44:45], -v[44:45], v[50:51], v[48:49]
	v_div_fmas_f64 v[44:45], v[44:45], v[46:47], v[50:51]
	v_div_fixup_f64 v[44:45], v[44:45], v[42:43], v[40:41]
	v_fmac_f64_e32 v[42:43], v[40:41], v[44:45]
	v_div_scale_f64 v[40:41], s[8:9], v[42:43], v[42:43], 1.0
	v_rcp_f64_e32 v[46:47], v[40:41]
	s_nop 0
	v_fma_f64 v[48:49], -v[40:41], v[46:47], 1.0
	v_fmac_f64_e32 v[46:47], v[46:47], v[48:49]
	v_fma_f64 v[48:49], -v[40:41], v[46:47], 1.0
	v_fmac_f64_e32 v[46:47], v[46:47], v[48:49]
	v_div_scale_f64 v[48:49], vcc, 1.0, v[42:43], 1.0
	v_mul_f64 v[50:51], v[48:49], v[46:47]
	v_fma_f64 v[40:41], -v[40:41], v[50:51], v[48:49]
	s_nop 1
	v_div_fmas_f64 v[40:41], v[40:41], v[46:47], v[50:51]
	v_div_fixup_f64 v[46:47], v[40:41], v[42:43], 1.0
	v_mul_f64 v[44:45], v[44:45], v[46:47]
	v_xor_b32_e32 v47, 0x80000000, v47
                                        ; implicit-def: $vgpr40_vgpr41
.LBB13_32:
	s_andn2_saveexec_b64 s[2:3], s[2:3]
	s_cbranch_execz .LBB13_34
; %bb.33:
	v_div_scale_f64 v[44:45], s[8:9], v[40:41], v[40:41], v[42:43]
	v_rcp_f64_e32 v[46:47], v[44:45]
	v_div_scale_f64 v[48:49], vcc, v[42:43], v[40:41], v[42:43]
	v_fma_f64 v[50:51], -v[44:45], v[46:47], 1.0
	v_fmac_f64_e32 v[46:47], v[46:47], v[50:51]
	v_fma_f64 v[50:51], -v[44:45], v[46:47], 1.0
	v_fmac_f64_e32 v[46:47], v[46:47], v[50:51]
	v_mul_f64 v[50:51], v[48:49], v[46:47]
	v_fma_f64 v[44:45], -v[44:45], v[50:51], v[48:49]
	v_div_fmas_f64 v[44:45], v[44:45], v[46:47], v[50:51]
	v_div_fixup_f64 v[46:47], v[44:45], v[40:41], v[42:43]
	v_fmac_f64_e32 v[40:41], v[42:43], v[46:47]
	v_div_scale_f64 v[42:43], s[8:9], v[40:41], v[40:41], 1.0
	v_rcp_f64_e32 v[44:45], v[42:43]
	s_nop 0
	v_fma_f64 v[48:49], -v[42:43], v[44:45], 1.0
	v_fmac_f64_e32 v[44:45], v[44:45], v[48:49]
	v_fma_f64 v[48:49], -v[42:43], v[44:45], 1.0
	v_fmac_f64_e32 v[44:45], v[44:45], v[48:49]
	v_div_scale_f64 v[48:49], vcc, 1.0, v[40:41], 1.0
	v_mul_f64 v[50:51], v[48:49], v[44:45]
	v_fma_f64 v[42:43], -v[42:43], v[50:51], v[48:49]
	s_nop 1
	v_div_fmas_f64 v[42:43], v[42:43], v[44:45], v[50:51]
	v_div_fixup_f64 v[44:45], v[42:43], v[40:41], 1.0
	v_mul_f64 v[46:47], v[46:47], -v[44:45]
.LBB13_34:
	s_or_b64 exec, exec, s[2:3]
	ds_write2_b64 v73, v[44:45], v[46:47] offset1:1
.LBB13_35:
	s_or_b64 exec, exec, s[4:5]
	s_waitcnt lgkmcnt(0)
	s_barrier
	ds_read2_b64 v[40:43], v73 offset1:1
	v_cmp_lt_u32_e32 vcc, 3, v72
	s_and_saveexec_b64 s[2:3], vcc
	s_cbranch_execz .LBB13_37
; %bb.36:
	ds_read2_b64 v[44:47], v74 offset0:8 offset1:9
	ds_read2_b64 v[48:51], v74 offset0:10 offset1:11
	s_waitcnt vmcnt(3) lgkmcnt(2)
	v_mul_f64 v[52:53], v[40:41], v[10:11]
	v_fmac_f64_e32 v[52:53], v[42:43], v[8:9]
	v_mul_f64 v[10:11], v[42:43], v[10:11]
	v_fma_f64 v[8:9], v[40:41], v[8:9], -v[10:11]
	s_waitcnt lgkmcnt(1)
	v_mul_f64 v[10:11], v[46:47], v[52:53]
	v_fma_f64 v[10:11], v[44:45], v[8:9], -v[10:11]
	v_mul_f64 v[44:45], v[44:45], v[52:53]
	v_fmac_f64_e32 v[44:45], v[46:47], v[8:9]
	s_waitcnt vmcnt(2)
	v_add_f64 v[22:23], v[22:23], -v[44:45]
	ds_read2_b64 v[44:47], v74 offset0:12 offset1:13
	v_add_f64 v[20:21], v[20:21], -v[10:11]
	s_waitcnt lgkmcnt(1)
	v_mul_f64 v[10:11], v[50:51], v[52:53]
	v_fma_f64 v[10:11], v[48:49], v[8:9], -v[10:11]
	s_waitcnt vmcnt(1)
	v_add_f64 v[16:17], v[16:17], -v[10:11]
	s_waitcnt lgkmcnt(0)
	v_mul_f64 v[10:11], v[46:47], v[52:53]
	v_mul_f64 v[48:49], v[48:49], v[52:53]
	v_fma_f64 v[10:11], v[44:45], v[8:9], -v[10:11]
	v_mul_f64 v[44:45], v[44:45], v[52:53]
	v_fmac_f64_e32 v[48:49], v[50:51], v[8:9]
	v_fmac_f64_e32 v[44:45], v[46:47], v[8:9]
	v_add_f64 v[18:19], v[18:19], -v[48:49]
	s_waitcnt vmcnt(0)
	v_add_f64 v[24:25], v[24:25], -v[10:11]
	v_add_f64 v[26:27], v[26:27], -v[44:45]
	v_mov_b64_e32 v[10:11], v[52:53]
.LBB13_37:
	s_or_b64 exec, exec, s[2:3]
	v_cmp_eq_u32_e32 vcc, 4, v72
	s_waitcnt lgkmcnt(0)
	s_barrier
	s_and_saveexec_b64 s[4:5], vcc
	s_cbranch_execz .LBB13_44
; %bb.38:
	s_waitcnt vmcnt(2)
	ds_write2_b64 v73, v[20:21], v[22:23] offset1:1
	s_waitcnt vmcnt(1)
	ds_write2_b64 v74, v[16:17], v[18:19] offset0:10 offset1:11
	s_waitcnt vmcnt(0)
	ds_write2_b64 v74, v[24:25], v[26:27] offset0:12 offset1:13
	ds_read2_b64 v[44:47], v73 offset1:1
	s_waitcnt lgkmcnt(0)
	v_cmp_neq_f64_e32 vcc, 0, v[44:45]
	v_cmp_neq_f64_e64 s[2:3], 0, v[46:47]
	s_or_b64 s[2:3], vcc, s[2:3]
	s_and_b64 exec, exec, s[2:3]
	s_cbranch_execz .LBB13_44
; %bb.39:
	v_cmp_ngt_f64_e64 s[2:3], |v[44:45]|, |v[46:47]|
                                        ; implicit-def: $vgpr48_vgpr49
	s_and_saveexec_b64 s[8:9], s[2:3]
	s_xor_b64 s[2:3], exec, s[8:9]
                                        ; implicit-def: $vgpr50_vgpr51
	s_cbranch_execz .LBB13_41
; %bb.40:
	v_div_scale_f64 v[48:49], s[8:9], v[46:47], v[46:47], v[44:45]
	v_rcp_f64_e32 v[50:51], v[48:49]
	v_div_scale_f64 v[52:53], vcc, v[44:45], v[46:47], v[44:45]
	v_fma_f64 v[54:55], -v[48:49], v[50:51], 1.0
	v_fmac_f64_e32 v[50:51], v[50:51], v[54:55]
	v_fma_f64 v[54:55], -v[48:49], v[50:51], 1.0
	v_fmac_f64_e32 v[50:51], v[50:51], v[54:55]
	v_mul_f64 v[54:55], v[52:53], v[50:51]
	v_fma_f64 v[48:49], -v[48:49], v[54:55], v[52:53]
	v_div_fmas_f64 v[48:49], v[48:49], v[50:51], v[54:55]
	v_div_fixup_f64 v[48:49], v[48:49], v[46:47], v[44:45]
	v_fmac_f64_e32 v[46:47], v[44:45], v[48:49]
	v_div_scale_f64 v[44:45], s[8:9], v[46:47], v[46:47], 1.0
	v_rcp_f64_e32 v[50:51], v[44:45]
	s_nop 0
	v_fma_f64 v[52:53], -v[44:45], v[50:51], 1.0
	v_fmac_f64_e32 v[50:51], v[50:51], v[52:53]
	v_fma_f64 v[52:53], -v[44:45], v[50:51], 1.0
	v_fmac_f64_e32 v[50:51], v[50:51], v[52:53]
	v_div_scale_f64 v[52:53], vcc, 1.0, v[46:47], 1.0
	v_mul_f64 v[54:55], v[52:53], v[50:51]
	v_fma_f64 v[44:45], -v[44:45], v[54:55], v[52:53]
	s_nop 1
	v_div_fmas_f64 v[44:45], v[44:45], v[50:51], v[54:55]
	v_div_fixup_f64 v[50:51], v[44:45], v[46:47], 1.0
	v_mul_f64 v[48:49], v[48:49], v[50:51]
	v_xor_b32_e32 v51, 0x80000000, v51
                                        ; implicit-def: $vgpr44_vgpr45
.LBB13_41:
	s_andn2_saveexec_b64 s[2:3], s[2:3]
	s_cbranch_execz .LBB13_43
; %bb.42:
	v_div_scale_f64 v[48:49], s[8:9], v[44:45], v[44:45], v[46:47]
	v_rcp_f64_e32 v[50:51], v[48:49]
	v_div_scale_f64 v[52:53], vcc, v[46:47], v[44:45], v[46:47]
	v_fma_f64 v[54:55], -v[48:49], v[50:51], 1.0
	v_fmac_f64_e32 v[50:51], v[50:51], v[54:55]
	v_fma_f64 v[54:55], -v[48:49], v[50:51], 1.0
	v_fmac_f64_e32 v[50:51], v[50:51], v[54:55]
	v_mul_f64 v[54:55], v[52:53], v[50:51]
	v_fma_f64 v[48:49], -v[48:49], v[54:55], v[52:53]
	v_div_fmas_f64 v[48:49], v[48:49], v[50:51], v[54:55]
	v_div_fixup_f64 v[50:51], v[48:49], v[44:45], v[46:47]
	v_fmac_f64_e32 v[44:45], v[46:47], v[50:51]
	v_div_scale_f64 v[46:47], s[8:9], v[44:45], v[44:45], 1.0
	v_rcp_f64_e32 v[48:49], v[46:47]
	s_nop 0
	v_fma_f64 v[52:53], -v[46:47], v[48:49], 1.0
	v_fmac_f64_e32 v[48:49], v[48:49], v[52:53]
	v_fma_f64 v[52:53], -v[46:47], v[48:49], 1.0
	v_fmac_f64_e32 v[48:49], v[48:49], v[52:53]
	v_div_scale_f64 v[52:53], vcc, 1.0, v[44:45], 1.0
	v_mul_f64 v[54:55], v[52:53], v[48:49]
	v_fma_f64 v[46:47], -v[46:47], v[54:55], v[52:53]
	s_nop 1
	v_div_fmas_f64 v[46:47], v[46:47], v[48:49], v[54:55]
	v_div_fixup_f64 v[48:49], v[46:47], v[44:45], 1.0
	v_mul_f64 v[50:51], v[50:51], -v[48:49]
.LBB13_43:
	s_or_b64 exec, exec, s[2:3]
	ds_write2_b64 v73, v[48:49], v[50:51] offset1:1
.LBB13_44:
	s_or_b64 exec, exec, s[4:5]
	s_waitcnt lgkmcnt(0)
	s_barrier
	ds_read2_b64 v[44:47], v73 offset1:1
	v_cmp_lt_u32_e32 vcc, 4, v72
	s_and_saveexec_b64 s[2:3], vcc
	s_cbranch_execz .LBB13_46
; %bb.45:
	ds_read2_b64 v[48:51], v74 offset0:10 offset1:11
	ds_read2_b64 v[52:55], v74 offset0:12 offset1:13
	s_waitcnt vmcnt(2) lgkmcnt(2)
	v_mul_f64 v[76:77], v[44:45], v[22:23]
	v_fmac_f64_e32 v[76:77], v[46:47], v[20:21]
	v_mul_f64 v[22:23], v[46:47], v[22:23]
	v_fma_f64 v[20:21], v[44:45], v[20:21], -v[22:23]
	s_waitcnt lgkmcnt(1)
	v_mul_f64 v[22:23], v[50:51], v[76:77]
	v_fma_f64 v[22:23], v[48:49], v[20:21], -v[22:23]
	v_mul_f64 v[48:49], v[48:49], v[76:77]
	v_fmac_f64_e32 v[48:49], v[50:51], v[20:21]
	s_waitcnt vmcnt(1)
	v_add_f64 v[16:17], v[16:17], -v[22:23]
	v_add_f64 v[18:19], v[18:19], -v[48:49]
	s_waitcnt lgkmcnt(0)
	v_mul_f64 v[22:23], v[54:55], v[76:77]
	v_mul_f64 v[48:49], v[52:53], v[76:77]
	v_fma_f64 v[22:23], v[52:53], v[20:21], -v[22:23]
	v_fmac_f64_e32 v[48:49], v[54:55], v[20:21]
	s_waitcnt vmcnt(0)
	v_add_f64 v[24:25], v[24:25], -v[22:23]
	v_add_f64 v[26:27], v[26:27], -v[48:49]
	v_mov_b64_e32 v[22:23], v[76:77]
.LBB13_46:
	s_or_b64 exec, exec, s[2:3]
	v_cmp_eq_u32_e32 vcc, 5, v72
	s_waitcnt lgkmcnt(0)
	s_barrier
	s_and_saveexec_b64 s[4:5], vcc
	s_cbranch_execz .LBB13_53
; %bb.47:
	s_waitcnt vmcnt(1)
	ds_write2_b64 v73, v[16:17], v[18:19] offset1:1
	s_waitcnt vmcnt(0)
	ds_write2_b64 v74, v[24:25], v[26:27] offset0:12 offset1:13
	ds_read2_b64 v[48:51], v73 offset1:1
	s_waitcnt lgkmcnt(0)
	v_cmp_neq_f64_e32 vcc, 0, v[48:49]
	v_cmp_neq_f64_e64 s[2:3], 0, v[50:51]
	s_or_b64 s[2:3], vcc, s[2:3]
	s_and_b64 exec, exec, s[2:3]
	s_cbranch_execz .LBB13_53
; %bb.48:
	v_cmp_ngt_f64_e64 s[2:3], |v[48:49]|, |v[50:51]|
                                        ; implicit-def: $vgpr52_vgpr53
	s_and_saveexec_b64 s[8:9], s[2:3]
	s_xor_b64 s[2:3], exec, s[8:9]
                                        ; implicit-def: $vgpr54_vgpr55
	s_cbranch_execz .LBB13_50
; %bb.49:
	v_div_scale_f64 v[52:53], s[8:9], v[50:51], v[50:51], v[48:49]
	v_rcp_f64_e32 v[54:55], v[52:53]
	v_div_scale_f64 v[76:77], vcc, v[48:49], v[50:51], v[48:49]
	v_fma_f64 v[78:79], -v[52:53], v[54:55], 1.0
	v_fmac_f64_e32 v[54:55], v[54:55], v[78:79]
	v_fma_f64 v[78:79], -v[52:53], v[54:55], 1.0
	v_fmac_f64_e32 v[54:55], v[54:55], v[78:79]
	v_mul_f64 v[78:79], v[76:77], v[54:55]
	v_fma_f64 v[52:53], -v[52:53], v[78:79], v[76:77]
	v_div_fmas_f64 v[52:53], v[52:53], v[54:55], v[78:79]
	v_div_fixup_f64 v[52:53], v[52:53], v[50:51], v[48:49]
	v_fmac_f64_e32 v[50:51], v[48:49], v[52:53]
	v_div_scale_f64 v[48:49], s[8:9], v[50:51], v[50:51], 1.0
	v_rcp_f64_e32 v[54:55], v[48:49]
	s_nop 0
	v_fma_f64 v[76:77], -v[48:49], v[54:55], 1.0
	v_fmac_f64_e32 v[54:55], v[54:55], v[76:77]
	v_fma_f64 v[76:77], -v[48:49], v[54:55], 1.0
	v_fmac_f64_e32 v[54:55], v[54:55], v[76:77]
	v_div_scale_f64 v[76:77], vcc, 1.0, v[50:51], 1.0
	v_mul_f64 v[78:79], v[76:77], v[54:55]
	v_fma_f64 v[48:49], -v[48:49], v[78:79], v[76:77]
	s_nop 1
	v_div_fmas_f64 v[48:49], v[48:49], v[54:55], v[78:79]
	v_div_fixup_f64 v[54:55], v[48:49], v[50:51], 1.0
	v_mul_f64 v[52:53], v[52:53], v[54:55]
	v_xor_b32_e32 v55, 0x80000000, v55
                                        ; implicit-def: $vgpr48_vgpr49
.LBB13_50:
	s_andn2_saveexec_b64 s[2:3], s[2:3]
	s_cbranch_execz .LBB13_52
; %bb.51:
	v_div_scale_f64 v[52:53], s[8:9], v[48:49], v[48:49], v[50:51]
	v_rcp_f64_e32 v[54:55], v[52:53]
	v_div_scale_f64 v[76:77], vcc, v[50:51], v[48:49], v[50:51]
	v_fma_f64 v[78:79], -v[52:53], v[54:55], 1.0
	v_fmac_f64_e32 v[54:55], v[54:55], v[78:79]
	v_fma_f64 v[78:79], -v[52:53], v[54:55], 1.0
	v_fmac_f64_e32 v[54:55], v[54:55], v[78:79]
	v_mul_f64 v[78:79], v[76:77], v[54:55]
	v_fma_f64 v[52:53], -v[52:53], v[78:79], v[76:77]
	v_div_fmas_f64 v[52:53], v[52:53], v[54:55], v[78:79]
	v_div_fixup_f64 v[54:55], v[52:53], v[48:49], v[50:51]
	v_fmac_f64_e32 v[48:49], v[50:51], v[54:55]
	v_div_scale_f64 v[50:51], s[8:9], v[48:49], v[48:49], 1.0
	v_rcp_f64_e32 v[52:53], v[50:51]
	s_nop 0
	v_fma_f64 v[76:77], -v[50:51], v[52:53], 1.0
	v_fmac_f64_e32 v[52:53], v[52:53], v[76:77]
	v_fma_f64 v[76:77], -v[50:51], v[52:53], 1.0
	v_fmac_f64_e32 v[52:53], v[52:53], v[76:77]
	v_div_scale_f64 v[76:77], vcc, 1.0, v[48:49], 1.0
	v_mul_f64 v[78:79], v[76:77], v[52:53]
	v_fma_f64 v[50:51], -v[50:51], v[78:79], v[76:77]
	s_nop 1
	v_div_fmas_f64 v[50:51], v[50:51], v[52:53], v[78:79]
	v_div_fixup_f64 v[52:53], v[50:51], v[48:49], 1.0
	v_mul_f64 v[54:55], v[54:55], -v[52:53]
.LBB13_52:
	s_or_b64 exec, exec, s[2:3]
	ds_write2_b64 v73, v[52:53], v[54:55] offset1:1
.LBB13_53:
	s_or_b64 exec, exec, s[4:5]
	s_waitcnt lgkmcnt(0)
	s_barrier
	ds_read2_b64 v[48:51], v73 offset1:1
	v_cmp_lt_u32_e32 vcc, 5, v72
	s_and_saveexec_b64 s[2:3], vcc
	s_cbranch_execz .LBB13_55
; %bb.54:
	ds_read2_b64 v[52:55], v74 offset0:12 offset1:13
	s_waitcnt vmcnt(1) lgkmcnt(1)
	v_mul_f64 v[74:75], v[48:49], v[18:19]
	v_mul_f64 v[18:19], v[50:51], v[18:19]
	v_fmac_f64_e32 v[74:75], v[50:51], v[16:17]
	v_fma_f64 v[16:17], v[48:49], v[16:17], -v[18:19]
	s_waitcnt lgkmcnt(0)
	v_mul_f64 v[18:19], v[54:55], v[74:75]
	v_fma_f64 v[18:19], v[52:53], v[16:17], -v[18:19]
	v_mul_f64 v[52:53], v[52:53], v[74:75]
	v_fmac_f64_e32 v[52:53], v[54:55], v[16:17]
	s_waitcnt vmcnt(0)
	v_add_f64 v[24:25], v[24:25], -v[18:19]
	v_add_f64 v[26:27], v[26:27], -v[52:53]
	v_mov_b64_e32 v[18:19], v[74:75]
.LBB13_55:
	s_or_b64 exec, exec, s[2:3]
	v_cmp_eq_u32_e32 vcc, 6, v72
	s_waitcnt lgkmcnt(0)
	s_barrier
	s_and_saveexec_b64 s[4:5], vcc
	s_cbranch_execz .LBB13_62
; %bb.56:
	s_waitcnt vmcnt(0)
	v_cmp_neq_f64_e32 vcc, 0, v[24:25]
	v_cmp_neq_f64_e64 s[2:3], 0, v[26:27]
	s_or_b64 s[2:3], vcc, s[2:3]
	ds_write2_b64 v73, v[24:25], v[26:27] offset1:1
	s_and_b64 exec, exec, s[2:3]
	s_cbranch_execz .LBB13_62
; %bb.57:
	v_cmp_ngt_f64_e64 s[2:3], |v[24:25]|, |v[26:27]|
                                        ; implicit-def: $vgpr52_vgpr53
	s_and_saveexec_b64 s[8:9], s[2:3]
	s_xor_b64 s[2:3], exec, s[8:9]
                                        ; implicit-def: $vgpr54_vgpr55
	s_cbranch_execz .LBB13_59
; %bb.58:
	v_div_scale_f64 v[52:53], s[8:9], v[26:27], v[26:27], v[24:25]
	v_rcp_f64_e32 v[54:55], v[52:53]
	v_div_scale_f64 v[74:75], vcc, v[24:25], v[26:27], v[24:25]
	v_fma_f64 v[76:77], -v[52:53], v[54:55], 1.0
	v_fmac_f64_e32 v[54:55], v[54:55], v[76:77]
	v_fma_f64 v[76:77], -v[52:53], v[54:55], 1.0
	v_fmac_f64_e32 v[54:55], v[54:55], v[76:77]
	v_mul_f64 v[76:77], v[74:75], v[54:55]
	v_fma_f64 v[52:53], -v[52:53], v[76:77], v[74:75]
	v_div_fmas_f64 v[52:53], v[52:53], v[54:55], v[76:77]
	v_div_fixup_f64 v[52:53], v[52:53], v[26:27], v[24:25]
	v_fma_f64 v[54:55], v[24:25], v[52:53], v[26:27]
	v_div_scale_f64 v[74:75], s[8:9], v[54:55], v[54:55], 1.0
	v_rcp_f64_e32 v[76:77], v[74:75]
	s_nop 0
	v_fma_f64 v[78:79], -v[74:75], v[76:77], 1.0
	v_fmac_f64_e32 v[76:77], v[76:77], v[78:79]
	v_fma_f64 v[78:79], -v[74:75], v[76:77], 1.0
	v_fmac_f64_e32 v[76:77], v[76:77], v[78:79]
	v_div_scale_f64 v[78:79], vcc, 1.0, v[54:55], 1.0
	v_mul_f64 v[80:81], v[78:79], v[76:77]
	v_fma_f64 v[74:75], -v[74:75], v[80:81], v[78:79]
	s_nop 1
	v_div_fmas_f64 v[74:75], v[74:75], v[76:77], v[80:81]
	v_div_fixup_f64 v[54:55], v[74:75], v[54:55], 1.0
	v_mul_f64 v[52:53], v[52:53], v[54:55]
	v_xor_b32_e32 v55, 0x80000000, v55
.LBB13_59:
	s_andn2_saveexec_b64 s[2:3], s[2:3]
	s_cbranch_execz .LBB13_61
; %bb.60:
	v_div_scale_f64 v[52:53], s[8:9], v[24:25], v[24:25], v[26:27]
	v_rcp_f64_e32 v[54:55], v[52:53]
	v_div_scale_f64 v[74:75], vcc, v[26:27], v[24:25], v[26:27]
	v_fma_f64 v[76:77], -v[52:53], v[54:55], 1.0
	v_fmac_f64_e32 v[54:55], v[54:55], v[76:77]
	v_fma_f64 v[76:77], -v[52:53], v[54:55], 1.0
	v_fmac_f64_e32 v[54:55], v[54:55], v[76:77]
	v_mul_f64 v[76:77], v[74:75], v[54:55]
	v_fma_f64 v[52:53], -v[52:53], v[76:77], v[74:75]
	v_div_fmas_f64 v[52:53], v[52:53], v[54:55], v[76:77]
	v_div_fixup_f64 v[54:55], v[52:53], v[24:25], v[26:27]
	v_fma_f64 v[52:53], v[26:27], v[54:55], v[24:25]
	v_div_scale_f64 v[74:75], s[8:9], v[52:53], v[52:53], 1.0
	v_rcp_f64_e32 v[76:77], v[74:75]
	s_nop 0
	v_fma_f64 v[78:79], -v[74:75], v[76:77], 1.0
	v_fmac_f64_e32 v[76:77], v[76:77], v[78:79]
	v_fma_f64 v[78:79], -v[74:75], v[76:77], 1.0
	v_fmac_f64_e32 v[76:77], v[76:77], v[78:79]
	v_div_scale_f64 v[78:79], vcc, 1.0, v[52:53], 1.0
	v_mul_f64 v[80:81], v[78:79], v[76:77]
	v_fma_f64 v[74:75], -v[74:75], v[80:81], v[78:79]
	s_nop 1
	v_div_fmas_f64 v[74:75], v[74:75], v[76:77], v[80:81]
	v_div_fixup_f64 v[52:53], v[74:75], v[52:53], 1.0
	v_mul_f64 v[54:55], v[54:55], -v[52:53]
.LBB13_61:
	s_or_b64 exec, exec, s[2:3]
	ds_write2_b64 v73, v[52:53], v[54:55] offset1:1
.LBB13_62:
	s_or_b64 exec, exec, s[4:5]
	s_waitcnt lgkmcnt(0)
	s_barrier
	ds_read2_b64 v[52:55], v73 offset1:1
	s_waitcnt lgkmcnt(0)
	s_barrier
	s_and_saveexec_b64 s[28:29], s[0:1]
	s_cbranch_execz .LBB13_65
; %bb.63:
	v_mov_b32_e32 v74, s6
	v_mov_b32_e32 v75, s7
	v_lshl_add_u64 v[66:67], v[66:67], 2, v[74:75]
	global_load_dword v73, v[66:67], off
	v_cmp_eq_f64_e32 vcc, 0, v[28:29]
	v_cmp_eq_f64_e64 s[0:1], 0, v[30:31]
	v_cmp_neq_f64_e64 s[2:3], 0, v[32:33]
	v_cmp_neq_f64_e64 s[4:5], 0, v[34:35]
	s_and_b64 s[0:1], vcc, s[0:1]
	s_or_b64 s[2:3], s[2:3], s[4:5]
	v_cndmask_b32_e64 v28, 0, 1, s[0:1]
	s_or_b64 vcc, s[2:3], s[0:1]
	v_cmp_eq_f64_e64 s[6:7], 0, v[36:37]
	v_cmp_eq_f64_e64 s[8:9], 0, v[38:39]
	v_cndmask_b32_e32 v28, 2, v28, vcc
	s_and_b64 s[4:5], s[6:7], s[8:9]
	v_cmp_eq_u32_e32 vcc, 0, v28
	s_and_b64 s[0:1], s[4:5], vcc
	v_cmp_eq_f64_e64 s[10:11], 0, v[40:41]
	v_cmp_eq_f64_e64 s[12:13], 0, v[42:43]
	v_cndmask_b32_e64 v28, v28, 3, s[0:1]
	s_and_b64 s[6:7], s[10:11], s[12:13]
	v_cmp_eq_u32_e32 vcc, 0, v28
	s_and_b64 s[0:1], s[6:7], vcc
	v_cmp_eq_f64_e64 s[14:15], 0, v[44:45]
	v_cmp_eq_f64_e64 s[16:17], 0, v[46:47]
	v_cndmask_b32_e64 v28, v28, 4, s[0:1]
	;; [unrolled: 6-line block ×4, first 2 shown]
	s_and_b64 s[12:13], s[22:23], s[24:25]
	v_cmp_eq_u32_e32 vcc, 0, v28
	s_and_b64 s[0:1], s[12:13], vcc
	v_cndmask_b32_e64 v28, v28, 7, s[0:1]
	v_cmp_ne_u32_e64 s[0:1], 0, v28
	s_waitcnt vmcnt(0)
	v_cmp_eq_u32_e32 vcc, 0, v73
	s_and_b64 s[0:1], vcc, s[0:1]
	s_and_b64 exec, exec, s[0:1]
	s_cbranch_execz .LBB13_65
; %bb.64:
	v_add_u32_e32 v28, s27, v28
	global_store_dword v[66:67], v28, off
.LBB13_65:
	s_or_b64 exec, exec, s[28:29]
	s_waitcnt vmcnt(0)
	v_mul_f64 v[28:29], v[54:55], v[26:27]
	v_mul_f64 v[30:31], v[52:53], v[26:27]
	v_fma_f64 v[28:29], v[52:53], v[24:25], -v[28:29]
	v_fmac_f64_e32 v[30:31], v[54:55], v[24:25]
	v_cmp_lt_u32_e32 vcc, 6, v72
	s_nop 1
	v_cndmask_b32_e32 v27, v27, v31, vcc
	v_cndmask_b32_e32 v26, v26, v30, vcc
	v_cndmask_b32_e32 v25, v25, v29, vcc
	v_cndmask_b32_e32 v24, v24, v28, vcc
	global_store_dwordx4 v[56:57], v[4:7], off
	global_store_dwordx4 v[58:59], v[0:3], off
	;; [unrolled: 1-line block ×7, first 2 shown]
.LBB13_66:
	s_endpgm
	.section	.rodata,"a",@progbits
	.p2align	6, 0x0
	.amdhsa_kernel _ZN9rocsolver6v33100L23getf2_npvt_small_kernelILi7E19rocblas_complex_numIdEiiPS3_EEvT1_T3_lS5_lPT2_S5_S5_
		.amdhsa_group_segment_fixed_size 0
		.amdhsa_private_segment_fixed_size 0
		.amdhsa_kernarg_size 312
		.amdhsa_user_sgpr_count 2
		.amdhsa_user_sgpr_dispatch_ptr 0
		.amdhsa_user_sgpr_queue_ptr 0
		.amdhsa_user_sgpr_kernarg_segment_ptr 1
		.amdhsa_user_sgpr_dispatch_id 0
		.amdhsa_user_sgpr_kernarg_preload_length 0
		.amdhsa_user_sgpr_kernarg_preload_offset 0
		.amdhsa_user_sgpr_private_segment_size 0
		.amdhsa_uses_dynamic_stack 0
		.amdhsa_enable_private_segment 0
		.amdhsa_system_sgpr_workgroup_id_x 1
		.amdhsa_system_sgpr_workgroup_id_y 1
		.amdhsa_system_sgpr_workgroup_id_z 0
		.amdhsa_system_sgpr_workgroup_info 0
		.amdhsa_system_vgpr_workitem_id 1
		.amdhsa_next_free_vgpr 82
		.amdhsa_next_free_sgpr 30
		.amdhsa_accum_offset 84
		.amdhsa_reserve_vcc 1
		.amdhsa_float_round_mode_32 0
		.amdhsa_float_round_mode_16_64 0
		.amdhsa_float_denorm_mode_32 3
		.amdhsa_float_denorm_mode_16_64 3
		.amdhsa_dx10_clamp 1
		.amdhsa_ieee_mode 1
		.amdhsa_fp16_overflow 0
		.amdhsa_tg_split 0
		.amdhsa_exception_fp_ieee_invalid_op 0
		.amdhsa_exception_fp_denorm_src 0
		.amdhsa_exception_fp_ieee_div_zero 0
		.amdhsa_exception_fp_ieee_overflow 0
		.amdhsa_exception_fp_ieee_underflow 0
		.amdhsa_exception_fp_ieee_inexact 0
		.amdhsa_exception_int_div_zero 0
	.end_amdhsa_kernel
	.section	.text._ZN9rocsolver6v33100L23getf2_npvt_small_kernelILi7E19rocblas_complex_numIdEiiPS3_EEvT1_T3_lS5_lPT2_S5_S5_,"axG",@progbits,_ZN9rocsolver6v33100L23getf2_npvt_small_kernelILi7E19rocblas_complex_numIdEiiPS3_EEvT1_T3_lS5_lPT2_S5_S5_,comdat
.Lfunc_end13:
	.size	_ZN9rocsolver6v33100L23getf2_npvt_small_kernelILi7E19rocblas_complex_numIdEiiPS3_EEvT1_T3_lS5_lPT2_S5_S5_, .Lfunc_end13-_ZN9rocsolver6v33100L23getf2_npvt_small_kernelILi7E19rocblas_complex_numIdEiiPS3_EEvT1_T3_lS5_lPT2_S5_S5_
                                        ; -- End function
	.set _ZN9rocsolver6v33100L23getf2_npvt_small_kernelILi7E19rocblas_complex_numIdEiiPS3_EEvT1_T3_lS5_lPT2_S5_S5_.num_vgpr, 82
	.set _ZN9rocsolver6v33100L23getf2_npvt_small_kernelILi7E19rocblas_complex_numIdEiiPS3_EEvT1_T3_lS5_lPT2_S5_S5_.num_agpr, 0
	.set _ZN9rocsolver6v33100L23getf2_npvt_small_kernelILi7E19rocblas_complex_numIdEiiPS3_EEvT1_T3_lS5_lPT2_S5_S5_.numbered_sgpr, 30
	.set _ZN9rocsolver6v33100L23getf2_npvt_small_kernelILi7E19rocblas_complex_numIdEiiPS3_EEvT1_T3_lS5_lPT2_S5_S5_.num_named_barrier, 0
	.set _ZN9rocsolver6v33100L23getf2_npvt_small_kernelILi7E19rocblas_complex_numIdEiiPS3_EEvT1_T3_lS5_lPT2_S5_S5_.private_seg_size, 0
	.set _ZN9rocsolver6v33100L23getf2_npvt_small_kernelILi7E19rocblas_complex_numIdEiiPS3_EEvT1_T3_lS5_lPT2_S5_S5_.uses_vcc, 1
	.set _ZN9rocsolver6v33100L23getf2_npvt_small_kernelILi7E19rocblas_complex_numIdEiiPS3_EEvT1_T3_lS5_lPT2_S5_S5_.uses_flat_scratch, 0
	.set _ZN9rocsolver6v33100L23getf2_npvt_small_kernelILi7E19rocblas_complex_numIdEiiPS3_EEvT1_T3_lS5_lPT2_S5_S5_.has_dyn_sized_stack, 0
	.set _ZN9rocsolver6v33100L23getf2_npvt_small_kernelILi7E19rocblas_complex_numIdEiiPS3_EEvT1_T3_lS5_lPT2_S5_S5_.has_recursion, 0
	.set _ZN9rocsolver6v33100L23getf2_npvt_small_kernelILi7E19rocblas_complex_numIdEiiPS3_EEvT1_T3_lS5_lPT2_S5_S5_.has_indirect_call, 0
	.section	.AMDGPU.csdata,"",@progbits
; Kernel info:
; codeLenInByte = 5956
; TotalNumSgprs: 36
; NumVgprs: 82
; NumAgprs: 0
; TotalNumVgprs: 82
; ScratchSize: 0
; MemoryBound: 0
; FloatMode: 240
; IeeeMode: 1
; LDSByteSize: 0 bytes/workgroup (compile time only)
; SGPRBlocks: 4
; VGPRBlocks: 10
; NumSGPRsForWavesPerEU: 36
; NumVGPRsForWavesPerEU: 82
; AccumOffset: 84
; Occupancy: 5
; WaveLimiterHint : 0
; COMPUTE_PGM_RSRC2:SCRATCH_EN: 0
; COMPUTE_PGM_RSRC2:USER_SGPR: 2
; COMPUTE_PGM_RSRC2:TRAP_HANDLER: 0
; COMPUTE_PGM_RSRC2:TGID_X_EN: 1
; COMPUTE_PGM_RSRC2:TGID_Y_EN: 1
; COMPUTE_PGM_RSRC2:TGID_Z_EN: 0
; COMPUTE_PGM_RSRC2:TIDIG_COMP_CNT: 1
; COMPUTE_PGM_RSRC3_GFX90A:ACCUM_OFFSET: 20
; COMPUTE_PGM_RSRC3_GFX90A:TG_SPLIT: 0
	.section	.text._ZN9rocsolver6v33100L18getf2_small_kernelILi8E19rocblas_complex_numIdEiiPS3_EEvT1_T3_lS5_lPS5_llPT2_S5_S5_S7_l,"axG",@progbits,_ZN9rocsolver6v33100L18getf2_small_kernelILi8E19rocblas_complex_numIdEiiPS3_EEvT1_T3_lS5_lPS5_llPT2_S5_S5_S7_l,comdat
	.globl	_ZN9rocsolver6v33100L18getf2_small_kernelILi8E19rocblas_complex_numIdEiiPS3_EEvT1_T3_lS5_lPS5_llPT2_S5_S5_S7_l ; -- Begin function _ZN9rocsolver6v33100L18getf2_small_kernelILi8E19rocblas_complex_numIdEiiPS3_EEvT1_T3_lS5_lPS5_llPT2_S5_S5_S7_l
	.p2align	8
	.type	_ZN9rocsolver6v33100L18getf2_small_kernelILi8E19rocblas_complex_numIdEiiPS3_EEvT1_T3_lS5_lPS5_llPT2_S5_S5_S7_l,@function
_ZN9rocsolver6v33100L18getf2_small_kernelILi8E19rocblas_complex_numIdEiiPS3_EEvT1_T3_lS5_lPS5_llPT2_S5_S5_S7_l: ; @_ZN9rocsolver6v33100L18getf2_small_kernelILi8E19rocblas_complex_numIdEiiPS3_EEvT1_T3_lS5_lPS5_llPT2_S5_S5_S7_l
; %bb.0:
	s_load_dword s2, s[0:1], 0x6c
	s_load_dwordx2 s[12:13], s[0:1], 0x48
	v_bfe_u32 v32, v0, 10, 10
	s_waitcnt lgkmcnt(0)
	s_lshr_b32 s2, s2, 16
	s_mul_i32 s3, s3, s2
	v_add_u32_e32 v38, s3, v32
	v_cmp_gt_i32_e32 vcc, s12, v38
	s_and_saveexec_b64 s[2:3], vcc
	s_cbranch_execz .LBB14_169
; %bb.1:
	s_load_dwordx4 s[4:7], s[0:1], 0x50
	v_ashrrev_i32_e32 v39, 31, v38
	v_mov_b64_e32 v[40:41], 0
	s_waitcnt lgkmcnt(0)
	s_cmp_eq_u64 s[4:5], 0
	s_cselect_b64 s[14:15], -1, 0
	s_and_b64 vcc, exec, s[14:15]
	s_cbranch_vccnz .LBB14_3
; %bb.2:
	v_mul_lo_u32 v1, s7, v38
	v_mul_lo_u32 v4, s6, v39
	v_mad_u64_u32 v[2:3], s[2:3], s6, v38, 0
	v_add3_u32 v3, v3, v4, v1
	v_lshl_add_u64 v[40:41], v[2:3], 2, s[4:5]
.LBB14_3:
	s_load_dwordx4 s[16:19], s[0:1], 0x8
	s_load_dwordx8 s[4:11], s[0:1], 0x20
	s_load_dword s2, s[0:1], 0x18
	v_and_b32_e32 v46, 0x3ff, v0
	v_lshlrev_b32_e32 v42, 4, v46
	s_waitcnt lgkmcnt(0)
	v_mov_b32_e32 v2, s16
	v_mul_lo_u32 v1, s5, v38
	v_mul_lo_u32 v6, s4, v39
	v_mad_u64_u32 v[4:5], s[4:5], s4, v38, 0
	v_mov_b32_e32 v3, s17
	v_add3_u32 v5, v5, v6, v1
	v_lshl_add_u64 v[2:3], v[4:5], 4, v[2:3]
	v_lshl_add_u64 v[36:37], s[18:19], 4, v[2:3]
	v_mov_b32_e32 v43, 0
	v_lshl_add_u64 v[0:1], v[36:37], 0, v[42:43]
	s_ashr_i32 s3, s2, 31
	s_add_i32 s12, s2, s2
	v_lshl_add_u64 v[2:3], s[2:3], 4, v[0:1]
	global_load_dwordx4 v[20:23], v[0:1], off
	global_load_dwordx4 v[16:19], v[2:3], off
	v_add_u32_e32 v0, s12, v46
	v_ashrrev_i32_e32 v1, 31, v0
	v_lshl_add_u64 v[2:3], v[0:1], 4, v[36:37]
	v_add_u32_e32 v0, s2, v0
	v_ashrrev_i32_e32 v1, 31, v0
	v_lshl_add_u64 v[4:5], v[0:1], 4, v[36:37]
	v_add_u32_e32 v0, s2, v0
	v_ashrrev_i32_e32 v1, 31, v0
	v_add_u32_e32 v6, s2, v0
	global_load_dwordx4 v[24:27], v[2:3], off
	global_load_dwordx4 v[8:11], v[4:5], off
	v_lshl_add_u64 v[4:5], v[0:1], 4, v[36:37]
	v_ashrrev_i32_e32 v7, 31, v6
	v_lshl_add_u64 v[28:29], v[6:7], 4, v[36:37]
	global_load_dwordx4 v[12:15], v[4:5], off
	global_load_dwordx4 v[0:3], v[28:29], off
	v_add_u32_e32 v4, s2, v6
	v_ashrrev_i32_e32 v5, 31, v4
	v_lshl_add_u64 v[34:35], v[4:5], 4, v[36:37]
	v_add_u32_e32 v4, s2, v4
	v_ashrrev_i32_e32 v5, 31, v4
	v_lshl_add_u64 v[44:45], v[4:5], 4, v[36:37]
	global_load_dwordx4 v[4:7], v[34:35], off
	global_load_dwordx4 v[28:31], v[44:45], off
	s_load_dword s20, s[0:1], 0x0
	s_load_dwordx2 s[4:5], s[0:1], 0x40
	s_waitcnt lgkmcnt(0)
	s_max_i32 s0, s20, 8
	v_mul_lo_u32 v45, s0, v32
	v_lshl_add_u32 v44, v45, 4, 0
	v_add_u32_e32 v32, v44, v42
	s_cmp_lt_i32 s20, 2
	v_lshlrev_b32_e32 v45, 4, v45
	s_waitcnt vmcnt(7)
	ds_write2_b64 v32, v[20:21], v[22:23] offset1:1
	s_waitcnt lgkmcnt(0)
	s_barrier
	ds_read2_b64 v[32:35], v44 offset1:1
	s_cbranch_scc1 .LBB14_6
; %bb.4:
	v_add3_u32 v42, v45, 0, 16
	s_mov_b32 s16, 1
	v_mov_b32_e32 v43, 0
.LBB14_5:                               ; =>This Inner Loop Header: Depth=1
	ds_read2_b64 v[48:51], v42 offset1:1
	s_waitcnt lgkmcnt(1)
	v_xor_b32_e32 v47, 0x80000000, v33
	v_xor_b32_e32 v55, 0x80000000, v35
	v_cmp_gt_f64_e32 vcc, 0, v[34:35]
	v_cmp_gt_f64_e64 s[0:1], 0, v[32:33]
	v_mov_b32_e32 v52, v32
	v_mov_b32_e32 v54, v34
	v_cndmask_b32_e64 v53, v33, v47, s[0:1]
	v_cndmask_b32_e32 v55, v35, v55, vcc
	s_waitcnt lgkmcnt(0)
	v_xor_b32_e32 v47, 0x80000000, v49
	v_xor_b32_e32 v57, 0x80000000, v51
	v_cmp_gt_f64_e32 vcc, 0, v[50:51]
	v_cmp_gt_f64_e64 s[0:1], 0, v[48:49]
	v_add_f64 v[52:53], v[52:53], v[54:55]
	v_mov_b32_e32 v54, v48
	v_mov_b32_e32 v56, v50
	v_cndmask_b32_e64 v55, v49, v47, s[0:1]
	v_cndmask_b32_e32 v57, v51, v57, vcc
	v_add_f64 v[54:55], v[54:55], v[56:57]
	v_mov_b32_e32 v58, s16
	s_add_i32 s16, s16, 1
	v_cmp_lt_f64_e32 vcc, v[52:53], v[54:55]
	v_add_u32_e32 v42, 16, v42
	s_cmp_eq_u32 s20, s16
	v_cndmask_b32_e32 v33, v33, v49, vcc
	v_cndmask_b32_e32 v32, v32, v48, vcc
	;; [unrolled: 1-line block ×5, first 2 shown]
	s_cbranch_scc0 .LBB14_5
.LBB14_6:
	s_waitcnt lgkmcnt(0)
	v_cmp_neq_f64_e32 vcc, 0, v[32:33]
	v_cmp_neq_f64_e64 s[0:1], 0, v[34:35]
	s_or_b64 s[16:17], vcc, s[0:1]
	v_mov_b32_e32 v47, 1
	v_mov_b32_e32 v48, 1
	s_and_saveexec_b64 s[0:1], s[16:17]
	s_cbranch_execz .LBB14_12
; %bb.7:
	v_cmp_ngt_f64_e64 s[16:17], |v[32:33]|, |v[34:35]|
	s_and_saveexec_b64 s[18:19], s[16:17]
	s_xor_b64 s[16:17], exec, s[18:19]
	s_cbranch_execz .LBB14_9
; %bb.8:
	v_div_scale_f64 v[48:49], s[18:19], v[34:35], v[34:35], v[32:33]
	v_rcp_f64_e32 v[50:51], v[48:49]
	v_div_scale_f64 v[52:53], vcc, v[32:33], v[34:35], v[32:33]
	v_fma_f64 v[54:55], -v[48:49], v[50:51], 1.0
	v_fmac_f64_e32 v[50:51], v[50:51], v[54:55]
	v_fma_f64 v[54:55], -v[48:49], v[50:51], 1.0
	v_fmac_f64_e32 v[50:51], v[50:51], v[54:55]
	v_mul_f64 v[54:55], v[52:53], v[50:51]
	v_fma_f64 v[48:49], -v[48:49], v[54:55], v[52:53]
	v_div_fmas_f64 v[48:49], v[48:49], v[50:51], v[54:55]
	v_div_fixup_f64 v[48:49], v[48:49], v[34:35], v[32:33]
	v_fmac_f64_e32 v[34:35], v[32:33], v[48:49]
	v_div_scale_f64 v[32:33], s[18:19], v[34:35], v[34:35], 1.0
	v_rcp_f64_e32 v[50:51], v[32:33]
	s_nop 0
	v_fma_f64 v[52:53], -v[32:33], v[50:51], 1.0
	v_fmac_f64_e32 v[50:51], v[50:51], v[52:53]
	v_fma_f64 v[52:53], -v[32:33], v[50:51], 1.0
	v_fmac_f64_e32 v[50:51], v[50:51], v[52:53]
	v_div_scale_f64 v[52:53], vcc, 1.0, v[34:35], 1.0
	v_mul_f64 v[54:55], v[52:53], v[50:51]
	v_fma_f64 v[32:33], -v[32:33], v[54:55], v[52:53]
	s_nop 1
	v_div_fmas_f64 v[32:33], v[32:33], v[50:51], v[54:55]
	v_div_fixup_f64 v[34:35], v[32:33], v[34:35], 1.0
	v_mul_f64 v[32:33], v[48:49], v[34:35]
	v_xor_b32_e32 v35, 0x80000000, v35
.LBB14_9:
	s_andn2_saveexec_b64 s[16:17], s[16:17]
	s_cbranch_execz .LBB14_11
; %bb.10:
	v_div_scale_f64 v[48:49], s[18:19], v[32:33], v[32:33], v[34:35]
	v_rcp_f64_e32 v[50:51], v[48:49]
	v_div_scale_f64 v[52:53], vcc, v[34:35], v[32:33], v[34:35]
	v_fma_f64 v[54:55], -v[48:49], v[50:51], 1.0
	v_fmac_f64_e32 v[50:51], v[50:51], v[54:55]
	v_fma_f64 v[54:55], -v[48:49], v[50:51], 1.0
	v_fmac_f64_e32 v[50:51], v[50:51], v[54:55]
	v_mul_f64 v[54:55], v[52:53], v[50:51]
	v_fma_f64 v[48:49], -v[48:49], v[54:55], v[52:53]
	v_div_fmas_f64 v[48:49], v[48:49], v[50:51], v[54:55]
	v_div_fixup_f64 v[48:49], v[48:49], v[32:33], v[34:35]
	v_fmac_f64_e32 v[32:33], v[34:35], v[48:49]
	v_div_scale_f64 v[34:35], s[18:19], v[32:33], v[32:33], 1.0
	v_rcp_f64_e32 v[50:51], v[34:35]
	s_nop 0
	v_fma_f64 v[52:53], -v[34:35], v[50:51], 1.0
	v_fmac_f64_e32 v[50:51], v[50:51], v[52:53]
	v_fma_f64 v[52:53], -v[34:35], v[50:51], 1.0
	v_fmac_f64_e32 v[50:51], v[50:51], v[52:53]
	v_div_scale_f64 v[52:53], vcc, 1.0, v[32:33], 1.0
	v_mul_f64 v[54:55], v[52:53], v[50:51]
	v_fma_f64 v[34:35], -v[34:35], v[54:55], v[52:53]
	s_nop 1
	v_div_fmas_f64 v[34:35], v[34:35], v[50:51], v[54:55]
	v_div_fixup_f64 v[32:33], v[34:35], v[32:33], 1.0
	v_mul_f64 v[34:35], v[48:49], -v[32:33]
.LBB14_11:
	s_or_b64 exec, exec, s[16:17]
	v_mov_b32_e32 v48, 0
	v_mov_b32_e32 v47, 2
.LBB14_12:
	s_or_b64 exec, exec, s[0:1]
	v_cmp_ne_u32_e32 vcc, v46, v43
	s_and_saveexec_b64 s[0:1], vcc
	s_xor_b64 s[0:1], exec, s[0:1]
	s_cbranch_execz .LBB14_18
; %bb.13:
	v_cmp_eq_u32_e32 vcc, 0, v46
	s_and_saveexec_b64 s[16:17], vcc
	s_cbranch_execz .LBB14_17
; %bb.14:
	v_cmp_ne_u32_e32 vcc, 0, v43
	s_xor_b64 s[18:19], s[14:15], -1
	s_and_b64 s[22:23], s[18:19], vcc
	s_and_saveexec_b64 s[18:19], s[22:23]
	s_cbranch_execz .LBB14_16
; %bb.15:
	v_ashrrev_i32_e32 v51, 31, v43
	v_mov_b32_e32 v50, v43
	v_lshl_add_u64 v[50:51], v[50:51], 2, v[40:41]
	global_load_dword v42, v[50:51], off
	global_load_dword v46, v[40:41], off
	s_waitcnt vmcnt(1)
	global_store_dword v[40:41], v42, off
	s_waitcnt vmcnt(1)
	global_store_dword v[50:51], v46, off
.LBB14_16:
	s_or_b64 exec, exec, s[18:19]
	v_mov_b32_e32 v46, v43
.LBB14_17:
	s_or_b64 exec, exec, s[16:17]
.LBB14_18:
	s_or_saveexec_b64 s[0:1], s[0:1]
	v_mov_b32_e32 v43, v46
	s_xor_b64 exec, exec, s[0:1]
	s_cbranch_execz .LBB14_20
; %bb.19:
	v_mov_b32_e32 v43, 0
	s_waitcnt vmcnt(6)
	ds_write2_b64 v44, v[16:17], v[18:19] offset0:2 offset1:3
	s_waitcnt vmcnt(5)
	ds_write2_b64 v44, v[24:25], v[26:27] offset0:4 offset1:5
	;; [unrolled: 2-line block ×7, first 2 shown]
.LBB14_20:
	s_or_b64 exec, exec, s[0:1]
	v_cmp_lt_i32_e32 vcc, 0, v43
	s_waitcnt lgkmcnt(0)
	s_barrier
	s_and_saveexec_b64 s[0:1], vcc
	s_cbranch_execz .LBB14_22
; %bb.21:
	ds_read2_b64 v[50:53], v44 offset0:2 offset1:3
	v_mul_f64 v[54:55], v[32:33], v[22:23]
	v_fmac_f64_e32 v[54:55], v[34:35], v[20:21]
	v_mul_f64 v[22:23], v[34:35], v[22:23]
	v_fma_f64 v[20:21], v[32:33], v[20:21], -v[22:23]
	ds_read2_b64 v[32:35], v44 offset0:4 offset1:5
	s_waitcnt lgkmcnt(1)
	v_mul_f64 v[22:23], v[52:53], v[54:55]
	v_fma_f64 v[22:23], v[50:51], v[20:21], -v[22:23]
	v_mul_f64 v[50:51], v[50:51], v[54:55]
	v_fmac_f64_e32 v[50:51], v[52:53], v[20:21]
	s_waitcnt vmcnt(6)
	v_add_f64 v[18:19], v[18:19], -v[50:51]
	ds_read2_b64 v[50:53], v44 offset0:6 offset1:7
	v_add_f64 v[16:17], v[16:17], -v[22:23]
	s_waitcnt lgkmcnt(1)
	v_mul_f64 v[22:23], v[34:35], v[54:55]
	v_fma_f64 v[22:23], v[32:33], v[20:21], -v[22:23]
	v_mul_f64 v[32:33], v[32:33], v[54:55]
	v_fmac_f64_e32 v[32:33], v[34:35], v[20:21]
	s_waitcnt vmcnt(5)
	v_add_f64 v[24:25], v[24:25], -v[22:23]
	v_add_f64 v[26:27], v[26:27], -v[32:33]
	ds_read2_b64 v[32:35], v44 offset0:8 offset1:9
	s_waitcnt lgkmcnt(1)
	v_mul_f64 v[22:23], v[52:53], v[54:55]
	v_fma_f64 v[22:23], v[50:51], v[20:21], -v[22:23]
	v_mul_f64 v[50:51], v[50:51], v[54:55]
	v_fmac_f64_e32 v[50:51], v[52:53], v[20:21]
	s_waitcnt vmcnt(4)
	v_add_f64 v[10:11], v[10:11], -v[50:51]
	ds_read2_b64 v[50:53], v44 offset0:10 offset1:11
	v_add_f64 v[8:9], v[8:9], -v[22:23]
	s_waitcnt lgkmcnt(1)
	v_mul_f64 v[22:23], v[34:35], v[54:55]
	v_fma_f64 v[22:23], v[32:33], v[20:21], -v[22:23]
	v_mul_f64 v[32:33], v[32:33], v[54:55]
	v_fmac_f64_e32 v[32:33], v[34:35], v[20:21]
	s_waitcnt vmcnt(3)
	v_add_f64 v[12:13], v[12:13], -v[22:23]
	v_add_f64 v[14:15], v[14:15], -v[32:33]
	ds_read2_b64 v[32:35], v44 offset0:12 offset1:13
	s_waitcnt lgkmcnt(1)
	v_mul_f64 v[22:23], v[52:53], v[54:55]
	v_fma_f64 v[22:23], v[50:51], v[20:21], -v[22:23]
	v_mul_f64 v[50:51], v[50:51], v[54:55]
	v_fmac_f64_e32 v[50:51], v[52:53], v[20:21]
	s_waitcnt vmcnt(2)
	v_add_f64 v[2:3], v[2:3], -v[50:51]
	ds_read2_b64 v[50:53], v44 offset0:14 offset1:15
	v_add_f64 v[0:1], v[0:1], -v[22:23]
	s_waitcnt lgkmcnt(1)
	v_mul_f64 v[22:23], v[34:35], v[54:55]
	v_fma_f64 v[22:23], v[32:33], v[20:21], -v[22:23]
	v_mul_f64 v[32:33], v[32:33], v[54:55]
	v_fmac_f64_e32 v[32:33], v[34:35], v[20:21]
	s_waitcnt vmcnt(1)
	v_add_f64 v[4:5], v[4:5], -v[22:23]
	v_add_f64 v[6:7], v[6:7], -v[32:33]
	s_waitcnt lgkmcnt(0)
	v_mul_f64 v[22:23], v[52:53], v[54:55]
	v_mul_f64 v[32:33], v[50:51], v[54:55]
	v_fma_f64 v[22:23], v[50:51], v[20:21], -v[22:23]
	v_fmac_f64_e32 v[32:33], v[52:53], v[20:21]
	s_waitcnt vmcnt(0)
	v_add_f64 v[28:29], v[28:29], -v[22:23]
	v_add_f64 v[30:31], v[30:31], -v[32:33]
	v_mov_b64_e32 v[22:23], v[54:55]
.LBB14_22:
	s_or_b64 exec, exec, s[0:1]
	v_lshl_add_u32 v32, v43, 4, v44
	s_barrier
	s_waitcnt vmcnt(6)
	ds_write2_b64 v32, v[16:17], v[18:19] offset1:1
	s_waitcnt lgkmcnt(0)
	s_barrier
	ds_read2_b64 v[32:35], v44 offset0:2 offset1:3
	s_cmp_lt_i32 s20, 3
	v_mov_b32_e32 v42, 1
	s_cbranch_scc1 .LBB14_25
; %bb.23:
	v_add3_u32 v49, v45, 0, 32
	s_mov_b32 s16, 2
	v_mov_b32_e32 v42, 1
.LBB14_24:                              ; =>This Inner Loop Header: Depth=1
	ds_read2_b64 v[50:53], v49 offset1:1
	s_waitcnt lgkmcnt(1)
	v_xor_b32_e32 v55, 0x80000000, v33
	v_xor_b32_e32 v57, 0x80000000, v35
	v_cmp_gt_f64_e32 vcc, 0, v[34:35]
	v_cmp_gt_f64_e64 s[0:1], 0, v[32:33]
	v_mov_b32_e32 v54, v32
	v_mov_b32_e32 v56, v34
	v_cndmask_b32_e64 v55, v33, v55, s[0:1]
	v_cndmask_b32_e32 v57, v35, v57, vcc
	v_add_f64 v[54:55], v[54:55], v[56:57]
	s_waitcnt lgkmcnt(0)
	v_xor_b32_e32 v57, 0x80000000, v51
	v_xor_b32_e32 v59, 0x80000000, v53
	v_cmp_gt_f64_e32 vcc, 0, v[52:53]
	v_cmp_gt_f64_e64 s[0:1], 0, v[50:51]
	v_mov_b32_e32 v56, v50
	v_mov_b32_e32 v58, v52
	v_cndmask_b32_e64 v57, v51, v57, s[0:1]
	v_cndmask_b32_e32 v59, v53, v59, vcc
	v_add_f64 v[56:57], v[56:57], v[58:59]
	v_mov_b32_e32 v60, s16
	s_add_i32 s16, s16, 1
	v_cmp_lt_f64_e32 vcc, v[54:55], v[56:57]
	v_add_u32_e32 v49, 16, v49
	s_cmp_lg_u32 s20, s16
	v_cndmask_b32_e32 v33, v33, v51, vcc
	v_cndmask_b32_e32 v32, v32, v50, vcc
	;; [unrolled: 1-line block ×5, first 2 shown]
	s_cbranch_scc1 .LBB14_24
.LBB14_25:
	s_waitcnt lgkmcnt(0)
	v_cmp_neq_f64_e32 vcc, 0, v[32:33]
	v_cmp_neq_f64_e64 s[0:1], 0, v[34:35]
	s_or_b64 s[16:17], vcc, s[0:1]
	s_and_saveexec_b64 s[0:1], s[16:17]
	s_cbranch_execz .LBB14_31
; %bb.26:
	v_cmp_ngt_f64_e64 s[16:17], |v[32:33]|, |v[34:35]|
	s_and_saveexec_b64 s[18:19], s[16:17]
	s_xor_b64 s[16:17], exec, s[18:19]
	s_cbranch_execz .LBB14_28
; %bb.27:
	v_div_scale_f64 v[50:51], s[18:19], v[34:35], v[34:35], v[32:33]
	v_rcp_f64_e32 v[52:53], v[50:51]
	v_div_scale_f64 v[54:55], vcc, v[32:33], v[34:35], v[32:33]
	v_fma_f64 v[56:57], -v[50:51], v[52:53], 1.0
	v_fmac_f64_e32 v[52:53], v[52:53], v[56:57]
	v_fma_f64 v[56:57], -v[50:51], v[52:53], 1.0
	v_fmac_f64_e32 v[52:53], v[52:53], v[56:57]
	v_mul_f64 v[56:57], v[54:55], v[52:53]
	v_fma_f64 v[50:51], -v[50:51], v[56:57], v[54:55]
	v_div_fmas_f64 v[50:51], v[50:51], v[52:53], v[56:57]
	v_div_fixup_f64 v[50:51], v[50:51], v[34:35], v[32:33]
	v_fmac_f64_e32 v[34:35], v[32:33], v[50:51]
	v_div_scale_f64 v[32:33], s[18:19], v[34:35], v[34:35], 1.0
	v_rcp_f64_e32 v[52:53], v[32:33]
	s_nop 0
	v_fma_f64 v[54:55], -v[32:33], v[52:53], 1.0
	v_fmac_f64_e32 v[52:53], v[52:53], v[54:55]
	v_fma_f64 v[54:55], -v[32:33], v[52:53], 1.0
	v_fmac_f64_e32 v[52:53], v[52:53], v[54:55]
	v_div_scale_f64 v[54:55], vcc, 1.0, v[34:35], 1.0
	v_mul_f64 v[56:57], v[54:55], v[52:53]
	v_fma_f64 v[32:33], -v[32:33], v[56:57], v[54:55]
	s_nop 1
	v_div_fmas_f64 v[32:33], v[32:33], v[52:53], v[56:57]
	v_div_fixup_f64 v[34:35], v[32:33], v[34:35], 1.0
	v_mul_f64 v[32:33], v[50:51], v[34:35]
	v_xor_b32_e32 v35, 0x80000000, v35
.LBB14_28:
	s_andn2_saveexec_b64 s[16:17], s[16:17]
	s_cbranch_execz .LBB14_30
; %bb.29:
	v_div_scale_f64 v[50:51], s[18:19], v[32:33], v[32:33], v[34:35]
	v_rcp_f64_e32 v[52:53], v[50:51]
	v_div_scale_f64 v[54:55], vcc, v[34:35], v[32:33], v[34:35]
	v_fma_f64 v[56:57], -v[50:51], v[52:53], 1.0
	v_fmac_f64_e32 v[52:53], v[52:53], v[56:57]
	v_fma_f64 v[56:57], -v[50:51], v[52:53], 1.0
	v_fmac_f64_e32 v[52:53], v[52:53], v[56:57]
	v_mul_f64 v[56:57], v[54:55], v[52:53]
	v_fma_f64 v[50:51], -v[50:51], v[56:57], v[54:55]
	v_div_fmas_f64 v[50:51], v[50:51], v[52:53], v[56:57]
	v_div_fixup_f64 v[50:51], v[50:51], v[32:33], v[34:35]
	v_fmac_f64_e32 v[32:33], v[34:35], v[50:51]
	v_div_scale_f64 v[34:35], s[18:19], v[32:33], v[32:33], 1.0
	v_rcp_f64_e32 v[52:53], v[34:35]
	s_nop 0
	v_fma_f64 v[54:55], -v[34:35], v[52:53], 1.0
	v_fmac_f64_e32 v[52:53], v[52:53], v[54:55]
	v_fma_f64 v[54:55], -v[34:35], v[52:53], 1.0
	v_fmac_f64_e32 v[52:53], v[52:53], v[54:55]
	v_div_scale_f64 v[54:55], vcc, 1.0, v[32:33], 1.0
	v_mul_f64 v[56:57], v[54:55], v[52:53]
	v_fma_f64 v[34:35], -v[34:35], v[56:57], v[54:55]
	s_nop 1
	v_div_fmas_f64 v[34:35], v[34:35], v[52:53], v[56:57]
	v_div_fixup_f64 v[32:33], v[34:35], v[32:33], 1.0
	v_mul_f64 v[34:35], v[50:51], -v[32:33]
.LBB14_30:
	s_or_b64 exec, exec, s[16:17]
	v_mov_b32_e32 v47, v48
.LBB14_31:
	s_or_b64 exec, exec, s[0:1]
	v_cmp_ne_u32_e32 vcc, v43, v42
	s_and_saveexec_b64 s[0:1], vcc
	s_xor_b64 s[0:1], exec, s[0:1]
	s_cbranch_execz .LBB14_37
; %bb.32:
	v_cmp_eq_u32_e32 vcc, 1, v43
	s_and_saveexec_b64 s[16:17], vcc
	s_cbranch_execz .LBB14_36
; %bb.33:
	v_cmp_ne_u32_e32 vcc, 1, v42
	s_xor_b64 s[18:19], s[14:15], -1
	s_and_b64 s[22:23], s[18:19], vcc
	s_and_saveexec_b64 s[18:19], s[22:23]
	s_cbranch_execz .LBB14_35
; %bb.34:
	v_ashrrev_i32_e32 v43, 31, v42
	v_lshl_add_u64 v[48:49], v[42:43], 2, v[40:41]
	global_load_dword v43, v[48:49], off
	global_load_dword v46, v[40:41], off offset:4
	s_waitcnt vmcnt(1)
	global_store_dword v[40:41], v43, off offset:4
	s_waitcnt vmcnt(1)
	global_store_dword v[48:49], v46, off
.LBB14_35:
	s_or_b64 exec, exec, s[18:19]
	v_mov_b32_e32 v43, v42
	v_mov_b32_e32 v46, v42
.LBB14_36:
	s_or_b64 exec, exec, s[16:17]
.LBB14_37:
	s_andn2_saveexec_b64 s[0:1], s[0:1]
	s_cbranch_execz .LBB14_39
; %bb.38:
	v_mov_b32_e32 v43, 1
	s_waitcnt vmcnt(5)
	ds_write2_b64 v44, v[24:25], v[26:27] offset0:4 offset1:5
	s_waitcnt vmcnt(4)
	ds_write2_b64 v44, v[8:9], v[10:11] offset0:6 offset1:7
	;; [unrolled: 2-line block ×6, first 2 shown]
.LBB14_39:
	s_or_b64 exec, exec, s[0:1]
	v_cmp_lt_i32_e32 vcc, 1, v43
	s_waitcnt lgkmcnt(0)
	s_barrier
	s_and_saveexec_b64 s[0:1], vcc
	s_cbranch_execz .LBB14_41
; %bb.40:
	ds_read2_b64 v[48:51], v44 offset0:4 offset1:5
	v_mul_f64 v[52:53], v[32:33], v[18:19]
	v_mul_f64 v[18:19], v[34:35], v[18:19]
	v_fmac_f64_e32 v[52:53], v[34:35], v[16:17]
	v_fma_f64 v[16:17], v[32:33], v[16:17], -v[18:19]
	ds_read2_b64 v[32:35], v44 offset0:6 offset1:7
	s_waitcnt lgkmcnt(1)
	v_mul_f64 v[18:19], v[50:51], v[52:53]
	v_fma_f64 v[18:19], v[48:49], v[16:17], -v[18:19]
	v_mul_f64 v[48:49], v[48:49], v[52:53]
	v_fmac_f64_e32 v[48:49], v[50:51], v[16:17]
	s_waitcnt vmcnt(5)
	v_add_f64 v[24:25], v[24:25], -v[18:19]
	s_waitcnt lgkmcnt(0)
	v_mul_f64 v[18:19], v[34:35], v[52:53]
	v_add_f64 v[26:27], v[26:27], -v[48:49]
	v_fma_f64 v[18:19], v[32:33], v[16:17], -v[18:19]
	v_mul_f64 v[32:33], v[32:33], v[52:53]
	ds_read2_b64 v[48:51], v44 offset0:8 offset1:9
	v_fmac_f64_e32 v[32:33], v[34:35], v[16:17]
	s_waitcnt vmcnt(4)
	v_add_f64 v[10:11], v[10:11], -v[32:33]
	ds_read2_b64 v[32:35], v44 offset0:10 offset1:11
	v_add_f64 v[8:9], v[8:9], -v[18:19]
	s_waitcnt lgkmcnt(1)
	v_mul_f64 v[18:19], v[50:51], v[52:53]
	v_fma_f64 v[18:19], v[48:49], v[16:17], -v[18:19]
	v_mul_f64 v[48:49], v[48:49], v[52:53]
	v_fmac_f64_e32 v[48:49], v[50:51], v[16:17]
	s_waitcnt vmcnt(3)
	v_add_f64 v[12:13], v[12:13], -v[18:19]
	s_waitcnt lgkmcnt(0)
	v_mul_f64 v[18:19], v[34:35], v[52:53]
	v_add_f64 v[14:15], v[14:15], -v[48:49]
	v_fma_f64 v[18:19], v[32:33], v[16:17], -v[18:19]
	v_mul_f64 v[32:33], v[32:33], v[52:53]
	ds_read2_b64 v[48:51], v44 offset0:12 offset1:13
	v_fmac_f64_e32 v[32:33], v[34:35], v[16:17]
	s_waitcnt vmcnt(2)
	v_add_f64 v[2:3], v[2:3], -v[32:33]
	ds_read2_b64 v[32:35], v44 offset0:14 offset1:15
	v_add_f64 v[0:1], v[0:1], -v[18:19]
	s_waitcnt lgkmcnt(1)
	v_mul_f64 v[18:19], v[50:51], v[52:53]
	v_fma_f64 v[18:19], v[48:49], v[16:17], -v[18:19]
	s_waitcnt vmcnt(1)
	v_add_f64 v[4:5], v[4:5], -v[18:19]
	s_waitcnt lgkmcnt(0)
	v_mul_f64 v[18:19], v[34:35], v[52:53]
	v_mul_f64 v[48:49], v[48:49], v[52:53]
	v_fma_f64 v[18:19], v[32:33], v[16:17], -v[18:19]
	v_mul_f64 v[32:33], v[32:33], v[52:53]
	v_fmac_f64_e32 v[48:49], v[50:51], v[16:17]
	v_fmac_f64_e32 v[32:33], v[34:35], v[16:17]
	v_add_f64 v[6:7], v[6:7], -v[48:49]
	s_waitcnt vmcnt(0)
	v_add_f64 v[28:29], v[28:29], -v[18:19]
	v_add_f64 v[30:31], v[30:31], -v[32:33]
	v_mov_b64_e32 v[18:19], v[52:53]
.LBB14_41:
	s_or_b64 exec, exec, s[0:1]
	v_lshl_add_u32 v32, v43, 4, v44
	s_barrier
	s_waitcnt vmcnt(5)
	ds_write2_b64 v32, v[24:25], v[26:27] offset1:1
	s_waitcnt lgkmcnt(0)
	s_barrier
	ds_read2_b64 v[32:35], v44 offset0:4 offset1:5
	s_cmp_lt_i32 s20, 4
	v_mov_b32_e32 v42, 2
	s_cbranch_scc1 .LBB14_44
; %bb.42:
	v_add3_u32 v48, v45, 0, 48
	s_mov_b32 s16, 3
	v_mov_b32_e32 v42, 2
.LBB14_43:                              ; =>This Inner Loop Header: Depth=1
	ds_read2_b64 v[50:53], v48 offset1:1
	s_waitcnt lgkmcnt(1)
	v_xor_b32_e32 v49, 0x80000000, v33
	v_xor_b32_e32 v57, 0x80000000, v35
	v_cmp_gt_f64_e32 vcc, 0, v[34:35]
	v_cmp_gt_f64_e64 s[0:1], 0, v[32:33]
	v_mov_b32_e32 v54, v32
	v_mov_b32_e32 v56, v34
	v_cndmask_b32_e64 v55, v33, v49, s[0:1]
	v_cndmask_b32_e32 v57, v35, v57, vcc
	s_waitcnt lgkmcnt(0)
	v_xor_b32_e32 v49, 0x80000000, v51
	v_xor_b32_e32 v59, 0x80000000, v53
	v_cmp_gt_f64_e32 vcc, 0, v[52:53]
	v_cmp_gt_f64_e64 s[0:1], 0, v[50:51]
	v_add_f64 v[54:55], v[54:55], v[56:57]
	v_mov_b32_e32 v56, v50
	v_mov_b32_e32 v58, v52
	v_cndmask_b32_e64 v57, v51, v49, s[0:1]
	v_cndmask_b32_e32 v59, v53, v59, vcc
	v_add_f64 v[56:57], v[56:57], v[58:59]
	v_mov_b32_e32 v60, s16
	s_add_i32 s16, s16, 1
	v_cmp_lt_f64_e32 vcc, v[54:55], v[56:57]
	v_add_u32_e32 v48, 16, v48
	s_cmp_lg_u32 s20, s16
	v_cndmask_b32_e32 v33, v33, v51, vcc
	v_cndmask_b32_e32 v32, v32, v50, vcc
	;; [unrolled: 1-line block ×5, first 2 shown]
	s_cbranch_scc1 .LBB14_43
.LBB14_44:
	s_waitcnt lgkmcnt(0)
	v_cmp_eq_f64_e32 vcc, 0, v[32:33]
	v_cmp_eq_f64_e64 s[0:1], 0, v[34:35]
	s_and_b64 s[0:1], vcc, s[0:1]
	s_and_saveexec_b64 s[16:17], s[0:1]
	s_xor_b64 s[0:1], exec, s[16:17]
; %bb.45:
	v_cmp_ne_u32_e32 vcc, 0, v47
	s_nop 1
	v_cndmask_b32_e32 v47, 3, v47, vcc
; %bb.46:
	s_andn2_saveexec_b64 s[0:1], s[0:1]
	s_cbranch_execz .LBB14_52
; %bb.47:
	v_cmp_ngt_f64_e64 s[16:17], |v[32:33]|, |v[34:35]|
	s_and_saveexec_b64 s[18:19], s[16:17]
	s_xor_b64 s[16:17], exec, s[18:19]
	s_cbranch_execz .LBB14_49
; %bb.48:
	v_div_scale_f64 v[48:49], s[18:19], v[34:35], v[34:35], v[32:33]
	v_rcp_f64_e32 v[50:51], v[48:49]
	v_div_scale_f64 v[52:53], vcc, v[32:33], v[34:35], v[32:33]
	v_fma_f64 v[54:55], -v[48:49], v[50:51], 1.0
	v_fmac_f64_e32 v[50:51], v[50:51], v[54:55]
	v_fma_f64 v[54:55], -v[48:49], v[50:51], 1.0
	v_fmac_f64_e32 v[50:51], v[50:51], v[54:55]
	v_mul_f64 v[54:55], v[52:53], v[50:51]
	v_fma_f64 v[48:49], -v[48:49], v[54:55], v[52:53]
	v_div_fmas_f64 v[48:49], v[48:49], v[50:51], v[54:55]
	v_div_fixup_f64 v[48:49], v[48:49], v[34:35], v[32:33]
	v_fmac_f64_e32 v[34:35], v[32:33], v[48:49]
	v_div_scale_f64 v[32:33], s[18:19], v[34:35], v[34:35], 1.0
	v_rcp_f64_e32 v[50:51], v[32:33]
	s_nop 0
	v_fma_f64 v[52:53], -v[32:33], v[50:51], 1.0
	v_fmac_f64_e32 v[50:51], v[50:51], v[52:53]
	v_fma_f64 v[52:53], -v[32:33], v[50:51], 1.0
	v_fmac_f64_e32 v[50:51], v[50:51], v[52:53]
	v_div_scale_f64 v[52:53], vcc, 1.0, v[34:35], 1.0
	v_mul_f64 v[54:55], v[52:53], v[50:51]
	v_fma_f64 v[32:33], -v[32:33], v[54:55], v[52:53]
	s_nop 1
	v_div_fmas_f64 v[32:33], v[32:33], v[50:51], v[54:55]
	v_div_fixup_f64 v[34:35], v[32:33], v[34:35], 1.0
	v_mul_f64 v[32:33], v[48:49], v[34:35]
	v_xor_b32_e32 v35, 0x80000000, v35
.LBB14_49:
	s_andn2_saveexec_b64 s[16:17], s[16:17]
	s_cbranch_execz .LBB14_51
; %bb.50:
	v_div_scale_f64 v[48:49], s[18:19], v[32:33], v[32:33], v[34:35]
	v_rcp_f64_e32 v[50:51], v[48:49]
	v_div_scale_f64 v[52:53], vcc, v[34:35], v[32:33], v[34:35]
	v_fma_f64 v[54:55], -v[48:49], v[50:51], 1.0
	v_fmac_f64_e32 v[50:51], v[50:51], v[54:55]
	v_fma_f64 v[54:55], -v[48:49], v[50:51], 1.0
	v_fmac_f64_e32 v[50:51], v[50:51], v[54:55]
	v_mul_f64 v[54:55], v[52:53], v[50:51]
	v_fma_f64 v[48:49], -v[48:49], v[54:55], v[52:53]
	v_div_fmas_f64 v[48:49], v[48:49], v[50:51], v[54:55]
	v_div_fixup_f64 v[48:49], v[48:49], v[32:33], v[34:35]
	v_fmac_f64_e32 v[32:33], v[34:35], v[48:49]
	v_div_scale_f64 v[34:35], s[18:19], v[32:33], v[32:33], 1.0
	v_rcp_f64_e32 v[50:51], v[34:35]
	s_nop 0
	v_fma_f64 v[52:53], -v[34:35], v[50:51], 1.0
	v_fmac_f64_e32 v[50:51], v[50:51], v[52:53]
	v_fma_f64 v[52:53], -v[34:35], v[50:51], 1.0
	v_fmac_f64_e32 v[50:51], v[50:51], v[52:53]
	v_div_scale_f64 v[52:53], vcc, 1.0, v[32:33], 1.0
	v_mul_f64 v[54:55], v[52:53], v[50:51]
	v_fma_f64 v[34:35], -v[34:35], v[54:55], v[52:53]
	s_nop 1
	v_div_fmas_f64 v[34:35], v[34:35], v[50:51], v[54:55]
	v_div_fixup_f64 v[32:33], v[34:35], v[32:33], 1.0
	v_mul_f64 v[34:35], v[48:49], -v[32:33]
.LBB14_51:
	s_or_b64 exec, exec, s[16:17]
.LBB14_52:
	s_or_b64 exec, exec, s[0:1]
	v_cmp_ne_u32_e32 vcc, v43, v42
	s_and_saveexec_b64 s[0:1], vcc
	s_xor_b64 s[0:1], exec, s[0:1]
	s_cbranch_execz .LBB14_58
; %bb.53:
	v_cmp_eq_u32_e32 vcc, 2, v43
	s_and_saveexec_b64 s[16:17], vcc
	s_cbranch_execz .LBB14_57
; %bb.54:
	v_cmp_ne_u32_e32 vcc, 2, v42
	s_xor_b64 s[18:19], s[14:15], -1
	s_and_b64 s[22:23], s[18:19], vcc
	s_and_saveexec_b64 s[18:19], s[22:23]
	s_cbranch_execz .LBB14_56
; %bb.55:
	v_ashrrev_i32_e32 v43, 31, v42
	v_lshl_add_u64 v[48:49], v[42:43], 2, v[40:41]
	global_load_dword v43, v[48:49], off
	global_load_dword v46, v[40:41], off offset:8
	s_waitcnt vmcnt(1)
	global_store_dword v[40:41], v43, off offset:8
	s_waitcnt vmcnt(1)
	global_store_dword v[48:49], v46, off
.LBB14_56:
	s_or_b64 exec, exec, s[18:19]
	v_mov_b32_e32 v43, v42
	v_mov_b32_e32 v46, v42
.LBB14_57:
	s_or_b64 exec, exec, s[16:17]
.LBB14_58:
	s_andn2_saveexec_b64 s[0:1], s[0:1]
	s_cbranch_execz .LBB14_60
; %bb.59:
	v_mov_b32_e32 v43, 2
	s_waitcnt vmcnt(4)
	ds_write2_b64 v44, v[8:9], v[10:11] offset0:6 offset1:7
	s_waitcnt vmcnt(3)
	ds_write2_b64 v44, v[12:13], v[14:15] offset0:8 offset1:9
	;; [unrolled: 2-line block ×5, first 2 shown]
.LBB14_60:
	s_or_b64 exec, exec, s[0:1]
	v_cmp_lt_i32_e32 vcc, 2, v43
	s_waitcnt lgkmcnt(0)
	s_barrier
	s_and_saveexec_b64 s[0:1], vcc
	s_cbranch_execz .LBB14_62
; %bb.61:
	ds_read2_b64 v[48:51], v44 offset0:6 offset1:7
	v_mul_f64 v[52:53], v[32:33], v[26:27]
	v_fmac_f64_e32 v[52:53], v[34:35], v[24:25]
	v_mul_f64 v[26:27], v[34:35], v[26:27]
	v_fma_f64 v[24:25], v[32:33], v[24:25], -v[26:27]
	ds_read2_b64 v[32:35], v44 offset0:8 offset1:9
	s_waitcnt lgkmcnt(1)
	v_mul_f64 v[26:27], v[50:51], v[52:53]
	v_fma_f64 v[26:27], v[48:49], v[24:25], -v[26:27]
	v_mul_f64 v[48:49], v[48:49], v[52:53]
	v_fmac_f64_e32 v[48:49], v[50:51], v[24:25]
	s_waitcnt vmcnt(4)
	v_add_f64 v[10:11], v[10:11], -v[48:49]
	ds_read2_b64 v[48:51], v44 offset0:10 offset1:11
	v_add_f64 v[8:9], v[8:9], -v[26:27]
	s_waitcnt lgkmcnt(1)
	v_mul_f64 v[26:27], v[34:35], v[52:53]
	v_fma_f64 v[26:27], v[32:33], v[24:25], -v[26:27]
	v_mul_f64 v[32:33], v[32:33], v[52:53]
	v_fmac_f64_e32 v[32:33], v[34:35], v[24:25]
	s_waitcnt vmcnt(3)
	v_add_f64 v[12:13], v[12:13], -v[26:27]
	v_add_f64 v[14:15], v[14:15], -v[32:33]
	ds_read2_b64 v[32:35], v44 offset0:12 offset1:13
	s_waitcnt lgkmcnt(1)
	v_mul_f64 v[26:27], v[50:51], v[52:53]
	v_fma_f64 v[26:27], v[48:49], v[24:25], -v[26:27]
	v_mul_f64 v[48:49], v[48:49], v[52:53]
	v_fmac_f64_e32 v[48:49], v[50:51], v[24:25]
	s_waitcnt vmcnt(2)
	v_add_f64 v[2:3], v[2:3], -v[48:49]
	ds_read2_b64 v[48:51], v44 offset0:14 offset1:15
	v_add_f64 v[0:1], v[0:1], -v[26:27]
	s_waitcnt lgkmcnt(1)
	v_mul_f64 v[26:27], v[34:35], v[52:53]
	v_fma_f64 v[26:27], v[32:33], v[24:25], -v[26:27]
	v_mul_f64 v[32:33], v[32:33], v[52:53]
	v_fmac_f64_e32 v[32:33], v[34:35], v[24:25]
	s_waitcnt vmcnt(1)
	v_add_f64 v[4:5], v[4:5], -v[26:27]
	v_add_f64 v[6:7], v[6:7], -v[32:33]
	s_waitcnt lgkmcnt(0)
	v_mul_f64 v[26:27], v[50:51], v[52:53]
	v_mul_f64 v[32:33], v[48:49], v[52:53]
	v_fma_f64 v[26:27], v[48:49], v[24:25], -v[26:27]
	v_fmac_f64_e32 v[32:33], v[50:51], v[24:25]
	s_waitcnt vmcnt(0)
	v_add_f64 v[28:29], v[28:29], -v[26:27]
	v_add_f64 v[30:31], v[30:31], -v[32:33]
	v_mov_b64_e32 v[26:27], v[52:53]
.LBB14_62:
	s_or_b64 exec, exec, s[0:1]
	v_lshl_add_u32 v32, v43, 4, v44
	s_barrier
	s_waitcnt vmcnt(4)
	ds_write2_b64 v32, v[8:9], v[10:11] offset1:1
	s_waitcnt lgkmcnt(0)
	s_barrier
	ds_read2_b64 v[32:35], v44 offset0:6 offset1:7
	s_mov_b32 s16, 4
	s_cmp_lt_i32 s20, 5
	v_mov_b32_e32 v42, 3
	s_cbranch_scc1 .LBB14_65
; %bb.63:
	v_add3_u32 v45, v45, 0, 64
	v_mov_b32_e32 v42, 3
.LBB14_64:                              ; =>This Inner Loop Header: Depth=1
	ds_read2_b64 v[48:51], v45 offset1:1
	s_waitcnt lgkmcnt(1)
	v_xor_b32_e32 v53, 0x80000000, v33
	v_xor_b32_e32 v55, 0x80000000, v35
	v_cmp_gt_f64_e32 vcc, 0, v[34:35]
	v_cmp_gt_f64_e64 s[0:1], 0, v[32:33]
	v_mov_b32_e32 v52, v32
	v_mov_b32_e32 v54, v34
	v_cndmask_b32_e64 v53, v33, v53, s[0:1]
	v_cndmask_b32_e32 v55, v35, v55, vcc
	v_add_f64 v[52:53], v[52:53], v[54:55]
	s_waitcnt lgkmcnt(0)
	v_xor_b32_e32 v55, 0x80000000, v49
	v_xor_b32_e32 v57, 0x80000000, v51
	v_cmp_gt_f64_e32 vcc, 0, v[50:51]
	v_cmp_gt_f64_e64 s[0:1], 0, v[48:49]
	v_mov_b32_e32 v54, v48
	v_mov_b32_e32 v56, v50
	v_cndmask_b32_e64 v55, v49, v55, s[0:1]
	v_cndmask_b32_e32 v57, v51, v57, vcc
	v_add_f64 v[54:55], v[54:55], v[56:57]
	v_mov_b32_e32 v58, s16
	s_add_i32 s16, s16, 1
	v_cmp_lt_f64_e32 vcc, v[52:53], v[54:55]
	v_add_u32_e32 v45, 16, v45
	s_cmp_lg_u32 s20, s16
	v_cndmask_b32_e32 v33, v33, v49, vcc
	v_cndmask_b32_e32 v32, v32, v48, vcc
	;; [unrolled: 1-line block ×5, first 2 shown]
	s_cbranch_scc1 .LBB14_64
.LBB14_65:
	s_waitcnt lgkmcnt(0)
	v_cmp_eq_f64_e32 vcc, 0, v[32:33]
	v_cmp_eq_f64_e64 s[0:1], 0, v[34:35]
	s_and_b64 s[0:1], vcc, s[0:1]
	s_and_saveexec_b64 s[16:17], s[0:1]
	s_xor_b64 s[0:1], exec, s[16:17]
; %bb.66:
	v_cmp_ne_u32_e32 vcc, 0, v47
	s_nop 1
	v_cndmask_b32_e32 v47, 4, v47, vcc
; %bb.67:
	s_andn2_saveexec_b64 s[0:1], s[0:1]
	s_cbranch_execz .LBB14_73
; %bb.68:
	v_cmp_ngt_f64_e64 s[16:17], |v[32:33]|, |v[34:35]|
	s_and_saveexec_b64 s[18:19], s[16:17]
	s_xor_b64 s[16:17], exec, s[18:19]
	s_cbranch_execz .LBB14_70
; %bb.69:
	v_div_scale_f64 v[48:49], s[18:19], v[34:35], v[34:35], v[32:33]
	v_rcp_f64_e32 v[50:51], v[48:49]
	v_div_scale_f64 v[52:53], vcc, v[32:33], v[34:35], v[32:33]
	v_fma_f64 v[54:55], -v[48:49], v[50:51], 1.0
	v_fmac_f64_e32 v[50:51], v[50:51], v[54:55]
	v_fma_f64 v[54:55], -v[48:49], v[50:51], 1.0
	v_fmac_f64_e32 v[50:51], v[50:51], v[54:55]
	v_mul_f64 v[54:55], v[52:53], v[50:51]
	v_fma_f64 v[48:49], -v[48:49], v[54:55], v[52:53]
	v_div_fmas_f64 v[48:49], v[48:49], v[50:51], v[54:55]
	v_div_fixup_f64 v[48:49], v[48:49], v[34:35], v[32:33]
	v_fmac_f64_e32 v[34:35], v[32:33], v[48:49]
	v_div_scale_f64 v[32:33], s[18:19], v[34:35], v[34:35], 1.0
	v_rcp_f64_e32 v[50:51], v[32:33]
	s_nop 0
	v_fma_f64 v[52:53], -v[32:33], v[50:51], 1.0
	v_fmac_f64_e32 v[50:51], v[50:51], v[52:53]
	v_fma_f64 v[52:53], -v[32:33], v[50:51], 1.0
	v_fmac_f64_e32 v[50:51], v[50:51], v[52:53]
	v_div_scale_f64 v[52:53], vcc, 1.0, v[34:35], 1.0
	v_mul_f64 v[54:55], v[52:53], v[50:51]
	v_fma_f64 v[32:33], -v[32:33], v[54:55], v[52:53]
	s_nop 1
	v_div_fmas_f64 v[32:33], v[32:33], v[50:51], v[54:55]
	v_div_fixup_f64 v[34:35], v[32:33], v[34:35], 1.0
	v_mul_f64 v[32:33], v[48:49], v[34:35]
	v_xor_b32_e32 v35, 0x80000000, v35
.LBB14_70:
	s_andn2_saveexec_b64 s[16:17], s[16:17]
	s_cbranch_execz .LBB14_72
; %bb.71:
	v_div_scale_f64 v[48:49], s[18:19], v[32:33], v[32:33], v[34:35]
	v_rcp_f64_e32 v[50:51], v[48:49]
	v_div_scale_f64 v[52:53], vcc, v[34:35], v[32:33], v[34:35]
	v_fma_f64 v[54:55], -v[48:49], v[50:51], 1.0
	v_fmac_f64_e32 v[50:51], v[50:51], v[54:55]
	v_fma_f64 v[54:55], -v[48:49], v[50:51], 1.0
	v_fmac_f64_e32 v[50:51], v[50:51], v[54:55]
	v_mul_f64 v[54:55], v[52:53], v[50:51]
	v_fma_f64 v[48:49], -v[48:49], v[54:55], v[52:53]
	v_div_fmas_f64 v[48:49], v[48:49], v[50:51], v[54:55]
	v_div_fixup_f64 v[48:49], v[48:49], v[32:33], v[34:35]
	v_fmac_f64_e32 v[32:33], v[34:35], v[48:49]
	v_div_scale_f64 v[34:35], s[18:19], v[32:33], v[32:33], 1.0
	v_rcp_f64_e32 v[50:51], v[34:35]
	s_nop 0
	v_fma_f64 v[52:53], -v[34:35], v[50:51], 1.0
	v_fmac_f64_e32 v[50:51], v[50:51], v[52:53]
	v_fma_f64 v[52:53], -v[34:35], v[50:51], 1.0
	v_fmac_f64_e32 v[50:51], v[50:51], v[52:53]
	v_div_scale_f64 v[52:53], vcc, 1.0, v[32:33], 1.0
	v_mul_f64 v[54:55], v[52:53], v[50:51]
	v_fma_f64 v[34:35], -v[34:35], v[54:55], v[52:53]
	s_nop 1
	v_div_fmas_f64 v[34:35], v[34:35], v[50:51], v[54:55]
	v_div_fixup_f64 v[32:33], v[34:35], v[32:33], 1.0
	v_mul_f64 v[34:35], v[48:49], -v[32:33]
.LBB14_72:
	s_or_b64 exec, exec, s[16:17]
.LBB14_73:
	s_or_b64 exec, exec, s[0:1]
	v_cmp_ne_u32_e32 vcc, v43, v42
	s_and_saveexec_b64 s[0:1], vcc
	s_xor_b64 s[0:1], exec, s[0:1]
	s_cbranch_execz .LBB14_79
; %bb.74:
	v_cmp_eq_u32_e32 vcc, 3, v43
	s_and_saveexec_b64 s[16:17], vcc
	s_cbranch_execz .LBB14_78
; %bb.75:
	v_cmp_ne_u32_e32 vcc, 3, v42
	s_xor_b64 s[18:19], s[14:15], -1
	s_and_b64 s[22:23], s[18:19], vcc
	s_and_saveexec_b64 s[18:19], s[22:23]
	s_cbranch_execz .LBB14_77
; %bb.76:
	v_ashrrev_i32_e32 v43, 31, v42
	v_lshl_add_u64 v[48:49], v[42:43], 2, v[40:41]
	global_load_dword v43, v[48:49], off
	global_load_dword v45, v[40:41], off offset:12
	s_waitcnt vmcnt(1)
	global_store_dword v[40:41], v43, off offset:12
	s_waitcnt vmcnt(1)
	global_store_dword v[48:49], v45, off
.LBB14_77:
	s_or_b64 exec, exec, s[18:19]
	v_mov_b32_e32 v43, v42
	v_mov_b32_e32 v46, v42
.LBB14_78:
	s_or_b64 exec, exec, s[16:17]
.LBB14_79:
	s_andn2_saveexec_b64 s[0:1], s[0:1]
	s_cbranch_execz .LBB14_81
; %bb.80:
	v_mov_b32_e32 v43, 3
	s_waitcnt vmcnt(3)
	ds_write2_b64 v44, v[12:13], v[14:15] offset0:8 offset1:9
	s_waitcnt vmcnt(2)
	ds_write2_b64 v44, v[0:1], v[2:3] offset0:10 offset1:11
	;; [unrolled: 2-line block ×4, first 2 shown]
.LBB14_81:
	s_or_b64 exec, exec, s[0:1]
	v_cmp_lt_i32_e32 vcc, 3, v43
	s_waitcnt lgkmcnt(0)
	s_barrier
	s_and_saveexec_b64 s[0:1], vcc
	s_cbranch_execz .LBB14_83
; %bb.82:
	ds_read2_b64 v[48:51], v44 offset0:8 offset1:9
	v_mul_f64 v[52:53], v[32:33], v[10:11]
	v_mul_f64 v[10:11], v[34:35], v[10:11]
	v_fmac_f64_e32 v[52:53], v[34:35], v[8:9]
	v_fma_f64 v[8:9], v[32:33], v[8:9], -v[10:11]
	ds_read2_b64 v[32:35], v44 offset0:10 offset1:11
	s_waitcnt lgkmcnt(1)
	v_mul_f64 v[10:11], v[50:51], v[52:53]
	v_fma_f64 v[10:11], v[48:49], v[8:9], -v[10:11]
	v_mul_f64 v[48:49], v[48:49], v[52:53]
	v_fmac_f64_e32 v[48:49], v[50:51], v[8:9]
	s_waitcnt vmcnt(3)
	v_add_f64 v[12:13], v[12:13], -v[10:11]
	s_waitcnt lgkmcnt(0)
	v_mul_f64 v[10:11], v[34:35], v[52:53]
	v_add_f64 v[14:15], v[14:15], -v[48:49]
	v_fma_f64 v[10:11], v[32:33], v[8:9], -v[10:11]
	v_mul_f64 v[32:33], v[32:33], v[52:53]
	ds_read2_b64 v[48:51], v44 offset0:12 offset1:13
	v_fmac_f64_e32 v[32:33], v[34:35], v[8:9]
	s_waitcnt vmcnt(2)
	v_add_f64 v[2:3], v[2:3], -v[32:33]
	ds_read2_b64 v[32:35], v44 offset0:14 offset1:15
	v_add_f64 v[0:1], v[0:1], -v[10:11]
	s_waitcnt lgkmcnt(1)
	v_mul_f64 v[10:11], v[50:51], v[52:53]
	v_fma_f64 v[10:11], v[48:49], v[8:9], -v[10:11]
	s_waitcnt vmcnt(1)
	v_add_f64 v[4:5], v[4:5], -v[10:11]
	s_waitcnt lgkmcnt(0)
	v_mul_f64 v[10:11], v[34:35], v[52:53]
	v_mul_f64 v[48:49], v[48:49], v[52:53]
	v_fma_f64 v[10:11], v[32:33], v[8:9], -v[10:11]
	v_mul_f64 v[32:33], v[32:33], v[52:53]
	v_fmac_f64_e32 v[48:49], v[50:51], v[8:9]
	v_fmac_f64_e32 v[32:33], v[34:35], v[8:9]
	v_add_f64 v[6:7], v[6:7], -v[48:49]
	s_waitcnt vmcnt(0)
	v_add_f64 v[28:29], v[28:29], -v[10:11]
	v_add_f64 v[30:31], v[30:31], -v[32:33]
	v_mov_b64_e32 v[10:11], v[52:53]
.LBB14_83:
	s_or_b64 exec, exec, s[0:1]
	v_lshl_add_u32 v32, v43, 4, v44
	s_barrier
	s_waitcnt vmcnt(3)
	ds_write2_b64 v32, v[12:13], v[14:15] offset1:1
	s_waitcnt lgkmcnt(0)
	s_barrier
	ds_read2_b64 v[32:35], v44 offset0:8 offset1:9
	s_cmp_lt_i32 s20, 6
	v_mov_b32_e32 v42, 4
	s_cbranch_scc1 .LBB14_86
; %bb.84:
	v_mov_b32_e32 v42, 4
	v_add_u32_e32 v45, 0x50, v44
	s_mov_b32 s16, 5
.LBB14_85:                              ; =>This Inner Loop Header: Depth=1
	ds_read2_b64 v[48:51], v45 offset1:1
	s_waitcnt lgkmcnt(1)
	v_xor_b32_e32 v53, 0x80000000, v33
	v_xor_b32_e32 v55, 0x80000000, v35
	v_cmp_gt_f64_e32 vcc, 0, v[34:35]
	v_cmp_gt_f64_e64 s[0:1], 0, v[32:33]
	v_mov_b32_e32 v52, v32
	v_mov_b32_e32 v54, v34
	v_cndmask_b32_e64 v53, v33, v53, s[0:1]
	v_cndmask_b32_e32 v55, v35, v55, vcc
	v_add_f64 v[52:53], v[52:53], v[54:55]
	s_waitcnt lgkmcnt(0)
	v_xor_b32_e32 v55, 0x80000000, v49
	v_xor_b32_e32 v57, 0x80000000, v51
	v_cmp_gt_f64_e32 vcc, 0, v[50:51]
	v_cmp_gt_f64_e64 s[0:1], 0, v[48:49]
	v_mov_b32_e32 v54, v48
	v_mov_b32_e32 v56, v50
	v_cndmask_b32_e64 v55, v49, v55, s[0:1]
	v_cndmask_b32_e32 v57, v51, v57, vcc
	v_add_f64 v[54:55], v[54:55], v[56:57]
	v_mov_b32_e32 v58, s16
	s_add_i32 s16, s16, 1
	v_cmp_lt_f64_e32 vcc, v[52:53], v[54:55]
	v_add_u32_e32 v45, 16, v45
	s_cmp_lg_u32 s20, s16
	v_cndmask_b32_e32 v33, v33, v49, vcc
	v_cndmask_b32_e32 v32, v32, v48, vcc
	;; [unrolled: 1-line block ×5, first 2 shown]
	s_cbranch_scc1 .LBB14_85
.LBB14_86:
	s_waitcnt lgkmcnt(0)
	v_cmp_eq_f64_e32 vcc, 0, v[32:33]
	v_cmp_eq_f64_e64 s[0:1], 0, v[34:35]
	s_and_b64 s[0:1], vcc, s[0:1]
	s_and_saveexec_b64 s[16:17], s[0:1]
	s_xor_b64 s[0:1], exec, s[16:17]
; %bb.87:
	v_cmp_ne_u32_e32 vcc, 0, v47
	s_nop 1
	v_cndmask_b32_e32 v47, 5, v47, vcc
; %bb.88:
	s_andn2_saveexec_b64 s[0:1], s[0:1]
	s_cbranch_execz .LBB14_94
; %bb.89:
	v_cmp_ngt_f64_e64 s[16:17], |v[32:33]|, |v[34:35]|
	s_and_saveexec_b64 s[18:19], s[16:17]
	s_xor_b64 s[16:17], exec, s[18:19]
	s_cbranch_execz .LBB14_91
; %bb.90:
	v_div_scale_f64 v[48:49], s[18:19], v[34:35], v[34:35], v[32:33]
	v_rcp_f64_e32 v[50:51], v[48:49]
	v_div_scale_f64 v[52:53], vcc, v[32:33], v[34:35], v[32:33]
	v_fma_f64 v[54:55], -v[48:49], v[50:51], 1.0
	v_fmac_f64_e32 v[50:51], v[50:51], v[54:55]
	v_fma_f64 v[54:55], -v[48:49], v[50:51], 1.0
	v_fmac_f64_e32 v[50:51], v[50:51], v[54:55]
	v_mul_f64 v[54:55], v[52:53], v[50:51]
	v_fma_f64 v[48:49], -v[48:49], v[54:55], v[52:53]
	v_div_fmas_f64 v[48:49], v[48:49], v[50:51], v[54:55]
	v_div_fixup_f64 v[48:49], v[48:49], v[34:35], v[32:33]
	v_fmac_f64_e32 v[34:35], v[32:33], v[48:49]
	v_div_scale_f64 v[32:33], s[18:19], v[34:35], v[34:35], 1.0
	v_rcp_f64_e32 v[50:51], v[32:33]
	s_nop 0
	v_fma_f64 v[52:53], -v[32:33], v[50:51], 1.0
	v_fmac_f64_e32 v[50:51], v[50:51], v[52:53]
	v_fma_f64 v[52:53], -v[32:33], v[50:51], 1.0
	v_fmac_f64_e32 v[50:51], v[50:51], v[52:53]
	v_div_scale_f64 v[52:53], vcc, 1.0, v[34:35], 1.0
	v_mul_f64 v[54:55], v[52:53], v[50:51]
	v_fma_f64 v[32:33], -v[32:33], v[54:55], v[52:53]
	s_nop 1
	v_div_fmas_f64 v[32:33], v[32:33], v[50:51], v[54:55]
	v_div_fixup_f64 v[34:35], v[32:33], v[34:35], 1.0
	v_mul_f64 v[32:33], v[48:49], v[34:35]
	v_xor_b32_e32 v35, 0x80000000, v35
.LBB14_91:
	s_andn2_saveexec_b64 s[16:17], s[16:17]
	s_cbranch_execz .LBB14_93
; %bb.92:
	v_div_scale_f64 v[48:49], s[18:19], v[32:33], v[32:33], v[34:35]
	v_rcp_f64_e32 v[50:51], v[48:49]
	v_div_scale_f64 v[52:53], vcc, v[34:35], v[32:33], v[34:35]
	v_fma_f64 v[54:55], -v[48:49], v[50:51], 1.0
	v_fmac_f64_e32 v[50:51], v[50:51], v[54:55]
	v_fma_f64 v[54:55], -v[48:49], v[50:51], 1.0
	v_fmac_f64_e32 v[50:51], v[50:51], v[54:55]
	v_mul_f64 v[54:55], v[52:53], v[50:51]
	v_fma_f64 v[48:49], -v[48:49], v[54:55], v[52:53]
	v_div_fmas_f64 v[48:49], v[48:49], v[50:51], v[54:55]
	v_div_fixup_f64 v[48:49], v[48:49], v[32:33], v[34:35]
	v_fmac_f64_e32 v[32:33], v[34:35], v[48:49]
	v_div_scale_f64 v[34:35], s[18:19], v[32:33], v[32:33], 1.0
	v_rcp_f64_e32 v[50:51], v[34:35]
	s_nop 0
	v_fma_f64 v[52:53], -v[34:35], v[50:51], 1.0
	v_fmac_f64_e32 v[50:51], v[50:51], v[52:53]
	v_fma_f64 v[52:53], -v[34:35], v[50:51], 1.0
	v_fmac_f64_e32 v[50:51], v[50:51], v[52:53]
	v_div_scale_f64 v[52:53], vcc, 1.0, v[32:33], 1.0
	v_mul_f64 v[54:55], v[52:53], v[50:51]
	v_fma_f64 v[34:35], -v[34:35], v[54:55], v[52:53]
	s_nop 1
	v_div_fmas_f64 v[34:35], v[34:35], v[50:51], v[54:55]
	v_div_fixup_f64 v[32:33], v[34:35], v[32:33], 1.0
	v_mul_f64 v[34:35], v[48:49], -v[32:33]
.LBB14_93:
	s_or_b64 exec, exec, s[16:17]
.LBB14_94:
	s_or_b64 exec, exec, s[0:1]
	v_cmp_ne_u32_e32 vcc, v43, v42
	s_and_saveexec_b64 s[0:1], vcc
	s_xor_b64 s[0:1], exec, s[0:1]
	s_cbranch_execz .LBB14_100
; %bb.95:
	v_cmp_eq_u32_e32 vcc, 4, v43
	s_and_saveexec_b64 s[16:17], vcc
	s_cbranch_execz .LBB14_99
; %bb.96:
	v_cmp_ne_u32_e32 vcc, 4, v42
	s_xor_b64 s[18:19], s[14:15], -1
	s_and_b64 s[22:23], s[18:19], vcc
	s_and_saveexec_b64 s[18:19], s[22:23]
	s_cbranch_execz .LBB14_98
; %bb.97:
	v_ashrrev_i32_e32 v43, 31, v42
	v_lshl_add_u64 v[48:49], v[42:43], 2, v[40:41]
	global_load_dword v43, v[48:49], off
	global_load_dword v45, v[40:41], off offset:16
	s_waitcnt vmcnt(1)
	global_store_dword v[40:41], v43, off offset:16
	s_waitcnt vmcnt(1)
	global_store_dword v[48:49], v45, off
.LBB14_98:
	s_or_b64 exec, exec, s[18:19]
	v_mov_b32_e32 v43, v42
	v_mov_b32_e32 v46, v42
.LBB14_99:
	s_or_b64 exec, exec, s[16:17]
.LBB14_100:
	s_andn2_saveexec_b64 s[0:1], s[0:1]
	s_cbranch_execz .LBB14_102
; %bb.101:
	v_mov_b32_e32 v43, 4
	s_waitcnt vmcnt(2)
	ds_write2_b64 v44, v[0:1], v[2:3] offset0:10 offset1:11
	s_waitcnt vmcnt(1)
	ds_write2_b64 v44, v[4:5], v[6:7] offset0:12 offset1:13
	;; [unrolled: 2-line block ×3, first 2 shown]
.LBB14_102:
	s_or_b64 exec, exec, s[0:1]
	v_cmp_lt_i32_e32 vcc, 4, v43
	s_waitcnt lgkmcnt(0)
	s_barrier
	s_and_saveexec_b64 s[0:1], vcc
	s_cbranch_execz .LBB14_104
; %bb.103:
	ds_read2_b64 v[48:51], v44 offset0:10 offset1:11
	v_mul_f64 v[52:53], v[32:33], v[14:15]
	v_fmac_f64_e32 v[52:53], v[34:35], v[12:13]
	v_mul_f64 v[14:15], v[34:35], v[14:15]
	v_fma_f64 v[12:13], v[32:33], v[12:13], -v[14:15]
	ds_read2_b64 v[32:35], v44 offset0:12 offset1:13
	s_waitcnt lgkmcnt(1)
	v_mul_f64 v[14:15], v[50:51], v[52:53]
	v_fma_f64 v[14:15], v[48:49], v[12:13], -v[14:15]
	v_mul_f64 v[48:49], v[48:49], v[52:53]
	v_fmac_f64_e32 v[48:49], v[50:51], v[12:13]
	s_waitcnt vmcnt(2)
	v_add_f64 v[2:3], v[2:3], -v[48:49]
	ds_read2_b64 v[48:51], v44 offset0:14 offset1:15
	v_add_f64 v[0:1], v[0:1], -v[14:15]
	s_waitcnt lgkmcnt(1)
	v_mul_f64 v[14:15], v[34:35], v[52:53]
	v_fma_f64 v[14:15], v[32:33], v[12:13], -v[14:15]
	v_mul_f64 v[32:33], v[32:33], v[52:53]
	v_fmac_f64_e32 v[32:33], v[34:35], v[12:13]
	s_waitcnt vmcnt(1)
	v_add_f64 v[4:5], v[4:5], -v[14:15]
	v_add_f64 v[6:7], v[6:7], -v[32:33]
	s_waitcnt lgkmcnt(0)
	v_mul_f64 v[14:15], v[50:51], v[52:53]
	v_mul_f64 v[32:33], v[48:49], v[52:53]
	v_fma_f64 v[14:15], v[48:49], v[12:13], -v[14:15]
	v_fmac_f64_e32 v[32:33], v[50:51], v[12:13]
	s_waitcnt vmcnt(0)
	v_add_f64 v[28:29], v[28:29], -v[14:15]
	v_add_f64 v[30:31], v[30:31], -v[32:33]
	v_mov_b64_e32 v[14:15], v[52:53]
.LBB14_104:
	s_or_b64 exec, exec, s[0:1]
	v_lshl_add_u32 v32, v43, 4, v44
	s_barrier
	s_waitcnt vmcnt(2)
	ds_write2_b64 v32, v[0:1], v[2:3] offset1:1
	s_waitcnt lgkmcnt(0)
	s_barrier
	ds_read2_b64 v[32:35], v44 offset0:10 offset1:11
	s_cmp_lt_i32 s20, 7
	v_mov_b32_e32 v42, 5
	s_cbranch_scc1 .LBB14_107
; %bb.105:
	v_add_u32_e32 v45, 0x60, v44
	s_mov_b32 s16, 6
	v_mov_b32_e32 v42, 5
.LBB14_106:                             ; =>This Inner Loop Header: Depth=1
	ds_read2_b64 v[48:51], v45 offset1:1
	s_waitcnt lgkmcnt(1)
	v_xor_b32_e32 v53, 0x80000000, v33
	v_xor_b32_e32 v55, 0x80000000, v35
	v_cmp_gt_f64_e32 vcc, 0, v[34:35]
	v_cmp_gt_f64_e64 s[0:1], 0, v[32:33]
	v_mov_b32_e32 v52, v32
	v_mov_b32_e32 v54, v34
	v_cndmask_b32_e64 v53, v33, v53, s[0:1]
	v_cndmask_b32_e32 v55, v35, v55, vcc
	v_add_f64 v[52:53], v[52:53], v[54:55]
	s_waitcnt lgkmcnt(0)
	v_xor_b32_e32 v55, 0x80000000, v49
	v_xor_b32_e32 v57, 0x80000000, v51
	v_cmp_gt_f64_e32 vcc, 0, v[50:51]
	v_cmp_gt_f64_e64 s[0:1], 0, v[48:49]
	v_mov_b32_e32 v54, v48
	v_mov_b32_e32 v56, v50
	v_cndmask_b32_e64 v55, v49, v55, s[0:1]
	v_cndmask_b32_e32 v57, v51, v57, vcc
	v_add_f64 v[54:55], v[54:55], v[56:57]
	v_mov_b32_e32 v58, s16
	s_add_i32 s16, s16, 1
	v_cmp_lt_f64_e32 vcc, v[52:53], v[54:55]
	v_add_u32_e32 v45, 16, v45
	s_cmp_lg_u32 s20, s16
	v_cndmask_b32_e32 v33, v33, v49, vcc
	v_cndmask_b32_e32 v32, v32, v48, vcc
	;; [unrolled: 1-line block ×5, first 2 shown]
	s_cbranch_scc1 .LBB14_106
.LBB14_107:
	s_waitcnt lgkmcnt(0)
	v_cmp_eq_f64_e32 vcc, 0, v[32:33]
	v_cmp_eq_f64_e64 s[0:1], 0, v[34:35]
	s_and_b64 s[0:1], vcc, s[0:1]
	s_and_saveexec_b64 s[16:17], s[0:1]
	s_xor_b64 s[0:1], exec, s[16:17]
; %bb.108:
	v_cmp_ne_u32_e32 vcc, 0, v47
	s_nop 1
	v_cndmask_b32_e32 v47, 6, v47, vcc
; %bb.109:
	s_andn2_saveexec_b64 s[0:1], s[0:1]
	s_cbranch_execz .LBB14_115
; %bb.110:
	v_cmp_ngt_f64_e64 s[16:17], |v[32:33]|, |v[34:35]|
	s_and_saveexec_b64 s[18:19], s[16:17]
	s_xor_b64 s[16:17], exec, s[18:19]
	s_cbranch_execz .LBB14_112
; %bb.111:
	v_div_scale_f64 v[48:49], s[18:19], v[34:35], v[34:35], v[32:33]
	v_rcp_f64_e32 v[50:51], v[48:49]
	v_div_scale_f64 v[52:53], vcc, v[32:33], v[34:35], v[32:33]
	v_fma_f64 v[54:55], -v[48:49], v[50:51], 1.0
	v_fmac_f64_e32 v[50:51], v[50:51], v[54:55]
	v_fma_f64 v[54:55], -v[48:49], v[50:51], 1.0
	v_fmac_f64_e32 v[50:51], v[50:51], v[54:55]
	v_mul_f64 v[54:55], v[52:53], v[50:51]
	v_fma_f64 v[48:49], -v[48:49], v[54:55], v[52:53]
	v_div_fmas_f64 v[48:49], v[48:49], v[50:51], v[54:55]
	v_div_fixup_f64 v[48:49], v[48:49], v[34:35], v[32:33]
	v_fmac_f64_e32 v[34:35], v[32:33], v[48:49]
	v_div_scale_f64 v[32:33], s[18:19], v[34:35], v[34:35], 1.0
	v_rcp_f64_e32 v[50:51], v[32:33]
	s_nop 0
	v_fma_f64 v[52:53], -v[32:33], v[50:51], 1.0
	v_fmac_f64_e32 v[50:51], v[50:51], v[52:53]
	v_fma_f64 v[52:53], -v[32:33], v[50:51], 1.0
	v_fmac_f64_e32 v[50:51], v[50:51], v[52:53]
	v_div_scale_f64 v[52:53], vcc, 1.0, v[34:35], 1.0
	v_mul_f64 v[54:55], v[52:53], v[50:51]
	v_fma_f64 v[32:33], -v[32:33], v[54:55], v[52:53]
	s_nop 1
	v_div_fmas_f64 v[32:33], v[32:33], v[50:51], v[54:55]
	v_div_fixup_f64 v[34:35], v[32:33], v[34:35], 1.0
	v_mul_f64 v[32:33], v[48:49], v[34:35]
	v_xor_b32_e32 v35, 0x80000000, v35
.LBB14_112:
	s_andn2_saveexec_b64 s[16:17], s[16:17]
	s_cbranch_execz .LBB14_114
; %bb.113:
	v_div_scale_f64 v[48:49], s[18:19], v[32:33], v[32:33], v[34:35]
	v_rcp_f64_e32 v[50:51], v[48:49]
	v_div_scale_f64 v[52:53], vcc, v[34:35], v[32:33], v[34:35]
	v_fma_f64 v[54:55], -v[48:49], v[50:51], 1.0
	v_fmac_f64_e32 v[50:51], v[50:51], v[54:55]
	v_fma_f64 v[54:55], -v[48:49], v[50:51], 1.0
	v_fmac_f64_e32 v[50:51], v[50:51], v[54:55]
	v_mul_f64 v[54:55], v[52:53], v[50:51]
	v_fma_f64 v[48:49], -v[48:49], v[54:55], v[52:53]
	v_div_fmas_f64 v[48:49], v[48:49], v[50:51], v[54:55]
	v_div_fixup_f64 v[48:49], v[48:49], v[32:33], v[34:35]
	v_fmac_f64_e32 v[32:33], v[34:35], v[48:49]
	v_div_scale_f64 v[34:35], s[18:19], v[32:33], v[32:33], 1.0
	v_rcp_f64_e32 v[50:51], v[34:35]
	s_nop 0
	v_fma_f64 v[52:53], -v[34:35], v[50:51], 1.0
	v_fmac_f64_e32 v[50:51], v[50:51], v[52:53]
	v_fma_f64 v[52:53], -v[34:35], v[50:51], 1.0
	v_fmac_f64_e32 v[50:51], v[50:51], v[52:53]
	v_div_scale_f64 v[52:53], vcc, 1.0, v[32:33], 1.0
	v_mul_f64 v[54:55], v[52:53], v[50:51]
	v_fma_f64 v[34:35], -v[34:35], v[54:55], v[52:53]
	s_nop 1
	v_div_fmas_f64 v[34:35], v[34:35], v[50:51], v[54:55]
	v_div_fixup_f64 v[32:33], v[34:35], v[32:33], 1.0
	v_mul_f64 v[34:35], v[48:49], -v[32:33]
.LBB14_114:
	s_or_b64 exec, exec, s[16:17]
.LBB14_115:
	s_or_b64 exec, exec, s[0:1]
	v_cmp_ne_u32_e32 vcc, v43, v42
	s_and_saveexec_b64 s[0:1], vcc
	s_xor_b64 s[0:1], exec, s[0:1]
	s_cbranch_execz .LBB14_121
; %bb.116:
	v_cmp_eq_u32_e32 vcc, 5, v43
	s_and_saveexec_b64 s[16:17], vcc
	s_cbranch_execz .LBB14_120
; %bb.117:
	v_cmp_ne_u32_e32 vcc, 5, v42
	s_xor_b64 s[18:19], s[14:15], -1
	s_and_b64 s[22:23], s[18:19], vcc
	s_and_saveexec_b64 s[18:19], s[22:23]
	s_cbranch_execz .LBB14_119
; %bb.118:
	v_ashrrev_i32_e32 v43, 31, v42
	v_lshl_add_u64 v[48:49], v[42:43], 2, v[40:41]
	global_load_dword v43, v[48:49], off
	global_load_dword v45, v[40:41], off offset:20
	s_waitcnt vmcnt(1)
	global_store_dword v[40:41], v43, off offset:20
	s_waitcnt vmcnt(1)
	global_store_dword v[48:49], v45, off
.LBB14_119:
	s_or_b64 exec, exec, s[18:19]
	v_mov_b32_e32 v43, v42
	v_mov_b32_e32 v46, v42
.LBB14_120:
	s_or_b64 exec, exec, s[16:17]
.LBB14_121:
	s_andn2_saveexec_b64 s[0:1], s[0:1]
	s_cbranch_execz .LBB14_123
; %bb.122:
	v_mov_b32_e32 v43, 5
	s_waitcnt vmcnt(1)
	ds_write2_b64 v44, v[4:5], v[6:7] offset0:12 offset1:13
	s_waitcnt vmcnt(0)
	ds_write2_b64 v44, v[28:29], v[30:31] offset0:14 offset1:15
.LBB14_123:
	s_or_b64 exec, exec, s[0:1]
	v_cmp_lt_i32_e32 vcc, 5, v43
	s_waitcnt lgkmcnt(0)
	s_barrier
	s_and_saveexec_b64 s[0:1], vcc
	s_cbranch_execz .LBB14_125
; %bb.124:
	ds_read2_b64 v[48:51], v44 offset0:12 offset1:13
	v_mul_f64 v[52:53], v[32:33], v[2:3]
	v_mul_f64 v[2:3], v[34:35], v[2:3]
	v_fmac_f64_e32 v[52:53], v[34:35], v[0:1]
	v_fma_f64 v[0:1], v[32:33], v[0:1], -v[2:3]
	ds_read2_b64 v[32:35], v44 offset0:14 offset1:15
	s_waitcnt lgkmcnt(1)
	v_mul_f64 v[2:3], v[50:51], v[52:53]
	v_fma_f64 v[2:3], v[48:49], v[0:1], -v[2:3]
	s_waitcnt vmcnt(1)
	v_add_f64 v[4:5], v[4:5], -v[2:3]
	v_mul_f64 v[48:49], v[48:49], v[52:53]
	s_waitcnt lgkmcnt(0)
	v_mul_f64 v[2:3], v[34:35], v[52:53]
	v_fma_f64 v[2:3], v[32:33], v[0:1], -v[2:3]
	v_mul_f64 v[32:33], v[32:33], v[52:53]
	v_fmac_f64_e32 v[48:49], v[50:51], v[0:1]
	v_fmac_f64_e32 v[32:33], v[34:35], v[0:1]
	v_add_f64 v[6:7], v[6:7], -v[48:49]
	s_waitcnt vmcnt(0)
	v_add_f64 v[28:29], v[28:29], -v[2:3]
	v_add_f64 v[30:31], v[30:31], -v[32:33]
	v_mov_b64_e32 v[2:3], v[52:53]
.LBB14_125:
	s_or_b64 exec, exec, s[0:1]
	v_lshl_add_u32 v32, v43, 4, v44
	s_barrier
	s_waitcnt vmcnt(1)
	ds_write2_b64 v32, v[4:5], v[6:7] offset1:1
	s_waitcnt lgkmcnt(0)
	s_barrier
	ds_read2_b64 v[32:35], v44 offset0:12 offset1:13
	s_cmp_lt_i32 s20, 8
	v_mov_b32_e32 v42, 6
	s_cbranch_scc1 .LBB14_128
; %bb.126:
	v_add_u32_e32 v45, 0x70, v44
	s_mov_b32 s16, 7
	v_mov_b32_e32 v42, 6
.LBB14_127:                             ; =>This Inner Loop Header: Depth=1
	ds_read2_b64 v[48:51], v45 offset1:1
	s_waitcnt lgkmcnt(1)
	v_xor_b32_e32 v53, 0x80000000, v33
	v_xor_b32_e32 v55, 0x80000000, v35
	v_cmp_gt_f64_e32 vcc, 0, v[34:35]
	v_cmp_gt_f64_e64 s[0:1], 0, v[32:33]
	v_mov_b32_e32 v52, v32
	v_mov_b32_e32 v54, v34
	v_cndmask_b32_e64 v53, v33, v53, s[0:1]
	v_cndmask_b32_e32 v55, v35, v55, vcc
	v_add_f64 v[52:53], v[52:53], v[54:55]
	s_waitcnt lgkmcnt(0)
	v_xor_b32_e32 v55, 0x80000000, v49
	v_xor_b32_e32 v57, 0x80000000, v51
	v_cmp_gt_f64_e32 vcc, 0, v[50:51]
	v_cmp_gt_f64_e64 s[0:1], 0, v[48:49]
	v_mov_b32_e32 v54, v48
	v_mov_b32_e32 v56, v50
	v_cndmask_b32_e64 v55, v49, v55, s[0:1]
	v_cndmask_b32_e32 v57, v51, v57, vcc
	v_add_f64 v[54:55], v[54:55], v[56:57]
	v_mov_b32_e32 v58, s16
	s_add_i32 s16, s16, 1
	v_cmp_lt_f64_e32 vcc, v[52:53], v[54:55]
	v_add_u32_e32 v45, 16, v45
	s_cmp_lg_u32 s20, s16
	v_cndmask_b32_e32 v33, v33, v49, vcc
	v_cndmask_b32_e32 v32, v32, v48, vcc
	;; [unrolled: 1-line block ×5, first 2 shown]
	s_cbranch_scc1 .LBB14_127
.LBB14_128:
	s_waitcnt lgkmcnt(0)
	v_cmp_eq_f64_e32 vcc, 0, v[32:33]
	v_cmp_eq_f64_e64 s[0:1], 0, v[34:35]
	s_and_b64 s[0:1], vcc, s[0:1]
	s_and_saveexec_b64 s[16:17], s[0:1]
	s_xor_b64 s[0:1], exec, s[16:17]
; %bb.129:
	v_cmp_ne_u32_e32 vcc, 0, v47
	s_nop 1
	v_cndmask_b32_e32 v47, 7, v47, vcc
; %bb.130:
	s_andn2_saveexec_b64 s[0:1], s[0:1]
	s_cbranch_execz .LBB14_136
; %bb.131:
	v_cmp_ngt_f64_e64 s[16:17], |v[32:33]|, |v[34:35]|
	s_and_saveexec_b64 s[18:19], s[16:17]
	s_xor_b64 s[16:17], exec, s[18:19]
	s_cbranch_execz .LBB14_133
; %bb.132:
	v_div_scale_f64 v[48:49], s[18:19], v[34:35], v[34:35], v[32:33]
	v_rcp_f64_e32 v[50:51], v[48:49]
	v_div_scale_f64 v[52:53], vcc, v[32:33], v[34:35], v[32:33]
	v_fma_f64 v[54:55], -v[48:49], v[50:51], 1.0
	v_fmac_f64_e32 v[50:51], v[50:51], v[54:55]
	v_fma_f64 v[54:55], -v[48:49], v[50:51], 1.0
	v_fmac_f64_e32 v[50:51], v[50:51], v[54:55]
	v_mul_f64 v[54:55], v[52:53], v[50:51]
	v_fma_f64 v[48:49], -v[48:49], v[54:55], v[52:53]
	v_div_fmas_f64 v[48:49], v[48:49], v[50:51], v[54:55]
	v_div_fixup_f64 v[48:49], v[48:49], v[34:35], v[32:33]
	v_fmac_f64_e32 v[34:35], v[32:33], v[48:49]
	v_div_scale_f64 v[32:33], s[18:19], v[34:35], v[34:35], 1.0
	v_rcp_f64_e32 v[50:51], v[32:33]
	s_nop 0
	v_fma_f64 v[52:53], -v[32:33], v[50:51], 1.0
	v_fmac_f64_e32 v[50:51], v[50:51], v[52:53]
	v_fma_f64 v[52:53], -v[32:33], v[50:51], 1.0
	v_fmac_f64_e32 v[50:51], v[50:51], v[52:53]
	v_div_scale_f64 v[52:53], vcc, 1.0, v[34:35], 1.0
	v_mul_f64 v[54:55], v[52:53], v[50:51]
	v_fma_f64 v[32:33], -v[32:33], v[54:55], v[52:53]
	s_nop 1
	v_div_fmas_f64 v[32:33], v[32:33], v[50:51], v[54:55]
	v_div_fixup_f64 v[34:35], v[32:33], v[34:35], 1.0
	v_mul_f64 v[32:33], v[48:49], v[34:35]
	v_xor_b32_e32 v35, 0x80000000, v35
.LBB14_133:
	s_andn2_saveexec_b64 s[16:17], s[16:17]
	s_cbranch_execz .LBB14_135
; %bb.134:
	v_div_scale_f64 v[48:49], s[18:19], v[32:33], v[32:33], v[34:35]
	v_rcp_f64_e32 v[50:51], v[48:49]
	v_div_scale_f64 v[52:53], vcc, v[34:35], v[32:33], v[34:35]
	v_fma_f64 v[54:55], -v[48:49], v[50:51], 1.0
	v_fmac_f64_e32 v[50:51], v[50:51], v[54:55]
	v_fma_f64 v[54:55], -v[48:49], v[50:51], 1.0
	v_fmac_f64_e32 v[50:51], v[50:51], v[54:55]
	v_mul_f64 v[54:55], v[52:53], v[50:51]
	v_fma_f64 v[48:49], -v[48:49], v[54:55], v[52:53]
	v_div_fmas_f64 v[48:49], v[48:49], v[50:51], v[54:55]
	v_div_fixup_f64 v[48:49], v[48:49], v[32:33], v[34:35]
	v_fmac_f64_e32 v[32:33], v[34:35], v[48:49]
	v_div_scale_f64 v[34:35], s[18:19], v[32:33], v[32:33], 1.0
	v_rcp_f64_e32 v[50:51], v[34:35]
	s_nop 0
	v_fma_f64 v[52:53], -v[34:35], v[50:51], 1.0
	v_fmac_f64_e32 v[50:51], v[50:51], v[52:53]
	v_fma_f64 v[52:53], -v[34:35], v[50:51], 1.0
	v_fmac_f64_e32 v[50:51], v[50:51], v[52:53]
	v_div_scale_f64 v[52:53], vcc, 1.0, v[32:33], 1.0
	v_mul_f64 v[54:55], v[52:53], v[50:51]
	v_fma_f64 v[34:35], -v[34:35], v[54:55], v[52:53]
	s_nop 1
	v_div_fmas_f64 v[34:35], v[34:35], v[50:51], v[54:55]
	v_div_fixup_f64 v[32:33], v[34:35], v[32:33], 1.0
	v_mul_f64 v[34:35], v[48:49], -v[32:33]
.LBB14_135:
	s_or_b64 exec, exec, s[16:17]
.LBB14_136:
	s_or_b64 exec, exec, s[0:1]
	v_cmp_ne_u32_e32 vcc, v43, v42
	s_and_saveexec_b64 s[0:1], vcc
	s_xor_b64 s[0:1], exec, s[0:1]
	s_cbranch_execz .LBB14_142
; %bb.137:
	v_cmp_eq_u32_e32 vcc, 6, v43
	s_and_saveexec_b64 s[16:17], vcc
	s_cbranch_execz .LBB14_141
; %bb.138:
	v_cmp_ne_u32_e32 vcc, 6, v42
	s_xor_b64 s[18:19], s[14:15], -1
	s_and_b64 s[22:23], s[18:19], vcc
	s_and_saveexec_b64 s[18:19], s[22:23]
	s_cbranch_execz .LBB14_140
; %bb.139:
	v_ashrrev_i32_e32 v43, 31, v42
	v_lshl_add_u64 v[48:49], v[42:43], 2, v[40:41]
	global_load_dword v43, v[48:49], off
	global_load_dword v45, v[40:41], off offset:24
	s_waitcnt vmcnt(1)
	global_store_dword v[40:41], v43, off offset:24
	s_waitcnt vmcnt(1)
	global_store_dword v[48:49], v45, off
.LBB14_140:
	s_or_b64 exec, exec, s[18:19]
	v_mov_b32_e32 v43, v42
	v_mov_b32_e32 v46, v42
.LBB14_141:
	s_or_b64 exec, exec, s[16:17]
.LBB14_142:
	s_andn2_saveexec_b64 s[0:1], s[0:1]
	s_cbranch_execz .LBB14_144
; %bb.143:
	v_mov_b32_e32 v43, 6
	s_waitcnt vmcnt(0)
	ds_write2_b64 v44, v[28:29], v[30:31] offset0:14 offset1:15
.LBB14_144:
	s_or_b64 exec, exec, s[0:1]
	v_cmp_lt_i32_e32 vcc, 6, v43
	s_waitcnt lgkmcnt(0)
	s_barrier
	s_and_saveexec_b64 s[0:1], vcc
	s_cbranch_execz .LBB14_146
; %bb.145:
	ds_read2_b64 v[48:51], v44 offset0:14 offset1:15
	v_mul_f64 v[52:53], v[32:33], v[6:7]
	v_mul_f64 v[6:7], v[34:35], v[6:7]
	v_fmac_f64_e32 v[52:53], v[34:35], v[4:5]
	v_fma_f64 v[4:5], v[32:33], v[4:5], -v[6:7]
	s_waitcnt lgkmcnt(0)
	v_mul_f64 v[6:7], v[50:51], v[52:53]
	v_mul_f64 v[32:33], v[48:49], v[52:53]
	v_fma_f64 v[6:7], v[48:49], v[4:5], -v[6:7]
	v_fmac_f64_e32 v[32:33], v[50:51], v[4:5]
	s_waitcnt vmcnt(0)
	v_add_f64 v[28:29], v[28:29], -v[6:7]
	v_add_f64 v[30:31], v[30:31], -v[32:33]
	v_mov_b64_e32 v[6:7], v[52:53]
.LBB14_146:
	s_or_b64 exec, exec, s[0:1]
	v_lshl_add_u32 v32, v43, 4, v44
	s_barrier
	s_waitcnt vmcnt(0)
	ds_write2_b64 v32, v[28:29], v[30:31] offset1:1
	s_waitcnt lgkmcnt(0)
	s_barrier
	ds_read2_b64 v[32:35], v44 offset0:14 offset1:15
	s_cmp_lt_i32 s20, 9
	v_mov_b32_e32 v42, 7
	s_cbranch_scc1 .LBB14_149
; %bb.147:
	v_add_u32_e32 v44, 0x80, v44
	s_mov_b32 s16, 8
	v_mov_b32_e32 v42, 7
.LBB14_148:                             ; =>This Inner Loop Header: Depth=1
	ds_read2_b64 v[48:51], v44 offset1:1
	s_waitcnt lgkmcnt(1)
	v_xor_b32_e32 v45, 0x80000000, v33
	v_xor_b32_e32 v55, 0x80000000, v35
	v_cmp_gt_f64_e32 vcc, 0, v[34:35]
	v_cmp_gt_f64_e64 s[0:1], 0, v[32:33]
	v_mov_b32_e32 v52, v32
	v_mov_b32_e32 v54, v34
	v_cndmask_b32_e64 v53, v33, v45, s[0:1]
	v_cndmask_b32_e32 v55, v35, v55, vcc
	s_waitcnt lgkmcnt(0)
	v_xor_b32_e32 v45, 0x80000000, v49
	v_xor_b32_e32 v57, 0x80000000, v51
	v_cmp_gt_f64_e32 vcc, 0, v[50:51]
	v_cmp_gt_f64_e64 s[0:1], 0, v[48:49]
	v_add_f64 v[52:53], v[52:53], v[54:55]
	v_mov_b32_e32 v54, v48
	v_mov_b32_e32 v56, v50
	v_cndmask_b32_e64 v55, v49, v45, s[0:1]
	v_cndmask_b32_e32 v57, v51, v57, vcc
	v_add_f64 v[54:55], v[54:55], v[56:57]
	v_mov_b32_e32 v58, s16
	s_add_i32 s16, s16, 1
	v_cmp_lt_f64_e32 vcc, v[52:53], v[54:55]
	v_add_u32_e32 v44, 16, v44
	s_cmp_lg_u32 s20, s16
	v_cndmask_b32_e32 v33, v33, v49, vcc
	v_cndmask_b32_e32 v32, v32, v48, vcc
	;; [unrolled: 1-line block ×5, first 2 shown]
	s_cbranch_scc1 .LBB14_148
.LBB14_149:
	s_waitcnt lgkmcnt(0)
	v_cmp_eq_f64_e32 vcc, 0, v[32:33]
	v_cmp_eq_f64_e64 s[0:1], 0, v[34:35]
	s_and_b64 s[0:1], vcc, s[0:1]
	s_and_saveexec_b64 s[16:17], s[0:1]
	s_xor_b64 s[0:1], exec, s[16:17]
; %bb.150:
	v_cmp_ne_u32_e32 vcc, 0, v47
	s_nop 1
	v_cndmask_b32_e32 v47, 8, v47, vcc
; %bb.151:
	s_andn2_saveexec_b64 s[0:1], s[0:1]
	s_cbranch_execz .LBB14_157
; %bb.152:
	v_cmp_ngt_f64_e64 s[16:17], |v[32:33]|, |v[34:35]|
	s_and_saveexec_b64 s[18:19], s[16:17]
	s_xor_b64 s[16:17], exec, s[18:19]
	s_cbranch_execz .LBB14_154
; %bb.153:
	v_div_scale_f64 v[44:45], s[18:19], v[34:35], v[34:35], v[32:33]
	v_rcp_f64_e32 v[48:49], v[44:45]
	v_div_scale_f64 v[50:51], vcc, v[32:33], v[34:35], v[32:33]
	v_fma_f64 v[52:53], -v[44:45], v[48:49], 1.0
	v_fmac_f64_e32 v[48:49], v[48:49], v[52:53]
	v_fma_f64 v[52:53], -v[44:45], v[48:49], 1.0
	v_fmac_f64_e32 v[48:49], v[48:49], v[52:53]
	v_mul_f64 v[52:53], v[50:51], v[48:49]
	v_fma_f64 v[44:45], -v[44:45], v[52:53], v[50:51]
	v_div_fmas_f64 v[44:45], v[44:45], v[48:49], v[52:53]
	v_div_fixup_f64 v[44:45], v[44:45], v[34:35], v[32:33]
	v_fmac_f64_e32 v[34:35], v[32:33], v[44:45]
	v_div_scale_f64 v[32:33], s[18:19], v[34:35], v[34:35], 1.0
	v_rcp_f64_e32 v[48:49], v[32:33]
	s_nop 0
	v_fma_f64 v[50:51], -v[32:33], v[48:49], 1.0
	v_fmac_f64_e32 v[48:49], v[48:49], v[50:51]
	v_fma_f64 v[50:51], -v[32:33], v[48:49], 1.0
	v_fmac_f64_e32 v[48:49], v[48:49], v[50:51]
	v_div_scale_f64 v[50:51], vcc, 1.0, v[34:35], 1.0
	v_mul_f64 v[52:53], v[50:51], v[48:49]
	v_fma_f64 v[32:33], -v[32:33], v[52:53], v[50:51]
	s_nop 1
	v_div_fmas_f64 v[32:33], v[32:33], v[48:49], v[52:53]
	v_div_fixup_f64 v[34:35], v[32:33], v[34:35], 1.0
	v_mul_f64 v[32:33], v[44:45], v[34:35]
	v_xor_b32_e32 v35, 0x80000000, v35
.LBB14_154:
	s_andn2_saveexec_b64 s[16:17], s[16:17]
	s_cbranch_execz .LBB14_156
; %bb.155:
	v_div_scale_f64 v[44:45], s[18:19], v[32:33], v[32:33], v[34:35]
	v_rcp_f64_e32 v[48:49], v[44:45]
	v_div_scale_f64 v[50:51], vcc, v[34:35], v[32:33], v[34:35]
	v_fma_f64 v[52:53], -v[44:45], v[48:49], 1.0
	v_fmac_f64_e32 v[48:49], v[48:49], v[52:53]
	v_fma_f64 v[52:53], -v[44:45], v[48:49], 1.0
	v_fmac_f64_e32 v[48:49], v[48:49], v[52:53]
	v_mul_f64 v[52:53], v[50:51], v[48:49]
	v_fma_f64 v[44:45], -v[44:45], v[52:53], v[50:51]
	v_div_fmas_f64 v[44:45], v[44:45], v[48:49], v[52:53]
	v_div_fixup_f64 v[44:45], v[44:45], v[32:33], v[34:35]
	v_fmac_f64_e32 v[32:33], v[34:35], v[44:45]
	v_div_scale_f64 v[34:35], s[18:19], v[32:33], v[32:33], 1.0
	v_rcp_f64_e32 v[48:49], v[34:35]
	s_nop 0
	v_fma_f64 v[50:51], -v[34:35], v[48:49], 1.0
	v_fmac_f64_e32 v[48:49], v[48:49], v[50:51]
	v_fma_f64 v[50:51], -v[34:35], v[48:49], 1.0
	v_fmac_f64_e32 v[48:49], v[48:49], v[50:51]
	v_div_scale_f64 v[50:51], vcc, 1.0, v[32:33], 1.0
	v_mul_f64 v[52:53], v[50:51], v[48:49]
	v_fma_f64 v[34:35], -v[34:35], v[52:53], v[50:51]
	s_nop 1
	v_div_fmas_f64 v[34:35], v[34:35], v[48:49], v[52:53]
	v_div_fixup_f64 v[32:33], v[34:35], v[32:33], 1.0
	v_mul_f64 v[34:35], v[44:45], -v[32:33]
.LBB14_156:
	s_or_b64 exec, exec, s[16:17]
.LBB14_157:
	s_or_b64 exec, exec, s[0:1]
	v_cmp_ne_u32_e32 vcc, v43, v42
	v_mov_b32_e32 v44, 7
	s_and_saveexec_b64 s[0:1], vcc
	s_cbranch_execz .LBB14_163
; %bb.158:
	v_cmp_eq_u32_e32 vcc, 7, v43
	s_and_saveexec_b64 s[16:17], vcc
	s_cbranch_execz .LBB14_162
; %bb.159:
	v_cmp_ne_u32_e32 vcc, 7, v42
	s_xor_b64 s[14:15], s[14:15], -1
	s_and_b64 s[18:19], s[14:15], vcc
	s_and_saveexec_b64 s[14:15], s[18:19]
	s_cbranch_execz .LBB14_161
; %bb.160:
	v_ashrrev_i32_e32 v43, 31, v42
	v_lshl_add_u64 v[44:45], v[42:43], 2, v[40:41]
	global_load_dword v43, v[44:45], off
	global_load_dword v46, v[40:41], off offset:28
	s_waitcnt vmcnt(1)
	global_store_dword v[40:41], v43, off offset:28
	s_waitcnt vmcnt(1)
	global_store_dword v[44:45], v46, off
.LBB14_161:
	s_or_b64 exec, exec, s[14:15]
	v_mov_b32_e32 v43, v42
	v_mov_b32_e32 v46, v42
.LBB14_162:
	s_or_b64 exec, exec, s[16:17]
	v_mov_b32_e32 v44, v43
.LBB14_163:
	s_or_b64 exec, exec, s[0:1]
	v_cmp_gt_i32_e32 vcc, 8, v44
	v_ashrrev_i32_e32 v45, 31, v44
	s_barrier
	s_barrier
	s_and_saveexec_b64 s[0:1], vcc
	s_cbranch_execz .LBB14_165
; %bb.164:
	v_mov_b32_e32 v40, s6
	v_mov_b32_e32 v41, s7
	v_mul_lo_u32 v48, s11, v38
	v_mul_lo_u32 v49, s10, v39
	v_mad_u64_u32 v[42:43], s[6:7], s10, v38, 0
	v_add3_u32 v43, v43, v49, v48
	v_lshl_add_u64 v[40:41], v[42:43], 2, v[40:41]
	v_lshl_add_u64 v[40:41], s[8:9], 2, v[40:41]
	v_lshl_add_u64 v[40:41], v[44:45], 2, v[40:41]
	v_add3_u32 v42, v46, s13, 1
	global_store_dword v[40:41], v42, off
.LBB14_165:
	s_or_b64 exec, exec, s[0:1]
	v_cmp_eq_u32_e32 vcc, 0, v44
	s_and_saveexec_b64 s[6:7], vcc
	s_cbranch_execz .LBB14_168
; %bb.166:
	v_mov_b32_e32 v40, s4
	v_mov_b32_e32 v41, s5
	v_lshl_add_u64 v[38:39], v[38:39], 2, v[40:41]
	global_load_dword v40, v[38:39], off
	v_cmp_ne_u32_e64 s[0:1], 0, v47
	s_waitcnt vmcnt(0)
	v_cmp_eq_u32_e32 vcc, 0, v40
	s_and_b64 s[0:1], vcc, s[0:1]
	s_and_b64 exec, exec, s[0:1]
	s_cbranch_execz .LBB14_168
; %bb.167:
	v_add_u32_e32 v40, s13, v47
	global_store_dword v[38:39], v40, off
.LBB14_168:
	s_or_b64 exec, exec, s[6:7]
	v_mul_f64 v[38:39], v[34:35], v[30:31]
	v_fma_f64 v[38:39], v[32:33], v[28:29], -v[38:39]
	v_mul_f64 v[32:33], v[32:33], v[30:31]
	v_fmac_f64_e32 v[32:33], v[34:35], v[28:29]
	v_cmp_lt_i32_e32 vcc, 7, v44
	s_nop 1
	v_cndmask_b32_e32 v31, v31, v33, vcc
	v_cndmask_b32_e32 v30, v30, v32, vcc
	v_lshl_add_u64 v[32:33], v[44:45], 4, v[36:37]
	global_store_dwordx4 v[32:33], v[20:23], off
	v_cndmask_b32_e32 v29, v29, v39, vcc
	v_cndmask_b32_e32 v28, v28, v38, vcc
	v_lshl_add_u64 v[20:21], s[2:3], 4, v[32:33]
	global_store_dwordx4 v[20:21], v[16:19], off
	s_nop 1
	v_add_u32_e32 v16, s12, v44
	v_ashrrev_i32_e32 v17, 31, v16
	v_lshl_add_u64 v[18:19], v[16:17], 4, v[36:37]
	v_add_u32_e32 v16, s2, v16
	v_ashrrev_i32_e32 v17, 31, v16
	global_store_dwordx4 v[18:19], v[24:27], off
	v_lshl_add_u64 v[18:19], v[16:17], 4, v[36:37]
	global_store_dwordx4 v[18:19], v[8:11], off
	s_nop 1
	v_add_u32_e32 v8, s2, v16
	v_ashrrev_i32_e32 v9, 31, v8
	v_lshl_add_u64 v[10:11], v[8:9], 4, v[36:37]
	v_add_u32_e32 v8, s2, v8
	v_ashrrev_i32_e32 v9, 31, v8
	global_store_dwordx4 v[10:11], v[12:15], off
	v_lshl_add_u64 v[10:11], v[8:9], 4, v[36:37]
	global_store_dwordx4 v[10:11], v[0:3], off
	s_nop 1
	v_add_u32_e32 v0, s2, v8
	v_ashrrev_i32_e32 v1, 31, v0
	v_lshl_add_u64 v[2:3], v[0:1], 4, v[36:37]
	v_add_u32_e32 v0, s2, v0
	v_ashrrev_i32_e32 v1, 31, v0
	v_lshl_add_u64 v[0:1], v[0:1], 4, v[36:37]
	global_store_dwordx4 v[2:3], v[4:7], off
	global_store_dwordx4 v[0:1], v[28:31], off
.LBB14_169:
	s_endpgm
	.section	.rodata,"a",@progbits
	.p2align	6, 0x0
	.amdhsa_kernel _ZN9rocsolver6v33100L18getf2_small_kernelILi8E19rocblas_complex_numIdEiiPS3_EEvT1_T3_lS5_lPS5_llPT2_S5_S5_S7_l
		.amdhsa_group_segment_fixed_size 0
		.amdhsa_private_segment_fixed_size 0
		.amdhsa_kernarg_size 352
		.amdhsa_user_sgpr_count 2
		.amdhsa_user_sgpr_dispatch_ptr 0
		.amdhsa_user_sgpr_queue_ptr 0
		.amdhsa_user_sgpr_kernarg_segment_ptr 1
		.amdhsa_user_sgpr_dispatch_id 0
		.amdhsa_user_sgpr_kernarg_preload_length 0
		.amdhsa_user_sgpr_kernarg_preload_offset 0
		.amdhsa_user_sgpr_private_segment_size 0
		.amdhsa_uses_dynamic_stack 0
		.amdhsa_enable_private_segment 0
		.amdhsa_system_sgpr_workgroup_id_x 1
		.amdhsa_system_sgpr_workgroup_id_y 1
		.amdhsa_system_sgpr_workgroup_id_z 0
		.amdhsa_system_sgpr_workgroup_info 0
		.amdhsa_system_vgpr_workitem_id 1
		.amdhsa_next_free_vgpr 61
		.amdhsa_next_free_sgpr 24
		.amdhsa_accum_offset 64
		.amdhsa_reserve_vcc 1
		.amdhsa_float_round_mode_32 0
		.amdhsa_float_round_mode_16_64 0
		.amdhsa_float_denorm_mode_32 3
		.amdhsa_float_denorm_mode_16_64 3
		.amdhsa_dx10_clamp 1
		.amdhsa_ieee_mode 1
		.amdhsa_fp16_overflow 0
		.amdhsa_tg_split 0
		.amdhsa_exception_fp_ieee_invalid_op 0
		.amdhsa_exception_fp_denorm_src 0
		.amdhsa_exception_fp_ieee_div_zero 0
		.amdhsa_exception_fp_ieee_overflow 0
		.amdhsa_exception_fp_ieee_underflow 0
		.amdhsa_exception_fp_ieee_inexact 0
		.amdhsa_exception_int_div_zero 0
	.end_amdhsa_kernel
	.section	.text._ZN9rocsolver6v33100L18getf2_small_kernelILi8E19rocblas_complex_numIdEiiPS3_EEvT1_T3_lS5_lPS5_llPT2_S5_S5_S7_l,"axG",@progbits,_ZN9rocsolver6v33100L18getf2_small_kernelILi8E19rocblas_complex_numIdEiiPS3_EEvT1_T3_lS5_lPS5_llPT2_S5_S5_S7_l,comdat
.Lfunc_end14:
	.size	_ZN9rocsolver6v33100L18getf2_small_kernelILi8E19rocblas_complex_numIdEiiPS3_EEvT1_T3_lS5_lPS5_llPT2_S5_S5_S7_l, .Lfunc_end14-_ZN9rocsolver6v33100L18getf2_small_kernelILi8E19rocblas_complex_numIdEiiPS3_EEvT1_T3_lS5_lPS5_llPT2_S5_S5_S7_l
                                        ; -- End function
	.set _ZN9rocsolver6v33100L18getf2_small_kernelILi8E19rocblas_complex_numIdEiiPS3_EEvT1_T3_lS5_lPS5_llPT2_S5_S5_S7_l.num_vgpr, 61
	.set _ZN9rocsolver6v33100L18getf2_small_kernelILi8E19rocblas_complex_numIdEiiPS3_EEvT1_T3_lS5_lPS5_llPT2_S5_S5_S7_l.num_agpr, 0
	.set _ZN9rocsolver6v33100L18getf2_small_kernelILi8E19rocblas_complex_numIdEiiPS3_EEvT1_T3_lS5_lPS5_llPT2_S5_S5_S7_l.numbered_sgpr, 24
	.set _ZN9rocsolver6v33100L18getf2_small_kernelILi8E19rocblas_complex_numIdEiiPS3_EEvT1_T3_lS5_lPS5_llPT2_S5_S5_S7_l.num_named_barrier, 0
	.set _ZN9rocsolver6v33100L18getf2_small_kernelILi8E19rocblas_complex_numIdEiiPS3_EEvT1_T3_lS5_lPS5_llPT2_S5_S5_S7_l.private_seg_size, 0
	.set _ZN9rocsolver6v33100L18getf2_small_kernelILi8E19rocblas_complex_numIdEiiPS3_EEvT1_T3_lS5_lPS5_llPT2_S5_S5_S7_l.uses_vcc, 1
	.set _ZN9rocsolver6v33100L18getf2_small_kernelILi8E19rocblas_complex_numIdEiiPS3_EEvT1_T3_lS5_lPS5_llPT2_S5_S5_S7_l.uses_flat_scratch, 0
	.set _ZN9rocsolver6v33100L18getf2_small_kernelILi8E19rocblas_complex_numIdEiiPS3_EEvT1_T3_lS5_lPS5_llPT2_S5_S5_S7_l.has_dyn_sized_stack, 0
	.set _ZN9rocsolver6v33100L18getf2_small_kernelILi8E19rocblas_complex_numIdEiiPS3_EEvT1_T3_lS5_lPS5_llPT2_S5_S5_S7_l.has_recursion, 0
	.set _ZN9rocsolver6v33100L18getf2_small_kernelILi8E19rocblas_complex_numIdEiiPS3_EEvT1_T3_lS5_lPS5_llPT2_S5_S5_S7_l.has_indirect_call, 0
	.section	.AMDGPU.csdata,"",@progbits
; Kernel info:
; codeLenInByte = 9728
; TotalNumSgprs: 30
; NumVgprs: 61
; NumAgprs: 0
; TotalNumVgprs: 61
; ScratchSize: 0
; MemoryBound: 0
; FloatMode: 240
; IeeeMode: 1
; LDSByteSize: 0 bytes/workgroup (compile time only)
; SGPRBlocks: 3
; VGPRBlocks: 7
; NumSGPRsForWavesPerEU: 30
; NumVGPRsForWavesPerEU: 61
; AccumOffset: 64
; Occupancy: 8
; WaveLimiterHint : 0
; COMPUTE_PGM_RSRC2:SCRATCH_EN: 0
; COMPUTE_PGM_RSRC2:USER_SGPR: 2
; COMPUTE_PGM_RSRC2:TRAP_HANDLER: 0
; COMPUTE_PGM_RSRC2:TGID_X_EN: 1
; COMPUTE_PGM_RSRC2:TGID_Y_EN: 1
; COMPUTE_PGM_RSRC2:TGID_Z_EN: 0
; COMPUTE_PGM_RSRC2:TIDIG_COMP_CNT: 1
; COMPUTE_PGM_RSRC3_GFX90A:ACCUM_OFFSET: 15
; COMPUTE_PGM_RSRC3_GFX90A:TG_SPLIT: 0
	.section	.text._ZN9rocsolver6v33100L23getf2_npvt_small_kernelILi8E19rocblas_complex_numIdEiiPS3_EEvT1_T3_lS5_lPT2_S5_S5_,"axG",@progbits,_ZN9rocsolver6v33100L23getf2_npvt_small_kernelILi8E19rocblas_complex_numIdEiiPS3_EEvT1_T3_lS5_lPT2_S5_S5_,comdat
	.globl	_ZN9rocsolver6v33100L23getf2_npvt_small_kernelILi8E19rocblas_complex_numIdEiiPS3_EEvT1_T3_lS5_lPT2_S5_S5_ ; -- Begin function _ZN9rocsolver6v33100L23getf2_npvt_small_kernelILi8E19rocblas_complex_numIdEiiPS3_EEvT1_T3_lS5_lPT2_S5_S5_
	.p2align	8
	.type	_ZN9rocsolver6v33100L23getf2_npvt_small_kernelILi8E19rocblas_complex_numIdEiiPS3_EEvT1_T3_lS5_lPT2_S5_S5_,@function
_ZN9rocsolver6v33100L23getf2_npvt_small_kernelILi8E19rocblas_complex_numIdEiiPS3_EEvT1_T3_lS5_lPT2_S5_S5_: ; @_ZN9rocsolver6v33100L23getf2_npvt_small_kernelILi8E19rocblas_complex_numIdEiiPS3_EEvT1_T3_lS5_lPT2_S5_S5_
; %bb.0:
	s_load_dword s2, s[0:1], 0x44
	s_load_dwordx2 s[30:31], s[0:1], 0x30
	v_bfe_u32 v32, v0, 10, 10
	s_waitcnt lgkmcnt(0)
	s_lshr_b32 s8, s2, 16
	s_mul_i32 s3, s3, s8
	v_add_u32_e32 v76, s3, v32
	v_cmp_gt_i32_e32 vcc, s30, v76
	s_and_saveexec_b64 s[2:3], vcc
	s_cbranch_execz .LBB15_75
; %bb.1:
	s_load_dwordx4 s[12:15], s[0:1], 0x8
	s_load_dword s2, s[0:1], 0x18
	s_load_dwordx4 s[4:7], s[0:1], 0x20
	v_and_b32_e32 v82, 0x3ff, v0
	v_ashrrev_i32_e32 v77, 31, v76
	s_waitcnt lgkmcnt(0)
	v_mov_b32_e32 v2, s12
	v_mov_b32_e32 v3, s13
	v_mad_u64_u32 v[0:1], s[0:1], s4, v76, 0
	v_mul_lo_u32 v4, s5, v76
	v_mul_lo_u32 v5, s4, v77
	s_add_i32 s0, s2, s2
	v_add3_u32 v1, v1, v5, v4
	v_add_u32_e32 v8, s0, v82
	v_lshl_add_u64 v[0:1], v[0:1], 4, v[2:3]
	v_add_u32_e32 v16, s2, v8
	v_lshl_add_u64 v[24:25], s[14:15], 4, v[0:1]
	v_ashrrev_i32_e32 v17, 31, v16
	v_lshl_add_u64 v[70:71], v[16:17], 4, v[24:25]
	v_add_u32_e32 v16, s2, v16
	v_add_u32_e32 v26, s2, v16
	v_ashrrev_i32_e32 v27, 31, v26
	v_lshl_add_u64 v[74:75], v[26:27], 4, v[24:25]
	v_add_u32_e32 v26, s2, v26
	v_ashrrev_i32_e32 v27, 31, v26
	v_lshlrev_b32_e32 v0, 4, v82
	v_mov_b32_e32 v1, 0
	v_ashrrev_i32_e32 v9, 31, v8
	v_ashrrev_i32_e32 v17, 31, v16
	v_lshl_add_u64 v[78:79], v[26:27], 4, v[24:25]
	v_add_u32_e32 v26, s2, v26
	s_ashr_i32 s3, s2, 31
	v_lshl_add_u64 v[64:65], v[24:25], 0, v[0:1]
	v_lshl_add_u64 v[68:69], v[8:9], 4, v[24:25]
	;; [unrolled: 1-line block ×3, first 2 shown]
	v_ashrrev_i32_e32 v27, 31, v26
	v_lshl_add_u64 v[66:67], s[2:3], 4, v[64:65]
	global_load_dwordx4 v[4:7], v[64:65], off
	global_load_dwordx4 v[0:3], v[66:67], off
	;; [unrolled: 1-line block ×6, first 2 shown]
	v_lshl_add_u64 v[80:81], v[26:27], 4, v[24:25]
	global_load_dwordx4 v[24:27], v[78:79], off
	global_load_dwordx4 v[28:31], v[80:81], off
	s_lshl_b32 s0, s8, 7
	s_add_i32 s0, s0, 0
	v_lshl_add_u32 v84, v32, 7, 0
	v_lshl_add_u32 v83, v32, 4, s0
	v_cmp_ne_u32_e64 s[2:3], 0, v82
	v_cmp_eq_u32_e64 s[0:1], 0, v82
	s_and_saveexec_b64 s[8:9], s[0:1]
	s_cbranch_execz .LBB15_8
; %bb.2:
	s_waitcnt vmcnt(7)
	ds_write2_b64 v83, v[4:5], v[6:7] offset1:1
	s_waitcnt vmcnt(6)
	ds_write2_b64 v84, v[0:1], v[2:3] offset0:2 offset1:3
	s_waitcnt vmcnt(5)
	ds_write2_b64 v84, v[12:13], v[14:15] offset0:4 offset1:5
	;; [unrolled: 2-line block ×7, first 2 shown]
	ds_read2_b64 v[32:35], v83 offset1:1
	s_waitcnt lgkmcnt(0)
	v_cmp_neq_f64_e32 vcc, 0, v[32:33]
	v_cmp_neq_f64_e64 s[4:5], 0, v[34:35]
	s_or_b64 s[4:5], vcc, s[4:5]
	s_and_b64 exec, exec, s[4:5]
	s_cbranch_execz .LBB15_8
; %bb.3:
	v_cmp_ngt_f64_e64 s[4:5], |v[32:33]|, |v[34:35]|
                                        ; implicit-def: $vgpr36_vgpr37
	s_and_saveexec_b64 s[10:11], s[4:5]
	s_xor_b64 s[4:5], exec, s[10:11]
                                        ; implicit-def: $vgpr38_vgpr39
	s_cbranch_execz .LBB15_5
; %bb.4:
	v_div_scale_f64 v[36:37], s[10:11], v[34:35], v[34:35], v[32:33]
	v_rcp_f64_e32 v[38:39], v[36:37]
	v_div_scale_f64 v[40:41], vcc, v[32:33], v[34:35], v[32:33]
	v_fma_f64 v[42:43], -v[36:37], v[38:39], 1.0
	v_fmac_f64_e32 v[38:39], v[38:39], v[42:43]
	v_fma_f64 v[42:43], -v[36:37], v[38:39], 1.0
	v_fmac_f64_e32 v[38:39], v[38:39], v[42:43]
	v_mul_f64 v[42:43], v[40:41], v[38:39]
	v_fma_f64 v[36:37], -v[36:37], v[42:43], v[40:41]
	v_div_fmas_f64 v[36:37], v[36:37], v[38:39], v[42:43]
	v_div_fixup_f64 v[36:37], v[36:37], v[34:35], v[32:33]
	v_fmac_f64_e32 v[34:35], v[32:33], v[36:37]
	v_div_scale_f64 v[32:33], s[10:11], v[34:35], v[34:35], 1.0
	v_rcp_f64_e32 v[38:39], v[32:33]
	s_nop 0
	v_fma_f64 v[40:41], -v[32:33], v[38:39], 1.0
	v_fmac_f64_e32 v[38:39], v[38:39], v[40:41]
	v_fma_f64 v[40:41], -v[32:33], v[38:39], 1.0
	v_fmac_f64_e32 v[38:39], v[38:39], v[40:41]
	v_div_scale_f64 v[40:41], vcc, 1.0, v[34:35], 1.0
	v_mul_f64 v[42:43], v[40:41], v[38:39]
	v_fma_f64 v[32:33], -v[32:33], v[42:43], v[40:41]
	s_nop 1
	v_div_fmas_f64 v[32:33], v[32:33], v[38:39], v[42:43]
	v_div_fixup_f64 v[38:39], v[32:33], v[34:35], 1.0
	v_mul_f64 v[36:37], v[36:37], v[38:39]
	v_xor_b32_e32 v39, 0x80000000, v39
                                        ; implicit-def: $vgpr32_vgpr33
.LBB15_5:
	s_andn2_saveexec_b64 s[4:5], s[4:5]
	s_cbranch_execz .LBB15_7
; %bb.6:
	v_div_scale_f64 v[36:37], s[10:11], v[32:33], v[32:33], v[34:35]
	v_rcp_f64_e32 v[38:39], v[36:37]
	v_div_scale_f64 v[40:41], vcc, v[34:35], v[32:33], v[34:35]
	v_fma_f64 v[42:43], -v[36:37], v[38:39], 1.0
	v_fmac_f64_e32 v[38:39], v[38:39], v[42:43]
	v_fma_f64 v[42:43], -v[36:37], v[38:39], 1.0
	v_fmac_f64_e32 v[38:39], v[38:39], v[42:43]
	v_mul_f64 v[42:43], v[40:41], v[38:39]
	v_fma_f64 v[36:37], -v[36:37], v[42:43], v[40:41]
	v_div_fmas_f64 v[36:37], v[36:37], v[38:39], v[42:43]
	v_div_fixup_f64 v[38:39], v[36:37], v[32:33], v[34:35]
	v_fmac_f64_e32 v[32:33], v[34:35], v[38:39]
	v_div_scale_f64 v[34:35], s[10:11], v[32:33], v[32:33], 1.0
	v_rcp_f64_e32 v[36:37], v[34:35]
	s_nop 0
	v_fma_f64 v[40:41], -v[34:35], v[36:37], 1.0
	v_fmac_f64_e32 v[36:37], v[36:37], v[40:41]
	v_fma_f64 v[40:41], -v[34:35], v[36:37], 1.0
	v_fmac_f64_e32 v[36:37], v[36:37], v[40:41]
	v_div_scale_f64 v[40:41], vcc, 1.0, v[32:33], 1.0
	v_mul_f64 v[42:43], v[40:41], v[36:37]
	v_fma_f64 v[34:35], -v[34:35], v[42:43], v[40:41]
	s_nop 1
	v_div_fmas_f64 v[34:35], v[34:35], v[36:37], v[42:43]
	v_div_fixup_f64 v[36:37], v[34:35], v[32:33], 1.0
	v_mul_f64 v[38:39], v[38:39], -v[36:37]
.LBB15_7:
	s_or_b64 exec, exec, s[4:5]
	ds_write2_b64 v83, v[36:37], v[38:39] offset1:1
.LBB15_8:
	s_or_b64 exec, exec, s[8:9]
	s_waitcnt lgkmcnt(0)
	s_barrier
	ds_read2_b64 v[32:35], v83 offset1:1
	s_and_saveexec_b64 s[4:5], s[2:3]
	s_cbranch_execz .LBB15_10
; %bb.9:
	ds_read2_b64 v[36:39], v84 offset0:2 offset1:3
	ds_read2_b64 v[40:43], v84 offset0:4 offset1:5
	s_waitcnt vmcnt(7) lgkmcnt(2)
	v_mul_f64 v[44:45], v[32:33], v[6:7]
	v_fmac_f64_e32 v[44:45], v[34:35], v[4:5]
	v_mul_f64 v[6:7], v[34:35], v[6:7]
	v_fma_f64 v[4:5], v[32:33], v[4:5], -v[6:7]
	s_waitcnt lgkmcnt(1)
	v_mul_f64 v[6:7], v[38:39], v[44:45]
	v_fma_f64 v[6:7], v[36:37], v[4:5], -v[6:7]
	v_mul_f64 v[36:37], v[36:37], v[44:45]
	v_fmac_f64_e32 v[36:37], v[38:39], v[4:5]
	s_waitcnt vmcnt(6)
	v_add_f64 v[2:3], v[2:3], -v[36:37]
	ds_read2_b64 v[36:39], v84 offset0:6 offset1:7
	v_add_f64 v[0:1], v[0:1], -v[6:7]
	s_waitcnt lgkmcnt(1)
	v_mul_f64 v[6:7], v[42:43], v[44:45]
	v_fma_f64 v[6:7], v[40:41], v[4:5], -v[6:7]
	v_mul_f64 v[40:41], v[40:41], v[44:45]
	v_fmac_f64_e32 v[40:41], v[42:43], v[4:5]
	s_waitcnt vmcnt(5)
	v_add_f64 v[12:13], v[12:13], -v[6:7]
	v_add_f64 v[14:15], v[14:15], -v[40:41]
	ds_read2_b64 v[40:43], v84 offset0:8 offset1:9
	s_waitcnt lgkmcnt(1)
	v_mul_f64 v[6:7], v[38:39], v[44:45]
	v_fma_f64 v[6:7], v[36:37], v[4:5], -v[6:7]
	v_mul_f64 v[36:37], v[36:37], v[44:45]
	v_fmac_f64_e32 v[36:37], v[38:39], v[4:5]
	s_waitcnt vmcnt(4)
	v_add_f64 v[10:11], v[10:11], -v[36:37]
	ds_read2_b64 v[36:39], v84 offset0:10 offset1:11
	v_add_f64 v[8:9], v[8:9], -v[6:7]
	s_waitcnt lgkmcnt(1)
	v_mul_f64 v[6:7], v[42:43], v[44:45]
	v_fma_f64 v[6:7], v[40:41], v[4:5], -v[6:7]
	v_mul_f64 v[40:41], v[40:41], v[44:45]
	v_fmac_f64_e32 v[40:41], v[42:43], v[4:5]
	s_waitcnt vmcnt(3)
	v_add_f64 v[20:21], v[20:21], -v[6:7]
	v_add_f64 v[22:23], v[22:23], -v[40:41]
	ds_read2_b64 v[40:43], v84 offset0:12 offset1:13
	s_waitcnt lgkmcnt(1)
	v_mul_f64 v[6:7], v[38:39], v[44:45]
	v_fma_f64 v[6:7], v[36:37], v[4:5], -v[6:7]
	v_mul_f64 v[36:37], v[36:37], v[44:45]
	v_fmac_f64_e32 v[36:37], v[38:39], v[4:5]
	s_waitcnt vmcnt(2)
	v_add_f64 v[18:19], v[18:19], -v[36:37]
	ds_read2_b64 v[36:39], v84 offset0:14 offset1:15
	v_add_f64 v[16:17], v[16:17], -v[6:7]
	s_waitcnt lgkmcnt(1)
	v_mul_f64 v[6:7], v[42:43], v[44:45]
	v_fma_f64 v[6:7], v[40:41], v[4:5], -v[6:7]
	s_waitcnt vmcnt(1)
	v_add_f64 v[24:25], v[24:25], -v[6:7]
	s_waitcnt lgkmcnt(0)
	v_mul_f64 v[6:7], v[38:39], v[44:45]
	v_mul_f64 v[40:41], v[40:41], v[44:45]
	v_fma_f64 v[6:7], v[36:37], v[4:5], -v[6:7]
	v_mul_f64 v[36:37], v[36:37], v[44:45]
	v_fmac_f64_e32 v[40:41], v[42:43], v[4:5]
	v_fmac_f64_e32 v[36:37], v[38:39], v[4:5]
	v_add_f64 v[26:27], v[26:27], -v[40:41]
	s_waitcnt vmcnt(0)
	v_add_f64 v[28:29], v[28:29], -v[6:7]
	v_add_f64 v[30:31], v[30:31], -v[36:37]
	v_mov_b64_e32 v[6:7], v[44:45]
.LBB15_10:
	s_or_b64 exec, exec, s[4:5]
	v_cmp_eq_u32_e32 vcc, 1, v82
	s_waitcnt lgkmcnt(0)
	s_barrier
	s_and_saveexec_b64 s[4:5], vcc
	s_cbranch_execz .LBB15_17
; %bb.11:
	s_waitcnt vmcnt(6)
	ds_write2_b64 v83, v[0:1], v[2:3] offset1:1
	s_waitcnt vmcnt(5)
	ds_write2_b64 v84, v[12:13], v[14:15] offset0:4 offset1:5
	s_waitcnt vmcnt(4)
	ds_write2_b64 v84, v[8:9], v[10:11] offset0:6 offset1:7
	;; [unrolled: 2-line block ×6, first 2 shown]
	ds_read2_b64 v[36:39], v83 offset1:1
	s_waitcnt lgkmcnt(0)
	v_cmp_neq_f64_e32 vcc, 0, v[36:37]
	v_cmp_neq_f64_e64 s[2:3], 0, v[38:39]
	s_or_b64 s[2:3], vcc, s[2:3]
	s_and_b64 exec, exec, s[2:3]
	s_cbranch_execz .LBB15_17
; %bb.12:
	v_cmp_ngt_f64_e64 s[2:3], |v[36:37]|, |v[38:39]|
                                        ; implicit-def: $vgpr40_vgpr41
	s_and_saveexec_b64 s[8:9], s[2:3]
	s_xor_b64 s[2:3], exec, s[8:9]
                                        ; implicit-def: $vgpr42_vgpr43
	s_cbranch_execz .LBB15_14
; %bb.13:
	v_div_scale_f64 v[40:41], s[8:9], v[38:39], v[38:39], v[36:37]
	v_rcp_f64_e32 v[42:43], v[40:41]
	v_div_scale_f64 v[44:45], vcc, v[36:37], v[38:39], v[36:37]
	v_fma_f64 v[46:47], -v[40:41], v[42:43], 1.0
	v_fmac_f64_e32 v[42:43], v[42:43], v[46:47]
	v_fma_f64 v[46:47], -v[40:41], v[42:43], 1.0
	v_fmac_f64_e32 v[42:43], v[42:43], v[46:47]
	v_mul_f64 v[46:47], v[44:45], v[42:43]
	v_fma_f64 v[40:41], -v[40:41], v[46:47], v[44:45]
	v_div_fmas_f64 v[40:41], v[40:41], v[42:43], v[46:47]
	v_div_fixup_f64 v[40:41], v[40:41], v[38:39], v[36:37]
	v_fmac_f64_e32 v[38:39], v[36:37], v[40:41]
	v_div_scale_f64 v[36:37], s[8:9], v[38:39], v[38:39], 1.0
	v_rcp_f64_e32 v[42:43], v[36:37]
	s_nop 0
	v_fma_f64 v[44:45], -v[36:37], v[42:43], 1.0
	v_fmac_f64_e32 v[42:43], v[42:43], v[44:45]
	v_fma_f64 v[44:45], -v[36:37], v[42:43], 1.0
	v_fmac_f64_e32 v[42:43], v[42:43], v[44:45]
	v_div_scale_f64 v[44:45], vcc, 1.0, v[38:39], 1.0
	v_mul_f64 v[46:47], v[44:45], v[42:43]
	v_fma_f64 v[36:37], -v[36:37], v[46:47], v[44:45]
	s_nop 1
	v_div_fmas_f64 v[36:37], v[36:37], v[42:43], v[46:47]
	v_div_fixup_f64 v[42:43], v[36:37], v[38:39], 1.0
	v_mul_f64 v[40:41], v[40:41], v[42:43]
	v_xor_b32_e32 v43, 0x80000000, v43
                                        ; implicit-def: $vgpr36_vgpr37
.LBB15_14:
	s_andn2_saveexec_b64 s[2:3], s[2:3]
	s_cbranch_execz .LBB15_16
; %bb.15:
	v_div_scale_f64 v[40:41], s[8:9], v[36:37], v[36:37], v[38:39]
	v_rcp_f64_e32 v[42:43], v[40:41]
	v_div_scale_f64 v[44:45], vcc, v[38:39], v[36:37], v[38:39]
	v_fma_f64 v[46:47], -v[40:41], v[42:43], 1.0
	v_fmac_f64_e32 v[42:43], v[42:43], v[46:47]
	v_fma_f64 v[46:47], -v[40:41], v[42:43], 1.0
	v_fmac_f64_e32 v[42:43], v[42:43], v[46:47]
	v_mul_f64 v[46:47], v[44:45], v[42:43]
	v_fma_f64 v[40:41], -v[40:41], v[46:47], v[44:45]
	v_div_fmas_f64 v[40:41], v[40:41], v[42:43], v[46:47]
	v_div_fixup_f64 v[42:43], v[40:41], v[36:37], v[38:39]
	v_fmac_f64_e32 v[36:37], v[38:39], v[42:43]
	v_div_scale_f64 v[38:39], s[8:9], v[36:37], v[36:37], 1.0
	v_rcp_f64_e32 v[40:41], v[38:39]
	s_nop 0
	v_fma_f64 v[44:45], -v[38:39], v[40:41], 1.0
	v_fmac_f64_e32 v[40:41], v[40:41], v[44:45]
	v_fma_f64 v[44:45], -v[38:39], v[40:41], 1.0
	v_fmac_f64_e32 v[40:41], v[40:41], v[44:45]
	v_div_scale_f64 v[44:45], vcc, 1.0, v[36:37], 1.0
	v_mul_f64 v[46:47], v[44:45], v[40:41]
	v_fma_f64 v[38:39], -v[38:39], v[46:47], v[44:45]
	s_nop 1
	v_div_fmas_f64 v[38:39], v[38:39], v[40:41], v[46:47]
	v_div_fixup_f64 v[40:41], v[38:39], v[36:37], 1.0
	v_mul_f64 v[42:43], v[42:43], -v[40:41]
.LBB15_16:
	s_or_b64 exec, exec, s[2:3]
	ds_write2_b64 v83, v[40:41], v[42:43] offset1:1
.LBB15_17:
	s_or_b64 exec, exec, s[4:5]
	s_waitcnt lgkmcnt(0)
	s_barrier
	ds_read2_b64 v[36:39], v83 offset1:1
	v_cmp_lt_u32_e32 vcc, 1, v82
	s_and_saveexec_b64 s[2:3], vcc
	s_cbranch_execz .LBB15_19
; %bb.18:
	ds_read2_b64 v[40:43], v84 offset0:4 offset1:5
	s_waitcnt vmcnt(6) lgkmcnt(1)
	v_mul_f64 v[44:45], v[36:37], v[2:3]
	v_fmac_f64_e32 v[44:45], v[38:39], v[0:1]
	v_mul_f64 v[2:3], v[38:39], v[2:3]
	v_fma_f64 v[0:1], v[36:37], v[0:1], -v[2:3]
	s_waitcnt lgkmcnt(0)
	v_mul_f64 v[2:3], v[42:43], v[44:45]
	v_fma_f64 v[2:3], v[40:41], v[0:1], -v[2:3]
	v_mul_f64 v[40:41], v[40:41], v[44:45]
	v_fmac_f64_e32 v[40:41], v[42:43], v[0:1]
	s_waitcnt vmcnt(5)
	v_add_f64 v[14:15], v[14:15], -v[40:41]
	ds_read2_b64 v[40:43], v84 offset0:6 offset1:7
	v_add_f64 v[12:13], v[12:13], -v[2:3]
	s_waitcnt lgkmcnt(0)
	v_mul_f64 v[2:3], v[42:43], v[44:45]
	v_fma_f64 v[2:3], v[40:41], v[0:1], -v[2:3]
	v_mul_f64 v[40:41], v[40:41], v[44:45]
	v_fmac_f64_e32 v[40:41], v[42:43], v[0:1]
	s_waitcnt vmcnt(4)
	v_add_f64 v[10:11], v[10:11], -v[40:41]
	ds_read2_b64 v[40:43], v84 offset0:8 offset1:9
	v_add_f64 v[8:9], v[8:9], -v[2:3]
	;; [unrolled: 9-line block ×5, first 2 shown]
	s_waitcnt lgkmcnt(0)
	v_mul_f64 v[2:3], v[42:43], v[44:45]
	v_fma_f64 v[2:3], v[40:41], v[0:1], -v[2:3]
	v_mul_f64 v[40:41], v[40:41], v[44:45]
	v_fmac_f64_e32 v[40:41], v[42:43], v[0:1]
	s_waitcnt vmcnt(0)
	v_add_f64 v[28:29], v[28:29], -v[2:3]
	v_add_f64 v[30:31], v[30:31], -v[40:41]
	v_mov_b64_e32 v[2:3], v[44:45]
.LBB15_19:
	s_or_b64 exec, exec, s[2:3]
	v_cmp_eq_u32_e32 vcc, 2, v82
	s_waitcnt lgkmcnt(0)
	s_barrier
	s_and_saveexec_b64 s[4:5], vcc
	s_cbranch_execz .LBB15_26
; %bb.20:
	s_waitcnt vmcnt(5)
	ds_write2_b64 v83, v[12:13], v[14:15] offset1:1
	s_waitcnt vmcnt(4)
	ds_write2_b64 v84, v[8:9], v[10:11] offset0:6 offset1:7
	s_waitcnt vmcnt(3)
	ds_write2_b64 v84, v[20:21], v[22:23] offset0:8 offset1:9
	;; [unrolled: 2-line block ×5, first 2 shown]
	ds_read2_b64 v[40:43], v83 offset1:1
	s_waitcnt lgkmcnt(0)
	v_cmp_neq_f64_e32 vcc, 0, v[40:41]
	v_cmp_neq_f64_e64 s[2:3], 0, v[42:43]
	s_or_b64 s[2:3], vcc, s[2:3]
	s_and_b64 exec, exec, s[2:3]
	s_cbranch_execz .LBB15_26
; %bb.21:
	v_cmp_ngt_f64_e64 s[2:3], |v[40:41]|, |v[42:43]|
                                        ; implicit-def: $vgpr44_vgpr45
	s_and_saveexec_b64 s[8:9], s[2:3]
	s_xor_b64 s[2:3], exec, s[8:9]
                                        ; implicit-def: $vgpr46_vgpr47
	s_cbranch_execz .LBB15_23
; %bb.22:
	v_div_scale_f64 v[44:45], s[8:9], v[42:43], v[42:43], v[40:41]
	v_rcp_f64_e32 v[46:47], v[44:45]
	v_div_scale_f64 v[48:49], vcc, v[40:41], v[42:43], v[40:41]
	v_fma_f64 v[50:51], -v[44:45], v[46:47], 1.0
	v_fmac_f64_e32 v[46:47], v[46:47], v[50:51]
	v_fma_f64 v[50:51], -v[44:45], v[46:47], 1.0
	v_fmac_f64_e32 v[46:47], v[46:47], v[50:51]
	v_mul_f64 v[50:51], v[48:49], v[46:47]
	v_fma_f64 v[44:45], -v[44:45], v[50:51], v[48:49]
	v_div_fmas_f64 v[44:45], v[44:45], v[46:47], v[50:51]
	v_div_fixup_f64 v[44:45], v[44:45], v[42:43], v[40:41]
	v_fmac_f64_e32 v[42:43], v[40:41], v[44:45]
	v_div_scale_f64 v[40:41], s[8:9], v[42:43], v[42:43], 1.0
	v_rcp_f64_e32 v[46:47], v[40:41]
	s_nop 0
	v_fma_f64 v[48:49], -v[40:41], v[46:47], 1.0
	v_fmac_f64_e32 v[46:47], v[46:47], v[48:49]
	v_fma_f64 v[48:49], -v[40:41], v[46:47], 1.0
	v_fmac_f64_e32 v[46:47], v[46:47], v[48:49]
	v_div_scale_f64 v[48:49], vcc, 1.0, v[42:43], 1.0
	v_mul_f64 v[50:51], v[48:49], v[46:47]
	v_fma_f64 v[40:41], -v[40:41], v[50:51], v[48:49]
	s_nop 1
	v_div_fmas_f64 v[40:41], v[40:41], v[46:47], v[50:51]
	v_div_fixup_f64 v[46:47], v[40:41], v[42:43], 1.0
	v_mul_f64 v[44:45], v[44:45], v[46:47]
	v_xor_b32_e32 v47, 0x80000000, v47
                                        ; implicit-def: $vgpr40_vgpr41
.LBB15_23:
	s_andn2_saveexec_b64 s[2:3], s[2:3]
	s_cbranch_execz .LBB15_25
; %bb.24:
	v_div_scale_f64 v[44:45], s[8:9], v[40:41], v[40:41], v[42:43]
	v_rcp_f64_e32 v[46:47], v[44:45]
	v_div_scale_f64 v[48:49], vcc, v[42:43], v[40:41], v[42:43]
	v_fma_f64 v[50:51], -v[44:45], v[46:47], 1.0
	v_fmac_f64_e32 v[46:47], v[46:47], v[50:51]
	v_fma_f64 v[50:51], -v[44:45], v[46:47], 1.0
	v_fmac_f64_e32 v[46:47], v[46:47], v[50:51]
	v_mul_f64 v[50:51], v[48:49], v[46:47]
	v_fma_f64 v[44:45], -v[44:45], v[50:51], v[48:49]
	v_div_fmas_f64 v[44:45], v[44:45], v[46:47], v[50:51]
	v_div_fixup_f64 v[46:47], v[44:45], v[40:41], v[42:43]
	v_fmac_f64_e32 v[40:41], v[42:43], v[46:47]
	v_div_scale_f64 v[42:43], s[8:9], v[40:41], v[40:41], 1.0
	v_rcp_f64_e32 v[44:45], v[42:43]
	s_nop 0
	v_fma_f64 v[48:49], -v[42:43], v[44:45], 1.0
	v_fmac_f64_e32 v[44:45], v[44:45], v[48:49]
	v_fma_f64 v[48:49], -v[42:43], v[44:45], 1.0
	v_fmac_f64_e32 v[44:45], v[44:45], v[48:49]
	v_div_scale_f64 v[48:49], vcc, 1.0, v[40:41], 1.0
	v_mul_f64 v[50:51], v[48:49], v[44:45]
	v_fma_f64 v[42:43], -v[42:43], v[50:51], v[48:49]
	s_nop 1
	v_div_fmas_f64 v[42:43], v[42:43], v[44:45], v[50:51]
	v_div_fixup_f64 v[44:45], v[42:43], v[40:41], 1.0
	v_mul_f64 v[46:47], v[46:47], -v[44:45]
.LBB15_25:
	s_or_b64 exec, exec, s[2:3]
	ds_write2_b64 v83, v[44:45], v[46:47] offset1:1
.LBB15_26:
	s_or_b64 exec, exec, s[4:5]
	s_waitcnt lgkmcnt(0)
	s_barrier
	ds_read2_b64 v[40:43], v83 offset1:1
	v_cmp_lt_u32_e32 vcc, 2, v82
	s_and_saveexec_b64 s[2:3], vcc
	s_cbranch_execz .LBB15_28
; %bb.27:
	ds_read2_b64 v[44:47], v84 offset0:6 offset1:7
	ds_read2_b64 v[48:51], v84 offset0:8 offset1:9
	s_waitcnt vmcnt(5) lgkmcnt(2)
	v_mul_f64 v[52:53], v[40:41], v[14:15]
	v_fmac_f64_e32 v[52:53], v[42:43], v[12:13]
	v_mul_f64 v[14:15], v[42:43], v[14:15]
	v_fma_f64 v[12:13], v[40:41], v[12:13], -v[14:15]
	s_waitcnt lgkmcnt(1)
	v_mul_f64 v[14:15], v[46:47], v[52:53]
	v_fma_f64 v[14:15], v[44:45], v[12:13], -v[14:15]
	v_mul_f64 v[44:45], v[44:45], v[52:53]
	v_fmac_f64_e32 v[44:45], v[46:47], v[12:13]
	s_waitcnt vmcnt(4)
	v_add_f64 v[10:11], v[10:11], -v[44:45]
	ds_read2_b64 v[44:47], v84 offset0:10 offset1:11
	v_add_f64 v[8:9], v[8:9], -v[14:15]
	s_waitcnt lgkmcnt(1)
	v_mul_f64 v[14:15], v[50:51], v[52:53]
	v_fma_f64 v[14:15], v[48:49], v[12:13], -v[14:15]
	v_mul_f64 v[48:49], v[48:49], v[52:53]
	v_fmac_f64_e32 v[48:49], v[50:51], v[12:13]
	s_waitcnt vmcnt(3)
	v_add_f64 v[20:21], v[20:21], -v[14:15]
	v_add_f64 v[22:23], v[22:23], -v[48:49]
	ds_read2_b64 v[48:51], v84 offset0:12 offset1:13
	s_waitcnt lgkmcnt(1)
	v_mul_f64 v[14:15], v[46:47], v[52:53]
	v_fma_f64 v[14:15], v[44:45], v[12:13], -v[14:15]
	v_mul_f64 v[44:45], v[44:45], v[52:53]
	v_fmac_f64_e32 v[44:45], v[46:47], v[12:13]
	s_waitcnt vmcnt(2)
	v_add_f64 v[18:19], v[18:19], -v[44:45]
	ds_read2_b64 v[44:47], v84 offset0:14 offset1:15
	v_add_f64 v[16:17], v[16:17], -v[14:15]
	s_waitcnt lgkmcnt(1)
	v_mul_f64 v[14:15], v[50:51], v[52:53]
	v_fma_f64 v[14:15], v[48:49], v[12:13], -v[14:15]
	s_waitcnt vmcnt(1)
	v_add_f64 v[24:25], v[24:25], -v[14:15]
	s_waitcnt lgkmcnt(0)
	v_mul_f64 v[14:15], v[46:47], v[52:53]
	v_mul_f64 v[48:49], v[48:49], v[52:53]
	v_fma_f64 v[14:15], v[44:45], v[12:13], -v[14:15]
	v_mul_f64 v[44:45], v[44:45], v[52:53]
	v_fmac_f64_e32 v[48:49], v[50:51], v[12:13]
	v_fmac_f64_e32 v[44:45], v[46:47], v[12:13]
	v_add_f64 v[26:27], v[26:27], -v[48:49]
	s_waitcnt vmcnt(0)
	v_add_f64 v[28:29], v[28:29], -v[14:15]
	v_add_f64 v[30:31], v[30:31], -v[44:45]
	v_mov_b64_e32 v[14:15], v[52:53]
.LBB15_28:
	s_or_b64 exec, exec, s[2:3]
	v_cmp_eq_u32_e32 vcc, 3, v82
	s_waitcnt lgkmcnt(0)
	s_barrier
	s_and_saveexec_b64 s[4:5], vcc
	s_cbranch_execz .LBB15_35
; %bb.29:
	s_waitcnt vmcnt(4)
	ds_write2_b64 v83, v[8:9], v[10:11] offset1:1
	s_waitcnt vmcnt(3)
	ds_write2_b64 v84, v[20:21], v[22:23] offset0:8 offset1:9
	s_waitcnt vmcnt(2)
	ds_write2_b64 v84, v[16:17], v[18:19] offset0:10 offset1:11
	;; [unrolled: 2-line block ×4, first 2 shown]
	ds_read2_b64 v[44:47], v83 offset1:1
	s_waitcnt lgkmcnt(0)
	v_cmp_neq_f64_e32 vcc, 0, v[44:45]
	v_cmp_neq_f64_e64 s[2:3], 0, v[46:47]
	s_or_b64 s[2:3], vcc, s[2:3]
	s_and_b64 exec, exec, s[2:3]
	s_cbranch_execz .LBB15_35
; %bb.30:
	v_cmp_ngt_f64_e64 s[2:3], |v[44:45]|, |v[46:47]|
                                        ; implicit-def: $vgpr48_vgpr49
	s_and_saveexec_b64 s[8:9], s[2:3]
	s_xor_b64 s[2:3], exec, s[8:9]
                                        ; implicit-def: $vgpr50_vgpr51
	s_cbranch_execz .LBB15_32
; %bb.31:
	v_div_scale_f64 v[48:49], s[8:9], v[46:47], v[46:47], v[44:45]
	v_rcp_f64_e32 v[50:51], v[48:49]
	v_div_scale_f64 v[52:53], vcc, v[44:45], v[46:47], v[44:45]
	v_fma_f64 v[54:55], -v[48:49], v[50:51], 1.0
	v_fmac_f64_e32 v[50:51], v[50:51], v[54:55]
	v_fma_f64 v[54:55], -v[48:49], v[50:51], 1.0
	v_fmac_f64_e32 v[50:51], v[50:51], v[54:55]
	v_mul_f64 v[54:55], v[52:53], v[50:51]
	v_fma_f64 v[48:49], -v[48:49], v[54:55], v[52:53]
	v_div_fmas_f64 v[48:49], v[48:49], v[50:51], v[54:55]
	v_div_fixup_f64 v[48:49], v[48:49], v[46:47], v[44:45]
	v_fmac_f64_e32 v[46:47], v[44:45], v[48:49]
	v_div_scale_f64 v[44:45], s[8:9], v[46:47], v[46:47], 1.0
	v_rcp_f64_e32 v[50:51], v[44:45]
	s_nop 0
	v_fma_f64 v[52:53], -v[44:45], v[50:51], 1.0
	v_fmac_f64_e32 v[50:51], v[50:51], v[52:53]
	v_fma_f64 v[52:53], -v[44:45], v[50:51], 1.0
	v_fmac_f64_e32 v[50:51], v[50:51], v[52:53]
	v_div_scale_f64 v[52:53], vcc, 1.0, v[46:47], 1.0
	v_mul_f64 v[54:55], v[52:53], v[50:51]
	v_fma_f64 v[44:45], -v[44:45], v[54:55], v[52:53]
	s_nop 1
	v_div_fmas_f64 v[44:45], v[44:45], v[50:51], v[54:55]
	v_div_fixup_f64 v[50:51], v[44:45], v[46:47], 1.0
	v_mul_f64 v[48:49], v[48:49], v[50:51]
	v_xor_b32_e32 v51, 0x80000000, v51
                                        ; implicit-def: $vgpr44_vgpr45
.LBB15_32:
	s_andn2_saveexec_b64 s[2:3], s[2:3]
	s_cbranch_execz .LBB15_34
; %bb.33:
	v_div_scale_f64 v[48:49], s[8:9], v[44:45], v[44:45], v[46:47]
	v_rcp_f64_e32 v[50:51], v[48:49]
	v_div_scale_f64 v[52:53], vcc, v[46:47], v[44:45], v[46:47]
	v_fma_f64 v[54:55], -v[48:49], v[50:51], 1.0
	v_fmac_f64_e32 v[50:51], v[50:51], v[54:55]
	v_fma_f64 v[54:55], -v[48:49], v[50:51], 1.0
	v_fmac_f64_e32 v[50:51], v[50:51], v[54:55]
	v_mul_f64 v[54:55], v[52:53], v[50:51]
	v_fma_f64 v[48:49], -v[48:49], v[54:55], v[52:53]
	v_div_fmas_f64 v[48:49], v[48:49], v[50:51], v[54:55]
	v_div_fixup_f64 v[50:51], v[48:49], v[44:45], v[46:47]
	v_fmac_f64_e32 v[44:45], v[46:47], v[50:51]
	v_div_scale_f64 v[46:47], s[8:9], v[44:45], v[44:45], 1.0
	v_rcp_f64_e32 v[48:49], v[46:47]
	s_nop 0
	v_fma_f64 v[52:53], -v[46:47], v[48:49], 1.0
	v_fmac_f64_e32 v[48:49], v[48:49], v[52:53]
	v_fma_f64 v[52:53], -v[46:47], v[48:49], 1.0
	v_fmac_f64_e32 v[48:49], v[48:49], v[52:53]
	v_div_scale_f64 v[52:53], vcc, 1.0, v[44:45], 1.0
	v_mul_f64 v[54:55], v[52:53], v[48:49]
	v_fma_f64 v[46:47], -v[46:47], v[54:55], v[52:53]
	s_nop 1
	v_div_fmas_f64 v[46:47], v[46:47], v[48:49], v[54:55]
	v_div_fixup_f64 v[48:49], v[46:47], v[44:45], 1.0
	v_mul_f64 v[50:51], v[50:51], -v[48:49]
.LBB15_34:
	s_or_b64 exec, exec, s[2:3]
	ds_write2_b64 v83, v[48:49], v[50:51] offset1:1
.LBB15_35:
	s_or_b64 exec, exec, s[4:5]
	s_waitcnt lgkmcnt(0)
	s_barrier
	ds_read2_b64 v[44:47], v83 offset1:1
	v_cmp_lt_u32_e32 vcc, 3, v82
	s_and_saveexec_b64 s[2:3], vcc
	s_cbranch_execz .LBB15_37
; %bb.36:
	ds_read2_b64 v[48:51], v84 offset0:8 offset1:9
	s_waitcnt vmcnt(4) lgkmcnt(1)
	v_mul_f64 v[52:53], v[44:45], v[10:11]
	v_fmac_f64_e32 v[52:53], v[46:47], v[8:9]
	v_mul_f64 v[10:11], v[46:47], v[10:11]
	v_fma_f64 v[8:9], v[44:45], v[8:9], -v[10:11]
	s_waitcnt lgkmcnt(0)
	v_mul_f64 v[10:11], v[50:51], v[52:53]
	v_fma_f64 v[10:11], v[48:49], v[8:9], -v[10:11]
	v_mul_f64 v[48:49], v[48:49], v[52:53]
	v_fmac_f64_e32 v[48:49], v[50:51], v[8:9]
	s_waitcnt vmcnt(3)
	v_add_f64 v[22:23], v[22:23], -v[48:49]
	ds_read2_b64 v[48:51], v84 offset0:10 offset1:11
	v_add_f64 v[20:21], v[20:21], -v[10:11]
	s_waitcnt lgkmcnt(0)
	v_mul_f64 v[10:11], v[50:51], v[52:53]
	v_fma_f64 v[10:11], v[48:49], v[8:9], -v[10:11]
	v_mul_f64 v[48:49], v[48:49], v[52:53]
	v_fmac_f64_e32 v[48:49], v[50:51], v[8:9]
	s_waitcnt vmcnt(2)
	v_add_f64 v[18:19], v[18:19], -v[48:49]
	ds_read2_b64 v[48:51], v84 offset0:12 offset1:13
	v_add_f64 v[16:17], v[16:17], -v[10:11]
	;; [unrolled: 9-line block ×3, first 2 shown]
	s_waitcnt lgkmcnt(0)
	v_mul_f64 v[10:11], v[50:51], v[52:53]
	v_fma_f64 v[10:11], v[48:49], v[8:9], -v[10:11]
	v_mul_f64 v[48:49], v[48:49], v[52:53]
	v_fmac_f64_e32 v[48:49], v[50:51], v[8:9]
	s_waitcnt vmcnt(0)
	v_add_f64 v[28:29], v[28:29], -v[10:11]
	v_add_f64 v[30:31], v[30:31], -v[48:49]
	v_mov_b64_e32 v[10:11], v[52:53]
.LBB15_37:
	s_or_b64 exec, exec, s[2:3]
	v_cmp_eq_u32_e32 vcc, 4, v82
	s_waitcnt lgkmcnt(0)
	s_barrier
	s_and_saveexec_b64 s[4:5], vcc
	s_cbranch_execz .LBB15_44
; %bb.38:
	s_waitcnt vmcnt(3)
	ds_write2_b64 v83, v[20:21], v[22:23] offset1:1
	s_waitcnt vmcnt(2)
	ds_write2_b64 v84, v[16:17], v[18:19] offset0:10 offset1:11
	s_waitcnt vmcnt(1)
	ds_write2_b64 v84, v[24:25], v[26:27] offset0:12 offset1:13
	;; [unrolled: 2-line block ×3, first 2 shown]
	ds_read2_b64 v[48:51], v83 offset1:1
	s_waitcnt lgkmcnt(0)
	v_cmp_neq_f64_e32 vcc, 0, v[48:49]
	v_cmp_neq_f64_e64 s[2:3], 0, v[50:51]
	s_or_b64 s[2:3], vcc, s[2:3]
	s_and_b64 exec, exec, s[2:3]
	s_cbranch_execz .LBB15_44
; %bb.39:
	v_cmp_ngt_f64_e64 s[2:3], |v[48:49]|, |v[50:51]|
                                        ; implicit-def: $vgpr52_vgpr53
	s_and_saveexec_b64 s[8:9], s[2:3]
	s_xor_b64 s[2:3], exec, s[8:9]
                                        ; implicit-def: $vgpr54_vgpr55
	s_cbranch_execz .LBB15_41
; %bb.40:
	v_div_scale_f64 v[52:53], s[8:9], v[50:51], v[50:51], v[48:49]
	v_rcp_f64_e32 v[54:55], v[52:53]
	v_div_scale_f64 v[56:57], vcc, v[48:49], v[50:51], v[48:49]
	v_fma_f64 v[58:59], -v[52:53], v[54:55], 1.0
	v_fmac_f64_e32 v[54:55], v[54:55], v[58:59]
	v_fma_f64 v[58:59], -v[52:53], v[54:55], 1.0
	v_fmac_f64_e32 v[54:55], v[54:55], v[58:59]
	v_mul_f64 v[58:59], v[56:57], v[54:55]
	v_fma_f64 v[52:53], -v[52:53], v[58:59], v[56:57]
	v_div_fmas_f64 v[52:53], v[52:53], v[54:55], v[58:59]
	v_div_fixup_f64 v[52:53], v[52:53], v[50:51], v[48:49]
	v_fmac_f64_e32 v[50:51], v[48:49], v[52:53]
	v_div_scale_f64 v[48:49], s[8:9], v[50:51], v[50:51], 1.0
	v_rcp_f64_e32 v[54:55], v[48:49]
	s_nop 0
	v_fma_f64 v[56:57], -v[48:49], v[54:55], 1.0
	v_fmac_f64_e32 v[54:55], v[54:55], v[56:57]
	v_fma_f64 v[56:57], -v[48:49], v[54:55], 1.0
	v_fmac_f64_e32 v[54:55], v[54:55], v[56:57]
	v_div_scale_f64 v[56:57], vcc, 1.0, v[50:51], 1.0
	v_mul_f64 v[58:59], v[56:57], v[54:55]
	v_fma_f64 v[48:49], -v[48:49], v[58:59], v[56:57]
	s_nop 1
	v_div_fmas_f64 v[48:49], v[48:49], v[54:55], v[58:59]
	v_div_fixup_f64 v[54:55], v[48:49], v[50:51], 1.0
	v_mul_f64 v[52:53], v[52:53], v[54:55]
	v_xor_b32_e32 v55, 0x80000000, v55
                                        ; implicit-def: $vgpr48_vgpr49
.LBB15_41:
	s_andn2_saveexec_b64 s[2:3], s[2:3]
	s_cbranch_execz .LBB15_43
; %bb.42:
	v_div_scale_f64 v[52:53], s[8:9], v[48:49], v[48:49], v[50:51]
	v_rcp_f64_e32 v[54:55], v[52:53]
	v_div_scale_f64 v[56:57], vcc, v[50:51], v[48:49], v[50:51]
	v_fma_f64 v[58:59], -v[52:53], v[54:55], 1.0
	v_fmac_f64_e32 v[54:55], v[54:55], v[58:59]
	v_fma_f64 v[58:59], -v[52:53], v[54:55], 1.0
	v_fmac_f64_e32 v[54:55], v[54:55], v[58:59]
	v_mul_f64 v[58:59], v[56:57], v[54:55]
	v_fma_f64 v[52:53], -v[52:53], v[58:59], v[56:57]
	v_div_fmas_f64 v[52:53], v[52:53], v[54:55], v[58:59]
	v_div_fixup_f64 v[54:55], v[52:53], v[48:49], v[50:51]
	v_fmac_f64_e32 v[48:49], v[50:51], v[54:55]
	v_div_scale_f64 v[50:51], s[8:9], v[48:49], v[48:49], 1.0
	v_rcp_f64_e32 v[52:53], v[50:51]
	s_nop 0
	v_fma_f64 v[56:57], -v[50:51], v[52:53], 1.0
	v_fmac_f64_e32 v[52:53], v[52:53], v[56:57]
	v_fma_f64 v[56:57], -v[50:51], v[52:53], 1.0
	v_fmac_f64_e32 v[52:53], v[52:53], v[56:57]
	v_div_scale_f64 v[56:57], vcc, 1.0, v[48:49], 1.0
	v_mul_f64 v[58:59], v[56:57], v[52:53]
	v_fma_f64 v[50:51], -v[50:51], v[58:59], v[56:57]
	s_nop 1
	v_div_fmas_f64 v[50:51], v[50:51], v[52:53], v[58:59]
	v_div_fixup_f64 v[52:53], v[50:51], v[48:49], 1.0
	v_mul_f64 v[54:55], v[54:55], -v[52:53]
.LBB15_43:
	s_or_b64 exec, exec, s[2:3]
	ds_write2_b64 v83, v[52:53], v[54:55] offset1:1
.LBB15_44:
	s_or_b64 exec, exec, s[4:5]
	s_waitcnt lgkmcnt(0)
	s_barrier
	ds_read2_b64 v[48:51], v83 offset1:1
	v_cmp_lt_u32_e32 vcc, 4, v82
	s_and_saveexec_b64 s[2:3], vcc
	s_cbranch_execz .LBB15_46
; %bb.45:
	ds_read2_b64 v[52:55], v84 offset0:10 offset1:11
	ds_read2_b64 v[56:59], v84 offset0:12 offset1:13
	s_waitcnt vmcnt(3) lgkmcnt(2)
	v_mul_f64 v[60:61], v[48:49], v[22:23]
	v_fmac_f64_e32 v[60:61], v[50:51], v[20:21]
	v_mul_f64 v[22:23], v[50:51], v[22:23]
	v_fma_f64 v[20:21], v[48:49], v[20:21], -v[22:23]
	s_waitcnt lgkmcnt(1)
	v_mul_f64 v[22:23], v[54:55], v[60:61]
	v_fma_f64 v[22:23], v[52:53], v[20:21], -v[22:23]
	v_mul_f64 v[52:53], v[52:53], v[60:61]
	v_fmac_f64_e32 v[52:53], v[54:55], v[20:21]
	s_waitcnt vmcnt(2)
	v_add_f64 v[18:19], v[18:19], -v[52:53]
	ds_read2_b64 v[52:55], v84 offset0:14 offset1:15
	v_add_f64 v[16:17], v[16:17], -v[22:23]
	s_waitcnt lgkmcnt(1)
	v_mul_f64 v[22:23], v[58:59], v[60:61]
	v_fma_f64 v[22:23], v[56:57], v[20:21], -v[22:23]
	s_waitcnt vmcnt(1)
	v_add_f64 v[24:25], v[24:25], -v[22:23]
	s_waitcnt lgkmcnt(0)
	v_mul_f64 v[22:23], v[54:55], v[60:61]
	v_mul_f64 v[56:57], v[56:57], v[60:61]
	v_fma_f64 v[22:23], v[52:53], v[20:21], -v[22:23]
	v_mul_f64 v[52:53], v[52:53], v[60:61]
	v_fmac_f64_e32 v[56:57], v[58:59], v[20:21]
	v_fmac_f64_e32 v[52:53], v[54:55], v[20:21]
	v_add_f64 v[26:27], v[26:27], -v[56:57]
	s_waitcnt vmcnt(0)
	v_add_f64 v[28:29], v[28:29], -v[22:23]
	v_add_f64 v[30:31], v[30:31], -v[52:53]
	v_mov_b64_e32 v[22:23], v[60:61]
.LBB15_46:
	s_or_b64 exec, exec, s[2:3]
	v_cmp_eq_u32_e32 vcc, 5, v82
	s_waitcnt lgkmcnt(0)
	s_barrier
	s_and_saveexec_b64 s[4:5], vcc
	s_cbranch_execz .LBB15_53
; %bb.47:
	s_waitcnt vmcnt(2)
	ds_write2_b64 v83, v[16:17], v[18:19] offset1:1
	s_waitcnt vmcnt(1)
	ds_write2_b64 v84, v[24:25], v[26:27] offset0:12 offset1:13
	s_waitcnt vmcnt(0)
	ds_write2_b64 v84, v[28:29], v[30:31] offset0:14 offset1:15
	ds_read2_b64 v[52:55], v83 offset1:1
	s_waitcnt lgkmcnt(0)
	v_cmp_neq_f64_e32 vcc, 0, v[52:53]
	v_cmp_neq_f64_e64 s[2:3], 0, v[54:55]
	s_or_b64 s[2:3], vcc, s[2:3]
	s_and_b64 exec, exec, s[2:3]
	s_cbranch_execz .LBB15_53
; %bb.48:
	v_cmp_ngt_f64_e64 s[2:3], |v[52:53]|, |v[54:55]|
                                        ; implicit-def: $vgpr56_vgpr57
	s_and_saveexec_b64 s[8:9], s[2:3]
	s_xor_b64 s[2:3], exec, s[8:9]
                                        ; implicit-def: $vgpr58_vgpr59
	s_cbranch_execz .LBB15_50
; %bb.49:
	v_div_scale_f64 v[56:57], s[8:9], v[54:55], v[54:55], v[52:53]
	v_rcp_f64_e32 v[58:59], v[56:57]
	v_div_scale_f64 v[60:61], vcc, v[52:53], v[54:55], v[52:53]
	v_fma_f64 v[62:63], -v[56:57], v[58:59], 1.0
	v_fmac_f64_e32 v[58:59], v[58:59], v[62:63]
	v_fma_f64 v[62:63], -v[56:57], v[58:59], 1.0
	v_fmac_f64_e32 v[58:59], v[58:59], v[62:63]
	v_mul_f64 v[62:63], v[60:61], v[58:59]
	v_fma_f64 v[56:57], -v[56:57], v[62:63], v[60:61]
	v_div_fmas_f64 v[56:57], v[56:57], v[58:59], v[62:63]
	v_div_fixup_f64 v[56:57], v[56:57], v[54:55], v[52:53]
	v_fmac_f64_e32 v[54:55], v[52:53], v[56:57]
	v_div_scale_f64 v[52:53], s[8:9], v[54:55], v[54:55], 1.0
	v_rcp_f64_e32 v[58:59], v[52:53]
	s_nop 0
	v_fma_f64 v[60:61], -v[52:53], v[58:59], 1.0
	v_fmac_f64_e32 v[58:59], v[58:59], v[60:61]
	v_fma_f64 v[60:61], -v[52:53], v[58:59], 1.0
	v_fmac_f64_e32 v[58:59], v[58:59], v[60:61]
	v_div_scale_f64 v[60:61], vcc, 1.0, v[54:55], 1.0
	v_mul_f64 v[62:63], v[60:61], v[58:59]
	v_fma_f64 v[52:53], -v[52:53], v[62:63], v[60:61]
	s_nop 1
	v_div_fmas_f64 v[52:53], v[52:53], v[58:59], v[62:63]
	v_div_fixup_f64 v[58:59], v[52:53], v[54:55], 1.0
	v_mul_f64 v[56:57], v[56:57], v[58:59]
	v_xor_b32_e32 v59, 0x80000000, v59
                                        ; implicit-def: $vgpr52_vgpr53
.LBB15_50:
	s_andn2_saveexec_b64 s[2:3], s[2:3]
	s_cbranch_execz .LBB15_52
; %bb.51:
	v_div_scale_f64 v[56:57], s[8:9], v[52:53], v[52:53], v[54:55]
	v_rcp_f64_e32 v[58:59], v[56:57]
	v_div_scale_f64 v[60:61], vcc, v[54:55], v[52:53], v[54:55]
	v_fma_f64 v[62:63], -v[56:57], v[58:59], 1.0
	v_fmac_f64_e32 v[58:59], v[58:59], v[62:63]
	v_fma_f64 v[62:63], -v[56:57], v[58:59], 1.0
	v_fmac_f64_e32 v[58:59], v[58:59], v[62:63]
	v_mul_f64 v[62:63], v[60:61], v[58:59]
	v_fma_f64 v[56:57], -v[56:57], v[62:63], v[60:61]
	v_div_fmas_f64 v[56:57], v[56:57], v[58:59], v[62:63]
	v_div_fixup_f64 v[58:59], v[56:57], v[52:53], v[54:55]
	v_fmac_f64_e32 v[52:53], v[54:55], v[58:59]
	v_div_scale_f64 v[54:55], s[8:9], v[52:53], v[52:53], 1.0
	v_rcp_f64_e32 v[56:57], v[54:55]
	s_nop 0
	v_fma_f64 v[60:61], -v[54:55], v[56:57], 1.0
	v_fmac_f64_e32 v[56:57], v[56:57], v[60:61]
	v_fma_f64 v[60:61], -v[54:55], v[56:57], 1.0
	v_fmac_f64_e32 v[56:57], v[56:57], v[60:61]
	v_div_scale_f64 v[60:61], vcc, 1.0, v[52:53], 1.0
	v_mul_f64 v[62:63], v[60:61], v[56:57]
	v_fma_f64 v[54:55], -v[54:55], v[62:63], v[60:61]
	s_nop 1
	v_div_fmas_f64 v[54:55], v[54:55], v[56:57], v[62:63]
	v_div_fixup_f64 v[56:57], v[54:55], v[52:53], 1.0
	v_mul_f64 v[58:59], v[58:59], -v[56:57]
.LBB15_52:
	s_or_b64 exec, exec, s[2:3]
	ds_write2_b64 v83, v[56:57], v[58:59] offset1:1
.LBB15_53:
	s_or_b64 exec, exec, s[4:5]
	s_waitcnt lgkmcnt(0)
	s_barrier
	ds_read2_b64 v[52:55], v83 offset1:1
	v_cmp_lt_u32_e32 vcc, 5, v82
	s_and_saveexec_b64 s[2:3], vcc
	s_cbranch_execz .LBB15_55
; %bb.54:
	ds_read2_b64 v[56:59], v84 offset0:12 offset1:13
	ds_read2_b64 v[60:63], v84 offset0:14 offset1:15
	s_waitcnt vmcnt(2) lgkmcnt(2)
	v_mul_f64 v[86:87], v[52:53], v[18:19]
	v_fmac_f64_e32 v[86:87], v[54:55], v[16:17]
	v_mul_f64 v[18:19], v[54:55], v[18:19]
	v_fma_f64 v[16:17], v[52:53], v[16:17], -v[18:19]
	s_waitcnt lgkmcnt(1)
	v_mul_f64 v[18:19], v[58:59], v[86:87]
	v_fma_f64 v[18:19], v[56:57], v[16:17], -v[18:19]
	v_mul_f64 v[56:57], v[56:57], v[86:87]
	v_fmac_f64_e32 v[56:57], v[58:59], v[16:17]
	s_waitcnt vmcnt(1)
	v_add_f64 v[24:25], v[24:25], -v[18:19]
	v_add_f64 v[26:27], v[26:27], -v[56:57]
	s_waitcnt lgkmcnt(0)
	v_mul_f64 v[18:19], v[62:63], v[86:87]
	v_mul_f64 v[56:57], v[60:61], v[86:87]
	v_fma_f64 v[18:19], v[60:61], v[16:17], -v[18:19]
	v_fmac_f64_e32 v[56:57], v[62:63], v[16:17]
	s_waitcnt vmcnt(0)
	v_add_f64 v[28:29], v[28:29], -v[18:19]
	v_add_f64 v[30:31], v[30:31], -v[56:57]
	v_mov_b64_e32 v[18:19], v[86:87]
.LBB15_55:
	s_or_b64 exec, exec, s[2:3]
	v_cmp_eq_u32_e32 vcc, 6, v82
	s_waitcnt lgkmcnt(0)
	s_barrier
	s_and_saveexec_b64 s[4:5], vcc
	s_cbranch_execz .LBB15_62
; %bb.56:
	s_waitcnt vmcnt(1)
	ds_write2_b64 v83, v[24:25], v[26:27] offset1:1
	s_waitcnt vmcnt(0)
	ds_write2_b64 v84, v[28:29], v[30:31] offset0:14 offset1:15
	ds_read2_b64 v[56:59], v83 offset1:1
	s_waitcnt lgkmcnt(0)
	v_cmp_neq_f64_e32 vcc, 0, v[56:57]
	v_cmp_neq_f64_e64 s[2:3], 0, v[58:59]
	s_or_b64 s[2:3], vcc, s[2:3]
	s_and_b64 exec, exec, s[2:3]
	s_cbranch_execz .LBB15_62
; %bb.57:
	v_cmp_ngt_f64_e64 s[2:3], |v[56:57]|, |v[58:59]|
                                        ; implicit-def: $vgpr60_vgpr61
	s_and_saveexec_b64 s[8:9], s[2:3]
	s_xor_b64 s[2:3], exec, s[8:9]
                                        ; implicit-def: $vgpr62_vgpr63
	s_cbranch_execz .LBB15_59
; %bb.58:
	v_div_scale_f64 v[60:61], s[8:9], v[58:59], v[58:59], v[56:57]
	v_rcp_f64_e32 v[62:63], v[60:61]
	v_div_scale_f64 v[86:87], vcc, v[56:57], v[58:59], v[56:57]
	v_fma_f64 v[88:89], -v[60:61], v[62:63], 1.0
	v_fmac_f64_e32 v[62:63], v[62:63], v[88:89]
	v_fma_f64 v[88:89], -v[60:61], v[62:63], 1.0
	v_fmac_f64_e32 v[62:63], v[62:63], v[88:89]
	v_mul_f64 v[88:89], v[86:87], v[62:63]
	v_fma_f64 v[60:61], -v[60:61], v[88:89], v[86:87]
	v_div_fmas_f64 v[60:61], v[60:61], v[62:63], v[88:89]
	v_div_fixup_f64 v[60:61], v[60:61], v[58:59], v[56:57]
	v_fmac_f64_e32 v[58:59], v[56:57], v[60:61]
	v_div_scale_f64 v[56:57], s[8:9], v[58:59], v[58:59], 1.0
	v_rcp_f64_e32 v[62:63], v[56:57]
	s_nop 0
	v_fma_f64 v[86:87], -v[56:57], v[62:63], 1.0
	v_fmac_f64_e32 v[62:63], v[62:63], v[86:87]
	v_fma_f64 v[86:87], -v[56:57], v[62:63], 1.0
	v_fmac_f64_e32 v[62:63], v[62:63], v[86:87]
	v_div_scale_f64 v[86:87], vcc, 1.0, v[58:59], 1.0
	v_mul_f64 v[88:89], v[86:87], v[62:63]
	v_fma_f64 v[56:57], -v[56:57], v[88:89], v[86:87]
	s_nop 1
	v_div_fmas_f64 v[56:57], v[56:57], v[62:63], v[88:89]
	v_div_fixup_f64 v[62:63], v[56:57], v[58:59], 1.0
	v_mul_f64 v[60:61], v[60:61], v[62:63]
	v_xor_b32_e32 v63, 0x80000000, v63
                                        ; implicit-def: $vgpr56_vgpr57
.LBB15_59:
	s_andn2_saveexec_b64 s[2:3], s[2:3]
	s_cbranch_execz .LBB15_61
; %bb.60:
	v_div_scale_f64 v[60:61], s[8:9], v[56:57], v[56:57], v[58:59]
	v_rcp_f64_e32 v[62:63], v[60:61]
	v_div_scale_f64 v[86:87], vcc, v[58:59], v[56:57], v[58:59]
	v_fma_f64 v[88:89], -v[60:61], v[62:63], 1.0
	v_fmac_f64_e32 v[62:63], v[62:63], v[88:89]
	v_fma_f64 v[88:89], -v[60:61], v[62:63], 1.0
	v_fmac_f64_e32 v[62:63], v[62:63], v[88:89]
	v_mul_f64 v[88:89], v[86:87], v[62:63]
	v_fma_f64 v[60:61], -v[60:61], v[88:89], v[86:87]
	v_div_fmas_f64 v[60:61], v[60:61], v[62:63], v[88:89]
	v_div_fixup_f64 v[62:63], v[60:61], v[56:57], v[58:59]
	v_fmac_f64_e32 v[56:57], v[58:59], v[62:63]
	v_div_scale_f64 v[58:59], s[8:9], v[56:57], v[56:57], 1.0
	v_rcp_f64_e32 v[60:61], v[58:59]
	s_nop 0
	v_fma_f64 v[86:87], -v[58:59], v[60:61], 1.0
	v_fmac_f64_e32 v[60:61], v[60:61], v[86:87]
	v_fma_f64 v[86:87], -v[58:59], v[60:61], 1.0
	v_fmac_f64_e32 v[60:61], v[60:61], v[86:87]
	v_div_scale_f64 v[86:87], vcc, 1.0, v[56:57], 1.0
	v_mul_f64 v[88:89], v[86:87], v[60:61]
	v_fma_f64 v[58:59], -v[58:59], v[88:89], v[86:87]
	s_nop 1
	v_div_fmas_f64 v[58:59], v[58:59], v[60:61], v[88:89]
	v_div_fixup_f64 v[60:61], v[58:59], v[56:57], 1.0
	v_mul_f64 v[62:63], v[62:63], -v[60:61]
.LBB15_61:
	s_or_b64 exec, exec, s[2:3]
	ds_write2_b64 v83, v[60:61], v[62:63] offset1:1
.LBB15_62:
	s_or_b64 exec, exec, s[4:5]
	s_waitcnt lgkmcnt(0)
	s_barrier
	ds_read2_b64 v[56:59], v83 offset1:1
	v_cmp_lt_u32_e32 vcc, 6, v82
	s_and_saveexec_b64 s[2:3], vcc
	s_cbranch_execz .LBB15_64
; %bb.63:
	ds_read2_b64 v[60:63], v84 offset0:14 offset1:15
	s_waitcnt vmcnt(1) lgkmcnt(1)
	v_mul_f64 v[84:85], v[56:57], v[26:27]
	v_mul_f64 v[26:27], v[58:59], v[26:27]
	v_fmac_f64_e32 v[84:85], v[58:59], v[24:25]
	v_fma_f64 v[24:25], v[56:57], v[24:25], -v[26:27]
	s_waitcnt lgkmcnt(0)
	v_mul_f64 v[26:27], v[62:63], v[84:85]
	v_fma_f64 v[26:27], v[60:61], v[24:25], -v[26:27]
	v_mul_f64 v[60:61], v[60:61], v[84:85]
	v_fmac_f64_e32 v[60:61], v[62:63], v[24:25]
	s_waitcnt vmcnt(0)
	v_add_f64 v[28:29], v[28:29], -v[26:27]
	v_add_f64 v[30:31], v[30:31], -v[60:61]
	v_mov_b64_e32 v[26:27], v[84:85]
.LBB15_64:
	s_or_b64 exec, exec, s[2:3]
	v_cmp_eq_u32_e32 vcc, 7, v82
	s_waitcnt lgkmcnt(0)
	s_barrier
	s_and_saveexec_b64 s[4:5], vcc
	s_cbranch_execz .LBB15_71
; %bb.65:
	s_waitcnt vmcnt(0)
	v_cmp_neq_f64_e32 vcc, 0, v[28:29]
	v_cmp_neq_f64_e64 s[2:3], 0, v[30:31]
	s_or_b64 s[2:3], vcc, s[2:3]
	ds_write2_b64 v83, v[28:29], v[30:31] offset1:1
	s_and_b64 exec, exec, s[2:3]
	s_cbranch_execz .LBB15_71
; %bb.66:
	v_cmp_ngt_f64_e64 s[2:3], |v[28:29]|, |v[30:31]|
                                        ; implicit-def: $vgpr60_vgpr61
	s_and_saveexec_b64 s[8:9], s[2:3]
	s_xor_b64 s[2:3], exec, s[8:9]
                                        ; implicit-def: $vgpr62_vgpr63
	s_cbranch_execz .LBB15_68
; %bb.67:
	v_div_scale_f64 v[60:61], s[8:9], v[30:31], v[30:31], v[28:29]
	v_rcp_f64_e32 v[62:63], v[60:61]
	v_div_scale_f64 v[84:85], vcc, v[28:29], v[30:31], v[28:29]
	v_fma_f64 v[86:87], -v[60:61], v[62:63], 1.0
	v_fmac_f64_e32 v[62:63], v[62:63], v[86:87]
	v_fma_f64 v[86:87], -v[60:61], v[62:63], 1.0
	v_fmac_f64_e32 v[62:63], v[62:63], v[86:87]
	v_mul_f64 v[86:87], v[84:85], v[62:63]
	v_fma_f64 v[60:61], -v[60:61], v[86:87], v[84:85]
	v_div_fmas_f64 v[60:61], v[60:61], v[62:63], v[86:87]
	v_div_fixup_f64 v[60:61], v[60:61], v[30:31], v[28:29]
	v_fma_f64 v[62:63], v[28:29], v[60:61], v[30:31]
	v_div_scale_f64 v[84:85], s[8:9], v[62:63], v[62:63], 1.0
	v_rcp_f64_e32 v[86:87], v[84:85]
	s_nop 0
	v_fma_f64 v[88:89], -v[84:85], v[86:87], 1.0
	v_fmac_f64_e32 v[86:87], v[86:87], v[88:89]
	v_fma_f64 v[88:89], -v[84:85], v[86:87], 1.0
	v_fmac_f64_e32 v[86:87], v[86:87], v[88:89]
	v_div_scale_f64 v[88:89], vcc, 1.0, v[62:63], 1.0
	v_mul_f64 v[90:91], v[88:89], v[86:87]
	v_fma_f64 v[84:85], -v[84:85], v[90:91], v[88:89]
	s_nop 1
	v_div_fmas_f64 v[84:85], v[84:85], v[86:87], v[90:91]
	v_div_fixup_f64 v[62:63], v[84:85], v[62:63], 1.0
	v_mul_f64 v[60:61], v[60:61], v[62:63]
	v_xor_b32_e32 v63, 0x80000000, v63
.LBB15_68:
	s_andn2_saveexec_b64 s[2:3], s[2:3]
	s_cbranch_execz .LBB15_70
; %bb.69:
	v_div_scale_f64 v[60:61], s[8:9], v[28:29], v[28:29], v[30:31]
	v_rcp_f64_e32 v[62:63], v[60:61]
	v_div_scale_f64 v[84:85], vcc, v[30:31], v[28:29], v[30:31]
	v_fma_f64 v[86:87], -v[60:61], v[62:63], 1.0
	v_fmac_f64_e32 v[62:63], v[62:63], v[86:87]
	v_fma_f64 v[86:87], -v[60:61], v[62:63], 1.0
	v_fmac_f64_e32 v[62:63], v[62:63], v[86:87]
	v_mul_f64 v[86:87], v[84:85], v[62:63]
	v_fma_f64 v[60:61], -v[60:61], v[86:87], v[84:85]
	v_div_fmas_f64 v[60:61], v[60:61], v[62:63], v[86:87]
	v_div_fixup_f64 v[62:63], v[60:61], v[28:29], v[30:31]
	v_fma_f64 v[60:61], v[30:31], v[62:63], v[28:29]
	v_div_scale_f64 v[84:85], s[8:9], v[60:61], v[60:61], 1.0
	v_rcp_f64_e32 v[86:87], v[84:85]
	s_nop 0
	v_fma_f64 v[88:89], -v[84:85], v[86:87], 1.0
	v_fmac_f64_e32 v[86:87], v[86:87], v[88:89]
	v_fma_f64 v[88:89], -v[84:85], v[86:87], 1.0
	v_fmac_f64_e32 v[86:87], v[86:87], v[88:89]
	v_div_scale_f64 v[88:89], vcc, 1.0, v[60:61], 1.0
	v_mul_f64 v[90:91], v[88:89], v[86:87]
	v_fma_f64 v[84:85], -v[84:85], v[90:91], v[88:89]
	s_nop 1
	v_div_fmas_f64 v[84:85], v[84:85], v[86:87], v[90:91]
	v_div_fixup_f64 v[60:61], v[84:85], v[60:61], 1.0
	v_mul_f64 v[62:63], v[62:63], -v[60:61]
.LBB15_70:
	s_or_b64 exec, exec, s[2:3]
	ds_write2_b64 v83, v[60:61], v[62:63] offset1:1
.LBB15_71:
	s_or_b64 exec, exec, s[4:5]
	s_waitcnt lgkmcnt(0)
	s_barrier
	ds_read2_b64 v[60:63], v83 offset1:1
	s_waitcnt lgkmcnt(0)
	s_barrier
	s_and_saveexec_b64 s[34:35], s[0:1]
	s_cbranch_execz .LBB15_74
; %bb.72:
	v_mov_b32_e32 v84, s6
	v_mov_b32_e32 v85, s7
	v_lshl_add_u64 v[76:77], v[76:77], 2, v[84:85]
	global_load_dword v83, v[76:77], off
	v_cmp_eq_f64_e32 vcc, 0, v[32:33]
	v_cmp_eq_f64_e64 s[0:1], 0, v[34:35]
	v_cmp_neq_f64_e64 s[2:3], 0, v[36:37]
	v_cmp_neq_f64_e64 s[4:5], 0, v[38:39]
	s_and_b64 s[0:1], vcc, s[0:1]
	s_or_b64 s[2:3], s[2:3], s[4:5]
	v_cndmask_b32_e64 v32, 0, 1, s[0:1]
	s_or_b64 vcc, s[2:3], s[0:1]
	v_cmp_eq_f64_e64 s[6:7], 0, v[40:41]
	v_cmp_eq_f64_e64 s[8:9], 0, v[42:43]
	v_cndmask_b32_e32 v32, 2, v32, vcc
	s_and_b64 s[4:5], s[6:7], s[8:9]
	v_cmp_eq_u32_e32 vcc, 0, v32
	s_and_b64 s[0:1], s[4:5], vcc
	v_cmp_eq_f64_e64 s[10:11], 0, v[44:45]
	v_cmp_eq_f64_e64 s[12:13], 0, v[46:47]
	v_cndmask_b32_e64 v32, v32, 3, s[0:1]
	s_and_b64 s[6:7], s[10:11], s[12:13]
	v_cmp_eq_u32_e32 vcc, 0, v32
	s_and_b64 s[0:1], s[6:7], vcc
	v_cmp_eq_f64_e64 s[14:15], 0, v[48:49]
	v_cmp_eq_f64_e64 s[16:17], 0, v[50:51]
	v_cndmask_b32_e64 v32, v32, 4, s[0:1]
	;; [unrolled: 6-line block ×5, first 2 shown]
	s_and_b64 s[14:15], s[26:27], s[28:29]
	v_cmp_eq_u32_e32 vcc, 0, v32
	s_and_b64 s[0:1], s[14:15], vcc
	v_cndmask_b32_e64 v32, v32, 8, s[0:1]
	v_cmp_ne_u32_e64 s[0:1], 0, v32
	s_waitcnt vmcnt(0)
	v_cmp_eq_u32_e32 vcc, 0, v83
	s_and_b64 s[0:1], vcc, s[0:1]
	s_and_b64 exec, exec, s[0:1]
	s_cbranch_execz .LBB15_74
; %bb.73:
	v_add_u32_e32 v32, s31, v32
	global_store_dword v[76:77], v32, off
.LBB15_74:
	s_or_b64 exec, exec, s[34:35]
	s_waitcnt vmcnt(0)
	v_mul_f64 v[32:33], v[62:63], v[30:31]
	v_mul_f64 v[34:35], v[60:61], v[30:31]
	v_fma_f64 v[32:33], v[60:61], v[28:29], -v[32:33]
	v_fmac_f64_e32 v[34:35], v[62:63], v[28:29]
	v_cmp_lt_u32_e32 vcc, 7, v82
	s_nop 1
	v_cndmask_b32_e32 v31, v31, v35, vcc
	v_cndmask_b32_e32 v30, v30, v34, vcc
	;; [unrolled: 1-line block ×4, first 2 shown]
	global_store_dwordx4 v[64:65], v[4:7], off
	global_store_dwordx4 v[66:67], v[0:3], off
	;; [unrolled: 1-line block ×8, first 2 shown]
.LBB15_75:
	s_endpgm
	.section	.rodata,"a",@progbits
	.p2align	6, 0x0
	.amdhsa_kernel _ZN9rocsolver6v33100L23getf2_npvt_small_kernelILi8E19rocblas_complex_numIdEiiPS3_EEvT1_T3_lS5_lPT2_S5_S5_
		.amdhsa_group_segment_fixed_size 0
		.amdhsa_private_segment_fixed_size 0
		.amdhsa_kernarg_size 312
		.amdhsa_user_sgpr_count 2
		.amdhsa_user_sgpr_dispatch_ptr 0
		.amdhsa_user_sgpr_queue_ptr 0
		.amdhsa_user_sgpr_kernarg_segment_ptr 1
		.amdhsa_user_sgpr_dispatch_id 0
		.amdhsa_user_sgpr_kernarg_preload_length 0
		.amdhsa_user_sgpr_kernarg_preload_offset 0
		.amdhsa_user_sgpr_private_segment_size 0
		.amdhsa_uses_dynamic_stack 0
		.amdhsa_enable_private_segment 0
		.amdhsa_system_sgpr_workgroup_id_x 1
		.amdhsa_system_sgpr_workgroup_id_y 1
		.amdhsa_system_sgpr_workgroup_id_z 0
		.amdhsa_system_sgpr_workgroup_info 0
		.amdhsa_system_vgpr_workitem_id 1
		.amdhsa_next_free_vgpr 92
		.amdhsa_next_free_sgpr 36
		.amdhsa_accum_offset 92
		.amdhsa_reserve_vcc 1
		.amdhsa_float_round_mode_32 0
		.amdhsa_float_round_mode_16_64 0
		.amdhsa_float_denorm_mode_32 3
		.amdhsa_float_denorm_mode_16_64 3
		.amdhsa_dx10_clamp 1
		.amdhsa_ieee_mode 1
		.amdhsa_fp16_overflow 0
		.amdhsa_tg_split 0
		.amdhsa_exception_fp_ieee_invalid_op 0
		.amdhsa_exception_fp_denorm_src 0
		.amdhsa_exception_fp_ieee_div_zero 0
		.amdhsa_exception_fp_ieee_overflow 0
		.amdhsa_exception_fp_ieee_underflow 0
		.amdhsa_exception_fp_ieee_inexact 0
		.amdhsa_exception_int_div_zero 0
	.end_amdhsa_kernel
	.section	.text._ZN9rocsolver6v33100L23getf2_npvt_small_kernelILi8E19rocblas_complex_numIdEiiPS3_EEvT1_T3_lS5_lPT2_S5_S5_,"axG",@progbits,_ZN9rocsolver6v33100L23getf2_npvt_small_kernelILi8E19rocblas_complex_numIdEiiPS3_EEvT1_T3_lS5_lPT2_S5_S5_,comdat
.Lfunc_end15:
	.size	_ZN9rocsolver6v33100L23getf2_npvt_small_kernelILi8E19rocblas_complex_numIdEiiPS3_EEvT1_T3_lS5_lPT2_S5_S5_, .Lfunc_end15-_ZN9rocsolver6v33100L23getf2_npvt_small_kernelILi8E19rocblas_complex_numIdEiiPS3_EEvT1_T3_lS5_lPT2_S5_S5_
                                        ; -- End function
	.set _ZN9rocsolver6v33100L23getf2_npvt_small_kernelILi8E19rocblas_complex_numIdEiiPS3_EEvT1_T3_lS5_lPT2_S5_S5_.num_vgpr, 92
	.set _ZN9rocsolver6v33100L23getf2_npvt_small_kernelILi8E19rocblas_complex_numIdEiiPS3_EEvT1_T3_lS5_lPT2_S5_S5_.num_agpr, 0
	.set _ZN9rocsolver6v33100L23getf2_npvt_small_kernelILi8E19rocblas_complex_numIdEiiPS3_EEvT1_T3_lS5_lPT2_S5_S5_.numbered_sgpr, 36
	.set _ZN9rocsolver6v33100L23getf2_npvt_small_kernelILi8E19rocblas_complex_numIdEiiPS3_EEvT1_T3_lS5_lPT2_S5_S5_.num_named_barrier, 0
	.set _ZN9rocsolver6v33100L23getf2_npvt_small_kernelILi8E19rocblas_complex_numIdEiiPS3_EEvT1_T3_lS5_lPT2_S5_S5_.private_seg_size, 0
	.set _ZN9rocsolver6v33100L23getf2_npvt_small_kernelILi8E19rocblas_complex_numIdEiiPS3_EEvT1_T3_lS5_lPT2_S5_S5_.uses_vcc, 1
	.set _ZN9rocsolver6v33100L23getf2_npvt_small_kernelILi8E19rocblas_complex_numIdEiiPS3_EEvT1_T3_lS5_lPT2_S5_S5_.uses_flat_scratch, 0
	.set _ZN9rocsolver6v33100L23getf2_npvt_small_kernelILi8E19rocblas_complex_numIdEiiPS3_EEvT1_T3_lS5_lPT2_S5_S5_.has_dyn_sized_stack, 0
	.set _ZN9rocsolver6v33100L23getf2_npvt_small_kernelILi8E19rocblas_complex_numIdEiiPS3_EEvT1_T3_lS5_lPT2_S5_S5_.has_recursion, 0
	.set _ZN9rocsolver6v33100L23getf2_npvt_small_kernelILi8E19rocblas_complex_numIdEiiPS3_EEvT1_T3_lS5_lPT2_S5_S5_.has_indirect_call, 0
	.section	.AMDGPU.csdata,"",@progbits
; Kernel info:
; codeLenInByte = 7056
; TotalNumSgprs: 42
; NumVgprs: 92
; NumAgprs: 0
; TotalNumVgprs: 92
; ScratchSize: 0
; MemoryBound: 0
; FloatMode: 240
; IeeeMode: 1
; LDSByteSize: 0 bytes/workgroup (compile time only)
; SGPRBlocks: 5
; VGPRBlocks: 11
; NumSGPRsForWavesPerEU: 42
; NumVGPRsForWavesPerEU: 92
; AccumOffset: 92
; Occupancy: 5
; WaveLimiterHint : 0
; COMPUTE_PGM_RSRC2:SCRATCH_EN: 0
; COMPUTE_PGM_RSRC2:USER_SGPR: 2
; COMPUTE_PGM_RSRC2:TRAP_HANDLER: 0
; COMPUTE_PGM_RSRC2:TGID_X_EN: 1
; COMPUTE_PGM_RSRC2:TGID_Y_EN: 1
; COMPUTE_PGM_RSRC2:TGID_Z_EN: 0
; COMPUTE_PGM_RSRC2:TIDIG_COMP_CNT: 1
; COMPUTE_PGM_RSRC3_GFX90A:ACCUM_OFFSET: 22
; COMPUTE_PGM_RSRC3_GFX90A:TG_SPLIT: 0
	.section	.text._ZN9rocsolver6v33100L18getf2_small_kernelILi9E19rocblas_complex_numIdEiiPS3_EEvT1_T3_lS5_lPS5_llPT2_S5_S5_S7_l,"axG",@progbits,_ZN9rocsolver6v33100L18getf2_small_kernelILi9E19rocblas_complex_numIdEiiPS3_EEvT1_T3_lS5_lPS5_llPT2_S5_S5_S7_l,comdat
	.globl	_ZN9rocsolver6v33100L18getf2_small_kernelILi9E19rocblas_complex_numIdEiiPS3_EEvT1_T3_lS5_lPS5_llPT2_S5_S5_S7_l ; -- Begin function _ZN9rocsolver6v33100L18getf2_small_kernelILi9E19rocblas_complex_numIdEiiPS3_EEvT1_T3_lS5_lPS5_llPT2_S5_S5_S7_l
	.p2align	8
	.type	_ZN9rocsolver6v33100L18getf2_small_kernelILi9E19rocblas_complex_numIdEiiPS3_EEvT1_T3_lS5_lPS5_llPT2_S5_S5_S7_l,@function
_ZN9rocsolver6v33100L18getf2_small_kernelILi9E19rocblas_complex_numIdEiiPS3_EEvT1_T3_lS5_lPS5_llPT2_S5_S5_S7_l: ; @_ZN9rocsolver6v33100L18getf2_small_kernelILi9E19rocblas_complex_numIdEiiPS3_EEvT1_T3_lS5_lPS5_llPT2_S5_S5_S7_l
; %bb.0:
	s_load_dword s2, s[0:1], 0x6c
	s_load_dwordx2 s[12:13], s[0:1], 0x48
	v_bfe_u32 v36, v0, 10, 10
	s_waitcnt lgkmcnt(0)
	s_lshr_b32 s2, s2, 16
	s_mul_i32 s3, s3, s2
	v_add_u32_e32 v42, s3, v36
	v_cmp_gt_i32_e32 vcc, s12, v42
	s_and_saveexec_b64 s[2:3], vcc
	s_cbranch_execz .LBB16_190
; %bb.1:
	s_load_dwordx4 s[4:7], s[0:1], 0x50
	v_ashrrev_i32_e32 v43, 31, v42
	v_mov_b64_e32 v[44:45], 0
	s_waitcnt lgkmcnt(0)
	s_cmp_eq_u64 s[4:5], 0
	s_cselect_b64 s[14:15], -1, 0
	s_and_b64 vcc, exec, s[14:15]
	s_cbranch_vccnz .LBB16_3
; %bb.2:
	v_mul_lo_u32 v1, s7, v42
	v_mul_lo_u32 v4, s6, v43
	v_mad_u64_u32 v[2:3], s[2:3], s6, v42, 0
	v_add3_u32 v3, v3, v4, v1
	v_lshl_add_u64 v[44:45], v[2:3], 2, s[4:5]
.LBB16_3:
	s_load_dwordx4 s[16:19], s[0:1], 0x8
	s_load_dwordx8 s[4:11], s[0:1], 0x20
	s_load_dword s2, s[0:1], 0x18
	v_and_b32_e32 v50, 0x3ff, v0
	v_lshlrev_b32_e32 v46, 4, v50
	s_waitcnt lgkmcnt(0)
	v_mov_b32_e32 v2, s16
	v_mul_lo_u32 v1, s5, v42
	v_mul_lo_u32 v6, s4, v43
	v_mad_u64_u32 v[4:5], s[4:5], s4, v42, 0
	v_mov_b32_e32 v3, s17
	v_add3_u32 v5, v5, v6, v1
	v_lshl_add_u64 v[2:3], v[4:5], 4, v[2:3]
	v_lshl_add_u64 v[40:41], s[18:19], 4, v[2:3]
	v_mov_b32_e32 v47, 0
	v_lshl_add_u64 v[0:1], v[40:41], 0, v[46:47]
	s_ashr_i32 s3, s2, 31
	s_add_i32 s12, s2, s2
	v_lshl_add_u64 v[2:3], s[2:3], 4, v[0:1]
	global_load_dwordx4 v[24:27], v[0:1], off
	global_load_dwordx4 v[20:23], v[2:3], off
	v_add_u32_e32 v0, s12, v50
	v_ashrrev_i32_e32 v1, 31, v0
	v_lshl_add_u64 v[2:3], v[0:1], 4, v[40:41]
	v_add_u32_e32 v0, s2, v0
	v_ashrrev_i32_e32 v1, 31, v0
	v_lshl_add_u64 v[4:5], v[0:1], 4, v[40:41]
	v_add_u32_e32 v0, s2, v0
	v_ashrrev_i32_e32 v1, 31, v0
	global_load_dwordx4 v[28:31], v[2:3], off
	global_load_dwordx4 v[12:15], v[4:5], off
	v_lshl_add_u64 v[2:3], v[0:1], 4, v[40:41]
	v_add_u32_e32 v0, s2, v0
	v_ashrrev_i32_e32 v1, 31, v0
	v_lshl_add_u64 v[8:9], v[0:1], 4, v[40:41]
	v_add_u32_e32 v0, s2, v0
	v_ashrrev_i32_e32 v1, 31, v0
	v_add_u32_e32 v34, s2, v0
	v_lshl_add_u64 v[32:33], v[0:1], 4, v[40:41]
	v_ashrrev_i32_e32 v35, 31, v34
	global_load_dwordx4 v[16:19], v[2:3], off
	global_load_dwordx4 v[4:7], v[8:9], off
	v_lshl_add_u64 v[38:39], v[34:35], 4, v[40:41]
	global_load_dwordx4 v[8:11], v[32:33], off
	global_load_dwordx4 v[0:3], v[38:39], off
	v_add_u32_e32 v32, s2, v34
	v_ashrrev_i32_e32 v33, 31, v32
	v_lshl_add_u64 v[32:33], v[32:33], 4, v[40:41]
	global_load_dwordx4 v[32:35], v[32:33], off
	s_load_dword s20, s[0:1], 0x0
	s_load_dwordx2 s[4:5], s[0:1], 0x40
	s_waitcnt lgkmcnt(0)
	s_max_i32 s0, s20, 9
	v_mul_lo_u32 v49, s0, v36
	v_lshl_add_u32 v48, v49, 4, 0
	v_add_u32_e32 v36, v48, v46
	s_cmp_lt_i32 s20, 2
	v_lshlrev_b32_e32 v49, 4, v49
	s_waitcnt vmcnt(8)
	ds_write2_b64 v36, v[24:25], v[26:27] offset1:1
	s_waitcnt lgkmcnt(0)
	s_barrier
	ds_read2_b64 v[36:39], v48 offset1:1
	s_cbranch_scc1 .LBB16_6
; %bb.4:
	v_add3_u32 v46, v49, 0, 16
	s_mov_b32 s16, 1
	v_mov_b32_e32 v47, 0
.LBB16_5:                               ; =>This Inner Loop Header: Depth=1
	ds_read2_b64 v[52:55], v46 offset1:1
	s_waitcnt lgkmcnt(1)
	v_xor_b32_e32 v51, 0x80000000, v37
	v_xor_b32_e32 v59, 0x80000000, v39
	v_cmp_gt_f64_e32 vcc, 0, v[38:39]
	v_cmp_gt_f64_e64 s[0:1], 0, v[36:37]
	v_mov_b32_e32 v56, v36
	v_mov_b32_e32 v58, v38
	v_cndmask_b32_e64 v57, v37, v51, s[0:1]
	v_cndmask_b32_e32 v59, v39, v59, vcc
	s_waitcnt lgkmcnt(0)
	v_xor_b32_e32 v51, 0x80000000, v53
	v_xor_b32_e32 v61, 0x80000000, v55
	v_cmp_gt_f64_e32 vcc, 0, v[54:55]
	v_cmp_gt_f64_e64 s[0:1], 0, v[52:53]
	v_add_f64 v[56:57], v[56:57], v[58:59]
	v_mov_b32_e32 v58, v52
	v_mov_b32_e32 v60, v54
	v_cndmask_b32_e64 v59, v53, v51, s[0:1]
	v_cndmask_b32_e32 v61, v55, v61, vcc
	v_add_f64 v[58:59], v[58:59], v[60:61]
	v_mov_b32_e32 v62, s16
	s_add_i32 s16, s16, 1
	v_cmp_lt_f64_e32 vcc, v[56:57], v[58:59]
	v_add_u32_e32 v46, 16, v46
	s_cmp_eq_u32 s20, s16
	v_cndmask_b32_e32 v37, v37, v53, vcc
	v_cndmask_b32_e32 v36, v36, v52, vcc
	;; [unrolled: 1-line block ×5, first 2 shown]
	s_cbranch_scc0 .LBB16_5
.LBB16_6:
	s_waitcnt lgkmcnt(0)
	v_cmp_neq_f64_e32 vcc, 0, v[36:37]
	v_cmp_neq_f64_e64 s[0:1], 0, v[38:39]
	s_or_b64 s[16:17], vcc, s[0:1]
	v_mov_b32_e32 v51, 1
	v_mov_b32_e32 v52, 1
	s_and_saveexec_b64 s[0:1], s[16:17]
	s_cbranch_execz .LBB16_12
; %bb.7:
	v_cmp_ngt_f64_e64 s[16:17], |v[36:37]|, |v[38:39]|
	s_and_saveexec_b64 s[18:19], s[16:17]
	s_xor_b64 s[16:17], exec, s[18:19]
	s_cbranch_execz .LBB16_9
; %bb.8:
	v_div_scale_f64 v[52:53], s[18:19], v[38:39], v[38:39], v[36:37]
	v_rcp_f64_e32 v[54:55], v[52:53]
	v_div_scale_f64 v[56:57], vcc, v[36:37], v[38:39], v[36:37]
	v_fma_f64 v[58:59], -v[52:53], v[54:55], 1.0
	v_fmac_f64_e32 v[54:55], v[54:55], v[58:59]
	v_fma_f64 v[58:59], -v[52:53], v[54:55], 1.0
	v_fmac_f64_e32 v[54:55], v[54:55], v[58:59]
	v_mul_f64 v[58:59], v[56:57], v[54:55]
	v_fma_f64 v[52:53], -v[52:53], v[58:59], v[56:57]
	v_div_fmas_f64 v[52:53], v[52:53], v[54:55], v[58:59]
	v_div_fixup_f64 v[52:53], v[52:53], v[38:39], v[36:37]
	v_fmac_f64_e32 v[38:39], v[36:37], v[52:53]
	v_div_scale_f64 v[36:37], s[18:19], v[38:39], v[38:39], 1.0
	v_rcp_f64_e32 v[54:55], v[36:37]
	s_nop 0
	v_fma_f64 v[56:57], -v[36:37], v[54:55], 1.0
	v_fmac_f64_e32 v[54:55], v[54:55], v[56:57]
	v_fma_f64 v[56:57], -v[36:37], v[54:55], 1.0
	v_fmac_f64_e32 v[54:55], v[54:55], v[56:57]
	v_div_scale_f64 v[56:57], vcc, 1.0, v[38:39], 1.0
	v_mul_f64 v[58:59], v[56:57], v[54:55]
	v_fma_f64 v[36:37], -v[36:37], v[58:59], v[56:57]
	s_nop 1
	v_div_fmas_f64 v[36:37], v[36:37], v[54:55], v[58:59]
	v_div_fixup_f64 v[38:39], v[36:37], v[38:39], 1.0
	v_mul_f64 v[36:37], v[52:53], v[38:39]
	v_xor_b32_e32 v39, 0x80000000, v39
.LBB16_9:
	s_andn2_saveexec_b64 s[16:17], s[16:17]
	s_cbranch_execz .LBB16_11
; %bb.10:
	v_div_scale_f64 v[52:53], s[18:19], v[36:37], v[36:37], v[38:39]
	v_rcp_f64_e32 v[54:55], v[52:53]
	v_div_scale_f64 v[56:57], vcc, v[38:39], v[36:37], v[38:39]
	v_fma_f64 v[58:59], -v[52:53], v[54:55], 1.0
	v_fmac_f64_e32 v[54:55], v[54:55], v[58:59]
	v_fma_f64 v[58:59], -v[52:53], v[54:55], 1.0
	v_fmac_f64_e32 v[54:55], v[54:55], v[58:59]
	v_mul_f64 v[58:59], v[56:57], v[54:55]
	v_fma_f64 v[52:53], -v[52:53], v[58:59], v[56:57]
	v_div_fmas_f64 v[52:53], v[52:53], v[54:55], v[58:59]
	v_div_fixup_f64 v[52:53], v[52:53], v[36:37], v[38:39]
	v_fmac_f64_e32 v[36:37], v[38:39], v[52:53]
	v_div_scale_f64 v[38:39], s[18:19], v[36:37], v[36:37], 1.0
	v_rcp_f64_e32 v[54:55], v[38:39]
	s_nop 0
	v_fma_f64 v[56:57], -v[38:39], v[54:55], 1.0
	v_fmac_f64_e32 v[54:55], v[54:55], v[56:57]
	v_fma_f64 v[56:57], -v[38:39], v[54:55], 1.0
	v_fmac_f64_e32 v[54:55], v[54:55], v[56:57]
	v_div_scale_f64 v[56:57], vcc, 1.0, v[36:37], 1.0
	v_mul_f64 v[58:59], v[56:57], v[54:55]
	v_fma_f64 v[38:39], -v[38:39], v[58:59], v[56:57]
	s_nop 1
	v_div_fmas_f64 v[38:39], v[38:39], v[54:55], v[58:59]
	v_div_fixup_f64 v[36:37], v[38:39], v[36:37], 1.0
	v_mul_f64 v[38:39], v[52:53], -v[36:37]
.LBB16_11:
	s_or_b64 exec, exec, s[16:17]
	v_mov_b32_e32 v52, 0
	v_mov_b32_e32 v51, 2
.LBB16_12:
	s_or_b64 exec, exec, s[0:1]
	v_cmp_ne_u32_e32 vcc, v50, v47
	s_and_saveexec_b64 s[0:1], vcc
	s_xor_b64 s[0:1], exec, s[0:1]
	s_cbranch_execz .LBB16_18
; %bb.13:
	v_cmp_eq_u32_e32 vcc, 0, v50
	s_and_saveexec_b64 s[16:17], vcc
	s_cbranch_execz .LBB16_17
; %bb.14:
	v_cmp_ne_u32_e32 vcc, 0, v47
	s_xor_b64 s[18:19], s[14:15], -1
	s_and_b64 s[22:23], s[18:19], vcc
	s_and_saveexec_b64 s[18:19], s[22:23]
	s_cbranch_execz .LBB16_16
; %bb.15:
	v_ashrrev_i32_e32 v55, 31, v47
	v_mov_b32_e32 v54, v47
	v_lshl_add_u64 v[54:55], v[54:55], 2, v[44:45]
	global_load_dword v46, v[54:55], off
	global_load_dword v50, v[44:45], off
	s_waitcnt vmcnt(1)
	global_store_dword v[44:45], v46, off
	s_waitcnt vmcnt(1)
	global_store_dword v[54:55], v50, off
.LBB16_16:
	s_or_b64 exec, exec, s[18:19]
	v_mov_b32_e32 v50, v47
.LBB16_17:
	s_or_b64 exec, exec, s[16:17]
.LBB16_18:
	s_or_saveexec_b64 s[0:1], s[0:1]
	v_mov_b32_e32 v47, v50
	s_xor_b64 exec, exec, s[0:1]
	s_cbranch_execz .LBB16_20
; %bb.19:
	v_mov_b32_e32 v47, 0
	s_waitcnt vmcnt(7)
	ds_write2_b64 v48, v[20:21], v[22:23] offset0:2 offset1:3
	s_waitcnt vmcnt(6)
	ds_write2_b64 v48, v[28:29], v[30:31] offset0:4 offset1:5
	;; [unrolled: 2-line block ×8, first 2 shown]
.LBB16_20:
	s_or_b64 exec, exec, s[0:1]
	v_cmp_lt_i32_e32 vcc, 0, v47
	s_waitcnt lgkmcnt(0)
	s_barrier
	s_and_saveexec_b64 s[0:1], vcc
	s_cbranch_execz .LBB16_22
; %bb.21:
	ds_read2_b64 v[54:57], v48 offset0:2 offset1:3
	v_mul_f64 v[58:59], v[36:37], v[26:27]
	v_mul_f64 v[26:27], v[38:39], v[26:27]
	v_fmac_f64_e32 v[58:59], v[38:39], v[24:25]
	v_fma_f64 v[24:25], v[36:37], v[24:25], -v[26:27]
	ds_read2_b64 v[36:39], v48 offset0:4 offset1:5
	s_waitcnt lgkmcnt(1)
	v_mul_f64 v[26:27], v[56:57], v[58:59]
	v_fma_f64 v[26:27], v[54:55], v[24:25], -v[26:27]
	v_mul_f64 v[54:55], v[54:55], v[58:59]
	v_fmac_f64_e32 v[54:55], v[56:57], v[24:25]
	s_waitcnt vmcnt(7)
	v_add_f64 v[20:21], v[20:21], -v[26:27]
	s_waitcnt lgkmcnt(0)
	v_mul_f64 v[26:27], v[38:39], v[58:59]
	v_add_f64 v[22:23], v[22:23], -v[54:55]
	v_fma_f64 v[26:27], v[36:37], v[24:25], -v[26:27]
	v_mul_f64 v[36:37], v[36:37], v[58:59]
	ds_read2_b64 v[54:57], v48 offset0:6 offset1:7
	v_fmac_f64_e32 v[36:37], v[38:39], v[24:25]
	s_waitcnt vmcnt(6)
	v_add_f64 v[30:31], v[30:31], -v[36:37]
	ds_read2_b64 v[36:39], v48 offset0:8 offset1:9
	v_add_f64 v[28:29], v[28:29], -v[26:27]
	s_waitcnt lgkmcnt(1)
	v_mul_f64 v[26:27], v[56:57], v[58:59]
	v_fma_f64 v[26:27], v[54:55], v[24:25], -v[26:27]
	v_mul_f64 v[54:55], v[54:55], v[58:59]
	v_fmac_f64_e32 v[54:55], v[56:57], v[24:25]
	s_waitcnt vmcnt(5)
	v_add_f64 v[12:13], v[12:13], -v[26:27]
	s_waitcnt lgkmcnt(0)
	v_mul_f64 v[26:27], v[38:39], v[58:59]
	v_add_f64 v[14:15], v[14:15], -v[54:55]
	v_fma_f64 v[26:27], v[36:37], v[24:25], -v[26:27]
	v_mul_f64 v[36:37], v[36:37], v[58:59]
	ds_read2_b64 v[54:57], v48 offset0:10 offset1:11
	v_fmac_f64_e32 v[36:37], v[38:39], v[24:25]
	s_waitcnt vmcnt(4)
	v_add_f64 v[18:19], v[18:19], -v[36:37]
	ds_read2_b64 v[36:39], v48 offset0:12 offset1:13
	v_add_f64 v[16:17], v[16:17], -v[26:27]
	;; [unrolled: 18-line block ×3, first 2 shown]
	s_waitcnt lgkmcnt(1)
	v_mul_f64 v[26:27], v[56:57], v[58:59]
	v_fma_f64 v[26:27], v[54:55], v[24:25], -v[26:27]
	s_waitcnt vmcnt(1)
	v_add_f64 v[0:1], v[0:1], -v[26:27]
	s_waitcnt lgkmcnt(0)
	v_mul_f64 v[26:27], v[38:39], v[58:59]
	v_mul_f64 v[54:55], v[54:55], v[58:59]
	v_fma_f64 v[26:27], v[36:37], v[24:25], -v[26:27]
	v_mul_f64 v[36:37], v[36:37], v[58:59]
	v_fmac_f64_e32 v[54:55], v[56:57], v[24:25]
	v_fmac_f64_e32 v[36:37], v[38:39], v[24:25]
	v_add_f64 v[2:3], v[2:3], -v[54:55]
	s_waitcnt vmcnt(0)
	v_add_f64 v[32:33], v[32:33], -v[26:27]
	v_add_f64 v[34:35], v[34:35], -v[36:37]
	v_mov_b64_e32 v[26:27], v[58:59]
.LBB16_22:
	s_or_b64 exec, exec, s[0:1]
	v_lshl_add_u32 v36, v47, 4, v48
	s_barrier
	s_waitcnt vmcnt(7)
	ds_write2_b64 v36, v[20:21], v[22:23] offset1:1
	s_waitcnt lgkmcnt(0)
	s_barrier
	ds_read2_b64 v[36:39], v48 offset0:2 offset1:3
	s_cmp_lt_i32 s20, 3
	v_mov_b32_e32 v46, 1
	s_cbranch_scc1 .LBB16_25
; %bb.23:
	v_add3_u32 v53, v49, 0, 32
	s_mov_b32 s16, 2
	v_mov_b32_e32 v46, 1
.LBB16_24:                              ; =>This Inner Loop Header: Depth=1
	ds_read2_b64 v[54:57], v53 offset1:1
	s_waitcnt lgkmcnt(1)
	v_xor_b32_e32 v59, 0x80000000, v37
	v_xor_b32_e32 v61, 0x80000000, v39
	v_cmp_gt_f64_e32 vcc, 0, v[38:39]
	v_cmp_gt_f64_e64 s[0:1], 0, v[36:37]
	v_mov_b32_e32 v58, v36
	v_mov_b32_e32 v60, v38
	v_cndmask_b32_e64 v59, v37, v59, s[0:1]
	v_cndmask_b32_e32 v61, v39, v61, vcc
	v_add_f64 v[58:59], v[58:59], v[60:61]
	s_waitcnt lgkmcnt(0)
	v_xor_b32_e32 v61, 0x80000000, v55
	v_xor_b32_e32 v63, 0x80000000, v57
	v_cmp_gt_f64_e32 vcc, 0, v[56:57]
	v_cmp_gt_f64_e64 s[0:1], 0, v[54:55]
	v_mov_b32_e32 v60, v54
	v_mov_b32_e32 v62, v56
	v_cndmask_b32_e64 v61, v55, v61, s[0:1]
	v_cndmask_b32_e32 v63, v57, v63, vcc
	v_add_f64 v[60:61], v[60:61], v[62:63]
	v_mov_b32_e32 v64, s16
	s_add_i32 s16, s16, 1
	v_cmp_lt_f64_e32 vcc, v[58:59], v[60:61]
	v_add_u32_e32 v53, 16, v53
	s_cmp_lg_u32 s20, s16
	v_cndmask_b32_e32 v37, v37, v55, vcc
	v_cndmask_b32_e32 v36, v36, v54, vcc
	;; [unrolled: 1-line block ×5, first 2 shown]
	s_cbranch_scc1 .LBB16_24
.LBB16_25:
	s_waitcnt lgkmcnt(0)
	v_cmp_neq_f64_e32 vcc, 0, v[36:37]
	v_cmp_neq_f64_e64 s[0:1], 0, v[38:39]
	s_or_b64 s[16:17], vcc, s[0:1]
	s_and_saveexec_b64 s[0:1], s[16:17]
	s_cbranch_execz .LBB16_31
; %bb.26:
	v_cmp_ngt_f64_e64 s[16:17], |v[36:37]|, |v[38:39]|
	s_and_saveexec_b64 s[18:19], s[16:17]
	s_xor_b64 s[16:17], exec, s[18:19]
	s_cbranch_execz .LBB16_28
; %bb.27:
	v_div_scale_f64 v[54:55], s[18:19], v[38:39], v[38:39], v[36:37]
	v_rcp_f64_e32 v[56:57], v[54:55]
	v_div_scale_f64 v[58:59], vcc, v[36:37], v[38:39], v[36:37]
	v_fma_f64 v[60:61], -v[54:55], v[56:57], 1.0
	v_fmac_f64_e32 v[56:57], v[56:57], v[60:61]
	v_fma_f64 v[60:61], -v[54:55], v[56:57], 1.0
	v_fmac_f64_e32 v[56:57], v[56:57], v[60:61]
	v_mul_f64 v[60:61], v[58:59], v[56:57]
	v_fma_f64 v[54:55], -v[54:55], v[60:61], v[58:59]
	v_div_fmas_f64 v[54:55], v[54:55], v[56:57], v[60:61]
	v_div_fixup_f64 v[54:55], v[54:55], v[38:39], v[36:37]
	v_fmac_f64_e32 v[38:39], v[36:37], v[54:55]
	v_div_scale_f64 v[36:37], s[18:19], v[38:39], v[38:39], 1.0
	v_rcp_f64_e32 v[56:57], v[36:37]
	s_nop 0
	v_fma_f64 v[58:59], -v[36:37], v[56:57], 1.0
	v_fmac_f64_e32 v[56:57], v[56:57], v[58:59]
	v_fma_f64 v[58:59], -v[36:37], v[56:57], 1.0
	v_fmac_f64_e32 v[56:57], v[56:57], v[58:59]
	v_div_scale_f64 v[58:59], vcc, 1.0, v[38:39], 1.0
	v_mul_f64 v[60:61], v[58:59], v[56:57]
	v_fma_f64 v[36:37], -v[36:37], v[60:61], v[58:59]
	s_nop 1
	v_div_fmas_f64 v[36:37], v[36:37], v[56:57], v[60:61]
	v_div_fixup_f64 v[38:39], v[36:37], v[38:39], 1.0
	v_mul_f64 v[36:37], v[54:55], v[38:39]
	v_xor_b32_e32 v39, 0x80000000, v39
.LBB16_28:
	s_andn2_saveexec_b64 s[16:17], s[16:17]
	s_cbranch_execz .LBB16_30
; %bb.29:
	v_div_scale_f64 v[54:55], s[18:19], v[36:37], v[36:37], v[38:39]
	v_rcp_f64_e32 v[56:57], v[54:55]
	v_div_scale_f64 v[58:59], vcc, v[38:39], v[36:37], v[38:39]
	v_fma_f64 v[60:61], -v[54:55], v[56:57], 1.0
	v_fmac_f64_e32 v[56:57], v[56:57], v[60:61]
	v_fma_f64 v[60:61], -v[54:55], v[56:57], 1.0
	v_fmac_f64_e32 v[56:57], v[56:57], v[60:61]
	v_mul_f64 v[60:61], v[58:59], v[56:57]
	v_fma_f64 v[54:55], -v[54:55], v[60:61], v[58:59]
	v_div_fmas_f64 v[54:55], v[54:55], v[56:57], v[60:61]
	v_div_fixup_f64 v[54:55], v[54:55], v[36:37], v[38:39]
	v_fmac_f64_e32 v[36:37], v[38:39], v[54:55]
	v_div_scale_f64 v[38:39], s[18:19], v[36:37], v[36:37], 1.0
	v_rcp_f64_e32 v[56:57], v[38:39]
	s_nop 0
	v_fma_f64 v[58:59], -v[38:39], v[56:57], 1.0
	v_fmac_f64_e32 v[56:57], v[56:57], v[58:59]
	v_fma_f64 v[58:59], -v[38:39], v[56:57], 1.0
	v_fmac_f64_e32 v[56:57], v[56:57], v[58:59]
	v_div_scale_f64 v[58:59], vcc, 1.0, v[36:37], 1.0
	v_mul_f64 v[60:61], v[58:59], v[56:57]
	v_fma_f64 v[38:39], -v[38:39], v[60:61], v[58:59]
	s_nop 1
	v_div_fmas_f64 v[38:39], v[38:39], v[56:57], v[60:61]
	v_div_fixup_f64 v[36:37], v[38:39], v[36:37], 1.0
	v_mul_f64 v[38:39], v[54:55], -v[36:37]
.LBB16_30:
	s_or_b64 exec, exec, s[16:17]
	v_mov_b32_e32 v51, v52
.LBB16_31:
	s_or_b64 exec, exec, s[0:1]
	v_cmp_ne_u32_e32 vcc, v47, v46
	s_and_saveexec_b64 s[0:1], vcc
	s_xor_b64 s[0:1], exec, s[0:1]
	s_cbranch_execz .LBB16_37
; %bb.32:
	v_cmp_eq_u32_e32 vcc, 1, v47
	s_and_saveexec_b64 s[16:17], vcc
	s_cbranch_execz .LBB16_36
; %bb.33:
	v_cmp_ne_u32_e32 vcc, 1, v46
	s_xor_b64 s[18:19], s[14:15], -1
	s_and_b64 s[22:23], s[18:19], vcc
	s_and_saveexec_b64 s[18:19], s[22:23]
	s_cbranch_execz .LBB16_35
; %bb.34:
	v_ashrrev_i32_e32 v47, 31, v46
	v_lshl_add_u64 v[52:53], v[46:47], 2, v[44:45]
	global_load_dword v47, v[52:53], off
	global_load_dword v50, v[44:45], off offset:4
	s_waitcnt vmcnt(1)
	global_store_dword v[44:45], v47, off offset:4
	s_waitcnt vmcnt(1)
	global_store_dword v[52:53], v50, off
.LBB16_35:
	s_or_b64 exec, exec, s[18:19]
	v_mov_b32_e32 v47, v46
	v_mov_b32_e32 v50, v46
.LBB16_36:
	s_or_b64 exec, exec, s[16:17]
.LBB16_37:
	s_andn2_saveexec_b64 s[0:1], s[0:1]
	s_cbranch_execz .LBB16_39
; %bb.38:
	v_mov_b32_e32 v47, 1
	s_waitcnt vmcnt(6)
	ds_write2_b64 v48, v[28:29], v[30:31] offset0:4 offset1:5
	s_waitcnt vmcnt(5)
	ds_write2_b64 v48, v[12:13], v[14:15] offset0:6 offset1:7
	;; [unrolled: 2-line block ×7, first 2 shown]
.LBB16_39:
	s_or_b64 exec, exec, s[0:1]
	v_cmp_lt_i32_e32 vcc, 1, v47
	s_waitcnt lgkmcnt(0)
	s_barrier
	s_and_saveexec_b64 s[0:1], vcc
	s_cbranch_execz .LBB16_41
; %bb.40:
	ds_read2_b64 v[52:55], v48 offset0:4 offset1:5
	v_mul_f64 v[56:57], v[36:37], v[22:23]
	v_fmac_f64_e32 v[56:57], v[38:39], v[20:21]
	v_mul_f64 v[22:23], v[38:39], v[22:23]
	v_fma_f64 v[20:21], v[36:37], v[20:21], -v[22:23]
	ds_read2_b64 v[36:39], v48 offset0:6 offset1:7
	s_waitcnt lgkmcnt(1)
	v_mul_f64 v[22:23], v[54:55], v[56:57]
	v_fma_f64 v[22:23], v[52:53], v[20:21], -v[22:23]
	v_mul_f64 v[52:53], v[52:53], v[56:57]
	v_fmac_f64_e32 v[52:53], v[54:55], v[20:21]
	s_waitcnt vmcnt(6)
	v_add_f64 v[30:31], v[30:31], -v[52:53]
	ds_read2_b64 v[52:55], v48 offset0:8 offset1:9
	v_add_f64 v[28:29], v[28:29], -v[22:23]
	s_waitcnt lgkmcnt(1)
	v_mul_f64 v[22:23], v[38:39], v[56:57]
	v_fma_f64 v[22:23], v[36:37], v[20:21], -v[22:23]
	v_mul_f64 v[36:37], v[36:37], v[56:57]
	v_fmac_f64_e32 v[36:37], v[38:39], v[20:21]
	s_waitcnt vmcnt(5)
	v_add_f64 v[12:13], v[12:13], -v[22:23]
	v_add_f64 v[14:15], v[14:15], -v[36:37]
	ds_read2_b64 v[36:39], v48 offset0:10 offset1:11
	s_waitcnt lgkmcnt(1)
	v_mul_f64 v[22:23], v[54:55], v[56:57]
	v_fma_f64 v[22:23], v[52:53], v[20:21], -v[22:23]
	v_mul_f64 v[52:53], v[52:53], v[56:57]
	v_fmac_f64_e32 v[52:53], v[54:55], v[20:21]
	s_waitcnt vmcnt(4)
	v_add_f64 v[18:19], v[18:19], -v[52:53]
	ds_read2_b64 v[52:55], v48 offset0:12 offset1:13
	v_add_f64 v[16:17], v[16:17], -v[22:23]
	s_waitcnt lgkmcnt(1)
	v_mul_f64 v[22:23], v[38:39], v[56:57]
	v_fma_f64 v[22:23], v[36:37], v[20:21], -v[22:23]
	v_mul_f64 v[36:37], v[36:37], v[56:57]
	v_fmac_f64_e32 v[36:37], v[38:39], v[20:21]
	s_waitcnt vmcnt(3)
	v_add_f64 v[4:5], v[4:5], -v[22:23]
	v_add_f64 v[6:7], v[6:7], -v[36:37]
	;; [unrolled: 18-line block ×3, first 2 shown]
	s_waitcnt lgkmcnt(0)
	v_mul_f64 v[22:23], v[54:55], v[56:57]
	v_mul_f64 v[36:37], v[52:53], v[56:57]
	v_fma_f64 v[22:23], v[52:53], v[20:21], -v[22:23]
	v_fmac_f64_e32 v[36:37], v[54:55], v[20:21]
	s_waitcnt vmcnt(0)
	v_add_f64 v[32:33], v[32:33], -v[22:23]
	v_add_f64 v[34:35], v[34:35], -v[36:37]
	v_mov_b64_e32 v[22:23], v[56:57]
.LBB16_41:
	s_or_b64 exec, exec, s[0:1]
	v_lshl_add_u32 v36, v47, 4, v48
	s_barrier
	s_waitcnt vmcnt(6)
	ds_write2_b64 v36, v[28:29], v[30:31] offset1:1
	s_waitcnt lgkmcnt(0)
	s_barrier
	ds_read2_b64 v[36:39], v48 offset0:4 offset1:5
	s_cmp_lt_i32 s20, 4
	v_mov_b32_e32 v46, 2
	s_cbranch_scc1 .LBB16_44
; %bb.42:
	v_add3_u32 v52, v49, 0, 48
	s_mov_b32 s16, 3
	v_mov_b32_e32 v46, 2
.LBB16_43:                              ; =>This Inner Loop Header: Depth=1
	ds_read2_b64 v[54:57], v52 offset1:1
	s_waitcnt lgkmcnt(1)
	v_xor_b32_e32 v53, 0x80000000, v37
	v_xor_b32_e32 v61, 0x80000000, v39
	v_cmp_gt_f64_e32 vcc, 0, v[38:39]
	v_cmp_gt_f64_e64 s[0:1], 0, v[36:37]
	v_mov_b32_e32 v58, v36
	v_mov_b32_e32 v60, v38
	v_cndmask_b32_e64 v59, v37, v53, s[0:1]
	v_cndmask_b32_e32 v61, v39, v61, vcc
	s_waitcnt lgkmcnt(0)
	v_xor_b32_e32 v53, 0x80000000, v55
	v_xor_b32_e32 v63, 0x80000000, v57
	v_cmp_gt_f64_e32 vcc, 0, v[56:57]
	v_cmp_gt_f64_e64 s[0:1], 0, v[54:55]
	v_add_f64 v[58:59], v[58:59], v[60:61]
	v_mov_b32_e32 v60, v54
	v_mov_b32_e32 v62, v56
	v_cndmask_b32_e64 v61, v55, v53, s[0:1]
	v_cndmask_b32_e32 v63, v57, v63, vcc
	v_add_f64 v[60:61], v[60:61], v[62:63]
	v_mov_b32_e32 v64, s16
	s_add_i32 s16, s16, 1
	v_cmp_lt_f64_e32 vcc, v[58:59], v[60:61]
	v_add_u32_e32 v52, 16, v52
	s_cmp_lg_u32 s20, s16
	v_cndmask_b32_e32 v37, v37, v55, vcc
	v_cndmask_b32_e32 v36, v36, v54, vcc
	;; [unrolled: 1-line block ×5, first 2 shown]
	s_cbranch_scc1 .LBB16_43
.LBB16_44:
	s_waitcnt lgkmcnt(0)
	v_cmp_eq_f64_e32 vcc, 0, v[36:37]
	v_cmp_eq_f64_e64 s[0:1], 0, v[38:39]
	s_and_b64 s[0:1], vcc, s[0:1]
	s_and_saveexec_b64 s[16:17], s[0:1]
	s_xor_b64 s[0:1], exec, s[16:17]
; %bb.45:
	v_cmp_ne_u32_e32 vcc, 0, v51
	s_nop 1
	v_cndmask_b32_e32 v51, 3, v51, vcc
; %bb.46:
	s_andn2_saveexec_b64 s[0:1], s[0:1]
	s_cbranch_execz .LBB16_52
; %bb.47:
	v_cmp_ngt_f64_e64 s[16:17], |v[36:37]|, |v[38:39]|
	s_and_saveexec_b64 s[18:19], s[16:17]
	s_xor_b64 s[16:17], exec, s[18:19]
	s_cbranch_execz .LBB16_49
; %bb.48:
	v_div_scale_f64 v[52:53], s[18:19], v[38:39], v[38:39], v[36:37]
	v_rcp_f64_e32 v[54:55], v[52:53]
	v_div_scale_f64 v[56:57], vcc, v[36:37], v[38:39], v[36:37]
	v_fma_f64 v[58:59], -v[52:53], v[54:55], 1.0
	v_fmac_f64_e32 v[54:55], v[54:55], v[58:59]
	v_fma_f64 v[58:59], -v[52:53], v[54:55], 1.0
	v_fmac_f64_e32 v[54:55], v[54:55], v[58:59]
	v_mul_f64 v[58:59], v[56:57], v[54:55]
	v_fma_f64 v[52:53], -v[52:53], v[58:59], v[56:57]
	v_div_fmas_f64 v[52:53], v[52:53], v[54:55], v[58:59]
	v_div_fixup_f64 v[52:53], v[52:53], v[38:39], v[36:37]
	v_fmac_f64_e32 v[38:39], v[36:37], v[52:53]
	v_div_scale_f64 v[36:37], s[18:19], v[38:39], v[38:39], 1.0
	v_rcp_f64_e32 v[54:55], v[36:37]
	s_nop 0
	v_fma_f64 v[56:57], -v[36:37], v[54:55], 1.0
	v_fmac_f64_e32 v[54:55], v[54:55], v[56:57]
	v_fma_f64 v[56:57], -v[36:37], v[54:55], 1.0
	v_fmac_f64_e32 v[54:55], v[54:55], v[56:57]
	v_div_scale_f64 v[56:57], vcc, 1.0, v[38:39], 1.0
	v_mul_f64 v[58:59], v[56:57], v[54:55]
	v_fma_f64 v[36:37], -v[36:37], v[58:59], v[56:57]
	s_nop 1
	v_div_fmas_f64 v[36:37], v[36:37], v[54:55], v[58:59]
	v_div_fixup_f64 v[38:39], v[36:37], v[38:39], 1.0
	v_mul_f64 v[36:37], v[52:53], v[38:39]
	v_xor_b32_e32 v39, 0x80000000, v39
.LBB16_49:
	s_andn2_saveexec_b64 s[16:17], s[16:17]
	s_cbranch_execz .LBB16_51
; %bb.50:
	v_div_scale_f64 v[52:53], s[18:19], v[36:37], v[36:37], v[38:39]
	v_rcp_f64_e32 v[54:55], v[52:53]
	v_div_scale_f64 v[56:57], vcc, v[38:39], v[36:37], v[38:39]
	v_fma_f64 v[58:59], -v[52:53], v[54:55], 1.0
	v_fmac_f64_e32 v[54:55], v[54:55], v[58:59]
	v_fma_f64 v[58:59], -v[52:53], v[54:55], 1.0
	v_fmac_f64_e32 v[54:55], v[54:55], v[58:59]
	v_mul_f64 v[58:59], v[56:57], v[54:55]
	v_fma_f64 v[52:53], -v[52:53], v[58:59], v[56:57]
	v_div_fmas_f64 v[52:53], v[52:53], v[54:55], v[58:59]
	v_div_fixup_f64 v[52:53], v[52:53], v[36:37], v[38:39]
	v_fmac_f64_e32 v[36:37], v[38:39], v[52:53]
	v_div_scale_f64 v[38:39], s[18:19], v[36:37], v[36:37], 1.0
	v_rcp_f64_e32 v[54:55], v[38:39]
	s_nop 0
	v_fma_f64 v[56:57], -v[38:39], v[54:55], 1.0
	v_fmac_f64_e32 v[54:55], v[54:55], v[56:57]
	v_fma_f64 v[56:57], -v[38:39], v[54:55], 1.0
	v_fmac_f64_e32 v[54:55], v[54:55], v[56:57]
	v_div_scale_f64 v[56:57], vcc, 1.0, v[36:37], 1.0
	v_mul_f64 v[58:59], v[56:57], v[54:55]
	v_fma_f64 v[38:39], -v[38:39], v[58:59], v[56:57]
	s_nop 1
	v_div_fmas_f64 v[38:39], v[38:39], v[54:55], v[58:59]
	v_div_fixup_f64 v[36:37], v[38:39], v[36:37], 1.0
	v_mul_f64 v[38:39], v[52:53], -v[36:37]
.LBB16_51:
	s_or_b64 exec, exec, s[16:17]
.LBB16_52:
	s_or_b64 exec, exec, s[0:1]
	v_cmp_ne_u32_e32 vcc, v47, v46
	s_and_saveexec_b64 s[0:1], vcc
	s_xor_b64 s[0:1], exec, s[0:1]
	s_cbranch_execz .LBB16_58
; %bb.53:
	v_cmp_eq_u32_e32 vcc, 2, v47
	s_and_saveexec_b64 s[16:17], vcc
	s_cbranch_execz .LBB16_57
; %bb.54:
	v_cmp_ne_u32_e32 vcc, 2, v46
	s_xor_b64 s[18:19], s[14:15], -1
	s_and_b64 s[22:23], s[18:19], vcc
	s_and_saveexec_b64 s[18:19], s[22:23]
	s_cbranch_execz .LBB16_56
; %bb.55:
	v_ashrrev_i32_e32 v47, 31, v46
	v_lshl_add_u64 v[52:53], v[46:47], 2, v[44:45]
	global_load_dword v47, v[52:53], off
	global_load_dword v50, v[44:45], off offset:8
	s_waitcnt vmcnt(1)
	global_store_dword v[44:45], v47, off offset:8
	s_waitcnt vmcnt(1)
	global_store_dword v[52:53], v50, off
.LBB16_56:
	s_or_b64 exec, exec, s[18:19]
	v_mov_b32_e32 v47, v46
	v_mov_b32_e32 v50, v46
.LBB16_57:
	s_or_b64 exec, exec, s[16:17]
.LBB16_58:
	s_andn2_saveexec_b64 s[0:1], s[0:1]
	s_cbranch_execz .LBB16_60
; %bb.59:
	v_mov_b32_e32 v47, 2
	s_waitcnt vmcnt(5)
	ds_write2_b64 v48, v[12:13], v[14:15] offset0:6 offset1:7
	s_waitcnt vmcnt(4)
	ds_write2_b64 v48, v[16:17], v[18:19] offset0:8 offset1:9
	;; [unrolled: 2-line block ×6, first 2 shown]
.LBB16_60:
	s_or_b64 exec, exec, s[0:1]
	v_cmp_lt_i32_e32 vcc, 2, v47
	s_waitcnt lgkmcnt(0)
	s_barrier
	s_and_saveexec_b64 s[0:1], vcc
	s_cbranch_execz .LBB16_62
; %bb.61:
	ds_read2_b64 v[52:55], v48 offset0:6 offset1:7
	v_mul_f64 v[56:57], v[36:37], v[30:31]
	v_mul_f64 v[30:31], v[38:39], v[30:31]
	v_fmac_f64_e32 v[56:57], v[38:39], v[28:29]
	v_fma_f64 v[28:29], v[36:37], v[28:29], -v[30:31]
	ds_read2_b64 v[36:39], v48 offset0:8 offset1:9
	s_waitcnt lgkmcnt(1)
	v_mul_f64 v[30:31], v[54:55], v[56:57]
	v_fma_f64 v[30:31], v[52:53], v[28:29], -v[30:31]
	v_mul_f64 v[52:53], v[52:53], v[56:57]
	v_fmac_f64_e32 v[52:53], v[54:55], v[28:29]
	s_waitcnt vmcnt(5)
	v_add_f64 v[12:13], v[12:13], -v[30:31]
	s_waitcnt lgkmcnt(0)
	v_mul_f64 v[30:31], v[38:39], v[56:57]
	v_add_f64 v[14:15], v[14:15], -v[52:53]
	v_fma_f64 v[30:31], v[36:37], v[28:29], -v[30:31]
	v_mul_f64 v[36:37], v[36:37], v[56:57]
	ds_read2_b64 v[52:55], v48 offset0:10 offset1:11
	v_fmac_f64_e32 v[36:37], v[38:39], v[28:29]
	s_waitcnt vmcnt(4)
	v_add_f64 v[18:19], v[18:19], -v[36:37]
	ds_read2_b64 v[36:39], v48 offset0:12 offset1:13
	v_add_f64 v[16:17], v[16:17], -v[30:31]
	s_waitcnt lgkmcnt(1)
	v_mul_f64 v[30:31], v[54:55], v[56:57]
	v_fma_f64 v[30:31], v[52:53], v[28:29], -v[30:31]
	v_mul_f64 v[52:53], v[52:53], v[56:57]
	v_fmac_f64_e32 v[52:53], v[54:55], v[28:29]
	s_waitcnt vmcnt(3)
	v_add_f64 v[4:5], v[4:5], -v[30:31]
	s_waitcnt lgkmcnt(0)
	v_mul_f64 v[30:31], v[38:39], v[56:57]
	v_add_f64 v[6:7], v[6:7], -v[52:53]
	v_fma_f64 v[30:31], v[36:37], v[28:29], -v[30:31]
	v_mul_f64 v[36:37], v[36:37], v[56:57]
	ds_read2_b64 v[52:55], v48 offset0:14 offset1:15
	v_fmac_f64_e32 v[36:37], v[38:39], v[28:29]
	s_waitcnt vmcnt(2)
	v_add_f64 v[10:11], v[10:11], -v[36:37]
	ds_read2_b64 v[36:39], v48 offset0:16 offset1:17
	v_add_f64 v[8:9], v[8:9], -v[30:31]
	s_waitcnt lgkmcnt(1)
	v_mul_f64 v[30:31], v[54:55], v[56:57]
	v_fma_f64 v[30:31], v[52:53], v[28:29], -v[30:31]
	s_waitcnt vmcnt(1)
	v_add_f64 v[0:1], v[0:1], -v[30:31]
	s_waitcnt lgkmcnt(0)
	v_mul_f64 v[30:31], v[38:39], v[56:57]
	v_mul_f64 v[52:53], v[52:53], v[56:57]
	v_fma_f64 v[30:31], v[36:37], v[28:29], -v[30:31]
	v_mul_f64 v[36:37], v[36:37], v[56:57]
	v_fmac_f64_e32 v[52:53], v[54:55], v[28:29]
	v_fmac_f64_e32 v[36:37], v[38:39], v[28:29]
	v_add_f64 v[2:3], v[2:3], -v[52:53]
	s_waitcnt vmcnt(0)
	v_add_f64 v[32:33], v[32:33], -v[30:31]
	v_add_f64 v[34:35], v[34:35], -v[36:37]
	v_mov_b64_e32 v[30:31], v[56:57]
.LBB16_62:
	s_or_b64 exec, exec, s[0:1]
	v_lshl_add_u32 v36, v47, 4, v48
	s_barrier
	s_waitcnt vmcnt(5)
	ds_write2_b64 v36, v[12:13], v[14:15] offset1:1
	s_waitcnt lgkmcnt(0)
	s_barrier
	ds_read2_b64 v[36:39], v48 offset0:6 offset1:7
	s_mov_b32 s16, 4
	s_cmp_lt_i32 s20, 5
	v_mov_b32_e32 v46, 3
	s_cbranch_scc1 .LBB16_65
; %bb.63:
	v_add3_u32 v49, v49, 0, 64
	v_mov_b32_e32 v46, 3
.LBB16_64:                              ; =>This Inner Loop Header: Depth=1
	ds_read2_b64 v[52:55], v49 offset1:1
	s_waitcnt lgkmcnt(1)
	v_xor_b32_e32 v57, 0x80000000, v37
	v_xor_b32_e32 v59, 0x80000000, v39
	v_cmp_gt_f64_e32 vcc, 0, v[38:39]
	v_cmp_gt_f64_e64 s[0:1], 0, v[36:37]
	v_mov_b32_e32 v56, v36
	v_mov_b32_e32 v58, v38
	v_cndmask_b32_e64 v57, v37, v57, s[0:1]
	v_cndmask_b32_e32 v59, v39, v59, vcc
	v_add_f64 v[56:57], v[56:57], v[58:59]
	s_waitcnt lgkmcnt(0)
	v_xor_b32_e32 v59, 0x80000000, v53
	v_xor_b32_e32 v61, 0x80000000, v55
	v_cmp_gt_f64_e32 vcc, 0, v[54:55]
	v_cmp_gt_f64_e64 s[0:1], 0, v[52:53]
	v_mov_b32_e32 v58, v52
	v_mov_b32_e32 v60, v54
	v_cndmask_b32_e64 v59, v53, v59, s[0:1]
	v_cndmask_b32_e32 v61, v55, v61, vcc
	v_add_f64 v[58:59], v[58:59], v[60:61]
	v_mov_b32_e32 v62, s16
	s_add_i32 s16, s16, 1
	v_cmp_lt_f64_e32 vcc, v[56:57], v[58:59]
	v_add_u32_e32 v49, 16, v49
	s_cmp_lg_u32 s20, s16
	v_cndmask_b32_e32 v37, v37, v53, vcc
	v_cndmask_b32_e32 v36, v36, v52, vcc
	;; [unrolled: 1-line block ×5, first 2 shown]
	s_cbranch_scc1 .LBB16_64
.LBB16_65:
	s_waitcnt lgkmcnt(0)
	v_cmp_eq_f64_e32 vcc, 0, v[36:37]
	v_cmp_eq_f64_e64 s[0:1], 0, v[38:39]
	s_and_b64 s[0:1], vcc, s[0:1]
	s_and_saveexec_b64 s[16:17], s[0:1]
	s_xor_b64 s[0:1], exec, s[16:17]
; %bb.66:
	v_cmp_ne_u32_e32 vcc, 0, v51
	s_nop 1
	v_cndmask_b32_e32 v51, 4, v51, vcc
; %bb.67:
	s_andn2_saveexec_b64 s[0:1], s[0:1]
	s_cbranch_execz .LBB16_73
; %bb.68:
	v_cmp_ngt_f64_e64 s[16:17], |v[36:37]|, |v[38:39]|
	s_and_saveexec_b64 s[18:19], s[16:17]
	s_xor_b64 s[16:17], exec, s[18:19]
	s_cbranch_execz .LBB16_70
; %bb.69:
	v_div_scale_f64 v[52:53], s[18:19], v[38:39], v[38:39], v[36:37]
	v_rcp_f64_e32 v[54:55], v[52:53]
	v_div_scale_f64 v[56:57], vcc, v[36:37], v[38:39], v[36:37]
	v_fma_f64 v[58:59], -v[52:53], v[54:55], 1.0
	v_fmac_f64_e32 v[54:55], v[54:55], v[58:59]
	v_fma_f64 v[58:59], -v[52:53], v[54:55], 1.0
	v_fmac_f64_e32 v[54:55], v[54:55], v[58:59]
	v_mul_f64 v[58:59], v[56:57], v[54:55]
	v_fma_f64 v[52:53], -v[52:53], v[58:59], v[56:57]
	v_div_fmas_f64 v[52:53], v[52:53], v[54:55], v[58:59]
	v_div_fixup_f64 v[52:53], v[52:53], v[38:39], v[36:37]
	v_fmac_f64_e32 v[38:39], v[36:37], v[52:53]
	v_div_scale_f64 v[36:37], s[18:19], v[38:39], v[38:39], 1.0
	v_rcp_f64_e32 v[54:55], v[36:37]
	s_nop 0
	v_fma_f64 v[56:57], -v[36:37], v[54:55], 1.0
	v_fmac_f64_e32 v[54:55], v[54:55], v[56:57]
	v_fma_f64 v[56:57], -v[36:37], v[54:55], 1.0
	v_fmac_f64_e32 v[54:55], v[54:55], v[56:57]
	v_div_scale_f64 v[56:57], vcc, 1.0, v[38:39], 1.0
	v_mul_f64 v[58:59], v[56:57], v[54:55]
	v_fma_f64 v[36:37], -v[36:37], v[58:59], v[56:57]
	s_nop 1
	v_div_fmas_f64 v[36:37], v[36:37], v[54:55], v[58:59]
	v_div_fixup_f64 v[38:39], v[36:37], v[38:39], 1.0
	v_mul_f64 v[36:37], v[52:53], v[38:39]
	v_xor_b32_e32 v39, 0x80000000, v39
.LBB16_70:
	s_andn2_saveexec_b64 s[16:17], s[16:17]
	s_cbranch_execz .LBB16_72
; %bb.71:
	v_div_scale_f64 v[52:53], s[18:19], v[36:37], v[36:37], v[38:39]
	v_rcp_f64_e32 v[54:55], v[52:53]
	v_div_scale_f64 v[56:57], vcc, v[38:39], v[36:37], v[38:39]
	v_fma_f64 v[58:59], -v[52:53], v[54:55], 1.0
	v_fmac_f64_e32 v[54:55], v[54:55], v[58:59]
	v_fma_f64 v[58:59], -v[52:53], v[54:55], 1.0
	v_fmac_f64_e32 v[54:55], v[54:55], v[58:59]
	v_mul_f64 v[58:59], v[56:57], v[54:55]
	v_fma_f64 v[52:53], -v[52:53], v[58:59], v[56:57]
	v_div_fmas_f64 v[52:53], v[52:53], v[54:55], v[58:59]
	v_div_fixup_f64 v[52:53], v[52:53], v[36:37], v[38:39]
	v_fmac_f64_e32 v[36:37], v[38:39], v[52:53]
	v_div_scale_f64 v[38:39], s[18:19], v[36:37], v[36:37], 1.0
	v_rcp_f64_e32 v[54:55], v[38:39]
	s_nop 0
	v_fma_f64 v[56:57], -v[38:39], v[54:55], 1.0
	v_fmac_f64_e32 v[54:55], v[54:55], v[56:57]
	v_fma_f64 v[56:57], -v[38:39], v[54:55], 1.0
	v_fmac_f64_e32 v[54:55], v[54:55], v[56:57]
	v_div_scale_f64 v[56:57], vcc, 1.0, v[36:37], 1.0
	v_mul_f64 v[58:59], v[56:57], v[54:55]
	v_fma_f64 v[38:39], -v[38:39], v[58:59], v[56:57]
	s_nop 1
	v_div_fmas_f64 v[38:39], v[38:39], v[54:55], v[58:59]
	v_div_fixup_f64 v[36:37], v[38:39], v[36:37], 1.0
	v_mul_f64 v[38:39], v[52:53], -v[36:37]
.LBB16_72:
	s_or_b64 exec, exec, s[16:17]
.LBB16_73:
	s_or_b64 exec, exec, s[0:1]
	v_cmp_ne_u32_e32 vcc, v47, v46
	s_and_saveexec_b64 s[0:1], vcc
	s_xor_b64 s[0:1], exec, s[0:1]
	s_cbranch_execz .LBB16_79
; %bb.74:
	v_cmp_eq_u32_e32 vcc, 3, v47
	s_and_saveexec_b64 s[16:17], vcc
	s_cbranch_execz .LBB16_78
; %bb.75:
	v_cmp_ne_u32_e32 vcc, 3, v46
	s_xor_b64 s[18:19], s[14:15], -1
	s_and_b64 s[22:23], s[18:19], vcc
	s_and_saveexec_b64 s[18:19], s[22:23]
	s_cbranch_execz .LBB16_77
; %bb.76:
	v_ashrrev_i32_e32 v47, 31, v46
	v_lshl_add_u64 v[52:53], v[46:47], 2, v[44:45]
	global_load_dword v47, v[52:53], off
	global_load_dword v49, v[44:45], off offset:12
	s_waitcnt vmcnt(1)
	global_store_dword v[44:45], v47, off offset:12
	s_waitcnt vmcnt(1)
	global_store_dword v[52:53], v49, off
.LBB16_77:
	s_or_b64 exec, exec, s[18:19]
	v_mov_b32_e32 v47, v46
	v_mov_b32_e32 v50, v46
.LBB16_78:
	s_or_b64 exec, exec, s[16:17]
.LBB16_79:
	s_andn2_saveexec_b64 s[0:1], s[0:1]
	s_cbranch_execz .LBB16_81
; %bb.80:
	v_mov_b32_e32 v47, 3
	s_waitcnt vmcnt(4)
	ds_write2_b64 v48, v[16:17], v[18:19] offset0:8 offset1:9
	s_waitcnt vmcnt(3)
	ds_write2_b64 v48, v[4:5], v[6:7] offset0:10 offset1:11
	;; [unrolled: 2-line block ×5, first 2 shown]
.LBB16_81:
	s_or_b64 exec, exec, s[0:1]
	v_cmp_lt_i32_e32 vcc, 3, v47
	s_waitcnt lgkmcnt(0)
	s_barrier
	s_and_saveexec_b64 s[0:1], vcc
	s_cbranch_execz .LBB16_83
; %bb.82:
	ds_read2_b64 v[52:55], v48 offset0:8 offset1:9
	v_mul_f64 v[56:57], v[36:37], v[14:15]
	v_fmac_f64_e32 v[56:57], v[38:39], v[12:13]
	v_mul_f64 v[14:15], v[38:39], v[14:15]
	v_fma_f64 v[12:13], v[36:37], v[12:13], -v[14:15]
	ds_read2_b64 v[36:39], v48 offset0:10 offset1:11
	s_waitcnt lgkmcnt(1)
	v_mul_f64 v[14:15], v[54:55], v[56:57]
	v_fma_f64 v[14:15], v[52:53], v[12:13], -v[14:15]
	v_mul_f64 v[52:53], v[52:53], v[56:57]
	v_fmac_f64_e32 v[52:53], v[54:55], v[12:13]
	s_waitcnt vmcnt(4)
	v_add_f64 v[18:19], v[18:19], -v[52:53]
	ds_read2_b64 v[52:55], v48 offset0:12 offset1:13
	v_add_f64 v[16:17], v[16:17], -v[14:15]
	s_waitcnt lgkmcnt(1)
	v_mul_f64 v[14:15], v[38:39], v[56:57]
	v_fma_f64 v[14:15], v[36:37], v[12:13], -v[14:15]
	v_mul_f64 v[36:37], v[36:37], v[56:57]
	v_fmac_f64_e32 v[36:37], v[38:39], v[12:13]
	s_waitcnt vmcnt(3)
	v_add_f64 v[4:5], v[4:5], -v[14:15]
	v_add_f64 v[6:7], v[6:7], -v[36:37]
	ds_read2_b64 v[36:39], v48 offset0:14 offset1:15
	s_waitcnt lgkmcnt(1)
	v_mul_f64 v[14:15], v[54:55], v[56:57]
	v_fma_f64 v[14:15], v[52:53], v[12:13], -v[14:15]
	v_mul_f64 v[52:53], v[52:53], v[56:57]
	v_fmac_f64_e32 v[52:53], v[54:55], v[12:13]
	s_waitcnt vmcnt(2)
	v_add_f64 v[10:11], v[10:11], -v[52:53]
	ds_read2_b64 v[52:55], v48 offset0:16 offset1:17
	v_add_f64 v[8:9], v[8:9], -v[14:15]
	s_waitcnt lgkmcnt(1)
	v_mul_f64 v[14:15], v[38:39], v[56:57]
	v_fma_f64 v[14:15], v[36:37], v[12:13], -v[14:15]
	v_mul_f64 v[36:37], v[36:37], v[56:57]
	v_fmac_f64_e32 v[36:37], v[38:39], v[12:13]
	s_waitcnt vmcnt(1)
	v_add_f64 v[0:1], v[0:1], -v[14:15]
	v_add_f64 v[2:3], v[2:3], -v[36:37]
	s_waitcnt lgkmcnt(0)
	v_mul_f64 v[14:15], v[54:55], v[56:57]
	v_mul_f64 v[36:37], v[52:53], v[56:57]
	v_fma_f64 v[14:15], v[52:53], v[12:13], -v[14:15]
	v_fmac_f64_e32 v[36:37], v[54:55], v[12:13]
	s_waitcnt vmcnt(0)
	v_add_f64 v[32:33], v[32:33], -v[14:15]
	v_add_f64 v[34:35], v[34:35], -v[36:37]
	v_mov_b64_e32 v[14:15], v[56:57]
.LBB16_83:
	s_or_b64 exec, exec, s[0:1]
	v_lshl_add_u32 v36, v47, 4, v48
	s_barrier
	s_waitcnt vmcnt(4)
	ds_write2_b64 v36, v[16:17], v[18:19] offset1:1
	s_waitcnt lgkmcnt(0)
	s_barrier
	ds_read2_b64 v[36:39], v48 offset0:8 offset1:9
	s_cmp_lt_i32 s20, 6
	v_mov_b32_e32 v46, 4
	s_cbranch_scc1 .LBB16_86
; %bb.84:
	v_mov_b32_e32 v46, 4
	v_add_u32_e32 v49, 0x50, v48
	s_mov_b32 s16, 5
.LBB16_85:                              ; =>This Inner Loop Header: Depth=1
	ds_read2_b64 v[52:55], v49 offset1:1
	s_waitcnt lgkmcnt(1)
	v_xor_b32_e32 v57, 0x80000000, v37
	v_xor_b32_e32 v59, 0x80000000, v39
	v_cmp_gt_f64_e32 vcc, 0, v[38:39]
	v_cmp_gt_f64_e64 s[0:1], 0, v[36:37]
	v_mov_b32_e32 v56, v36
	v_mov_b32_e32 v58, v38
	v_cndmask_b32_e64 v57, v37, v57, s[0:1]
	v_cndmask_b32_e32 v59, v39, v59, vcc
	v_add_f64 v[56:57], v[56:57], v[58:59]
	s_waitcnt lgkmcnt(0)
	v_xor_b32_e32 v59, 0x80000000, v53
	v_xor_b32_e32 v61, 0x80000000, v55
	v_cmp_gt_f64_e32 vcc, 0, v[54:55]
	v_cmp_gt_f64_e64 s[0:1], 0, v[52:53]
	v_mov_b32_e32 v58, v52
	v_mov_b32_e32 v60, v54
	v_cndmask_b32_e64 v59, v53, v59, s[0:1]
	v_cndmask_b32_e32 v61, v55, v61, vcc
	v_add_f64 v[58:59], v[58:59], v[60:61]
	v_mov_b32_e32 v62, s16
	s_add_i32 s16, s16, 1
	v_cmp_lt_f64_e32 vcc, v[56:57], v[58:59]
	v_add_u32_e32 v49, 16, v49
	s_cmp_lg_u32 s20, s16
	v_cndmask_b32_e32 v37, v37, v53, vcc
	v_cndmask_b32_e32 v36, v36, v52, vcc
	;; [unrolled: 1-line block ×5, first 2 shown]
	s_cbranch_scc1 .LBB16_85
.LBB16_86:
	s_waitcnt lgkmcnt(0)
	v_cmp_eq_f64_e32 vcc, 0, v[36:37]
	v_cmp_eq_f64_e64 s[0:1], 0, v[38:39]
	s_and_b64 s[0:1], vcc, s[0:1]
	s_and_saveexec_b64 s[16:17], s[0:1]
	s_xor_b64 s[0:1], exec, s[16:17]
; %bb.87:
	v_cmp_ne_u32_e32 vcc, 0, v51
	s_nop 1
	v_cndmask_b32_e32 v51, 5, v51, vcc
; %bb.88:
	s_andn2_saveexec_b64 s[0:1], s[0:1]
	s_cbranch_execz .LBB16_94
; %bb.89:
	v_cmp_ngt_f64_e64 s[16:17], |v[36:37]|, |v[38:39]|
	s_and_saveexec_b64 s[18:19], s[16:17]
	s_xor_b64 s[16:17], exec, s[18:19]
	s_cbranch_execz .LBB16_91
; %bb.90:
	v_div_scale_f64 v[52:53], s[18:19], v[38:39], v[38:39], v[36:37]
	v_rcp_f64_e32 v[54:55], v[52:53]
	v_div_scale_f64 v[56:57], vcc, v[36:37], v[38:39], v[36:37]
	v_fma_f64 v[58:59], -v[52:53], v[54:55], 1.0
	v_fmac_f64_e32 v[54:55], v[54:55], v[58:59]
	v_fma_f64 v[58:59], -v[52:53], v[54:55], 1.0
	v_fmac_f64_e32 v[54:55], v[54:55], v[58:59]
	v_mul_f64 v[58:59], v[56:57], v[54:55]
	v_fma_f64 v[52:53], -v[52:53], v[58:59], v[56:57]
	v_div_fmas_f64 v[52:53], v[52:53], v[54:55], v[58:59]
	v_div_fixup_f64 v[52:53], v[52:53], v[38:39], v[36:37]
	v_fmac_f64_e32 v[38:39], v[36:37], v[52:53]
	v_div_scale_f64 v[36:37], s[18:19], v[38:39], v[38:39], 1.0
	v_rcp_f64_e32 v[54:55], v[36:37]
	s_nop 0
	v_fma_f64 v[56:57], -v[36:37], v[54:55], 1.0
	v_fmac_f64_e32 v[54:55], v[54:55], v[56:57]
	v_fma_f64 v[56:57], -v[36:37], v[54:55], 1.0
	v_fmac_f64_e32 v[54:55], v[54:55], v[56:57]
	v_div_scale_f64 v[56:57], vcc, 1.0, v[38:39], 1.0
	v_mul_f64 v[58:59], v[56:57], v[54:55]
	v_fma_f64 v[36:37], -v[36:37], v[58:59], v[56:57]
	s_nop 1
	v_div_fmas_f64 v[36:37], v[36:37], v[54:55], v[58:59]
	v_div_fixup_f64 v[38:39], v[36:37], v[38:39], 1.0
	v_mul_f64 v[36:37], v[52:53], v[38:39]
	v_xor_b32_e32 v39, 0x80000000, v39
.LBB16_91:
	s_andn2_saveexec_b64 s[16:17], s[16:17]
	s_cbranch_execz .LBB16_93
; %bb.92:
	v_div_scale_f64 v[52:53], s[18:19], v[36:37], v[36:37], v[38:39]
	v_rcp_f64_e32 v[54:55], v[52:53]
	v_div_scale_f64 v[56:57], vcc, v[38:39], v[36:37], v[38:39]
	v_fma_f64 v[58:59], -v[52:53], v[54:55], 1.0
	v_fmac_f64_e32 v[54:55], v[54:55], v[58:59]
	v_fma_f64 v[58:59], -v[52:53], v[54:55], 1.0
	v_fmac_f64_e32 v[54:55], v[54:55], v[58:59]
	v_mul_f64 v[58:59], v[56:57], v[54:55]
	v_fma_f64 v[52:53], -v[52:53], v[58:59], v[56:57]
	v_div_fmas_f64 v[52:53], v[52:53], v[54:55], v[58:59]
	v_div_fixup_f64 v[52:53], v[52:53], v[36:37], v[38:39]
	v_fmac_f64_e32 v[36:37], v[38:39], v[52:53]
	v_div_scale_f64 v[38:39], s[18:19], v[36:37], v[36:37], 1.0
	v_rcp_f64_e32 v[54:55], v[38:39]
	s_nop 0
	v_fma_f64 v[56:57], -v[38:39], v[54:55], 1.0
	v_fmac_f64_e32 v[54:55], v[54:55], v[56:57]
	v_fma_f64 v[56:57], -v[38:39], v[54:55], 1.0
	v_fmac_f64_e32 v[54:55], v[54:55], v[56:57]
	v_div_scale_f64 v[56:57], vcc, 1.0, v[36:37], 1.0
	v_mul_f64 v[58:59], v[56:57], v[54:55]
	v_fma_f64 v[38:39], -v[38:39], v[58:59], v[56:57]
	s_nop 1
	v_div_fmas_f64 v[38:39], v[38:39], v[54:55], v[58:59]
	v_div_fixup_f64 v[36:37], v[38:39], v[36:37], 1.0
	v_mul_f64 v[38:39], v[52:53], -v[36:37]
.LBB16_93:
	s_or_b64 exec, exec, s[16:17]
.LBB16_94:
	s_or_b64 exec, exec, s[0:1]
	v_cmp_ne_u32_e32 vcc, v47, v46
	s_and_saveexec_b64 s[0:1], vcc
	s_xor_b64 s[0:1], exec, s[0:1]
	s_cbranch_execz .LBB16_100
; %bb.95:
	v_cmp_eq_u32_e32 vcc, 4, v47
	s_and_saveexec_b64 s[16:17], vcc
	s_cbranch_execz .LBB16_99
; %bb.96:
	v_cmp_ne_u32_e32 vcc, 4, v46
	s_xor_b64 s[18:19], s[14:15], -1
	s_and_b64 s[22:23], s[18:19], vcc
	s_and_saveexec_b64 s[18:19], s[22:23]
	s_cbranch_execz .LBB16_98
; %bb.97:
	v_ashrrev_i32_e32 v47, 31, v46
	v_lshl_add_u64 v[52:53], v[46:47], 2, v[44:45]
	global_load_dword v47, v[52:53], off
	global_load_dword v49, v[44:45], off offset:16
	s_waitcnt vmcnt(1)
	global_store_dword v[44:45], v47, off offset:16
	s_waitcnt vmcnt(1)
	global_store_dword v[52:53], v49, off
.LBB16_98:
	s_or_b64 exec, exec, s[18:19]
	v_mov_b32_e32 v47, v46
	v_mov_b32_e32 v50, v46
.LBB16_99:
	s_or_b64 exec, exec, s[16:17]
.LBB16_100:
	s_andn2_saveexec_b64 s[0:1], s[0:1]
	s_cbranch_execz .LBB16_102
; %bb.101:
	v_mov_b32_e32 v47, 4
	s_waitcnt vmcnt(3)
	ds_write2_b64 v48, v[4:5], v[6:7] offset0:10 offset1:11
	s_waitcnt vmcnt(2)
	ds_write2_b64 v48, v[8:9], v[10:11] offset0:12 offset1:13
	;; [unrolled: 2-line block ×4, first 2 shown]
.LBB16_102:
	s_or_b64 exec, exec, s[0:1]
	v_cmp_lt_i32_e32 vcc, 4, v47
	s_waitcnt lgkmcnt(0)
	s_barrier
	s_and_saveexec_b64 s[0:1], vcc
	s_cbranch_execz .LBB16_104
; %bb.103:
	ds_read2_b64 v[52:55], v48 offset0:10 offset1:11
	v_mul_f64 v[56:57], v[36:37], v[18:19]
	v_mul_f64 v[18:19], v[38:39], v[18:19]
	v_fmac_f64_e32 v[56:57], v[38:39], v[16:17]
	v_fma_f64 v[16:17], v[36:37], v[16:17], -v[18:19]
	ds_read2_b64 v[36:39], v48 offset0:12 offset1:13
	s_waitcnt lgkmcnt(1)
	v_mul_f64 v[18:19], v[54:55], v[56:57]
	v_fma_f64 v[18:19], v[52:53], v[16:17], -v[18:19]
	v_mul_f64 v[52:53], v[52:53], v[56:57]
	v_fmac_f64_e32 v[52:53], v[54:55], v[16:17]
	s_waitcnt vmcnt(3)
	v_add_f64 v[4:5], v[4:5], -v[18:19]
	s_waitcnt lgkmcnt(0)
	v_mul_f64 v[18:19], v[38:39], v[56:57]
	v_add_f64 v[6:7], v[6:7], -v[52:53]
	v_fma_f64 v[18:19], v[36:37], v[16:17], -v[18:19]
	v_mul_f64 v[36:37], v[36:37], v[56:57]
	ds_read2_b64 v[52:55], v48 offset0:14 offset1:15
	v_fmac_f64_e32 v[36:37], v[38:39], v[16:17]
	s_waitcnt vmcnt(2)
	v_add_f64 v[10:11], v[10:11], -v[36:37]
	ds_read2_b64 v[36:39], v48 offset0:16 offset1:17
	v_add_f64 v[8:9], v[8:9], -v[18:19]
	s_waitcnt lgkmcnt(1)
	v_mul_f64 v[18:19], v[54:55], v[56:57]
	v_fma_f64 v[18:19], v[52:53], v[16:17], -v[18:19]
	s_waitcnt vmcnt(1)
	v_add_f64 v[0:1], v[0:1], -v[18:19]
	s_waitcnt lgkmcnt(0)
	v_mul_f64 v[18:19], v[38:39], v[56:57]
	v_mul_f64 v[52:53], v[52:53], v[56:57]
	v_fma_f64 v[18:19], v[36:37], v[16:17], -v[18:19]
	v_mul_f64 v[36:37], v[36:37], v[56:57]
	v_fmac_f64_e32 v[52:53], v[54:55], v[16:17]
	v_fmac_f64_e32 v[36:37], v[38:39], v[16:17]
	v_add_f64 v[2:3], v[2:3], -v[52:53]
	s_waitcnt vmcnt(0)
	v_add_f64 v[32:33], v[32:33], -v[18:19]
	v_add_f64 v[34:35], v[34:35], -v[36:37]
	v_mov_b64_e32 v[18:19], v[56:57]
.LBB16_104:
	s_or_b64 exec, exec, s[0:1]
	v_lshl_add_u32 v36, v47, 4, v48
	s_barrier
	s_waitcnt vmcnt(3)
	ds_write2_b64 v36, v[4:5], v[6:7] offset1:1
	s_waitcnt lgkmcnt(0)
	s_barrier
	ds_read2_b64 v[36:39], v48 offset0:10 offset1:11
	s_cmp_lt_i32 s20, 7
	v_mov_b32_e32 v46, 5
	s_cbranch_scc1 .LBB16_107
; %bb.105:
	v_add_u32_e32 v49, 0x60, v48
	s_mov_b32 s16, 6
	v_mov_b32_e32 v46, 5
.LBB16_106:                             ; =>This Inner Loop Header: Depth=1
	ds_read2_b64 v[52:55], v49 offset1:1
	s_waitcnt lgkmcnt(1)
	v_xor_b32_e32 v57, 0x80000000, v37
	v_xor_b32_e32 v59, 0x80000000, v39
	v_cmp_gt_f64_e32 vcc, 0, v[38:39]
	v_cmp_gt_f64_e64 s[0:1], 0, v[36:37]
	v_mov_b32_e32 v56, v36
	v_mov_b32_e32 v58, v38
	v_cndmask_b32_e64 v57, v37, v57, s[0:1]
	v_cndmask_b32_e32 v59, v39, v59, vcc
	v_add_f64 v[56:57], v[56:57], v[58:59]
	s_waitcnt lgkmcnt(0)
	v_xor_b32_e32 v59, 0x80000000, v53
	v_xor_b32_e32 v61, 0x80000000, v55
	v_cmp_gt_f64_e32 vcc, 0, v[54:55]
	v_cmp_gt_f64_e64 s[0:1], 0, v[52:53]
	v_mov_b32_e32 v58, v52
	v_mov_b32_e32 v60, v54
	v_cndmask_b32_e64 v59, v53, v59, s[0:1]
	v_cndmask_b32_e32 v61, v55, v61, vcc
	v_add_f64 v[58:59], v[58:59], v[60:61]
	v_mov_b32_e32 v62, s16
	s_add_i32 s16, s16, 1
	v_cmp_lt_f64_e32 vcc, v[56:57], v[58:59]
	v_add_u32_e32 v49, 16, v49
	s_cmp_lg_u32 s20, s16
	v_cndmask_b32_e32 v37, v37, v53, vcc
	v_cndmask_b32_e32 v36, v36, v52, vcc
	;; [unrolled: 1-line block ×5, first 2 shown]
	s_cbranch_scc1 .LBB16_106
.LBB16_107:
	s_waitcnt lgkmcnt(0)
	v_cmp_eq_f64_e32 vcc, 0, v[36:37]
	v_cmp_eq_f64_e64 s[0:1], 0, v[38:39]
	s_and_b64 s[0:1], vcc, s[0:1]
	s_and_saveexec_b64 s[16:17], s[0:1]
	s_xor_b64 s[0:1], exec, s[16:17]
; %bb.108:
	v_cmp_ne_u32_e32 vcc, 0, v51
	s_nop 1
	v_cndmask_b32_e32 v51, 6, v51, vcc
; %bb.109:
	s_andn2_saveexec_b64 s[0:1], s[0:1]
	s_cbranch_execz .LBB16_115
; %bb.110:
	v_cmp_ngt_f64_e64 s[16:17], |v[36:37]|, |v[38:39]|
	s_and_saveexec_b64 s[18:19], s[16:17]
	s_xor_b64 s[16:17], exec, s[18:19]
	s_cbranch_execz .LBB16_112
; %bb.111:
	v_div_scale_f64 v[52:53], s[18:19], v[38:39], v[38:39], v[36:37]
	v_rcp_f64_e32 v[54:55], v[52:53]
	v_div_scale_f64 v[56:57], vcc, v[36:37], v[38:39], v[36:37]
	v_fma_f64 v[58:59], -v[52:53], v[54:55], 1.0
	v_fmac_f64_e32 v[54:55], v[54:55], v[58:59]
	v_fma_f64 v[58:59], -v[52:53], v[54:55], 1.0
	v_fmac_f64_e32 v[54:55], v[54:55], v[58:59]
	v_mul_f64 v[58:59], v[56:57], v[54:55]
	v_fma_f64 v[52:53], -v[52:53], v[58:59], v[56:57]
	v_div_fmas_f64 v[52:53], v[52:53], v[54:55], v[58:59]
	v_div_fixup_f64 v[52:53], v[52:53], v[38:39], v[36:37]
	v_fmac_f64_e32 v[38:39], v[36:37], v[52:53]
	v_div_scale_f64 v[36:37], s[18:19], v[38:39], v[38:39], 1.0
	v_rcp_f64_e32 v[54:55], v[36:37]
	s_nop 0
	v_fma_f64 v[56:57], -v[36:37], v[54:55], 1.0
	v_fmac_f64_e32 v[54:55], v[54:55], v[56:57]
	v_fma_f64 v[56:57], -v[36:37], v[54:55], 1.0
	v_fmac_f64_e32 v[54:55], v[54:55], v[56:57]
	v_div_scale_f64 v[56:57], vcc, 1.0, v[38:39], 1.0
	v_mul_f64 v[58:59], v[56:57], v[54:55]
	v_fma_f64 v[36:37], -v[36:37], v[58:59], v[56:57]
	s_nop 1
	v_div_fmas_f64 v[36:37], v[36:37], v[54:55], v[58:59]
	v_div_fixup_f64 v[38:39], v[36:37], v[38:39], 1.0
	v_mul_f64 v[36:37], v[52:53], v[38:39]
	v_xor_b32_e32 v39, 0x80000000, v39
.LBB16_112:
	s_andn2_saveexec_b64 s[16:17], s[16:17]
	s_cbranch_execz .LBB16_114
; %bb.113:
	v_div_scale_f64 v[52:53], s[18:19], v[36:37], v[36:37], v[38:39]
	v_rcp_f64_e32 v[54:55], v[52:53]
	v_div_scale_f64 v[56:57], vcc, v[38:39], v[36:37], v[38:39]
	v_fma_f64 v[58:59], -v[52:53], v[54:55], 1.0
	v_fmac_f64_e32 v[54:55], v[54:55], v[58:59]
	v_fma_f64 v[58:59], -v[52:53], v[54:55], 1.0
	v_fmac_f64_e32 v[54:55], v[54:55], v[58:59]
	v_mul_f64 v[58:59], v[56:57], v[54:55]
	v_fma_f64 v[52:53], -v[52:53], v[58:59], v[56:57]
	v_div_fmas_f64 v[52:53], v[52:53], v[54:55], v[58:59]
	v_div_fixup_f64 v[52:53], v[52:53], v[36:37], v[38:39]
	v_fmac_f64_e32 v[36:37], v[38:39], v[52:53]
	v_div_scale_f64 v[38:39], s[18:19], v[36:37], v[36:37], 1.0
	v_rcp_f64_e32 v[54:55], v[38:39]
	s_nop 0
	v_fma_f64 v[56:57], -v[38:39], v[54:55], 1.0
	v_fmac_f64_e32 v[54:55], v[54:55], v[56:57]
	v_fma_f64 v[56:57], -v[38:39], v[54:55], 1.0
	v_fmac_f64_e32 v[54:55], v[54:55], v[56:57]
	v_div_scale_f64 v[56:57], vcc, 1.0, v[36:37], 1.0
	v_mul_f64 v[58:59], v[56:57], v[54:55]
	v_fma_f64 v[38:39], -v[38:39], v[58:59], v[56:57]
	s_nop 1
	v_div_fmas_f64 v[38:39], v[38:39], v[54:55], v[58:59]
	v_div_fixup_f64 v[36:37], v[38:39], v[36:37], 1.0
	v_mul_f64 v[38:39], v[52:53], -v[36:37]
.LBB16_114:
	s_or_b64 exec, exec, s[16:17]
.LBB16_115:
	s_or_b64 exec, exec, s[0:1]
	v_cmp_ne_u32_e32 vcc, v47, v46
	s_and_saveexec_b64 s[0:1], vcc
	s_xor_b64 s[0:1], exec, s[0:1]
	s_cbranch_execz .LBB16_121
; %bb.116:
	v_cmp_eq_u32_e32 vcc, 5, v47
	s_and_saveexec_b64 s[16:17], vcc
	s_cbranch_execz .LBB16_120
; %bb.117:
	v_cmp_ne_u32_e32 vcc, 5, v46
	s_xor_b64 s[18:19], s[14:15], -1
	s_and_b64 s[22:23], s[18:19], vcc
	s_and_saveexec_b64 s[18:19], s[22:23]
	s_cbranch_execz .LBB16_119
; %bb.118:
	v_ashrrev_i32_e32 v47, 31, v46
	v_lshl_add_u64 v[52:53], v[46:47], 2, v[44:45]
	global_load_dword v47, v[52:53], off
	global_load_dword v49, v[44:45], off offset:20
	s_waitcnt vmcnt(1)
	global_store_dword v[44:45], v47, off offset:20
	s_waitcnt vmcnt(1)
	global_store_dword v[52:53], v49, off
.LBB16_119:
	s_or_b64 exec, exec, s[18:19]
	v_mov_b32_e32 v47, v46
	v_mov_b32_e32 v50, v46
.LBB16_120:
	s_or_b64 exec, exec, s[16:17]
.LBB16_121:
	s_andn2_saveexec_b64 s[0:1], s[0:1]
	s_cbranch_execz .LBB16_123
; %bb.122:
	v_mov_b32_e32 v47, 5
	s_waitcnt vmcnt(2)
	ds_write2_b64 v48, v[8:9], v[10:11] offset0:12 offset1:13
	s_waitcnt vmcnt(1)
	ds_write2_b64 v48, v[0:1], v[2:3] offset0:14 offset1:15
	;; [unrolled: 2-line block ×3, first 2 shown]
.LBB16_123:
	s_or_b64 exec, exec, s[0:1]
	v_cmp_lt_i32_e32 vcc, 5, v47
	s_waitcnt lgkmcnt(0)
	s_barrier
	s_and_saveexec_b64 s[0:1], vcc
	s_cbranch_execz .LBB16_125
; %bb.124:
	ds_read2_b64 v[52:55], v48 offset0:12 offset1:13
	v_mul_f64 v[56:57], v[36:37], v[6:7]
	v_fmac_f64_e32 v[56:57], v[38:39], v[4:5]
	v_mul_f64 v[6:7], v[38:39], v[6:7]
	v_fma_f64 v[4:5], v[36:37], v[4:5], -v[6:7]
	ds_read2_b64 v[36:39], v48 offset0:14 offset1:15
	s_waitcnt lgkmcnt(1)
	v_mul_f64 v[6:7], v[54:55], v[56:57]
	v_fma_f64 v[6:7], v[52:53], v[4:5], -v[6:7]
	v_mul_f64 v[52:53], v[52:53], v[56:57]
	v_fmac_f64_e32 v[52:53], v[54:55], v[4:5]
	s_waitcnt vmcnt(2)
	v_add_f64 v[10:11], v[10:11], -v[52:53]
	ds_read2_b64 v[52:55], v48 offset0:16 offset1:17
	v_add_f64 v[8:9], v[8:9], -v[6:7]
	s_waitcnt lgkmcnt(1)
	v_mul_f64 v[6:7], v[38:39], v[56:57]
	v_fma_f64 v[6:7], v[36:37], v[4:5], -v[6:7]
	v_mul_f64 v[36:37], v[36:37], v[56:57]
	v_fmac_f64_e32 v[36:37], v[38:39], v[4:5]
	s_waitcnt vmcnt(1)
	v_add_f64 v[0:1], v[0:1], -v[6:7]
	v_add_f64 v[2:3], v[2:3], -v[36:37]
	s_waitcnt lgkmcnt(0)
	v_mul_f64 v[6:7], v[54:55], v[56:57]
	v_mul_f64 v[36:37], v[52:53], v[56:57]
	v_fma_f64 v[6:7], v[52:53], v[4:5], -v[6:7]
	v_fmac_f64_e32 v[36:37], v[54:55], v[4:5]
	s_waitcnt vmcnt(0)
	v_add_f64 v[32:33], v[32:33], -v[6:7]
	v_add_f64 v[34:35], v[34:35], -v[36:37]
	v_mov_b64_e32 v[6:7], v[56:57]
.LBB16_125:
	s_or_b64 exec, exec, s[0:1]
	v_lshl_add_u32 v36, v47, 4, v48
	s_barrier
	s_waitcnt vmcnt(2)
	ds_write2_b64 v36, v[8:9], v[10:11] offset1:1
	s_waitcnt lgkmcnt(0)
	s_barrier
	ds_read2_b64 v[36:39], v48 offset0:12 offset1:13
	s_cmp_lt_i32 s20, 8
	v_mov_b32_e32 v46, 6
	s_cbranch_scc1 .LBB16_128
; %bb.126:
	v_add_u32_e32 v49, 0x70, v48
	s_mov_b32 s16, 7
	v_mov_b32_e32 v46, 6
.LBB16_127:                             ; =>This Inner Loop Header: Depth=1
	ds_read2_b64 v[52:55], v49 offset1:1
	s_waitcnt lgkmcnt(1)
	v_xor_b32_e32 v57, 0x80000000, v37
	v_xor_b32_e32 v59, 0x80000000, v39
	v_cmp_gt_f64_e32 vcc, 0, v[38:39]
	v_cmp_gt_f64_e64 s[0:1], 0, v[36:37]
	v_mov_b32_e32 v56, v36
	v_mov_b32_e32 v58, v38
	v_cndmask_b32_e64 v57, v37, v57, s[0:1]
	v_cndmask_b32_e32 v59, v39, v59, vcc
	v_add_f64 v[56:57], v[56:57], v[58:59]
	s_waitcnt lgkmcnt(0)
	v_xor_b32_e32 v59, 0x80000000, v53
	v_xor_b32_e32 v61, 0x80000000, v55
	v_cmp_gt_f64_e32 vcc, 0, v[54:55]
	v_cmp_gt_f64_e64 s[0:1], 0, v[52:53]
	v_mov_b32_e32 v58, v52
	v_mov_b32_e32 v60, v54
	v_cndmask_b32_e64 v59, v53, v59, s[0:1]
	v_cndmask_b32_e32 v61, v55, v61, vcc
	v_add_f64 v[58:59], v[58:59], v[60:61]
	v_mov_b32_e32 v62, s16
	s_add_i32 s16, s16, 1
	v_cmp_lt_f64_e32 vcc, v[56:57], v[58:59]
	v_add_u32_e32 v49, 16, v49
	s_cmp_lg_u32 s20, s16
	v_cndmask_b32_e32 v37, v37, v53, vcc
	v_cndmask_b32_e32 v36, v36, v52, vcc
	;; [unrolled: 1-line block ×5, first 2 shown]
	s_cbranch_scc1 .LBB16_127
.LBB16_128:
	s_waitcnt lgkmcnt(0)
	v_cmp_eq_f64_e32 vcc, 0, v[36:37]
	v_cmp_eq_f64_e64 s[0:1], 0, v[38:39]
	s_and_b64 s[0:1], vcc, s[0:1]
	s_and_saveexec_b64 s[16:17], s[0:1]
	s_xor_b64 s[0:1], exec, s[16:17]
; %bb.129:
	v_cmp_ne_u32_e32 vcc, 0, v51
	s_nop 1
	v_cndmask_b32_e32 v51, 7, v51, vcc
; %bb.130:
	s_andn2_saveexec_b64 s[0:1], s[0:1]
	s_cbranch_execz .LBB16_136
; %bb.131:
	v_cmp_ngt_f64_e64 s[16:17], |v[36:37]|, |v[38:39]|
	s_and_saveexec_b64 s[18:19], s[16:17]
	s_xor_b64 s[16:17], exec, s[18:19]
	s_cbranch_execz .LBB16_133
; %bb.132:
	v_div_scale_f64 v[52:53], s[18:19], v[38:39], v[38:39], v[36:37]
	v_rcp_f64_e32 v[54:55], v[52:53]
	v_div_scale_f64 v[56:57], vcc, v[36:37], v[38:39], v[36:37]
	v_fma_f64 v[58:59], -v[52:53], v[54:55], 1.0
	v_fmac_f64_e32 v[54:55], v[54:55], v[58:59]
	v_fma_f64 v[58:59], -v[52:53], v[54:55], 1.0
	v_fmac_f64_e32 v[54:55], v[54:55], v[58:59]
	v_mul_f64 v[58:59], v[56:57], v[54:55]
	v_fma_f64 v[52:53], -v[52:53], v[58:59], v[56:57]
	v_div_fmas_f64 v[52:53], v[52:53], v[54:55], v[58:59]
	v_div_fixup_f64 v[52:53], v[52:53], v[38:39], v[36:37]
	v_fmac_f64_e32 v[38:39], v[36:37], v[52:53]
	v_div_scale_f64 v[36:37], s[18:19], v[38:39], v[38:39], 1.0
	v_rcp_f64_e32 v[54:55], v[36:37]
	s_nop 0
	v_fma_f64 v[56:57], -v[36:37], v[54:55], 1.0
	v_fmac_f64_e32 v[54:55], v[54:55], v[56:57]
	v_fma_f64 v[56:57], -v[36:37], v[54:55], 1.0
	v_fmac_f64_e32 v[54:55], v[54:55], v[56:57]
	v_div_scale_f64 v[56:57], vcc, 1.0, v[38:39], 1.0
	v_mul_f64 v[58:59], v[56:57], v[54:55]
	v_fma_f64 v[36:37], -v[36:37], v[58:59], v[56:57]
	s_nop 1
	v_div_fmas_f64 v[36:37], v[36:37], v[54:55], v[58:59]
	v_div_fixup_f64 v[38:39], v[36:37], v[38:39], 1.0
	v_mul_f64 v[36:37], v[52:53], v[38:39]
	v_xor_b32_e32 v39, 0x80000000, v39
.LBB16_133:
	s_andn2_saveexec_b64 s[16:17], s[16:17]
	s_cbranch_execz .LBB16_135
; %bb.134:
	v_div_scale_f64 v[52:53], s[18:19], v[36:37], v[36:37], v[38:39]
	v_rcp_f64_e32 v[54:55], v[52:53]
	v_div_scale_f64 v[56:57], vcc, v[38:39], v[36:37], v[38:39]
	v_fma_f64 v[58:59], -v[52:53], v[54:55], 1.0
	v_fmac_f64_e32 v[54:55], v[54:55], v[58:59]
	v_fma_f64 v[58:59], -v[52:53], v[54:55], 1.0
	v_fmac_f64_e32 v[54:55], v[54:55], v[58:59]
	v_mul_f64 v[58:59], v[56:57], v[54:55]
	v_fma_f64 v[52:53], -v[52:53], v[58:59], v[56:57]
	v_div_fmas_f64 v[52:53], v[52:53], v[54:55], v[58:59]
	v_div_fixup_f64 v[52:53], v[52:53], v[36:37], v[38:39]
	v_fmac_f64_e32 v[36:37], v[38:39], v[52:53]
	v_div_scale_f64 v[38:39], s[18:19], v[36:37], v[36:37], 1.0
	v_rcp_f64_e32 v[54:55], v[38:39]
	s_nop 0
	v_fma_f64 v[56:57], -v[38:39], v[54:55], 1.0
	v_fmac_f64_e32 v[54:55], v[54:55], v[56:57]
	v_fma_f64 v[56:57], -v[38:39], v[54:55], 1.0
	v_fmac_f64_e32 v[54:55], v[54:55], v[56:57]
	v_div_scale_f64 v[56:57], vcc, 1.0, v[36:37], 1.0
	v_mul_f64 v[58:59], v[56:57], v[54:55]
	v_fma_f64 v[38:39], -v[38:39], v[58:59], v[56:57]
	s_nop 1
	v_div_fmas_f64 v[38:39], v[38:39], v[54:55], v[58:59]
	v_div_fixup_f64 v[36:37], v[38:39], v[36:37], 1.0
	v_mul_f64 v[38:39], v[52:53], -v[36:37]
.LBB16_135:
	s_or_b64 exec, exec, s[16:17]
.LBB16_136:
	s_or_b64 exec, exec, s[0:1]
	v_cmp_ne_u32_e32 vcc, v47, v46
	s_and_saveexec_b64 s[0:1], vcc
	s_xor_b64 s[0:1], exec, s[0:1]
	s_cbranch_execz .LBB16_142
; %bb.137:
	v_cmp_eq_u32_e32 vcc, 6, v47
	s_and_saveexec_b64 s[16:17], vcc
	s_cbranch_execz .LBB16_141
; %bb.138:
	v_cmp_ne_u32_e32 vcc, 6, v46
	s_xor_b64 s[18:19], s[14:15], -1
	s_and_b64 s[22:23], s[18:19], vcc
	s_and_saveexec_b64 s[18:19], s[22:23]
	s_cbranch_execz .LBB16_140
; %bb.139:
	v_ashrrev_i32_e32 v47, 31, v46
	v_lshl_add_u64 v[52:53], v[46:47], 2, v[44:45]
	global_load_dword v47, v[52:53], off
	global_load_dword v49, v[44:45], off offset:24
	s_waitcnt vmcnt(1)
	global_store_dword v[44:45], v47, off offset:24
	s_waitcnt vmcnt(1)
	global_store_dword v[52:53], v49, off
.LBB16_140:
	s_or_b64 exec, exec, s[18:19]
	v_mov_b32_e32 v47, v46
	v_mov_b32_e32 v50, v46
.LBB16_141:
	s_or_b64 exec, exec, s[16:17]
.LBB16_142:
	s_andn2_saveexec_b64 s[0:1], s[0:1]
	s_cbranch_execz .LBB16_144
; %bb.143:
	v_mov_b32_e32 v47, 6
	s_waitcnt vmcnt(1)
	ds_write2_b64 v48, v[0:1], v[2:3] offset0:14 offset1:15
	s_waitcnt vmcnt(0)
	ds_write2_b64 v48, v[32:33], v[34:35] offset0:16 offset1:17
.LBB16_144:
	s_or_b64 exec, exec, s[0:1]
	v_cmp_lt_i32_e32 vcc, 6, v47
	s_waitcnt lgkmcnt(0)
	s_barrier
	s_and_saveexec_b64 s[0:1], vcc
	s_cbranch_execz .LBB16_146
; %bb.145:
	ds_read2_b64 v[52:55], v48 offset0:14 offset1:15
	v_mul_f64 v[56:57], v[36:37], v[10:11]
	v_mul_f64 v[10:11], v[38:39], v[10:11]
	v_fmac_f64_e32 v[56:57], v[38:39], v[8:9]
	v_fma_f64 v[8:9], v[36:37], v[8:9], -v[10:11]
	ds_read2_b64 v[36:39], v48 offset0:16 offset1:17
	s_waitcnt lgkmcnt(1)
	v_mul_f64 v[10:11], v[54:55], v[56:57]
	v_fma_f64 v[10:11], v[52:53], v[8:9], -v[10:11]
	s_waitcnt vmcnt(1)
	v_add_f64 v[0:1], v[0:1], -v[10:11]
	v_mul_f64 v[52:53], v[52:53], v[56:57]
	s_waitcnt lgkmcnt(0)
	v_mul_f64 v[10:11], v[38:39], v[56:57]
	v_fma_f64 v[10:11], v[36:37], v[8:9], -v[10:11]
	v_mul_f64 v[36:37], v[36:37], v[56:57]
	v_fmac_f64_e32 v[52:53], v[54:55], v[8:9]
	v_fmac_f64_e32 v[36:37], v[38:39], v[8:9]
	v_add_f64 v[2:3], v[2:3], -v[52:53]
	s_waitcnt vmcnt(0)
	v_add_f64 v[32:33], v[32:33], -v[10:11]
	v_add_f64 v[34:35], v[34:35], -v[36:37]
	v_mov_b64_e32 v[10:11], v[56:57]
.LBB16_146:
	s_or_b64 exec, exec, s[0:1]
	v_lshl_add_u32 v36, v47, 4, v48
	s_barrier
	s_waitcnt vmcnt(1)
	ds_write2_b64 v36, v[0:1], v[2:3] offset1:1
	s_waitcnt lgkmcnt(0)
	s_barrier
	ds_read2_b64 v[36:39], v48 offset0:14 offset1:15
	s_cmp_lt_i32 s20, 9
	v_mov_b32_e32 v46, 7
	s_cbranch_scc1 .LBB16_149
; %bb.147:
	v_add_u32_e32 v49, 0x80, v48
	s_mov_b32 s16, 8
	v_mov_b32_e32 v46, 7
.LBB16_148:                             ; =>This Inner Loop Header: Depth=1
	ds_read2_b64 v[52:55], v49 offset1:1
	s_waitcnt lgkmcnt(1)
	v_xor_b32_e32 v57, 0x80000000, v37
	v_xor_b32_e32 v59, 0x80000000, v39
	v_cmp_gt_f64_e32 vcc, 0, v[38:39]
	v_cmp_gt_f64_e64 s[0:1], 0, v[36:37]
	v_mov_b32_e32 v56, v36
	v_mov_b32_e32 v58, v38
	v_cndmask_b32_e64 v57, v37, v57, s[0:1]
	v_cndmask_b32_e32 v59, v39, v59, vcc
	v_add_f64 v[56:57], v[56:57], v[58:59]
	s_waitcnt lgkmcnt(0)
	v_xor_b32_e32 v59, 0x80000000, v53
	v_xor_b32_e32 v61, 0x80000000, v55
	v_cmp_gt_f64_e32 vcc, 0, v[54:55]
	v_cmp_gt_f64_e64 s[0:1], 0, v[52:53]
	v_mov_b32_e32 v58, v52
	v_mov_b32_e32 v60, v54
	v_cndmask_b32_e64 v59, v53, v59, s[0:1]
	v_cndmask_b32_e32 v61, v55, v61, vcc
	v_add_f64 v[58:59], v[58:59], v[60:61]
	v_mov_b32_e32 v62, s16
	s_add_i32 s16, s16, 1
	v_cmp_lt_f64_e32 vcc, v[56:57], v[58:59]
	v_add_u32_e32 v49, 16, v49
	s_cmp_lg_u32 s20, s16
	v_cndmask_b32_e32 v37, v37, v53, vcc
	v_cndmask_b32_e32 v36, v36, v52, vcc
	;; [unrolled: 1-line block ×5, first 2 shown]
	s_cbranch_scc1 .LBB16_148
.LBB16_149:
	s_waitcnt lgkmcnt(0)
	v_cmp_eq_f64_e32 vcc, 0, v[36:37]
	v_cmp_eq_f64_e64 s[0:1], 0, v[38:39]
	s_and_b64 s[0:1], vcc, s[0:1]
	s_and_saveexec_b64 s[16:17], s[0:1]
	s_xor_b64 s[0:1], exec, s[16:17]
; %bb.150:
	v_cmp_ne_u32_e32 vcc, 0, v51
	s_nop 1
	v_cndmask_b32_e32 v51, 8, v51, vcc
; %bb.151:
	s_andn2_saveexec_b64 s[0:1], s[0:1]
	s_cbranch_execz .LBB16_157
; %bb.152:
	v_cmp_ngt_f64_e64 s[16:17], |v[36:37]|, |v[38:39]|
	s_and_saveexec_b64 s[18:19], s[16:17]
	s_xor_b64 s[16:17], exec, s[18:19]
	s_cbranch_execz .LBB16_154
; %bb.153:
	v_div_scale_f64 v[52:53], s[18:19], v[38:39], v[38:39], v[36:37]
	v_rcp_f64_e32 v[54:55], v[52:53]
	v_div_scale_f64 v[56:57], vcc, v[36:37], v[38:39], v[36:37]
	v_fma_f64 v[58:59], -v[52:53], v[54:55], 1.0
	v_fmac_f64_e32 v[54:55], v[54:55], v[58:59]
	v_fma_f64 v[58:59], -v[52:53], v[54:55], 1.0
	v_fmac_f64_e32 v[54:55], v[54:55], v[58:59]
	v_mul_f64 v[58:59], v[56:57], v[54:55]
	v_fma_f64 v[52:53], -v[52:53], v[58:59], v[56:57]
	v_div_fmas_f64 v[52:53], v[52:53], v[54:55], v[58:59]
	v_div_fixup_f64 v[52:53], v[52:53], v[38:39], v[36:37]
	v_fmac_f64_e32 v[38:39], v[36:37], v[52:53]
	v_div_scale_f64 v[36:37], s[18:19], v[38:39], v[38:39], 1.0
	v_rcp_f64_e32 v[54:55], v[36:37]
	s_nop 0
	v_fma_f64 v[56:57], -v[36:37], v[54:55], 1.0
	v_fmac_f64_e32 v[54:55], v[54:55], v[56:57]
	v_fma_f64 v[56:57], -v[36:37], v[54:55], 1.0
	v_fmac_f64_e32 v[54:55], v[54:55], v[56:57]
	v_div_scale_f64 v[56:57], vcc, 1.0, v[38:39], 1.0
	v_mul_f64 v[58:59], v[56:57], v[54:55]
	v_fma_f64 v[36:37], -v[36:37], v[58:59], v[56:57]
	s_nop 1
	v_div_fmas_f64 v[36:37], v[36:37], v[54:55], v[58:59]
	v_div_fixup_f64 v[38:39], v[36:37], v[38:39], 1.0
	v_mul_f64 v[36:37], v[52:53], v[38:39]
	v_xor_b32_e32 v39, 0x80000000, v39
.LBB16_154:
	s_andn2_saveexec_b64 s[16:17], s[16:17]
	s_cbranch_execz .LBB16_156
; %bb.155:
	v_div_scale_f64 v[52:53], s[18:19], v[36:37], v[36:37], v[38:39]
	v_rcp_f64_e32 v[54:55], v[52:53]
	v_div_scale_f64 v[56:57], vcc, v[38:39], v[36:37], v[38:39]
	v_fma_f64 v[58:59], -v[52:53], v[54:55], 1.0
	v_fmac_f64_e32 v[54:55], v[54:55], v[58:59]
	v_fma_f64 v[58:59], -v[52:53], v[54:55], 1.0
	v_fmac_f64_e32 v[54:55], v[54:55], v[58:59]
	v_mul_f64 v[58:59], v[56:57], v[54:55]
	v_fma_f64 v[52:53], -v[52:53], v[58:59], v[56:57]
	v_div_fmas_f64 v[52:53], v[52:53], v[54:55], v[58:59]
	v_div_fixup_f64 v[52:53], v[52:53], v[36:37], v[38:39]
	v_fmac_f64_e32 v[36:37], v[38:39], v[52:53]
	v_div_scale_f64 v[38:39], s[18:19], v[36:37], v[36:37], 1.0
	v_rcp_f64_e32 v[54:55], v[38:39]
	s_nop 0
	v_fma_f64 v[56:57], -v[38:39], v[54:55], 1.0
	v_fmac_f64_e32 v[54:55], v[54:55], v[56:57]
	v_fma_f64 v[56:57], -v[38:39], v[54:55], 1.0
	v_fmac_f64_e32 v[54:55], v[54:55], v[56:57]
	v_div_scale_f64 v[56:57], vcc, 1.0, v[36:37], 1.0
	v_mul_f64 v[58:59], v[56:57], v[54:55]
	v_fma_f64 v[38:39], -v[38:39], v[58:59], v[56:57]
	s_nop 1
	v_div_fmas_f64 v[38:39], v[38:39], v[54:55], v[58:59]
	v_div_fixup_f64 v[36:37], v[38:39], v[36:37], 1.0
	v_mul_f64 v[38:39], v[52:53], -v[36:37]
.LBB16_156:
	s_or_b64 exec, exec, s[16:17]
.LBB16_157:
	s_or_b64 exec, exec, s[0:1]
	v_cmp_ne_u32_e32 vcc, v47, v46
	s_and_saveexec_b64 s[0:1], vcc
	s_xor_b64 s[0:1], exec, s[0:1]
	s_cbranch_execz .LBB16_163
; %bb.158:
	v_cmp_eq_u32_e32 vcc, 7, v47
	s_and_saveexec_b64 s[16:17], vcc
	s_cbranch_execz .LBB16_162
; %bb.159:
	v_cmp_ne_u32_e32 vcc, 7, v46
	s_xor_b64 s[18:19], s[14:15], -1
	s_and_b64 s[22:23], s[18:19], vcc
	s_and_saveexec_b64 s[18:19], s[22:23]
	s_cbranch_execz .LBB16_161
; %bb.160:
	v_ashrrev_i32_e32 v47, 31, v46
	v_lshl_add_u64 v[52:53], v[46:47], 2, v[44:45]
	global_load_dword v47, v[52:53], off
	global_load_dword v49, v[44:45], off offset:28
	s_waitcnt vmcnt(1)
	global_store_dword v[44:45], v47, off offset:28
	s_waitcnt vmcnt(1)
	global_store_dword v[52:53], v49, off
.LBB16_161:
	s_or_b64 exec, exec, s[18:19]
	v_mov_b32_e32 v47, v46
	v_mov_b32_e32 v50, v46
.LBB16_162:
	s_or_b64 exec, exec, s[16:17]
.LBB16_163:
	s_andn2_saveexec_b64 s[0:1], s[0:1]
	s_cbranch_execz .LBB16_165
; %bb.164:
	v_mov_b32_e32 v47, 7
	s_waitcnt vmcnt(0)
	ds_write2_b64 v48, v[32:33], v[34:35] offset0:16 offset1:17
.LBB16_165:
	s_or_b64 exec, exec, s[0:1]
	v_cmp_lt_i32_e32 vcc, 7, v47
	s_waitcnt lgkmcnt(0)
	s_barrier
	s_and_saveexec_b64 s[0:1], vcc
	s_cbranch_execz .LBB16_167
; %bb.166:
	ds_read2_b64 v[52:55], v48 offset0:16 offset1:17
	v_mul_f64 v[56:57], v[36:37], v[2:3]
	v_mul_f64 v[2:3], v[38:39], v[2:3]
	v_fmac_f64_e32 v[56:57], v[38:39], v[0:1]
	v_fma_f64 v[0:1], v[36:37], v[0:1], -v[2:3]
	s_waitcnt lgkmcnt(0)
	v_mul_f64 v[2:3], v[54:55], v[56:57]
	v_mul_f64 v[36:37], v[52:53], v[56:57]
	v_fma_f64 v[2:3], v[52:53], v[0:1], -v[2:3]
	v_fmac_f64_e32 v[36:37], v[54:55], v[0:1]
	s_waitcnt vmcnt(0)
	v_add_f64 v[32:33], v[32:33], -v[2:3]
	v_add_f64 v[34:35], v[34:35], -v[36:37]
	v_mov_b64_e32 v[2:3], v[56:57]
.LBB16_167:
	s_or_b64 exec, exec, s[0:1]
	v_lshl_add_u32 v36, v47, 4, v48
	s_barrier
	s_waitcnt vmcnt(0)
	ds_write2_b64 v36, v[32:33], v[34:35] offset1:1
	s_waitcnt lgkmcnt(0)
	s_barrier
	ds_read2_b64 v[36:39], v48 offset0:16 offset1:17
	s_cmp_lt_i32 s20, 10
	v_mov_b32_e32 v46, 8
	s_cbranch_scc1 .LBB16_170
; %bb.168:
	v_add_u32_e32 v48, 0x90, v48
	s_mov_b32 s16, 9
	v_mov_b32_e32 v46, 8
.LBB16_169:                             ; =>This Inner Loop Header: Depth=1
	ds_read2_b64 v[52:55], v48 offset1:1
	s_waitcnt lgkmcnt(1)
	v_xor_b32_e32 v49, 0x80000000, v37
	v_xor_b32_e32 v59, 0x80000000, v39
	v_cmp_gt_f64_e32 vcc, 0, v[38:39]
	v_cmp_gt_f64_e64 s[0:1], 0, v[36:37]
	v_mov_b32_e32 v56, v36
	v_mov_b32_e32 v58, v38
	v_cndmask_b32_e64 v57, v37, v49, s[0:1]
	v_cndmask_b32_e32 v59, v39, v59, vcc
	s_waitcnt lgkmcnt(0)
	v_xor_b32_e32 v49, 0x80000000, v53
	v_xor_b32_e32 v61, 0x80000000, v55
	v_cmp_gt_f64_e32 vcc, 0, v[54:55]
	v_cmp_gt_f64_e64 s[0:1], 0, v[52:53]
	v_add_f64 v[56:57], v[56:57], v[58:59]
	v_mov_b32_e32 v58, v52
	v_mov_b32_e32 v60, v54
	v_cndmask_b32_e64 v59, v53, v49, s[0:1]
	v_cndmask_b32_e32 v61, v55, v61, vcc
	v_add_f64 v[58:59], v[58:59], v[60:61]
	v_mov_b32_e32 v62, s16
	s_add_i32 s16, s16, 1
	v_cmp_lt_f64_e32 vcc, v[56:57], v[58:59]
	v_add_u32_e32 v48, 16, v48
	s_cmp_lg_u32 s20, s16
	v_cndmask_b32_e32 v37, v37, v53, vcc
	v_cndmask_b32_e32 v36, v36, v52, vcc
	;; [unrolled: 1-line block ×5, first 2 shown]
	s_cbranch_scc1 .LBB16_169
.LBB16_170:
	s_waitcnt lgkmcnt(0)
	v_cmp_eq_f64_e32 vcc, 0, v[36:37]
	v_cmp_eq_f64_e64 s[0:1], 0, v[38:39]
	s_and_b64 s[0:1], vcc, s[0:1]
	s_and_saveexec_b64 s[16:17], s[0:1]
	s_xor_b64 s[0:1], exec, s[16:17]
; %bb.171:
	v_cmp_ne_u32_e32 vcc, 0, v51
	s_nop 1
	v_cndmask_b32_e32 v51, 9, v51, vcc
; %bb.172:
	s_andn2_saveexec_b64 s[0:1], s[0:1]
	s_cbranch_execz .LBB16_178
; %bb.173:
	v_cmp_ngt_f64_e64 s[16:17], |v[36:37]|, |v[38:39]|
	s_and_saveexec_b64 s[18:19], s[16:17]
	s_xor_b64 s[16:17], exec, s[18:19]
	s_cbranch_execz .LBB16_175
; %bb.174:
	v_div_scale_f64 v[48:49], s[18:19], v[38:39], v[38:39], v[36:37]
	v_rcp_f64_e32 v[52:53], v[48:49]
	v_div_scale_f64 v[54:55], vcc, v[36:37], v[38:39], v[36:37]
	v_fma_f64 v[56:57], -v[48:49], v[52:53], 1.0
	v_fmac_f64_e32 v[52:53], v[52:53], v[56:57]
	v_fma_f64 v[56:57], -v[48:49], v[52:53], 1.0
	v_fmac_f64_e32 v[52:53], v[52:53], v[56:57]
	v_mul_f64 v[56:57], v[54:55], v[52:53]
	v_fma_f64 v[48:49], -v[48:49], v[56:57], v[54:55]
	v_div_fmas_f64 v[48:49], v[48:49], v[52:53], v[56:57]
	v_div_fixup_f64 v[48:49], v[48:49], v[38:39], v[36:37]
	v_fmac_f64_e32 v[38:39], v[36:37], v[48:49]
	v_div_scale_f64 v[36:37], s[18:19], v[38:39], v[38:39], 1.0
	v_rcp_f64_e32 v[52:53], v[36:37]
	s_nop 0
	v_fma_f64 v[54:55], -v[36:37], v[52:53], 1.0
	v_fmac_f64_e32 v[52:53], v[52:53], v[54:55]
	v_fma_f64 v[54:55], -v[36:37], v[52:53], 1.0
	v_fmac_f64_e32 v[52:53], v[52:53], v[54:55]
	v_div_scale_f64 v[54:55], vcc, 1.0, v[38:39], 1.0
	v_mul_f64 v[56:57], v[54:55], v[52:53]
	v_fma_f64 v[36:37], -v[36:37], v[56:57], v[54:55]
	s_nop 1
	v_div_fmas_f64 v[36:37], v[36:37], v[52:53], v[56:57]
	v_div_fixup_f64 v[38:39], v[36:37], v[38:39], 1.0
	v_mul_f64 v[36:37], v[48:49], v[38:39]
	v_xor_b32_e32 v39, 0x80000000, v39
.LBB16_175:
	s_andn2_saveexec_b64 s[16:17], s[16:17]
	s_cbranch_execz .LBB16_177
; %bb.176:
	v_div_scale_f64 v[48:49], s[18:19], v[36:37], v[36:37], v[38:39]
	v_rcp_f64_e32 v[52:53], v[48:49]
	v_div_scale_f64 v[54:55], vcc, v[38:39], v[36:37], v[38:39]
	v_fma_f64 v[56:57], -v[48:49], v[52:53], 1.0
	v_fmac_f64_e32 v[52:53], v[52:53], v[56:57]
	v_fma_f64 v[56:57], -v[48:49], v[52:53], 1.0
	v_fmac_f64_e32 v[52:53], v[52:53], v[56:57]
	v_mul_f64 v[56:57], v[54:55], v[52:53]
	v_fma_f64 v[48:49], -v[48:49], v[56:57], v[54:55]
	v_div_fmas_f64 v[48:49], v[48:49], v[52:53], v[56:57]
	v_div_fixup_f64 v[48:49], v[48:49], v[36:37], v[38:39]
	v_fmac_f64_e32 v[36:37], v[38:39], v[48:49]
	v_div_scale_f64 v[38:39], s[18:19], v[36:37], v[36:37], 1.0
	v_rcp_f64_e32 v[52:53], v[38:39]
	s_nop 0
	v_fma_f64 v[54:55], -v[38:39], v[52:53], 1.0
	v_fmac_f64_e32 v[52:53], v[52:53], v[54:55]
	v_fma_f64 v[54:55], -v[38:39], v[52:53], 1.0
	v_fmac_f64_e32 v[52:53], v[52:53], v[54:55]
	v_div_scale_f64 v[54:55], vcc, 1.0, v[36:37], 1.0
	v_mul_f64 v[56:57], v[54:55], v[52:53]
	v_fma_f64 v[38:39], -v[38:39], v[56:57], v[54:55]
	s_nop 1
	v_div_fmas_f64 v[38:39], v[38:39], v[52:53], v[56:57]
	v_div_fixup_f64 v[36:37], v[38:39], v[36:37], 1.0
	v_mul_f64 v[38:39], v[48:49], -v[36:37]
.LBB16_177:
	s_or_b64 exec, exec, s[16:17]
.LBB16_178:
	s_or_b64 exec, exec, s[0:1]
	v_cmp_ne_u32_e32 vcc, v47, v46
	v_mov_b32_e32 v48, 8
	s_and_saveexec_b64 s[0:1], vcc
	s_cbranch_execz .LBB16_184
; %bb.179:
	v_cmp_eq_u32_e32 vcc, 8, v47
	s_and_saveexec_b64 s[16:17], vcc
	s_cbranch_execz .LBB16_183
; %bb.180:
	v_cmp_ne_u32_e32 vcc, 8, v46
	s_xor_b64 s[14:15], s[14:15], -1
	s_and_b64 s[18:19], s[14:15], vcc
	s_and_saveexec_b64 s[14:15], s[18:19]
	s_cbranch_execz .LBB16_182
; %bb.181:
	v_ashrrev_i32_e32 v47, 31, v46
	v_lshl_add_u64 v[48:49], v[46:47], 2, v[44:45]
	global_load_dword v47, v[48:49], off
	global_load_dword v50, v[44:45], off offset:32
	s_waitcnt vmcnt(1)
	global_store_dword v[44:45], v47, off offset:32
	s_waitcnt vmcnt(1)
	global_store_dword v[48:49], v50, off
.LBB16_182:
	s_or_b64 exec, exec, s[14:15]
	v_mov_b32_e32 v47, v46
	v_mov_b32_e32 v50, v46
.LBB16_183:
	s_or_b64 exec, exec, s[16:17]
	v_mov_b32_e32 v48, v47
.LBB16_184:
	s_or_b64 exec, exec, s[0:1]
	v_cmp_gt_i32_e32 vcc, 9, v48
	v_ashrrev_i32_e32 v49, 31, v48
	s_barrier
	s_barrier
	s_and_saveexec_b64 s[0:1], vcc
	s_cbranch_execz .LBB16_186
; %bb.185:
	v_mov_b32_e32 v44, s6
	v_mov_b32_e32 v45, s7
	v_mul_lo_u32 v52, s11, v42
	v_mul_lo_u32 v53, s10, v43
	v_mad_u64_u32 v[46:47], s[6:7], s10, v42, 0
	v_add3_u32 v47, v47, v53, v52
	v_lshl_add_u64 v[44:45], v[46:47], 2, v[44:45]
	v_lshl_add_u64 v[44:45], s[8:9], 2, v[44:45]
	;; [unrolled: 1-line block ×3, first 2 shown]
	v_add3_u32 v46, v50, s13, 1
	global_store_dword v[44:45], v46, off
.LBB16_186:
	s_or_b64 exec, exec, s[0:1]
	v_cmp_eq_u32_e32 vcc, 0, v48
	s_and_saveexec_b64 s[6:7], vcc
	s_cbranch_execz .LBB16_189
; %bb.187:
	v_mov_b32_e32 v44, s4
	v_mov_b32_e32 v45, s5
	v_lshl_add_u64 v[42:43], v[42:43], 2, v[44:45]
	global_load_dword v44, v[42:43], off
	v_cmp_ne_u32_e64 s[0:1], 0, v51
	s_waitcnt vmcnt(0)
	v_cmp_eq_u32_e32 vcc, 0, v44
	s_and_b64 s[0:1], vcc, s[0:1]
	s_and_b64 exec, exec, s[0:1]
	s_cbranch_execz .LBB16_189
; %bb.188:
	v_add_u32_e32 v44, s13, v51
	global_store_dword v[42:43], v44, off
.LBB16_189:
	s_or_b64 exec, exec, s[6:7]
	v_mul_f64 v[42:43], v[38:39], v[34:35]
	v_fma_f64 v[42:43], v[36:37], v[32:33], -v[42:43]
	v_mul_f64 v[36:37], v[36:37], v[34:35]
	v_fmac_f64_e32 v[36:37], v[38:39], v[32:33]
	v_cmp_lt_i32_e32 vcc, 8, v48
	s_nop 1
	v_cndmask_b32_e32 v35, v35, v37, vcc
	v_cndmask_b32_e32 v34, v34, v36, vcc
	v_lshl_add_u64 v[36:37], v[48:49], 4, v[40:41]
	global_store_dwordx4 v[36:37], v[24:27], off
	v_cndmask_b32_e32 v33, v33, v43, vcc
	v_cndmask_b32_e32 v32, v32, v42, vcc
	v_lshl_add_u64 v[24:25], s[2:3], 4, v[36:37]
	global_store_dwordx4 v[24:25], v[20:23], off
	s_nop 1
	v_add_u32_e32 v20, s12, v48
	v_ashrrev_i32_e32 v21, 31, v20
	v_lshl_add_u64 v[22:23], v[20:21], 4, v[40:41]
	v_add_u32_e32 v20, s2, v20
	v_ashrrev_i32_e32 v21, 31, v20
	global_store_dwordx4 v[22:23], v[28:31], off
	v_lshl_add_u64 v[22:23], v[20:21], 4, v[40:41]
	global_store_dwordx4 v[22:23], v[12:15], off
	s_nop 1
	v_add_u32_e32 v12, s2, v20
	v_ashrrev_i32_e32 v13, 31, v12
	v_lshl_add_u64 v[14:15], v[12:13], 4, v[40:41]
	v_add_u32_e32 v12, s2, v12
	v_ashrrev_i32_e32 v13, 31, v12
	global_store_dwordx4 v[14:15], v[16:19], off
	;; [unrolled: 9-line block ×3, first 2 shown]
	v_lshl_add_u64 v[6:7], v[4:5], 4, v[40:41]
	global_store_dwordx4 v[6:7], v[0:3], off
	s_nop 1
	v_add_u32_e32 v0, s2, v4
	v_ashrrev_i32_e32 v1, 31, v0
	v_lshl_add_u64 v[0:1], v[0:1], 4, v[40:41]
	global_store_dwordx4 v[0:1], v[32:35], off
.LBB16_190:
	s_endpgm
	.section	.rodata,"a",@progbits
	.p2align	6, 0x0
	.amdhsa_kernel _ZN9rocsolver6v33100L18getf2_small_kernelILi9E19rocblas_complex_numIdEiiPS3_EEvT1_T3_lS5_lPS5_llPT2_S5_S5_S7_l
		.amdhsa_group_segment_fixed_size 0
		.amdhsa_private_segment_fixed_size 0
		.amdhsa_kernarg_size 352
		.amdhsa_user_sgpr_count 2
		.amdhsa_user_sgpr_dispatch_ptr 0
		.amdhsa_user_sgpr_queue_ptr 0
		.amdhsa_user_sgpr_kernarg_segment_ptr 1
		.amdhsa_user_sgpr_dispatch_id 0
		.amdhsa_user_sgpr_kernarg_preload_length 0
		.amdhsa_user_sgpr_kernarg_preload_offset 0
		.amdhsa_user_sgpr_private_segment_size 0
		.amdhsa_uses_dynamic_stack 0
		.amdhsa_enable_private_segment 0
		.amdhsa_system_sgpr_workgroup_id_x 1
		.amdhsa_system_sgpr_workgroup_id_y 1
		.amdhsa_system_sgpr_workgroup_id_z 0
		.amdhsa_system_sgpr_workgroup_info 0
		.amdhsa_system_vgpr_workitem_id 1
		.amdhsa_next_free_vgpr 65
		.amdhsa_next_free_sgpr 24
		.amdhsa_accum_offset 68
		.amdhsa_reserve_vcc 1
		.amdhsa_float_round_mode_32 0
		.amdhsa_float_round_mode_16_64 0
		.amdhsa_float_denorm_mode_32 3
		.amdhsa_float_denorm_mode_16_64 3
		.amdhsa_dx10_clamp 1
		.amdhsa_ieee_mode 1
		.amdhsa_fp16_overflow 0
		.amdhsa_tg_split 0
		.amdhsa_exception_fp_ieee_invalid_op 0
		.amdhsa_exception_fp_denorm_src 0
		.amdhsa_exception_fp_ieee_div_zero 0
		.amdhsa_exception_fp_ieee_overflow 0
		.amdhsa_exception_fp_ieee_underflow 0
		.amdhsa_exception_fp_ieee_inexact 0
		.amdhsa_exception_int_div_zero 0
	.end_amdhsa_kernel
	.section	.text._ZN9rocsolver6v33100L18getf2_small_kernelILi9E19rocblas_complex_numIdEiiPS3_EEvT1_T3_lS5_lPS5_llPT2_S5_S5_S7_l,"axG",@progbits,_ZN9rocsolver6v33100L18getf2_small_kernelILi9E19rocblas_complex_numIdEiiPS3_EEvT1_T3_lS5_lPS5_llPT2_S5_S5_S7_l,comdat
.Lfunc_end16:
	.size	_ZN9rocsolver6v33100L18getf2_small_kernelILi9E19rocblas_complex_numIdEiiPS3_EEvT1_T3_lS5_lPS5_llPT2_S5_S5_S7_l, .Lfunc_end16-_ZN9rocsolver6v33100L18getf2_small_kernelILi9E19rocblas_complex_numIdEiiPS3_EEvT1_T3_lS5_lPS5_llPT2_S5_S5_S7_l
                                        ; -- End function
	.set _ZN9rocsolver6v33100L18getf2_small_kernelILi9E19rocblas_complex_numIdEiiPS3_EEvT1_T3_lS5_lPS5_llPT2_S5_S5_S7_l.num_vgpr, 65
	.set _ZN9rocsolver6v33100L18getf2_small_kernelILi9E19rocblas_complex_numIdEiiPS3_EEvT1_T3_lS5_lPS5_llPT2_S5_S5_S7_l.num_agpr, 0
	.set _ZN9rocsolver6v33100L18getf2_small_kernelILi9E19rocblas_complex_numIdEiiPS3_EEvT1_T3_lS5_lPS5_llPT2_S5_S5_S7_l.numbered_sgpr, 24
	.set _ZN9rocsolver6v33100L18getf2_small_kernelILi9E19rocblas_complex_numIdEiiPS3_EEvT1_T3_lS5_lPS5_llPT2_S5_S5_S7_l.num_named_barrier, 0
	.set _ZN9rocsolver6v33100L18getf2_small_kernelILi9E19rocblas_complex_numIdEiiPS3_EEvT1_T3_lS5_lPS5_llPT2_S5_S5_S7_l.private_seg_size, 0
	.set _ZN9rocsolver6v33100L18getf2_small_kernelILi9E19rocblas_complex_numIdEiiPS3_EEvT1_T3_lS5_lPS5_llPT2_S5_S5_S7_l.uses_vcc, 1
	.set _ZN9rocsolver6v33100L18getf2_small_kernelILi9E19rocblas_complex_numIdEiiPS3_EEvT1_T3_lS5_lPS5_llPT2_S5_S5_S7_l.uses_flat_scratch, 0
	.set _ZN9rocsolver6v33100L18getf2_small_kernelILi9E19rocblas_complex_numIdEiiPS3_EEvT1_T3_lS5_lPS5_llPT2_S5_S5_S7_l.has_dyn_sized_stack, 0
	.set _ZN9rocsolver6v33100L18getf2_small_kernelILi9E19rocblas_complex_numIdEiiPS3_EEvT1_T3_lS5_lPS5_llPT2_S5_S5_S7_l.has_recursion, 0
	.set _ZN9rocsolver6v33100L18getf2_small_kernelILi9E19rocblas_complex_numIdEiiPS3_EEvT1_T3_lS5_lPS5_llPT2_S5_S5_S7_l.has_indirect_call, 0
	.section	.AMDGPU.csdata,"",@progbits
; Kernel info:
; codeLenInByte = 11220
; TotalNumSgprs: 30
; NumVgprs: 65
; NumAgprs: 0
; TotalNumVgprs: 65
; ScratchSize: 0
; MemoryBound: 0
; FloatMode: 240
; IeeeMode: 1
; LDSByteSize: 0 bytes/workgroup (compile time only)
; SGPRBlocks: 3
; VGPRBlocks: 8
; NumSGPRsForWavesPerEU: 30
; NumVGPRsForWavesPerEU: 65
; AccumOffset: 68
; Occupancy: 7
; WaveLimiterHint : 0
; COMPUTE_PGM_RSRC2:SCRATCH_EN: 0
; COMPUTE_PGM_RSRC2:USER_SGPR: 2
; COMPUTE_PGM_RSRC2:TRAP_HANDLER: 0
; COMPUTE_PGM_RSRC2:TGID_X_EN: 1
; COMPUTE_PGM_RSRC2:TGID_Y_EN: 1
; COMPUTE_PGM_RSRC2:TGID_Z_EN: 0
; COMPUTE_PGM_RSRC2:TIDIG_COMP_CNT: 1
; COMPUTE_PGM_RSRC3_GFX90A:ACCUM_OFFSET: 16
; COMPUTE_PGM_RSRC3_GFX90A:TG_SPLIT: 0
	.section	.text._ZN9rocsolver6v33100L23getf2_npvt_small_kernelILi9E19rocblas_complex_numIdEiiPS3_EEvT1_T3_lS5_lPT2_S5_S5_,"axG",@progbits,_ZN9rocsolver6v33100L23getf2_npvt_small_kernelILi9E19rocblas_complex_numIdEiiPS3_EEvT1_T3_lS5_lPT2_S5_S5_,comdat
	.globl	_ZN9rocsolver6v33100L23getf2_npvt_small_kernelILi9E19rocblas_complex_numIdEiiPS3_EEvT1_T3_lS5_lPT2_S5_S5_ ; -- Begin function _ZN9rocsolver6v33100L23getf2_npvt_small_kernelILi9E19rocblas_complex_numIdEiiPS3_EEvT1_T3_lS5_lPT2_S5_S5_
	.p2align	8
	.type	_ZN9rocsolver6v33100L23getf2_npvt_small_kernelILi9E19rocblas_complex_numIdEiiPS3_EEvT1_T3_lS5_lPT2_S5_S5_,@function
_ZN9rocsolver6v33100L23getf2_npvt_small_kernelILi9E19rocblas_complex_numIdEiiPS3_EEvT1_T3_lS5_lPT2_S5_S5_: ; @_ZN9rocsolver6v33100L23getf2_npvt_small_kernelILi9E19rocblas_complex_numIdEiiPS3_EEvT1_T3_lS5_lPT2_S5_S5_
; %bb.0:
	s_load_dword s2, s[0:1], 0x44
	s_load_dwordx2 s[36:37], s[0:1], 0x30
	v_bfe_u32 v36, v0, 10, 10
	s_waitcnt lgkmcnt(0)
	s_lshr_b32 s8, s2, 16
	s_mul_i32 s3, s3, s8
	v_add_u32_e32 v86, s3, v36
	v_cmp_gt_i32_e32 vcc, s36, v86
	s_and_saveexec_b64 s[2:3], vcc
	s_cbranch_execz .LBB17_84
; %bb.1:
	s_load_dwordx4 s[12:15], s[0:1], 0x8
	s_load_dword s2, s[0:1], 0x18
	s_load_dwordx4 s[4:7], s[0:1], 0x20
	v_and_b32_e32 v92, 0x3ff, v0
	v_ashrrev_i32_e32 v87, 31, v86
	s_waitcnt lgkmcnt(0)
	v_mov_b32_e32 v2, s12
	v_mov_b32_e32 v3, s13
	v_mad_u64_u32 v[0:1], s[0:1], s4, v86, 0
	v_mul_lo_u32 v4, s5, v86
	v_mul_lo_u32 v5, s4, v87
	s_add_i32 s0, s2, s2
	v_add3_u32 v1, v1, v5, v4
	v_add_u32_e32 v8, s0, v92
	v_lshl_add_u64 v[0:1], v[0:1], 4, v[2:3]
	v_add_u32_e32 v16, s2, v8
	v_lshl_add_u64 v[32:33], s[14:15], 4, v[0:1]
	v_ashrrev_i32_e32 v17, 31, v16
	v_lshl_add_u64 v[78:79], v[16:17], 4, v[32:33]
	v_add_u32_e32 v16, s2, v16
	v_add_u32_e32 v24, s2, v16
	v_ashrrev_i32_e32 v25, 31, v24
	v_lshl_add_u64 v[82:83], v[24:25], 4, v[32:33]
	v_add_u32_e32 v24, s2, v24
	v_add_u32_e32 v34, s2, v24
	v_ashrrev_i32_e32 v35, 31, v34
	v_lshl_add_u64 v[88:89], v[34:35], 4, v[32:33]
	v_add_u32_e32 v34, s2, v34
	v_lshlrev_b32_e32 v0, 4, v92
	v_mov_b32_e32 v1, 0
	v_ashrrev_i32_e32 v9, 31, v8
	v_ashrrev_i32_e32 v17, 31, v16
	v_ashrrev_i32_e32 v25, 31, v24
	v_ashrrev_i32_e32 v35, 31, v34
	s_ashr_i32 s3, s2, 31
	v_lshl_add_u64 v[72:73], v[32:33], 0, v[0:1]
	v_lshl_add_u64 v[76:77], v[8:9], 4, v[32:33]
	;; [unrolled: 1-line block ×6, first 2 shown]
	global_load_dwordx4 v[4:7], v[72:73], off
	global_load_dwordx4 v[0:3], v[74:75], off
	;; [unrolled: 1-line block ×9, first 2 shown]
	s_mulk_i32 s8, 0x90
	s_movk_i32 s0, 0x90
	s_add_i32 s1, s8, 0
	v_mad_u32_u24 v94, v36, s0, 0
	v_lshl_add_u32 v93, v36, 4, s1
	v_cmp_ne_u32_e64 s[2:3], 0, v92
	v_cmp_eq_u32_e64 s[0:1], 0, v92
	s_and_saveexec_b64 s[8:9], s[0:1]
	s_cbranch_execz .LBB17_8
; %bb.2:
	s_waitcnt vmcnt(8)
	ds_write2_b64 v93, v[4:5], v[6:7] offset1:1
	s_waitcnt vmcnt(7)
	ds_write2_b64 v94, v[0:1], v[2:3] offset0:2 offset1:3
	s_waitcnt vmcnt(6)
	ds_write2_b64 v94, v[12:13], v[14:15] offset0:4 offset1:5
	;; [unrolled: 2-line block ×8, first 2 shown]
	ds_read2_b64 v[36:39], v93 offset1:1
	s_waitcnt lgkmcnt(0)
	v_cmp_neq_f64_e32 vcc, 0, v[36:37]
	v_cmp_neq_f64_e64 s[4:5], 0, v[38:39]
	s_or_b64 s[4:5], vcc, s[4:5]
	s_and_b64 exec, exec, s[4:5]
	s_cbranch_execz .LBB17_8
; %bb.3:
	v_cmp_ngt_f64_e64 s[4:5], |v[36:37]|, |v[38:39]|
                                        ; implicit-def: $vgpr40_vgpr41
	s_and_saveexec_b64 s[10:11], s[4:5]
	s_xor_b64 s[4:5], exec, s[10:11]
                                        ; implicit-def: $vgpr42_vgpr43
	s_cbranch_execz .LBB17_5
; %bb.4:
	v_div_scale_f64 v[40:41], s[10:11], v[38:39], v[38:39], v[36:37]
	v_rcp_f64_e32 v[42:43], v[40:41]
	v_div_scale_f64 v[44:45], vcc, v[36:37], v[38:39], v[36:37]
	v_fma_f64 v[46:47], -v[40:41], v[42:43], 1.0
	v_fmac_f64_e32 v[42:43], v[42:43], v[46:47]
	v_fma_f64 v[46:47], -v[40:41], v[42:43], 1.0
	v_fmac_f64_e32 v[42:43], v[42:43], v[46:47]
	v_mul_f64 v[46:47], v[44:45], v[42:43]
	v_fma_f64 v[40:41], -v[40:41], v[46:47], v[44:45]
	v_div_fmas_f64 v[40:41], v[40:41], v[42:43], v[46:47]
	v_div_fixup_f64 v[40:41], v[40:41], v[38:39], v[36:37]
	v_fmac_f64_e32 v[38:39], v[36:37], v[40:41]
	v_div_scale_f64 v[36:37], s[10:11], v[38:39], v[38:39], 1.0
	v_rcp_f64_e32 v[42:43], v[36:37]
	s_nop 0
	v_fma_f64 v[44:45], -v[36:37], v[42:43], 1.0
	v_fmac_f64_e32 v[42:43], v[42:43], v[44:45]
	v_fma_f64 v[44:45], -v[36:37], v[42:43], 1.0
	v_fmac_f64_e32 v[42:43], v[42:43], v[44:45]
	v_div_scale_f64 v[44:45], vcc, 1.0, v[38:39], 1.0
	v_mul_f64 v[46:47], v[44:45], v[42:43]
	v_fma_f64 v[36:37], -v[36:37], v[46:47], v[44:45]
	s_nop 1
	v_div_fmas_f64 v[36:37], v[36:37], v[42:43], v[46:47]
	v_div_fixup_f64 v[42:43], v[36:37], v[38:39], 1.0
	v_mul_f64 v[40:41], v[40:41], v[42:43]
	v_xor_b32_e32 v43, 0x80000000, v43
                                        ; implicit-def: $vgpr36_vgpr37
.LBB17_5:
	s_andn2_saveexec_b64 s[4:5], s[4:5]
	s_cbranch_execz .LBB17_7
; %bb.6:
	v_div_scale_f64 v[40:41], s[10:11], v[36:37], v[36:37], v[38:39]
	v_rcp_f64_e32 v[42:43], v[40:41]
	v_div_scale_f64 v[44:45], vcc, v[38:39], v[36:37], v[38:39]
	v_fma_f64 v[46:47], -v[40:41], v[42:43], 1.0
	v_fmac_f64_e32 v[42:43], v[42:43], v[46:47]
	v_fma_f64 v[46:47], -v[40:41], v[42:43], 1.0
	v_fmac_f64_e32 v[42:43], v[42:43], v[46:47]
	v_mul_f64 v[46:47], v[44:45], v[42:43]
	v_fma_f64 v[40:41], -v[40:41], v[46:47], v[44:45]
	v_div_fmas_f64 v[40:41], v[40:41], v[42:43], v[46:47]
	v_div_fixup_f64 v[42:43], v[40:41], v[36:37], v[38:39]
	v_fmac_f64_e32 v[36:37], v[38:39], v[42:43]
	v_div_scale_f64 v[38:39], s[10:11], v[36:37], v[36:37], 1.0
	v_rcp_f64_e32 v[40:41], v[38:39]
	s_nop 0
	v_fma_f64 v[44:45], -v[38:39], v[40:41], 1.0
	v_fmac_f64_e32 v[40:41], v[40:41], v[44:45]
	v_fma_f64 v[44:45], -v[38:39], v[40:41], 1.0
	v_fmac_f64_e32 v[40:41], v[40:41], v[44:45]
	v_div_scale_f64 v[44:45], vcc, 1.0, v[36:37], 1.0
	v_mul_f64 v[46:47], v[44:45], v[40:41]
	v_fma_f64 v[38:39], -v[38:39], v[46:47], v[44:45]
	s_nop 1
	v_div_fmas_f64 v[38:39], v[38:39], v[40:41], v[46:47]
	v_div_fixup_f64 v[40:41], v[38:39], v[36:37], 1.0
	v_mul_f64 v[42:43], v[42:43], -v[40:41]
.LBB17_7:
	s_or_b64 exec, exec, s[4:5]
	ds_write2_b64 v93, v[40:41], v[42:43] offset1:1
.LBB17_8:
	s_or_b64 exec, exec, s[8:9]
	s_waitcnt lgkmcnt(0)
	s_barrier
	ds_read2_b64 v[36:39], v93 offset1:1
	s_and_saveexec_b64 s[4:5], s[2:3]
	s_cbranch_execz .LBB17_10
; %bb.9:
	ds_read2_b64 v[40:43], v94 offset0:2 offset1:3
	ds_read2_b64 v[44:47], v94 offset0:4 offset1:5
	s_waitcnt vmcnt(8) lgkmcnt(2)
	v_mul_f64 v[48:49], v[36:37], v[6:7]
	v_fmac_f64_e32 v[48:49], v[38:39], v[4:5]
	v_mul_f64 v[6:7], v[38:39], v[6:7]
	v_fma_f64 v[4:5], v[36:37], v[4:5], -v[6:7]
	s_waitcnt lgkmcnt(1)
	v_mul_f64 v[6:7], v[42:43], v[48:49]
	v_fma_f64 v[6:7], v[40:41], v[4:5], -v[6:7]
	v_mul_f64 v[40:41], v[40:41], v[48:49]
	v_fmac_f64_e32 v[40:41], v[42:43], v[4:5]
	s_waitcnt vmcnt(7)
	v_add_f64 v[0:1], v[0:1], -v[6:7]
	v_add_f64 v[2:3], v[2:3], -v[40:41]
	s_waitcnt lgkmcnt(0)
	v_mul_f64 v[6:7], v[46:47], v[48:49]
	ds_read2_b64 v[40:43], v94 offset0:6 offset1:7
	v_fma_f64 v[6:7], v[44:45], v[4:5], -v[6:7]
	v_mul_f64 v[44:45], v[44:45], v[48:49]
	v_fmac_f64_e32 v[44:45], v[46:47], v[4:5]
	s_waitcnt vmcnt(6)
	v_add_f64 v[14:15], v[14:15], -v[44:45]
	ds_read2_b64 v[44:47], v94 offset0:8 offset1:9
	v_add_f64 v[12:13], v[12:13], -v[6:7]
	s_waitcnt lgkmcnt(1)
	v_mul_f64 v[6:7], v[42:43], v[48:49]
	v_fma_f64 v[6:7], v[40:41], v[4:5], -v[6:7]
	v_mul_f64 v[40:41], v[40:41], v[48:49]
	v_fmac_f64_e32 v[40:41], v[42:43], v[4:5]
	s_waitcnt vmcnt(5)
	v_add_f64 v[8:9], v[8:9], -v[6:7]
	v_add_f64 v[10:11], v[10:11], -v[40:41]
	s_waitcnt lgkmcnt(0)
	v_mul_f64 v[6:7], v[46:47], v[48:49]
	ds_read2_b64 v[40:43], v94 offset0:10 offset1:11
	v_fma_f64 v[6:7], v[44:45], v[4:5], -v[6:7]
	v_mul_f64 v[44:45], v[44:45], v[48:49]
	v_fmac_f64_e32 v[44:45], v[46:47], v[4:5]
	s_waitcnt vmcnt(4)
	v_add_f64 v[22:23], v[22:23], -v[44:45]
	ds_read2_b64 v[44:47], v94 offset0:12 offset1:13
	v_add_f64 v[20:21], v[20:21], -v[6:7]
	;; [unrolled: 18-line block ×3, first 2 shown]
	s_waitcnt lgkmcnt(1)
	v_mul_f64 v[6:7], v[42:43], v[48:49]
	v_fma_f64 v[6:7], v[40:41], v[4:5], -v[6:7]
	v_mul_f64 v[40:41], v[40:41], v[48:49]
	v_fmac_f64_e32 v[40:41], v[42:43], v[4:5]
	s_waitcnt vmcnt(1)
	v_add_f64 v[24:25], v[24:25], -v[6:7]
	v_add_f64 v[26:27], v[26:27], -v[40:41]
	s_waitcnt lgkmcnt(0)
	v_mul_f64 v[6:7], v[46:47], v[48:49]
	v_mul_f64 v[40:41], v[44:45], v[48:49]
	v_fma_f64 v[6:7], v[44:45], v[4:5], -v[6:7]
	v_fmac_f64_e32 v[40:41], v[46:47], v[4:5]
	s_waitcnt vmcnt(0)
	v_add_f64 v[32:33], v[32:33], -v[6:7]
	v_add_f64 v[34:35], v[34:35], -v[40:41]
	v_mov_b64_e32 v[6:7], v[48:49]
.LBB17_10:
	s_or_b64 exec, exec, s[4:5]
	v_cmp_eq_u32_e32 vcc, 1, v92
	s_waitcnt lgkmcnt(0)
	s_barrier
	s_and_saveexec_b64 s[4:5], vcc
	s_cbranch_execz .LBB17_17
; %bb.11:
	s_waitcnt vmcnt(7)
	ds_write2_b64 v93, v[0:1], v[2:3] offset1:1
	s_waitcnt vmcnt(6)
	ds_write2_b64 v94, v[12:13], v[14:15] offset0:4 offset1:5
	s_waitcnt vmcnt(5)
	ds_write2_b64 v94, v[8:9], v[10:11] offset0:6 offset1:7
	;; [unrolled: 2-line block ×7, first 2 shown]
	ds_read2_b64 v[40:43], v93 offset1:1
	s_waitcnt lgkmcnt(0)
	v_cmp_neq_f64_e32 vcc, 0, v[40:41]
	v_cmp_neq_f64_e64 s[2:3], 0, v[42:43]
	s_or_b64 s[2:3], vcc, s[2:3]
	s_and_b64 exec, exec, s[2:3]
	s_cbranch_execz .LBB17_17
; %bb.12:
	v_cmp_ngt_f64_e64 s[2:3], |v[40:41]|, |v[42:43]|
                                        ; implicit-def: $vgpr44_vgpr45
	s_and_saveexec_b64 s[8:9], s[2:3]
	s_xor_b64 s[2:3], exec, s[8:9]
                                        ; implicit-def: $vgpr46_vgpr47
	s_cbranch_execz .LBB17_14
; %bb.13:
	v_div_scale_f64 v[44:45], s[8:9], v[42:43], v[42:43], v[40:41]
	v_rcp_f64_e32 v[46:47], v[44:45]
	v_div_scale_f64 v[48:49], vcc, v[40:41], v[42:43], v[40:41]
	v_fma_f64 v[50:51], -v[44:45], v[46:47], 1.0
	v_fmac_f64_e32 v[46:47], v[46:47], v[50:51]
	v_fma_f64 v[50:51], -v[44:45], v[46:47], 1.0
	v_fmac_f64_e32 v[46:47], v[46:47], v[50:51]
	v_mul_f64 v[50:51], v[48:49], v[46:47]
	v_fma_f64 v[44:45], -v[44:45], v[50:51], v[48:49]
	v_div_fmas_f64 v[44:45], v[44:45], v[46:47], v[50:51]
	v_div_fixup_f64 v[44:45], v[44:45], v[42:43], v[40:41]
	v_fmac_f64_e32 v[42:43], v[40:41], v[44:45]
	v_div_scale_f64 v[40:41], s[8:9], v[42:43], v[42:43], 1.0
	v_rcp_f64_e32 v[46:47], v[40:41]
	s_nop 0
	v_fma_f64 v[48:49], -v[40:41], v[46:47], 1.0
	v_fmac_f64_e32 v[46:47], v[46:47], v[48:49]
	v_fma_f64 v[48:49], -v[40:41], v[46:47], 1.0
	v_fmac_f64_e32 v[46:47], v[46:47], v[48:49]
	v_div_scale_f64 v[48:49], vcc, 1.0, v[42:43], 1.0
	v_mul_f64 v[50:51], v[48:49], v[46:47]
	v_fma_f64 v[40:41], -v[40:41], v[50:51], v[48:49]
	s_nop 1
	v_div_fmas_f64 v[40:41], v[40:41], v[46:47], v[50:51]
	v_div_fixup_f64 v[46:47], v[40:41], v[42:43], 1.0
	v_mul_f64 v[44:45], v[44:45], v[46:47]
	v_xor_b32_e32 v47, 0x80000000, v47
                                        ; implicit-def: $vgpr40_vgpr41
.LBB17_14:
	s_andn2_saveexec_b64 s[2:3], s[2:3]
	s_cbranch_execz .LBB17_16
; %bb.15:
	v_div_scale_f64 v[44:45], s[8:9], v[40:41], v[40:41], v[42:43]
	v_rcp_f64_e32 v[46:47], v[44:45]
	v_div_scale_f64 v[48:49], vcc, v[42:43], v[40:41], v[42:43]
	v_fma_f64 v[50:51], -v[44:45], v[46:47], 1.0
	v_fmac_f64_e32 v[46:47], v[46:47], v[50:51]
	v_fma_f64 v[50:51], -v[44:45], v[46:47], 1.0
	v_fmac_f64_e32 v[46:47], v[46:47], v[50:51]
	v_mul_f64 v[50:51], v[48:49], v[46:47]
	v_fma_f64 v[44:45], -v[44:45], v[50:51], v[48:49]
	v_div_fmas_f64 v[44:45], v[44:45], v[46:47], v[50:51]
	v_div_fixup_f64 v[46:47], v[44:45], v[40:41], v[42:43]
	v_fmac_f64_e32 v[40:41], v[42:43], v[46:47]
	v_div_scale_f64 v[42:43], s[8:9], v[40:41], v[40:41], 1.0
	v_rcp_f64_e32 v[44:45], v[42:43]
	s_nop 0
	v_fma_f64 v[48:49], -v[42:43], v[44:45], 1.0
	v_fmac_f64_e32 v[44:45], v[44:45], v[48:49]
	v_fma_f64 v[48:49], -v[42:43], v[44:45], 1.0
	v_fmac_f64_e32 v[44:45], v[44:45], v[48:49]
	v_div_scale_f64 v[48:49], vcc, 1.0, v[40:41], 1.0
	v_mul_f64 v[50:51], v[48:49], v[44:45]
	v_fma_f64 v[42:43], -v[42:43], v[50:51], v[48:49]
	s_nop 1
	v_div_fmas_f64 v[42:43], v[42:43], v[44:45], v[50:51]
	v_div_fixup_f64 v[44:45], v[42:43], v[40:41], 1.0
	v_mul_f64 v[46:47], v[46:47], -v[44:45]
.LBB17_16:
	s_or_b64 exec, exec, s[2:3]
	ds_write2_b64 v93, v[44:45], v[46:47] offset1:1
.LBB17_17:
	s_or_b64 exec, exec, s[4:5]
	s_waitcnt lgkmcnt(0)
	s_barrier
	ds_read2_b64 v[40:43], v93 offset1:1
	v_cmp_lt_u32_e32 vcc, 1, v92
	s_and_saveexec_b64 s[2:3], vcc
	s_cbranch_execz .LBB17_19
; %bb.18:
	ds_read2_b64 v[44:47], v94 offset0:4 offset1:5
	ds_read2_b64 v[48:51], v94 offset0:6 offset1:7
	s_waitcnt vmcnt(7) lgkmcnt(2)
	v_mul_f64 v[52:53], v[40:41], v[2:3]
	v_fmac_f64_e32 v[52:53], v[42:43], v[0:1]
	v_mul_f64 v[2:3], v[42:43], v[2:3]
	v_fma_f64 v[0:1], v[40:41], v[0:1], -v[2:3]
	s_waitcnt lgkmcnt(1)
	v_mul_f64 v[2:3], v[46:47], v[52:53]
	v_fma_f64 v[2:3], v[44:45], v[0:1], -v[2:3]
	v_mul_f64 v[44:45], v[44:45], v[52:53]
	v_fmac_f64_e32 v[44:45], v[46:47], v[0:1]
	s_waitcnt vmcnt(6)
	v_add_f64 v[14:15], v[14:15], -v[44:45]
	ds_read2_b64 v[44:47], v94 offset0:8 offset1:9
	v_add_f64 v[12:13], v[12:13], -v[2:3]
	s_waitcnt lgkmcnt(1)
	v_mul_f64 v[2:3], v[50:51], v[52:53]
	v_fma_f64 v[2:3], v[48:49], v[0:1], -v[2:3]
	v_mul_f64 v[48:49], v[48:49], v[52:53]
	v_fmac_f64_e32 v[48:49], v[50:51], v[0:1]
	s_waitcnt vmcnt(5)
	v_add_f64 v[8:9], v[8:9], -v[2:3]
	v_add_f64 v[10:11], v[10:11], -v[48:49]
	ds_read2_b64 v[48:51], v94 offset0:10 offset1:11
	s_waitcnt lgkmcnt(1)
	v_mul_f64 v[2:3], v[46:47], v[52:53]
	v_fma_f64 v[2:3], v[44:45], v[0:1], -v[2:3]
	v_mul_f64 v[44:45], v[44:45], v[52:53]
	v_fmac_f64_e32 v[44:45], v[46:47], v[0:1]
	s_waitcnt vmcnt(4)
	v_add_f64 v[22:23], v[22:23], -v[44:45]
	ds_read2_b64 v[44:47], v94 offset0:12 offset1:13
	v_add_f64 v[20:21], v[20:21], -v[2:3]
	s_waitcnt lgkmcnt(1)
	v_mul_f64 v[2:3], v[50:51], v[52:53]
	v_fma_f64 v[2:3], v[48:49], v[0:1], -v[2:3]
	v_mul_f64 v[48:49], v[48:49], v[52:53]
	v_fmac_f64_e32 v[48:49], v[50:51], v[0:1]
	s_waitcnt vmcnt(3)
	v_add_f64 v[16:17], v[16:17], -v[2:3]
	v_add_f64 v[18:19], v[18:19], -v[48:49]
	ds_read2_b64 v[48:51], v94 offset0:14 offset1:15
	s_waitcnt lgkmcnt(1)
	v_mul_f64 v[2:3], v[46:47], v[52:53]
	v_fma_f64 v[2:3], v[44:45], v[0:1], -v[2:3]
	v_mul_f64 v[44:45], v[44:45], v[52:53]
	v_fmac_f64_e32 v[44:45], v[46:47], v[0:1]
	s_waitcnt vmcnt(2)
	v_add_f64 v[30:31], v[30:31], -v[44:45]
	ds_read2_b64 v[44:47], v94 offset0:16 offset1:17
	v_add_f64 v[28:29], v[28:29], -v[2:3]
	s_waitcnt lgkmcnt(1)
	v_mul_f64 v[2:3], v[50:51], v[52:53]
	v_fma_f64 v[2:3], v[48:49], v[0:1], -v[2:3]
	s_waitcnt vmcnt(1)
	v_add_f64 v[24:25], v[24:25], -v[2:3]
	s_waitcnt lgkmcnt(0)
	v_mul_f64 v[2:3], v[46:47], v[52:53]
	v_mul_f64 v[48:49], v[48:49], v[52:53]
	v_fma_f64 v[2:3], v[44:45], v[0:1], -v[2:3]
	v_mul_f64 v[44:45], v[44:45], v[52:53]
	v_fmac_f64_e32 v[48:49], v[50:51], v[0:1]
	v_fmac_f64_e32 v[44:45], v[46:47], v[0:1]
	v_add_f64 v[26:27], v[26:27], -v[48:49]
	s_waitcnt vmcnt(0)
	v_add_f64 v[32:33], v[32:33], -v[2:3]
	v_add_f64 v[34:35], v[34:35], -v[44:45]
	v_mov_b64_e32 v[2:3], v[52:53]
.LBB17_19:
	s_or_b64 exec, exec, s[2:3]
	v_cmp_eq_u32_e32 vcc, 2, v92
	s_waitcnt lgkmcnt(0)
	s_barrier
	s_and_saveexec_b64 s[4:5], vcc
	s_cbranch_execz .LBB17_26
; %bb.20:
	s_waitcnt vmcnt(6)
	ds_write2_b64 v93, v[12:13], v[14:15] offset1:1
	s_waitcnt vmcnt(5)
	ds_write2_b64 v94, v[8:9], v[10:11] offset0:6 offset1:7
	s_waitcnt vmcnt(4)
	ds_write2_b64 v94, v[20:21], v[22:23] offset0:8 offset1:9
	;; [unrolled: 2-line block ×6, first 2 shown]
	ds_read2_b64 v[44:47], v93 offset1:1
	s_waitcnt lgkmcnt(0)
	v_cmp_neq_f64_e32 vcc, 0, v[44:45]
	v_cmp_neq_f64_e64 s[2:3], 0, v[46:47]
	s_or_b64 s[2:3], vcc, s[2:3]
	s_and_b64 exec, exec, s[2:3]
	s_cbranch_execz .LBB17_26
; %bb.21:
	v_cmp_ngt_f64_e64 s[2:3], |v[44:45]|, |v[46:47]|
                                        ; implicit-def: $vgpr48_vgpr49
	s_and_saveexec_b64 s[8:9], s[2:3]
	s_xor_b64 s[2:3], exec, s[8:9]
                                        ; implicit-def: $vgpr50_vgpr51
	s_cbranch_execz .LBB17_23
; %bb.22:
	v_div_scale_f64 v[48:49], s[8:9], v[46:47], v[46:47], v[44:45]
	v_rcp_f64_e32 v[50:51], v[48:49]
	v_div_scale_f64 v[52:53], vcc, v[44:45], v[46:47], v[44:45]
	v_fma_f64 v[54:55], -v[48:49], v[50:51], 1.0
	v_fmac_f64_e32 v[50:51], v[50:51], v[54:55]
	v_fma_f64 v[54:55], -v[48:49], v[50:51], 1.0
	v_fmac_f64_e32 v[50:51], v[50:51], v[54:55]
	v_mul_f64 v[54:55], v[52:53], v[50:51]
	v_fma_f64 v[48:49], -v[48:49], v[54:55], v[52:53]
	v_div_fmas_f64 v[48:49], v[48:49], v[50:51], v[54:55]
	v_div_fixup_f64 v[48:49], v[48:49], v[46:47], v[44:45]
	v_fmac_f64_e32 v[46:47], v[44:45], v[48:49]
	v_div_scale_f64 v[44:45], s[8:9], v[46:47], v[46:47], 1.0
	v_rcp_f64_e32 v[50:51], v[44:45]
	s_nop 0
	v_fma_f64 v[52:53], -v[44:45], v[50:51], 1.0
	v_fmac_f64_e32 v[50:51], v[50:51], v[52:53]
	v_fma_f64 v[52:53], -v[44:45], v[50:51], 1.0
	v_fmac_f64_e32 v[50:51], v[50:51], v[52:53]
	v_div_scale_f64 v[52:53], vcc, 1.0, v[46:47], 1.0
	v_mul_f64 v[54:55], v[52:53], v[50:51]
	v_fma_f64 v[44:45], -v[44:45], v[54:55], v[52:53]
	s_nop 1
	v_div_fmas_f64 v[44:45], v[44:45], v[50:51], v[54:55]
	v_div_fixup_f64 v[50:51], v[44:45], v[46:47], 1.0
	v_mul_f64 v[48:49], v[48:49], v[50:51]
	v_xor_b32_e32 v51, 0x80000000, v51
                                        ; implicit-def: $vgpr44_vgpr45
.LBB17_23:
	s_andn2_saveexec_b64 s[2:3], s[2:3]
	s_cbranch_execz .LBB17_25
; %bb.24:
	v_div_scale_f64 v[48:49], s[8:9], v[44:45], v[44:45], v[46:47]
	v_rcp_f64_e32 v[50:51], v[48:49]
	v_div_scale_f64 v[52:53], vcc, v[46:47], v[44:45], v[46:47]
	v_fma_f64 v[54:55], -v[48:49], v[50:51], 1.0
	v_fmac_f64_e32 v[50:51], v[50:51], v[54:55]
	v_fma_f64 v[54:55], -v[48:49], v[50:51], 1.0
	v_fmac_f64_e32 v[50:51], v[50:51], v[54:55]
	v_mul_f64 v[54:55], v[52:53], v[50:51]
	v_fma_f64 v[48:49], -v[48:49], v[54:55], v[52:53]
	v_div_fmas_f64 v[48:49], v[48:49], v[50:51], v[54:55]
	v_div_fixup_f64 v[50:51], v[48:49], v[44:45], v[46:47]
	v_fmac_f64_e32 v[44:45], v[46:47], v[50:51]
	v_div_scale_f64 v[46:47], s[8:9], v[44:45], v[44:45], 1.0
	v_rcp_f64_e32 v[48:49], v[46:47]
	s_nop 0
	v_fma_f64 v[52:53], -v[46:47], v[48:49], 1.0
	v_fmac_f64_e32 v[48:49], v[48:49], v[52:53]
	v_fma_f64 v[52:53], -v[46:47], v[48:49], 1.0
	v_fmac_f64_e32 v[48:49], v[48:49], v[52:53]
	v_div_scale_f64 v[52:53], vcc, 1.0, v[44:45], 1.0
	v_mul_f64 v[54:55], v[52:53], v[48:49]
	v_fma_f64 v[46:47], -v[46:47], v[54:55], v[52:53]
	s_nop 1
	v_div_fmas_f64 v[46:47], v[46:47], v[48:49], v[54:55]
	v_div_fixup_f64 v[48:49], v[46:47], v[44:45], 1.0
	v_mul_f64 v[50:51], v[50:51], -v[48:49]
.LBB17_25:
	s_or_b64 exec, exec, s[2:3]
	ds_write2_b64 v93, v[48:49], v[50:51] offset1:1
.LBB17_26:
	s_or_b64 exec, exec, s[4:5]
	s_waitcnt lgkmcnt(0)
	s_barrier
	ds_read2_b64 v[44:47], v93 offset1:1
	v_cmp_lt_u32_e32 vcc, 2, v92
	s_and_saveexec_b64 s[2:3], vcc
	s_cbranch_execz .LBB17_28
; %bb.27:
	ds_read2_b64 v[48:51], v94 offset0:6 offset1:7
	ds_read2_b64 v[52:55], v94 offset0:8 offset1:9
	s_waitcnt vmcnt(6) lgkmcnt(2)
	v_mul_f64 v[56:57], v[44:45], v[14:15]
	v_fmac_f64_e32 v[56:57], v[46:47], v[12:13]
	v_mul_f64 v[14:15], v[46:47], v[14:15]
	v_fma_f64 v[12:13], v[44:45], v[12:13], -v[14:15]
	s_waitcnt lgkmcnt(1)
	v_mul_f64 v[14:15], v[50:51], v[56:57]
	v_fma_f64 v[14:15], v[48:49], v[12:13], -v[14:15]
	v_mul_f64 v[48:49], v[48:49], v[56:57]
	v_fmac_f64_e32 v[48:49], v[50:51], v[12:13]
	s_waitcnt vmcnt(5)
	v_add_f64 v[8:9], v[8:9], -v[14:15]
	v_add_f64 v[10:11], v[10:11], -v[48:49]
	s_waitcnt lgkmcnt(0)
	v_mul_f64 v[14:15], v[54:55], v[56:57]
	ds_read2_b64 v[48:51], v94 offset0:10 offset1:11
	v_fma_f64 v[14:15], v[52:53], v[12:13], -v[14:15]
	v_mul_f64 v[52:53], v[52:53], v[56:57]
	v_fmac_f64_e32 v[52:53], v[54:55], v[12:13]
	s_waitcnt vmcnt(4)
	v_add_f64 v[22:23], v[22:23], -v[52:53]
	ds_read2_b64 v[52:55], v94 offset0:12 offset1:13
	v_add_f64 v[20:21], v[20:21], -v[14:15]
	s_waitcnt lgkmcnt(1)
	v_mul_f64 v[14:15], v[50:51], v[56:57]
	v_fma_f64 v[14:15], v[48:49], v[12:13], -v[14:15]
	v_mul_f64 v[48:49], v[48:49], v[56:57]
	v_fmac_f64_e32 v[48:49], v[50:51], v[12:13]
	s_waitcnt vmcnt(3)
	v_add_f64 v[16:17], v[16:17], -v[14:15]
	v_add_f64 v[18:19], v[18:19], -v[48:49]
	s_waitcnt lgkmcnt(0)
	v_mul_f64 v[14:15], v[54:55], v[56:57]
	ds_read2_b64 v[48:51], v94 offset0:14 offset1:15
	v_fma_f64 v[14:15], v[52:53], v[12:13], -v[14:15]
	v_mul_f64 v[52:53], v[52:53], v[56:57]
	v_fmac_f64_e32 v[52:53], v[54:55], v[12:13]
	s_waitcnt vmcnt(2)
	v_add_f64 v[30:31], v[30:31], -v[52:53]
	ds_read2_b64 v[52:55], v94 offset0:16 offset1:17
	v_add_f64 v[28:29], v[28:29], -v[14:15]
	s_waitcnt lgkmcnt(1)
	v_mul_f64 v[14:15], v[50:51], v[56:57]
	v_fma_f64 v[14:15], v[48:49], v[12:13], -v[14:15]
	v_mul_f64 v[48:49], v[48:49], v[56:57]
	v_fmac_f64_e32 v[48:49], v[50:51], v[12:13]
	s_waitcnt vmcnt(1)
	v_add_f64 v[24:25], v[24:25], -v[14:15]
	v_add_f64 v[26:27], v[26:27], -v[48:49]
	s_waitcnt lgkmcnt(0)
	v_mul_f64 v[14:15], v[54:55], v[56:57]
	v_mul_f64 v[48:49], v[52:53], v[56:57]
	v_fma_f64 v[14:15], v[52:53], v[12:13], -v[14:15]
	v_fmac_f64_e32 v[48:49], v[54:55], v[12:13]
	s_waitcnt vmcnt(0)
	v_add_f64 v[32:33], v[32:33], -v[14:15]
	v_add_f64 v[34:35], v[34:35], -v[48:49]
	v_mov_b64_e32 v[14:15], v[56:57]
.LBB17_28:
	s_or_b64 exec, exec, s[2:3]
	v_cmp_eq_u32_e32 vcc, 3, v92
	s_waitcnt lgkmcnt(0)
	s_barrier
	s_and_saveexec_b64 s[4:5], vcc
	s_cbranch_execz .LBB17_35
; %bb.29:
	s_waitcnt vmcnt(5)
	ds_write2_b64 v93, v[8:9], v[10:11] offset1:1
	s_waitcnt vmcnt(4)
	ds_write2_b64 v94, v[20:21], v[22:23] offset0:8 offset1:9
	s_waitcnt vmcnt(3)
	ds_write2_b64 v94, v[16:17], v[18:19] offset0:10 offset1:11
	;; [unrolled: 2-line block ×5, first 2 shown]
	ds_read2_b64 v[48:51], v93 offset1:1
	s_waitcnt lgkmcnt(0)
	v_cmp_neq_f64_e32 vcc, 0, v[48:49]
	v_cmp_neq_f64_e64 s[2:3], 0, v[50:51]
	s_or_b64 s[2:3], vcc, s[2:3]
	s_and_b64 exec, exec, s[2:3]
	s_cbranch_execz .LBB17_35
; %bb.30:
	v_cmp_ngt_f64_e64 s[2:3], |v[48:49]|, |v[50:51]|
                                        ; implicit-def: $vgpr52_vgpr53
	s_and_saveexec_b64 s[8:9], s[2:3]
	s_xor_b64 s[2:3], exec, s[8:9]
                                        ; implicit-def: $vgpr54_vgpr55
	s_cbranch_execz .LBB17_32
; %bb.31:
	v_div_scale_f64 v[52:53], s[8:9], v[50:51], v[50:51], v[48:49]
	v_rcp_f64_e32 v[54:55], v[52:53]
	v_div_scale_f64 v[56:57], vcc, v[48:49], v[50:51], v[48:49]
	v_fma_f64 v[58:59], -v[52:53], v[54:55], 1.0
	v_fmac_f64_e32 v[54:55], v[54:55], v[58:59]
	v_fma_f64 v[58:59], -v[52:53], v[54:55], 1.0
	v_fmac_f64_e32 v[54:55], v[54:55], v[58:59]
	v_mul_f64 v[58:59], v[56:57], v[54:55]
	v_fma_f64 v[52:53], -v[52:53], v[58:59], v[56:57]
	v_div_fmas_f64 v[52:53], v[52:53], v[54:55], v[58:59]
	v_div_fixup_f64 v[52:53], v[52:53], v[50:51], v[48:49]
	v_fmac_f64_e32 v[50:51], v[48:49], v[52:53]
	v_div_scale_f64 v[48:49], s[8:9], v[50:51], v[50:51], 1.0
	v_rcp_f64_e32 v[54:55], v[48:49]
	s_nop 0
	v_fma_f64 v[56:57], -v[48:49], v[54:55], 1.0
	v_fmac_f64_e32 v[54:55], v[54:55], v[56:57]
	v_fma_f64 v[56:57], -v[48:49], v[54:55], 1.0
	v_fmac_f64_e32 v[54:55], v[54:55], v[56:57]
	v_div_scale_f64 v[56:57], vcc, 1.0, v[50:51], 1.0
	v_mul_f64 v[58:59], v[56:57], v[54:55]
	v_fma_f64 v[48:49], -v[48:49], v[58:59], v[56:57]
	s_nop 1
	v_div_fmas_f64 v[48:49], v[48:49], v[54:55], v[58:59]
	v_div_fixup_f64 v[54:55], v[48:49], v[50:51], 1.0
	v_mul_f64 v[52:53], v[52:53], v[54:55]
	v_xor_b32_e32 v55, 0x80000000, v55
                                        ; implicit-def: $vgpr48_vgpr49
.LBB17_32:
	s_andn2_saveexec_b64 s[2:3], s[2:3]
	s_cbranch_execz .LBB17_34
; %bb.33:
	v_div_scale_f64 v[52:53], s[8:9], v[48:49], v[48:49], v[50:51]
	v_rcp_f64_e32 v[54:55], v[52:53]
	v_div_scale_f64 v[56:57], vcc, v[50:51], v[48:49], v[50:51]
	v_fma_f64 v[58:59], -v[52:53], v[54:55], 1.0
	v_fmac_f64_e32 v[54:55], v[54:55], v[58:59]
	v_fma_f64 v[58:59], -v[52:53], v[54:55], 1.0
	v_fmac_f64_e32 v[54:55], v[54:55], v[58:59]
	v_mul_f64 v[58:59], v[56:57], v[54:55]
	v_fma_f64 v[52:53], -v[52:53], v[58:59], v[56:57]
	v_div_fmas_f64 v[52:53], v[52:53], v[54:55], v[58:59]
	v_div_fixup_f64 v[54:55], v[52:53], v[48:49], v[50:51]
	v_fmac_f64_e32 v[48:49], v[50:51], v[54:55]
	v_div_scale_f64 v[50:51], s[8:9], v[48:49], v[48:49], 1.0
	v_rcp_f64_e32 v[52:53], v[50:51]
	s_nop 0
	v_fma_f64 v[56:57], -v[50:51], v[52:53], 1.0
	v_fmac_f64_e32 v[52:53], v[52:53], v[56:57]
	v_fma_f64 v[56:57], -v[50:51], v[52:53], 1.0
	v_fmac_f64_e32 v[52:53], v[52:53], v[56:57]
	v_div_scale_f64 v[56:57], vcc, 1.0, v[48:49], 1.0
	v_mul_f64 v[58:59], v[56:57], v[52:53]
	v_fma_f64 v[50:51], -v[50:51], v[58:59], v[56:57]
	s_nop 1
	v_div_fmas_f64 v[50:51], v[50:51], v[52:53], v[58:59]
	v_div_fixup_f64 v[52:53], v[50:51], v[48:49], 1.0
	v_mul_f64 v[54:55], v[54:55], -v[52:53]
.LBB17_34:
	s_or_b64 exec, exec, s[2:3]
	ds_write2_b64 v93, v[52:53], v[54:55] offset1:1
.LBB17_35:
	s_or_b64 exec, exec, s[4:5]
	s_waitcnt lgkmcnt(0)
	s_barrier
	ds_read2_b64 v[48:51], v93 offset1:1
	v_cmp_lt_u32_e32 vcc, 3, v92
	s_and_saveexec_b64 s[2:3], vcc
	s_cbranch_execz .LBB17_37
; %bb.36:
	ds_read2_b64 v[52:55], v94 offset0:8 offset1:9
	ds_read2_b64 v[56:59], v94 offset0:10 offset1:11
	s_waitcnt vmcnt(5) lgkmcnt(2)
	v_mul_f64 v[60:61], v[48:49], v[10:11]
	v_fmac_f64_e32 v[60:61], v[50:51], v[8:9]
	v_mul_f64 v[10:11], v[50:51], v[10:11]
	v_fma_f64 v[8:9], v[48:49], v[8:9], -v[10:11]
	s_waitcnt lgkmcnt(1)
	v_mul_f64 v[10:11], v[54:55], v[60:61]
	v_fma_f64 v[10:11], v[52:53], v[8:9], -v[10:11]
	v_mul_f64 v[52:53], v[52:53], v[60:61]
	v_fmac_f64_e32 v[52:53], v[54:55], v[8:9]
	s_waitcnt vmcnt(4)
	v_add_f64 v[22:23], v[22:23], -v[52:53]
	ds_read2_b64 v[52:55], v94 offset0:12 offset1:13
	v_add_f64 v[20:21], v[20:21], -v[10:11]
	s_waitcnt lgkmcnt(1)
	v_mul_f64 v[10:11], v[58:59], v[60:61]
	v_fma_f64 v[10:11], v[56:57], v[8:9], -v[10:11]
	v_mul_f64 v[56:57], v[56:57], v[60:61]
	v_fmac_f64_e32 v[56:57], v[58:59], v[8:9]
	s_waitcnt vmcnt(3)
	v_add_f64 v[16:17], v[16:17], -v[10:11]
	v_add_f64 v[18:19], v[18:19], -v[56:57]
	ds_read2_b64 v[56:59], v94 offset0:14 offset1:15
	s_waitcnt lgkmcnt(1)
	v_mul_f64 v[10:11], v[54:55], v[60:61]
	v_fma_f64 v[10:11], v[52:53], v[8:9], -v[10:11]
	v_mul_f64 v[52:53], v[52:53], v[60:61]
	v_fmac_f64_e32 v[52:53], v[54:55], v[8:9]
	s_waitcnt vmcnt(2)
	v_add_f64 v[30:31], v[30:31], -v[52:53]
	ds_read2_b64 v[52:55], v94 offset0:16 offset1:17
	v_add_f64 v[28:29], v[28:29], -v[10:11]
	s_waitcnt lgkmcnt(1)
	v_mul_f64 v[10:11], v[58:59], v[60:61]
	v_fma_f64 v[10:11], v[56:57], v[8:9], -v[10:11]
	s_waitcnt vmcnt(1)
	v_add_f64 v[24:25], v[24:25], -v[10:11]
	s_waitcnt lgkmcnt(0)
	v_mul_f64 v[10:11], v[54:55], v[60:61]
	v_mul_f64 v[56:57], v[56:57], v[60:61]
	v_fma_f64 v[10:11], v[52:53], v[8:9], -v[10:11]
	v_mul_f64 v[52:53], v[52:53], v[60:61]
	v_fmac_f64_e32 v[56:57], v[58:59], v[8:9]
	v_fmac_f64_e32 v[52:53], v[54:55], v[8:9]
	v_add_f64 v[26:27], v[26:27], -v[56:57]
	s_waitcnt vmcnt(0)
	v_add_f64 v[32:33], v[32:33], -v[10:11]
	v_add_f64 v[34:35], v[34:35], -v[52:53]
	v_mov_b64_e32 v[10:11], v[60:61]
.LBB17_37:
	s_or_b64 exec, exec, s[2:3]
	v_cmp_eq_u32_e32 vcc, 4, v92
	s_waitcnt lgkmcnt(0)
	s_barrier
	s_and_saveexec_b64 s[4:5], vcc
	s_cbranch_execz .LBB17_44
; %bb.38:
	s_waitcnt vmcnt(4)
	ds_write2_b64 v93, v[20:21], v[22:23] offset1:1
	s_waitcnt vmcnt(3)
	ds_write2_b64 v94, v[16:17], v[18:19] offset0:10 offset1:11
	s_waitcnt vmcnt(2)
	ds_write2_b64 v94, v[28:29], v[30:31] offset0:12 offset1:13
	s_waitcnt vmcnt(1)
	ds_write2_b64 v94, v[24:25], v[26:27] offset0:14 offset1:15
	s_waitcnt vmcnt(0)
	ds_write2_b64 v94, v[32:33], v[34:35] offset0:16 offset1:17
	ds_read2_b64 v[52:55], v93 offset1:1
	s_waitcnt lgkmcnt(0)
	v_cmp_neq_f64_e32 vcc, 0, v[52:53]
	v_cmp_neq_f64_e64 s[2:3], 0, v[54:55]
	s_or_b64 s[2:3], vcc, s[2:3]
	s_and_b64 exec, exec, s[2:3]
	s_cbranch_execz .LBB17_44
; %bb.39:
	v_cmp_ngt_f64_e64 s[2:3], |v[52:53]|, |v[54:55]|
                                        ; implicit-def: $vgpr56_vgpr57
	s_and_saveexec_b64 s[8:9], s[2:3]
	s_xor_b64 s[2:3], exec, s[8:9]
                                        ; implicit-def: $vgpr58_vgpr59
	s_cbranch_execz .LBB17_41
; %bb.40:
	v_div_scale_f64 v[56:57], s[8:9], v[54:55], v[54:55], v[52:53]
	v_rcp_f64_e32 v[58:59], v[56:57]
	v_div_scale_f64 v[60:61], vcc, v[52:53], v[54:55], v[52:53]
	v_fma_f64 v[62:63], -v[56:57], v[58:59], 1.0
	v_fmac_f64_e32 v[58:59], v[58:59], v[62:63]
	v_fma_f64 v[62:63], -v[56:57], v[58:59], 1.0
	v_fmac_f64_e32 v[58:59], v[58:59], v[62:63]
	v_mul_f64 v[62:63], v[60:61], v[58:59]
	v_fma_f64 v[56:57], -v[56:57], v[62:63], v[60:61]
	v_div_fmas_f64 v[56:57], v[56:57], v[58:59], v[62:63]
	v_div_fixup_f64 v[56:57], v[56:57], v[54:55], v[52:53]
	v_fmac_f64_e32 v[54:55], v[52:53], v[56:57]
	v_div_scale_f64 v[52:53], s[8:9], v[54:55], v[54:55], 1.0
	v_rcp_f64_e32 v[58:59], v[52:53]
	s_nop 0
	v_fma_f64 v[60:61], -v[52:53], v[58:59], 1.0
	v_fmac_f64_e32 v[58:59], v[58:59], v[60:61]
	v_fma_f64 v[60:61], -v[52:53], v[58:59], 1.0
	v_fmac_f64_e32 v[58:59], v[58:59], v[60:61]
	v_div_scale_f64 v[60:61], vcc, 1.0, v[54:55], 1.0
	v_mul_f64 v[62:63], v[60:61], v[58:59]
	v_fma_f64 v[52:53], -v[52:53], v[62:63], v[60:61]
	s_nop 1
	v_div_fmas_f64 v[52:53], v[52:53], v[58:59], v[62:63]
	v_div_fixup_f64 v[58:59], v[52:53], v[54:55], 1.0
	v_mul_f64 v[56:57], v[56:57], v[58:59]
	v_xor_b32_e32 v59, 0x80000000, v59
                                        ; implicit-def: $vgpr52_vgpr53
.LBB17_41:
	s_andn2_saveexec_b64 s[2:3], s[2:3]
	s_cbranch_execz .LBB17_43
; %bb.42:
	v_div_scale_f64 v[56:57], s[8:9], v[52:53], v[52:53], v[54:55]
	v_rcp_f64_e32 v[58:59], v[56:57]
	v_div_scale_f64 v[60:61], vcc, v[54:55], v[52:53], v[54:55]
	v_fma_f64 v[62:63], -v[56:57], v[58:59], 1.0
	v_fmac_f64_e32 v[58:59], v[58:59], v[62:63]
	v_fma_f64 v[62:63], -v[56:57], v[58:59], 1.0
	v_fmac_f64_e32 v[58:59], v[58:59], v[62:63]
	v_mul_f64 v[62:63], v[60:61], v[58:59]
	v_fma_f64 v[56:57], -v[56:57], v[62:63], v[60:61]
	v_div_fmas_f64 v[56:57], v[56:57], v[58:59], v[62:63]
	v_div_fixup_f64 v[58:59], v[56:57], v[52:53], v[54:55]
	v_fmac_f64_e32 v[52:53], v[54:55], v[58:59]
	v_div_scale_f64 v[54:55], s[8:9], v[52:53], v[52:53], 1.0
	v_rcp_f64_e32 v[56:57], v[54:55]
	s_nop 0
	v_fma_f64 v[60:61], -v[54:55], v[56:57], 1.0
	v_fmac_f64_e32 v[56:57], v[56:57], v[60:61]
	v_fma_f64 v[60:61], -v[54:55], v[56:57], 1.0
	v_fmac_f64_e32 v[56:57], v[56:57], v[60:61]
	v_div_scale_f64 v[60:61], vcc, 1.0, v[52:53], 1.0
	v_mul_f64 v[62:63], v[60:61], v[56:57]
	v_fma_f64 v[54:55], -v[54:55], v[62:63], v[60:61]
	s_nop 1
	v_div_fmas_f64 v[54:55], v[54:55], v[56:57], v[62:63]
	v_div_fixup_f64 v[56:57], v[54:55], v[52:53], 1.0
	v_mul_f64 v[58:59], v[58:59], -v[56:57]
.LBB17_43:
	s_or_b64 exec, exec, s[2:3]
	ds_write2_b64 v93, v[56:57], v[58:59] offset1:1
.LBB17_44:
	s_or_b64 exec, exec, s[4:5]
	s_waitcnt lgkmcnt(0)
	s_barrier
	ds_read2_b64 v[52:55], v93 offset1:1
	v_cmp_lt_u32_e32 vcc, 4, v92
	s_and_saveexec_b64 s[2:3], vcc
	s_cbranch_execz .LBB17_46
; %bb.45:
	ds_read2_b64 v[56:59], v94 offset0:10 offset1:11
	ds_read2_b64 v[60:63], v94 offset0:12 offset1:13
	s_waitcnt vmcnt(4) lgkmcnt(2)
	v_mul_f64 v[64:65], v[52:53], v[22:23]
	v_fmac_f64_e32 v[64:65], v[54:55], v[20:21]
	v_mul_f64 v[22:23], v[54:55], v[22:23]
	v_fma_f64 v[20:21], v[52:53], v[20:21], -v[22:23]
	s_waitcnt lgkmcnt(1)
	v_mul_f64 v[22:23], v[58:59], v[64:65]
	v_fma_f64 v[22:23], v[56:57], v[20:21], -v[22:23]
	v_mul_f64 v[56:57], v[56:57], v[64:65]
	v_fmac_f64_e32 v[56:57], v[58:59], v[20:21]
	s_waitcnt vmcnt(3)
	v_add_f64 v[16:17], v[16:17], -v[22:23]
	v_add_f64 v[18:19], v[18:19], -v[56:57]
	s_waitcnt lgkmcnt(0)
	v_mul_f64 v[22:23], v[62:63], v[64:65]
	ds_read2_b64 v[56:59], v94 offset0:14 offset1:15
	v_fma_f64 v[22:23], v[60:61], v[20:21], -v[22:23]
	v_mul_f64 v[60:61], v[60:61], v[64:65]
	v_fmac_f64_e32 v[60:61], v[62:63], v[20:21]
	s_waitcnt vmcnt(2)
	v_add_f64 v[30:31], v[30:31], -v[60:61]
	ds_read2_b64 v[60:63], v94 offset0:16 offset1:17
	v_add_f64 v[28:29], v[28:29], -v[22:23]
	s_waitcnt lgkmcnt(1)
	v_mul_f64 v[22:23], v[58:59], v[64:65]
	v_fma_f64 v[22:23], v[56:57], v[20:21], -v[22:23]
	v_mul_f64 v[56:57], v[56:57], v[64:65]
	v_fmac_f64_e32 v[56:57], v[58:59], v[20:21]
	s_waitcnt vmcnt(1)
	v_add_f64 v[24:25], v[24:25], -v[22:23]
	v_add_f64 v[26:27], v[26:27], -v[56:57]
	s_waitcnt lgkmcnt(0)
	v_mul_f64 v[22:23], v[62:63], v[64:65]
	v_mul_f64 v[56:57], v[60:61], v[64:65]
	v_fma_f64 v[22:23], v[60:61], v[20:21], -v[22:23]
	v_fmac_f64_e32 v[56:57], v[62:63], v[20:21]
	s_waitcnt vmcnt(0)
	v_add_f64 v[32:33], v[32:33], -v[22:23]
	v_add_f64 v[34:35], v[34:35], -v[56:57]
	v_mov_b64_e32 v[22:23], v[64:65]
.LBB17_46:
	s_or_b64 exec, exec, s[2:3]
	v_cmp_eq_u32_e32 vcc, 5, v92
	s_waitcnt lgkmcnt(0)
	s_barrier
	s_and_saveexec_b64 s[4:5], vcc
	s_cbranch_execz .LBB17_53
; %bb.47:
	s_waitcnt vmcnt(3)
	ds_write2_b64 v93, v[16:17], v[18:19] offset1:1
	s_waitcnt vmcnt(2)
	ds_write2_b64 v94, v[28:29], v[30:31] offset0:12 offset1:13
	s_waitcnt vmcnt(1)
	ds_write2_b64 v94, v[24:25], v[26:27] offset0:14 offset1:15
	;; [unrolled: 2-line block ×3, first 2 shown]
	ds_read2_b64 v[56:59], v93 offset1:1
	s_waitcnt lgkmcnt(0)
	v_cmp_neq_f64_e32 vcc, 0, v[56:57]
	v_cmp_neq_f64_e64 s[2:3], 0, v[58:59]
	s_or_b64 s[2:3], vcc, s[2:3]
	s_and_b64 exec, exec, s[2:3]
	s_cbranch_execz .LBB17_53
; %bb.48:
	v_cmp_ngt_f64_e64 s[2:3], |v[56:57]|, |v[58:59]|
                                        ; implicit-def: $vgpr60_vgpr61
	s_and_saveexec_b64 s[8:9], s[2:3]
	s_xor_b64 s[2:3], exec, s[8:9]
                                        ; implicit-def: $vgpr62_vgpr63
	s_cbranch_execz .LBB17_50
; %bb.49:
	v_div_scale_f64 v[60:61], s[8:9], v[58:59], v[58:59], v[56:57]
	v_rcp_f64_e32 v[62:63], v[60:61]
	v_div_scale_f64 v[64:65], vcc, v[56:57], v[58:59], v[56:57]
	v_fma_f64 v[66:67], -v[60:61], v[62:63], 1.0
	v_fmac_f64_e32 v[62:63], v[62:63], v[66:67]
	v_fma_f64 v[66:67], -v[60:61], v[62:63], 1.0
	v_fmac_f64_e32 v[62:63], v[62:63], v[66:67]
	v_mul_f64 v[66:67], v[64:65], v[62:63]
	v_fma_f64 v[60:61], -v[60:61], v[66:67], v[64:65]
	v_div_fmas_f64 v[60:61], v[60:61], v[62:63], v[66:67]
	v_div_fixup_f64 v[60:61], v[60:61], v[58:59], v[56:57]
	v_fmac_f64_e32 v[58:59], v[56:57], v[60:61]
	v_div_scale_f64 v[56:57], s[8:9], v[58:59], v[58:59], 1.0
	v_rcp_f64_e32 v[62:63], v[56:57]
	s_nop 0
	v_fma_f64 v[64:65], -v[56:57], v[62:63], 1.0
	v_fmac_f64_e32 v[62:63], v[62:63], v[64:65]
	v_fma_f64 v[64:65], -v[56:57], v[62:63], 1.0
	v_fmac_f64_e32 v[62:63], v[62:63], v[64:65]
	v_div_scale_f64 v[64:65], vcc, 1.0, v[58:59], 1.0
	v_mul_f64 v[66:67], v[64:65], v[62:63]
	v_fma_f64 v[56:57], -v[56:57], v[66:67], v[64:65]
	s_nop 1
	v_div_fmas_f64 v[56:57], v[56:57], v[62:63], v[66:67]
	v_div_fixup_f64 v[62:63], v[56:57], v[58:59], 1.0
	v_mul_f64 v[60:61], v[60:61], v[62:63]
	v_xor_b32_e32 v63, 0x80000000, v63
                                        ; implicit-def: $vgpr56_vgpr57
.LBB17_50:
	s_andn2_saveexec_b64 s[2:3], s[2:3]
	s_cbranch_execz .LBB17_52
; %bb.51:
	v_div_scale_f64 v[60:61], s[8:9], v[56:57], v[56:57], v[58:59]
	v_rcp_f64_e32 v[62:63], v[60:61]
	v_div_scale_f64 v[64:65], vcc, v[58:59], v[56:57], v[58:59]
	v_fma_f64 v[66:67], -v[60:61], v[62:63], 1.0
	v_fmac_f64_e32 v[62:63], v[62:63], v[66:67]
	v_fma_f64 v[66:67], -v[60:61], v[62:63], 1.0
	v_fmac_f64_e32 v[62:63], v[62:63], v[66:67]
	v_mul_f64 v[66:67], v[64:65], v[62:63]
	v_fma_f64 v[60:61], -v[60:61], v[66:67], v[64:65]
	v_div_fmas_f64 v[60:61], v[60:61], v[62:63], v[66:67]
	v_div_fixup_f64 v[62:63], v[60:61], v[56:57], v[58:59]
	v_fmac_f64_e32 v[56:57], v[58:59], v[62:63]
	v_div_scale_f64 v[58:59], s[8:9], v[56:57], v[56:57], 1.0
	v_rcp_f64_e32 v[60:61], v[58:59]
	s_nop 0
	v_fma_f64 v[64:65], -v[58:59], v[60:61], 1.0
	v_fmac_f64_e32 v[60:61], v[60:61], v[64:65]
	v_fma_f64 v[64:65], -v[58:59], v[60:61], 1.0
	v_fmac_f64_e32 v[60:61], v[60:61], v[64:65]
	v_div_scale_f64 v[64:65], vcc, 1.0, v[56:57], 1.0
	v_mul_f64 v[66:67], v[64:65], v[60:61]
	v_fma_f64 v[58:59], -v[58:59], v[66:67], v[64:65]
	s_nop 1
	v_div_fmas_f64 v[58:59], v[58:59], v[60:61], v[66:67]
	v_div_fixup_f64 v[60:61], v[58:59], v[56:57], 1.0
	v_mul_f64 v[62:63], v[62:63], -v[60:61]
.LBB17_52:
	s_or_b64 exec, exec, s[2:3]
	ds_write2_b64 v93, v[60:61], v[62:63] offset1:1
.LBB17_53:
	s_or_b64 exec, exec, s[4:5]
	s_waitcnt lgkmcnt(0)
	s_barrier
	ds_read2_b64 v[56:59], v93 offset1:1
	v_cmp_lt_u32_e32 vcc, 5, v92
	s_and_saveexec_b64 s[2:3], vcc
	s_cbranch_execz .LBB17_55
; %bb.54:
	ds_read2_b64 v[60:63], v94 offset0:12 offset1:13
	ds_read2_b64 v[64:67], v94 offset0:14 offset1:15
	s_waitcnt vmcnt(3) lgkmcnt(2)
	v_mul_f64 v[68:69], v[56:57], v[18:19]
	v_fmac_f64_e32 v[68:69], v[58:59], v[16:17]
	v_mul_f64 v[18:19], v[58:59], v[18:19]
	v_fma_f64 v[16:17], v[56:57], v[16:17], -v[18:19]
	s_waitcnt lgkmcnt(1)
	v_mul_f64 v[18:19], v[62:63], v[68:69]
	v_fma_f64 v[18:19], v[60:61], v[16:17], -v[18:19]
	v_mul_f64 v[60:61], v[60:61], v[68:69]
	v_fmac_f64_e32 v[60:61], v[62:63], v[16:17]
	s_waitcnt vmcnt(2)
	v_add_f64 v[30:31], v[30:31], -v[60:61]
	ds_read2_b64 v[60:63], v94 offset0:16 offset1:17
	v_add_f64 v[28:29], v[28:29], -v[18:19]
	s_waitcnt lgkmcnt(1)
	v_mul_f64 v[18:19], v[66:67], v[68:69]
	v_fma_f64 v[18:19], v[64:65], v[16:17], -v[18:19]
	s_waitcnt vmcnt(1)
	v_add_f64 v[24:25], v[24:25], -v[18:19]
	s_waitcnt lgkmcnt(0)
	v_mul_f64 v[18:19], v[62:63], v[68:69]
	v_mul_f64 v[64:65], v[64:65], v[68:69]
	v_fma_f64 v[18:19], v[60:61], v[16:17], -v[18:19]
	v_mul_f64 v[60:61], v[60:61], v[68:69]
	v_fmac_f64_e32 v[64:65], v[66:67], v[16:17]
	v_fmac_f64_e32 v[60:61], v[62:63], v[16:17]
	v_add_f64 v[26:27], v[26:27], -v[64:65]
	s_waitcnt vmcnt(0)
	v_add_f64 v[32:33], v[32:33], -v[18:19]
	v_add_f64 v[34:35], v[34:35], -v[60:61]
	v_mov_b64_e32 v[18:19], v[68:69]
.LBB17_55:
	s_or_b64 exec, exec, s[2:3]
	v_cmp_eq_u32_e32 vcc, 6, v92
	s_waitcnt lgkmcnt(0)
	s_barrier
	s_and_saveexec_b64 s[4:5], vcc
	s_cbranch_execz .LBB17_62
; %bb.56:
	s_waitcnt vmcnt(2)
	ds_write2_b64 v93, v[28:29], v[30:31] offset1:1
	s_waitcnt vmcnt(1)
	ds_write2_b64 v94, v[24:25], v[26:27] offset0:14 offset1:15
	s_waitcnt vmcnt(0)
	ds_write2_b64 v94, v[32:33], v[34:35] offset0:16 offset1:17
	ds_read2_b64 v[60:63], v93 offset1:1
	s_waitcnt lgkmcnt(0)
	v_cmp_neq_f64_e32 vcc, 0, v[60:61]
	v_cmp_neq_f64_e64 s[2:3], 0, v[62:63]
	s_or_b64 s[2:3], vcc, s[2:3]
	s_and_b64 exec, exec, s[2:3]
	s_cbranch_execz .LBB17_62
; %bb.57:
	v_cmp_ngt_f64_e64 s[2:3], |v[60:61]|, |v[62:63]|
                                        ; implicit-def: $vgpr64_vgpr65
	s_and_saveexec_b64 s[8:9], s[2:3]
	s_xor_b64 s[2:3], exec, s[8:9]
                                        ; implicit-def: $vgpr66_vgpr67
	s_cbranch_execz .LBB17_59
; %bb.58:
	v_div_scale_f64 v[64:65], s[8:9], v[62:63], v[62:63], v[60:61]
	v_rcp_f64_e32 v[66:67], v[64:65]
	v_div_scale_f64 v[68:69], vcc, v[60:61], v[62:63], v[60:61]
	v_fma_f64 v[70:71], -v[64:65], v[66:67], 1.0
	v_fmac_f64_e32 v[66:67], v[66:67], v[70:71]
	v_fma_f64 v[70:71], -v[64:65], v[66:67], 1.0
	v_fmac_f64_e32 v[66:67], v[66:67], v[70:71]
	v_mul_f64 v[70:71], v[68:69], v[66:67]
	v_fma_f64 v[64:65], -v[64:65], v[70:71], v[68:69]
	v_div_fmas_f64 v[64:65], v[64:65], v[66:67], v[70:71]
	v_div_fixup_f64 v[64:65], v[64:65], v[62:63], v[60:61]
	v_fmac_f64_e32 v[62:63], v[60:61], v[64:65]
	v_div_scale_f64 v[60:61], s[8:9], v[62:63], v[62:63], 1.0
	v_rcp_f64_e32 v[66:67], v[60:61]
	s_nop 0
	v_fma_f64 v[68:69], -v[60:61], v[66:67], 1.0
	v_fmac_f64_e32 v[66:67], v[66:67], v[68:69]
	v_fma_f64 v[68:69], -v[60:61], v[66:67], 1.0
	v_fmac_f64_e32 v[66:67], v[66:67], v[68:69]
	v_div_scale_f64 v[68:69], vcc, 1.0, v[62:63], 1.0
	v_mul_f64 v[70:71], v[68:69], v[66:67]
	v_fma_f64 v[60:61], -v[60:61], v[70:71], v[68:69]
	s_nop 1
	v_div_fmas_f64 v[60:61], v[60:61], v[66:67], v[70:71]
	v_div_fixup_f64 v[66:67], v[60:61], v[62:63], 1.0
	v_mul_f64 v[64:65], v[64:65], v[66:67]
	v_xor_b32_e32 v67, 0x80000000, v67
                                        ; implicit-def: $vgpr60_vgpr61
.LBB17_59:
	s_andn2_saveexec_b64 s[2:3], s[2:3]
	s_cbranch_execz .LBB17_61
; %bb.60:
	v_div_scale_f64 v[64:65], s[8:9], v[60:61], v[60:61], v[62:63]
	v_rcp_f64_e32 v[66:67], v[64:65]
	v_div_scale_f64 v[68:69], vcc, v[62:63], v[60:61], v[62:63]
	v_fma_f64 v[70:71], -v[64:65], v[66:67], 1.0
	v_fmac_f64_e32 v[66:67], v[66:67], v[70:71]
	v_fma_f64 v[70:71], -v[64:65], v[66:67], 1.0
	v_fmac_f64_e32 v[66:67], v[66:67], v[70:71]
	v_mul_f64 v[70:71], v[68:69], v[66:67]
	v_fma_f64 v[64:65], -v[64:65], v[70:71], v[68:69]
	v_div_fmas_f64 v[64:65], v[64:65], v[66:67], v[70:71]
	v_div_fixup_f64 v[66:67], v[64:65], v[60:61], v[62:63]
	v_fmac_f64_e32 v[60:61], v[62:63], v[66:67]
	v_div_scale_f64 v[62:63], s[8:9], v[60:61], v[60:61], 1.0
	v_rcp_f64_e32 v[64:65], v[62:63]
	s_nop 0
	v_fma_f64 v[68:69], -v[62:63], v[64:65], 1.0
	v_fmac_f64_e32 v[64:65], v[64:65], v[68:69]
	v_fma_f64 v[68:69], -v[62:63], v[64:65], 1.0
	v_fmac_f64_e32 v[64:65], v[64:65], v[68:69]
	v_div_scale_f64 v[68:69], vcc, 1.0, v[60:61], 1.0
	v_mul_f64 v[70:71], v[68:69], v[64:65]
	v_fma_f64 v[62:63], -v[62:63], v[70:71], v[68:69]
	s_nop 1
	v_div_fmas_f64 v[62:63], v[62:63], v[64:65], v[70:71]
	v_div_fixup_f64 v[64:65], v[62:63], v[60:61], 1.0
	v_mul_f64 v[66:67], v[66:67], -v[64:65]
.LBB17_61:
	s_or_b64 exec, exec, s[2:3]
	ds_write2_b64 v93, v[64:65], v[66:67] offset1:1
.LBB17_62:
	s_or_b64 exec, exec, s[4:5]
	s_waitcnt lgkmcnt(0)
	s_barrier
	ds_read2_b64 v[60:63], v93 offset1:1
	v_cmp_lt_u32_e32 vcc, 6, v92
	s_and_saveexec_b64 s[2:3], vcc
	s_cbranch_execz .LBB17_64
; %bb.63:
	ds_read2_b64 v[64:67], v94 offset0:14 offset1:15
	ds_read2_b64 v[68:71], v94 offset0:16 offset1:17
	s_waitcnt vmcnt(2) lgkmcnt(2)
	v_mul_f64 v[96:97], v[60:61], v[30:31]
	v_fmac_f64_e32 v[96:97], v[62:63], v[28:29]
	v_mul_f64 v[30:31], v[62:63], v[30:31]
	v_fma_f64 v[28:29], v[60:61], v[28:29], -v[30:31]
	s_waitcnt lgkmcnt(1)
	v_mul_f64 v[30:31], v[66:67], v[96:97]
	v_fma_f64 v[30:31], v[64:65], v[28:29], -v[30:31]
	v_mul_f64 v[64:65], v[64:65], v[96:97]
	v_fmac_f64_e32 v[64:65], v[66:67], v[28:29]
	s_waitcnt vmcnt(1)
	v_add_f64 v[24:25], v[24:25], -v[30:31]
	v_add_f64 v[26:27], v[26:27], -v[64:65]
	s_waitcnt lgkmcnt(0)
	v_mul_f64 v[30:31], v[70:71], v[96:97]
	v_mul_f64 v[64:65], v[68:69], v[96:97]
	v_fma_f64 v[30:31], v[68:69], v[28:29], -v[30:31]
	v_fmac_f64_e32 v[64:65], v[70:71], v[28:29]
	s_waitcnt vmcnt(0)
	v_add_f64 v[32:33], v[32:33], -v[30:31]
	v_add_f64 v[34:35], v[34:35], -v[64:65]
	v_mov_b64_e32 v[30:31], v[96:97]
.LBB17_64:
	s_or_b64 exec, exec, s[2:3]
	v_cmp_eq_u32_e32 vcc, 7, v92
	s_waitcnt lgkmcnt(0)
	s_barrier
	s_and_saveexec_b64 s[4:5], vcc
	s_cbranch_execz .LBB17_71
; %bb.65:
	s_waitcnt vmcnt(1)
	ds_write2_b64 v93, v[24:25], v[26:27] offset1:1
	s_waitcnt vmcnt(0)
	ds_write2_b64 v94, v[32:33], v[34:35] offset0:16 offset1:17
	ds_read2_b64 v[64:67], v93 offset1:1
	s_waitcnt lgkmcnt(0)
	v_cmp_neq_f64_e32 vcc, 0, v[64:65]
	v_cmp_neq_f64_e64 s[2:3], 0, v[66:67]
	s_or_b64 s[2:3], vcc, s[2:3]
	s_and_b64 exec, exec, s[2:3]
	s_cbranch_execz .LBB17_71
; %bb.66:
	v_cmp_ngt_f64_e64 s[2:3], |v[64:65]|, |v[66:67]|
                                        ; implicit-def: $vgpr68_vgpr69
	s_and_saveexec_b64 s[8:9], s[2:3]
	s_xor_b64 s[2:3], exec, s[8:9]
                                        ; implicit-def: $vgpr70_vgpr71
	s_cbranch_execz .LBB17_68
; %bb.67:
	v_div_scale_f64 v[68:69], s[8:9], v[66:67], v[66:67], v[64:65]
	v_rcp_f64_e32 v[70:71], v[68:69]
	v_div_scale_f64 v[96:97], vcc, v[64:65], v[66:67], v[64:65]
	v_fma_f64 v[98:99], -v[68:69], v[70:71], 1.0
	v_fmac_f64_e32 v[70:71], v[70:71], v[98:99]
	v_fma_f64 v[98:99], -v[68:69], v[70:71], 1.0
	v_fmac_f64_e32 v[70:71], v[70:71], v[98:99]
	v_mul_f64 v[98:99], v[96:97], v[70:71]
	v_fma_f64 v[68:69], -v[68:69], v[98:99], v[96:97]
	v_div_fmas_f64 v[68:69], v[68:69], v[70:71], v[98:99]
	v_div_fixup_f64 v[68:69], v[68:69], v[66:67], v[64:65]
	v_fmac_f64_e32 v[66:67], v[64:65], v[68:69]
	v_div_scale_f64 v[64:65], s[8:9], v[66:67], v[66:67], 1.0
	v_rcp_f64_e32 v[70:71], v[64:65]
	s_nop 0
	v_fma_f64 v[96:97], -v[64:65], v[70:71], 1.0
	v_fmac_f64_e32 v[70:71], v[70:71], v[96:97]
	v_fma_f64 v[96:97], -v[64:65], v[70:71], 1.0
	v_fmac_f64_e32 v[70:71], v[70:71], v[96:97]
	v_div_scale_f64 v[96:97], vcc, 1.0, v[66:67], 1.0
	v_mul_f64 v[98:99], v[96:97], v[70:71]
	v_fma_f64 v[64:65], -v[64:65], v[98:99], v[96:97]
	s_nop 1
	v_div_fmas_f64 v[64:65], v[64:65], v[70:71], v[98:99]
	v_div_fixup_f64 v[70:71], v[64:65], v[66:67], 1.0
	v_mul_f64 v[68:69], v[68:69], v[70:71]
	v_xor_b32_e32 v71, 0x80000000, v71
                                        ; implicit-def: $vgpr64_vgpr65
.LBB17_68:
	s_andn2_saveexec_b64 s[2:3], s[2:3]
	s_cbranch_execz .LBB17_70
; %bb.69:
	v_div_scale_f64 v[68:69], s[8:9], v[64:65], v[64:65], v[66:67]
	v_rcp_f64_e32 v[70:71], v[68:69]
	v_div_scale_f64 v[96:97], vcc, v[66:67], v[64:65], v[66:67]
	v_fma_f64 v[98:99], -v[68:69], v[70:71], 1.0
	v_fmac_f64_e32 v[70:71], v[70:71], v[98:99]
	v_fma_f64 v[98:99], -v[68:69], v[70:71], 1.0
	v_fmac_f64_e32 v[70:71], v[70:71], v[98:99]
	v_mul_f64 v[98:99], v[96:97], v[70:71]
	v_fma_f64 v[68:69], -v[68:69], v[98:99], v[96:97]
	v_div_fmas_f64 v[68:69], v[68:69], v[70:71], v[98:99]
	v_div_fixup_f64 v[70:71], v[68:69], v[64:65], v[66:67]
	v_fmac_f64_e32 v[64:65], v[66:67], v[70:71]
	v_div_scale_f64 v[66:67], s[8:9], v[64:65], v[64:65], 1.0
	v_rcp_f64_e32 v[68:69], v[66:67]
	s_nop 0
	v_fma_f64 v[96:97], -v[66:67], v[68:69], 1.0
	v_fmac_f64_e32 v[68:69], v[68:69], v[96:97]
	v_fma_f64 v[96:97], -v[66:67], v[68:69], 1.0
	v_fmac_f64_e32 v[68:69], v[68:69], v[96:97]
	v_div_scale_f64 v[96:97], vcc, 1.0, v[64:65], 1.0
	v_mul_f64 v[98:99], v[96:97], v[68:69]
	v_fma_f64 v[66:67], -v[66:67], v[98:99], v[96:97]
	s_nop 1
	v_div_fmas_f64 v[66:67], v[66:67], v[68:69], v[98:99]
	v_div_fixup_f64 v[68:69], v[66:67], v[64:65], 1.0
	v_mul_f64 v[70:71], v[70:71], -v[68:69]
.LBB17_70:
	s_or_b64 exec, exec, s[2:3]
	ds_write2_b64 v93, v[68:69], v[70:71] offset1:1
.LBB17_71:
	s_or_b64 exec, exec, s[4:5]
	s_waitcnt lgkmcnt(0)
	s_barrier
	ds_read2_b64 v[64:67], v93 offset1:1
	v_cmp_lt_u32_e32 vcc, 7, v92
	s_and_saveexec_b64 s[2:3], vcc
	s_cbranch_execz .LBB17_73
; %bb.72:
	ds_read2_b64 v[68:71], v94 offset0:16 offset1:17
	s_waitcnt vmcnt(1) lgkmcnt(1)
	v_mul_f64 v[94:95], v[64:65], v[26:27]
	v_mul_f64 v[26:27], v[66:67], v[26:27]
	v_fmac_f64_e32 v[94:95], v[66:67], v[24:25]
	v_fma_f64 v[24:25], v[64:65], v[24:25], -v[26:27]
	s_waitcnt lgkmcnt(0)
	v_mul_f64 v[26:27], v[70:71], v[94:95]
	v_fma_f64 v[26:27], v[68:69], v[24:25], -v[26:27]
	v_mul_f64 v[68:69], v[68:69], v[94:95]
	v_fmac_f64_e32 v[68:69], v[70:71], v[24:25]
	s_waitcnt vmcnt(0)
	v_add_f64 v[32:33], v[32:33], -v[26:27]
	v_add_f64 v[34:35], v[34:35], -v[68:69]
	v_mov_b64_e32 v[26:27], v[94:95]
.LBB17_73:
	s_or_b64 exec, exec, s[2:3]
	v_cmp_eq_u32_e32 vcc, 8, v92
	s_waitcnt lgkmcnt(0)
	s_barrier
	s_and_saveexec_b64 s[4:5], vcc
	s_cbranch_execz .LBB17_80
; %bb.74:
	s_waitcnt vmcnt(0)
	v_cmp_neq_f64_e32 vcc, 0, v[32:33]
	v_cmp_neq_f64_e64 s[2:3], 0, v[34:35]
	s_or_b64 s[2:3], vcc, s[2:3]
	ds_write2_b64 v93, v[32:33], v[34:35] offset1:1
	s_and_b64 exec, exec, s[2:3]
	s_cbranch_execz .LBB17_80
; %bb.75:
	v_cmp_ngt_f64_e64 s[2:3], |v[32:33]|, |v[34:35]|
                                        ; implicit-def: $vgpr68_vgpr69
	s_and_saveexec_b64 s[8:9], s[2:3]
	s_xor_b64 s[2:3], exec, s[8:9]
                                        ; implicit-def: $vgpr70_vgpr71
	s_cbranch_execz .LBB17_77
; %bb.76:
	v_div_scale_f64 v[68:69], s[8:9], v[34:35], v[34:35], v[32:33]
	v_rcp_f64_e32 v[70:71], v[68:69]
	v_div_scale_f64 v[94:95], vcc, v[32:33], v[34:35], v[32:33]
	v_fma_f64 v[96:97], -v[68:69], v[70:71], 1.0
	v_fmac_f64_e32 v[70:71], v[70:71], v[96:97]
	v_fma_f64 v[96:97], -v[68:69], v[70:71], 1.0
	v_fmac_f64_e32 v[70:71], v[70:71], v[96:97]
	v_mul_f64 v[96:97], v[94:95], v[70:71]
	v_fma_f64 v[68:69], -v[68:69], v[96:97], v[94:95]
	v_div_fmas_f64 v[68:69], v[68:69], v[70:71], v[96:97]
	v_div_fixup_f64 v[68:69], v[68:69], v[34:35], v[32:33]
	v_fma_f64 v[70:71], v[32:33], v[68:69], v[34:35]
	v_div_scale_f64 v[94:95], s[8:9], v[70:71], v[70:71], 1.0
	v_rcp_f64_e32 v[96:97], v[94:95]
	s_nop 0
	v_fma_f64 v[98:99], -v[94:95], v[96:97], 1.0
	v_fmac_f64_e32 v[96:97], v[96:97], v[98:99]
	v_fma_f64 v[98:99], -v[94:95], v[96:97], 1.0
	v_fmac_f64_e32 v[96:97], v[96:97], v[98:99]
	v_div_scale_f64 v[98:99], vcc, 1.0, v[70:71], 1.0
	v_mul_f64 v[100:101], v[98:99], v[96:97]
	v_fma_f64 v[94:95], -v[94:95], v[100:101], v[98:99]
	s_nop 1
	v_div_fmas_f64 v[94:95], v[94:95], v[96:97], v[100:101]
	v_div_fixup_f64 v[70:71], v[94:95], v[70:71], 1.0
	v_mul_f64 v[68:69], v[68:69], v[70:71]
	v_xor_b32_e32 v71, 0x80000000, v71
.LBB17_77:
	s_andn2_saveexec_b64 s[2:3], s[2:3]
	s_cbranch_execz .LBB17_79
; %bb.78:
	v_div_scale_f64 v[68:69], s[8:9], v[32:33], v[32:33], v[34:35]
	v_rcp_f64_e32 v[70:71], v[68:69]
	v_div_scale_f64 v[94:95], vcc, v[34:35], v[32:33], v[34:35]
	v_fma_f64 v[96:97], -v[68:69], v[70:71], 1.0
	v_fmac_f64_e32 v[70:71], v[70:71], v[96:97]
	v_fma_f64 v[96:97], -v[68:69], v[70:71], 1.0
	v_fmac_f64_e32 v[70:71], v[70:71], v[96:97]
	v_mul_f64 v[96:97], v[94:95], v[70:71]
	v_fma_f64 v[68:69], -v[68:69], v[96:97], v[94:95]
	v_div_fmas_f64 v[68:69], v[68:69], v[70:71], v[96:97]
	v_div_fixup_f64 v[70:71], v[68:69], v[32:33], v[34:35]
	v_fma_f64 v[68:69], v[34:35], v[70:71], v[32:33]
	v_div_scale_f64 v[94:95], s[8:9], v[68:69], v[68:69], 1.0
	v_rcp_f64_e32 v[96:97], v[94:95]
	s_nop 0
	v_fma_f64 v[98:99], -v[94:95], v[96:97], 1.0
	v_fmac_f64_e32 v[96:97], v[96:97], v[98:99]
	v_fma_f64 v[98:99], -v[94:95], v[96:97], 1.0
	v_fmac_f64_e32 v[96:97], v[96:97], v[98:99]
	v_div_scale_f64 v[98:99], vcc, 1.0, v[68:69], 1.0
	v_mul_f64 v[100:101], v[98:99], v[96:97]
	v_fma_f64 v[94:95], -v[94:95], v[100:101], v[98:99]
	s_nop 1
	v_div_fmas_f64 v[94:95], v[94:95], v[96:97], v[100:101]
	v_div_fixup_f64 v[68:69], v[94:95], v[68:69], 1.0
	v_mul_f64 v[70:71], v[70:71], -v[68:69]
.LBB17_79:
	s_or_b64 exec, exec, s[2:3]
	ds_write2_b64 v93, v[68:69], v[70:71] offset1:1
.LBB17_80:
	s_or_b64 exec, exec, s[4:5]
	s_waitcnt lgkmcnt(0)
	s_barrier
	ds_read2_b64 v[68:71], v93 offset1:1
	s_waitcnt lgkmcnt(0)
	s_barrier
	s_and_saveexec_b64 s[38:39], s[0:1]
	s_cbranch_execz .LBB17_83
; %bb.81:
	v_mov_b32_e32 v94, s6
	v_mov_b32_e32 v95, s7
	v_lshl_add_u64 v[86:87], v[86:87], 2, v[94:95]
	global_load_dword v93, v[86:87], off
	v_cmp_eq_f64_e32 vcc, 0, v[36:37]
	v_cmp_eq_f64_e64 s[0:1], 0, v[38:39]
	v_cmp_neq_f64_e64 s[2:3], 0, v[40:41]
	v_cmp_neq_f64_e64 s[4:5], 0, v[42:43]
	s_and_b64 s[0:1], vcc, s[0:1]
	s_or_b64 s[2:3], s[2:3], s[4:5]
	v_cndmask_b32_e64 v36, 0, 1, s[0:1]
	s_or_b64 vcc, s[2:3], s[0:1]
	v_cmp_eq_f64_e64 s[6:7], 0, v[44:45]
	v_cmp_eq_f64_e64 s[8:9], 0, v[46:47]
	v_cndmask_b32_e32 v36, 2, v36, vcc
	s_and_b64 s[4:5], s[6:7], s[8:9]
	v_cmp_eq_u32_e32 vcc, 0, v36
	s_and_b64 s[0:1], s[4:5], vcc
	v_cmp_eq_f64_e64 s[10:11], 0, v[48:49]
	v_cmp_eq_f64_e64 s[12:13], 0, v[50:51]
	v_cndmask_b32_e64 v36, v36, 3, s[0:1]
	s_and_b64 s[6:7], s[10:11], s[12:13]
	v_cmp_eq_u32_e32 vcc, 0, v36
	s_and_b64 s[0:1], s[6:7], vcc
	v_cmp_eq_f64_e64 s[14:15], 0, v[52:53]
	v_cmp_eq_f64_e64 s[16:17], 0, v[54:55]
	v_cndmask_b32_e64 v36, v36, 4, s[0:1]
	;; [unrolled: 6-line block ×6, first 2 shown]
	s_and_b64 s[16:17], s[30:31], s[34:35]
	v_cmp_eq_u32_e32 vcc, 0, v36
	s_and_b64 s[0:1], s[16:17], vcc
	v_cndmask_b32_e64 v36, v36, 9, s[0:1]
	v_cmp_ne_u32_e64 s[0:1], 0, v36
	s_waitcnt vmcnt(0)
	v_cmp_eq_u32_e32 vcc, 0, v93
	s_and_b64 s[0:1], vcc, s[0:1]
	s_and_b64 exec, exec, s[0:1]
	s_cbranch_execz .LBB17_83
; %bb.82:
	v_add_u32_e32 v36, s37, v36
	global_store_dword v[86:87], v36, off
.LBB17_83:
	s_or_b64 exec, exec, s[38:39]
	s_waitcnt vmcnt(0)
	v_mul_f64 v[36:37], v[70:71], v[34:35]
	v_mul_f64 v[38:39], v[68:69], v[34:35]
	v_fma_f64 v[36:37], v[68:69], v[32:33], -v[36:37]
	v_fmac_f64_e32 v[38:39], v[70:71], v[32:33]
	v_cmp_lt_u32_e32 vcc, 8, v92
	s_nop 1
	v_cndmask_b32_e32 v35, v35, v39, vcc
	v_cndmask_b32_e32 v34, v34, v38, vcc
	;; [unrolled: 1-line block ×4, first 2 shown]
	global_store_dwordx4 v[72:73], v[4:7], off
	global_store_dwordx4 v[74:75], v[0:3], off
	;; [unrolled: 1-line block ×9, first 2 shown]
.LBB17_84:
	s_endpgm
	.section	.rodata,"a",@progbits
	.p2align	6, 0x0
	.amdhsa_kernel _ZN9rocsolver6v33100L23getf2_npvt_small_kernelILi9E19rocblas_complex_numIdEiiPS3_EEvT1_T3_lS5_lPT2_S5_S5_
		.amdhsa_group_segment_fixed_size 0
		.amdhsa_private_segment_fixed_size 0
		.amdhsa_kernarg_size 312
		.amdhsa_user_sgpr_count 2
		.amdhsa_user_sgpr_dispatch_ptr 0
		.amdhsa_user_sgpr_queue_ptr 0
		.amdhsa_user_sgpr_kernarg_segment_ptr 1
		.amdhsa_user_sgpr_dispatch_id 0
		.amdhsa_user_sgpr_kernarg_preload_length 0
		.amdhsa_user_sgpr_kernarg_preload_offset 0
		.amdhsa_user_sgpr_private_segment_size 0
		.amdhsa_uses_dynamic_stack 0
		.amdhsa_enable_private_segment 0
		.amdhsa_system_sgpr_workgroup_id_x 1
		.amdhsa_system_sgpr_workgroup_id_y 1
		.amdhsa_system_sgpr_workgroup_id_z 0
		.amdhsa_system_sgpr_workgroup_info 0
		.amdhsa_system_vgpr_workitem_id 1
		.amdhsa_next_free_vgpr 102
		.amdhsa_next_free_sgpr 40
		.amdhsa_accum_offset 104
		.amdhsa_reserve_vcc 1
		.amdhsa_float_round_mode_32 0
		.amdhsa_float_round_mode_16_64 0
		.amdhsa_float_denorm_mode_32 3
		.amdhsa_float_denorm_mode_16_64 3
		.amdhsa_dx10_clamp 1
		.amdhsa_ieee_mode 1
		.amdhsa_fp16_overflow 0
		.amdhsa_tg_split 0
		.amdhsa_exception_fp_ieee_invalid_op 0
		.amdhsa_exception_fp_denorm_src 0
		.amdhsa_exception_fp_ieee_div_zero 0
		.amdhsa_exception_fp_ieee_overflow 0
		.amdhsa_exception_fp_ieee_underflow 0
		.amdhsa_exception_fp_ieee_inexact 0
		.amdhsa_exception_int_div_zero 0
	.end_amdhsa_kernel
	.section	.text._ZN9rocsolver6v33100L23getf2_npvt_small_kernelILi9E19rocblas_complex_numIdEiiPS3_EEvT1_T3_lS5_lPT2_S5_S5_,"axG",@progbits,_ZN9rocsolver6v33100L23getf2_npvt_small_kernelILi9E19rocblas_complex_numIdEiiPS3_EEvT1_T3_lS5_lPT2_S5_S5_,comdat
.Lfunc_end17:
	.size	_ZN9rocsolver6v33100L23getf2_npvt_small_kernelILi9E19rocblas_complex_numIdEiiPS3_EEvT1_T3_lS5_lPT2_S5_S5_, .Lfunc_end17-_ZN9rocsolver6v33100L23getf2_npvt_small_kernelILi9E19rocblas_complex_numIdEiiPS3_EEvT1_T3_lS5_lPT2_S5_S5_
                                        ; -- End function
	.set _ZN9rocsolver6v33100L23getf2_npvt_small_kernelILi9E19rocblas_complex_numIdEiiPS3_EEvT1_T3_lS5_lPT2_S5_S5_.num_vgpr, 102
	.set _ZN9rocsolver6v33100L23getf2_npvt_small_kernelILi9E19rocblas_complex_numIdEiiPS3_EEvT1_T3_lS5_lPT2_S5_S5_.num_agpr, 0
	.set _ZN9rocsolver6v33100L23getf2_npvt_small_kernelILi9E19rocblas_complex_numIdEiiPS3_EEvT1_T3_lS5_lPT2_S5_S5_.numbered_sgpr, 40
	.set _ZN9rocsolver6v33100L23getf2_npvt_small_kernelILi9E19rocblas_complex_numIdEiiPS3_EEvT1_T3_lS5_lPT2_S5_S5_.num_named_barrier, 0
	.set _ZN9rocsolver6v33100L23getf2_npvt_small_kernelILi9E19rocblas_complex_numIdEiiPS3_EEvT1_T3_lS5_lPT2_S5_S5_.private_seg_size, 0
	.set _ZN9rocsolver6v33100L23getf2_npvt_small_kernelILi9E19rocblas_complex_numIdEiiPS3_EEvT1_T3_lS5_lPT2_S5_S5_.uses_vcc, 1
	.set _ZN9rocsolver6v33100L23getf2_npvt_small_kernelILi9E19rocblas_complex_numIdEiiPS3_EEvT1_T3_lS5_lPT2_S5_S5_.uses_flat_scratch, 0
	.set _ZN9rocsolver6v33100L23getf2_npvt_small_kernelILi9E19rocblas_complex_numIdEiiPS3_EEvT1_T3_lS5_lPT2_S5_S5_.has_dyn_sized_stack, 0
	.set _ZN9rocsolver6v33100L23getf2_npvt_small_kernelILi9E19rocblas_complex_numIdEiiPS3_EEvT1_T3_lS5_lPT2_S5_S5_.has_recursion, 0
	.set _ZN9rocsolver6v33100L23getf2_npvt_small_kernelILi9E19rocblas_complex_numIdEiiPS3_EEvT1_T3_lS5_lPT2_S5_S5_.has_indirect_call, 0
	.section	.AMDGPU.csdata,"",@progbits
; Kernel info:
; codeLenInByte = 8236
; TotalNumSgprs: 46
; NumVgprs: 102
; NumAgprs: 0
; TotalNumVgprs: 102
; ScratchSize: 0
; MemoryBound: 0
; FloatMode: 240
; IeeeMode: 1
; LDSByteSize: 0 bytes/workgroup (compile time only)
; SGPRBlocks: 5
; VGPRBlocks: 12
; NumSGPRsForWavesPerEU: 46
; NumVGPRsForWavesPerEU: 102
; AccumOffset: 104
; Occupancy: 4
; WaveLimiterHint : 0
; COMPUTE_PGM_RSRC2:SCRATCH_EN: 0
; COMPUTE_PGM_RSRC2:USER_SGPR: 2
; COMPUTE_PGM_RSRC2:TRAP_HANDLER: 0
; COMPUTE_PGM_RSRC2:TGID_X_EN: 1
; COMPUTE_PGM_RSRC2:TGID_Y_EN: 1
; COMPUTE_PGM_RSRC2:TGID_Z_EN: 0
; COMPUTE_PGM_RSRC2:TIDIG_COMP_CNT: 1
; COMPUTE_PGM_RSRC3_GFX90A:ACCUM_OFFSET: 25
; COMPUTE_PGM_RSRC3_GFX90A:TG_SPLIT: 0
	.section	.text._ZN9rocsolver6v33100L18getf2_small_kernelILi10E19rocblas_complex_numIdEiiPS3_EEvT1_T3_lS5_lPS5_llPT2_S5_S5_S7_l,"axG",@progbits,_ZN9rocsolver6v33100L18getf2_small_kernelILi10E19rocblas_complex_numIdEiiPS3_EEvT1_T3_lS5_lPS5_llPT2_S5_S5_S7_l,comdat
	.globl	_ZN9rocsolver6v33100L18getf2_small_kernelILi10E19rocblas_complex_numIdEiiPS3_EEvT1_T3_lS5_lPS5_llPT2_S5_S5_S7_l ; -- Begin function _ZN9rocsolver6v33100L18getf2_small_kernelILi10E19rocblas_complex_numIdEiiPS3_EEvT1_T3_lS5_lPS5_llPT2_S5_S5_S7_l
	.p2align	8
	.type	_ZN9rocsolver6v33100L18getf2_small_kernelILi10E19rocblas_complex_numIdEiiPS3_EEvT1_T3_lS5_lPS5_llPT2_S5_S5_S7_l,@function
_ZN9rocsolver6v33100L18getf2_small_kernelILi10E19rocblas_complex_numIdEiiPS3_EEvT1_T3_lS5_lPS5_llPT2_S5_S5_S7_l: ; @_ZN9rocsolver6v33100L18getf2_small_kernelILi10E19rocblas_complex_numIdEiiPS3_EEvT1_T3_lS5_lPS5_llPT2_S5_S5_S7_l
; %bb.0:
	s_load_dword s2, s[0:1], 0x6c
	s_load_dwordx2 s[12:13], s[0:1], 0x48
	v_bfe_u32 v40, v0, 10, 10
	s_waitcnt lgkmcnt(0)
	s_lshr_b32 s2, s2, 16
	s_mul_i32 s3, s3, s2
	v_add_u32_e32 v46, s3, v40
	v_cmp_gt_i32_e32 vcc, s12, v46
	s_and_saveexec_b64 s[2:3], vcc
	s_cbranch_execz .LBB18_211
; %bb.1:
	s_load_dwordx4 s[4:7], s[0:1], 0x50
	v_ashrrev_i32_e32 v47, 31, v46
	v_mov_b64_e32 v[48:49], 0
	s_waitcnt lgkmcnt(0)
	s_cmp_eq_u64 s[4:5], 0
	s_cselect_b64 s[14:15], -1, 0
	s_and_b64 vcc, exec, s[14:15]
	s_cbranch_vccnz .LBB18_3
; %bb.2:
	v_mul_lo_u32 v1, s7, v46
	v_mul_lo_u32 v4, s6, v47
	v_mad_u64_u32 v[2:3], s[2:3], s6, v46, 0
	v_add3_u32 v3, v3, v4, v1
	v_lshl_add_u64 v[48:49], v[2:3], 2, s[4:5]
.LBB18_3:
	s_load_dwordx4 s[16:19], s[0:1], 0x8
	s_load_dwordx8 s[4:11], s[0:1], 0x20
	s_load_dword s2, s[0:1], 0x18
	v_and_b32_e32 v54, 0x3ff, v0
	v_lshlrev_b32_e32 v50, 4, v54
	s_waitcnt lgkmcnt(0)
	v_mov_b32_e32 v2, s16
	v_mul_lo_u32 v1, s5, v46
	v_mul_lo_u32 v6, s4, v47
	v_mad_u64_u32 v[4:5], s[4:5], s4, v46, 0
	v_mov_b32_e32 v3, s17
	v_add3_u32 v5, v5, v6, v1
	v_lshl_add_u64 v[2:3], v[4:5], 4, v[2:3]
	v_lshl_add_u64 v[44:45], s[18:19], 4, v[2:3]
	v_mov_b32_e32 v51, 0
	v_lshl_add_u64 v[0:1], v[44:45], 0, v[50:51]
	s_ashr_i32 s3, s2, 31
	s_add_i32 s12, s2, s2
	v_lshl_add_u64 v[2:3], s[2:3], 4, v[0:1]
	global_load_dwordx4 v[28:31], v[0:1], off
	global_load_dwordx4 v[24:27], v[2:3], off
	v_add_u32_e32 v0, s12, v54
	v_ashrrev_i32_e32 v1, 31, v0
	v_lshl_add_u64 v[2:3], v[0:1], 4, v[44:45]
	v_add_u32_e32 v0, s2, v0
	v_ashrrev_i32_e32 v1, 31, v0
	v_lshl_add_u64 v[4:5], v[0:1], 4, v[44:45]
	v_add_u32_e32 v0, s2, v0
	v_ashrrev_i32_e32 v1, 31, v0
	global_load_dwordx4 v[32:35], v[2:3], off
	global_load_dwordx4 v[16:19], v[4:5], off
	v_lshl_add_u64 v[2:3], v[0:1], 4, v[44:45]
	v_add_u32_e32 v0, s2, v0
	v_ashrrev_i32_e32 v1, 31, v0
	v_lshl_add_u64 v[4:5], v[0:1], 4, v[44:45]
	v_add_u32_e32 v0, s2, v0
	v_ashrrev_i32_e32 v1, 31, v0
	v_add_u32_e32 v6, s2, v0
	global_load_dwordx4 v[20:23], v[2:3], off
	global_load_dwordx4 v[8:11], v[4:5], off
	v_lshl_add_u64 v[4:5], v[0:1], 4, v[44:45]
	v_ashrrev_i32_e32 v7, 31, v6
	v_lshl_add_u64 v[36:37], v[6:7], 4, v[44:45]
	global_load_dwordx4 v[12:15], v[4:5], off
	global_load_dwordx4 v[0:3], v[36:37], off
	v_add_u32_e32 v4, s2, v6
	v_ashrrev_i32_e32 v5, 31, v4
	v_lshl_add_u64 v[42:43], v[4:5], 4, v[44:45]
	v_add_u32_e32 v4, s2, v4
	v_ashrrev_i32_e32 v5, 31, v4
	v_lshl_add_u64 v[52:53], v[4:5], 4, v[44:45]
	global_load_dwordx4 v[4:7], v[42:43], off
	global_load_dwordx4 v[36:39], v[52:53], off
	s_load_dword s20, s[0:1], 0x0
	s_load_dwordx2 s[4:5], s[0:1], 0x40
	s_waitcnt lgkmcnt(0)
	s_max_i32 s0, s20, 10
	v_mul_lo_u32 v53, s0, v40
	v_lshl_add_u32 v52, v53, 4, 0
	v_add_u32_e32 v40, v52, v50
	s_cmp_lt_i32 s20, 2
	v_lshlrev_b32_e32 v53, 4, v53
	s_waitcnt vmcnt(9)
	ds_write2_b64 v40, v[28:29], v[30:31] offset1:1
	s_waitcnt lgkmcnt(0)
	s_barrier
	ds_read2_b64 v[40:43], v52 offset1:1
	s_cbranch_scc1 .LBB18_6
; %bb.4:
	v_add3_u32 v50, v53, 0, 16
	s_mov_b32 s16, 1
	v_mov_b32_e32 v51, 0
.LBB18_5:                               ; =>This Inner Loop Header: Depth=1
	ds_read2_b64 v[56:59], v50 offset1:1
	s_waitcnt lgkmcnt(1)
	v_xor_b32_e32 v55, 0x80000000, v41
	v_xor_b32_e32 v63, 0x80000000, v43
	v_cmp_gt_f64_e32 vcc, 0, v[42:43]
	v_cmp_gt_f64_e64 s[0:1], 0, v[40:41]
	v_mov_b32_e32 v60, v40
	v_mov_b32_e32 v62, v42
	v_cndmask_b32_e64 v61, v41, v55, s[0:1]
	v_cndmask_b32_e32 v63, v43, v63, vcc
	s_waitcnt lgkmcnt(0)
	v_xor_b32_e32 v55, 0x80000000, v57
	v_xor_b32_e32 v65, 0x80000000, v59
	v_cmp_gt_f64_e32 vcc, 0, v[58:59]
	v_cmp_gt_f64_e64 s[0:1], 0, v[56:57]
	v_add_f64 v[60:61], v[60:61], v[62:63]
	v_mov_b32_e32 v62, v56
	v_mov_b32_e32 v64, v58
	v_cndmask_b32_e64 v63, v57, v55, s[0:1]
	v_cndmask_b32_e32 v65, v59, v65, vcc
	v_add_f64 v[62:63], v[62:63], v[64:65]
	v_mov_b32_e32 v66, s16
	s_add_i32 s16, s16, 1
	v_cmp_lt_f64_e32 vcc, v[60:61], v[62:63]
	v_add_u32_e32 v50, 16, v50
	s_cmp_eq_u32 s20, s16
	v_cndmask_b32_e32 v41, v41, v57, vcc
	v_cndmask_b32_e32 v40, v40, v56, vcc
	;; [unrolled: 1-line block ×5, first 2 shown]
	s_cbranch_scc0 .LBB18_5
.LBB18_6:
	s_waitcnt lgkmcnt(0)
	v_cmp_neq_f64_e32 vcc, 0, v[40:41]
	v_cmp_neq_f64_e64 s[0:1], 0, v[42:43]
	s_or_b64 s[16:17], vcc, s[0:1]
	v_mov_b32_e32 v55, 1
	v_mov_b32_e32 v56, 1
	s_and_saveexec_b64 s[0:1], s[16:17]
	s_cbranch_execz .LBB18_12
; %bb.7:
	v_cmp_ngt_f64_e64 s[16:17], |v[40:41]|, |v[42:43]|
	s_and_saveexec_b64 s[18:19], s[16:17]
	s_xor_b64 s[16:17], exec, s[18:19]
	s_cbranch_execz .LBB18_9
; %bb.8:
	v_div_scale_f64 v[56:57], s[18:19], v[42:43], v[42:43], v[40:41]
	v_rcp_f64_e32 v[58:59], v[56:57]
	v_div_scale_f64 v[60:61], vcc, v[40:41], v[42:43], v[40:41]
	v_fma_f64 v[62:63], -v[56:57], v[58:59], 1.0
	v_fmac_f64_e32 v[58:59], v[58:59], v[62:63]
	v_fma_f64 v[62:63], -v[56:57], v[58:59], 1.0
	v_fmac_f64_e32 v[58:59], v[58:59], v[62:63]
	v_mul_f64 v[62:63], v[60:61], v[58:59]
	v_fma_f64 v[56:57], -v[56:57], v[62:63], v[60:61]
	v_div_fmas_f64 v[56:57], v[56:57], v[58:59], v[62:63]
	v_div_fixup_f64 v[56:57], v[56:57], v[42:43], v[40:41]
	v_fmac_f64_e32 v[42:43], v[40:41], v[56:57]
	v_div_scale_f64 v[40:41], s[18:19], v[42:43], v[42:43], 1.0
	v_rcp_f64_e32 v[58:59], v[40:41]
	s_nop 0
	v_fma_f64 v[60:61], -v[40:41], v[58:59], 1.0
	v_fmac_f64_e32 v[58:59], v[58:59], v[60:61]
	v_fma_f64 v[60:61], -v[40:41], v[58:59], 1.0
	v_fmac_f64_e32 v[58:59], v[58:59], v[60:61]
	v_div_scale_f64 v[60:61], vcc, 1.0, v[42:43], 1.0
	v_mul_f64 v[62:63], v[60:61], v[58:59]
	v_fma_f64 v[40:41], -v[40:41], v[62:63], v[60:61]
	s_nop 1
	v_div_fmas_f64 v[40:41], v[40:41], v[58:59], v[62:63]
	v_div_fixup_f64 v[42:43], v[40:41], v[42:43], 1.0
	v_mul_f64 v[40:41], v[56:57], v[42:43]
	v_xor_b32_e32 v43, 0x80000000, v43
.LBB18_9:
	s_andn2_saveexec_b64 s[16:17], s[16:17]
	s_cbranch_execz .LBB18_11
; %bb.10:
	v_div_scale_f64 v[56:57], s[18:19], v[40:41], v[40:41], v[42:43]
	v_rcp_f64_e32 v[58:59], v[56:57]
	v_div_scale_f64 v[60:61], vcc, v[42:43], v[40:41], v[42:43]
	v_fma_f64 v[62:63], -v[56:57], v[58:59], 1.0
	v_fmac_f64_e32 v[58:59], v[58:59], v[62:63]
	v_fma_f64 v[62:63], -v[56:57], v[58:59], 1.0
	v_fmac_f64_e32 v[58:59], v[58:59], v[62:63]
	v_mul_f64 v[62:63], v[60:61], v[58:59]
	v_fma_f64 v[56:57], -v[56:57], v[62:63], v[60:61]
	v_div_fmas_f64 v[56:57], v[56:57], v[58:59], v[62:63]
	v_div_fixup_f64 v[56:57], v[56:57], v[40:41], v[42:43]
	v_fmac_f64_e32 v[40:41], v[42:43], v[56:57]
	v_div_scale_f64 v[42:43], s[18:19], v[40:41], v[40:41], 1.0
	v_rcp_f64_e32 v[58:59], v[42:43]
	s_nop 0
	v_fma_f64 v[60:61], -v[42:43], v[58:59], 1.0
	v_fmac_f64_e32 v[58:59], v[58:59], v[60:61]
	v_fma_f64 v[60:61], -v[42:43], v[58:59], 1.0
	v_fmac_f64_e32 v[58:59], v[58:59], v[60:61]
	v_div_scale_f64 v[60:61], vcc, 1.0, v[40:41], 1.0
	v_mul_f64 v[62:63], v[60:61], v[58:59]
	v_fma_f64 v[42:43], -v[42:43], v[62:63], v[60:61]
	s_nop 1
	v_div_fmas_f64 v[42:43], v[42:43], v[58:59], v[62:63]
	v_div_fixup_f64 v[40:41], v[42:43], v[40:41], 1.0
	v_mul_f64 v[42:43], v[56:57], -v[40:41]
.LBB18_11:
	s_or_b64 exec, exec, s[16:17]
	v_mov_b32_e32 v56, 0
	v_mov_b32_e32 v55, 2
.LBB18_12:
	s_or_b64 exec, exec, s[0:1]
	v_cmp_ne_u32_e32 vcc, v54, v51
	s_and_saveexec_b64 s[0:1], vcc
	s_xor_b64 s[0:1], exec, s[0:1]
	s_cbranch_execz .LBB18_18
; %bb.13:
	v_cmp_eq_u32_e32 vcc, 0, v54
	s_and_saveexec_b64 s[16:17], vcc
	s_cbranch_execz .LBB18_17
; %bb.14:
	v_cmp_ne_u32_e32 vcc, 0, v51
	s_xor_b64 s[18:19], s[14:15], -1
	s_and_b64 s[22:23], s[18:19], vcc
	s_and_saveexec_b64 s[18:19], s[22:23]
	s_cbranch_execz .LBB18_16
; %bb.15:
	v_ashrrev_i32_e32 v59, 31, v51
	v_mov_b32_e32 v58, v51
	v_lshl_add_u64 v[58:59], v[58:59], 2, v[48:49]
	global_load_dword v50, v[58:59], off
	global_load_dword v54, v[48:49], off
	s_waitcnt vmcnt(1)
	global_store_dword v[48:49], v50, off
	s_waitcnt vmcnt(1)
	global_store_dword v[58:59], v54, off
.LBB18_16:
	s_or_b64 exec, exec, s[18:19]
	v_mov_b32_e32 v54, v51
.LBB18_17:
	s_or_b64 exec, exec, s[16:17]
.LBB18_18:
	s_or_saveexec_b64 s[0:1], s[0:1]
	v_mov_b32_e32 v51, v54
	s_xor_b64 exec, exec, s[0:1]
	s_cbranch_execz .LBB18_20
; %bb.19:
	v_mov_b32_e32 v51, 0
	s_waitcnt vmcnt(8)
	ds_write2_b64 v52, v[24:25], v[26:27] offset0:2 offset1:3
	s_waitcnt vmcnt(7)
	ds_write2_b64 v52, v[32:33], v[34:35] offset0:4 offset1:5
	;; [unrolled: 2-line block ×9, first 2 shown]
.LBB18_20:
	s_or_b64 exec, exec, s[0:1]
	v_cmp_lt_i32_e32 vcc, 0, v51
	s_waitcnt lgkmcnt(0)
	s_barrier
	s_and_saveexec_b64 s[0:1], vcc
	s_cbranch_execz .LBB18_22
; %bb.21:
	ds_read2_b64 v[58:61], v52 offset0:2 offset1:3
	v_mul_f64 v[62:63], v[40:41], v[30:31]
	v_fmac_f64_e32 v[62:63], v[42:43], v[28:29]
	v_mul_f64 v[30:31], v[42:43], v[30:31]
	v_fma_f64 v[28:29], v[40:41], v[28:29], -v[30:31]
	ds_read2_b64 v[40:43], v52 offset0:4 offset1:5
	s_waitcnt lgkmcnt(1)
	v_mul_f64 v[30:31], v[60:61], v[62:63]
	v_fma_f64 v[30:31], v[58:59], v[28:29], -v[30:31]
	v_mul_f64 v[58:59], v[58:59], v[62:63]
	v_fmac_f64_e32 v[58:59], v[60:61], v[28:29]
	s_waitcnt vmcnt(8)
	v_add_f64 v[26:27], v[26:27], -v[58:59]
	ds_read2_b64 v[58:61], v52 offset0:6 offset1:7
	v_add_f64 v[24:25], v[24:25], -v[30:31]
	s_waitcnt lgkmcnt(1)
	v_mul_f64 v[30:31], v[42:43], v[62:63]
	v_fma_f64 v[30:31], v[40:41], v[28:29], -v[30:31]
	v_mul_f64 v[40:41], v[40:41], v[62:63]
	v_fmac_f64_e32 v[40:41], v[42:43], v[28:29]
	s_waitcnt vmcnt(7)
	v_add_f64 v[32:33], v[32:33], -v[30:31]
	v_add_f64 v[34:35], v[34:35], -v[40:41]
	ds_read2_b64 v[40:43], v52 offset0:8 offset1:9
	s_waitcnt lgkmcnt(1)
	v_mul_f64 v[30:31], v[60:61], v[62:63]
	v_fma_f64 v[30:31], v[58:59], v[28:29], -v[30:31]
	v_mul_f64 v[58:59], v[58:59], v[62:63]
	v_fmac_f64_e32 v[58:59], v[60:61], v[28:29]
	s_waitcnt vmcnt(6)
	v_add_f64 v[18:19], v[18:19], -v[58:59]
	ds_read2_b64 v[58:61], v52 offset0:10 offset1:11
	v_add_f64 v[16:17], v[16:17], -v[30:31]
	s_waitcnt lgkmcnt(1)
	v_mul_f64 v[30:31], v[42:43], v[62:63]
	v_fma_f64 v[30:31], v[40:41], v[28:29], -v[30:31]
	v_mul_f64 v[40:41], v[40:41], v[62:63]
	v_fmac_f64_e32 v[40:41], v[42:43], v[28:29]
	s_waitcnt vmcnt(5)
	v_add_f64 v[20:21], v[20:21], -v[30:31]
	v_add_f64 v[22:23], v[22:23], -v[40:41]
	;; [unrolled: 18-line block ×4, first 2 shown]
	s_waitcnt lgkmcnt(0)
	v_mul_f64 v[30:31], v[60:61], v[62:63]
	v_mul_f64 v[40:41], v[58:59], v[62:63]
	v_fma_f64 v[30:31], v[58:59], v[28:29], -v[30:31]
	v_fmac_f64_e32 v[40:41], v[60:61], v[28:29]
	s_waitcnt vmcnt(0)
	v_add_f64 v[36:37], v[36:37], -v[30:31]
	v_add_f64 v[38:39], v[38:39], -v[40:41]
	v_mov_b64_e32 v[30:31], v[62:63]
.LBB18_22:
	s_or_b64 exec, exec, s[0:1]
	v_lshl_add_u32 v40, v51, 4, v52
	s_barrier
	s_waitcnt vmcnt(8)
	ds_write2_b64 v40, v[24:25], v[26:27] offset1:1
	s_waitcnt lgkmcnt(0)
	s_barrier
	ds_read2_b64 v[40:43], v52 offset0:2 offset1:3
	s_cmp_lt_i32 s20, 3
	v_mov_b32_e32 v50, 1
	s_cbranch_scc1 .LBB18_25
; %bb.23:
	v_add3_u32 v57, v53, 0, 32
	s_mov_b32 s16, 2
	v_mov_b32_e32 v50, 1
.LBB18_24:                              ; =>This Inner Loop Header: Depth=1
	ds_read2_b64 v[58:61], v57 offset1:1
	s_waitcnt lgkmcnt(1)
	v_xor_b32_e32 v63, 0x80000000, v41
	v_xor_b32_e32 v65, 0x80000000, v43
	v_cmp_gt_f64_e32 vcc, 0, v[42:43]
	v_cmp_gt_f64_e64 s[0:1], 0, v[40:41]
	v_mov_b32_e32 v62, v40
	v_mov_b32_e32 v64, v42
	v_cndmask_b32_e64 v63, v41, v63, s[0:1]
	v_cndmask_b32_e32 v65, v43, v65, vcc
	v_add_f64 v[62:63], v[62:63], v[64:65]
	s_waitcnt lgkmcnt(0)
	v_xor_b32_e32 v65, 0x80000000, v59
	v_xor_b32_e32 v67, 0x80000000, v61
	v_cmp_gt_f64_e32 vcc, 0, v[60:61]
	v_cmp_gt_f64_e64 s[0:1], 0, v[58:59]
	v_mov_b32_e32 v64, v58
	v_mov_b32_e32 v66, v60
	v_cndmask_b32_e64 v65, v59, v65, s[0:1]
	v_cndmask_b32_e32 v67, v61, v67, vcc
	v_add_f64 v[64:65], v[64:65], v[66:67]
	v_mov_b32_e32 v68, s16
	s_add_i32 s16, s16, 1
	v_cmp_lt_f64_e32 vcc, v[62:63], v[64:65]
	v_add_u32_e32 v57, 16, v57
	s_cmp_lg_u32 s20, s16
	v_cndmask_b32_e32 v41, v41, v59, vcc
	v_cndmask_b32_e32 v40, v40, v58, vcc
	;; [unrolled: 1-line block ×5, first 2 shown]
	s_cbranch_scc1 .LBB18_24
.LBB18_25:
	s_waitcnt lgkmcnt(0)
	v_cmp_neq_f64_e32 vcc, 0, v[40:41]
	v_cmp_neq_f64_e64 s[0:1], 0, v[42:43]
	s_or_b64 s[16:17], vcc, s[0:1]
	s_and_saveexec_b64 s[0:1], s[16:17]
	s_cbranch_execz .LBB18_31
; %bb.26:
	v_cmp_ngt_f64_e64 s[16:17], |v[40:41]|, |v[42:43]|
	s_and_saveexec_b64 s[18:19], s[16:17]
	s_xor_b64 s[16:17], exec, s[18:19]
	s_cbranch_execz .LBB18_28
; %bb.27:
	v_div_scale_f64 v[58:59], s[18:19], v[42:43], v[42:43], v[40:41]
	v_rcp_f64_e32 v[60:61], v[58:59]
	v_div_scale_f64 v[62:63], vcc, v[40:41], v[42:43], v[40:41]
	v_fma_f64 v[64:65], -v[58:59], v[60:61], 1.0
	v_fmac_f64_e32 v[60:61], v[60:61], v[64:65]
	v_fma_f64 v[64:65], -v[58:59], v[60:61], 1.0
	v_fmac_f64_e32 v[60:61], v[60:61], v[64:65]
	v_mul_f64 v[64:65], v[62:63], v[60:61]
	v_fma_f64 v[58:59], -v[58:59], v[64:65], v[62:63]
	v_div_fmas_f64 v[58:59], v[58:59], v[60:61], v[64:65]
	v_div_fixup_f64 v[58:59], v[58:59], v[42:43], v[40:41]
	v_fmac_f64_e32 v[42:43], v[40:41], v[58:59]
	v_div_scale_f64 v[40:41], s[18:19], v[42:43], v[42:43], 1.0
	v_rcp_f64_e32 v[60:61], v[40:41]
	s_nop 0
	v_fma_f64 v[62:63], -v[40:41], v[60:61], 1.0
	v_fmac_f64_e32 v[60:61], v[60:61], v[62:63]
	v_fma_f64 v[62:63], -v[40:41], v[60:61], 1.0
	v_fmac_f64_e32 v[60:61], v[60:61], v[62:63]
	v_div_scale_f64 v[62:63], vcc, 1.0, v[42:43], 1.0
	v_mul_f64 v[64:65], v[62:63], v[60:61]
	v_fma_f64 v[40:41], -v[40:41], v[64:65], v[62:63]
	s_nop 1
	v_div_fmas_f64 v[40:41], v[40:41], v[60:61], v[64:65]
	v_div_fixup_f64 v[42:43], v[40:41], v[42:43], 1.0
	v_mul_f64 v[40:41], v[58:59], v[42:43]
	v_xor_b32_e32 v43, 0x80000000, v43
.LBB18_28:
	s_andn2_saveexec_b64 s[16:17], s[16:17]
	s_cbranch_execz .LBB18_30
; %bb.29:
	v_div_scale_f64 v[58:59], s[18:19], v[40:41], v[40:41], v[42:43]
	v_rcp_f64_e32 v[60:61], v[58:59]
	v_div_scale_f64 v[62:63], vcc, v[42:43], v[40:41], v[42:43]
	v_fma_f64 v[64:65], -v[58:59], v[60:61], 1.0
	v_fmac_f64_e32 v[60:61], v[60:61], v[64:65]
	v_fma_f64 v[64:65], -v[58:59], v[60:61], 1.0
	v_fmac_f64_e32 v[60:61], v[60:61], v[64:65]
	v_mul_f64 v[64:65], v[62:63], v[60:61]
	v_fma_f64 v[58:59], -v[58:59], v[64:65], v[62:63]
	v_div_fmas_f64 v[58:59], v[58:59], v[60:61], v[64:65]
	v_div_fixup_f64 v[58:59], v[58:59], v[40:41], v[42:43]
	v_fmac_f64_e32 v[40:41], v[42:43], v[58:59]
	v_div_scale_f64 v[42:43], s[18:19], v[40:41], v[40:41], 1.0
	v_rcp_f64_e32 v[60:61], v[42:43]
	s_nop 0
	v_fma_f64 v[62:63], -v[42:43], v[60:61], 1.0
	v_fmac_f64_e32 v[60:61], v[60:61], v[62:63]
	v_fma_f64 v[62:63], -v[42:43], v[60:61], 1.0
	v_fmac_f64_e32 v[60:61], v[60:61], v[62:63]
	v_div_scale_f64 v[62:63], vcc, 1.0, v[40:41], 1.0
	v_mul_f64 v[64:65], v[62:63], v[60:61]
	v_fma_f64 v[42:43], -v[42:43], v[64:65], v[62:63]
	s_nop 1
	v_div_fmas_f64 v[42:43], v[42:43], v[60:61], v[64:65]
	v_div_fixup_f64 v[40:41], v[42:43], v[40:41], 1.0
	v_mul_f64 v[42:43], v[58:59], -v[40:41]
.LBB18_30:
	s_or_b64 exec, exec, s[16:17]
	v_mov_b32_e32 v55, v56
.LBB18_31:
	s_or_b64 exec, exec, s[0:1]
	v_cmp_ne_u32_e32 vcc, v51, v50
	s_and_saveexec_b64 s[0:1], vcc
	s_xor_b64 s[0:1], exec, s[0:1]
	s_cbranch_execz .LBB18_37
; %bb.32:
	v_cmp_eq_u32_e32 vcc, 1, v51
	s_and_saveexec_b64 s[16:17], vcc
	s_cbranch_execz .LBB18_36
; %bb.33:
	v_cmp_ne_u32_e32 vcc, 1, v50
	s_xor_b64 s[18:19], s[14:15], -1
	s_and_b64 s[22:23], s[18:19], vcc
	s_and_saveexec_b64 s[18:19], s[22:23]
	s_cbranch_execz .LBB18_35
; %bb.34:
	v_ashrrev_i32_e32 v51, 31, v50
	v_lshl_add_u64 v[56:57], v[50:51], 2, v[48:49]
	global_load_dword v51, v[56:57], off
	global_load_dword v54, v[48:49], off offset:4
	s_waitcnt vmcnt(1)
	global_store_dword v[48:49], v51, off offset:4
	s_waitcnt vmcnt(1)
	global_store_dword v[56:57], v54, off
.LBB18_35:
	s_or_b64 exec, exec, s[18:19]
	v_mov_b32_e32 v51, v50
	v_mov_b32_e32 v54, v50
.LBB18_36:
	s_or_b64 exec, exec, s[16:17]
.LBB18_37:
	s_andn2_saveexec_b64 s[0:1], s[0:1]
	s_cbranch_execz .LBB18_39
; %bb.38:
	v_mov_b32_e32 v51, 1
	s_waitcnt vmcnt(7)
	ds_write2_b64 v52, v[32:33], v[34:35] offset0:4 offset1:5
	s_waitcnt vmcnt(6)
	ds_write2_b64 v52, v[16:17], v[18:19] offset0:6 offset1:7
	;; [unrolled: 2-line block ×8, first 2 shown]
.LBB18_39:
	s_or_b64 exec, exec, s[0:1]
	v_cmp_lt_i32_e32 vcc, 1, v51
	s_waitcnt lgkmcnt(0)
	s_barrier
	s_and_saveexec_b64 s[0:1], vcc
	s_cbranch_execz .LBB18_41
; %bb.40:
	ds_read2_b64 v[56:59], v52 offset0:4 offset1:5
	v_mul_f64 v[60:61], v[40:41], v[26:27]
	v_mul_f64 v[26:27], v[42:43], v[26:27]
	v_fmac_f64_e32 v[60:61], v[42:43], v[24:25]
	v_fma_f64 v[24:25], v[40:41], v[24:25], -v[26:27]
	ds_read2_b64 v[40:43], v52 offset0:6 offset1:7
	s_waitcnt lgkmcnt(1)
	v_mul_f64 v[26:27], v[58:59], v[60:61]
	v_fma_f64 v[26:27], v[56:57], v[24:25], -v[26:27]
	v_mul_f64 v[56:57], v[56:57], v[60:61]
	v_fmac_f64_e32 v[56:57], v[58:59], v[24:25]
	s_waitcnt vmcnt(7)
	v_add_f64 v[32:33], v[32:33], -v[26:27]
	s_waitcnt lgkmcnt(0)
	v_mul_f64 v[26:27], v[42:43], v[60:61]
	v_add_f64 v[34:35], v[34:35], -v[56:57]
	v_fma_f64 v[26:27], v[40:41], v[24:25], -v[26:27]
	v_mul_f64 v[40:41], v[40:41], v[60:61]
	ds_read2_b64 v[56:59], v52 offset0:8 offset1:9
	v_fmac_f64_e32 v[40:41], v[42:43], v[24:25]
	s_waitcnt vmcnt(6)
	v_add_f64 v[18:19], v[18:19], -v[40:41]
	ds_read2_b64 v[40:43], v52 offset0:10 offset1:11
	v_add_f64 v[16:17], v[16:17], -v[26:27]
	s_waitcnt lgkmcnt(1)
	v_mul_f64 v[26:27], v[58:59], v[60:61]
	v_fma_f64 v[26:27], v[56:57], v[24:25], -v[26:27]
	v_mul_f64 v[56:57], v[56:57], v[60:61]
	v_fmac_f64_e32 v[56:57], v[58:59], v[24:25]
	s_waitcnt vmcnt(5)
	v_add_f64 v[20:21], v[20:21], -v[26:27]
	s_waitcnt lgkmcnt(0)
	v_mul_f64 v[26:27], v[42:43], v[60:61]
	v_add_f64 v[22:23], v[22:23], -v[56:57]
	v_fma_f64 v[26:27], v[40:41], v[24:25], -v[26:27]
	v_mul_f64 v[40:41], v[40:41], v[60:61]
	ds_read2_b64 v[56:59], v52 offset0:12 offset1:13
	v_fmac_f64_e32 v[40:41], v[42:43], v[24:25]
	s_waitcnt vmcnt(4)
	v_add_f64 v[10:11], v[10:11], -v[40:41]
	ds_read2_b64 v[40:43], v52 offset0:14 offset1:15
	v_add_f64 v[8:9], v[8:9], -v[26:27]
	;; [unrolled: 18-line block ×3, first 2 shown]
	s_waitcnt lgkmcnt(1)
	v_mul_f64 v[26:27], v[58:59], v[60:61]
	v_fma_f64 v[26:27], v[56:57], v[24:25], -v[26:27]
	s_waitcnt vmcnt(1)
	v_add_f64 v[4:5], v[4:5], -v[26:27]
	s_waitcnt lgkmcnt(0)
	v_mul_f64 v[26:27], v[42:43], v[60:61]
	v_mul_f64 v[56:57], v[56:57], v[60:61]
	v_fma_f64 v[26:27], v[40:41], v[24:25], -v[26:27]
	v_mul_f64 v[40:41], v[40:41], v[60:61]
	v_fmac_f64_e32 v[56:57], v[58:59], v[24:25]
	v_fmac_f64_e32 v[40:41], v[42:43], v[24:25]
	v_add_f64 v[6:7], v[6:7], -v[56:57]
	s_waitcnt vmcnt(0)
	v_add_f64 v[36:37], v[36:37], -v[26:27]
	v_add_f64 v[38:39], v[38:39], -v[40:41]
	v_mov_b64_e32 v[26:27], v[60:61]
.LBB18_41:
	s_or_b64 exec, exec, s[0:1]
	v_lshl_add_u32 v40, v51, 4, v52
	s_barrier
	s_waitcnt vmcnt(7)
	ds_write2_b64 v40, v[32:33], v[34:35] offset1:1
	s_waitcnt lgkmcnt(0)
	s_barrier
	ds_read2_b64 v[40:43], v52 offset0:4 offset1:5
	s_cmp_lt_i32 s20, 4
	v_mov_b32_e32 v50, 2
	s_cbranch_scc1 .LBB18_44
; %bb.42:
	v_add3_u32 v56, v53, 0, 48
	s_mov_b32 s16, 3
	v_mov_b32_e32 v50, 2
.LBB18_43:                              ; =>This Inner Loop Header: Depth=1
	ds_read2_b64 v[58:61], v56 offset1:1
	s_waitcnt lgkmcnt(1)
	v_xor_b32_e32 v57, 0x80000000, v41
	v_xor_b32_e32 v65, 0x80000000, v43
	v_cmp_gt_f64_e32 vcc, 0, v[42:43]
	v_cmp_gt_f64_e64 s[0:1], 0, v[40:41]
	v_mov_b32_e32 v62, v40
	v_mov_b32_e32 v64, v42
	v_cndmask_b32_e64 v63, v41, v57, s[0:1]
	v_cndmask_b32_e32 v65, v43, v65, vcc
	s_waitcnt lgkmcnt(0)
	v_xor_b32_e32 v57, 0x80000000, v59
	v_xor_b32_e32 v67, 0x80000000, v61
	v_cmp_gt_f64_e32 vcc, 0, v[60:61]
	v_cmp_gt_f64_e64 s[0:1], 0, v[58:59]
	v_add_f64 v[62:63], v[62:63], v[64:65]
	v_mov_b32_e32 v64, v58
	v_mov_b32_e32 v66, v60
	v_cndmask_b32_e64 v65, v59, v57, s[0:1]
	v_cndmask_b32_e32 v67, v61, v67, vcc
	v_add_f64 v[64:65], v[64:65], v[66:67]
	v_mov_b32_e32 v68, s16
	s_add_i32 s16, s16, 1
	v_cmp_lt_f64_e32 vcc, v[62:63], v[64:65]
	v_add_u32_e32 v56, 16, v56
	s_cmp_lg_u32 s20, s16
	v_cndmask_b32_e32 v41, v41, v59, vcc
	v_cndmask_b32_e32 v40, v40, v58, vcc
	;; [unrolled: 1-line block ×5, first 2 shown]
	s_cbranch_scc1 .LBB18_43
.LBB18_44:
	s_waitcnt lgkmcnt(0)
	v_cmp_eq_f64_e32 vcc, 0, v[40:41]
	v_cmp_eq_f64_e64 s[0:1], 0, v[42:43]
	s_and_b64 s[0:1], vcc, s[0:1]
	s_and_saveexec_b64 s[16:17], s[0:1]
	s_xor_b64 s[0:1], exec, s[16:17]
; %bb.45:
	v_cmp_ne_u32_e32 vcc, 0, v55
	s_nop 1
	v_cndmask_b32_e32 v55, 3, v55, vcc
; %bb.46:
	s_andn2_saveexec_b64 s[0:1], s[0:1]
	s_cbranch_execz .LBB18_52
; %bb.47:
	v_cmp_ngt_f64_e64 s[16:17], |v[40:41]|, |v[42:43]|
	s_and_saveexec_b64 s[18:19], s[16:17]
	s_xor_b64 s[16:17], exec, s[18:19]
	s_cbranch_execz .LBB18_49
; %bb.48:
	v_div_scale_f64 v[56:57], s[18:19], v[42:43], v[42:43], v[40:41]
	v_rcp_f64_e32 v[58:59], v[56:57]
	v_div_scale_f64 v[60:61], vcc, v[40:41], v[42:43], v[40:41]
	v_fma_f64 v[62:63], -v[56:57], v[58:59], 1.0
	v_fmac_f64_e32 v[58:59], v[58:59], v[62:63]
	v_fma_f64 v[62:63], -v[56:57], v[58:59], 1.0
	v_fmac_f64_e32 v[58:59], v[58:59], v[62:63]
	v_mul_f64 v[62:63], v[60:61], v[58:59]
	v_fma_f64 v[56:57], -v[56:57], v[62:63], v[60:61]
	v_div_fmas_f64 v[56:57], v[56:57], v[58:59], v[62:63]
	v_div_fixup_f64 v[56:57], v[56:57], v[42:43], v[40:41]
	v_fmac_f64_e32 v[42:43], v[40:41], v[56:57]
	v_div_scale_f64 v[40:41], s[18:19], v[42:43], v[42:43], 1.0
	v_rcp_f64_e32 v[58:59], v[40:41]
	s_nop 0
	v_fma_f64 v[60:61], -v[40:41], v[58:59], 1.0
	v_fmac_f64_e32 v[58:59], v[58:59], v[60:61]
	v_fma_f64 v[60:61], -v[40:41], v[58:59], 1.0
	v_fmac_f64_e32 v[58:59], v[58:59], v[60:61]
	v_div_scale_f64 v[60:61], vcc, 1.0, v[42:43], 1.0
	v_mul_f64 v[62:63], v[60:61], v[58:59]
	v_fma_f64 v[40:41], -v[40:41], v[62:63], v[60:61]
	s_nop 1
	v_div_fmas_f64 v[40:41], v[40:41], v[58:59], v[62:63]
	v_div_fixup_f64 v[42:43], v[40:41], v[42:43], 1.0
	v_mul_f64 v[40:41], v[56:57], v[42:43]
	v_xor_b32_e32 v43, 0x80000000, v43
.LBB18_49:
	s_andn2_saveexec_b64 s[16:17], s[16:17]
	s_cbranch_execz .LBB18_51
; %bb.50:
	v_div_scale_f64 v[56:57], s[18:19], v[40:41], v[40:41], v[42:43]
	v_rcp_f64_e32 v[58:59], v[56:57]
	v_div_scale_f64 v[60:61], vcc, v[42:43], v[40:41], v[42:43]
	v_fma_f64 v[62:63], -v[56:57], v[58:59], 1.0
	v_fmac_f64_e32 v[58:59], v[58:59], v[62:63]
	v_fma_f64 v[62:63], -v[56:57], v[58:59], 1.0
	v_fmac_f64_e32 v[58:59], v[58:59], v[62:63]
	v_mul_f64 v[62:63], v[60:61], v[58:59]
	v_fma_f64 v[56:57], -v[56:57], v[62:63], v[60:61]
	v_div_fmas_f64 v[56:57], v[56:57], v[58:59], v[62:63]
	v_div_fixup_f64 v[56:57], v[56:57], v[40:41], v[42:43]
	v_fmac_f64_e32 v[40:41], v[42:43], v[56:57]
	v_div_scale_f64 v[42:43], s[18:19], v[40:41], v[40:41], 1.0
	v_rcp_f64_e32 v[58:59], v[42:43]
	s_nop 0
	v_fma_f64 v[60:61], -v[42:43], v[58:59], 1.0
	v_fmac_f64_e32 v[58:59], v[58:59], v[60:61]
	v_fma_f64 v[60:61], -v[42:43], v[58:59], 1.0
	v_fmac_f64_e32 v[58:59], v[58:59], v[60:61]
	v_div_scale_f64 v[60:61], vcc, 1.0, v[40:41], 1.0
	v_mul_f64 v[62:63], v[60:61], v[58:59]
	v_fma_f64 v[42:43], -v[42:43], v[62:63], v[60:61]
	s_nop 1
	v_div_fmas_f64 v[42:43], v[42:43], v[58:59], v[62:63]
	v_div_fixup_f64 v[40:41], v[42:43], v[40:41], 1.0
	v_mul_f64 v[42:43], v[56:57], -v[40:41]
.LBB18_51:
	s_or_b64 exec, exec, s[16:17]
.LBB18_52:
	s_or_b64 exec, exec, s[0:1]
	v_cmp_ne_u32_e32 vcc, v51, v50
	s_and_saveexec_b64 s[0:1], vcc
	s_xor_b64 s[0:1], exec, s[0:1]
	s_cbranch_execz .LBB18_58
; %bb.53:
	v_cmp_eq_u32_e32 vcc, 2, v51
	s_and_saveexec_b64 s[16:17], vcc
	s_cbranch_execz .LBB18_57
; %bb.54:
	v_cmp_ne_u32_e32 vcc, 2, v50
	s_xor_b64 s[18:19], s[14:15], -1
	s_and_b64 s[22:23], s[18:19], vcc
	s_and_saveexec_b64 s[18:19], s[22:23]
	s_cbranch_execz .LBB18_56
; %bb.55:
	v_ashrrev_i32_e32 v51, 31, v50
	v_lshl_add_u64 v[56:57], v[50:51], 2, v[48:49]
	global_load_dword v51, v[56:57], off
	global_load_dword v54, v[48:49], off offset:8
	s_waitcnt vmcnt(1)
	global_store_dword v[48:49], v51, off offset:8
	s_waitcnt vmcnt(1)
	global_store_dword v[56:57], v54, off
.LBB18_56:
	s_or_b64 exec, exec, s[18:19]
	v_mov_b32_e32 v51, v50
	v_mov_b32_e32 v54, v50
.LBB18_57:
	s_or_b64 exec, exec, s[16:17]
.LBB18_58:
	s_andn2_saveexec_b64 s[0:1], s[0:1]
	s_cbranch_execz .LBB18_60
; %bb.59:
	v_mov_b32_e32 v51, 2
	s_waitcnt vmcnt(6)
	ds_write2_b64 v52, v[16:17], v[18:19] offset0:6 offset1:7
	s_waitcnt vmcnt(5)
	ds_write2_b64 v52, v[20:21], v[22:23] offset0:8 offset1:9
	;; [unrolled: 2-line block ×7, first 2 shown]
.LBB18_60:
	s_or_b64 exec, exec, s[0:1]
	v_cmp_lt_i32_e32 vcc, 2, v51
	s_waitcnt lgkmcnt(0)
	s_barrier
	s_and_saveexec_b64 s[0:1], vcc
	s_cbranch_execz .LBB18_62
; %bb.61:
	ds_read2_b64 v[56:59], v52 offset0:6 offset1:7
	v_mul_f64 v[60:61], v[40:41], v[34:35]
	v_fmac_f64_e32 v[60:61], v[42:43], v[32:33]
	v_mul_f64 v[34:35], v[42:43], v[34:35]
	v_fma_f64 v[32:33], v[40:41], v[32:33], -v[34:35]
	ds_read2_b64 v[40:43], v52 offset0:8 offset1:9
	s_waitcnt lgkmcnt(1)
	v_mul_f64 v[34:35], v[58:59], v[60:61]
	v_fma_f64 v[34:35], v[56:57], v[32:33], -v[34:35]
	v_mul_f64 v[56:57], v[56:57], v[60:61]
	v_fmac_f64_e32 v[56:57], v[58:59], v[32:33]
	s_waitcnt vmcnt(6)
	v_add_f64 v[18:19], v[18:19], -v[56:57]
	ds_read2_b64 v[56:59], v52 offset0:10 offset1:11
	v_add_f64 v[16:17], v[16:17], -v[34:35]
	s_waitcnt lgkmcnt(1)
	v_mul_f64 v[34:35], v[42:43], v[60:61]
	v_fma_f64 v[34:35], v[40:41], v[32:33], -v[34:35]
	v_mul_f64 v[40:41], v[40:41], v[60:61]
	v_fmac_f64_e32 v[40:41], v[42:43], v[32:33]
	s_waitcnt vmcnt(5)
	v_add_f64 v[20:21], v[20:21], -v[34:35]
	v_add_f64 v[22:23], v[22:23], -v[40:41]
	ds_read2_b64 v[40:43], v52 offset0:12 offset1:13
	s_waitcnt lgkmcnt(1)
	v_mul_f64 v[34:35], v[58:59], v[60:61]
	v_fma_f64 v[34:35], v[56:57], v[32:33], -v[34:35]
	v_mul_f64 v[56:57], v[56:57], v[60:61]
	v_fmac_f64_e32 v[56:57], v[58:59], v[32:33]
	s_waitcnt vmcnt(4)
	v_add_f64 v[10:11], v[10:11], -v[56:57]
	ds_read2_b64 v[56:59], v52 offset0:14 offset1:15
	v_add_f64 v[8:9], v[8:9], -v[34:35]
	s_waitcnt lgkmcnt(1)
	v_mul_f64 v[34:35], v[42:43], v[60:61]
	v_fma_f64 v[34:35], v[40:41], v[32:33], -v[34:35]
	v_mul_f64 v[40:41], v[40:41], v[60:61]
	v_fmac_f64_e32 v[40:41], v[42:43], v[32:33]
	s_waitcnt vmcnt(3)
	v_add_f64 v[12:13], v[12:13], -v[34:35]
	v_add_f64 v[14:15], v[14:15], -v[40:41]
	;; [unrolled: 18-line block ×3, first 2 shown]
	s_waitcnt lgkmcnt(0)
	v_mul_f64 v[34:35], v[58:59], v[60:61]
	v_mul_f64 v[40:41], v[56:57], v[60:61]
	v_fma_f64 v[34:35], v[56:57], v[32:33], -v[34:35]
	v_fmac_f64_e32 v[40:41], v[58:59], v[32:33]
	s_waitcnt vmcnt(0)
	v_add_f64 v[36:37], v[36:37], -v[34:35]
	v_add_f64 v[38:39], v[38:39], -v[40:41]
	v_mov_b64_e32 v[34:35], v[60:61]
.LBB18_62:
	s_or_b64 exec, exec, s[0:1]
	v_lshl_add_u32 v40, v51, 4, v52
	s_barrier
	s_waitcnt vmcnt(6)
	ds_write2_b64 v40, v[16:17], v[18:19] offset1:1
	s_waitcnt lgkmcnt(0)
	s_barrier
	ds_read2_b64 v[40:43], v52 offset0:6 offset1:7
	s_mov_b32 s16, 4
	s_cmp_lt_i32 s20, 5
	v_mov_b32_e32 v50, 3
	s_cbranch_scc1 .LBB18_65
; %bb.63:
	v_add3_u32 v53, v53, 0, 64
	v_mov_b32_e32 v50, 3
.LBB18_64:                              ; =>This Inner Loop Header: Depth=1
	ds_read2_b64 v[56:59], v53 offset1:1
	s_waitcnt lgkmcnt(1)
	v_xor_b32_e32 v61, 0x80000000, v41
	v_xor_b32_e32 v63, 0x80000000, v43
	v_cmp_gt_f64_e32 vcc, 0, v[42:43]
	v_cmp_gt_f64_e64 s[0:1], 0, v[40:41]
	v_mov_b32_e32 v60, v40
	v_mov_b32_e32 v62, v42
	v_cndmask_b32_e64 v61, v41, v61, s[0:1]
	v_cndmask_b32_e32 v63, v43, v63, vcc
	v_add_f64 v[60:61], v[60:61], v[62:63]
	s_waitcnt lgkmcnt(0)
	v_xor_b32_e32 v63, 0x80000000, v57
	v_xor_b32_e32 v65, 0x80000000, v59
	v_cmp_gt_f64_e32 vcc, 0, v[58:59]
	v_cmp_gt_f64_e64 s[0:1], 0, v[56:57]
	v_mov_b32_e32 v62, v56
	v_mov_b32_e32 v64, v58
	v_cndmask_b32_e64 v63, v57, v63, s[0:1]
	v_cndmask_b32_e32 v65, v59, v65, vcc
	v_add_f64 v[62:63], v[62:63], v[64:65]
	v_mov_b32_e32 v66, s16
	s_add_i32 s16, s16, 1
	v_cmp_lt_f64_e32 vcc, v[60:61], v[62:63]
	v_add_u32_e32 v53, 16, v53
	s_cmp_lg_u32 s20, s16
	v_cndmask_b32_e32 v41, v41, v57, vcc
	v_cndmask_b32_e32 v40, v40, v56, vcc
	;; [unrolled: 1-line block ×5, first 2 shown]
	s_cbranch_scc1 .LBB18_64
.LBB18_65:
	s_waitcnt lgkmcnt(0)
	v_cmp_eq_f64_e32 vcc, 0, v[40:41]
	v_cmp_eq_f64_e64 s[0:1], 0, v[42:43]
	s_and_b64 s[0:1], vcc, s[0:1]
	s_and_saveexec_b64 s[16:17], s[0:1]
	s_xor_b64 s[0:1], exec, s[16:17]
; %bb.66:
	v_cmp_ne_u32_e32 vcc, 0, v55
	s_nop 1
	v_cndmask_b32_e32 v55, 4, v55, vcc
; %bb.67:
	s_andn2_saveexec_b64 s[0:1], s[0:1]
	s_cbranch_execz .LBB18_73
; %bb.68:
	v_cmp_ngt_f64_e64 s[16:17], |v[40:41]|, |v[42:43]|
	s_and_saveexec_b64 s[18:19], s[16:17]
	s_xor_b64 s[16:17], exec, s[18:19]
	s_cbranch_execz .LBB18_70
; %bb.69:
	v_div_scale_f64 v[56:57], s[18:19], v[42:43], v[42:43], v[40:41]
	v_rcp_f64_e32 v[58:59], v[56:57]
	v_div_scale_f64 v[60:61], vcc, v[40:41], v[42:43], v[40:41]
	v_fma_f64 v[62:63], -v[56:57], v[58:59], 1.0
	v_fmac_f64_e32 v[58:59], v[58:59], v[62:63]
	v_fma_f64 v[62:63], -v[56:57], v[58:59], 1.0
	v_fmac_f64_e32 v[58:59], v[58:59], v[62:63]
	v_mul_f64 v[62:63], v[60:61], v[58:59]
	v_fma_f64 v[56:57], -v[56:57], v[62:63], v[60:61]
	v_div_fmas_f64 v[56:57], v[56:57], v[58:59], v[62:63]
	v_div_fixup_f64 v[56:57], v[56:57], v[42:43], v[40:41]
	v_fmac_f64_e32 v[42:43], v[40:41], v[56:57]
	v_div_scale_f64 v[40:41], s[18:19], v[42:43], v[42:43], 1.0
	v_rcp_f64_e32 v[58:59], v[40:41]
	s_nop 0
	v_fma_f64 v[60:61], -v[40:41], v[58:59], 1.0
	v_fmac_f64_e32 v[58:59], v[58:59], v[60:61]
	v_fma_f64 v[60:61], -v[40:41], v[58:59], 1.0
	v_fmac_f64_e32 v[58:59], v[58:59], v[60:61]
	v_div_scale_f64 v[60:61], vcc, 1.0, v[42:43], 1.0
	v_mul_f64 v[62:63], v[60:61], v[58:59]
	v_fma_f64 v[40:41], -v[40:41], v[62:63], v[60:61]
	s_nop 1
	v_div_fmas_f64 v[40:41], v[40:41], v[58:59], v[62:63]
	v_div_fixup_f64 v[42:43], v[40:41], v[42:43], 1.0
	v_mul_f64 v[40:41], v[56:57], v[42:43]
	v_xor_b32_e32 v43, 0x80000000, v43
.LBB18_70:
	s_andn2_saveexec_b64 s[16:17], s[16:17]
	s_cbranch_execz .LBB18_72
; %bb.71:
	v_div_scale_f64 v[56:57], s[18:19], v[40:41], v[40:41], v[42:43]
	v_rcp_f64_e32 v[58:59], v[56:57]
	v_div_scale_f64 v[60:61], vcc, v[42:43], v[40:41], v[42:43]
	v_fma_f64 v[62:63], -v[56:57], v[58:59], 1.0
	v_fmac_f64_e32 v[58:59], v[58:59], v[62:63]
	v_fma_f64 v[62:63], -v[56:57], v[58:59], 1.0
	v_fmac_f64_e32 v[58:59], v[58:59], v[62:63]
	v_mul_f64 v[62:63], v[60:61], v[58:59]
	v_fma_f64 v[56:57], -v[56:57], v[62:63], v[60:61]
	v_div_fmas_f64 v[56:57], v[56:57], v[58:59], v[62:63]
	v_div_fixup_f64 v[56:57], v[56:57], v[40:41], v[42:43]
	v_fmac_f64_e32 v[40:41], v[42:43], v[56:57]
	v_div_scale_f64 v[42:43], s[18:19], v[40:41], v[40:41], 1.0
	v_rcp_f64_e32 v[58:59], v[42:43]
	s_nop 0
	v_fma_f64 v[60:61], -v[42:43], v[58:59], 1.0
	v_fmac_f64_e32 v[58:59], v[58:59], v[60:61]
	v_fma_f64 v[60:61], -v[42:43], v[58:59], 1.0
	v_fmac_f64_e32 v[58:59], v[58:59], v[60:61]
	v_div_scale_f64 v[60:61], vcc, 1.0, v[40:41], 1.0
	v_mul_f64 v[62:63], v[60:61], v[58:59]
	v_fma_f64 v[42:43], -v[42:43], v[62:63], v[60:61]
	s_nop 1
	v_div_fmas_f64 v[42:43], v[42:43], v[58:59], v[62:63]
	v_div_fixup_f64 v[40:41], v[42:43], v[40:41], 1.0
	v_mul_f64 v[42:43], v[56:57], -v[40:41]
.LBB18_72:
	s_or_b64 exec, exec, s[16:17]
.LBB18_73:
	s_or_b64 exec, exec, s[0:1]
	v_cmp_ne_u32_e32 vcc, v51, v50
	s_and_saveexec_b64 s[0:1], vcc
	s_xor_b64 s[0:1], exec, s[0:1]
	s_cbranch_execz .LBB18_79
; %bb.74:
	v_cmp_eq_u32_e32 vcc, 3, v51
	s_and_saveexec_b64 s[16:17], vcc
	s_cbranch_execz .LBB18_78
; %bb.75:
	v_cmp_ne_u32_e32 vcc, 3, v50
	s_xor_b64 s[18:19], s[14:15], -1
	s_and_b64 s[22:23], s[18:19], vcc
	s_and_saveexec_b64 s[18:19], s[22:23]
	s_cbranch_execz .LBB18_77
; %bb.76:
	v_ashrrev_i32_e32 v51, 31, v50
	v_lshl_add_u64 v[56:57], v[50:51], 2, v[48:49]
	global_load_dword v51, v[56:57], off
	global_load_dword v53, v[48:49], off offset:12
	s_waitcnt vmcnt(1)
	global_store_dword v[48:49], v51, off offset:12
	s_waitcnt vmcnt(1)
	global_store_dword v[56:57], v53, off
.LBB18_77:
	s_or_b64 exec, exec, s[18:19]
	v_mov_b32_e32 v51, v50
	v_mov_b32_e32 v54, v50
.LBB18_78:
	s_or_b64 exec, exec, s[16:17]
.LBB18_79:
	s_andn2_saveexec_b64 s[0:1], s[0:1]
	s_cbranch_execz .LBB18_81
; %bb.80:
	v_mov_b32_e32 v51, 3
	s_waitcnt vmcnt(5)
	ds_write2_b64 v52, v[20:21], v[22:23] offset0:8 offset1:9
	s_waitcnt vmcnt(4)
	ds_write2_b64 v52, v[8:9], v[10:11] offset0:10 offset1:11
	;; [unrolled: 2-line block ×6, first 2 shown]
.LBB18_81:
	s_or_b64 exec, exec, s[0:1]
	v_cmp_lt_i32_e32 vcc, 3, v51
	s_waitcnt lgkmcnt(0)
	s_barrier
	s_and_saveexec_b64 s[0:1], vcc
	s_cbranch_execz .LBB18_83
; %bb.82:
	ds_read2_b64 v[56:59], v52 offset0:8 offset1:9
	v_mul_f64 v[60:61], v[40:41], v[18:19]
	v_mul_f64 v[18:19], v[42:43], v[18:19]
	v_fmac_f64_e32 v[60:61], v[42:43], v[16:17]
	v_fma_f64 v[16:17], v[40:41], v[16:17], -v[18:19]
	ds_read2_b64 v[40:43], v52 offset0:10 offset1:11
	s_waitcnt lgkmcnt(1)
	v_mul_f64 v[18:19], v[58:59], v[60:61]
	v_fma_f64 v[18:19], v[56:57], v[16:17], -v[18:19]
	v_mul_f64 v[56:57], v[56:57], v[60:61]
	v_fmac_f64_e32 v[56:57], v[58:59], v[16:17]
	s_waitcnt vmcnt(5)
	v_add_f64 v[20:21], v[20:21], -v[18:19]
	s_waitcnt lgkmcnt(0)
	v_mul_f64 v[18:19], v[42:43], v[60:61]
	v_add_f64 v[22:23], v[22:23], -v[56:57]
	v_fma_f64 v[18:19], v[40:41], v[16:17], -v[18:19]
	v_mul_f64 v[40:41], v[40:41], v[60:61]
	ds_read2_b64 v[56:59], v52 offset0:12 offset1:13
	v_fmac_f64_e32 v[40:41], v[42:43], v[16:17]
	s_waitcnt vmcnt(4)
	v_add_f64 v[10:11], v[10:11], -v[40:41]
	ds_read2_b64 v[40:43], v52 offset0:14 offset1:15
	v_add_f64 v[8:9], v[8:9], -v[18:19]
	s_waitcnt lgkmcnt(1)
	v_mul_f64 v[18:19], v[58:59], v[60:61]
	v_fma_f64 v[18:19], v[56:57], v[16:17], -v[18:19]
	v_mul_f64 v[56:57], v[56:57], v[60:61]
	v_fmac_f64_e32 v[56:57], v[58:59], v[16:17]
	s_waitcnt vmcnt(3)
	v_add_f64 v[12:13], v[12:13], -v[18:19]
	s_waitcnt lgkmcnt(0)
	v_mul_f64 v[18:19], v[42:43], v[60:61]
	v_add_f64 v[14:15], v[14:15], -v[56:57]
	v_fma_f64 v[18:19], v[40:41], v[16:17], -v[18:19]
	v_mul_f64 v[40:41], v[40:41], v[60:61]
	ds_read2_b64 v[56:59], v52 offset0:16 offset1:17
	v_fmac_f64_e32 v[40:41], v[42:43], v[16:17]
	s_waitcnt vmcnt(2)
	v_add_f64 v[2:3], v[2:3], -v[40:41]
	ds_read2_b64 v[40:43], v52 offset0:18 offset1:19
	v_add_f64 v[0:1], v[0:1], -v[18:19]
	s_waitcnt lgkmcnt(1)
	v_mul_f64 v[18:19], v[58:59], v[60:61]
	v_fma_f64 v[18:19], v[56:57], v[16:17], -v[18:19]
	s_waitcnt vmcnt(1)
	v_add_f64 v[4:5], v[4:5], -v[18:19]
	s_waitcnt lgkmcnt(0)
	v_mul_f64 v[18:19], v[42:43], v[60:61]
	v_mul_f64 v[56:57], v[56:57], v[60:61]
	v_fma_f64 v[18:19], v[40:41], v[16:17], -v[18:19]
	v_mul_f64 v[40:41], v[40:41], v[60:61]
	v_fmac_f64_e32 v[56:57], v[58:59], v[16:17]
	v_fmac_f64_e32 v[40:41], v[42:43], v[16:17]
	v_add_f64 v[6:7], v[6:7], -v[56:57]
	s_waitcnt vmcnt(0)
	v_add_f64 v[36:37], v[36:37], -v[18:19]
	v_add_f64 v[38:39], v[38:39], -v[40:41]
	v_mov_b64_e32 v[18:19], v[60:61]
.LBB18_83:
	s_or_b64 exec, exec, s[0:1]
	v_lshl_add_u32 v40, v51, 4, v52
	s_barrier
	s_waitcnt vmcnt(5)
	ds_write2_b64 v40, v[20:21], v[22:23] offset1:1
	s_waitcnt lgkmcnt(0)
	s_barrier
	ds_read2_b64 v[40:43], v52 offset0:8 offset1:9
	s_cmp_lt_i32 s20, 6
	v_mov_b32_e32 v50, 4
	s_cbranch_scc1 .LBB18_86
; %bb.84:
	v_mov_b32_e32 v50, 4
	v_add_u32_e32 v53, 0x50, v52
	s_mov_b32 s16, 5
.LBB18_85:                              ; =>This Inner Loop Header: Depth=1
	ds_read2_b64 v[56:59], v53 offset1:1
	s_waitcnt lgkmcnt(1)
	v_xor_b32_e32 v61, 0x80000000, v41
	v_xor_b32_e32 v63, 0x80000000, v43
	v_cmp_gt_f64_e32 vcc, 0, v[42:43]
	v_cmp_gt_f64_e64 s[0:1], 0, v[40:41]
	v_mov_b32_e32 v60, v40
	v_mov_b32_e32 v62, v42
	v_cndmask_b32_e64 v61, v41, v61, s[0:1]
	v_cndmask_b32_e32 v63, v43, v63, vcc
	v_add_f64 v[60:61], v[60:61], v[62:63]
	s_waitcnt lgkmcnt(0)
	v_xor_b32_e32 v63, 0x80000000, v57
	v_xor_b32_e32 v65, 0x80000000, v59
	v_cmp_gt_f64_e32 vcc, 0, v[58:59]
	v_cmp_gt_f64_e64 s[0:1], 0, v[56:57]
	v_mov_b32_e32 v62, v56
	v_mov_b32_e32 v64, v58
	v_cndmask_b32_e64 v63, v57, v63, s[0:1]
	v_cndmask_b32_e32 v65, v59, v65, vcc
	v_add_f64 v[62:63], v[62:63], v[64:65]
	v_mov_b32_e32 v66, s16
	s_add_i32 s16, s16, 1
	v_cmp_lt_f64_e32 vcc, v[60:61], v[62:63]
	v_add_u32_e32 v53, 16, v53
	s_cmp_lg_u32 s20, s16
	v_cndmask_b32_e32 v41, v41, v57, vcc
	v_cndmask_b32_e32 v40, v40, v56, vcc
	;; [unrolled: 1-line block ×5, first 2 shown]
	s_cbranch_scc1 .LBB18_85
.LBB18_86:
	s_waitcnt lgkmcnt(0)
	v_cmp_eq_f64_e32 vcc, 0, v[40:41]
	v_cmp_eq_f64_e64 s[0:1], 0, v[42:43]
	s_and_b64 s[0:1], vcc, s[0:1]
	s_and_saveexec_b64 s[16:17], s[0:1]
	s_xor_b64 s[0:1], exec, s[16:17]
; %bb.87:
	v_cmp_ne_u32_e32 vcc, 0, v55
	s_nop 1
	v_cndmask_b32_e32 v55, 5, v55, vcc
; %bb.88:
	s_andn2_saveexec_b64 s[0:1], s[0:1]
	s_cbranch_execz .LBB18_94
; %bb.89:
	v_cmp_ngt_f64_e64 s[16:17], |v[40:41]|, |v[42:43]|
	s_and_saveexec_b64 s[18:19], s[16:17]
	s_xor_b64 s[16:17], exec, s[18:19]
	s_cbranch_execz .LBB18_91
; %bb.90:
	v_div_scale_f64 v[56:57], s[18:19], v[42:43], v[42:43], v[40:41]
	v_rcp_f64_e32 v[58:59], v[56:57]
	v_div_scale_f64 v[60:61], vcc, v[40:41], v[42:43], v[40:41]
	v_fma_f64 v[62:63], -v[56:57], v[58:59], 1.0
	v_fmac_f64_e32 v[58:59], v[58:59], v[62:63]
	v_fma_f64 v[62:63], -v[56:57], v[58:59], 1.0
	v_fmac_f64_e32 v[58:59], v[58:59], v[62:63]
	v_mul_f64 v[62:63], v[60:61], v[58:59]
	v_fma_f64 v[56:57], -v[56:57], v[62:63], v[60:61]
	v_div_fmas_f64 v[56:57], v[56:57], v[58:59], v[62:63]
	v_div_fixup_f64 v[56:57], v[56:57], v[42:43], v[40:41]
	v_fmac_f64_e32 v[42:43], v[40:41], v[56:57]
	v_div_scale_f64 v[40:41], s[18:19], v[42:43], v[42:43], 1.0
	v_rcp_f64_e32 v[58:59], v[40:41]
	s_nop 0
	v_fma_f64 v[60:61], -v[40:41], v[58:59], 1.0
	v_fmac_f64_e32 v[58:59], v[58:59], v[60:61]
	v_fma_f64 v[60:61], -v[40:41], v[58:59], 1.0
	v_fmac_f64_e32 v[58:59], v[58:59], v[60:61]
	v_div_scale_f64 v[60:61], vcc, 1.0, v[42:43], 1.0
	v_mul_f64 v[62:63], v[60:61], v[58:59]
	v_fma_f64 v[40:41], -v[40:41], v[62:63], v[60:61]
	s_nop 1
	v_div_fmas_f64 v[40:41], v[40:41], v[58:59], v[62:63]
	v_div_fixup_f64 v[42:43], v[40:41], v[42:43], 1.0
	v_mul_f64 v[40:41], v[56:57], v[42:43]
	v_xor_b32_e32 v43, 0x80000000, v43
.LBB18_91:
	s_andn2_saveexec_b64 s[16:17], s[16:17]
	s_cbranch_execz .LBB18_93
; %bb.92:
	v_div_scale_f64 v[56:57], s[18:19], v[40:41], v[40:41], v[42:43]
	v_rcp_f64_e32 v[58:59], v[56:57]
	v_div_scale_f64 v[60:61], vcc, v[42:43], v[40:41], v[42:43]
	v_fma_f64 v[62:63], -v[56:57], v[58:59], 1.0
	v_fmac_f64_e32 v[58:59], v[58:59], v[62:63]
	v_fma_f64 v[62:63], -v[56:57], v[58:59], 1.0
	v_fmac_f64_e32 v[58:59], v[58:59], v[62:63]
	v_mul_f64 v[62:63], v[60:61], v[58:59]
	v_fma_f64 v[56:57], -v[56:57], v[62:63], v[60:61]
	v_div_fmas_f64 v[56:57], v[56:57], v[58:59], v[62:63]
	v_div_fixup_f64 v[56:57], v[56:57], v[40:41], v[42:43]
	v_fmac_f64_e32 v[40:41], v[42:43], v[56:57]
	v_div_scale_f64 v[42:43], s[18:19], v[40:41], v[40:41], 1.0
	v_rcp_f64_e32 v[58:59], v[42:43]
	s_nop 0
	v_fma_f64 v[60:61], -v[42:43], v[58:59], 1.0
	v_fmac_f64_e32 v[58:59], v[58:59], v[60:61]
	v_fma_f64 v[60:61], -v[42:43], v[58:59], 1.0
	v_fmac_f64_e32 v[58:59], v[58:59], v[60:61]
	v_div_scale_f64 v[60:61], vcc, 1.0, v[40:41], 1.0
	v_mul_f64 v[62:63], v[60:61], v[58:59]
	v_fma_f64 v[42:43], -v[42:43], v[62:63], v[60:61]
	s_nop 1
	v_div_fmas_f64 v[42:43], v[42:43], v[58:59], v[62:63]
	v_div_fixup_f64 v[40:41], v[42:43], v[40:41], 1.0
	v_mul_f64 v[42:43], v[56:57], -v[40:41]
.LBB18_93:
	s_or_b64 exec, exec, s[16:17]
.LBB18_94:
	s_or_b64 exec, exec, s[0:1]
	v_cmp_ne_u32_e32 vcc, v51, v50
	s_and_saveexec_b64 s[0:1], vcc
	s_xor_b64 s[0:1], exec, s[0:1]
	s_cbranch_execz .LBB18_100
; %bb.95:
	v_cmp_eq_u32_e32 vcc, 4, v51
	s_and_saveexec_b64 s[16:17], vcc
	s_cbranch_execz .LBB18_99
; %bb.96:
	v_cmp_ne_u32_e32 vcc, 4, v50
	s_xor_b64 s[18:19], s[14:15], -1
	s_and_b64 s[22:23], s[18:19], vcc
	s_and_saveexec_b64 s[18:19], s[22:23]
	s_cbranch_execz .LBB18_98
; %bb.97:
	v_ashrrev_i32_e32 v51, 31, v50
	v_lshl_add_u64 v[56:57], v[50:51], 2, v[48:49]
	global_load_dword v51, v[56:57], off
	global_load_dword v53, v[48:49], off offset:16
	s_waitcnt vmcnt(1)
	global_store_dword v[48:49], v51, off offset:16
	s_waitcnt vmcnt(1)
	global_store_dword v[56:57], v53, off
.LBB18_98:
	s_or_b64 exec, exec, s[18:19]
	v_mov_b32_e32 v51, v50
	v_mov_b32_e32 v54, v50
.LBB18_99:
	s_or_b64 exec, exec, s[16:17]
.LBB18_100:
	s_andn2_saveexec_b64 s[0:1], s[0:1]
	s_cbranch_execz .LBB18_102
; %bb.101:
	v_mov_b32_e32 v51, 4
	s_waitcnt vmcnt(4)
	ds_write2_b64 v52, v[8:9], v[10:11] offset0:10 offset1:11
	s_waitcnt vmcnt(3)
	ds_write2_b64 v52, v[12:13], v[14:15] offset0:12 offset1:13
	;; [unrolled: 2-line block ×5, first 2 shown]
.LBB18_102:
	s_or_b64 exec, exec, s[0:1]
	v_cmp_lt_i32_e32 vcc, 4, v51
	s_waitcnt lgkmcnt(0)
	s_barrier
	s_and_saveexec_b64 s[0:1], vcc
	s_cbranch_execz .LBB18_104
; %bb.103:
	ds_read2_b64 v[56:59], v52 offset0:10 offset1:11
	v_mul_f64 v[60:61], v[40:41], v[22:23]
	v_fmac_f64_e32 v[60:61], v[42:43], v[20:21]
	v_mul_f64 v[22:23], v[42:43], v[22:23]
	v_fma_f64 v[20:21], v[40:41], v[20:21], -v[22:23]
	ds_read2_b64 v[40:43], v52 offset0:12 offset1:13
	s_waitcnt lgkmcnt(1)
	v_mul_f64 v[22:23], v[58:59], v[60:61]
	v_fma_f64 v[22:23], v[56:57], v[20:21], -v[22:23]
	v_mul_f64 v[56:57], v[56:57], v[60:61]
	v_fmac_f64_e32 v[56:57], v[58:59], v[20:21]
	s_waitcnt vmcnt(4)
	v_add_f64 v[10:11], v[10:11], -v[56:57]
	ds_read2_b64 v[56:59], v52 offset0:14 offset1:15
	v_add_f64 v[8:9], v[8:9], -v[22:23]
	s_waitcnt lgkmcnt(1)
	v_mul_f64 v[22:23], v[42:43], v[60:61]
	v_fma_f64 v[22:23], v[40:41], v[20:21], -v[22:23]
	v_mul_f64 v[40:41], v[40:41], v[60:61]
	v_fmac_f64_e32 v[40:41], v[42:43], v[20:21]
	s_waitcnt vmcnt(3)
	v_add_f64 v[12:13], v[12:13], -v[22:23]
	v_add_f64 v[14:15], v[14:15], -v[40:41]
	ds_read2_b64 v[40:43], v52 offset0:16 offset1:17
	s_waitcnt lgkmcnt(1)
	v_mul_f64 v[22:23], v[58:59], v[60:61]
	v_fma_f64 v[22:23], v[56:57], v[20:21], -v[22:23]
	v_mul_f64 v[56:57], v[56:57], v[60:61]
	v_fmac_f64_e32 v[56:57], v[58:59], v[20:21]
	s_waitcnt vmcnt(2)
	v_add_f64 v[2:3], v[2:3], -v[56:57]
	ds_read2_b64 v[56:59], v52 offset0:18 offset1:19
	v_add_f64 v[0:1], v[0:1], -v[22:23]
	s_waitcnt lgkmcnt(1)
	v_mul_f64 v[22:23], v[42:43], v[60:61]
	v_fma_f64 v[22:23], v[40:41], v[20:21], -v[22:23]
	v_mul_f64 v[40:41], v[40:41], v[60:61]
	v_fmac_f64_e32 v[40:41], v[42:43], v[20:21]
	s_waitcnt vmcnt(1)
	v_add_f64 v[4:5], v[4:5], -v[22:23]
	v_add_f64 v[6:7], v[6:7], -v[40:41]
	s_waitcnt lgkmcnt(0)
	v_mul_f64 v[22:23], v[58:59], v[60:61]
	v_mul_f64 v[40:41], v[56:57], v[60:61]
	v_fma_f64 v[22:23], v[56:57], v[20:21], -v[22:23]
	v_fmac_f64_e32 v[40:41], v[58:59], v[20:21]
	s_waitcnt vmcnt(0)
	v_add_f64 v[36:37], v[36:37], -v[22:23]
	v_add_f64 v[38:39], v[38:39], -v[40:41]
	v_mov_b64_e32 v[22:23], v[60:61]
.LBB18_104:
	s_or_b64 exec, exec, s[0:1]
	v_lshl_add_u32 v40, v51, 4, v52
	s_barrier
	s_waitcnt vmcnt(4)
	ds_write2_b64 v40, v[8:9], v[10:11] offset1:1
	s_waitcnt lgkmcnt(0)
	s_barrier
	ds_read2_b64 v[40:43], v52 offset0:10 offset1:11
	s_cmp_lt_i32 s20, 7
	v_mov_b32_e32 v50, 5
	s_cbranch_scc1 .LBB18_107
; %bb.105:
	v_add_u32_e32 v53, 0x60, v52
	s_mov_b32 s16, 6
	v_mov_b32_e32 v50, 5
.LBB18_106:                             ; =>This Inner Loop Header: Depth=1
	ds_read2_b64 v[56:59], v53 offset1:1
	s_waitcnt lgkmcnt(1)
	v_xor_b32_e32 v61, 0x80000000, v41
	v_xor_b32_e32 v63, 0x80000000, v43
	v_cmp_gt_f64_e32 vcc, 0, v[42:43]
	v_cmp_gt_f64_e64 s[0:1], 0, v[40:41]
	v_mov_b32_e32 v60, v40
	v_mov_b32_e32 v62, v42
	v_cndmask_b32_e64 v61, v41, v61, s[0:1]
	v_cndmask_b32_e32 v63, v43, v63, vcc
	v_add_f64 v[60:61], v[60:61], v[62:63]
	s_waitcnt lgkmcnt(0)
	v_xor_b32_e32 v63, 0x80000000, v57
	v_xor_b32_e32 v65, 0x80000000, v59
	v_cmp_gt_f64_e32 vcc, 0, v[58:59]
	v_cmp_gt_f64_e64 s[0:1], 0, v[56:57]
	v_mov_b32_e32 v62, v56
	v_mov_b32_e32 v64, v58
	v_cndmask_b32_e64 v63, v57, v63, s[0:1]
	v_cndmask_b32_e32 v65, v59, v65, vcc
	v_add_f64 v[62:63], v[62:63], v[64:65]
	v_mov_b32_e32 v66, s16
	s_add_i32 s16, s16, 1
	v_cmp_lt_f64_e32 vcc, v[60:61], v[62:63]
	v_add_u32_e32 v53, 16, v53
	s_cmp_lg_u32 s20, s16
	v_cndmask_b32_e32 v41, v41, v57, vcc
	v_cndmask_b32_e32 v40, v40, v56, vcc
	;; [unrolled: 1-line block ×5, first 2 shown]
	s_cbranch_scc1 .LBB18_106
.LBB18_107:
	s_waitcnt lgkmcnt(0)
	v_cmp_eq_f64_e32 vcc, 0, v[40:41]
	v_cmp_eq_f64_e64 s[0:1], 0, v[42:43]
	s_and_b64 s[0:1], vcc, s[0:1]
	s_and_saveexec_b64 s[16:17], s[0:1]
	s_xor_b64 s[0:1], exec, s[16:17]
; %bb.108:
	v_cmp_ne_u32_e32 vcc, 0, v55
	s_nop 1
	v_cndmask_b32_e32 v55, 6, v55, vcc
; %bb.109:
	s_andn2_saveexec_b64 s[0:1], s[0:1]
	s_cbranch_execz .LBB18_115
; %bb.110:
	v_cmp_ngt_f64_e64 s[16:17], |v[40:41]|, |v[42:43]|
	s_and_saveexec_b64 s[18:19], s[16:17]
	s_xor_b64 s[16:17], exec, s[18:19]
	s_cbranch_execz .LBB18_112
; %bb.111:
	v_div_scale_f64 v[56:57], s[18:19], v[42:43], v[42:43], v[40:41]
	v_rcp_f64_e32 v[58:59], v[56:57]
	v_div_scale_f64 v[60:61], vcc, v[40:41], v[42:43], v[40:41]
	v_fma_f64 v[62:63], -v[56:57], v[58:59], 1.0
	v_fmac_f64_e32 v[58:59], v[58:59], v[62:63]
	v_fma_f64 v[62:63], -v[56:57], v[58:59], 1.0
	v_fmac_f64_e32 v[58:59], v[58:59], v[62:63]
	v_mul_f64 v[62:63], v[60:61], v[58:59]
	v_fma_f64 v[56:57], -v[56:57], v[62:63], v[60:61]
	v_div_fmas_f64 v[56:57], v[56:57], v[58:59], v[62:63]
	v_div_fixup_f64 v[56:57], v[56:57], v[42:43], v[40:41]
	v_fmac_f64_e32 v[42:43], v[40:41], v[56:57]
	v_div_scale_f64 v[40:41], s[18:19], v[42:43], v[42:43], 1.0
	v_rcp_f64_e32 v[58:59], v[40:41]
	s_nop 0
	v_fma_f64 v[60:61], -v[40:41], v[58:59], 1.0
	v_fmac_f64_e32 v[58:59], v[58:59], v[60:61]
	v_fma_f64 v[60:61], -v[40:41], v[58:59], 1.0
	v_fmac_f64_e32 v[58:59], v[58:59], v[60:61]
	v_div_scale_f64 v[60:61], vcc, 1.0, v[42:43], 1.0
	v_mul_f64 v[62:63], v[60:61], v[58:59]
	v_fma_f64 v[40:41], -v[40:41], v[62:63], v[60:61]
	s_nop 1
	v_div_fmas_f64 v[40:41], v[40:41], v[58:59], v[62:63]
	v_div_fixup_f64 v[42:43], v[40:41], v[42:43], 1.0
	v_mul_f64 v[40:41], v[56:57], v[42:43]
	v_xor_b32_e32 v43, 0x80000000, v43
.LBB18_112:
	s_andn2_saveexec_b64 s[16:17], s[16:17]
	s_cbranch_execz .LBB18_114
; %bb.113:
	v_div_scale_f64 v[56:57], s[18:19], v[40:41], v[40:41], v[42:43]
	v_rcp_f64_e32 v[58:59], v[56:57]
	v_div_scale_f64 v[60:61], vcc, v[42:43], v[40:41], v[42:43]
	v_fma_f64 v[62:63], -v[56:57], v[58:59], 1.0
	v_fmac_f64_e32 v[58:59], v[58:59], v[62:63]
	v_fma_f64 v[62:63], -v[56:57], v[58:59], 1.0
	v_fmac_f64_e32 v[58:59], v[58:59], v[62:63]
	v_mul_f64 v[62:63], v[60:61], v[58:59]
	v_fma_f64 v[56:57], -v[56:57], v[62:63], v[60:61]
	v_div_fmas_f64 v[56:57], v[56:57], v[58:59], v[62:63]
	v_div_fixup_f64 v[56:57], v[56:57], v[40:41], v[42:43]
	v_fmac_f64_e32 v[40:41], v[42:43], v[56:57]
	v_div_scale_f64 v[42:43], s[18:19], v[40:41], v[40:41], 1.0
	v_rcp_f64_e32 v[58:59], v[42:43]
	s_nop 0
	v_fma_f64 v[60:61], -v[42:43], v[58:59], 1.0
	v_fmac_f64_e32 v[58:59], v[58:59], v[60:61]
	v_fma_f64 v[60:61], -v[42:43], v[58:59], 1.0
	v_fmac_f64_e32 v[58:59], v[58:59], v[60:61]
	v_div_scale_f64 v[60:61], vcc, 1.0, v[40:41], 1.0
	v_mul_f64 v[62:63], v[60:61], v[58:59]
	v_fma_f64 v[42:43], -v[42:43], v[62:63], v[60:61]
	s_nop 1
	v_div_fmas_f64 v[42:43], v[42:43], v[58:59], v[62:63]
	v_div_fixup_f64 v[40:41], v[42:43], v[40:41], 1.0
	v_mul_f64 v[42:43], v[56:57], -v[40:41]
.LBB18_114:
	s_or_b64 exec, exec, s[16:17]
.LBB18_115:
	s_or_b64 exec, exec, s[0:1]
	v_cmp_ne_u32_e32 vcc, v51, v50
	s_and_saveexec_b64 s[0:1], vcc
	s_xor_b64 s[0:1], exec, s[0:1]
	s_cbranch_execz .LBB18_121
; %bb.116:
	v_cmp_eq_u32_e32 vcc, 5, v51
	s_and_saveexec_b64 s[16:17], vcc
	s_cbranch_execz .LBB18_120
; %bb.117:
	v_cmp_ne_u32_e32 vcc, 5, v50
	s_xor_b64 s[18:19], s[14:15], -1
	s_and_b64 s[22:23], s[18:19], vcc
	s_and_saveexec_b64 s[18:19], s[22:23]
	s_cbranch_execz .LBB18_119
; %bb.118:
	v_ashrrev_i32_e32 v51, 31, v50
	v_lshl_add_u64 v[56:57], v[50:51], 2, v[48:49]
	global_load_dword v51, v[56:57], off
	global_load_dword v53, v[48:49], off offset:20
	s_waitcnt vmcnt(1)
	global_store_dword v[48:49], v51, off offset:20
	s_waitcnt vmcnt(1)
	global_store_dword v[56:57], v53, off
.LBB18_119:
	s_or_b64 exec, exec, s[18:19]
	v_mov_b32_e32 v51, v50
	v_mov_b32_e32 v54, v50
.LBB18_120:
	s_or_b64 exec, exec, s[16:17]
.LBB18_121:
	s_andn2_saveexec_b64 s[0:1], s[0:1]
	s_cbranch_execz .LBB18_123
; %bb.122:
	v_mov_b32_e32 v51, 5
	s_waitcnt vmcnt(3)
	ds_write2_b64 v52, v[12:13], v[14:15] offset0:12 offset1:13
	s_waitcnt vmcnt(2)
	ds_write2_b64 v52, v[0:1], v[2:3] offset0:14 offset1:15
	;; [unrolled: 2-line block ×4, first 2 shown]
.LBB18_123:
	s_or_b64 exec, exec, s[0:1]
	v_cmp_lt_i32_e32 vcc, 5, v51
	s_waitcnt lgkmcnt(0)
	s_barrier
	s_and_saveexec_b64 s[0:1], vcc
	s_cbranch_execz .LBB18_125
; %bb.124:
	ds_read2_b64 v[56:59], v52 offset0:12 offset1:13
	v_mul_f64 v[60:61], v[40:41], v[10:11]
	v_mul_f64 v[10:11], v[42:43], v[10:11]
	v_fmac_f64_e32 v[60:61], v[42:43], v[8:9]
	v_fma_f64 v[8:9], v[40:41], v[8:9], -v[10:11]
	ds_read2_b64 v[40:43], v52 offset0:14 offset1:15
	s_waitcnt lgkmcnt(1)
	v_mul_f64 v[10:11], v[58:59], v[60:61]
	v_fma_f64 v[10:11], v[56:57], v[8:9], -v[10:11]
	v_mul_f64 v[56:57], v[56:57], v[60:61]
	v_fmac_f64_e32 v[56:57], v[58:59], v[8:9]
	s_waitcnt vmcnt(3)
	v_add_f64 v[12:13], v[12:13], -v[10:11]
	s_waitcnt lgkmcnt(0)
	v_mul_f64 v[10:11], v[42:43], v[60:61]
	v_add_f64 v[14:15], v[14:15], -v[56:57]
	v_fma_f64 v[10:11], v[40:41], v[8:9], -v[10:11]
	v_mul_f64 v[40:41], v[40:41], v[60:61]
	ds_read2_b64 v[56:59], v52 offset0:16 offset1:17
	v_fmac_f64_e32 v[40:41], v[42:43], v[8:9]
	s_waitcnt vmcnt(2)
	v_add_f64 v[2:3], v[2:3], -v[40:41]
	ds_read2_b64 v[40:43], v52 offset0:18 offset1:19
	v_add_f64 v[0:1], v[0:1], -v[10:11]
	s_waitcnt lgkmcnt(1)
	v_mul_f64 v[10:11], v[58:59], v[60:61]
	v_fma_f64 v[10:11], v[56:57], v[8:9], -v[10:11]
	s_waitcnt vmcnt(1)
	v_add_f64 v[4:5], v[4:5], -v[10:11]
	s_waitcnt lgkmcnt(0)
	v_mul_f64 v[10:11], v[42:43], v[60:61]
	v_mul_f64 v[56:57], v[56:57], v[60:61]
	v_fma_f64 v[10:11], v[40:41], v[8:9], -v[10:11]
	v_mul_f64 v[40:41], v[40:41], v[60:61]
	v_fmac_f64_e32 v[56:57], v[58:59], v[8:9]
	v_fmac_f64_e32 v[40:41], v[42:43], v[8:9]
	v_add_f64 v[6:7], v[6:7], -v[56:57]
	s_waitcnt vmcnt(0)
	v_add_f64 v[36:37], v[36:37], -v[10:11]
	v_add_f64 v[38:39], v[38:39], -v[40:41]
	v_mov_b64_e32 v[10:11], v[60:61]
.LBB18_125:
	s_or_b64 exec, exec, s[0:1]
	v_lshl_add_u32 v40, v51, 4, v52
	s_barrier
	s_waitcnt vmcnt(3)
	ds_write2_b64 v40, v[12:13], v[14:15] offset1:1
	s_waitcnt lgkmcnt(0)
	s_barrier
	ds_read2_b64 v[40:43], v52 offset0:12 offset1:13
	s_cmp_lt_i32 s20, 8
	v_mov_b32_e32 v50, 6
	s_cbranch_scc1 .LBB18_128
; %bb.126:
	v_add_u32_e32 v53, 0x70, v52
	s_mov_b32 s16, 7
	v_mov_b32_e32 v50, 6
.LBB18_127:                             ; =>This Inner Loop Header: Depth=1
	ds_read2_b64 v[56:59], v53 offset1:1
	s_waitcnt lgkmcnt(1)
	v_xor_b32_e32 v61, 0x80000000, v41
	v_xor_b32_e32 v63, 0x80000000, v43
	v_cmp_gt_f64_e32 vcc, 0, v[42:43]
	v_cmp_gt_f64_e64 s[0:1], 0, v[40:41]
	v_mov_b32_e32 v60, v40
	v_mov_b32_e32 v62, v42
	v_cndmask_b32_e64 v61, v41, v61, s[0:1]
	v_cndmask_b32_e32 v63, v43, v63, vcc
	v_add_f64 v[60:61], v[60:61], v[62:63]
	s_waitcnt lgkmcnt(0)
	v_xor_b32_e32 v63, 0x80000000, v57
	v_xor_b32_e32 v65, 0x80000000, v59
	v_cmp_gt_f64_e32 vcc, 0, v[58:59]
	v_cmp_gt_f64_e64 s[0:1], 0, v[56:57]
	v_mov_b32_e32 v62, v56
	v_mov_b32_e32 v64, v58
	v_cndmask_b32_e64 v63, v57, v63, s[0:1]
	v_cndmask_b32_e32 v65, v59, v65, vcc
	v_add_f64 v[62:63], v[62:63], v[64:65]
	v_mov_b32_e32 v66, s16
	s_add_i32 s16, s16, 1
	v_cmp_lt_f64_e32 vcc, v[60:61], v[62:63]
	v_add_u32_e32 v53, 16, v53
	s_cmp_lg_u32 s20, s16
	v_cndmask_b32_e32 v41, v41, v57, vcc
	v_cndmask_b32_e32 v40, v40, v56, vcc
	;; [unrolled: 1-line block ×5, first 2 shown]
	s_cbranch_scc1 .LBB18_127
.LBB18_128:
	s_waitcnt lgkmcnt(0)
	v_cmp_eq_f64_e32 vcc, 0, v[40:41]
	v_cmp_eq_f64_e64 s[0:1], 0, v[42:43]
	s_and_b64 s[0:1], vcc, s[0:1]
	s_and_saveexec_b64 s[16:17], s[0:1]
	s_xor_b64 s[0:1], exec, s[16:17]
; %bb.129:
	v_cmp_ne_u32_e32 vcc, 0, v55
	s_nop 1
	v_cndmask_b32_e32 v55, 7, v55, vcc
; %bb.130:
	s_andn2_saveexec_b64 s[0:1], s[0:1]
	s_cbranch_execz .LBB18_136
; %bb.131:
	v_cmp_ngt_f64_e64 s[16:17], |v[40:41]|, |v[42:43]|
	s_and_saveexec_b64 s[18:19], s[16:17]
	s_xor_b64 s[16:17], exec, s[18:19]
	s_cbranch_execz .LBB18_133
; %bb.132:
	v_div_scale_f64 v[56:57], s[18:19], v[42:43], v[42:43], v[40:41]
	v_rcp_f64_e32 v[58:59], v[56:57]
	v_div_scale_f64 v[60:61], vcc, v[40:41], v[42:43], v[40:41]
	v_fma_f64 v[62:63], -v[56:57], v[58:59], 1.0
	v_fmac_f64_e32 v[58:59], v[58:59], v[62:63]
	v_fma_f64 v[62:63], -v[56:57], v[58:59], 1.0
	v_fmac_f64_e32 v[58:59], v[58:59], v[62:63]
	v_mul_f64 v[62:63], v[60:61], v[58:59]
	v_fma_f64 v[56:57], -v[56:57], v[62:63], v[60:61]
	v_div_fmas_f64 v[56:57], v[56:57], v[58:59], v[62:63]
	v_div_fixup_f64 v[56:57], v[56:57], v[42:43], v[40:41]
	v_fmac_f64_e32 v[42:43], v[40:41], v[56:57]
	v_div_scale_f64 v[40:41], s[18:19], v[42:43], v[42:43], 1.0
	v_rcp_f64_e32 v[58:59], v[40:41]
	s_nop 0
	v_fma_f64 v[60:61], -v[40:41], v[58:59], 1.0
	v_fmac_f64_e32 v[58:59], v[58:59], v[60:61]
	v_fma_f64 v[60:61], -v[40:41], v[58:59], 1.0
	v_fmac_f64_e32 v[58:59], v[58:59], v[60:61]
	v_div_scale_f64 v[60:61], vcc, 1.0, v[42:43], 1.0
	v_mul_f64 v[62:63], v[60:61], v[58:59]
	v_fma_f64 v[40:41], -v[40:41], v[62:63], v[60:61]
	s_nop 1
	v_div_fmas_f64 v[40:41], v[40:41], v[58:59], v[62:63]
	v_div_fixup_f64 v[42:43], v[40:41], v[42:43], 1.0
	v_mul_f64 v[40:41], v[56:57], v[42:43]
	v_xor_b32_e32 v43, 0x80000000, v43
.LBB18_133:
	s_andn2_saveexec_b64 s[16:17], s[16:17]
	s_cbranch_execz .LBB18_135
; %bb.134:
	v_div_scale_f64 v[56:57], s[18:19], v[40:41], v[40:41], v[42:43]
	v_rcp_f64_e32 v[58:59], v[56:57]
	v_div_scale_f64 v[60:61], vcc, v[42:43], v[40:41], v[42:43]
	v_fma_f64 v[62:63], -v[56:57], v[58:59], 1.0
	v_fmac_f64_e32 v[58:59], v[58:59], v[62:63]
	v_fma_f64 v[62:63], -v[56:57], v[58:59], 1.0
	v_fmac_f64_e32 v[58:59], v[58:59], v[62:63]
	v_mul_f64 v[62:63], v[60:61], v[58:59]
	v_fma_f64 v[56:57], -v[56:57], v[62:63], v[60:61]
	v_div_fmas_f64 v[56:57], v[56:57], v[58:59], v[62:63]
	v_div_fixup_f64 v[56:57], v[56:57], v[40:41], v[42:43]
	v_fmac_f64_e32 v[40:41], v[42:43], v[56:57]
	v_div_scale_f64 v[42:43], s[18:19], v[40:41], v[40:41], 1.0
	v_rcp_f64_e32 v[58:59], v[42:43]
	s_nop 0
	v_fma_f64 v[60:61], -v[42:43], v[58:59], 1.0
	v_fmac_f64_e32 v[58:59], v[58:59], v[60:61]
	v_fma_f64 v[60:61], -v[42:43], v[58:59], 1.0
	v_fmac_f64_e32 v[58:59], v[58:59], v[60:61]
	v_div_scale_f64 v[60:61], vcc, 1.0, v[40:41], 1.0
	v_mul_f64 v[62:63], v[60:61], v[58:59]
	v_fma_f64 v[42:43], -v[42:43], v[62:63], v[60:61]
	s_nop 1
	v_div_fmas_f64 v[42:43], v[42:43], v[58:59], v[62:63]
	v_div_fixup_f64 v[40:41], v[42:43], v[40:41], 1.0
	v_mul_f64 v[42:43], v[56:57], -v[40:41]
.LBB18_135:
	s_or_b64 exec, exec, s[16:17]
.LBB18_136:
	s_or_b64 exec, exec, s[0:1]
	v_cmp_ne_u32_e32 vcc, v51, v50
	s_and_saveexec_b64 s[0:1], vcc
	s_xor_b64 s[0:1], exec, s[0:1]
	s_cbranch_execz .LBB18_142
; %bb.137:
	v_cmp_eq_u32_e32 vcc, 6, v51
	s_and_saveexec_b64 s[16:17], vcc
	s_cbranch_execz .LBB18_141
; %bb.138:
	v_cmp_ne_u32_e32 vcc, 6, v50
	s_xor_b64 s[18:19], s[14:15], -1
	s_and_b64 s[22:23], s[18:19], vcc
	s_and_saveexec_b64 s[18:19], s[22:23]
	s_cbranch_execz .LBB18_140
; %bb.139:
	v_ashrrev_i32_e32 v51, 31, v50
	v_lshl_add_u64 v[56:57], v[50:51], 2, v[48:49]
	global_load_dword v51, v[56:57], off
	global_load_dword v53, v[48:49], off offset:24
	s_waitcnt vmcnt(1)
	global_store_dword v[48:49], v51, off offset:24
	s_waitcnt vmcnt(1)
	global_store_dword v[56:57], v53, off
.LBB18_140:
	s_or_b64 exec, exec, s[18:19]
	v_mov_b32_e32 v51, v50
	v_mov_b32_e32 v54, v50
.LBB18_141:
	s_or_b64 exec, exec, s[16:17]
.LBB18_142:
	s_andn2_saveexec_b64 s[0:1], s[0:1]
	s_cbranch_execz .LBB18_144
; %bb.143:
	v_mov_b32_e32 v51, 6
	s_waitcnt vmcnt(2)
	ds_write2_b64 v52, v[0:1], v[2:3] offset0:14 offset1:15
	s_waitcnt vmcnt(1)
	ds_write2_b64 v52, v[4:5], v[6:7] offset0:16 offset1:17
	;; [unrolled: 2-line block ×3, first 2 shown]
.LBB18_144:
	s_or_b64 exec, exec, s[0:1]
	v_cmp_lt_i32_e32 vcc, 6, v51
	s_waitcnt lgkmcnt(0)
	s_barrier
	s_and_saveexec_b64 s[0:1], vcc
	s_cbranch_execz .LBB18_146
; %bb.145:
	ds_read2_b64 v[56:59], v52 offset0:14 offset1:15
	v_mul_f64 v[60:61], v[40:41], v[14:15]
	v_fmac_f64_e32 v[60:61], v[42:43], v[12:13]
	v_mul_f64 v[14:15], v[42:43], v[14:15]
	v_fma_f64 v[12:13], v[40:41], v[12:13], -v[14:15]
	ds_read2_b64 v[40:43], v52 offset0:16 offset1:17
	s_waitcnt lgkmcnt(1)
	v_mul_f64 v[14:15], v[58:59], v[60:61]
	v_fma_f64 v[14:15], v[56:57], v[12:13], -v[14:15]
	v_mul_f64 v[56:57], v[56:57], v[60:61]
	v_fmac_f64_e32 v[56:57], v[58:59], v[12:13]
	s_waitcnt vmcnt(2)
	v_add_f64 v[2:3], v[2:3], -v[56:57]
	ds_read2_b64 v[56:59], v52 offset0:18 offset1:19
	v_add_f64 v[0:1], v[0:1], -v[14:15]
	s_waitcnt lgkmcnt(1)
	v_mul_f64 v[14:15], v[42:43], v[60:61]
	v_fma_f64 v[14:15], v[40:41], v[12:13], -v[14:15]
	v_mul_f64 v[40:41], v[40:41], v[60:61]
	v_fmac_f64_e32 v[40:41], v[42:43], v[12:13]
	s_waitcnt vmcnt(1)
	v_add_f64 v[4:5], v[4:5], -v[14:15]
	v_add_f64 v[6:7], v[6:7], -v[40:41]
	s_waitcnt lgkmcnt(0)
	v_mul_f64 v[14:15], v[58:59], v[60:61]
	v_mul_f64 v[40:41], v[56:57], v[60:61]
	v_fma_f64 v[14:15], v[56:57], v[12:13], -v[14:15]
	v_fmac_f64_e32 v[40:41], v[58:59], v[12:13]
	s_waitcnt vmcnt(0)
	v_add_f64 v[36:37], v[36:37], -v[14:15]
	v_add_f64 v[38:39], v[38:39], -v[40:41]
	v_mov_b64_e32 v[14:15], v[60:61]
.LBB18_146:
	s_or_b64 exec, exec, s[0:1]
	v_lshl_add_u32 v40, v51, 4, v52
	s_barrier
	s_waitcnt vmcnt(2)
	ds_write2_b64 v40, v[0:1], v[2:3] offset1:1
	s_waitcnt lgkmcnt(0)
	s_barrier
	ds_read2_b64 v[40:43], v52 offset0:14 offset1:15
	s_cmp_lt_i32 s20, 9
	v_mov_b32_e32 v50, 7
	s_cbranch_scc1 .LBB18_149
; %bb.147:
	v_add_u32_e32 v53, 0x80, v52
	s_mov_b32 s16, 8
	v_mov_b32_e32 v50, 7
.LBB18_148:                             ; =>This Inner Loop Header: Depth=1
	ds_read2_b64 v[56:59], v53 offset1:1
	s_waitcnt lgkmcnt(1)
	v_xor_b32_e32 v61, 0x80000000, v41
	v_xor_b32_e32 v63, 0x80000000, v43
	v_cmp_gt_f64_e32 vcc, 0, v[42:43]
	v_cmp_gt_f64_e64 s[0:1], 0, v[40:41]
	v_mov_b32_e32 v60, v40
	v_mov_b32_e32 v62, v42
	v_cndmask_b32_e64 v61, v41, v61, s[0:1]
	v_cndmask_b32_e32 v63, v43, v63, vcc
	v_add_f64 v[60:61], v[60:61], v[62:63]
	s_waitcnt lgkmcnt(0)
	v_xor_b32_e32 v63, 0x80000000, v57
	v_xor_b32_e32 v65, 0x80000000, v59
	v_cmp_gt_f64_e32 vcc, 0, v[58:59]
	v_cmp_gt_f64_e64 s[0:1], 0, v[56:57]
	v_mov_b32_e32 v62, v56
	v_mov_b32_e32 v64, v58
	v_cndmask_b32_e64 v63, v57, v63, s[0:1]
	v_cndmask_b32_e32 v65, v59, v65, vcc
	v_add_f64 v[62:63], v[62:63], v[64:65]
	v_mov_b32_e32 v66, s16
	s_add_i32 s16, s16, 1
	v_cmp_lt_f64_e32 vcc, v[60:61], v[62:63]
	v_add_u32_e32 v53, 16, v53
	s_cmp_lg_u32 s20, s16
	v_cndmask_b32_e32 v41, v41, v57, vcc
	v_cndmask_b32_e32 v40, v40, v56, vcc
	;; [unrolled: 1-line block ×5, first 2 shown]
	s_cbranch_scc1 .LBB18_148
.LBB18_149:
	s_waitcnt lgkmcnt(0)
	v_cmp_eq_f64_e32 vcc, 0, v[40:41]
	v_cmp_eq_f64_e64 s[0:1], 0, v[42:43]
	s_and_b64 s[0:1], vcc, s[0:1]
	s_and_saveexec_b64 s[16:17], s[0:1]
	s_xor_b64 s[0:1], exec, s[16:17]
; %bb.150:
	v_cmp_ne_u32_e32 vcc, 0, v55
	s_nop 1
	v_cndmask_b32_e32 v55, 8, v55, vcc
; %bb.151:
	s_andn2_saveexec_b64 s[0:1], s[0:1]
	s_cbranch_execz .LBB18_157
; %bb.152:
	v_cmp_ngt_f64_e64 s[16:17], |v[40:41]|, |v[42:43]|
	s_and_saveexec_b64 s[18:19], s[16:17]
	s_xor_b64 s[16:17], exec, s[18:19]
	s_cbranch_execz .LBB18_154
; %bb.153:
	v_div_scale_f64 v[56:57], s[18:19], v[42:43], v[42:43], v[40:41]
	v_rcp_f64_e32 v[58:59], v[56:57]
	v_div_scale_f64 v[60:61], vcc, v[40:41], v[42:43], v[40:41]
	v_fma_f64 v[62:63], -v[56:57], v[58:59], 1.0
	v_fmac_f64_e32 v[58:59], v[58:59], v[62:63]
	v_fma_f64 v[62:63], -v[56:57], v[58:59], 1.0
	v_fmac_f64_e32 v[58:59], v[58:59], v[62:63]
	v_mul_f64 v[62:63], v[60:61], v[58:59]
	v_fma_f64 v[56:57], -v[56:57], v[62:63], v[60:61]
	v_div_fmas_f64 v[56:57], v[56:57], v[58:59], v[62:63]
	v_div_fixup_f64 v[56:57], v[56:57], v[42:43], v[40:41]
	v_fmac_f64_e32 v[42:43], v[40:41], v[56:57]
	v_div_scale_f64 v[40:41], s[18:19], v[42:43], v[42:43], 1.0
	v_rcp_f64_e32 v[58:59], v[40:41]
	s_nop 0
	v_fma_f64 v[60:61], -v[40:41], v[58:59], 1.0
	v_fmac_f64_e32 v[58:59], v[58:59], v[60:61]
	v_fma_f64 v[60:61], -v[40:41], v[58:59], 1.0
	v_fmac_f64_e32 v[58:59], v[58:59], v[60:61]
	v_div_scale_f64 v[60:61], vcc, 1.0, v[42:43], 1.0
	v_mul_f64 v[62:63], v[60:61], v[58:59]
	v_fma_f64 v[40:41], -v[40:41], v[62:63], v[60:61]
	s_nop 1
	v_div_fmas_f64 v[40:41], v[40:41], v[58:59], v[62:63]
	v_div_fixup_f64 v[42:43], v[40:41], v[42:43], 1.0
	v_mul_f64 v[40:41], v[56:57], v[42:43]
	v_xor_b32_e32 v43, 0x80000000, v43
.LBB18_154:
	s_andn2_saveexec_b64 s[16:17], s[16:17]
	s_cbranch_execz .LBB18_156
; %bb.155:
	v_div_scale_f64 v[56:57], s[18:19], v[40:41], v[40:41], v[42:43]
	v_rcp_f64_e32 v[58:59], v[56:57]
	v_div_scale_f64 v[60:61], vcc, v[42:43], v[40:41], v[42:43]
	v_fma_f64 v[62:63], -v[56:57], v[58:59], 1.0
	v_fmac_f64_e32 v[58:59], v[58:59], v[62:63]
	v_fma_f64 v[62:63], -v[56:57], v[58:59], 1.0
	v_fmac_f64_e32 v[58:59], v[58:59], v[62:63]
	v_mul_f64 v[62:63], v[60:61], v[58:59]
	v_fma_f64 v[56:57], -v[56:57], v[62:63], v[60:61]
	v_div_fmas_f64 v[56:57], v[56:57], v[58:59], v[62:63]
	v_div_fixup_f64 v[56:57], v[56:57], v[40:41], v[42:43]
	v_fmac_f64_e32 v[40:41], v[42:43], v[56:57]
	v_div_scale_f64 v[42:43], s[18:19], v[40:41], v[40:41], 1.0
	v_rcp_f64_e32 v[58:59], v[42:43]
	s_nop 0
	v_fma_f64 v[60:61], -v[42:43], v[58:59], 1.0
	v_fmac_f64_e32 v[58:59], v[58:59], v[60:61]
	v_fma_f64 v[60:61], -v[42:43], v[58:59], 1.0
	v_fmac_f64_e32 v[58:59], v[58:59], v[60:61]
	v_div_scale_f64 v[60:61], vcc, 1.0, v[40:41], 1.0
	v_mul_f64 v[62:63], v[60:61], v[58:59]
	v_fma_f64 v[42:43], -v[42:43], v[62:63], v[60:61]
	s_nop 1
	v_div_fmas_f64 v[42:43], v[42:43], v[58:59], v[62:63]
	v_div_fixup_f64 v[40:41], v[42:43], v[40:41], 1.0
	v_mul_f64 v[42:43], v[56:57], -v[40:41]
.LBB18_156:
	s_or_b64 exec, exec, s[16:17]
.LBB18_157:
	s_or_b64 exec, exec, s[0:1]
	v_cmp_ne_u32_e32 vcc, v51, v50
	s_and_saveexec_b64 s[0:1], vcc
	s_xor_b64 s[0:1], exec, s[0:1]
	s_cbranch_execz .LBB18_163
; %bb.158:
	v_cmp_eq_u32_e32 vcc, 7, v51
	s_and_saveexec_b64 s[16:17], vcc
	s_cbranch_execz .LBB18_162
; %bb.159:
	v_cmp_ne_u32_e32 vcc, 7, v50
	s_xor_b64 s[18:19], s[14:15], -1
	s_and_b64 s[22:23], s[18:19], vcc
	s_and_saveexec_b64 s[18:19], s[22:23]
	s_cbranch_execz .LBB18_161
; %bb.160:
	v_ashrrev_i32_e32 v51, 31, v50
	v_lshl_add_u64 v[56:57], v[50:51], 2, v[48:49]
	global_load_dword v51, v[56:57], off
	global_load_dword v53, v[48:49], off offset:28
	s_waitcnt vmcnt(1)
	global_store_dword v[48:49], v51, off offset:28
	s_waitcnt vmcnt(1)
	global_store_dword v[56:57], v53, off
.LBB18_161:
	s_or_b64 exec, exec, s[18:19]
	v_mov_b32_e32 v51, v50
	v_mov_b32_e32 v54, v50
.LBB18_162:
	s_or_b64 exec, exec, s[16:17]
.LBB18_163:
	s_andn2_saveexec_b64 s[0:1], s[0:1]
	s_cbranch_execz .LBB18_165
; %bb.164:
	v_mov_b32_e32 v51, 7
	s_waitcnt vmcnt(1)
	ds_write2_b64 v52, v[4:5], v[6:7] offset0:16 offset1:17
	s_waitcnt vmcnt(0)
	ds_write2_b64 v52, v[36:37], v[38:39] offset0:18 offset1:19
.LBB18_165:
	s_or_b64 exec, exec, s[0:1]
	v_cmp_lt_i32_e32 vcc, 7, v51
	s_waitcnt lgkmcnt(0)
	s_barrier
	s_and_saveexec_b64 s[0:1], vcc
	s_cbranch_execz .LBB18_167
; %bb.166:
	ds_read2_b64 v[56:59], v52 offset0:16 offset1:17
	v_mul_f64 v[60:61], v[40:41], v[2:3]
	v_mul_f64 v[2:3], v[42:43], v[2:3]
	v_fmac_f64_e32 v[60:61], v[42:43], v[0:1]
	v_fma_f64 v[0:1], v[40:41], v[0:1], -v[2:3]
	ds_read2_b64 v[40:43], v52 offset0:18 offset1:19
	s_waitcnt lgkmcnt(1)
	v_mul_f64 v[2:3], v[58:59], v[60:61]
	v_fma_f64 v[2:3], v[56:57], v[0:1], -v[2:3]
	s_waitcnt vmcnt(1)
	v_add_f64 v[4:5], v[4:5], -v[2:3]
	v_mul_f64 v[56:57], v[56:57], v[60:61]
	s_waitcnt lgkmcnt(0)
	v_mul_f64 v[2:3], v[42:43], v[60:61]
	v_fma_f64 v[2:3], v[40:41], v[0:1], -v[2:3]
	v_mul_f64 v[40:41], v[40:41], v[60:61]
	v_fmac_f64_e32 v[56:57], v[58:59], v[0:1]
	v_fmac_f64_e32 v[40:41], v[42:43], v[0:1]
	v_add_f64 v[6:7], v[6:7], -v[56:57]
	s_waitcnt vmcnt(0)
	v_add_f64 v[36:37], v[36:37], -v[2:3]
	v_add_f64 v[38:39], v[38:39], -v[40:41]
	v_mov_b64_e32 v[2:3], v[60:61]
.LBB18_167:
	s_or_b64 exec, exec, s[0:1]
	v_lshl_add_u32 v40, v51, 4, v52
	s_barrier
	s_waitcnt vmcnt(1)
	ds_write2_b64 v40, v[4:5], v[6:7] offset1:1
	s_waitcnt lgkmcnt(0)
	s_barrier
	ds_read2_b64 v[40:43], v52 offset0:16 offset1:17
	s_cmp_lt_i32 s20, 10
	v_mov_b32_e32 v50, 8
	s_cbranch_scc1 .LBB18_170
; %bb.168:
	v_add_u32_e32 v53, 0x90, v52
	s_mov_b32 s16, 9
	v_mov_b32_e32 v50, 8
.LBB18_169:                             ; =>This Inner Loop Header: Depth=1
	ds_read2_b64 v[56:59], v53 offset1:1
	s_waitcnt lgkmcnt(1)
	v_xor_b32_e32 v61, 0x80000000, v41
	v_xor_b32_e32 v63, 0x80000000, v43
	v_cmp_gt_f64_e32 vcc, 0, v[42:43]
	v_cmp_gt_f64_e64 s[0:1], 0, v[40:41]
	v_mov_b32_e32 v60, v40
	v_mov_b32_e32 v62, v42
	v_cndmask_b32_e64 v61, v41, v61, s[0:1]
	v_cndmask_b32_e32 v63, v43, v63, vcc
	v_add_f64 v[60:61], v[60:61], v[62:63]
	s_waitcnt lgkmcnt(0)
	v_xor_b32_e32 v63, 0x80000000, v57
	v_xor_b32_e32 v65, 0x80000000, v59
	v_cmp_gt_f64_e32 vcc, 0, v[58:59]
	v_cmp_gt_f64_e64 s[0:1], 0, v[56:57]
	v_mov_b32_e32 v62, v56
	v_mov_b32_e32 v64, v58
	v_cndmask_b32_e64 v63, v57, v63, s[0:1]
	v_cndmask_b32_e32 v65, v59, v65, vcc
	v_add_f64 v[62:63], v[62:63], v[64:65]
	v_mov_b32_e32 v66, s16
	s_add_i32 s16, s16, 1
	v_cmp_lt_f64_e32 vcc, v[60:61], v[62:63]
	v_add_u32_e32 v53, 16, v53
	s_cmp_lg_u32 s20, s16
	v_cndmask_b32_e32 v41, v41, v57, vcc
	v_cndmask_b32_e32 v40, v40, v56, vcc
	;; [unrolled: 1-line block ×5, first 2 shown]
	s_cbranch_scc1 .LBB18_169
.LBB18_170:
	s_waitcnt lgkmcnt(0)
	v_cmp_eq_f64_e32 vcc, 0, v[40:41]
	v_cmp_eq_f64_e64 s[0:1], 0, v[42:43]
	s_and_b64 s[0:1], vcc, s[0:1]
	s_and_saveexec_b64 s[16:17], s[0:1]
	s_xor_b64 s[0:1], exec, s[16:17]
; %bb.171:
	v_cmp_ne_u32_e32 vcc, 0, v55
	s_nop 1
	v_cndmask_b32_e32 v55, 9, v55, vcc
; %bb.172:
	s_andn2_saveexec_b64 s[0:1], s[0:1]
	s_cbranch_execz .LBB18_178
; %bb.173:
	v_cmp_ngt_f64_e64 s[16:17], |v[40:41]|, |v[42:43]|
	s_and_saveexec_b64 s[18:19], s[16:17]
	s_xor_b64 s[16:17], exec, s[18:19]
	s_cbranch_execz .LBB18_175
; %bb.174:
	v_div_scale_f64 v[56:57], s[18:19], v[42:43], v[42:43], v[40:41]
	v_rcp_f64_e32 v[58:59], v[56:57]
	v_div_scale_f64 v[60:61], vcc, v[40:41], v[42:43], v[40:41]
	v_fma_f64 v[62:63], -v[56:57], v[58:59], 1.0
	v_fmac_f64_e32 v[58:59], v[58:59], v[62:63]
	v_fma_f64 v[62:63], -v[56:57], v[58:59], 1.0
	v_fmac_f64_e32 v[58:59], v[58:59], v[62:63]
	v_mul_f64 v[62:63], v[60:61], v[58:59]
	v_fma_f64 v[56:57], -v[56:57], v[62:63], v[60:61]
	v_div_fmas_f64 v[56:57], v[56:57], v[58:59], v[62:63]
	v_div_fixup_f64 v[56:57], v[56:57], v[42:43], v[40:41]
	v_fmac_f64_e32 v[42:43], v[40:41], v[56:57]
	v_div_scale_f64 v[40:41], s[18:19], v[42:43], v[42:43], 1.0
	v_rcp_f64_e32 v[58:59], v[40:41]
	s_nop 0
	v_fma_f64 v[60:61], -v[40:41], v[58:59], 1.0
	v_fmac_f64_e32 v[58:59], v[58:59], v[60:61]
	v_fma_f64 v[60:61], -v[40:41], v[58:59], 1.0
	v_fmac_f64_e32 v[58:59], v[58:59], v[60:61]
	v_div_scale_f64 v[60:61], vcc, 1.0, v[42:43], 1.0
	v_mul_f64 v[62:63], v[60:61], v[58:59]
	v_fma_f64 v[40:41], -v[40:41], v[62:63], v[60:61]
	s_nop 1
	v_div_fmas_f64 v[40:41], v[40:41], v[58:59], v[62:63]
	v_div_fixup_f64 v[42:43], v[40:41], v[42:43], 1.0
	v_mul_f64 v[40:41], v[56:57], v[42:43]
	v_xor_b32_e32 v43, 0x80000000, v43
.LBB18_175:
	s_andn2_saveexec_b64 s[16:17], s[16:17]
	s_cbranch_execz .LBB18_177
; %bb.176:
	v_div_scale_f64 v[56:57], s[18:19], v[40:41], v[40:41], v[42:43]
	v_rcp_f64_e32 v[58:59], v[56:57]
	v_div_scale_f64 v[60:61], vcc, v[42:43], v[40:41], v[42:43]
	v_fma_f64 v[62:63], -v[56:57], v[58:59], 1.0
	v_fmac_f64_e32 v[58:59], v[58:59], v[62:63]
	v_fma_f64 v[62:63], -v[56:57], v[58:59], 1.0
	v_fmac_f64_e32 v[58:59], v[58:59], v[62:63]
	v_mul_f64 v[62:63], v[60:61], v[58:59]
	v_fma_f64 v[56:57], -v[56:57], v[62:63], v[60:61]
	v_div_fmas_f64 v[56:57], v[56:57], v[58:59], v[62:63]
	v_div_fixup_f64 v[56:57], v[56:57], v[40:41], v[42:43]
	v_fmac_f64_e32 v[40:41], v[42:43], v[56:57]
	v_div_scale_f64 v[42:43], s[18:19], v[40:41], v[40:41], 1.0
	v_rcp_f64_e32 v[58:59], v[42:43]
	s_nop 0
	v_fma_f64 v[60:61], -v[42:43], v[58:59], 1.0
	v_fmac_f64_e32 v[58:59], v[58:59], v[60:61]
	v_fma_f64 v[60:61], -v[42:43], v[58:59], 1.0
	v_fmac_f64_e32 v[58:59], v[58:59], v[60:61]
	v_div_scale_f64 v[60:61], vcc, 1.0, v[40:41], 1.0
	v_mul_f64 v[62:63], v[60:61], v[58:59]
	v_fma_f64 v[42:43], -v[42:43], v[62:63], v[60:61]
	s_nop 1
	v_div_fmas_f64 v[42:43], v[42:43], v[58:59], v[62:63]
	v_div_fixup_f64 v[40:41], v[42:43], v[40:41], 1.0
	v_mul_f64 v[42:43], v[56:57], -v[40:41]
.LBB18_177:
	s_or_b64 exec, exec, s[16:17]
.LBB18_178:
	s_or_b64 exec, exec, s[0:1]
	v_cmp_ne_u32_e32 vcc, v51, v50
	s_and_saveexec_b64 s[0:1], vcc
	s_xor_b64 s[0:1], exec, s[0:1]
	s_cbranch_execz .LBB18_184
; %bb.179:
	v_cmp_eq_u32_e32 vcc, 8, v51
	s_and_saveexec_b64 s[16:17], vcc
	s_cbranch_execz .LBB18_183
; %bb.180:
	v_cmp_ne_u32_e32 vcc, 8, v50
	s_xor_b64 s[18:19], s[14:15], -1
	s_and_b64 s[22:23], s[18:19], vcc
	s_and_saveexec_b64 s[18:19], s[22:23]
	s_cbranch_execz .LBB18_182
; %bb.181:
	v_ashrrev_i32_e32 v51, 31, v50
	v_lshl_add_u64 v[56:57], v[50:51], 2, v[48:49]
	global_load_dword v51, v[56:57], off
	global_load_dword v53, v[48:49], off offset:32
	s_waitcnt vmcnt(1)
	global_store_dword v[48:49], v51, off offset:32
	s_waitcnt vmcnt(1)
	global_store_dword v[56:57], v53, off
.LBB18_182:
	s_or_b64 exec, exec, s[18:19]
	v_mov_b32_e32 v51, v50
	v_mov_b32_e32 v54, v50
.LBB18_183:
	s_or_b64 exec, exec, s[16:17]
.LBB18_184:
	s_andn2_saveexec_b64 s[0:1], s[0:1]
	s_cbranch_execz .LBB18_186
; %bb.185:
	v_mov_b32_e32 v51, 8
	s_waitcnt vmcnt(0)
	ds_write2_b64 v52, v[36:37], v[38:39] offset0:18 offset1:19
.LBB18_186:
	s_or_b64 exec, exec, s[0:1]
	v_cmp_lt_i32_e32 vcc, 8, v51
	s_waitcnt lgkmcnt(0)
	s_barrier
	s_and_saveexec_b64 s[0:1], vcc
	s_cbranch_execz .LBB18_188
; %bb.187:
	ds_read2_b64 v[56:59], v52 offset0:18 offset1:19
	v_mul_f64 v[60:61], v[40:41], v[6:7]
	v_mul_f64 v[6:7], v[42:43], v[6:7]
	v_fmac_f64_e32 v[60:61], v[42:43], v[4:5]
	v_fma_f64 v[4:5], v[40:41], v[4:5], -v[6:7]
	s_waitcnt lgkmcnt(0)
	v_mul_f64 v[6:7], v[58:59], v[60:61]
	v_mul_f64 v[40:41], v[56:57], v[60:61]
	v_fma_f64 v[6:7], v[56:57], v[4:5], -v[6:7]
	v_fmac_f64_e32 v[40:41], v[58:59], v[4:5]
	s_waitcnt vmcnt(0)
	v_add_f64 v[36:37], v[36:37], -v[6:7]
	v_add_f64 v[38:39], v[38:39], -v[40:41]
	v_mov_b64_e32 v[6:7], v[60:61]
.LBB18_188:
	s_or_b64 exec, exec, s[0:1]
	v_lshl_add_u32 v40, v51, 4, v52
	s_barrier
	s_waitcnt vmcnt(0)
	ds_write2_b64 v40, v[36:37], v[38:39] offset1:1
	s_waitcnt lgkmcnt(0)
	s_barrier
	ds_read2_b64 v[40:43], v52 offset0:18 offset1:19
	s_cmp_lt_i32 s20, 11
	v_mov_b32_e32 v50, 9
	s_cbranch_scc1 .LBB18_191
; %bb.189:
	v_add_u32_e32 v52, 0xa0, v52
	s_mov_b32 s16, 10
	v_mov_b32_e32 v50, 9
.LBB18_190:                             ; =>This Inner Loop Header: Depth=1
	ds_read2_b64 v[56:59], v52 offset1:1
	s_waitcnt lgkmcnt(1)
	v_xor_b32_e32 v53, 0x80000000, v41
	v_xor_b32_e32 v63, 0x80000000, v43
	v_cmp_gt_f64_e32 vcc, 0, v[42:43]
	v_cmp_gt_f64_e64 s[0:1], 0, v[40:41]
	v_mov_b32_e32 v60, v40
	v_mov_b32_e32 v62, v42
	v_cndmask_b32_e64 v61, v41, v53, s[0:1]
	v_cndmask_b32_e32 v63, v43, v63, vcc
	s_waitcnt lgkmcnt(0)
	v_xor_b32_e32 v53, 0x80000000, v57
	v_xor_b32_e32 v65, 0x80000000, v59
	v_cmp_gt_f64_e32 vcc, 0, v[58:59]
	v_cmp_gt_f64_e64 s[0:1], 0, v[56:57]
	v_add_f64 v[60:61], v[60:61], v[62:63]
	v_mov_b32_e32 v62, v56
	v_mov_b32_e32 v64, v58
	v_cndmask_b32_e64 v63, v57, v53, s[0:1]
	v_cndmask_b32_e32 v65, v59, v65, vcc
	v_add_f64 v[62:63], v[62:63], v[64:65]
	v_mov_b32_e32 v66, s16
	s_add_i32 s16, s16, 1
	v_cmp_lt_f64_e32 vcc, v[60:61], v[62:63]
	v_add_u32_e32 v52, 16, v52
	s_cmp_lg_u32 s20, s16
	v_cndmask_b32_e32 v41, v41, v57, vcc
	v_cndmask_b32_e32 v40, v40, v56, vcc
	;; [unrolled: 1-line block ×5, first 2 shown]
	s_cbranch_scc1 .LBB18_190
.LBB18_191:
	s_waitcnt lgkmcnt(0)
	v_cmp_eq_f64_e32 vcc, 0, v[40:41]
	v_cmp_eq_f64_e64 s[0:1], 0, v[42:43]
	s_and_b64 s[0:1], vcc, s[0:1]
	s_and_saveexec_b64 s[16:17], s[0:1]
	s_xor_b64 s[0:1], exec, s[16:17]
; %bb.192:
	v_cmp_ne_u32_e32 vcc, 0, v55
	s_nop 1
	v_cndmask_b32_e32 v55, 10, v55, vcc
; %bb.193:
	s_andn2_saveexec_b64 s[0:1], s[0:1]
	s_cbranch_execz .LBB18_199
; %bb.194:
	v_cmp_ngt_f64_e64 s[16:17], |v[40:41]|, |v[42:43]|
	s_and_saveexec_b64 s[18:19], s[16:17]
	s_xor_b64 s[16:17], exec, s[18:19]
	s_cbranch_execz .LBB18_196
; %bb.195:
	v_div_scale_f64 v[52:53], s[18:19], v[42:43], v[42:43], v[40:41]
	v_rcp_f64_e32 v[56:57], v[52:53]
	v_div_scale_f64 v[58:59], vcc, v[40:41], v[42:43], v[40:41]
	v_fma_f64 v[60:61], -v[52:53], v[56:57], 1.0
	v_fmac_f64_e32 v[56:57], v[56:57], v[60:61]
	v_fma_f64 v[60:61], -v[52:53], v[56:57], 1.0
	v_fmac_f64_e32 v[56:57], v[56:57], v[60:61]
	v_mul_f64 v[60:61], v[58:59], v[56:57]
	v_fma_f64 v[52:53], -v[52:53], v[60:61], v[58:59]
	v_div_fmas_f64 v[52:53], v[52:53], v[56:57], v[60:61]
	v_div_fixup_f64 v[52:53], v[52:53], v[42:43], v[40:41]
	v_fmac_f64_e32 v[42:43], v[40:41], v[52:53]
	v_div_scale_f64 v[40:41], s[18:19], v[42:43], v[42:43], 1.0
	v_rcp_f64_e32 v[56:57], v[40:41]
	s_nop 0
	v_fma_f64 v[58:59], -v[40:41], v[56:57], 1.0
	v_fmac_f64_e32 v[56:57], v[56:57], v[58:59]
	v_fma_f64 v[58:59], -v[40:41], v[56:57], 1.0
	v_fmac_f64_e32 v[56:57], v[56:57], v[58:59]
	v_div_scale_f64 v[58:59], vcc, 1.0, v[42:43], 1.0
	v_mul_f64 v[60:61], v[58:59], v[56:57]
	v_fma_f64 v[40:41], -v[40:41], v[60:61], v[58:59]
	s_nop 1
	v_div_fmas_f64 v[40:41], v[40:41], v[56:57], v[60:61]
	v_div_fixup_f64 v[42:43], v[40:41], v[42:43], 1.0
	v_mul_f64 v[40:41], v[52:53], v[42:43]
	v_xor_b32_e32 v43, 0x80000000, v43
.LBB18_196:
	s_andn2_saveexec_b64 s[16:17], s[16:17]
	s_cbranch_execz .LBB18_198
; %bb.197:
	v_div_scale_f64 v[52:53], s[18:19], v[40:41], v[40:41], v[42:43]
	v_rcp_f64_e32 v[56:57], v[52:53]
	v_div_scale_f64 v[58:59], vcc, v[42:43], v[40:41], v[42:43]
	v_fma_f64 v[60:61], -v[52:53], v[56:57], 1.0
	v_fmac_f64_e32 v[56:57], v[56:57], v[60:61]
	v_fma_f64 v[60:61], -v[52:53], v[56:57], 1.0
	v_fmac_f64_e32 v[56:57], v[56:57], v[60:61]
	v_mul_f64 v[60:61], v[58:59], v[56:57]
	v_fma_f64 v[52:53], -v[52:53], v[60:61], v[58:59]
	v_div_fmas_f64 v[52:53], v[52:53], v[56:57], v[60:61]
	v_div_fixup_f64 v[52:53], v[52:53], v[40:41], v[42:43]
	v_fmac_f64_e32 v[40:41], v[42:43], v[52:53]
	v_div_scale_f64 v[42:43], s[18:19], v[40:41], v[40:41], 1.0
	v_rcp_f64_e32 v[56:57], v[42:43]
	s_nop 0
	v_fma_f64 v[58:59], -v[42:43], v[56:57], 1.0
	v_fmac_f64_e32 v[56:57], v[56:57], v[58:59]
	v_fma_f64 v[58:59], -v[42:43], v[56:57], 1.0
	v_fmac_f64_e32 v[56:57], v[56:57], v[58:59]
	v_div_scale_f64 v[58:59], vcc, 1.0, v[40:41], 1.0
	v_mul_f64 v[60:61], v[58:59], v[56:57]
	v_fma_f64 v[42:43], -v[42:43], v[60:61], v[58:59]
	s_nop 1
	v_div_fmas_f64 v[42:43], v[42:43], v[56:57], v[60:61]
	v_div_fixup_f64 v[40:41], v[42:43], v[40:41], 1.0
	v_mul_f64 v[42:43], v[52:53], -v[40:41]
.LBB18_198:
	s_or_b64 exec, exec, s[16:17]
.LBB18_199:
	s_or_b64 exec, exec, s[0:1]
	v_cmp_ne_u32_e32 vcc, v51, v50
	v_mov_b32_e32 v52, 9
	s_and_saveexec_b64 s[0:1], vcc
	s_cbranch_execz .LBB18_205
; %bb.200:
	v_cmp_eq_u32_e32 vcc, 9, v51
	s_and_saveexec_b64 s[16:17], vcc
	s_cbranch_execz .LBB18_204
; %bb.201:
	v_cmp_ne_u32_e32 vcc, 9, v50
	s_xor_b64 s[14:15], s[14:15], -1
	s_and_b64 s[18:19], s[14:15], vcc
	s_and_saveexec_b64 s[14:15], s[18:19]
	s_cbranch_execz .LBB18_203
; %bb.202:
	v_ashrrev_i32_e32 v51, 31, v50
	v_lshl_add_u64 v[52:53], v[50:51], 2, v[48:49]
	global_load_dword v51, v[52:53], off
	global_load_dword v54, v[48:49], off offset:36
	s_waitcnt vmcnt(1)
	global_store_dword v[48:49], v51, off offset:36
	s_waitcnt vmcnt(1)
	global_store_dword v[52:53], v54, off
.LBB18_203:
	s_or_b64 exec, exec, s[14:15]
	v_mov_b32_e32 v51, v50
	v_mov_b32_e32 v54, v50
.LBB18_204:
	s_or_b64 exec, exec, s[16:17]
	v_mov_b32_e32 v52, v51
.LBB18_205:
	s_or_b64 exec, exec, s[0:1]
	v_cmp_gt_i32_e32 vcc, 10, v52
	v_ashrrev_i32_e32 v53, 31, v52
	s_barrier
	s_barrier
	s_and_saveexec_b64 s[0:1], vcc
	s_cbranch_execz .LBB18_207
; %bb.206:
	v_mov_b32_e32 v48, s6
	v_mov_b32_e32 v49, s7
	v_mul_lo_u32 v56, s11, v46
	v_mul_lo_u32 v57, s10, v47
	v_mad_u64_u32 v[50:51], s[6:7], s10, v46, 0
	v_add3_u32 v51, v51, v57, v56
	v_lshl_add_u64 v[48:49], v[50:51], 2, v[48:49]
	v_lshl_add_u64 v[48:49], s[8:9], 2, v[48:49]
	v_lshl_add_u64 v[48:49], v[52:53], 2, v[48:49]
	v_add3_u32 v50, v54, s13, 1
	global_store_dword v[48:49], v50, off
.LBB18_207:
	s_or_b64 exec, exec, s[0:1]
	v_cmp_eq_u32_e32 vcc, 0, v52
	s_and_saveexec_b64 s[6:7], vcc
	s_cbranch_execz .LBB18_210
; %bb.208:
	v_mov_b32_e32 v48, s4
	v_mov_b32_e32 v49, s5
	v_lshl_add_u64 v[46:47], v[46:47], 2, v[48:49]
	global_load_dword v48, v[46:47], off
	v_cmp_ne_u32_e64 s[0:1], 0, v55
	s_waitcnt vmcnt(0)
	v_cmp_eq_u32_e32 vcc, 0, v48
	s_and_b64 s[0:1], vcc, s[0:1]
	s_and_b64 exec, exec, s[0:1]
	s_cbranch_execz .LBB18_210
; %bb.209:
	v_add_u32_e32 v48, s13, v55
	global_store_dword v[46:47], v48, off
.LBB18_210:
	s_or_b64 exec, exec, s[6:7]
	v_mul_f64 v[46:47], v[42:43], v[38:39]
	v_fma_f64 v[46:47], v[40:41], v[36:37], -v[46:47]
	v_mul_f64 v[40:41], v[40:41], v[38:39]
	v_fmac_f64_e32 v[40:41], v[42:43], v[36:37]
	v_cmp_lt_i32_e32 vcc, 9, v52
	s_nop 1
	v_cndmask_b32_e32 v39, v39, v41, vcc
	v_cndmask_b32_e32 v38, v38, v40, vcc
	v_lshl_add_u64 v[40:41], v[52:53], 4, v[44:45]
	global_store_dwordx4 v[40:41], v[28:31], off
	v_cndmask_b32_e32 v37, v37, v47, vcc
	v_cndmask_b32_e32 v36, v36, v46, vcc
	v_lshl_add_u64 v[28:29], s[2:3], 4, v[40:41]
	global_store_dwordx4 v[28:29], v[24:27], off
	s_nop 1
	v_add_u32_e32 v24, s12, v52
	v_ashrrev_i32_e32 v25, 31, v24
	v_lshl_add_u64 v[26:27], v[24:25], 4, v[44:45]
	v_add_u32_e32 v24, s2, v24
	v_ashrrev_i32_e32 v25, 31, v24
	global_store_dwordx4 v[26:27], v[32:35], off
	v_lshl_add_u64 v[26:27], v[24:25], 4, v[44:45]
	global_store_dwordx4 v[26:27], v[16:19], off
	s_nop 1
	v_add_u32_e32 v16, s2, v24
	v_ashrrev_i32_e32 v17, 31, v16
	v_lshl_add_u64 v[18:19], v[16:17], 4, v[44:45]
	v_add_u32_e32 v16, s2, v16
	v_ashrrev_i32_e32 v17, 31, v16
	global_store_dwordx4 v[18:19], v[20:23], off
	;; [unrolled: 9-line block ×3, first 2 shown]
	v_lshl_add_u64 v[10:11], v[8:9], 4, v[44:45]
	global_store_dwordx4 v[10:11], v[0:3], off
	s_nop 1
	v_add_u32_e32 v0, s2, v8
	v_ashrrev_i32_e32 v1, 31, v0
	v_lshl_add_u64 v[2:3], v[0:1], 4, v[44:45]
	v_add_u32_e32 v0, s2, v0
	v_ashrrev_i32_e32 v1, 31, v0
	v_lshl_add_u64 v[0:1], v[0:1], 4, v[44:45]
	global_store_dwordx4 v[2:3], v[4:7], off
	global_store_dwordx4 v[0:1], v[36:39], off
.LBB18_211:
	s_endpgm
	.section	.rodata,"a",@progbits
	.p2align	6, 0x0
	.amdhsa_kernel _ZN9rocsolver6v33100L18getf2_small_kernelILi10E19rocblas_complex_numIdEiiPS3_EEvT1_T3_lS5_lPS5_llPT2_S5_S5_S7_l
		.amdhsa_group_segment_fixed_size 0
		.amdhsa_private_segment_fixed_size 0
		.amdhsa_kernarg_size 352
		.amdhsa_user_sgpr_count 2
		.amdhsa_user_sgpr_dispatch_ptr 0
		.amdhsa_user_sgpr_queue_ptr 0
		.amdhsa_user_sgpr_kernarg_segment_ptr 1
		.amdhsa_user_sgpr_dispatch_id 0
		.amdhsa_user_sgpr_kernarg_preload_length 0
		.amdhsa_user_sgpr_kernarg_preload_offset 0
		.amdhsa_user_sgpr_private_segment_size 0
		.amdhsa_uses_dynamic_stack 0
		.amdhsa_enable_private_segment 0
		.amdhsa_system_sgpr_workgroup_id_x 1
		.amdhsa_system_sgpr_workgroup_id_y 1
		.amdhsa_system_sgpr_workgroup_id_z 0
		.amdhsa_system_sgpr_workgroup_info 0
		.amdhsa_system_vgpr_workitem_id 1
		.amdhsa_next_free_vgpr 69
		.amdhsa_next_free_sgpr 24
		.amdhsa_accum_offset 72
		.amdhsa_reserve_vcc 1
		.amdhsa_float_round_mode_32 0
		.amdhsa_float_round_mode_16_64 0
		.amdhsa_float_denorm_mode_32 3
		.amdhsa_float_denorm_mode_16_64 3
		.amdhsa_dx10_clamp 1
		.amdhsa_ieee_mode 1
		.amdhsa_fp16_overflow 0
		.amdhsa_tg_split 0
		.amdhsa_exception_fp_ieee_invalid_op 0
		.amdhsa_exception_fp_denorm_src 0
		.amdhsa_exception_fp_ieee_div_zero 0
		.amdhsa_exception_fp_ieee_overflow 0
		.amdhsa_exception_fp_ieee_underflow 0
		.amdhsa_exception_fp_ieee_inexact 0
		.amdhsa_exception_int_div_zero 0
	.end_amdhsa_kernel
	.section	.text._ZN9rocsolver6v33100L18getf2_small_kernelILi10E19rocblas_complex_numIdEiiPS3_EEvT1_T3_lS5_lPS5_llPT2_S5_S5_S7_l,"axG",@progbits,_ZN9rocsolver6v33100L18getf2_small_kernelILi10E19rocblas_complex_numIdEiiPS3_EEvT1_T3_lS5_lPS5_llPT2_S5_S5_S7_l,comdat
.Lfunc_end18:
	.size	_ZN9rocsolver6v33100L18getf2_small_kernelILi10E19rocblas_complex_numIdEiiPS3_EEvT1_T3_lS5_lPS5_llPT2_S5_S5_S7_l, .Lfunc_end18-_ZN9rocsolver6v33100L18getf2_small_kernelILi10E19rocblas_complex_numIdEiiPS3_EEvT1_T3_lS5_lPS5_llPT2_S5_S5_S7_l
                                        ; -- End function
	.set _ZN9rocsolver6v33100L18getf2_small_kernelILi10E19rocblas_complex_numIdEiiPS3_EEvT1_T3_lS5_lPS5_llPT2_S5_S5_S7_l.num_vgpr, 69
	.set _ZN9rocsolver6v33100L18getf2_small_kernelILi10E19rocblas_complex_numIdEiiPS3_EEvT1_T3_lS5_lPS5_llPT2_S5_S5_S7_l.num_agpr, 0
	.set _ZN9rocsolver6v33100L18getf2_small_kernelILi10E19rocblas_complex_numIdEiiPS3_EEvT1_T3_lS5_lPS5_llPT2_S5_S5_S7_l.numbered_sgpr, 24
	.set _ZN9rocsolver6v33100L18getf2_small_kernelILi10E19rocblas_complex_numIdEiiPS3_EEvT1_T3_lS5_lPS5_llPT2_S5_S5_S7_l.num_named_barrier, 0
	.set _ZN9rocsolver6v33100L18getf2_small_kernelILi10E19rocblas_complex_numIdEiiPS3_EEvT1_T3_lS5_lPS5_llPT2_S5_S5_S7_l.private_seg_size, 0
	.set _ZN9rocsolver6v33100L18getf2_small_kernelILi10E19rocblas_complex_numIdEiiPS3_EEvT1_T3_lS5_lPS5_llPT2_S5_S5_S7_l.uses_vcc, 1
	.set _ZN9rocsolver6v33100L18getf2_small_kernelILi10E19rocblas_complex_numIdEiiPS3_EEvT1_T3_lS5_lPS5_llPT2_S5_S5_S7_l.uses_flat_scratch, 0
	.set _ZN9rocsolver6v33100L18getf2_small_kernelILi10E19rocblas_complex_numIdEiiPS3_EEvT1_T3_lS5_lPS5_llPT2_S5_S5_S7_l.has_dyn_sized_stack, 0
	.set _ZN9rocsolver6v33100L18getf2_small_kernelILi10E19rocblas_complex_numIdEiiPS3_EEvT1_T3_lS5_lPS5_llPT2_S5_S5_S7_l.has_recursion, 0
	.set _ZN9rocsolver6v33100L18getf2_small_kernelILi10E19rocblas_complex_numIdEiiPS3_EEvT1_T3_lS5_lPS5_llPT2_S5_S5_S7_l.has_indirect_call, 0
	.section	.AMDGPU.csdata,"",@progbits
; Kernel info:
; codeLenInByte = 12780
; TotalNumSgprs: 30
; NumVgprs: 69
; NumAgprs: 0
; TotalNumVgprs: 69
; ScratchSize: 0
; MemoryBound: 0
; FloatMode: 240
; IeeeMode: 1
; LDSByteSize: 0 bytes/workgroup (compile time only)
; SGPRBlocks: 3
; VGPRBlocks: 8
; NumSGPRsForWavesPerEU: 30
; NumVGPRsForWavesPerEU: 69
; AccumOffset: 72
; Occupancy: 7
; WaveLimiterHint : 0
; COMPUTE_PGM_RSRC2:SCRATCH_EN: 0
; COMPUTE_PGM_RSRC2:USER_SGPR: 2
; COMPUTE_PGM_RSRC2:TRAP_HANDLER: 0
; COMPUTE_PGM_RSRC2:TGID_X_EN: 1
; COMPUTE_PGM_RSRC2:TGID_Y_EN: 1
; COMPUTE_PGM_RSRC2:TGID_Z_EN: 0
; COMPUTE_PGM_RSRC2:TIDIG_COMP_CNT: 1
; COMPUTE_PGM_RSRC3_GFX90A:ACCUM_OFFSET: 17
; COMPUTE_PGM_RSRC3_GFX90A:TG_SPLIT: 0
	.section	.text._ZN9rocsolver6v33100L23getf2_npvt_small_kernelILi10E19rocblas_complex_numIdEiiPS3_EEvT1_T3_lS5_lPT2_S5_S5_,"axG",@progbits,_ZN9rocsolver6v33100L23getf2_npvt_small_kernelILi10E19rocblas_complex_numIdEiiPS3_EEvT1_T3_lS5_lPT2_S5_S5_,comdat
	.globl	_ZN9rocsolver6v33100L23getf2_npvt_small_kernelILi10E19rocblas_complex_numIdEiiPS3_EEvT1_T3_lS5_lPT2_S5_S5_ ; -- Begin function _ZN9rocsolver6v33100L23getf2_npvt_small_kernelILi10E19rocblas_complex_numIdEiiPS3_EEvT1_T3_lS5_lPT2_S5_S5_
	.p2align	8
	.type	_ZN9rocsolver6v33100L23getf2_npvt_small_kernelILi10E19rocblas_complex_numIdEiiPS3_EEvT1_T3_lS5_lPT2_S5_S5_,@function
_ZN9rocsolver6v33100L23getf2_npvt_small_kernelILi10E19rocblas_complex_numIdEiiPS3_EEvT1_T3_lS5_lPT2_S5_S5_: ; @_ZN9rocsolver6v33100L23getf2_npvt_small_kernelILi10E19rocblas_complex_numIdEiiPS3_EEvT1_T3_lS5_lPT2_S5_S5_
; %bb.0:
	s_load_dword s2, s[0:1], 0x44
	s_load_dwordx2 s[40:41], s[0:1], 0x30
	v_bfe_u32 v40, v0, 10, 10
	s_waitcnt lgkmcnt(0)
	s_lshr_b32 s8, s2, 16
	s_mul_i32 s3, s3, s8
	v_add_u32_e32 v94, s3, v40
	v_cmp_gt_i32_e32 vcc, s40, v94
	s_and_saveexec_b64 s[2:3], vcc
	s_cbranch_execz .LBB19_93
; %bb.1:
	s_load_dwordx4 s[12:15], s[0:1], 0x8
	s_load_dword s2, s[0:1], 0x18
	s_load_dwordx4 s[4:7], s[0:1], 0x20
	v_and_b32_e32 v102, 0x3ff, v0
	v_ashrrev_i32_e32 v95, 31, v94
	s_waitcnt lgkmcnt(0)
	v_mov_b32_e32 v2, s12
	v_mov_b32_e32 v3, s13
	v_mad_u64_u32 v[0:1], s[0:1], s4, v94, 0
	v_mul_lo_u32 v4, s5, v94
	v_mul_lo_u32 v5, s4, v95
	s_add_i32 s0, s2, s2
	v_add3_u32 v1, v1, v5, v4
	v_add_u32_e32 v8, s0, v102
	v_lshl_add_u64 v[0:1], v[0:1], 4, v[2:3]
	v_add_u32_e32 v16, s2, v8
	v_lshl_add_u64 v[32:33], s[14:15], 4, v[0:1]
	v_ashrrev_i32_e32 v17, 31, v16
	v_lshl_add_u64 v[86:87], v[16:17], 4, v[32:33]
	v_add_u32_e32 v16, s2, v16
	v_add_u32_e32 v24, s2, v16
	v_ashrrev_i32_e32 v25, 31, v24
	v_lshl_add_u64 v[90:91], v[24:25], 4, v[32:33]
	v_add_u32_e32 v24, s2, v24
	v_add_u32_e32 v34, s2, v24
	v_ashrrev_i32_e32 v35, 31, v34
	v_lshl_add_u64 v[96:97], v[34:35], 4, v[32:33]
	v_add_u32_e32 v34, s2, v34
	v_ashrrev_i32_e32 v35, 31, v34
	v_lshlrev_b32_e32 v0, 4, v102
	v_mov_b32_e32 v1, 0
	v_ashrrev_i32_e32 v9, 31, v8
	v_ashrrev_i32_e32 v17, 31, v16
	;; [unrolled: 1-line block ×3, first 2 shown]
	v_lshl_add_u64 v[98:99], v[34:35], 4, v[32:33]
	v_add_u32_e32 v34, s2, v34
	s_ashr_i32 s3, s2, 31
	v_lshl_add_u64 v[80:81], v[32:33], 0, v[0:1]
	v_lshl_add_u64 v[84:85], v[8:9], 4, v[32:33]
	;; [unrolled: 1-line block ×4, first 2 shown]
	v_ashrrev_i32_e32 v35, 31, v34
	v_lshl_add_u64 v[82:83], s[2:3], 4, v[80:81]
	global_load_dwordx4 v[4:7], v[80:81], off
	global_load_dwordx4 v[0:3], v[82:83], off
	;; [unrolled: 1-line block ×8, first 2 shown]
	v_lshl_add_u64 v[100:101], v[34:35], 4, v[32:33]
	global_load_dwordx4 v[32:35], v[98:99], off
	global_load_dwordx4 v[36:39], v[100:101], off
	s_mulk_i32 s8, 0xa0
	s_movk_i32 s0, 0xa0
	s_add_i32 s1, s8, 0
	v_mad_u32_u24 v104, v40, s0, 0
	v_lshl_add_u32 v103, v40, 4, s1
	v_cmp_ne_u32_e64 s[2:3], 0, v102
	v_cmp_eq_u32_e64 s[0:1], 0, v102
	s_and_saveexec_b64 s[8:9], s[0:1]
	s_cbranch_execz .LBB19_8
; %bb.2:
	s_waitcnt vmcnt(9)
	ds_write2_b64 v103, v[4:5], v[6:7] offset1:1
	s_waitcnt vmcnt(8)
	ds_write2_b64 v104, v[0:1], v[2:3] offset0:2 offset1:3
	s_waitcnt vmcnt(7)
	ds_write2_b64 v104, v[12:13], v[14:15] offset0:4 offset1:5
	;; [unrolled: 2-line block ×9, first 2 shown]
	ds_read2_b64 v[40:43], v103 offset1:1
	s_waitcnt lgkmcnt(0)
	v_cmp_neq_f64_e32 vcc, 0, v[40:41]
	v_cmp_neq_f64_e64 s[4:5], 0, v[42:43]
	s_or_b64 s[4:5], vcc, s[4:5]
	s_and_b64 exec, exec, s[4:5]
	s_cbranch_execz .LBB19_8
; %bb.3:
	v_cmp_ngt_f64_e64 s[4:5], |v[40:41]|, |v[42:43]|
                                        ; implicit-def: $vgpr44_vgpr45
	s_and_saveexec_b64 s[10:11], s[4:5]
	s_xor_b64 s[4:5], exec, s[10:11]
                                        ; implicit-def: $vgpr46_vgpr47
	s_cbranch_execz .LBB19_5
; %bb.4:
	v_div_scale_f64 v[44:45], s[10:11], v[42:43], v[42:43], v[40:41]
	v_rcp_f64_e32 v[46:47], v[44:45]
	v_div_scale_f64 v[48:49], vcc, v[40:41], v[42:43], v[40:41]
	v_fma_f64 v[50:51], -v[44:45], v[46:47], 1.0
	v_fmac_f64_e32 v[46:47], v[46:47], v[50:51]
	v_fma_f64 v[50:51], -v[44:45], v[46:47], 1.0
	v_fmac_f64_e32 v[46:47], v[46:47], v[50:51]
	v_mul_f64 v[50:51], v[48:49], v[46:47]
	v_fma_f64 v[44:45], -v[44:45], v[50:51], v[48:49]
	v_div_fmas_f64 v[44:45], v[44:45], v[46:47], v[50:51]
	v_div_fixup_f64 v[44:45], v[44:45], v[42:43], v[40:41]
	v_fmac_f64_e32 v[42:43], v[40:41], v[44:45]
	v_div_scale_f64 v[40:41], s[10:11], v[42:43], v[42:43], 1.0
	v_rcp_f64_e32 v[46:47], v[40:41]
	s_nop 0
	v_fma_f64 v[48:49], -v[40:41], v[46:47], 1.0
	v_fmac_f64_e32 v[46:47], v[46:47], v[48:49]
	v_fma_f64 v[48:49], -v[40:41], v[46:47], 1.0
	v_fmac_f64_e32 v[46:47], v[46:47], v[48:49]
	v_div_scale_f64 v[48:49], vcc, 1.0, v[42:43], 1.0
	v_mul_f64 v[50:51], v[48:49], v[46:47]
	v_fma_f64 v[40:41], -v[40:41], v[50:51], v[48:49]
	s_nop 1
	v_div_fmas_f64 v[40:41], v[40:41], v[46:47], v[50:51]
	v_div_fixup_f64 v[46:47], v[40:41], v[42:43], 1.0
	v_mul_f64 v[44:45], v[44:45], v[46:47]
	v_xor_b32_e32 v47, 0x80000000, v47
                                        ; implicit-def: $vgpr40_vgpr41
.LBB19_5:
	s_andn2_saveexec_b64 s[4:5], s[4:5]
	s_cbranch_execz .LBB19_7
; %bb.6:
	v_div_scale_f64 v[44:45], s[10:11], v[40:41], v[40:41], v[42:43]
	v_rcp_f64_e32 v[46:47], v[44:45]
	v_div_scale_f64 v[48:49], vcc, v[42:43], v[40:41], v[42:43]
	v_fma_f64 v[50:51], -v[44:45], v[46:47], 1.0
	v_fmac_f64_e32 v[46:47], v[46:47], v[50:51]
	v_fma_f64 v[50:51], -v[44:45], v[46:47], 1.0
	v_fmac_f64_e32 v[46:47], v[46:47], v[50:51]
	v_mul_f64 v[50:51], v[48:49], v[46:47]
	v_fma_f64 v[44:45], -v[44:45], v[50:51], v[48:49]
	v_div_fmas_f64 v[44:45], v[44:45], v[46:47], v[50:51]
	v_div_fixup_f64 v[46:47], v[44:45], v[40:41], v[42:43]
	v_fmac_f64_e32 v[40:41], v[42:43], v[46:47]
	v_div_scale_f64 v[42:43], s[10:11], v[40:41], v[40:41], 1.0
	v_rcp_f64_e32 v[44:45], v[42:43]
	s_nop 0
	v_fma_f64 v[48:49], -v[42:43], v[44:45], 1.0
	v_fmac_f64_e32 v[44:45], v[44:45], v[48:49]
	v_fma_f64 v[48:49], -v[42:43], v[44:45], 1.0
	v_fmac_f64_e32 v[44:45], v[44:45], v[48:49]
	v_div_scale_f64 v[48:49], vcc, 1.0, v[40:41], 1.0
	v_mul_f64 v[50:51], v[48:49], v[44:45]
	v_fma_f64 v[42:43], -v[42:43], v[50:51], v[48:49]
	s_nop 1
	v_div_fmas_f64 v[42:43], v[42:43], v[44:45], v[50:51]
	v_div_fixup_f64 v[44:45], v[42:43], v[40:41], 1.0
	v_mul_f64 v[46:47], v[46:47], -v[44:45]
.LBB19_7:
	s_or_b64 exec, exec, s[4:5]
	ds_write2_b64 v103, v[44:45], v[46:47] offset1:1
.LBB19_8:
	s_or_b64 exec, exec, s[8:9]
	s_waitcnt lgkmcnt(0)
	s_barrier
	ds_read2_b64 v[40:43], v103 offset1:1
	s_and_saveexec_b64 s[4:5], s[2:3]
	s_cbranch_execz .LBB19_10
; %bb.9:
	ds_read2_b64 v[44:47], v104 offset0:2 offset1:3
	s_waitcnt vmcnt(9) lgkmcnt(1)
	v_mul_f64 v[48:49], v[40:41], v[6:7]
	v_fmac_f64_e32 v[48:49], v[42:43], v[4:5]
	v_mul_f64 v[6:7], v[42:43], v[6:7]
	v_fma_f64 v[4:5], v[40:41], v[4:5], -v[6:7]
	s_waitcnt lgkmcnt(0)
	v_mul_f64 v[6:7], v[46:47], v[48:49]
	v_fma_f64 v[6:7], v[44:45], v[4:5], -v[6:7]
	v_mul_f64 v[44:45], v[44:45], v[48:49]
	v_fmac_f64_e32 v[44:45], v[46:47], v[4:5]
	s_waitcnt vmcnt(8)
	v_add_f64 v[2:3], v[2:3], -v[44:45]
	ds_read2_b64 v[44:47], v104 offset0:4 offset1:5
	v_add_f64 v[0:1], v[0:1], -v[6:7]
	s_waitcnt lgkmcnt(0)
	v_mul_f64 v[6:7], v[46:47], v[48:49]
	v_fma_f64 v[6:7], v[44:45], v[4:5], -v[6:7]
	v_mul_f64 v[44:45], v[44:45], v[48:49]
	v_fmac_f64_e32 v[44:45], v[46:47], v[4:5]
	s_waitcnt vmcnt(7)
	v_add_f64 v[14:15], v[14:15], -v[44:45]
	ds_read2_b64 v[44:47], v104 offset0:6 offset1:7
	v_add_f64 v[12:13], v[12:13], -v[6:7]
	;; [unrolled: 9-line block ×8, first 2 shown]
	s_waitcnt lgkmcnt(0)
	v_mul_f64 v[6:7], v[46:47], v[48:49]
	v_fma_f64 v[6:7], v[44:45], v[4:5], -v[6:7]
	v_mul_f64 v[44:45], v[44:45], v[48:49]
	v_fmac_f64_e32 v[44:45], v[46:47], v[4:5]
	s_waitcnt vmcnt(0)
	v_add_f64 v[36:37], v[36:37], -v[6:7]
	v_add_f64 v[38:39], v[38:39], -v[44:45]
	v_mov_b64_e32 v[6:7], v[48:49]
.LBB19_10:
	s_or_b64 exec, exec, s[4:5]
	v_cmp_eq_u32_e32 vcc, 1, v102
	s_waitcnt lgkmcnt(0)
	s_barrier
	s_and_saveexec_b64 s[4:5], vcc
	s_cbranch_execz .LBB19_17
; %bb.11:
	s_waitcnt vmcnt(8)
	ds_write2_b64 v103, v[0:1], v[2:3] offset1:1
	s_waitcnt vmcnt(7)
	ds_write2_b64 v104, v[12:13], v[14:15] offset0:4 offset1:5
	s_waitcnt vmcnt(6)
	ds_write2_b64 v104, v[8:9], v[10:11] offset0:6 offset1:7
	;; [unrolled: 2-line block ×8, first 2 shown]
	ds_read2_b64 v[44:47], v103 offset1:1
	s_waitcnt lgkmcnt(0)
	v_cmp_neq_f64_e32 vcc, 0, v[44:45]
	v_cmp_neq_f64_e64 s[2:3], 0, v[46:47]
	s_or_b64 s[2:3], vcc, s[2:3]
	s_and_b64 exec, exec, s[2:3]
	s_cbranch_execz .LBB19_17
; %bb.12:
	v_cmp_ngt_f64_e64 s[2:3], |v[44:45]|, |v[46:47]|
                                        ; implicit-def: $vgpr48_vgpr49
	s_and_saveexec_b64 s[8:9], s[2:3]
	s_xor_b64 s[2:3], exec, s[8:9]
                                        ; implicit-def: $vgpr50_vgpr51
	s_cbranch_execz .LBB19_14
; %bb.13:
	v_div_scale_f64 v[48:49], s[8:9], v[46:47], v[46:47], v[44:45]
	v_rcp_f64_e32 v[50:51], v[48:49]
	v_div_scale_f64 v[52:53], vcc, v[44:45], v[46:47], v[44:45]
	v_fma_f64 v[54:55], -v[48:49], v[50:51], 1.0
	v_fmac_f64_e32 v[50:51], v[50:51], v[54:55]
	v_fma_f64 v[54:55], -v[48:49], v[50:51], 1.0
	v_fmac_f64_e32 v[50:51], v[50:51], v[54:55]
	v_mul_f64 v[54:55], v[52:53], v[50:51]
	v_fma_f64 v[48:49], -v[48:49], v[54:55], v[52:53]
	v_div_fmas_f64 v[48:49], v[48:49], v[50:51], v[54:55]
	v_div_fixup_f64 v[48:49], v[48:49], v[46:47], v[44:45]
	v_fmac_f64_e32 v[46:47], v[44:45], v[48:49]
	v_div_scale_f64 v[44:45], s[8:9], v[46:47], v[46:47], 1.0
	v_rcp_f64_e32 v[50:51], v[44:45]
	s_nop 0
	v_fma_f64 v[52:53], -v[44:45], v[50:51], 1.0
	v_fmac_f64_e32 v[50:51], v[50:51], v[52:53]
	v_fma_f64 v[52:53], -v[44:45], v[50:51], 1.0
	v_fmac_f64_e32 v[50:51], v[50:51], v[52:53]
	v_div_scale_f64 v[52:53], vcc, 1.0, v[46:47], 1.0
	v_mul_f64 v[54:55], v[52:53], v[50:51]
	v_fma_f64 v[44:45], -v[44:45], v[54:55], v[52:53]
	s_nop 1
	v_div_fmas_f64 v[44:45], v[44:45], v[50:51], v[54:55]
	v_div_fixup_f64 v[50:51], v[44:45], v[46:47], 1.0
	v_mul_f64 v[48:49], v[48:49], v[50:51]
	v_xor_b32_e32 v51, 0x80000000, v51
                                        ; implicit-def: $vgpr44_vgpr45
.LBB19_14:
	s_andn2_saveexec_b64 s[2:3], s[2:3]
	s_cbranch_execz .LBB19_16
; %bb.15:
	v_div_scale_f64 v[48:49], s[8:9], v[44:45], v[44:45], v[46:47]
	v_rcp_f64_e32 v[50:51], v[48:49]
	v_div_scale_f64 v[52:53], vcc, v[46:47], v[44:45], v[46:47]
	v_fma_f64 v[54:55], -v[48:49], v[50:51], 1.0
	v_fmac_f64_e32 v[50:51], v[50:51], v[54:55]
	v_fma_f64 v[54:55], -v[48:49], v[50:51], 1.0
	v_fmac_f64_e32 v[50:51], v[50:51], v[54:55]
	v_mul_f64 v[54:55], v[52:53], v[50:51]
	v_fma_f64 v[48:49], -v[48:49], v[54:55], v[52:53]
	v_div_fmas_f64 v[48:49], v[48:49], v[50:51], v[54:55]
	v_div_fixup_f64 v[50:51], v[48:49], v[44:45], v[46:47]
	v_fmac_f64_e32 v[44:45], v[46:47], v[50:51]
	v_div_scale_f64 v[46:47], s[8:9], v[44:45], v[44:45], 1.0
	v_rcp_f64_e32 v[48:49], v[46:47]
	s_nop 0
	v_fma_f64 v[52:53], -v[46:47], v[48:49], 1.0
	v_fmac_f64_e32 v[48:49], v[48:49], v[52:53]
	v_fma_f64 v[52:53], -v[46:47], v[48:49], 1.0
	v_fmac_f64_e32 v[48:49], v[48:49], v[52:53]
	v_div_scale_f64 v[52:53], vcc, 1.0, v[44:45], 1.0
	v_mul_f64 v[54:55], v[52:53], v[48:49]
	v_fma_f64 v[46:47], -v[46:47], v[54:55], v[52:53]
	s_nop 1
	v_div_fmas_f64 v[46:47], v[46:47], v[48:49], v[54:55]
	v_div_fixup_f64 v[48:49], v[46:47], v[44:45], 1.0
	v_mul_f64 v[50:51], v[50:51], -v[48:49]
.LBB19_16:
	s_or_b64 exec, exec, s[2:3]
	ds_write2_b64 v103, v[48:49], v[50:51] offset1:1
.LBB19_17:
	s_or_b64 exec, exec, s[4:5]
	s_waitcnt lgkmcnt(0)
	s_barrier
	ds_read2_b64 v[44:47], v103 offset1:1
	v_cmp_lt_u32_e32 vcc, 1, v102
	s_and_saveexec_b64 s[2:3], vcc
	s_cbranch_execz .LBB19_19
; %bb.18:
	ds_read2_b64 v[48:51], v104 offset0:4 offset1:5
	ds_read2_b64 v[52:55], v104 offset0:6 offset1:7
	s_waitcnt vmcnt(8) lgkmcnt(2)
	v_mul_f64 v[56:57], v[44:45], v[2:3]
	v_fmac_f64_e32 v[56:57], v[46:47], v[0:1]
	v_mul_f64 v[2:3], v[46:47], v[2:3]
	v_fma_f64 v[0:1], v[44:45], v[0:1], -v[2:3]
	s_waitcnt lgkmcnt(1)
	v_mul_f64 v[2:3], v[50:51], v[56:57]
	v_fma_f64 v[2:3], v[48:49], v[0:1], -v[2:3]
	v_mul_f64 v[48:49], v[48:49], v[56:57]
	v_fmac_f64_e32 v[48:49], v[50:51], v[0:1]
	s_waitcnt vmcnt(7)
	v_add_f64 v[12:13], v[12:13], -v[2:3]
	v_add_f64 v[14:15], v[14:15], -v[48:49]
	s_waitcnt lgkmcnt(0)
	v_mul_f64 v[2:3], v[54:55], v[56:57]
	ds_read2_b64 v[48:51], v104 offset0:8 offset1:9
	v_fma_f64 v[2:3], v[52:53], v[0:1], -v[2:3]
	v_mul_f64 v[52:53], v[52:53], v[56:57]
	v_fmac_f64_e32 v[52:53], v[54:55], v[0:1]
	s_waitcnt vmcnt(6)
	v_add_f64 v[10:11], v[10:11], -v[52:53]
	ds_read2_b64 v[52:55], v104 offset0:10 offset1:11
	v_add_f64 v[8:9], v[8:9], -v[2:3]
	s_waitcnt lgkmcnt(1)
	v_mul_f64 v[2:3], v[50:51], v[56:57]
	v_fma_f64 v[2:3], v[48:49], v[0:1], -v[2:3]
	v_mul_f64 v[48:49], v[48:49], v[56:57]
	v_fmac_f64_e32 v[48:49], v[50:51], v[0:1]
	s_waitcnt vmcnt(5)
	v_add_f64 v[20:21], v[20:21], -v[2:3]
	v_add_f64 v[22:23], v[22:23], -v[48:49]
	s_waitcnt lgkmcnt(0)
	v_mul_f64 v[2:3], v[54:55], v[56:57]
	ds_read2_b64 v[48:51], v104 offset0:12 offset1:13
	v_fma_f64 v[2:3], v[52:53], v[0:1], -v[2:3]
	v_mul_f64 v[52:53], v[52:53], v[56:57]
	v_fmac_f64_e32 v[52:53], v[54:55], v[0:1]
	s_waitcnt vmcnt(4)
	v_add_f64 v[18:19], v[18:19], -v[52:53]
	ds_read2_b64 v[52:55], v104 offset0:14 offset1:15
	v_add_f64 v[16:17], v[16:17], -v[2:3]
	;; [unrolled: 18-line block ×3, first 2 shown]
	s_waitcnt lgkmcnt(1)
	v_mul_f64 v[2:3], v[50:51], v[56:57]
	v_fma_f64 v[2:3], v[48:49], v[0:1], -v[2:3]
	v_mul_f64 v[48:49], v[48:49], v[56:57]
	v_fmac_f64_e32 v[48:49], v[50:51], v[0:1]
	s_waitcnt vmcnt(1)
	v_add_f64 v[32:33], v[32:33], -v[2:3]
	v_add_f64 v[34:35], v[34:35], -v[48:49]
	s_waitcnt lgkmcnt(0)
	v_mul_f64 v[2:3], v[54:55], v[56:57]
	v_mul_f64 v[48:49], v[52:53], v[56:57]
	v_fma_f64 v[2:3], v[52:53], v[0:1], -v[2:3]
	v_fmac_f64_e32 v[48:49], v[54:55], v[0:1]
	s_waitcnt vmcnt(0)
	v_add_f64 v[36:37], v[36:37], -v[2:3]
	v_add_f64 v[38:39], v[38:39], -v[48:49]
	v_mov_b64_e32 v[2:3], v[56:57]
.LBB19_19:
	s_or_b64 exec, exec, s[2:3]
	v_cmp_eq_u32_e32 vcc, 2, v102
	s_waitcnt lgkmcnt(0)
	s_barrier
	s_and_saveexec_b64 s[4:5], vcc
	s_cbranch_execz .LBB19_26
; %bb.20:
	s_waitcnt vmcnt(7)
	ds_write2_b64 v103, v[12:13], v[14:15] offset1:1
	s_waitcnt vmcnt(6)
	ds_write2_b64 v104, v[8:9], v[10:11] offset0:6 offset1:7
	s_waitcnt vmcnt(5)
	ds_write2_b64 v104, v[20:21], v[22:23] offset0:8 offset1:9
	s_waitcnt vmcnt(4)
	ds_write2_b64 v104, v[16:17], v[18:19] offset0:10 offset1:11
	s_waitcnt vmcnt(3)
	ds_write2_b64 v104, v[28:29], v[30:31] offset0:12 offset1:13
	s_waitcnt vmcnt(2)
	ds_write2_b64 v104, v[24:25], v[26:27] offset0:14 offset1:15
	s_waitcnt vmcnt(1)
	ds_write2_b64 v104, v[32:33], v[34:35] offset0:16 offset1:17
	s_waitcnt vmcnt(0)
	ds_write2_b64 v104, v[36:37], v[38:39] offset0:18 offset1:19
	ds_read2_b64 v[48:51], v103 offset1:1
	s_waitcnt lgkmcnt(0)
	v_cmp_neq_f64_e32 vcc, 0, v[48:49]
	v_cmp_neq_f64_e64 s[2:3], 0, v[50:51]
	s_or_b64 s[2:3], vcc, s[2:3]
	s_and_b64 exec, exec, s[2:3]
	s_cbranch_execz .LBB19_26
; %bb.21:
	v_cmp_ngt_f64_e64 s[2:3], |v[48:49]|, |v[50:51]|
                                        ; implicit-def: $vgpr52_vgpr53
	s_and_saveexec_b64 s[8:9], s[2:3]
	s_xor_b64 s[2:3], exec, s[8:9]
                                        ; implicit-def: $vgpr54_vgpr55
	s_cbranch_execz .LBB19_23
; %bb.22:
	v_div_scale_f64 v[52:53], s[8:9], v[50:51], v[50:51], v[48:49]
	v_rcp_f64_e32 v[54:55], v[52:53]
	v_div_scale_f64 v[56:57], vcc, v[48:49], v[50:51], v[48:49]
	v_fma_f64 v[58:59], -v[52:53], v[54:55], 1.0
	v_fmac_f64_e32 v[54:55], v[54:55], v[58:59]
	v_fma_f64 v[58:59], -v[52:53], v[54:55], 1.0
	v_fmac_f64_e32 v[54:55], v[54:55], v[58:59]
	v_mul_f64 v[58:59], v[56:57], v[54:55]
	v_fma_f64 v[52:53], -v[52:53], v[58:59], v[56:57]
	v_div_fmas_f64 v[52:53], v[52:53], v[54:55], v[58:59]
	v_div_fixup_f64 v[52:53], v[52:53], v[50:51], v[48:49]
	v_fmac_f64_e32 v[50:51], v[48:49], v[52:53]
	v_div_scale_f64 v[48:49], s[8:9], v[50:51], v[50:51], 1.0
	v_rcp_f64_e32 v[54:55], v[48:49]
	s_nop 0
	v_fma_f64 v[56:57], -v[48:49], v[54:55], 1.0
	v_fmac_f64_e32 v[54:55], v[54:55], v[56:57]
	v_fma_f64 v[56:57], -v[48:49], v[54:55], 1.0
	v_fmac_f64_e32 v[54:55], v[54:55], v[56:57]
	v_div_scale_f64 v[56:57], vcc, 1.0, v[50:51], 1.0
	v_mul_f64 v[58:59], v[56:57], v[54:55]
	v_fma_f64 v[48:49], -v[48:49], v[58:59], v[56:57]
	s_nop 1
	v_div_fmas_f64 v[48:49], v[48:49], v[54:55], v[58:59]
	v_div_fixup_f64 v[54:55], v[48:49], v[50:51], 1.0
	v_mul_f64 v[52:53], v[52:53], v[54:55]
	v_xor_b32_e32 v55, 0x80000000, v55
                                        ; implicit-def: $vgpr48_vgpr49
.LBB19_23:
	s_andn2_saveexec_b64 s[2:3], s[2:3]
	s_cbranch_execz .LBB19_25
; %bb.24:
	v_div_scale_f64 v[52:53], s[8:9], v[48:49], v[48:49], v[50:51]
	v_rcp_f64_e32 v[54:55], v[52:53]
	v_div_scale_f64 v[56:57], vcc, v[50:51], v[48:49], v[50:51]
	v_fma_f64 v[58:59], -v[52:53], v[54:55], 1.0
	v_fmac_f64_e32 v[54:55], v[54:55], v[58:59]
	v_fma_f64 v[58:59], -v[52:53], v[54:55], 1.0
	v_fmac_f64_e32 v[54:55], v[54:55], v[58:59]
	v_mul_f64 v[58:59], v[56:57], v[54:55]
	v_fma_f64 v[52:53], -v[52:53], v[58:59], v[56:57]
	v_div_fmas_f64 v[52:53], v[52:53], v[54:55], v[58:59]
	v_div_fixup_f64 v[54:55], v[52:53], v[48:49], v[50:51]
	v_fmac_f64_e32 v[48:49], v[50:51], v[54:55]
	v_div_scale_f64 v[50:51], s[8:9], v[48:49], v[48:49], 1.0
	v_rcp_f64_e32 v[52:53], v[50:51]
	s_nop 0
	v_fma_f64 v[56:57], -v[50:51], v[52:53], 1.0
	v_fmac_f64_e32 v[52:53], v[52:53], v[56:57]
	v_fma_f64 v[56:57], -v[50:51], v[52:53], 1.0
	v_fmac_f64_e32 v[52:53], v[52:53], v[56:57]
	v_div_scale_f64 v[56:57], vcc, 1.0, v[48:49], 1.0
	v_mul_f64 v[58:59], v[56:57], v[52:53]
	v_fma_f64 v[50:51], -v[50:51], v[58:59], v[56:57]
	s_nop 1
	v_div_fmas_f64 v[50:51], v[50:51], v[52:53], v[58:59]
	v_div_fixup_f64 v[52:53], v[50:51], v[48:49], 1.0
	v_mul_f64 v[54:55], v[54:55], -v[52:53]
.LBB19_25:
	s_or_b64 exec, exec, s[2:3]
	ds_write2_b64 v103, v[52:53], v[54:55] offset1:1
.LBB19_26:
	s_or_b64 exec, exec, s[4:5]
	s_waitcnt lgkmcnt(0)
	s_barrier
	ds_read2_b64 v[48:51], v103 offset1:1
	v_cmp_lt_u32_e32 vcc, 2, v102
	s_and_saveexec_b64 s[2:3], vcc
	s_cbranch_execz .LBB19_28
; %bb.27:
	ds_read2_b64 v[52:55], v104 offset0:6 offset1:7
	ds_read2_b64 v[56:59], v104 offset0:8 offset1:9
	s_waitcnt vmcnt(7) lgkmcnt(2)
	v_mul_f64 v[60:61], v[48:49], v[14:15]
	v_fmac_f64_e32 v[60:61], v[50:51], v[12:13]
	v_mul_f64 v[14:15], v[50:51], v[14:15]
	v_fma_f64 v[12:13], v[48:49], v[12:13], -v[14:15]
	s_waitcnt lgkmcnt(1)
	v_mul_f64 v[14:15], v[54:55], v[60:61]
	v_fma_f64 v[14:15], v[52:53], v[12:13], -v[14:15]
	v_mul_f64 v[52:53], v[52:53], v[60:61]
	v_fmac_f64_e32 v[52:53], v[54:55], v[12:13]
	s_waitcnt vmcnt(6)
	v_add_f64 v[10:11], v[10:11], -v[52:53]
	ds_read2_b64 v[52:55], v104 offset0:10 offset1:11
	v_add_f64 v[8:9], v[8:9], -v[14:15]
	s_waitcnt lgkmcnt(1)
	v_mul_f64 v[14:15], v[58:59], v[60:61]
	v_fma_f64 v[14:15], v[56:57], v[12:13], -v[14:15]
	v_mul_f64 v[56:57], v[56:57], v[60:61]
	v_fmac_f64_e32 v[56:57], v[58:59], v[12:13]
	s_waitcnt vmcnt(5)
	v_add_f64 v[20:21], v[20:21], -v[14:15]
	v_add_f64 v[22:23], v[22:23], -v[56:57]
	ds_read2_b64 v[56:59], v104 offset0:12 offset1:13
	s_waitcnt lgkmcnt(1)
	v_mul_f64 v[14:15], v[54:55], v[60:61]
	v_fma_f64 v[14:15], v[52:53], v[12:13], -v[14:15]
	v_mul_f64 v[52:53], v[52:53], v[60:61]
	v_fmac_f64_e32 v[52:53], v[54:55], v[12:13]
	s_waitcnt vmcnt(4)
	v_add_f64 v[18:19], v[18:19], -v[52:53]
	ds_read2_b64 v[52:55], v104 offset0:14 offset1:15
	v_add_f64 v[16:17], v[16:17], -v[14:15]
	s_waitcnt lgkmcnt(1)
	v_mul_f64 v[14:15], v[58:59], v[60:61]
	v_fma_f64 v[14:15], v[56:57], v[12:13], -v[14:15]
	v_mul_f64 v[56:57], v[56:57], v[60:61]
	v_fmac_f64_e32 v[56:57], v[58:59], v[12:13]
	s_waitcnt vmcnt(3)
	v_add_f64 v[28:29], v[28:29], -v[14:15]
	v_add_f64 v[30:31], v[30:31], -v[56:57]
	ds_read2_b64 v[56:59], v104 offset0:16 offset1:17
	s_waitcnt lgkmcnt(1)
	v_mul_f64 v[14:15], v[54:55], v[60:61]
	v_fma_f64 v[14:15], v[52:53], v[12:13], -v[14:15]
	v_mul_f64 v[52:53], v[52:53], v[60:61]
	v_fmac_f64_e32 v[52:53], v[54:55], v[12:13]
	s_waitcnt vmcnt(2)
	v_add_f64 v[26:27], v[26:27], -v[52:53]
	ds_read2_b64 v[52:55], v104 offset0:18 offset1:19
	v_add_f64 v[24:25], v[24:25], -v[14:15]
	s_waitcnt lgkmcnt(1)
	v_mul_f64 v[14:15], v[58:59], v[60:61]
	v_fma_f64 v[14:15], v[56:57], v[12:13], -v[14:15]
	s_waitcnt vmcnt(1)
	v_add_f64 v[32:33], v[32:33], -v[14:15]
	s_waitcnt lgkmcnt(0)
	v_mul_f64 v[14:15], v[54:55], v[60:61]
	v_mul_f64 v[56:57], v[56:57], v[60:61]
	v_fma_f64 v[14:15], v[52:53], v[12:13], -v[14:15]
	v_mul_f64 v[52:53], v[52:53], v[60:61]
	v_fmac_f64_e32 v[56:57], v[58:59], v[12:13]
	v_fmac_f64_e32 v[52:53], v[54:55], v[12:13]
	v_add_f64 v[34:35], v[34:35], -v[56:57]
	s_waitcnt vmcnt(0)
	v_add_f64 v[36:37], v[36:37], -v[14:15]
	v_add_f64 v[38:39], v[38:39], -v[52:53]
	v_mov_b64_e32 v[14:15], v[60:61]
.LBB19_28:
	s_or_b64 exec, exec, s[2:3]
	v_cmp_eq_u32_e32 vcc, 3, v102
	s_waitcnt lgkmcnt(0)
	s_barrier
	s_and_saveexec_b64 s[4:5], vcc
	s_cbranch_execz .LBB19_35
; %bb.29:
	s_waitcnt vmcnt(6)
	ds_write2_b64 v103, v[8:9], v[10:11] offset1:1
	s_waitcnt vmcnt(5)
	ds_write2_b64 v104, v[20:21], v[22:23] offset0:8 offset1:9
	s_waitcnt vmcnt(4)
	ds_write2_b64 v104, v[16:17], v[18:19] offset0:10 offset1:11
	s_waitcnt vmcnt(3)
	ds_write2_b64 v104, v[28:29], v[30:31] offset0:12 offset1:13
	s_waitcnt vmcnt(2)
	ds_write2_b64 v104, v[24:25], v[26:27] offset0:14 offset1:15
	s_waitcnt vmcnt(1)
	ds_write2_b64 v104, v[32:33], v[34:35] offset0:16 offset1:17
	s_waitcnt vmcnt(0)
	ds_write2_b64 v104, v[36:37], v[38:39] offset0:18 offset1:19
	ds_read2_b64 v[52:55], v103 offset1:1
	s_waitcnt lgkmcnt(0)
	v_cmp_neq_f64_e32 vcc, 0, v[52:53]
	v_cmp_neq_f64_e64 s[2:3], 0, v[54:55]
	s_or_b64 s[2:3], vcc, s[2:3]
	s_and_b64 exec, exec, s[2:3]
	s_cbranch_execz .LBB19_35
; %bb.30:
	v_cmp_ngt_f64_e64 s[2:3], |v[52:53]|, |v[54:55]|
                                        ; implicit-def: $vgpr56_vgpr57
	s_and_saveexec_b64 s[8:9], s[2:3]
	s_xor_b64 s[2:3], exec, s[8:9]
                                        ; implicit-def: $vgpr58_vgpr59
	s_cbranch_execz .LBB19_32
; %bb.31:
	v_div_scale_f64 v[56:57], s[8:9], v[54:55], v[54:55], v[52:53]
	v_rcp_f64_e32 v[58:59], v[56:57]
	v_div_scale_f64 v[60:61], vcc, v[52:53], v[54:55], v[52:53]
	v_fma_f64 v[62:63], -v[56:57], v[58:59], 1.0
	v_fmac_f64_e32 v[58:59], v[58:59], v[62:63]
	v_fma_f64 v[62:63], -v[56:57], v[58:59], 1.0
	v_fmac_f64_e32 v[58:59], v[58:59], v[62:63]
	v_mul_f64 v[62:63], v[60:61], v[58:59]
	v_fma_f64 v[56:57], -v[56:57], v[62:63], v[60:61]
	v_div_fmas_f64 v[56:57], v[56:57], v[58:59], v[62:63]
	v_div_fixup_f64 v[56:57], v[56:57], v[54:55], v[52:53]
	v_fmac_f64_e32 v[54:55], v[52:53], v[56:57]
	v_div_scale_f64 v[52:53], s[8:9], v[54:55], v[54:55], 1.0
	v_rcp_f64_e32 v[58:59], v[52:53]
	s_nop 0
	v_fma_f64 v[60:61], -v[52:53], v[58:59], 1.0
	v_fmac_f64_e32 v[58:59], v[58:59], v[60:61]
	v_fma_f64 v[60:61], -v[52:53], v[58:59], 1.0
	v_fmac_f64_e32 v[58:59], v[58:59], v[60:61]
	v_div_scale_f64 v[60:61], vcc, 1.0, v[54:55], 1.0
	v_mul_f64 v[62:63], v[60:61], v[58:59]
	v_fma_f64 v[52:53], -v[52:53], v[62:63], v[60:61]
	s_nop 1
	v_div_fmas_f64 v[52:53], v[52:53], v[58:59], v[62:63]
	v_div_fixup_f64 v[58:59], v[52:53], v[54:55], 1.0
	v_mul_f64 v[56:57], v[56:57], v[58:59]
	v_xor_b32_e32 v59, 0x80000000, v59
                                        ; implicit-def: $vgpr52_vgpr53
.LBB19_32:
	s_andn2_saveexec_b64 s[2:3], s[2:3]
	s_cbranch_execz .LBB19_34
; %bb.33:
	v_div_scale_f64 v[56:57], s[8:9], v[52:53], v[52:53], v[54:55]
	v_rcp_f64_e32 v[58:59], v[56:57]
	v_div_scale_f64 v[60:61], vcc, v[54:55], v[52:53], v[54:55]
	v_fma_f64 v[62:63], -v[56:57], v[58:59], 1.0
	v_fmac_f64_e32 v[58:59], v[58:59], v[62:63]
	v_fma_f64 v[62:63], -v[56:57], v[58:59], 1.0
	v_fmac_f64_e32 v[58:59], v[58:59], v[62:63]
	v_mul_f64 v[62:63], v[60:61], v[58:59]
	v_fma_f64 v[56:57], -v[56:57], v[62:63], v[60:61]
	v_div_fmas_f64 v[56:57], v[56:57], v[58:59], v[62:63]
	v_div_fixup_f64 v[58:59], v[56:57], v[52:53], v[54:55]
	v_fmac_f64_e32 v[52:53], v[54:55], v[58:59]
	v_div_scale_f64 v[54:55], s[8:9], v[52:53], v[52:53], 1.0
	v_rcp_f64_e32 v[56:57], v[54:55]
	s_nop 0
	v_fma_f64 v[60:61], -v[54:55], v[56:57], 1.0
	v_fmac_f64_e32 v[56:57], v[56:57], v[60:61]
	v_fma_f64 v[60:61], -v[54:55], v[56:57], 1.0
	v_fmac_f64_e32 v[56:57], v[56:57], v[60:61]
	v_div_scale_f64 v[60:61], vcc, 1.0, v[52:53], 1.0
	v_mul_f64 v[62:63], v[60:61], v[56:57]
	v_fma_f64 v[54:55], -v[54:55], v[62:63], v[60:61]
	s_nop 1
	v_div_fmas_f64 v[54:55], v[54:55], v[56:57], v[62:63]
	v_div_fixup_f64 v[56:57], v[54:55], v[52:53], 1.0
	v_mul_f64 v[58:59], v[58:59], -v[56:57]
.LBB19_34:
	s_or_b64 exec, exec, s[2:3]
	ds_write2_b64 v103, v[56:57], v[58:59] offset1:1
.LBB19_35:
	s_or_b64 exec, exec, s[4:5]
	s_waitcnt lgkmcnt(0)
	s_barrier
	ds_read2_b64 v[52:55], v103 offset1:1
	v_cmp_lt_u32_e32 vcc, 3, v102
	s_and_saveexec_b64 s[2:3], vcc
	s_cbranch_execz .LBB19_37
; %bb.36:
	ds_read2_b64 v[56:59], v104 offset0:8 offset1:9
	ds_read2_b64 v[60:63], v104 offset0:10 offset1:11
	s_waitcnt vmcnt(6) lgkmcnt(2)
	v_mul_f64 v[64:65], v[52:53], v[10:11]
	v_fmac_f64_e32 v[64:65], v[54:55], v[8:9]
	v_mul_f64 v[10:11], v[54:55], v[10:11]
	v_fma_f64 v[8:9], v[52:53], v[8:9], -v[10:11]
	s_waitcnt lgkmcnt(1)
	v_mul_f64 v[10:11], v[58:59], v[64:65]
	v_fma_f64 v[10:11], v[56:57], v[8:9], -v[10:11]
	v_mul_f64 v[56:57], v[56:57], v[64:65]
	v_fmac_f64_e32 v[56:57], v[58:59], v[8:9]
	s_waitcnt vmcnt(5)
	v_add_f64 v[20:21], v[20:21], -v[10:11]
	v_add_f64 v[22:23], v[22:23], -v[56:57]
	s_waitcnt lgkmcnt(0)
	v_mul_f64 v[10:11], v[62:63], v[64:65]
	ds_read2_b64 v[56:59], v104 offset0:12 offset1:13
	v_fma_f64 v[10:11], v[60:61], v[8:9], -v[10:11]
	v_mul_f64 v[60:61], v[60:61], v[64:65]
	v_fmac_f64_e32 v[60:61], v[62:63], v[8:9]
	s_waitcnt vmcnt(4)
	v_add_f64 v[18:19], v[18:19], -v[60:61]
	ds_read2_b64 v[60:63], v104 offset0:14 offset1:15
	v_add_f64 v[16:17], v[16:17], -v[10:11]
	s_waitcnt lgkmcnt(1)
	v_mul_f64 v[10:11], v[58:59], v[64:65]
	v_fma_f64 v[10:11], v[56:57], v[8:9], -v[10:11]
	v_mul_f64 v[56:57], v[56:57], v[64:65]
	v_fmac_f64_e32 v[56:57], v[58:59], v[8:9]
	s_waitcnt vmcnt(3)
	v_add_f64 v[28:29], v[28:29], -v[10:11]
	v_add_f64 v[30:31], v[30:31], -v[56:57]
	s_waitcnt lgkmcnt(0)
	v_mul_f64 v[10:11], v[62:63], v[64:65]
	ds_read2_b64 v[56:59], v104 offset0:16 offset1:17
	v_fma_f64 v[10:11], v[60:61], v[8:9], -v[10:11]
	v_mul_f64 v[60:61], v[60:61], v[64:65]
	v_fmac_f64_e32 v[60:61], v[62:63], v[8:9]
	s_waitcnt vmcnt(2)
	v_add_f64 v[26:27], v[26:27], -v[60:61]
	ds_read2_b64 v[60:63], v104 offset0:18 offset1:19
	v_add_f64 v[24:25], v[24:25], -v[10:11]
	s_waitcnt lgkmcnt(1)
	v_mul_f64 v[10:11], v[58:59], v[64:65]
	v_fma_f64 v[10:11], v[56:57], v[8:9], -v[10:11]
	v_mul_f64 v[56:57], v[56:57], v[64:65]
	v_fmac_f64_e32 v[56:57], v[58:59], v[8:9]
	s_waitcnt vmcnt(1)
	v_add_f64 v[32:33], v[32:33], -v[10:11]
	v_add_f64 v[34:35], v[34:35], -v[56:57]
	s_waitcnt lgkmcnt(0)
	v_mul_f64 v[10:11], v[62:63], v[64:65]
	v_mul_f64 v[56:57], v[60:61], v[64:65]
	v_fma_f64 v[10:11], v[60:61], v[8:9], -v[10:11]
	v_fmac_f64_e32 v[56:57], v[62:63], v[8:9]
	s_waitcnt vmcnt(0)
	v_add_f64 v[36:37], v[36:37], -v[10:11]
	v_add_f64 v[38:39], v[38:39], -v[56:57]
	v_mov_b64_e32 v[10:11], v[64:65]
.LBB19_37:
	s_or_b64 exec, exec, s[2:3]
	v_cmp_eq_u32_e32 vcc, 4, v102
	s_waitcnt lgkmcnt(0)
	s_barrier
	s_and_saveexec_b64 s[4:5], vcc
	s_cbranch_execz .LBB19_44
; %bb.38:
	s_waitcnt vmcnt(5)
	ds_write2_b64 v103, v[20:21], v[22:23] offset1:1
	s_waitcnt vmcnt(4)
	ds_write2_b64 v104, v[16:17], v[18:19] offset0:10 offset1:11
	s_waitcnt vmcnt(3)
	ds_write2_b64 v104, v[28:29], v[30:31] offset0:12 offset1:13
	;; [unrolled: 2-line block ×5, first 2 shown]
	ds_read2_b64 v[56:59], v103 offset1:1
	s_waitcnt lgkmcnt(0)
	v_cmp_neq_f64_e32 vcc, 0, v[56:57]
	v_cmp_neq_f64_e64 s[2:3], 0, v[58:59]
	s_or_b64 s[2:3], vcc, s[2:3]
	s_and_b64 exec, exec, s[2:3]
	s_cbranch_execz .LBB19_44
; %bb.39:
	v_cmp_ngt_f64_e64 s[2:3], |v[56:57]|, |v[58:59]|
                                        ; implicit-def: $vgpr60_vgpr61
	s_and_saveexec_b64 s[8:9], s[2:3]
	s_xor_b64 s[2:3], exec, s[8:9]
                                        ; implicit-def: $vgpr62_vgpr63
	s_cbranch_execz .LBB19_41
; %bb.40:
	v_div_scale_f64 v[60:61], s[8:9], v[58:59], v[58:59], v[56:57]
	v_rcp_f64_e32 v[62:63], v[60:61]
	v_div_scale_f64 v[64:65], vcc, v[56:57], v[58:59], v[56:57]
	v_fma_f64 v[66:67], -v[60:61], v[62:63], 1.0
	v_fmac_f64_e32 v[62:63], v[62:63], v[66:67]
	v_fma_f64 v[66:67], -v[60:61], v[62:63], 1.0
	v_fmac_f64_e32 v[62:63], v[62:63], v[66:67]
	v_mul_f64 v[66:67], v[64:65], v[62:63]
	v_fma_f64 v[60:61], -v[60:61], v[66:67], v[64:65]
	v_div_fmas_f64 v[60:61], v[60:61], v[62:63], v[66:67]
	v_div_fixup_f64 v[60:61], v[60:61], v[58:59], v[56:57]
	v_fmac_f64_e32 v[58:59], v[56:57], v[60:61]
	v_div_scale_f64 v[56:57], s[8:9], v[58:59], v[58:59], 1.0
	v_rcp_f64_e32 v[62:63], v[56:57]
	s_nop 0
	v_fma_f64 v[64:65], -v[56:57], v[62:63], 1.0
	v_fmac_f64_e32 v[62:63], v[62:63], v[64:65]
	v_fma_f64 v[64:65], -v[56:57], v[62:63], 1.0
	v_fmac_f64_e32 v[62:63], v[62:63], v[64:65]
	v_div_scale_f64 v[64:65], vcc, 1.0, v[58:59], 1.0
	v_mul_f64 v[66:67], v[64:65], v[62:63]
	v_fma_f64 v[56:57], -v[56:57], v[66:67], v[64:65]
	s_nop 1
	v_div_fmas_f64 v[56:57], v[56:57], v[62:63], v[66:67]
	v_div_fixup_f64 v[62:63], v[56:57], v[58:59], 1.0
	v_mul_f64 v[60:61], v[60:61], v[62:63]
	v_xor_b32_e32 v63, 0x80000000, v63
                                        ; implicit-def: $vgpr56_vgpr57
.LBB19_41:
	s_andn2_saveexec_b64 s[2:3], s[2:3]
	s_cbranch_execz .LBB19_43
; %bb.42:
	v_div_scale_f64 v[60:61], s[8:9], v[56:57], v[56:57], v[58:59]
	v_rcp_f64_e32 v[62:63], v[60:61]
	v_div_scale_f64 v[64:65], vcc, v[58:59], v[56:57], v[58:59]
	v_fma_f64 v[66:67], -v[60:61], v[62:63], 1.0
	v_fmac_f64_e32 v[62:63], v[62:63], v[66:67]
	v_fma_f64 v[66:67], -v[60:61], v[62:63], 1.0
	v_fmac_f64_e32 v[62:63], v[62:63], v[66:67]
	v_mul_f64 v[66:67], v[64:65], v[62:63]
	v_fma_f64 v[60:61], -v[60:61], v[66:67], v[64:65]
	v_div_fmas_f64 v[60:61], v[60:61], v[62:63], v[66:67]
	v_div_fixup_f64 v[62:63], v[60:61], v[56:57], v[58:59]
	v_fmac_f64_e32 v[56:57], v[58:59], v[62:63]
	v_div_scale_f64 v[58:59], s[8:9], v[56:57], v[56:57], 1.0
	v_rcp_f64_e32 v[60:61], v[58:59]
	s_nop 0
	v_fma_f64 v[64:65], -v[58:59], v[60:61], 1.0
	v_fmac_f64_e32 v[60:61], v[60:61], v[64:65]
	v_fma_f64 v[64:65], -v[58:59], v[60:61], 1.0
	v_fmac_f64_e32 v[60:61], v[60:61], v[64:65]
	v_div_scale_f64 v[64:65], vcc, 1.0, v[56:57], 1.0
	v_mul_f64 v[66:67], v[64:65], v[60:61]
	v_fma_f64 v[58:59], -v[58:59], v[66:67], v[64:65]
	s_nop 1
	v_div_fmas_f64 v[58:59], v[58:59], v[60:61], v[66:67]
	v_div_fixup_f64 v[60:61], v[58:59], v[56:57], 1.0
	v_mul_f64 v[62:63], v[62:63], -v[60:61]
.LBB19_43:
	s_or_b64 exec, exec, s[2:3]
	ds_write2_b64 v103, v[60:61], v[62:63] offset1:1
.LBB19_44:
	s_or_b64 exec, exec, s[4:5]
	s_waitcnt lgkmcnt(0)
	s_barrier
	ds_read2_b64 v[56:59], v103 offset1:1
	v_cmp_lt_u32_e32 vcc, 4, v102
	s_and_saveexec_b64 s[2:3], vcc
	s_cbranch_execz .LBB19_46
; %bb.45:
	ds_read2_b64 v[60:63], v104 offset0:10 offset1:11
	s_waitcnt vmcnt(5) lgkmcnt(1)
	v_mul_f64 v[64:65], v[56:57], v[22:23]
	v_fmac_f64_e32 v[64:65], v[58:59], v[20:21]
	v_mul_f64 v[22:23], v[58:59], v[22:23]
	v_fma_f64 v[20:21], v[56:57], v[20:21], -v[22:23]
	s_waitcnt lgkmcnt(0)
	v_mul_f64 v[22:23], v[62:63], v[64:65]
	v_fma_f64 v[22:23], v[60:61], v[20:21], -v[22:23]
	v_mul_f64 v[60:61], v[60:61], v[64:65]
	v_fmac_f64_e32 v[60:61], v[62:63], v[20:21]
	s_waitcnt vmcnt(4)
	v_add_f64 v[18:19], v[18:19], -v[60:61]
	ds_read2_b64 v[60:63], v104 offset0:12 offset1:13
	v_add_f64 v[16:17], v[16:17], -v[22:23]
	s_waitcnt lgkmcnt(0)
	v_mul_f64 v[22:23], v[62:63], v[64:65]
	v_fma_f64 v[22:23], v[60:61], v[20:21], -v[22:23]
	v_mul_f64 v[60:61], v[60:61], v[64:65]
	v_fmac_f64_e32 v[60:61], v[62:63], v[20:21]
	s_waitcnt vmcnt(3)
	v_add_f64 v[30:31], v[30:31], -v[60:61]
	ds_read2_b64 v[60:63], v104 offset0:14 offset1:15
	v_add_f64 v[28:29], v[28:29], -v[22:23]
	;; [unrolled: 9-line block ×4, first 2 shown]
	s_waitcnt lgkmcnt(0)
	v_mul_f64 v[22:23], v[62:63], v[64:65]
	v_fma_f64 v[22:23], v[60:61], v[20:21], -v[22:23]
	v_mul_f64 v[60:61], v[60:61], v[64:65]
	v_fmac_f64_e32 v[60:61], v[62:63], v[20:21]
	s_waitcnt vmcnt(0)
	v_add_f64 v[36:37], v[36:37], -v[22:23]
	v_add_f64 v[38:39], v[38:39], -v[60:61]
	v_mov_b64_e32 v[22:23], v[64:65]
.LBB19_46:
	s_or_b64 exec, exec, s[2:3]
	v_cmp_eq_u32_e32 vcc, 5, v102
	s_waitcnt lgkmcnt(0)
	s_barrier
	s_and_saveexec_b64 s[4:5], vcc
	s_cbranch_execz .LBB19_53
; %bb.47:
	s_waitcnt vmcnt(4)
	ds_write2_b64 v103, v[16:17], v[18:19] offset1:1
	s_waitcnt vmcnt(3)
	ds_write2_b64 v104, v[28:29], v[30:31] offset0:12 offset1:13
	s_waitcnt vmcnt(2)
	ds_write2_b64 v104, v[24:25], v[26:27] offset0:14 offset1:15
	;; [unrolled: 2-line block ×4, first 2 shown]
	ds_read2_b64 v[60:63], v103 offset1:1
	s_waitcnt lgkmcnt(0)
	v_cmp_neq_f64_e32 vcc, 0, v[60:61]
	v_cmp_neq_f64_e64 s[2:3], 0, v[62:63]
	s_or_b64 s[2:3], vcc, s[2:3]
	s_and_b64 exec, exec, s[2:3]
	s_cbranch_execz .LBB19_53
; %bb.48:
	v_cmp_ngt_f64_e64 s[2:3], |v[60:61]|, |v[62:63]|
                                        ; implicit-def: $vgpr64_vgpr65
	s_and_saveexec_b64 s[8:9], s[2:3]
	s_xor_b64 s[2:3], exec, s[8:9]
                                        ; implicit-def: $vgpr66_vgpr67
	s_cbranch_execz .LBB19_50
; %bb.49:
	v_div_scale_f64 v[64:65], s[8:9], v[62:63], v[62:63], v[60:61]
	v_rcp_f64_e32 v[66:67], v[64:65]
	v_div_scale_f64 v[68:69], vcc, v[60:61], v[62:63], v[60:61]
	v_fma_f64 v[70:71], -v[64:65], v[66:67], 1.0
	v_fmac_f64_e32 v[66:67], v[66:67], v[70:71]
	v_fma_f64 v[70:71], -v[64:65], v[66:67], 1.0
	v_fmac_f64_e32 v[66:67], v[66:67], v[70:71]
	v_mul_f64 v[70:71], v[68:69], v[66:67]
	v_fma_f64 v[64:65], -v[64:65], v[70:71], v[68:69]
	v_div_fmas_f64 v[64:65], v[64:65], v[66:67], v[70:71]
	v_div_fixup_f64 v[64:65], v[64:65], v[62:63], v[60:61]
	v_fmac_f64_e32 v[62:63], v[60:61], v[64:65]
	v_div_scale_f64 v[60:61], s[8:9], v[62:63], v[62:63], 1.0
	v_rcp_f64_e32 v[66:67], v[60:61]
	s_nop 0
	v_fma_f64 v[68:69], -v[60:61], v[66:67], 1.0
	v_fmac_f64_e32 v[66:67], v[66:67], v[68:69]
	v_fma_f64 v[68:69], -v[60:61], v[66:67], 1.0
	v_fmac_f64_e32 v[66:67], v[66:67], v[68:69]
	v_div_scale_f64 v[68:69], vcc, 1.0, v[62:63], 1.0
	v_mul_f64 v[70:71], v[68:69], v[66:67]
	v_fma_f64 v[60:61], -v[60:61], v[70:71], v[68:69]
	s_nop 1
	v_div_fmas_f64 v[60:61], v[60:61], v[66:67], v[70:71]
	v_div_fixup_f64 v[66:67], v[60:61], v[62:63], 1.0
	v_mul_f64 v[64:65], v[64:65], v[66:67]
	v_xor_b32_e32 v67, 0x80000000, v67
                                        ; implicit-def: $vgpr60_vgpr61
.LBB19_50:
	s_andn2_saveexec_b64 s[2:3], s[2:3]
	s_cbranch_execz .LBB19_52
; %bb.51:
	v_div_scale_f64 v[64:65], s[8:9], v[60:61], v[60:61], v[62:63]
	v_rcp_f64_e32 v[66:67], v[64:65]
	v_div_scale_f64 v[68:69], vcc, v[62:63], v[60:61], v[62:63]
	v_fma_f64 v[70:71], -v[64:65], v[66:67], 1.0
	v_fmac_f64_e32 v[66:67], v[66:67], v[70:71]
	v_fma_f64 v[70:71], -v[64:65], v[66:67], 1.0
	v_fmac_f64_e32 v[66:67], v[66:67], v[70:71]
	v_mul_f64 v[70:71], v[68:69], v[66:67]
	v_fma_f64 v[64:65], -v[64:65], v[70:71], v[68:69]
	v_div_fmas_f64 v[64:65], v[64:65], v[66:67], v[70:71]
	v_div_fixup_f64 v[66:67], v[64:65], v[60:61], v[62:63]
	v_fmac_f64_e32 v[60:61], v[62:63], v[66:67]
	v_div_scale_f64 v[62:63], s[8:9], v[60:61], v[60:61], 1.0
	v_rcp_f64_e32 v[64:65], v[62:63]
	s_nop 0
	v_fma_f64 v[68:69], -v[62:63], v[64:65], 1.0
	v_fmac_f64_e32 v[64:65], v[64:65], v[68:69]
	v_fma_f64 v[68:69], -v[62:63], v[64:65], 1.0
	v_fmac_f64_e32 v[64:65], v[64:65], v[68:69]
	v_div_scale_f64 v[68:69], vcc, 1.0, v[60:61], 1.0
	v_mul_f64 v[70:71], v[68:69], v[64:65]
	v_fma_f64 v[62:63], -v[62:63], v[70:71], v[68:69]
	s_nop 1
	v_div_fmas_f64 v[62:63], v[62:63], v[64:65], v[70:71]
	v_div_fixup_f64 v[64:65], v[62:63], v[60:61], 1.0
	v_mul_f64 v[66:67], v[66:67], -v[64:65]
.LBB19_52:
	s_or_b64 exec, exec, s[2:3]
	ds_write2_b64 v103, v[64:65], v[66:67] offset1:1
.LBB19_53:
	s_or_b64 exec, exec, s[4:5]
	s_waitcnt lgkmcnt(0)
	s_barrier
	ds_read2_b64 v[60:63], v103 offset1:1
	v_cmp_lt_u32_e32 vcc, 5, v102
	s_and_saveexec_b64 s[2:3], vcc
	s_cbranch_execz .LBB19_55
; %bb.54:
	ds_read2_b64 v[64:67], v104 offset0:12 offset1:13
	ds_read2_b64 v[68:71], v104 offset0:14 offset1:15
	s_waitcnt vmcnt(4) lgkmcnt(2)
	v_mul_f64 v[72:73], v[60:61], v[18:19]
	v_fmac_f64_e32 v[72:73], v[62:63], v[16:17]
	v_mul_f64 v[18:19], v[62:63], v[18:19]
	v_fma_f64 v[16:17], v[60:61], v[16:17], -v[18:19]
	s_waitcnt lgkmcnt(1)
	v_mul_f64 v[18:19], v[66:67], v[72:73]
	v_fma_f64 v[18:19], v[64:65], v[16:17], -v[18:19]
	v_mul_f64 v[64:65], v[64:65], v[72:73]
	v_fmac_f64_e32 v[64:65], v[66:67], v[16:17]
	s_waitcnt vmcnt(3)
	v_add_f64 v[28:29], v[28:29], -v[18:19]
	v_add_f64 v[30:31], v[30:31], -v[64:65]
	s_waitcnt lgkmcnt(0)
	v_mul_f64 v[18:19], v[70:71], v[72:73]
	ds_read2_b64 v[64:67], v104 offset0:16 offset1:17
	v_fma_f64 v[18:19], v[68:69], v[16:17], -v[18:19]
	v_mul_f64 v[68:69], v[68:69], v[72:73]
	v_fmac_f64_e32 v[68:69], v[70:71], v[16:17]
	s_waitcnt vmcnt(2)
	v_add_f64 v[26:27], v[26:27], -v[68:69]
	ds_read2_b64 v[68:71], v104 offset0:18 offset1:19
	v_add_f64 v[24:25], v[24:25], -v[18:19]
	s_waitcnt lgkmcnt(1)
	v_mul_f64 v[18:19], v[66:67], v[72:73]
	v_fma_f64 v[18:19], v[64:65], v[16:17], -v[18:19]
	v_mul_f64 v[64:65], v[64:65], v[72:73]
	v_fmac_f64_e32 v[64:65], v[66:67], v[16:17]
	s_waitcnt vmcnt(1)
	v_add_f64 v[32:33], v[32:33], -v[18:19]
	v_add_f64 v[34:35], v[34:35], -v[64:65]
	s_waitcnt lgkmcnt(0)
	v_mul_f64 v[18:19], v[70:71], v[72:73]
	v_mul_f64 v[64:65], v[68:69], v[72:73]
	v_fma_f64 v[18:19], v[68:69], v[16:17], -v[18:19]
	v_fmac_f64_e32 v[64:65], v[70:71], v[16:17]
	s_waitcnt vmcnt(0)
	v_add_f64 v[36:37], v[36:37], -v[18:19]
	v_add_f64 v[38:39], v[38:39], -v[64:65]
	v_mov_b64_e32 v[18:19], v[72:73]
.LBB19_55:
	s_or_b64 exec, exec, s[2:3]
	v_cmp_eq_u32_e32 vcc, 6, v102
	s_waitcnt lgkmcnt(0)
	s_barrier
	s_and_saveexec_b64 s[4:5], vcc
	s_cbranch_execz .LBB19_62
; %bb.56:
	s_waitcnt vmcnt(3)
	ds_write2_b64 v103, v[28:29], v[30:31] offset1:1
	s_waitcnt vmcnt(2)
	ds_write2_b64 v104, v[24:25], v[26:27] offset0:14 offset1:15
	s_waitcnt vmcnt(1)
	ds_write2_b64 v104, v[32:33], v[34:35] offset0:16 offset1:17
	;; [unrolled: 2-line block ×3, first 2 shown]
	ds_read2_b64 v[64:67], v103 offset1:1
	s_waitcnt lgkmcnt(0)
	v_cmp_neq_f64_e32 vcc, 0, v[64:65]
	v_cmp_neq_f64_e64 s[2:3], 0, v[66:67]
	s_or_b64 s[2:3], vcc, s[2:3]
	s_and_b64 exec, exec, s[2:3]
	s_cbranch_execz .LBB19_62
; %bb.57:
	v_cmp_ngt_f64_e64 s[2:3], |v[64:65]|, |v[66:67]|
                                        ; implicit-def: $vgpr68_vgpr69
	s_and_saveexec_b64 s[8:9], s[2:3]
	s_xor_b64 s[2:3], exec, s[8:9]
                                        ; implicit-def: $vgpr70_vgpr71
	s_cbranch_execz .LBB19_59
; %bb.58:
	v_div_scale_f64 v[68:69], s[8:9], v[66:67], v[66:67], v[64:65]
	v_rcp_f64_e32 v[70:71], v[68:69]
	v_div_scale_f64 v[72:73], vcc, v[64:65], v[66:67], v[64:65]
	v_fma_f64 v[74:75], -v[68:69], v[70:71], 1.0
	v_fmac_f64_e32 v[70:71], v[70:71], v[74:75]
	v_fma_f64 v[74:75], -v[68:69], v[70:71], 1.0
	v_fmac_f64_e32 v[70:71], v[70:71], v[74:75]
	v_mul_f64 v[74:75], v[72:73], v[70:71]
	v_fma_f64 v[68:69], -v[68:69], v[74:75], v[72:73]
	v_div_fmas_f64 v[68:69], v[68:69], v[70:71], v[74:75]
	v_div_fixup_f64 v[68:69], v[68:69], v[66:67], v[64:65]
	v_fmac_f64_e32 v[66:67], v[64:65], v[68:69]
	v_div_scale_f64 v[64:65], s[8:9], v[66:67], v[66:67], 1.0
	v_rcp_f64_e32 v[70:71], v[64:65]
	s_nop 0
	v_fma_f64 v[72:73], -v[64:65], v[70:71], 1.0
	v_fmac_f64_e32 v[70:71], v[70:71], v[72:73]
	v_fma_f64 v[72:73], -v[64:65], v[70:71], 1.0
	v_fmac_f64_e32 v[70:71], v[70:71], v[72:73]
	v_div_scale_f64 v[72:73], vcc, 1.0, v[66:67], 1.0
	v_mul_f64 v[74:75], v[72:73], v[70:71]
	v_fma_f64 v[64:65], -v[64:65], v[74:75], v[72:73]
	s_nop 1
	v_div_fmas_f64 v[64:65], v[64:65], v[70:71], v[74:75]
	v_div_fixup_f64 v[70:71], v[64:65], v[66:67], 1.0
	v_mul_f64 v[68:69], v[68:69], v[70:71]
	v_xor_b32_e32 v71, 0x80000000, v71
                                        ; implicit-def: $vgpr64_vgpr65
.LBB19_59:
	s_andn2_saveexec_b64 s[2:3], s[2:3]
	s_cbranch_execz .LBB19_61
; %bb.60:
	v_div_scale_f64 v[68:69], s[8:9], v[64:65], v[64:65], v[66:67]
	v_rcp_f64_e32 v[70:71], v[68:69]
	v_div_scale_f64 v[72:73], vcc, v[66:67], v[64:65], v[66:67]
	v_fma_f64 v[74:75], -v[68:69], v[70:71], 1.0
	v_fmac_f64_e32 v[70:71], v[70:71], v[74:75]
	v_fma_f64 v[74:75], -v[68:69], v[70:71], 1.0
	v_fmac_f64_e32 v[70:71], v[70:71], v[74:75]
	v_mul_f64 v[74:75], v[72:73], v[70:71]
	v_fma_f64 v[68:69], -v[68:69], v[74:75], v[72:73]
	v_div_fmas_f64 v[68:69], v[68:69], v[70:71], v[74:75]
	v_div_fixup_f64 v[70:71], v[68:69], v[64:65], v[66:67]
	v_fmac_f64_e32 v[64:65], v[66:67], v[70:71]
	v_div_scale_f64 v[66:67], s[8:9], v[64:65], v[64:65], 1.0
	v_rcp_f64_e32 v[68:69], v[66:67]
	s_nop 0
	v_fma_f64 v[72:73], -v[66:67], v[68:69], 1.0
	v_fmac_f64_e32 v[68:69], v[68:69], v[72:73]
	v_fma_f64 v[72:73], -v[66:67], v[68:69], 1.0
	v_fmac_f64_e32 v[68:69], v[68:69], v[72:73]
	v_div_scale_f64 v[72:73], vcc, 1.0, v[64:65], 1.0
	v_mul_f64 v[74:75], v[72:73], v[68:69]
	v_fma_f64 v[66:67], -v[66:67], v[74:75], v[72:73]
	s_nop 1
	v_div_fmas_f64 v[66:67], v[66:67], v[68:69], v[74:75]
	v_div_fixup_f64 v[68:69], v[66:67], v[64:65], 1.0
	v_mul_f64 v[70:71], v[70:71], -v[68:69]
.LBB19_61:
	s_or_b64 exec, exec, s[2:3]
	ds_write2_b64 v103, v[68:69], v[70:71] offset1:1
.LBB19_62:
	s_or_b64 exec, exec, s[4:5]
	s_waitcnt lgkmcnt(0)
	s_barrier
	ds_read2_b64 v[64:67], v103 offset1:1
	v_cmp_lt_u32_e32 vcc, 6, v102
	s_and_saveexec_b64 s[2:3], vcc
	s_cbranch_execz .LBB19_64
; %bb.63:
	ds_read2_b64 v[68:71], v104 offset0:14 offset1:15
	ds_read2_b64 v[72:75], v104 offset0:16 offset1:17
	s_waitcnt vmcnt(3) lgkmcnt(2)
	v_mul_f64 v[76:77], v[64:65], v[30:31]
	v_fmac_f64_e32 v[76:77], v[66:67], v[28:29]
	v_mul_f64 v[30:31], v[66:67], v[30:31]
	v_fma_f64 v[28:29], v[64:65], v[28:29], -v[30:31]
	s_waitcnt lgkmcnt(1)
	v_mul_f64 v[30:31], v[70:71], v[76:77]
	v_fma_f64 v[30:31], v[68:69], v[28:29], -v[30:31]
	v_mul_f64 v[68:69], v[68:69], v[76:77]
	v_fmac_f64_e32 v[68:69], v[70:71], v[28:29]
	s_waitcnt vmcnt(2)
	v_add_f64 v[26:27], v[26:27], -v[68:69]
	ds_read2_b64 v[68:71], v104 offset0:18 offset1:19
	v_add_f64 v[24:25], v[24:25], -v[30:31]
	s_waitcnt lgkmcnt(1)
	v_mul_f64 v[30:31], v[74:75], v[76:77]
	v_fma_f64 v[30:31], v[72:73], v[28:29], -v[30:31]
	s_waitcnt vmcnt(1)
	v_add_f64 v[32:33], v[32:33], -v[30:31]
	s_waitcnt lgkmcnt(0)
	v_mul_f64 v[30:31], v[70:71], v[76:77]
	v_mul_f64 v[72:73], v[72:73], v[76:77]
	v_fma_f64 v[30:31], v[68:69], v[28:29], -v[30:31]
	v_mul_f64 v[68:69], v[68:69], v[76:77]
	v_fmac_f64_e32 v[72:73], v[74:75], v[28:29]
	v_fmac_f64_e32 v[68:69], v[70:71], v[28:29]
	v_add_f64 v[34:35], v[34:35], -v[72:73]
	s_waitcnt vmcnt(0)
	v_add_f64 v[36:37], v[36:37], -v[30:31]
	v_add_f64 v[38:39], v[38:39], -v[68:69]
	v_mov_b64_e32 v[30:31], v[76:77]
.LBB19_64:
	s_or_b64 exec, exec, s[2:3]
	v_cmp_eq_u32_e32 vcc, 7, v102
	s_waitcnt lgkmcnt(0)
	s_barrier
	s_and_saveexec_b64 s[4:5], vcc
	s_cbranch_execz .LBB19_71
; %bb.65:
	s_waitcnt vmcnt(2)
	ds_write2_b64 v103, v[24:25], v[26:27] offset1:1
	s_waitcnt vmcnt(1)
	ds_write2_b64 v104, v[32:33], v[34:35] offset0:16 offset1:17
	s_waitcnt vmcnt(0)
	ds_write2_b64 v104, v[36:37], v[38:39] offset0:18 offset1:19
	ds_read2_b64 v[68:71], v103 offset1:1
	s_waitcnt lgkmcnt(0)
	v_cmp_neq_f64_e32 vcc, 0, v[68:69]
	v_cmp_neq_f64_e64 s[2:3], 0, v[70:71]
	s_or_b64 s[2:3], vcc, s[2:3]
	s_and_b64 exec, exec, s[2:3]
	s_cbranch_execz .LBB19_71
; %bb.66:
	v_cmp_ngt_f64_e64 s[2:3], |v[68:69]|, |v[70:71]|
                                        ; implicit-def: $vgpr72_vgpr73
	s_and_saveexec_b64 s[8:9], s[2:3]
	s_xor_b64 s[2:3], exec, s[8:9]
                                        ; implicit-def: $vgpr74_vgpr75
	s_cbranch_execz .LBB19_68
; %bb.67:
	v_div_scale_f64 v[72:73], s[8:9], v[70:71], v[70:71], v[68:69]
	v_rcp_f64_e32 v[74:75], v[72:73]
	v_div_scale_f64 v[76:77], vcc, v[68:69], v[70:71], v[68:69]
	v_fma_f64 v[78:79], -v[72:73], v[74:75], 1.0
	v_fmac_f64_e32 v[74:75], v[74:75], v[78:79]
	v_fma_f64 v[78:79], -v[72:73], v[74:75], 1.0
	v_fmac_f64_e32 v[74:75], v[74:75], v[78:79]
	v_mul_f64 v[78:79], v[76:77], v[74:75]
	v_fma_f64 v[72:73], -v[72:73], v[78:79], v[76:77]
	v_div_fmas_f64 v[72:73], v[72:73], v[74:75], v[78:79]
	v_div_fixup_f64 v[72:73], v[72:73], v[70:71], v[68:69]
	v_fmac_f64_e32 v[70:71], v[68:69], v[72:73]
	v_div_scale_f64 v[68:69], s[8:9], v[70:71], v[70:71], 1.0
	v_rcp_f64_e32 v[74:75], v[68:69]
	s_nop 0
	v_fma_f64 v[76:77], -v[68:69], v[74:75], 1.0
	v_fmac_f64_e32 v[74:75], v[74:75], v[76:77]
	v_fma_f64 v[76:77], -v[68:69], v[74:75], 1.0
	v_fmac_f64_e32 v[74:75], v[74:75], v[76:77]
	v_div_scale_f64 v[76:77], vcc, 1.0, v[70:71], 1.0
	v_mul_f64 v[78:79], v[76:77], v[74:75]
	v_fma_f64 v[68:69], -v[68:69], v[78:79], v[76:77]
	s_nop 1
	v_div_fmas_f64 v[68:69], v[68:69], v[74:75], v[78:79]
	v_div_fixup_f64 v[74:75], v[68:69], v[70:71], 1.0
	v_mul_f64 v[72:73], v[72:73], v[74:75]
	v_xor_b32_e32 v75, 0x80000000, v75
                                        ; implicit-def: $vgpr68_vgpr69
.LBB19_68:
	s_andn2_saveexec_b64 s[2:3], s[2:3]
	s_cbranch_execz .LBB19_70
; %bb.69:
	v_div_scale_f64 v[72:73], s[8:9], v[68:69], v[68:69], v[70:71]
	v_rcp_f64_e32 v[74:75], v[72:73]
	v_div_scale_f64 v[76:77], vcc, v[70:71], v[68:69], v[70:71]
	v_fma_f64 v[78:79], -v[72:73], v[74:75], 1.0
	v_fmac_f64_e32 v[74:75], v[74:75], v[78:79]
	v_fma_f64 v[78:79], -v[72:73], v[74:75], 1.0
	v_fmac_f64_e32 v[74:75], v[74:75], v[78:79]
	v_mul_f64 v[78:79], v[76:77], v[74:75]
	v_fma_f64 v[72:73], -v[72:73], v[78:79], v[76:77]
	v_div_fmas_f64 v[72:73], v[72:73], v[74:75], v[78:79]
	v_div_fixup_f64 v[74:75], v[72:73], v[68:69], v[70:71]
	v_fmac_f64_e32 v[68:69], v[70:71], v[74:75]
	v_div_scale_f64 v[70:71], s[8:9], v[68:69], v[68:69], 1.0
	v_rcp_f64_e32 v[72:73], v[70:71]
	s_nop 0
	v_fma_f64 v[76:77], -v[70:71], v[72:73], 1.0
	v_fmac_f64_e32 v[72:73], v[72:73], v[76:77]
	v_fma_f64 v[76:77], -v[70:71], v[72:73], 1.0
	v_fmac_f64_e32 v[72:73], v[72:73], v[76:77]
	v_div_scale_f64 v[76:77], vcc, 1.0, v[68:69], 1.0
	v_mul_f64 v[78:79], v[76:77], v[72:73]
	v_fma_f64 v[70:71], -v[70:71], v[78:79], v[76:77]
	s_nop 1
	v_div_fmas_f64 v[70:71], v[70:71], v[72:73], v[78:79]
	v_div_fixup_f64 v[72:73], v[70:71], v[68:69], 1.0
	v_mul_f64 v[74:75], v[74:75], -v[72:73]
.LBB19_70:
	s_or_b64 exec, exec, s[2:3]
	ds_write2_b64 v103, v[72:73], v[74:75] offset1:1
.LBB19_71:
	s_or_b64 exec, exec, s[4:5]
	s_waitcnt lgkmcnt(0)
	s_barrier
	ds_read2_b64 v[68:71], v103 offset1:1
	v_cmp_lt_u32_e32 vcc, 7, v102
	s_and_saveexec_b64 s[2:3], vcc
	s_cbranch_execz .LBB19_73
; %bb.72:
	ds_read2_b64 v[72:75], v104 offset0:16 offset1:17
	ds_read2_b64 v[76:79], v104 offset0:18 offset1:19
	s_waitcnt vmcnt(2) lgkmcnt(2)
	v_mul_f64 v[106:107], v[68:69], v[26:27]
	v_fmac_f64_e32 v[106:107], v[70:71], v[24:25]
	v_mul_f64 v[26:27], v[70:71], v[26:27]
	v_fma_f64 v[24:25], v[68:69], v[24:25], -v[26:27]
	s_waitcnt lgkmcnt(1)
	v_mul_f64 v[26:27], v[74:75], v[106:107]
	v_fma_f64 v[26:27], v[72:73], v[24:25], -v[26:27]
	v_mul_f64 v[72:73], v[72:73], v[106:107]
	v_fmac_f64_e32 v[72:73], v[74:75], v[24:25]
	s_waitcnt vmcnt(1)
	v_add_f64 v[32:33], v[32:33], -v[26:27]
	v_add_f64 v[34:35], v[34:35], -v[72:73]
	s_waitcnt lgkmcnt(0)
	v_mul_f64 v[26:27], v[78:79], v[106:107]
	v_mul_f64 v[72:73], v[76:77], v[106:107]
	v_fma_f64 v[26:27], v[76:77], v[24:25], -v[26:27]
	v_fmac_f64_e32 v[72:73], v[78:79], v[24:25]
	s_waitcnt vmcnt(0)
	v_add_f64 v[36:37], v[36:37], -v[26:27]
	v_add_f64 v[38:39], v[38:39], -v[72:73]
	v_mov_b64_e32 v[26:27], v[106:107]
.LBB19_73:
	s_or_b64 exec, exec, s[2:3]
	v_cmp_eq_u32_e32 vcc, 8, v102
	s_waitcnt lgkmcnt(0)
	s_barrier
	s_and_saveexec_b64 s[4:5], vcc
	s_cbranch_execz .LBB19_80
; %bb.74:
	s_waitcnt vmcnt(1)
	ds_write2_b64 v103, v[32:33], v[34:35] offset1:1
	s_waitcnt vmcnt(0)
	ds_write2_b64 v104, v[36:37], v[38:39] offset0:18 offset1:19
	ds_read2_b64 v[72:75], v103 offset1:1
	s_waitcnt lgkmcnt(0)
	v_cmp_neq_f64_e32 vcc, 0, v[72:73]
	v_cmp_neq_f64_e64 s[2:3], 0, v[74:75]
	s_or_b64 s[2:3], vcc, s[2:3]
	s_and_b64 exec, exec, s[2:3]
	s_cbranch_execz .LBB19_80
; %bb.75:
	v_cmp_ngt_f64_e64 s[2:3], |v[72:73]|, |v[74:75]|
                                        ; implicit-def: $vgpr76_vgpr77
	s_and_saveexec_b64 s[8:9], s[2:3]
	s_xor_b64 s[2:3], exec, s[8:9]
                                        ; implicit-def: $vgpr78_vgpr79
	s_cbranch_execz .LBB19_77
; %bb.76:
	v_div_scale_f64 v[76:77], s[8:9], v[74:75], v[74:75], v[72:73]
	v_rcp_f64_e32 v[78:79], v[76:77]
	v_div_scale_f64 v[106:107], vcc, v[72:73], v[74:75], v[72:73]
	v_fma_f64 v[108:109], -v[76:77], v[78:79], 1.0
	v_fmac_f64_e32 v[78:79], v[78:79], v[108:109]
	v_fma_f64 v[108:109], -v[76:77], v[78:79], 1.0
	v_fmac_f64_e32 v[78:79], v[78:79], v[108:109]
	v_mul_f64 v[108:109], v[106:107], v[78:79]
	v_fma_f64 v[76:77], -v[76:77], v[108:109], v[106:107]
	v_div_fmas_f64 v[76:77], v[76:77], v[78:79], v[108:109]
	v_div_fixup_f64 v[76:77], v[76:77], v[74:75], v[72:73]
	v_fmac_f64_e32 v[74:75], v[72:73], v[76:77]
	v_div_scale_f64 v[72:73], s[8:9], v[74:75], v[74:75], 1.0
	v_rcp_f64_e32 v[78:79], v[72:73]
	s_nop 0
	v_fma_f64 v[106:107], -v[72:73], v[78:79], 1.0
	v_fmac_f64_e32 v[78:79], v[78:79], v[106:107]
	v_fma_f64 v[106:107], -v[72:73], v[78:79], 1.0
	v_fmac_f64_e32 v[78:79], v[78:79], v[106:107]
	v_div_scale_f64 v[106:107], vcc, 1.0, v[74:75], 1.0
	v_mul_f64 v[108:109], v[106:107], v[78:79]
	v_fma_f64 v[72:73], -v[72:73], v[108:109], v[106:107]
	s_nop 1
	v_div_fmas_f64 v[72:73], v[72:73], v[78:79], v[108:109]
	v_div_fixup_f64 v[78:79], v[72:73], v[74:75], 1.0
	v_mul_f64 v[76:77], v[76:77], v[78:79]
	v_xor_b32_e32 v79, 0x80000000, v79
                                        ; implicit-def: $vgpr72_vgpr73
.LBB19_77:
	s_andn2_saveexec_b64 s[2:3], s[2:3]
	s_cbranch_execz .LBB19_79
; %bb.78:
	v_div_scale_f64 v[76:77], s[8:9], v[72:73], v[72:73], v[74:75]
	v_rcp_f64_e32 v[78:79], v[76:77]
	v_div_scale_f64 v[106:107], vcc, v[74:75], v[72:73], v[74:75]
	v_fma_f64 v[108:109], -v[76:77], v[78:79], 1.0
	v_fmac_f64_e32 v[78:79], v[78:79], v[108:109]
	v_fma_f64 v[108:109], -v[76:77], v[78:79], 1.0
	v_fmac_f64_e32 v[78:79], v[78:79], v[108:109]
	v_mul_f64 v[108:109], v[106:107], v[78:79]
	v_fma_f64 v[76:77], -v[76:77], v[108:109], v[106:107]
	v_div_fmas_f64 v[76:77], v[76:77], v[78:79], v[108:109]
	v_div_fixup_f64 v[78:79], v[76:77], v[72:73], v[74:75]
	v_fmac_f64_e32 v[72:73], v[74:75], v[78:79]
	v_div_scale_f64 v[74:75], s[8:9], v[72:73], v[72:73], 1.0
	v_rcp_f64_e32 v[76:77], v[74:75]
	s_nop 0
	v_fma_f64 v[106:107], -v[74:75], v[76:77], 1.0
	v_fmac_f64_e32 v[76:77], v[76:77], v[106:107]
	v_fma_f64 v[106:107], -v[74:75], v[76:77], 1.0
	v_fmac_f64_e32 v[76:77], v[76:77], v[106:107]
	v_div_scale_f64 v[106:107], vcc, 1.0, v[72:73], 1.0
	v_mul_f64 v[108:109], v[106:107], v[76:77]
	v_fma_f64 v[74:75], -v[74:75], v[108:109], v[106:107]
	s_nop 1
	v_div_fmas_f64 v[74:75], v[74:75], v[76:77], v[108:109]
	v_div_fixup_f64 v[76:77], v[74:75], v[72:73], 1.0
	v_mul_f64 v[78:79], v[78:79], -v[76:77]
.LBB19_79:
	s_or_b64 exec, exec, s[2:3]
	ds_write2_b64 v103, v[76:77], v[78:79] offset1:1
.LBB19_80:
	s_or_b64 exec, exec, s[4:5]
	s_waitcnt lgkmcnt(0)
	s_barrier
	ds_read2_b64 v[72:75], v103 offset1:1
	v_cmp_lt_u32_e32 vcc, 8, v102
	s_and_saveexec_b64 s[2:3], vcc
	s_cbranch_execz .LBB19_82
; %bb.81:
	ds_read2_b64 v[76:79], v104 offset0:18 offset1:19
	s_waitcnt vmcnt(1) lgkmcnt(1)
	v_mul_f64 v[104:105], v[72:73], v[34:35]
	v_mul_f64 v[34:35], v[74:75], v[34:35]
	v_fmac_f64_e32 v[104:105], v[74:75], v[32:33]
	v_fma_f64 v[32:33], v[72:73], v[32:33], -v[34:35]
	s_waitcnt lgkmcnt(0)
	v_mul_f64 v[34:35], v[78:79], v[104:105]
	v_fma_f64 v[34:35], v[76:77], v[32:33], -v[34:35]
	v_mul_f64 v[76:77], v[76:77], v[104:105]
	v_fmac_f64_e32 v[76:77], v[78:79], v[32:33]
	s_waitcnt vmcnt(0)
	v_add_f64 v[36:37], v[36:37], -v[34:35]
	v_add_f64 v[38:39], v[38:39], -v[76:77]
	v_mov_b64_e32 v[34:35], v[104:105]
.LBB19_82:
	s_or_b64 exec, exec, s[2:3]
	v_cmp_eq_u32_e32 vcc, 9, v102
	s_waitcnt lgkmcnt(0)
	s_barrier
	s_and_saveexec_b64 s[4:5], vcc
	s_cbranch_execz .LBB19_89
; %bb.83:
	s_waitcnt vmcnt(0)
	v_cmp_neq_f64_e32 vcc, 0, v[36:37]
	v_cmp_neq_f64_e64 s[2:3], 0, v[38:39]
	s_or_b64 s[2:3], vcc, s[2:3]
	ds_write2_b64 v103, v[36:37], v[38:39] offset1:1
	s_and_b64 exec, exec, s[2:3]
	s_cbranch_execz .LBB19_89
; %bb.84:
	v_cmp_ngt_f64_e64 s[2:3], |v[36:37]|, |v[38:39]|
                                        ; implicit-def: $vgpr76_vgpr77
	s_and_saveexec_b64 s[8:9], s[2:3]
	s_xor_b64 s[2:3], exec, s[8:9]
                                        ; implicit-def: $vgpr78_vgpr79
	s_cbranch_execz .LBB19_86
; %bb.85:
	v_div_scale_f64 v[76:77], s[8:9], v[38:39], v[38:39], v[36:37]
	v_rcp_f64_e32 v[78:79], v[76:77]
	v_div_scale_f64 v[104:105], vcc, v[36:37], v[38:39], v[36:37]
	v_fma_f64 v[106:107], -v[76:77], v[78:79], 1.0
	v_fmac_f64_e32 v[78:79], v[78:79], v[106:107]
	v_fma_f64 v[106:107], -v[76:77], v[78:79], 1.0
	v_fmac_f64_e32 v[78:79], v[78:79], v[106:107]
	v_mul_f64 v[106:107], v[104:105], v[78:79]
	v_fma_f64 v[76:77], -v[76:77], v[106:107], v[104:105]
	v_div_fmas_f64 v[76:77], v[76:77], v[78:79], v[106:107]
	v_div_fixup_f64 v[76:77], v[76:77], v[38:39], v[36:37]
	v_fma_f64 v[78:79], v[36:37], v[76:77], v[38:39]
	v_div_scale_f64 v[104:105], s[8:9], v[78:79], v[78:79], 1.0
	v_rcp_f64_e32 v[106:107], v[104:105]
	s_nop 0
	v_fma_f64 v[108:109], -v[104:105], v[106:107], 1.0
	v_fmac_f64_e32 v[106:107], v[106:107], v[108:109]
	v_fma_f64 v[108:109], -v[104:105], v[106:107], 1.0
	v_fmac_f64_e32 v[106:107], v[106:107], v[108:109]
	v_div_scale_f64 v[108:109], vcc, 1.0, v[78:79], 1.0
	v_mul_f64 v[110:111], v[108:109], v[106:107]
	v_fma_f64 v[104:105], -v[104:105], v[110:111], v[108:109]
	s_nop 1
	v_div_fmas_f64 v[104:105], v[104:105], v[106:107], v[110:111]
	v_div_fixup_f64 v[78:79], v[104:105], v[78:79], 1.0
	v_mul_f64 v[76:77], v[76:77], v[78:79]
	v_xor_b32_e32 v79, 0x80000000, v79
.LBB19_86:
	s_andn2_saveexec_b64 s[2:3], s[2:3]
	s_cbranch_execz .LBB19_88
; %bb.87:
	v_div_scale_f64 v[76:77], s[8:9], v[36:37], v[36:37], v[38:39]
	v_rcp_f64_e32 v[78:79], v[76:77]
	v_div_scale_f64 v[104:105], vcc, v[38:39], v[36:37], v[38:39]
	v_fma_f64 v[106:107], -v[76:77], v[78:79], 1.0
	v_fmac_f64_e32 v[78:79], v[78:79], v[106:107]
	v_fma_f64 v[106:107], -v[76:77], v[78:79], 1.0
	v_fmac_f64_e32 v[78:79], v[78:79], v[106:107]
	v_mul_f64 v[106:107], v[104:105], v[78:79]
	v_fma_f64 v[76:77], -v[76:77], v[106:107], v[104:105]
	v_div_fmas_f64 v[76:77], v[76:77], v[78:79], v[106:107]
	v_div_fixup_f64 v[78:79], v[76:77], v[36:37], v[38:39]
	v_fma_f64 v[76:77], v[38:39], v[78:79], v[36:37]
	v_div_scale_f64 v[104:105], s[8:9], v[76:77], v[76:77], 1.0
	v_rcp_f64_e32 v[106:107], v[104:105]
	s_nop 0
	v_fma_f64 v[108:109], -v[104:105], v[106:107], 1.0
	v_fmac_f64_e32 v[106:107], v[106:107], v[108:109]
	v_fma_f64 v[108:109], -v[104:105], v[106:107], 1.0
	v_fmac_f64_e32 v[106:107], v[106:107], v[108:109]
	v_div_scale_f64 v[108:109], vcc, 1.0, v[76:77], 1.0
	v_mul_f64 v[110:111], v[108:109], v[106:107]
	v_fma_f64 v[104:105], -v[104:105], v[110:111], v[108:109]
	s_nop 1
	v_div_fmas_f64 v[104:105], v[104:105], v[106:107], v[110:111]
	v_div_fixup_f64 v[76:77], v[104:105], v[76:77], 1.0
	v_mul_f64 v[78:79], v[78:79], -v[76:77]
.LBB19_88:
	s_or_b64 exec, exec, s[2:3]
	ds_write2_b64 v103, v[76:77], v[78:79] offset1:1
.LBB19_89:
	s_or_b64 exec, exec, s[4:5]
	s_waitcnt lgkmcnt(0)
	s_barrier
	ds_read2_b64 v[76:79], v103 offset1:1
	s_waitcnt lgkmcnt(0)
	s_barrier
	s_and_saveexec_b64 s[42:43], s[0:1]
	s_cbranch_execz .LBB19_92
; %bb.90:
	v_mov_b32_e32 v104, s6
	v_mov_b32_e32 v105, s7
	v_lshl_add_u64 v[94:95], v[94:95], 2, v[104:105]
	global_load_dword v103, v[94:95], off
	v_cmp_eq_f64_e32 vcc, 0, v[40:41]
	v_cmp_eq_f64_e64 s[0:1], 0, v[42:43]
	v_cmp_neq_f64_e64 s[2:3], 0, v[44:45]
	v_cmp_neq_f64_e64 s[4:5], 0, v[46:47]
	s_and_b64 s[0:1], vcc, s[0:1]
	s_or_b64 s[2:3], s[2:3], s[4:5]
	v_cndmask_b32_e64 v40, 0, 1, s[0:1]
	s_or_b64 vcc, s[2:3], s[0:1]
	v_cmp_eq_f64_e64 s[6:7], 0, v[48:49]
	v_cmp_eq_f64_e64 s[8:9], 0, v[50:51]
	v_cndmask_b32_e32 v40, 2, v40, vcc
	s_and_b64 s[4:5], s[6:7], s[8:9]
	v_cmp_eq_u32_e32 vcc, 0, v40
	s_and_b64 s[0:1], s[4:5], vcc
	v_cmp_eq_f64_e64 s[10:11], 0, v[52:53]
	v_cmp_eq_f64_e64 s[12:13], 0, v[54:55]
	v_cndmask_b32_e64 v40, v40, 3, s[0:1]
	s_and_b64 s[6:7], s[10:11], s[12:13]
	v_cmp_eq_u32_e32 vcc, 0, v40
	s_and_b64 s[0:1], s[6:7], vcc
	v_cmp_eq_f64_e64 s[14:15], 0, v[56:57]
	v_cmp_eq_f64_e64 s[16:17], 0, v[58:59]
	v_cndmask_b32_e64 v40, v40, 4, s[0:1]
	;; [unrolled: 6-line block ×7, first 2 shown]
	s_and_b64 s[18:19], s[36:37], s[38:39]
	v_cmp_eq_u32_e32 vcc, 0, v40
	s_and_b64 s[0:1], s[18:19], vcc
	v_cndmask_b32_e64 v40, v40, 10, s[0:1]
	v_cmp_ne_u32_e64 s[0:1], 0, v40
	s_waitcnt vmcnt(0)
	v_cmp_eq_u32_e32 vcc, 0, v103
	s_and_b64 s[0:1], vcc, s[0:1]
	s_and_b64 exec, exec, s[0:1]
	s_cbranch_execz .LBB19_92
; %bb.91:
	v_add_u32_e32 v40, s41, v40
	global_store_dword v[94:95], v40, off
.LBB19_92:
	s_or_b64 exec, exec, s[42:43]
	s_waitcnt vmcnt(0)
	v_mul_f64 v[40:41], v[78:79], v[38:39]
	v_mul_f64 v[42:43], v[76:77], v[38:39]
	v_fma_f64 v[40:41], v[76:77], v[36:37], -v[40:41]
	v_fmac_f64_e32 v[42:43], v[78:79], v[36:37]
	v_cmp_lt_u32_e32 vcc, 9, v102
	s_nop 1
	v_cndmask_b32_e32 v39, v39, v43, vcc
	v_cndmask_b32_e32 v38, v38, v42, vcc
	;; [unrolled: 1-line block ×4, first 2 shown]
	global_store_dwordx4 v[80:81], v[4:7], off
	global_store_dwordx4 v[82:83], v[0:3], off
	;; [unrolled: 1-line block ×10, first 2 shown]
.LBB19_93:
	s_endpgm
	.section	.rodata,"a",@progbits
	.p2align	6, 0x0
	.amdhsa_kernel _ZN9rocsolver6v33100L23getf2_npvt_small_kernelILi10E19rocblas_complex_numIdEiiPS3_EEvT1_T3_lS5_lPT2_S5_S5_
		.amdhsa_group_segment_fixed_size 0
		.amdhsa_private_segment_fixed_size 0
		.amdhsa_kernarg_size 312
		.amdhsa_user_sgpr_count 2
		.amdhsa_user_sgpr_dispatch_ptr 0
		.amdhsa_user_sgpr_queue_ptr 0
		.amdhsa_user_sgpr_kernarg_segment_ptr 1
		.amdhsa_user_sgpr_dispatch_id 0
		.amdhsa_user_sgpr_kernarg_preload_length 0
		.amdhsa_user_sgpr_kernarg_preload_offset 0
		.amdhsa_user_sgpr_private_segment_size 0
		.amdhsa_uses_dynamic_stack 0
		.amdhsa_enable_private_segment 0
		.amdhsa_system_sgpr_workgroup_id_x 1
		.amdhsa_system_sgpr_workgroup_id_y 1
		.amdhsa_system_sgpr_workgroup_id_z 0
		.amdhsa_system_sgpr_workgroup_info 0
		.amdhsa_system_vgpr_workitem_id 1
		.amdhsa_next_free_vgpr 112
		.amdhsa_next_free_sgpr 44
		.amdhsa_accum_offset 112
		.amdhsa_reserve_vcc 1
		.amdhsa_float_round_mode_32 0
		.amdhsa_float_round_mode_16_64 0
		.amdhsa_float_denorm_mode_32 3
		.amdhsa_float_denorm_mode_16_64 3
		.amdhsa_dx10_clamp 1
		.amdhsa_ieee_mode 1
		.amdhsa_fp16_overflow 0
		.amdhsa_tg_split 0
		.amdhsa_exception_fp_ieee_invalid_op 0
		.amdhsa_exception_fp_denorm_src 0
		.amdhsa_exception_fp_ieee_div_zero 0
		.amdhsa_exception_fp_ieee_overflow 0
		.amdhsa_exception_fp_ieee_underflow 0
		.amdhsa_exception_fp_ieee_inexact 0
		.amdhsa_exception_int_div_zero 0
	.end_amdhsa_kernel
	.section	.text._ZN9rocsolver6v33100L23getf2_npvt_small_kernelILi10E19rocblas_complex_numIdEiiPS3_EEvT1_T3_lS5_lPT2_S5_S5_,"axG",@progbits,_ZN9rocsolver6v33100L23getf2_npvt_small_kernelILi10E19rocblas_complex_numIdEiiPS3_EEvT1_T3_lS5_lPT2_S5_S5_,comdat
.Lfunc_end19:
	.size	_ZN9rocsolver6v33100L23getf2_npvt_small_kernelILi10E19rocblas_complex_numIdEiiPS3_EEvT1_T3_lS5_lPT2_S5_S5_, .Lfunc_end19-_ZN9rocsolver6v33100L23getf2_npvt_small_kernelILi10E19rocblas_complex_numIdEiiPS3_EEvT1_T3_lS5_lPT2_S5_S5_
                                        ; -- End function
	.set _ZN9rocsolver6v33100L23getf2_npvt_small_kernelILi10E19rocblas_complex_numIdEiiPS3_EEvT1_T3_lS5_lPT2_S5_S5_.num_vgpr, 112
	.set _ZN9rocsolver6v33100L23getf2_npvt_small_kernelILi10E19rocblas_complex_numIdEiiPS3_EEvT1_T3_lS5_lPT2_S5_S5_.num_agpr, 0
	.set _ZN9rocsolver6v33100L23getf2_npvt_small_kernelILi10E19rocblas_complex_numIdEiiPS3_EEvT1_T3_lS5_lPT2_S5_S5_.numbered_sgpr, 44
	.set _ZN9rocsolver6v33100L23getf2_npvt_small_kernelILi10E19rocblas_complex_numIdEiiPS3_EEvT1_T3_lS5_lPT2_S5_S5_.num_named_barrier, 0
	.set _ZN9rocsolver6v33100L23getf2_npvt_small_kernelILi10E19rocblas_complex_numIdEiiPS3_EEvT1_T3_lS5_lPT2_S5_S5_.private_seg_size, 0
	.set _ZN9rocsolver6v33100L23getf2_npvt_small_kernelILi10E19rocblas_complex_numIdEiiPS3_EEvT1_T3_lS5_lPT2_S5_S5_.uses_vcc, 1
	.set _ZN9rocsolver6v33100L23getf2_npvt_small_kernelILi10E19rocblas_complex_numIdEiiPS3_EEvT1_T3_lS5_lPT2_S5_S5_.uses_flat_scratch, 0
	.set _ZN9rocsolver6v33100L23getf2_npvt_small_kernelILi10E19rocblas_complex_numIdEiiPS3_EEvT1_T3_lS5_lPT2_S5_S5_.has_dyn_sized_stack, 0
	.set _ZN9rocsolver6v33100L23getf2_npvt_small_kernelILi10E19rocblas_complex_numIdEiiPS3_EEvT1_T3_lS5_lPT2_S5_S5_.has_recursion, 0
	.set _ZN9rocsolver6v33100L23getf2_npvt_small_kernelILi10E19rocblas_complex_numIdEiiPS3_EEvT1_T3_lS5_lPT2_S5_S5_.has_indirect_call, 0
	.section	.AMDGPU.csdata,"",@progbits
; Kernel info:
; codeLenInByte = 9484
; TotalNumSgprs: 50
; NumVgprs: 112
; NumAgprs: 0
; TotalNumVgprs: 112
; ScratchSize: 0
; MemoryBound: 0
; FloatMode: 240
; IeeeMode: 1
; LDSByteSize: 0 bytes/workgroup (compile time only)
; SGPRBlocks: 6
; VGPRBlocks: 13
; NumSGPRsForWavesPerEU: 50
; NumVGPRsForWavesPerEU: 112
; AccumOffset: 112
; Occupancy: 4
; WaveLimiterHint : 0
; COMPUTE_PGM_RSRC2:SCRATCH_EN: 0
; COMPUTE_PGM_RSRC2:USER_SGPR: 2
; COMPUTE_PGM_RSRC2:TRAP_HANDLER: 0
; COMPUTE_PGM_RSRC2:TGID_X_EN: 1
; COMPUTE_PGM_RSRC2:TGID_Y_EN: 1
; COMPUTE_PGM_RSRC2:TGID_Z_EN: 0
; COMPUTE_PGM_RSRC2:TIDIG_COMP_CNT: 1
; COMPUTE_PGM_RSRC3_GFX90A:ACCUM_OFFSET: 27
; COMPUTE_PGM_RSRC3_GFX90A:TG_SPLIT: 0
	.section	.text._ZN9rocsolver6v33100L18getf2_small_kernelILi11E19rocblas_complex_numIdEiiPS3_EEvT1_T3_lS5_lPS5_llPT2_S5_S5_S7_l,"axG",@progbits,_ZN9rocsolver6v33100L18getf2_small_kernelILi11E19rocblas_complex_numIdEiiPS3_EEvT1_T3_lS5_lPS5_llPT2_S5_S5_S7_l,comdat
	.globl	_ZN9rocsolver6v33100L18getf2_small_kernelILi11E19rocblas_complex_numIdEiiPS3_EEvT1_T3_lS5_lPS5_llPT2_S5_S5_S7_l ; -- Begin function _ZN9rocsolver6v33100L18getf2_small_kernelILi11E19rocblas_complex_numIdEiiPS3_EEvT1_T3_lS5_lPS5_llPT2_S5_S5_S7_l
	.p2align	8
	.type	_ZN9rocsolver6v33100L18getf2_small_kernelILi11E19rocblas_complex_numIdEiiPS3_EEvT1_T3_lS5_lPS5_llPT2_S5_S5_S7_l,@function
_ZN9rocsolver6v33100L18getf2_small_kernelILi11E19rocblas_complex_numIdEiiPS3_EEvT1_T3_lS5_lPS5_llPT2_S5_S5_S7_l: ; @_ZN9rocsolver6v33100L18getf2_small_kernelILi11E19rocblas_complex_numIdEiiPS3_EEvT1_T3_lS5_lPS5_llPT2_S5_S5_S7_l
; %bb.0:
	s_load_dword s2, s[0:1], 0x6c
	s_load_dwordx2 s[12:13], s[0:1], 0x48
	v_bfe_u32 v44, v0, 10, 10
	s_waitcnt lgkmcnt(0)
	s_lshr_b32 s2, s2, 16
	s_mul_i32 s3, s3, s2
	v_add_u32_e32 v50, s3, v44
	v_cmp_gt_i32_e32 vcc, s12, v50
	s_and_saveexec_b64 s[2:3], vcc
	s_cbranch_execz .LBB20_232
; %bb.1:
	s_load_dwordx4 s[4:7], s[0:1], 0x50
	v_ashrrev_i32_e32 v51, 31, v50
	v_mov_b64_e32 v[52:53], 0
	s_waitcnt lgkmcnt(0)
	s_cmp_eq_u64 s[4:5], 0
	s_cselect_b64 s[14:15], -1, 0
	s_and_b64 vcc, exec, s[14:15]
	s_cbranch_vccnz .LBB20_3
; %bb.2:
	v_mul_lo_u32 v1, s7, v50
	v_mul_lo_u32 v4, s6, v51
	v_mad_u64_u32 v[2:3], s[2:3], s6, v50, 0
	v_add3_u32 v3, v3, v4, v1
	v_lshl_add_u64 v[52:53], v[2:3], 2, s[4:5]
.LBB20_3:
	s_load_dwordx4 s[16:19], s[0:1], 0x8
	s_load_dwordx8 s[4:11], s[0:1], 0x20
	s_load_dword s2, s[0:1], 0x18
	v_and_b32_e32 v58, 0x3ff, v0
	v_lshlrev_b32_e32 v54, 4, v58
	s_waitcnt lgkmcnt(0)
	v_mov_b32_e32 v2, s16
	v_mul_lo_u32 v1, s5, v50
	v_mul_lo_u32 v6, s4, v51
	v_mad_u64_u32 v[4:5], s[4:5], s4, v50, 0
	v_mov_b32_e32 v3, s17
	v_add3_u32 v5, v5, v6, v1
	v_lshl_add_u64 v[2:3], v[4:5], 4, v[2:3]
	v_lshl_add_u64 v[48:49], s[18:19], 4, v[2:3]
	v_mov_b32_e32 v55, 0
	v_lshl_add_u64 v[0:1], v[48:49], 0, v[54:55]
	s_ashr_i32 s3, s2, 31
	s_add_i32 s12, s2, s2
	v_lshl_add_u64 v[2:3], s[2:3], 4, v[0:1]
	global_load_dwordx4 v[32:35], v[0:1], off
	global_load_dwordx4 v[28:31], v[2:3], off
	v_add_u32_e32 v0, s12, v58
	v_ashrrev_i32_e32 v1, 31, v0
	v_lshl_add_u64 v[2:3], v[0:1], 4, v[48:49]
	v_add_u32_e32 v0, s2, v0
	v_ashrrev_i32_e32 v1, 31, v0
	v_lshl_add_u64 v[4:5], v[0:1], 4, v[48:49]
	v_add_u32_e32 v0, s2, v0
	v_ashrrev_i32_e32 v1, 31, v0
	global_load_dwordx4 v[36:39], v[2:3], off
	global_load_dwordx4 v[20:23], v[4:5], off
	v_lshl_add_u64 v[2:3], v[0:1], 4, v[48:49]
	v_add_u32_e32 v0, s2, v0
	v_ashrrev_i32_e32 v1, 31, v0
	v_lshl_add_u64 v[4:5], v[0:1], 4, v[48:49]
	v_add_u32_e32 v0, s2, v0
	v_ashrrev_i32_e32 v1, 31, v0
	global_load_dwordx4 v[24:27], v[2:3], off
	global_load_dwordx4 v[12:15], v[4:5], off
	v_lshl_add_u64 v[2:3], v[0:1], 4, v[48:49]
	v_add_u32_e32 v0, s2, v0
	v_ashrrev_i32_e32 v1, 31, v0
	v_lshl_add_u64 v[8:9], v[0:1], 4, v[48:49]
	v_add_u32_e32 v0, s2, v0
	v_ashrrev_i32_e32 v1, 31, v0
	v_add_u32_e32 v42, s2, v0
	v_lshl_add_u64 v[40:41], v[0:1], 4, v[48:49]
	v_ashrrev_i32_e32 v43, 31, v42
	global_load_dwordx4 v[16:19], v[2:3], off
	global_load_dwordx4 v[4:7], v[8:9], off
	v_lshl_add_u64 v[46:47], v[42:43], 4, v[48:49]
	global_load_dwordx4 v[8:11], v[40:41], off
	global_load_dwordx4 v[0:3], v[46:47], off
	v_add_u32_e32 v40, s2, v42
	v_ashrrev_i32_e32 v41, 31, v40
	v_lshl_add_u64 v[40:41], v[40:41], 4, v[48:49]
	global_load_dwordx4 v[40:43], v[40:41], off
	s_load_dword s20, s[0:1], 0x0
	s_load_dwordx2 s[4:5], s[0:1], 0x40
	s_waitcnt lgkmcnt(0)
	s_max_i32 s0, s20, 11
	v_mul_lo_u32 v57, s0, v44
	v_lshl_add_u32 v56, v57, 4, 0
	v_add_u32_e32 v44, v56, v54
	s_cmp_lt_i32 s20, 2
	v_lshlrev_b32_e32 v57, 4, v57
	s_waitcnt vmcnt(10)
	ds_write2_b64 v44, v[32:33], v[34:35] offset1:1
	s_waitcnt lgkmcnt(0)
	s_barrier
	ds_read2_b64 v[44:47], v56 offset1:1
	s_cbranch_scc1 .LBB20_6
; %bb.4:
	v_add3_u32 v54, v57, 0, 16
	s_mov_b32 s16, 1
	v_mov_b32_e32 v55, 0
.LBB20_5:                               ; =>This Inner Loop Header: Depth=1
	ds_read2_b64 v[60:63], v54 offset1:1
	s_waitcnt lgkmcnt(1)
	v_xor_b32_e32 v59, 0x80000000, v45
	v_xor_b32_e32 v67, 0x80000000, v47
	v_cmp_gt_f64_e32 vcc, 0, v[46:47]
	v_cmp_gt_f64_e64 s[0:1], 0, v[44:45]
	v_mov_b32_e32 v64, v44
	v_mov_b32_e32 v66, v46
	v_cndmask_b32_e64 v65, v45, v59, s[0:1]
	v_cndmask_b32_e32 v67, v47, v67, vcc
	s_waitcnt lgkmcnt(0)
	v_xor_b32_e32 v59, 0x80000000, v61
	v_xor_b32_e32 v69, 0x80000000, v63
	v_cmp_gt_f64_e32 vcc, 0, v[62:63]
	v_cmp_gt_f64_e64 s[0:1], 0, v[60:61]
	v_add_f64 v[64:65], v[64:65], v[66:67]
	v_mov_b32_e32 v66, v60
	v_mov_b32_e32 v68, v62
	v_cndmask_b32_e64 v67, v61, v59, s[0:1]
	v_cndmask_b32_e32 v69, v63, v69, vcc
	v_add_f64 v[66:67], v[66:67], v[68:69]
	v_mov_b32_e32 v70, s16
	s_add_i32 s16, s16, 1
	v_cmp_lt_f64_e32 vcc, v[64:65], v[66:67]
	v_add_u32_e32 v54, 16, v54
	s_cmp_eq_u32 s20, s16
	v_cndmask_b32_e32 v45, v45, v61, vcc
	v_cndmask_b32_e32 v44, v44, v60, vcc
	;; [unrolled: 1-line block ×5, first 2 shown]
	s_cbranch_scc0 .LBB20_5
.LBB20_6:
	s_waitcnt lgkmcnt(0)
	v_cmp_neq_f64_e32 vcc, 0, v[44:45]
	v_cmp_neq_f64_e64 s[0:1], 0, v[46:47]
	s_or_b64 s[16:17], vcc, s[0:1]
	v_mov_b32_e32 v59, 1
	v_mov_b32_e32 v60, 1
	s_and_saveexec_b64 s[0:1], s[16:17]
	s_cbranch_execz .LBB20_12
; %bb.7:
	v_cmp_ngt_f64_e64 s[16:17], |v[44:45]|, |v[46:47]|
	s_and_saveexec_b64 s[18:19], s[16:17]
	s_xor_b64 s[16:17], exec, s[18:19]
	s_cbranch_execz .LBB20_9
; %bb.8:
	v_div_scale_f64 v[60:61], s[18:19], v[46:47], v[46:47], v[44:45]
	v_rcp_f64_e32 v[62:63], v[60:61]
	v_div_scale_f64 v[64:65], vcc, v[44:45], v[46:47], v[44:45]
	v_fma_f64 v[66:67], -v[60:61], v[62:63], 1.0
	v_fmac_f64_e32 v[62:63], v[62:63], v[66:67]
	v_fma_f64 v[66:67], -v[60:61], v[62:63], 1.0
	v_fmac_f64_e32 v[62:63], v[62:63], v[66:67]
	v_mul_f64 v[66:67], v[64:65], v[62:63]
	v_fma_f64 v[60:61], -v[60:61], v[66:67], v[64:65]
	v_div_fmas_f64 v[60:61], v[60:61], v[62:63], v[66:67]
	v_div_fixup_f64 v[60:61], v[60:61], v[46:47], v[44:45]
	v_fmac_f64_e32 v[46:47], v[44:45], v[60:61]
	v_div_scale_f64 v[44:45], s[18:19], v[46:47], v[46:47], 1.0
	v_rcp_f64_e32 v[62:63], v[44:45]
	s_nop 0
	v_fma_f64 v[64:65], -v[44:45], v[62:63], 1.0
	v_fmac_f64_e32 v[62:63], v[62:63], v[64:65]
	v_fma_f64 v[64:65], -v[44:45], v[62:63], 1.0
	v_fmac_f64_e32 v[62:63], v[62:63], v[64:65]
	v_div_scale_f64 v[64:65], vcc, 1.0, v[46:47], 1.0
	v_mul_f64 v[66:67], v[64:65], v[62:63]
	v_fma_f64 v[44:45], -v[44:45], v[66:67], v[64:65]
	s_nop 1
	v_div_fmas_f64 v[44:45], v[44:45], v[62:63], v[66:67]
	v_div_fixup_f64 v[46:47], v[44:45], v[46:47], 1.0
	v_mul_f64 v[44:45], v[60:61], v[46:47]
	v_xor_b32_e32 v47, 0x80000000, v47
.LBB20_9:
	s_andn2_saveexec_b64 s[16:17], s[16:17]
	s_cbranch_execz .LBB20_11
; %bb.10:
	v_div_scale_f64 v[60:61], s[18:19], v[44:45], v[44:45], v[46:47]
	v_rcp_f64_e32 v[62:63], v[60:61]
	v_div_scale_f64 v[64:65], vcc, v[46:47], v[44:45], v[46:47]
	v_fma_f64 v[66:67], -v[60:61], v[62:63], 1.0
	v_fmac_f64_e32 v[62:63], v[62:63], v[66:67]
	v_fma_f64 v[66:67], -v[60:61], v[62:63], 1.0
	v_fmac_f64_e32 v[62:63], v[62:63], v[66:67]
	v_mul_f64 v[66:67], v[64:65], v[62:63]
	v_fma_f64 v[60:61], -v[60:61], v[66:67], v[64:65]
	v_div_fmas_f64 v[60:61], v[60:61], v[62:63], v[66:67]
	v_div_fixup_f64 v[60:61], v[60:61], v[44:45], v[46:47]
	v_fmac_f64_e32 v[44:45], v[46:47], v[60:61]
	v_div_scale_f64 v[46:47], s[18:19], v[44:45], v[44:45], 1.0
	v_rcp_f64_e32 v[62:63], v[46:47]
	s_nop 0
	v_fma_f64 v[64:65], -v[46:47], v[62:63], 1.0
	v_fmac_f64_e32 v[62:63], v[62:63], v[64:65]
	v_fma_f64 v[64:65], -v[46:47], v[62:63], 1.0
	v_fmac_f64_e32 v[62:63], v[62:63], v[64:65]
	v_div_scale_f64 v[64:65], vcc, 1.0, v[44:45], 1.0
	v_mul_f64 v[66:67], v[64:65], v[62:63]
	v_fma_f64 v[46:47], -v[46:47], v[66:67], v[64:65]
	s_nop 1
	v_div_fmas_f64 v[46:47], v[46:47], v[62:63], v[66:67]
	v_div_fixup_f64 v[44:45], v[46:47], v[44:45], 1.0
	v_mul_f64 v[46:47], v[60:61], -v[44:45]
.LBB20_11:
	s_or_b64 exec, exec, s[16:17]
	v_mov_b32_e32 v60, 0
	v_mov_b32_e32 v59, 2
.LBB20_12:
	s_or_b64 exec, exec, s[0:1]
	v_cmp_ne_u32_e32 vcc, v58, v55
	s_and_saveexec_b64 s[0:1], vcc
	s_xor_b64 s[0:1], exec, s[0:1]
	s_cbranch_execz .LBB20_18
; %bb.13:
	v_cmp_eq_u32_e32 vcc, 0, v58
	s_and_saveexec_b64 s[16:17], vcc
	s_cbranch_execz .LBB20_17
; %bb.14:
	v_cmp_ne_u32_e32 vcc, 0, v55
	s_xor_b64 s[18:19], s[14:15], -1
	s_and_b64 s[22:23], s[18:19], vcc
	s_and_saveexec_b64 s[18:19], s[22:23]
	s_cbranch_execz .LBB20_16
; %bb.15:
	v_ashrrev_i32_e32 v63, 31, v55
	v_mov_b32_e32 v62, v55
	v_lshl_add_u64 v[62:63], v[62:63], 2, v[52:53]
	global_load_dword v54, v[62:63], off
	global_load_dword v58, v[52:53], off
	s_waitcnt vmcnt(1)
	global_store_dword v[52:53], v54, off
	s_waitcnt vmcnt(1)
	global_store_dword v[62:63], v58, off
.LBB20_16:
	s_or_b64 exec, exec, s[18:19]
	v_mov_b32_e32 v58, v55
.LBB20_17:
	s_or_b64 exec, exec, s[16:17]
.LBB20_18:
	s_or_saveexec_b64 s[0:1], s[0:1]
	v_mov_b32_e32 v55, v58
	s_xor_b64 exec, exec, s[0:1]
	s_cbranch_execz .LBB20_20
; %bb.19:
	v_mov_b32_e32 v55, 0
	s_waitcnt vmcnt(9)
	ds_write2_b64 v56, v[28:29], v[30:31] offset0:2 offset1:3
	s_waitcnt vmcnt(8)
	ds_write2_b64 v56, v[36:37], v[38:39] offset0:4 offset1:5
	;; [unrolled: 2-line block ×10, first 2 shown]
.LBB20_20:
	s_or_b64 exec, exec, s[0:1]
	v_cmp_lt_i32_e32 vcc, 0, v55
	s_waitcnt lgkmcnt(0)
	s_barrier
	s_and_saveexec_b64 s[0:1], vcc
	s_cbranch_execz .LBB20_22
; %bb.21:
	ds_read2_b64 v[62:65], v56 offset0:2 offset1:3
	v_mul_f64 v[66:67], v[44:45], v[34:35]
	v_mul_f64 v[34:35], v[46:47], v[34:35]
	v_fmac_f64_e32 v[66:67], v[46:47], v[32:33]
	v_fma_f64 v[32:33], v[44:45], v[32:33], -v[34:35]
	ds_read2_b64 v[44:47], v56 offset0:4 offset1:5
	s_waitcnt lgkmcnt(1)
	v_mul_f64 v[34:35], v[64:65], v[66:67]
	v_fma_f64 v[34:35], v[62:63], v[32:33], -v[34:35]
	v_mul_f64 v[62:63], v[62:63], v[66:67]
	v_fmac_f64_e32 v[62:63], v[64:65], v[32:33]
	s_waitcnt vmcnt(9)
	v_add_f64 v[28:29], v[28:29], -v[34:35]
	s_waitcnt lgkmcnt(0)
	v_mul_f64 v[34:35], v[46:47], v[66:67]
	v_add_f64 v[30:31], v[30:31], -v[62:63]
	v_fma_f64 v[34:35], v[44:45], v[32:33], -v[34:35]
	v_mul_f64 v[44:45], v[44:45], v[66:67]
	ds_read2_b64 v[62:65], v56 offset0:6 offset1:7
	v_fmac_f64_e32 v[44:45], v[46:47], v[32:33]
	s_waitcnt vmcnt(8)
	v_add_f64 v[38:39], v[38:39], -v[44:45]
	ds_read2_b64 v[44:47], v56 offset0:8 offset1:9
	v_add_f64 v[36:37], v[36:37], -v[34:35]
	s_waitcnt lgkmcnt(1)
	v_mul_f64 v[34:35], v[64:65], v[66:67]
	v_fma_f64 v[34:35], v[62:63], v[32:33], -v[34:35]
	v_mul_f64 v[62:63], v[62:63], v[66:67]
	v_fmac_f64_e32 v[62:63], v[64:65], v[32:33]
	s_waitcnt vmcnt(7)
	v_add_f64 v[20:21], v[20:21], -v[34:35]
	s_waitcnt lgkmcnt(0)
	v_mul_f64 v[34:35], v[46:47], v[66:67]
	v_add_f64 v[22:23], v[22:23], -v[62:63]
	v_fma_f64 v[34:35], v[44:45], v[32:33], -v[34:35]
	v_mul_f64 v[44:45], v[44:45], v[66:67]
	ds_read2_b64 v[62:65], v56 offset0:10 offset1:11
	v_fmac_f64_e32 v[44:45], v[46:47], v[32:33]
	s_waitcnt vmcnt(6)
	v_add_f64 v[26:27], v[26:27], -v[44:45]
	ds_read2_b64 v[44:47], v56 offset0:12 offset1:13
	v_add_f64 v[24:25], v[24:25], -v[34:35]
	;; [unrolled: 18-line block ×4, first 2 shown]
	s_waitcnt lgkmcnt(1)
	v_mul_f64 v[34:35], v[64:65], v[66:67]
	v_fma_f64 v[34:35], v[62:63], v[32:33], -v[34:35]
	s_waitcnt vmcnt(1)
	v_add_f64 v[0:1], v[0:1], -v[34:35]
	s_waitcnt lgkmcnt(0)
	v_mul_f64 v[34:35], v[46:47], v[66:67]
	v_mul_f64 v[62:63], v[62:63], v[66:67]
	v_fma_f64 v[34:35], v[44:45], v[32:33], -v[34:35]
	v_mul_f64 v[44:45], v[44:45], v[66:67]
	v_fmac_f64_e32 v[62:63], v[64:65], v[32:33]
	v_fmac_f64_e32 v[44:45], v[46:47], v[32:33]
	v_add_f64 v[2:3], v[2:3], -v[62:63]
	s_waitcnt vmcnt(0)
	v_add_f64 v[40:41], v[40:41], -v[34:35]
	v_add_f64 v[42:43], v[42:43], -v[44:45]
	v_mov_b64_e32 v[34:35], v[66:67]
.LBB20_22:
	s_or_b64 exec, exec, s[0:1]
	v_lshl_add_u32 v44, v55, 4, v56
	s_barrier
	s_waitcnt vmcnt(9)
	ds_write2_b64 v44, v[28:29], v[30:31] offset1:1
	s_waitcnt lgkmcnt(0)
	s_barrier
	ds_read2_b64 v[44:47], v56 offset0:2 offset1:3
	s_cmp_lt_i32 s20, 3
	v_mov_b32_e32 v54, 1
	s_cbranch_scc1 .LBB20_25
; %bb.23:
	v_add3_u32 v61, v57, 0, 32
	s_mov_b32 s16, 2
	v_mov_b32_e32 v54, 1
.LBB20_24:                              ; =>This Inner Loop Header: Depth=1
	ds_read2_b64 v[62:65], v61 offset1:1
	s_waitcnt lgkmcnt(1)
	v_xor_b32_e32 v67, 0x80000000, v45
	v_xor_b32_e32 v69, 0x80000000, v47
	v_cmp_gt_f64_e32 vcc, 0, v[46:47]
	v_cmp_gt_f64_e64 s[0:1], 0, v[44:45]
	v_mov_b32_e32 v66, v44
	v_mov_b32_e32 v68, v46
	v_cndmask_b32_e64 v67, v45, v67, s[0:1]
	v_cndmask_b32_e32 v69, v47, v69, vcc
	v_add_f64 v[66:67], v[66:67], v[68:69]
	s_waitcnt lgkmcnt(0)
	v_xor_b32_e32 v69, 0x80000000, v63
	v_xor_b32_e32 v71, 0x80000000, v65
	v_cmp_gt_f64_e32 vcc, 0, v[64:65]
	v_cmp_gt_f64_e64 s[0:1], 0, v[62:63]
	v_mov_b32_e32 v68, v62
	v_mov_b32_e32 v70, v64
	v_cndmask_b32_e64 v69, v63, v69, s[0:1]
	v_cndmask_b32_e32 v71, v65, v71, vcc
	v_add_f64 v[68:69], v[68:69], v[70:71]
	v_mov_b32_e32 v72, s16
	s_add_i32 s16, s16, 1
	v_cmp_lt_f64_e32 vcc, v[66:67], v[68:69]
	v_add_u32_e32 v61, 16, v61
	s_cmp_lg_u32 s20, s16
	v_cndmask_b32_e32 v45, v45, v63, vcc
	v_cndmask_b32_e32 v44, v44, v62, vcc
	;; [unrolled: 1-line block ×5, first 2 shown]
	s_cbranch_scc1 .LBB20_24
.LBB20_25:
	s_waitcnt lgkmcnt(0)
	v_cmp_neq_f64_e32 vcc, 0, v[44:45]
	v_cmp_neq_f64_e64 s[0:1], 0, v[46:47]
	s_or_b64 s[16:17], vcc, s[0:1]
	s_and_saveexec_b64 s[0:1], s[16:17]
	s_cbranch_execz .LBB20_31
; %bb.26:
	v_cmp_ngt_f64_e64 s[16:17], |v[44:45]|, |v[46:47]|
	s_and_saveexec_b64 s[18:19], s[16:17]
	s_xor_b64 s[16:17], exec, s[18:19]
	s_cbranch_execz .LBB20_28
; %bb.27:
	v_div_scale_f64 v[62:63], s[18:19], v[46:47], v[46:47], v[44:45]
	v_rcp_f64_e32 v[64:65], v[62:63]
	v_div_scale_f64 v[66:67], vcc, v[44:45], v[46:47], v[44:45]
	v_fma_f64 v[68:69], -v[62:63], v[64:65], 1.0
	v_fmac_f64_e32 v[64:65], v[64:65], v[68:69]
	v_fma_f64 v[68:69], -v[62:63], v[64:65], 1.0
	v_fmac_f64_e32 v[64:65], v[64:65], v[68:69]
	v_mul_f64 v[68:69], v[66:67], v[64:65]
	v_fma_f64 v[62:63], -v[62:63], v[68:69], v[66:67]
	v_div_fmas_f64 v[62:63], v[62:63], v[64:65], v[68:69]
	v_div_fixup_f64 v[62:63], v[62:63], v[46:47], v[44:45]
	v_fmac_f64_e32 v[46:47], v[44:45], v[62:63]
	v_div_scale_f64 v[44:45], s[18:19], v[46:47], v[46:47], 1.0
	v_rcp_f64_e32 v[64:65], v[44:45]
	s_nop 0
	v_fma_f64 v[66:67], -v[44:45], v[64:65], 1.0
	v_fmac_f64_e32 v[64:65], v[64:65], v[66:67]
	v_fma_f64 v[66:67], -v[44:45], v[64:65], 1.0
	v_fmac_f64_e32 v[64:65], v[64:65], v[66:67]
	v_div_scale_f64 v[66:67], vcc, 1.0, v[46:47], 1.0
	v_mul_f64 v[68:69], v[66:67], v[64:65]
	v_fma_f64 v[44:45], -v[44:45], v[68:69], v[66:67]
	s_nop 1
	v_div_fmas_f64 v[44:45], v[44:45], v[64:65], v[68:69]
	v_div_fixup_f64 v[46:47], v[44:45], v[46:47], 1.0
	v_mul_f64 v[44:45], v[62:63], v[46:47]
	v_xor_b32_e32 v47, 0x80000000, v47
.LBB20_28:
	s_andn2_saveexec_b64 s[16:17], s[16:17]
	s_cbranch_execz .LBB20_30
; %bb.29:
	v_div_scale_f64 v[62:63], s[18:19], v[44:45], v[44:45], v[46:47]
	v_rcp_f64_e32 v[64:65], v[62:63]
	v_div_scale_f64 v[66:67], vcc, v[46:47], v[44:45], v[46:47]
	v_fma_f64 v[68:69], -v[62:63], v[64:65], 1.0
	v_fmac_f64_e32 v[64:65], v[64:65], v[68:69]
	v_fma_f64 v[68:69], -v[62:63], v[64:65], 1.0
	v_fmac_f64_e32 v[64:65], v[64:65], v[68:69]
	v_mul_f64 v[68:69], v[66:67], v[64:65]
	v_fma_f64 v[62:63], -v[62:63], v[68:69], v[66:67]
	v_div_fmas_f64 v[62:63], v[62:63], v[64:65], v[68:69]
	v_div_fixup_f64 v[62:63], v[62:63], v[44:45], v[46:47]
	v_fmac_f64_e32 v[44:45], v[46:47], v[62:63]
	v_div_scale_f64 v[46:47], s[18:19], v[44:45], v[44:45], 1.0
	v_rcp_f64_e32 v[64:65], v[46:47]
	s_nop 0
	v_fma_f64 v[66:67], -v[46:47], v[64:65], 1.0
	v_fmac_f64_e32 v[64:65], v[64:65], v[66:67]
	v_fma_f64 v[66:67], -v[46:47], v[64:65], 1.0
	v_fmac_f64_e32 v[64:65], v[64:65], v[66:67]
	v_div_scale_f64 v[66:67], vcc, 1.0, v[44:45], 1.0
	v_mul_f64 v[68:69], v[66:67], v[64:65]
	v_fma_f64 v[46:47], -v[46:47], v[68:69], v[66:67]
	s_nop 1
	v_div_fmas_f64 v[46:47], v[46:47], v[64:65], v[68:69]
	v_div_fixup_f64 v[44:45], v[46:47], v[44:45], 1.0
	v_mul_f64 v[46:47], v[62:63], -v[44:45]
.LBB20_30:
	s_or_b64 exec, exec, s[16:17]
	v_mov_b32_e32 v59, v60
.LBB20_31:
	s_or_b64 exec, exec, s[0:1]
	v_cmp_ne_u32_e32 vcc, v55, v54
	s_and_saveexec_b64 s[0:1], vcc
	s_xor_b64 s[0:1], exec, s[0:1]
	s_cbranch_execz .LBB20_37
; %bb.32:
	v_cmp_eq_u32_e32 vcc, 1, v55
	s_and_saveexec_b64 s[16:17], vcc
	s_cbranch_execz .LBB20_36
; %bb.33:
	v_cmp_ne_u32_e32 vcc, 1, v54
	s_xor_b64 s[18:19], s[14:15], -1
	s_and_b64 s[22:23], s[18:19], vcc
	s_and_saveexec_b64 s[18:19], s[22:23]
	s_cbranch_execz .LBB20_35
; %bb.34:
	v_ashrrev_i32_e32 v55, 31, v54
	v_lshl_add_u64 v[60:61], v[54:55], 2, v[52:53]
	global_load_dword v55, v[60:61], off
	global_load_dword v58, v[52:53], off offset:4
	s_waitcnt vmcnt(1)
	global_store_dword v[52:53], v55, off offset:4
	s_waitcnt vmcnt(1)
	global_store_dword v[60:61], v58, off
.LBB20_35:
	s_or_b64 exec, exec, s[18:19]
	v_mov_b32_e32 v55, v54
	v_mov_b32_e32 v58, v54
.LBB20_36:
	s_or_b64 exec, exec, s[16:17]
.LBB20_37:
	s_andn2_saveexec_b64 s[0:1], s[0:1]
	s_cbranch_execz .LBB20_39
; %bb.38:
	v_mov_b32_e32 v55, 1
	s_waitcnt vmcnt(8)
	ds_write2_b64 v56, v[36:37], v[38:39] offset0:4 offset1:5
	s_waitcnt vmcnt(7)
	ds_write2_b64 v56, v[20:21], v[22:23] offset0:6 offset1:7
	;; [unrolled: 2-line block ×9, first 2 shown]
.LBB20_39:
	s_or_b64 exec, exec, s[0:1]
	v_cmp_lt_i32_e32 vcc, 1, v55
	s_waitcnt lgkmcnt(0)
	s_barrier
	s_and_saveexec_b64 s[0:1], vcc
	s_cbranch_execz .LBB20_41
; %bb.40:
	ds_read2_b64 v[60:63], v56 offset0:4 offset1:5
	v_mul_f64 v[64:65], v[44:45], v[30:31]
	v_fmac_f64_e32 v[64:65], v[46:47], v[28:29]
	v_mul_f64 v[30:31], v[46:47], v[30:31]
	v_fma_f64 v[28:29], v[44:45], v[28:29], -v[30:31]
	ds_read2_b64 v[44:47], v56 offset0:6 offset1:7
	s_waitcnt lgkmcnt(1)
	v_mul_f64 v[30:31], v[62:63], v[64:65]
	v_fma_f64 v[30:31], v[60:61], v[28:29], -v[30:31]
	v_mul_f64 v[60:61], v[60:61], v[64:65]
	v_fmac_f64_e32 v[60:61], v[62:63], v[28:29]
	s_waitcnt vmcnt(8)
	v_add_f64 v[38:39], v[38:39], -v[60:61]
	ds_read2_b64 v[60:63], v56 offset0:8 offset1:9
	v_add_f64 v[36:37], v[36:37], -v[30:31]
	s_waitcnt lgkmcnt(1)
	v_mul_f64 v[30:31], v[46:47], v[64:65]
	v_fma_f64 v[30:31], v[44:45], v[28:29], -v[30:31]
	v_mul_f64 v[44:45], v[44:45], v[64:65]
	v_fmac_f64_e32 v[44:45], v[46:47], v[28:29]
	s_waitcnt vmcnt(7)
	v_add_f64 v[20:21], v[20:21], -v[30:31]
	v_add_f64 v[22:23], v[22:23], -v[44:45]
	ds_read2_b64 v[44:47], v56 offset0:10 offset1:11
	s_waitcnt lgkmcnt(1)
	v_mul_f64 v[30:31], v[62:63], v[64:65]
	v_fma_f64 v[30:31], v[60:61], v[28:29], -v[30:31]
	v_mul_f64 v[60:61], v[60:61], v[64:65]
	v_fmac_f64_e32 v[60:61], v[62:63], v[28:29]
	s_waitcnt vmcnt(6)
	v_add_f64 v[26:27], v[26:27], -v[60:61]
	ds_read2_b64 v[60:63], v56 offset0:12 offset1:13
	v_add_f64 v[24:25], v[24:25], -v[30:31]
	s_waitcnt lgkmcnt(1)
	v_mul_f64 v[30:31], v[46:47], v[64:65]
	v_fma_f64 v[30:31], v[44:45], v[28:29], -v[30:31]
	v_mul_f64 v[44:45], v[44:45], v[64:65]
	v_fmac_f64_e32 v[44:45], v[46:47], v[28:29]
	s_waitcnt vmcnt(5)
	v_add_f64 v[12:13], v[12:13], -v[30:31]
	v_add_f64 v[14:15], v[14:15], -v[44:45]
	;; [unrolled: 18-line block ×4, first 2 shown]
	s_waitcnt lgkmcnt(0)
	v_mul_f64 v[30:31], v[62:63], v[64:65]
	v_mul_f64 v[44:45], v[60:61], v[64:65]
	v_fma_f64 v[30:31], v[60:61], v[28:29], -v[30:31]
	v_fmac_f64_e32 v[44:45], v[62:63], v[28:29]
	s_waitcnt vmcnt(0)
	v_add_f64 v[40:41], v[40:41], -v[30:31]
	v_add_f64 v[42:43], v[42:43], -v[44:45]
	v_mov_b64_e32 v[30:31], v[64:65]
.LBB20_41:
	s_or_b64 exec, exec, s[0:1]
	v_lshl_add_u32 v44, v55, 4, v56
	s_barrier
	s_waitcnt vmcnt(8)
	ds_write2_b64 v44, v[36:37], v[38:39] offset1:1
	s_waitcnt lgkmcnt(0)
	s_barrier
	ds_read2_b64 v[44:47], v56 offset0:4 offset1:5
	s_cmp_lt_i32 s20, 4
	v_mov_b32_e32 v54, 2
	s_cbranch_scc1 .LBB20_44
; %bb.42:
	v_add3_u32 v60, v57, 0, 48
	s_mov_b32 s16, 3
	v_mov_b32_e32 v54, 2
.LBB20_43:                              ; =>This Inner Loop Header: Depth=1
	ds_read2_b64 v[62:65], v60 offset1:1
	s_waitcnt lgkmcnt(1)
	v_xor_b32_e32 v61, 0x80000000, v45
	v_xor_b32_e32 v69, 0x80000000, v47
	v_cmp_gt_f64_e32 vcc, 0, v[46:47]
	v_cmp_gt_f64_e64 s[0:1], 0, v[44:45]
	v_mov_b32_e32 v66, v44
	v_mov_b32_e32 v68, v46
	v_cndmask_b32_e64 v67, v45, v61, s[0:1]
	v_cndmask_b32_e32 v69, v47, v69, vcc
	s_waitcnt lgkmcnt(0)
	v_xor_b32_e32 v61, 0x80000000, v63
	v_xor_b32_e32 v71, 0x80000000, v65
	v_cmp_gt_f64_e32 vcc, 0, v[64:65]
	v_cmp_gt_f64_e64 s[0:1], 0, v[62:63]
	v_add_f64 v[66:67], v[66:67], v[68:69]
	v_mov_b32_e32 v68, v62
	v_mov_b32_e32 v70, v64
	v_cndmask_b32_e64 v69, v63, v61, s[0:1]
	v_cndmask_b32_e32 v71, v65, v71, vcc
	v_add_f64 v[68:69], v[68:69], v[70:71]
	v_mov_b32_e32 v72, s16
	s_add_i32 s16, s16, 1
	v_cmp_lt_f64_e32 vcc, v[66:67], v[68:69]
	v_add_u32_e32 v60, 16, v60
	s_cmp_lg_u32 s20, s16
	v_cndmask_b32_e32 v45, v45, v63, vcc
	v_cndmask_b32_e32 v44, v44, v62, vcc
	v_cndmask_b32_e32 v47, v47, v65, vcc
	v_cndmask_b32_e32 v46, v46, v64, vcc
	v_cndmask_b32_e32 v54, v54, v72, vcc
	s_cbranch_scc1 .LBB20_43
.LBB20_44:
	s_waitcnt lgkmcnt(0)
	v_cmp_eq_f64_e32 vcc, 0, v[44:45]
	v_cmp_eq_f64_e64 s[0:1], 0, v[46:47]
	s_and_b64 s[0:1], vcc, s[0:1]
	s_and_saveexec_b64 s[16:17], s[0:1]
	s_xor_b64 s[0:1], exec, s[16:17]
; %bb.45:
	v_cmp_ne_u32_e32 vcc, 0, v59
	s_nop 1
	v_cndmask_b32_e32 v59, 3, v59, vcc
; %bb.46:
	s_andn2_saveexec_b64 s[0:1], s[0:1]
	s_cbranch_execz .LBB20_52
; %bb.47:
	v_cmp_ngt_f64_e64 s[16:17], |v[44:45]|, |v[46:47]|
	s_and_saveexec_b64 s[18:19], s[16:17]
	s_xor_b64 s[16:17], exec, s[18:19]
	s_cbranch_execz .LBB20_49
; %bb.48:
	v_div_scale_f64 v[60:61], s[18:19], v[46:47], v[46:47], v[44:45]
	v_rcp_f64_e32 v[62:63], v[60:61]
	v_div_scale_f64 v[64:65], vcc, v[44:45], v[46:47], v[44:45]
	v_fma_f64 v[66:67], -v[60:61], v[62:63], 1.0
	v_fmac_f64_e32 v[62:63], v[62:63], v[66:67]
	v_fma_f64 v[66:67], -v[60:61], v[62:63], 1.0
	v_fmac_f64_e32 v[62:63], v[62:63], v[66:67]
	v_mul_f64 v[66:67], v[64:65], v[62:63]
	v_fma_f64 v[60:61], -v[60:61], v[66:67], v[64:65]
	v_div_fmas_f64 v[60:61], v[60:61], v[62:63], v[66:67]
	v_div_fixup_f64 v[60:61], v[60:61], v[46:47], v[44:45]
	v_fmac_f64_e32 v[46:47], v[44:45], v[60:61]
	v_div_scale_f64 v[44:45], s[18:19], v[46:47], v[46:47], 1.0
	v_rcp_f64_e32 v[62:63], v[44:45]
	s_nop 0
	v_fma_f64 v[64:65], -v[44:45], v[62:63], 1.0
	v_fmac_f64_e32 v[62:63], v[62:63], v[64:65]
	v_fma_f64 v[64:65], -v[44:45], v[62:63], 1.0
	v_fmac_f64_e32 v[62:63], v[62:63], v[64:65]
	v_div_scale_f64 v[64:65], vcc, 1.0, v[46:47], 1.0
	v_mul_f64 v[66:67], v[64:65], v[62:63]
	v_fma_f64 v[44:45], -v[44:45], v[66:67], v[64:65]
	s_nop 1
	v_div_fmas_f64 v[44:45], v[44:45], v[62:63], v[66:67]
	v_div_fixup_f64 v[46:47], v[44:45], v[46:47], 1.0
	v_mul_f64 v[44:45], v[60:61], v[46:47]
	v_xor_b32_e32 v47, 0x80000000, v47
.LBB20_49:
	s_andn2_saveexec_b64 s[16:17], s[16:17]
	s_cbranch_execz .LBB20_51
; %bb.50:
	v_div_scale_f64 v[60:61], s[18:19], v[44:45], v[44:45], v[46:47]
	v_rcp_f64_e32 v[62:63], v[60:61]
	v_div_scale_f64 v[64:65], vcc, v[46:47], v[44:45], v[46:47]
	v_fma_f64 v[66:67], -v[60:61], v[62:63], 1.0
	v_fmac_f64_e32 v[62:63], v[62:63], v[66:67]
	v_fma_f64 v[66:67], -v[60:61], v[62:63], 1.0
	v_fmac_f64_e32 v[62:63], v[62:63], v[66:67]
	v_mul_f64 v[66:67], v[64:65], v[62:63]
	v_fma_f64 v[60:61], -v[60:61], v[66:67], v[64:65]
	v_div_fmas_f64 v[60:61], v[60:61], v[62:63], v[66:67]
	v_div_fixup_f64 v[60:61], v[60:61], v[44:45], v[46:47]
	v_fmac_f64_e32 v[44:45], v[46:47], v[60:61]
	v_div_scale_f64 v[46:47], s[18:19], v[44:45], v[44:45], 1.0
	v_rcp_f64_e32 v[62:63], v[46:47]
	s_nop 0
	v_fma_f64 v[64:65], -v[46:47], v[62:63], 1.0
	v_fmac_f64_e32 v[62:63], v[62:63], v[64:65]
	v_fma_f64 v[64:65], -v[46:47], v[62:63], 1.0
	v_fmac_f64_e32 v[62:63], v[62:63], v[64:65]
	v_div_scale_f64 v[64:65], vcc, 1.0, v[44:45], 1.0
	v_mul_f64 v[66:67], v[64:65], v[62:63]
	v_fma_f64 v[46:47], -v[46:47], v[66:67], v[64:65]
	s_nop 1
	v_div_fmas_f64 v[46:47], v[46:47], v[62:63], v[66:67]
	v_div_fixup_f64 v[44:45], v[46:47], v[44:45], 1.0
	v_mul_f64 v[46:47], v[60:61], -v[44:45]
.LBB20_51:
	s_or_b64 exec, exec, s[16:17]
.LBB20_52:
	s_or_b64 exec, exec, s[0:1]
	v_cmp_ne_u32_e32 vcc, v55, v54
	s_and_saveexec_b64 s[0:1], vcc
	s_xor_b64 s[0:1], exec, s[0:1]
	s_cbranch_execz .LBB20_58
; %bb.53:
	v_cmp_eq_u32_e32 vcc, 2, v55
	s_and_saveexec_b64 s[16:17], vcc
	s_cbranch_execz .LBB20_57
; %bb.54:
	v_cmp_ne_u32_e32 vcc, 2, v54
	s_xor_b64 s[18:19], s[14:15], -1
	s_and_b64 s[22:23], s[18:19], vcc
	s_and_saveexec_b64 s[18:19], s[22:23]
	s_cbranch_execz .LBB20_56
; %bb.55:
	v_ashrrev_i32_e32 v55, 31, v54
	v_lshl_add_u64 v[60:61], v[54:55], 2, v[52:53]
	global_load_dword v55, v[60:61], off
	global_load_dword v58, v[52:53], off offset:8
	s_waitcnt vmcnt(1)
	global_store_dword v[52:53], v55, off offset:8
	s_waitcnt vmcnt(1)
	global_store_dword v[60:61], v58, off
.LBB20_56:
	s_or_b64 exec, exec, s[18:19]
	v_mov_b32_e32 v55, v54
	v_mov_b32_e32 v58, v54
.LBB20_57:
	s_or_b64 exec, exec, s[16:17]
.LBB20_58:
	s_andn2_saveexec_b64 s[0:1], s[0:1]
	s_cbranch_execz .LBB20_60
; %bb.59:
	v_mov_b32_e32 v55, 2
	s_waitcnt vmcnt(7)
	ds_write2_b64 v56, v[20:21], v[22:23] offset0:6 offset1:7
	s_waitcnt vmcnt(6)
	ds_write2_b64 v56, v[24:25], v[26:27] offset0:8 offset1:9
	;; [unrolled: 2-line block ×8, first 2 shown]
.LBB20_60:
	s_or_b64 exec, exec, s[0:1]
	v_cmp_lt_i32_e32 vcc, 2, v55
	s_waitcnt lgkmcnt(0)
	s_barrier
	s_and_saveexec_b64 s[0:1], vcc
	s_cbranch_execz .LBB20_62
; %bb.61:
	ds_read2_b64 v[60:63], v56 offset0:6 offset1:7
	v_mul_f64 v[64:65], v[44:45], v[38:39]
	v_mul_f64 v[38:39], v[46:47], v[38:39]
	v_fmac_f64_e32 v[64:65], v[46:47], v[36:37]
	v_fma_f64 v[36:37], v[44:45], v[36:37], -v[38:39]
	ds_read2_b64 v[44:47], v56 offset0:8 offset1:9
	s_waitcnt lgkmcnt(1)
	v_mul_f64 v[38:39], v[62:63], v[64:65]
	v_fma_f64 v[38:39], v[60:61], v[36:37], -v[38:39]
	v_mul_f64 v[60:61], v[60:61], v[64:65]
	v_fmac_f64_e32 v[60:61], v[62:63], v[36:37]
	s_waitcnt vmcnt(7)
	v_add_f64 v[20:21], v[20:21], -v[38:39]
	s_waitcnt lgkmcnt(0)
	v_mul_f64 v[38:39], v[46:47], v[64:65]
	v_add_f64 v[22:23], v[22:23], -v[60:61]
	v_fma_f64 v[38:39], v[44:45], v[36:37], -v[38:39]
	v_mul_f64 v[44:45], v[44:45], v[64:65]
	ds_read2_b64 v[60:63], v56 offset0:10 offset1:11
	v_fmac_f64_e32 v[44:45], v[46:47], v[36:37]
	s_waitcnt vmcnt(6)
	v_add_f64 v[26:27], v[26:27], -v[44:45]
	ds_read2_b64 v[44:47], v56 offset0:12 offset1:13
	v_add_f64 v[24:25], v[24:25], -v[38:39]
	s_waitcnt lgkmcnt(1)
	v_mul_f64 v[38:39], v[62:63], v[64:65]
	v_fma_f64 v[38:39], v[60:61], v[36:37], -v[38:39]
	v_mul_f64 v[60:61], v[60:61], v[64:65]
	v_fmac_f64_e32 v[60:61], v[62:63], v[36:37]
	s_waitcnt vmcnt(5)
	v_add_f64 v[12:13], v[12:13], -v[38:39]
	s_waitcnt lgkmcnt(0)
	v_mul_f64 v[38:39], v[46:47], v[64:65]
	v_add_f64 v[14:15], v[14:15], -v[60:61]
	v_fma_f64 v[38:39], v[44:45], v[36:37], -v[38:39]
	v_mul_f64 v[44:45], v[44:45], v[64:65]
	ds_read2_b64 v[60:63], v56 offset0:14 offset1:15
	v_fmac_f64_e32 v[44:45], v[46:47], v[36:37]
	s_waitcnt vmcnt(4)
	v_add_f64 v[18:19], v[18:19], -v[44:45]
	ds_read2_b64 v[44:47], v56 offset0:16 offset1:17
	v_add_f64 v[16:17], v[16:17], -v[38:39]
	;; [unrolled: 18-line block ×3, first 2 shown]
	s_waitcnt lgkmcnt(1)
	v_mul_f64 v[38:39], v[62:63], v[64:65]
	v_fma_f64 v[38:39], v[60:61], v[36:37], -v[38:39]
	s_waitcnt vmcnt(1)
	v_add_f64 v[0:1], v[0:1], -v[38:39]
	s_waitcnt lgkmcnt(0)
	v_mul_f64 v[38:39], v[46:47], v[64:65]
	v_mul_f64 v[60:61], v[60:61], v[64:65]
	v_fma_f64 v[38:39], v[44:45], v[36:37], -v[38:39]
	v_mul_f64 v[44:45], v[44:45], v[64:65]
	v_fmac_f64_e32 v[60:61], v[62:63], v[36:37]
	v_fmac_f64_e32 v[44:45], v[46:47], v[36:37]
	v_add_f64 v[2:3], v[2:3], -v[60:61]
	s_waitcnt vmcnt(0)
	v_add_f64 v[40:41], v[40:41], -v[38:39]
	v_add_f64 v[42:43], v[42:43], -v[44:45]
	v_mov_b64_e32 v[38:39], v[64:65]
.LBB20_62:
	s_or_b64 exec, exec, s[0:1]
	v_lshl_add_u32 v44, v55, 4, v56
	s_barrier
	s_waitcnt vmcnt(7)
	ds_write2_b64 v44, v[20:21], v[22:23] offset1:1
	s_waitcnt lgkmcnt(0)
	s_barrier
	ds_read2_b64 v[44:47], v56 offset0:6 offset1:7
	s_mov_b32 s16, 4
	s_cmp_lt_i32 s20, 5
	v_mov_b32_e32 v54, 3
	s_cbranch_scc1 .LBB20_65
; %bb.63:
	v_add3_u32 v57, v57, 0, 64
	v_mov_b32_e32 v54, 3
.LBB20_64:                              ; =>This Inner Loop Header: Depth=1
	ds_read2_b64 v[60:63], v57 offset1:1
	s_waitcnt lgkmcnt(1)
	v_xor_b32_e32 v65, 0x80000000, v45
	v_xor_b32_e32 v67, 0x80000000, v47
	v_cmp_gt_f64_e32 vcc, 0, v[46:47]
	v_cmp_gt_f64_e64 s[0:1], 0, v[44:45]
	v_mov_b32_e32 v64, v44
	v_mov_b32_e32 v66, v46
	v_cndmask_b32_e64 v65, v45, v65, s[0:1]
	v_cndmask_b32_e32 v67, v47, v67, vcc
	v_add_f64 v[64:65], v[64:65], v[66:67]
	s_waitcnt lgkmcnt(0)
	v_xor_b32_e32 v67, 0x80000000, v61
	v_xor_b32_e32 v69, 0x80000000, v63
	v_cmp_gt_f64_e32 vcc, 0, v[62:63]
	v_cmp_gt_f64_e64 s[0:1], 0, v[60:61]
	v_mov_b32_e32 v66, v60
	v_mov_b32_e32 v68, v62
	v_cndmask_b32_e64 v67, v61, v67, s[0:1]
	v_cndmask_b32_e32 v69, v63, v69, vcc
	v_add_f64 v[66:67], v[66:67], v[68:69]
	v_mov_b32_e32 v70, s16
	s_add_i32 s16, s16, 1
	v_cmp_lt_f64_e32 vcc, v[64:65], v[66:67]
	v_add_u32_e32 v57, 16, v57
	s_cmp_lg_u32 s20, s16
	v_cndmask_b32_e32 v45, v45, v61, vcc
	v_cndmask_b32_e32 v44, v44, v60, vcc
	;; [unrolled: 1-line block ×5, first 2 shown]
	s_cbranch_scc1 .LBB20_64
.LBB20_65:
	s_waitcnt lgkmcnt(0)
	v_cmp_eq_f64_e32 vcc, 0, v[44:45]
	v_cmp_eq_f64_e64 s[0:1], 0, v[46:47]
	s_and_b64 s[0:1], vcc, s[0:1]
	s_and_saveexec_b64 s[16:17], s[0:1]
	s_xor_b64 s[0:1], exec, s[16:17]
; %bb.66:
	v_cmp_ne_u32_e32 vcc, 0, v59
	s_nop 1
	v_cndmask_b32_e32 v59, 4, v59, vcc
; %bb.67:
	s_andn2_saveexec_b64 s[0:1], s[0:1]
	s_cbranch_execz .LBB20_73
; %bb.68:
	v_cmp_ngt_f64_e64 s[16:17], |v[44:45]|, |v[46:47]|
	s_and_saveexec_b64 s[18:19], s[16:17]
	s_xor_b64 s[16:17], exec, s[18:19]
	s_cbranch_execz .LBB20_70
; %bb.69:
	v_div_scale_f64 v[60:61], s[18:19], v[46:47], v[46:47], v[44:45]
	v_rcp_f64_e32 v[62:63], v[60:61]
	v_div_scale_f64 v[64:65], vcc, v[44:45], v[46:47], v[44:45]
	v_fma_f64 v[66:67], -v[60:61], v[62:63], 1.0
	v_fmac_f64_e32 v[62:63], v[62:63], v[66:67]
	v_fma_f64 v[66:67], -v[60:61], v[62:63], 1.0
	v_fmac_f64_e32 v[62:63], v[62:63], v[66:67]
	v_mul_f64 v[66:67], v[64:65], v[62:63]
	v_fma_f64 v[60:61], -v[60:61], v[66:67], v[64:65]
	v_div_fmas_f64 v[60:61], v[60:61], v[62:63], v[66:67]
	v_div_fixup_f64 v[60:61], v[60:61], v[46:47], v[44:45]
	v_fmac_f64_e32 v[46:47], v[44:45], v[60:61]
	v_div_scale_f64 v[44:45], s[18:19], v[46:47], v[46:47], 1.0
	v_rcp_f64_e32 v[62:63], v[44:45]
	s_nop 0
	v_fma_f64 v[64:65], -v[44:45], v[62:63], 1.0
	v_fmac_f64_e32 v[62:63], v[62:63], v[64:65]
	v_fma_f64 v[64:65], -v[44:45], v[62:63], 1.0
	v_fmac_f64_e32 v[62:63], v[62:63], v[64:65]
	v_div_scale_f64 v[64:65], vcc, 1.0, v[46:47], 1.0
	v_mul_f64 v[66:67], v[64:65], v[62:63]
	v_fma_f64 v[44:45], -v[44:45], v[66:67], v[64:65]
	s_nop 1
	v_div_fmas_f64 v[44:45], v[44:45], v[62:63], v[66:67]
	v_div_fixup_f64 v[46:47], v[44:45], v[46:47], 1.0
	v_mul_f64 v[44:45], v[60:61], v[46:47]
	v_xor_b32_e32 v47, 0x80000000, v47
.LBB20_70:
	s_andn2_saveexec_b64 s[16:17], s[16:17]
	s_cbranch_execz .LBB20_72
; %bb.71:
	v_div_scale_f64 v[60:61], s[18:19], v[44:45], v[44:45], v[46:47]
	v_rcp_f64_e32 v[62:63], v[60:61]
	v_div_scale_f64 v[64:65], vcc, v[46:47], v[44:45], v[46:47]
	v_fma_f64 v[66:67], -v[60:61], v[62:63], 1.0
	v_fmac_f64_e32 v[62:63], v[62:63], v[66:67]
	v_fma_f64 v[66:67], -v[60:61], v[62:63], 1.0
	v_fmac_f64_e32 v[62:63], v[62:63], v[66:67]
	v_mul_f64 v[66:67], v[64:65], v[62:63]
	v_fma_f64 v[60:61], -v[60:61], v[66:67], v[64:65]
	v_div_fmas_f64 v[60:61], v[60:61], v[62:63], v[66:67]
	v_div_fixup_f64 v[60:61], v[60:61], v[44:45], v[46:47]
	v_fmac_f64_e32 v[44:45], v[46:47], v[60:61]
	v_div_scale_f64 v[46:47], s[18:19], v[44:45], v[44:45], 1.0
	v_rcp_f64_e32 v[62:63], v[46:47]
	s_nop 0
	v_fma_f64 v[64:65], -v[46:47], v[62:63], 1.0
	v_fmac_f64_e32 v[62:63], v[62:63], v[64:65]
	v_fma_f64 v[64:65], -v[46:47], v[62:63], 1.0
	v_fmac_f64_e32 v[62:63], v[62:63], v[64:65]
	v_div_scale_f64 v[64:65], vcc, 1.0, v[44:45], 1.0
	v_mul_f64 v[66:67], v[64:65], v[62:63]
	v_fma_f64 v[46:47], -v[46:47], v[66:67], v[64:65]
	s_nop 1
	v_div_fmas_f64 v[46:47], v[46:47], v[62:63], v[66:67]
	v_div_fixup_f64 v[44:45], v[46:47], v[44:45], 1.0
	v_mul_f64 v[46:47], v[60:61], -v[44:45]
.LBB20_72:
	s_or_b64 exec, exec, s[16:17]
.LBB20_73:
	s_or_b64 exec, exec, s[0:1]
	v_cmp_ne_u32_e32 vcc, v55, v54
	s_and_saveexec_b64 s[0:1], vcc
	s_xor_b64 s[0:1], exec, s[0:1]
	s_cbranch_execz .LBB20_79
; %bb.74:
	v_cmp_eq_u32_e32 vcc, 3, v55
	s_and_saveexec_b64 s[16:17], vcc
	s_cbranch_execz .LBB20_78
; %bb.75:
	v_cmp_ne_u32_e32 vcc, 3, v54
	s_xor_b64 s[18:19], s[14:15], -1
	s_and_b64 s[22:23], s[18:19], vcc
	s_and_saveexec_b64 s[18:19], s[22:23]
	s_cbranch_execz .LBB20_77
; %bb.76:
	v_ashrrev_i32_e32 v55, 31, v54
	v_lshl_add_u64 v[60:61], v[54:55], 2, v[52:53]
	global_load_dword v55, v[60:61], off
	global_load_dword v57, v[52:53], off offset:12
	s_waitcnt vmcnt(1)
	global_store_dword v[52:53], v55, off offset:12
	s_waitcnt vmcnt(1)
	global_store_dword v[60:61], v57, off
.LBB20_77:
	s_or_b64 exec, exec, s[18:19]
	v_mov_b32_e32 v55, v54
	v_mov_b32_e32 v58, v54
.LBB20_78:
	s_or_b64 exec, exec, s[16:17]
.LBB20_79:
	s_andn2_saveexec_b64 s[0:1], s[0:1]
	s_cbranch_execz .LBB20_81
; %bb.80:
	v_mov_b32_e32 v55, 3
	s_waitcnt vmcnt(6)
	ds_write2_b64 v56, v[24:25], v[26:27] offset0:8 offset1:9
	s_waitcnt vmcnt(5)
	ds_write2_b64 v56, v[12:13], v[14:15] offset0:10 offset1:11
	;; [unrolled: 2-line block ×7, first 2 shown]
.LBB20_81:
	s_or_b64 exec, exec, s[0:1]
	v_cmp_lt_i32_e32 vcc, 3, v55
	s_waitcnt lgkmcnt(0)
	s_barrier
	s_and_saveexec_b64 s[0:1], vcc
	s_cbranch_execz .LBB20_83
; %bb.82:
	ds_read2_b64 v[60:63], v56 offset0:8 offset1:9
	v_mul_f64 v[64:65], v[44:45], v[22:23]
	v_fmac_f64_e32 v[64:65], v[46:47], v[20:21]
	v_mul_f64 v[22:23], v[46:47], v[22:23]
	v_fma_f64 v[20:21], v[44:45], v[20:21], -v[22:23]
	ds_read2_b64 v[44:47], v56 offset0:10 offset1:11
	s_waitcnt lgkmcnt(1)
	v_mul_f64 v[22:23], v[62:63], v[64:65]
	v_fma_f64 v[22:23], v[60:61], v[20:21], -v[22:23]
	v_mul_f64 v[60:61], v[60:61], v[64:65]
	v_fmac_f64_e32 v[60:61], v[62:63], v[20:21]
	s_waitcnt vmcnt(6)
	v_add_f64 v[26:27], v[26:27], -v[60:61]
	ds_read2_b64 v[60:63], v56 offset0:12 offset1:13
	v_add_f64 v[24:25], v[24:25], -v[22:23]
	s_waitcnt lgkmcnt(1)
	v_mul_f64 v[22:23], v[46:47], v[64:65]
	v_fma_f64 v[22:23], v[44:45], v[20:21], -v[22:23]
	v_mul_f64 v[44:45], v[44:45], v[64:65]
	v_fmac_f64_e32 v[44:45], v[46:47], v[20:21]
	s_waitcnt vmcnt(5)
	v_add_f64 v[12:13], v[12:13], -v[22:23]
	v_add_f64 v[14:15], v[14:15], -v[44:45]
	ds_read2_b64 v[44:47], v56 offset0:14 offset1:15
	s_waitcnt lgkmcnt(1)
	v_mul_f64 v[22:23], v[62:63], v[64:65]
	v_fma_f64 v[22:23], v[60:61], v[20:21], -v[22:23]
	v_mul_f64 v[60:61], v[60:61], v[64:65]
	v_fmac_f64_e32 v[60:61], v[62:63], v[20:21]
	s_waitcnt vmcnt(4)
	v_add_f64 v[18:19], v[18:19], -v[60:61]
	ds_read2_b64 v[60:63], v56 offset0:16 offset1:17
	v_add_f64 v[16:17], v[16:17], -v[22:23]
	s_waitcnt lgkmcnt(1)
	v_mul_f64 v[22:23], v[46:47], v[64:65]
	v_fma_f64 v[22:23], v[44:45], v[20:21], -v[22:23]
	v_mul_f64 v[44:45], v[44:45], v[64:65]
	v_fmac_f64_e32 v[44:45], v[46:47], v[20:21]
	s_waitcnt vmcnt(3)
	v_add_f64 v[4:5], v[4:5], -v[22:23]
	v_add_f64 v[6:7], v[6:7], -v[44:45]
	;; [unrolled: 18-line block ×3, first 2 shown]
	s_waitcnt lgkmcnt(0)
	v_mul_f64 v[22:23], v[62:63], v[64:65]
	v_mul_f64 v[44:45], v[60:61], v[64:65]
	v_fma_f64 v[22:23], v[60:61], v[20:21], -v[22:23]
	v_fmac_f64_e32 v[44:45], v[62:63], v[20:21]
	s_waitcnt vmcnt(0)
	v_add_f64 v[40:41], v[40:41], -v[22:23]
	v_add_f64 v[42:43], v[42:43], -v[44:45]
	v_mov_b64_e32 v[22:23], v[64:65]
.LBB20_83:
	s_or_b64 exec, exec, s[0:1]
	v_lshl_add_u32 v44, v55, 4, v56
	s_barrier
	s_waitcnt vmcnt(6)
	ds_write2_b64 v44, v[24:25], v[26:27] offset1:1
	s_waitcnt lgkmcnt(0)
	s_barrier
	ds_read2_b64 v[44:47], v56 offset0:8 offset1:9
	s_cmp_lt_i32 s20, 6
	v_mov_b32_e32 v54, 4
	s_cbranch_scc1 .LBB20_86
; %bb.84:
	v_mov_b32_e32 v54, 4
	v_add_u32_e32 v57, 0x50, v56
	s_mov_b32 s16, 5
.LBB20_85:                              ; =>This Inner Loop Header: Depth=1
	ds_read2_b64 v[60:63], v57 offset1:1
	s_waitcnt lgkmcnt(1)
	v_xor_b32_e32 v65, 0x80000000, v45
	v_xor_b32_e32 v67, 0x80000000, v47
	v_cmp_gt_f64_e32 vcc, 0, v[46:47]
	v_cmp_gt_f64_e64 s[0:1], 0, v[44:45]
	v_mov_b32_e32 v64, v44
	v_mov_b32_e32 v66, v46
	v_cndmask_b32_e64 v65, v45, v65, s[0:1]
	v_cndmask_b32_e32 v67, v47, v67, vcc
	v_add_f64 v[64:65], v[64:65], v[66:67]
	s_waitcnt lgkmcnt(0)
	v_xor_b32_e32 v67, 0x80000000, v61
	v_xor_b32_e32 v69, 0x80000000, v63
	v_cmp_gt_f64_e32 vcc, 0, v[62:63]
	v_cmp_gt_f64_e64 s[0:1], 0, v[60:61]
	v_mov_b32_e32 v66, v60
	v_mov_b32_e32 v68, v62
	v_cndmask_b32_e64 v67, v61, v67, s[0:1]
	v_cndmask_b32_e32 v69, v63, v69, vcc
	v_add_f64 v[66:67], v[66:67], v[68:69]
	v_mov_b32_e32 v70, s16
	s_add_i32 s16, s16, 1
	v_cmp_lt_f64_e32 vcc, v[64:65], v[66:67]
	v_add_u32_e32 v57, 16, v57
	s_cmp_lg_u32 s20, s16
	v_cndmask_b32_e32 v45, v45, v61, vcc
	v_cndmask_b32_e32 v44, v44, v60, vcc
	;; [unrolled: 1-line block ×5, first 2 shown]
	s_cbranch_scc1 .LBB20_85
.LBB20_86:
	s_waitcnt lgkmcnt(0)
	v_cmp_eq_f64_e32 vcc, 0, v[44:45]
	v_cmp_eq_f64_e64 s[0:1], 0, v[46:47]
	s_and_b64 s[0:1], vcc, s[0:1]
	s_and_saveexec_b64 s[16:17], s[0:1]
	s_xor_b64 s[0:1], exec, s[16:17]
; %bb.87:
	v_cmp_ne_u32_e32 vcc, 0, v59
	s_nop 1
	v_cndmask_b32_e32 v59, 5, v59, vcc
; %bb.88:
	s_andn2_saveexec_b64 s[0:1], s[0:1]
	s_cbranch_execz .LBB20_94
; %bb.89:
	v_cmp_ngt_f64_e64 s[16:17], |v[44:45]|, |v[46:47]|
	s_and_saveexec_b64 s[18:19], s[16:17]
	s_xor_b64 s[16:17], exec, s[18:19]
	s_cbranch_execz .LBB20_91
; %bb.90:
	v_div_scale_f64 v[60:61], s[18:19], v[46:47], v[46:47], v[44:45]
	v_rcp_f64_e32 v[62:63], v[60:61]
	v_div_scale_f64 v[64:65], vcc, v[44:45], v[46:47], v[44:45]
	v_fma_f64 v[66:67], -v[60:61], v[62:63], 1.0
	v_fmac_f64_e32 v[62:63], v[62:63], v[66:67]
	v_fma_f64 v[66:67], -v[60:61], v[62:63], 1.0
	v_fmac_f64_e32 v[62:63], v[62:63], v[66:67]
	v_mul_f64 v[66:67], v[64:65], v[62:63]
	v_fma_f64 v[60:61], -v[60:61], v[66:67], v[64:65]
	v_div_fmas_f64 v[60:61], v[60:61], v[62:63], v[66:67]
	v_div_fixup_f64 v[60:61], v[60:61], v[46:47], v[44:45]
	v_fmac_f64_e32 v[46:47], v[44:45], v[60:61]
	v_div_scale_f64 v[44:45], s[18:19], v[46:47], v[46:47], 1.0
	v_rcp_f64_e32 v[62:63], v[44:45]
	s_nop 0
	v_fma_f64 v[64:65], -v[44:45], v[62:63], 1.0
	v_fmac_f64_e32 v[62:63], v[62:63], v[64:65]
	v_fma_f64 v[64:65], -v[44:45], v[62:63], 1.0
	v_fmac_f64_e32 v[62:63], v[62:63], v[64:65]
	v_div_scale_f64 v[64:65], vcc, 1.0, v[46:47], 1.0
	v_mul_f64 v[66:67], v[64:65], v[62:63]
	v_fma_f64 v[44:45], -v[44:45], v[66:67], v[64:65]
	s_nop 1
	v_div_fmas_f64 v[44:45], v[44:45], v[62:63], v[66:67]
	v_div_fixup_f64 v[46:47], v[44:45], v[46:47], 1.0
	v_mul_f64 v[44:45], v[60:61], v[46:47]
	v_xor_b32_e32 v47, 0x80000000, v47
.LBB20_91:
	s_andn2_saveexec_b64 s[16:17], s[16:17]
	s_cbranch_execz .LBB20_93
; %bb.92:
	v_div_scale_f64 v[60:61], s[18:19], v[44:45], v[44:45], v[46:47]
	v_rcp_f64_e32 v[62:63], v[60:61]
	v_div_scale_f64 v[64:65], vcc, v[46:47], v[44:45], v[46:47]
	v_fma_f64 v[66:67], -v[60:61], v[62:63], 1.0
	v_fmac_f64_e32 v[62:63], v[62:63], v[66:67]
	v_fma_f64 v[66:67], -v[60:61], v[62:63], 1.0
	v_fmac_f64_e32 v[62:63], v[62:63], v[66:67]
	v_mul_f64 v[66:67], v[64:65], v[62:63]
	v_fma_f64 v[60:61], -v[60:61], v[66:67], v[64:65]
	v_div_fmas_f64 v[60:61], v[60:61], v[62:63], v[66:67]
	v_div_fixup_f64 v[60:61], v[60:61], v[44:45], v[46:47]
	v_fmac_f64_e32 v[44:45], v[46:47], v[60:61]
	v_div_scale_f64 v[46:47], s[18:19], v[44:45], v[44:45], 1.0
	v_rcp_f64_e32 v[62:63], v[46:47]
	s_nop 0
	v_fma_f64 v[64:65], -v[46:47], v[62:63], 1.0
	v_fmac_f64_e32 v[62:63], v[62:63], v[64:65]
	v_fma_f64 v[64:65], -v[46:47], v[62:63], 1.0
	v_fmac_f64_e32 v[62:63], v[62:63], v[64:65]
	v_div_scale_f64 v[64:65], vcc, 1.0, v[44:45], 1.0
	v_mul_f64 v[66:67], v[64:65], v[62:63]
	v_fma_f64 v[46:47], -v[46:47], v[66:67], v[64:65]
	s_nop 1
	v_div_fmas_f64 v[46:47], v[46:47], v[62:63], v[66:67]
	v_div_fixup_f64 v[44:45], v[46:47], v[44:45], 1.0
	v_mul_f64 v[46:47], v[60:61], -v[44:45]
.LBB20_93:
	s_or_b64 exec, exec, s[16:17]
.LBB20_94:
	s_or_b64 exec, exec, s[0:1]
	v_cmp_ne_u32_e32 vcc, v55, v54
	s_and_saveexec_b64 s[0:1], vcc
	s_xor_b64 s[0:1], exec, s[0:1]
	s_cbranch_execz .LBB20_100
; %bb.95:
	v_cmp_eq_u32_e32 vcc, 4, v55
	s_and_saveexec_b64 s[16:17], vcc
	s_cbranch_execz .LBB20_99
; %bb.96:
	v_cmp_ne_u32_e32 vcc, 4, v54
	s_xor_b64 s[18:19], s[14:15], -1
	s_and_b64 s[22:23], s[18:19], vcc
	s_and_saveexec_b64 s[18:19], s[22:23]
	s_cbranch_execz .LBB20_98
; %bb.97:
	v_ashrrev_i32_e32 v55, 31, v54
	v_lshl_add_u64 v[60:61], v[54:55], 2, v[52:53]
	global_load_dword v55, v[60:61], off
	global_load_dword v57, v[52:53], off offset:16
	s_waitcnt vmcnt(1)
	global_store_dword v[52:53], v55, off offset:16
	s_waitcnt vmcnt(1)
	global_store_dword v[60:61], v57, off
.LBB20_98:
	s_or_b64 exec, exec, s[18:19]
	v_mov_b32_e32 v55, v54
	v_mov_b32_e32 v58, v54
.LBB20_99:
	s_or_b64 exec, exec, s[16:17]
.LBB20_100:
	s_andn2_saveexec_b64 s[0:1], s[0:1]
	s_cbranch_execz .LBB20_102
; %bb.101:
	v_mov_b32_e32 v55, 4
	s_waitcnt vmcnt(5)
	ds_write2_b64 v56, v[12:13], v[14:15] offset0:10 offset1:11
	s_waitcnt vmcnt(4)
	ds_write2_b64 v56, v[16:17], v[18:19] offset0:12 offset1:13
	;; [unrolled: 2-line block ×6, first 2 shown]
.LBB20_102:
	s_or_b64 exec, exec, s[0:1]
	v_cmp_lt_i32_e32 vcc, 4, v55
	s_waitcnt lgkmcnt(0)
	s_barrier
	s_and_saveexec_b64 s[0:1], vcc
	s_cbranch_execz .LBB20_104
; %bb.103:
	ds_read2_b64 v[60:63], v56 offset0:10 offset1:11
	v_mul_f64 v[64:65], v[44:45], v[26:27]
	v_mul_f64 v[26:27], v[46:47], v[26:27]
	v_fmac_f64_e32 v[64:65], v[46:47], v[24:25]
	v_fma_f64 v[24:25], v[44:45], v[24:25], -v[26:27]
	ds_read2_b64 v[44:47], v56 offset0:12 offset1:13
	s_waitcnt lgkmcnt(1)
	v_mul_f64 v[26:27], v[62:63], v[64:65]
	v_fma_f64 v[26:27], v[60:61], v[24:25], -v[26:27]
	v_mul_f64 v[60:61], v[60:61], v[64:65]
	v_fmac_f64_e32 v[60:61], v[62:63], v[24:25]
	s_waitcnt vmcnt(5)
	v_add_f64 v[12:13], v[12:13], -v[26:27]
	s_waitcnt lgkmcnt(0)
	v_mul_f64 v[26:27], v[46:47], v[64:65]
	v_add_f64 v[14:15], v[14:15], -v[60:61]
	v_fma_f64 v[26:27], v[44:45], v[24:25], -v[26:27]
	v_mul_f64 v[44:45], v[44:45], v[64:65]
	ds_read2_b64 v[60:63], v56 offset0:14 offset1:15
	v_fmac_f64_e32 v[44:45], v[46:47], v[24:25]
	s_waitcnt vmcnt(4)
	v_add_f64 v[18:19], v[18:19], -v[44:45]
	ds_read2_b64 v[44:47], v56 offset0:16 offset1:17
	v_add_f64 v[16:17], v[16:17], -v[26:27]
	s_waitcnt lgkmcnt(1)
	v_mul_f64 v[26:27], v[62:63], v[64:65]
	v_fma_f64 v[26:27], v[60:61], v[24:25], -v[26:27]
	v_mul_f64 v[60:61], v[60:61], v[64:65]
	v_fmac_f64_e32 v[60:61], v[62:63], v[24:25]
	s_waitcnt vmcnt(3)
	v_add_f64 v[4:5], v[4:5], -v[26:27]
	s_waitcnt lgkmcnt(0)
	v_mul_f64 v[26:27], v[46:47], v[64:65]
	v_add_f64 v[6:7], v[6:7], -v[60:61]
	v_fma_f64 v[26:27], v[44:45], v[24:25], -v[26:27]
	v_mul_f64 v[44:45], v[44:45], v[64:65]
	ds_read2_b64 v[60:63], v56 offset0:18 offset1:19
	v_fmac_f64_e32 v[44:45], v[46:47], v[24:25]
	s_waitcnt vmcnt(2)
	v_add_f64 v[10:11], v[10:11], -v[44:45]
	ds_read2_b64 v[44:47], v56 offset0:20 offset1:21
	v_add_f64 v[8:9], v[8:9], -v[26:27]
	s_waitcnt lgkmcnt(1)
	v_mul_f64 v[26:27], v[62:63], v[64:65]
	v_fma_f64 v[26:27], v[60:61], v[24:25], -v[26:27]
	s_waitcnt vmcnt(1)
	v_add_f64 v[0:1], v[0:1], -v[26:27]
	s_waitcnt lgkmcnt(0)
	v_mul_f64 v[26:27], v[46:47], v[64:65]
	v_mul_f64 v[60:61], v[60:61], v[64:65]
	v_fma_f64 v[26:27], v[44:45], v[24:25], -v[26:27]
	v_mul_f64 v[44:45], v[44:45], v[64:65]
	v_fmac_f64_e32 v[60:61], v[62:63], v[24:25]
	v_fmac_f64_e32 v[44:45], v[46:47], v[24:25]
	v_add_f64 v[2:3], v[2:3], -v[60:61]
	s_waitcnt vmcnt(0)
	v_add_f64 v[40:41], v[40:41], -v[26:27]
	v_add_f64 v[42:43], v[42:43], -v[44:45]
	v_mov_b64_e32 v[26:27], v[64:65]
.LBB20_104:
	s_or_b64 exec, exec, s[0:1]
	v_lshl_add_u32 v44, v55, 4, v56
	s_barrier
	s_waitcnt vmcnt(5)
	ds_write2_b64 v44, v[12:13], v[14:15] offset1:1
	s_waitcnt lgkmcnt(0)
	s_barrier
	ds_read2_b64 v[44:47], v56 offset0:10 offset1:11
	s_cmp_lt_i32 s20, 7
	v_mov_b32_e32 v54, 5
	s_cbranch_scc1 .LBB20_107
; %bb.105:
	v_add_u32_e32 v57, 0x60, v56
	s_mov_b32 s16, 6
	v_mov_b32_e32 v54, 5
.LBB20_106:                             ; =>This Inner Loop Header: Depth=1
	ds_read2_b64 v[60:63], v57 offset1:1
	s_waitcnt lgkmcnt(1)
	v_xor_b32_e32 v65, 0x80000000, v45
	v_xor_b32_e32 v67, 0x80000000, v47
	v_cmp_gt_f64_e32 vcc, 0, v[46:47]
	v_cmp_gt_f64_e64 s[0:1], 0, v[44:45]
	v_mov_b32_e32 v64, v44
	v_mov_b32_e32 v66, v46
	v_cndmask_b32_e64 v65, v45, v65, s[0:1]
	v_cndmask_b32_e32 v67, v47, v67, vcc
	v_add_f64 v[64:65], v[64:65], v[66:67]
	s_waitcnt lgkmcnt(0)
	v_xor_b32_e32 v67, 0x80000000, v61
	v_xor_b32_e32 v69, 0x80000000, v63
	v_cmp_gt_f64_e32 vcc, 0, v[62:63]
	v_cmp_gt_f64_e64 s[0:1], 0, v[60:61]
	v_mov_b32_e32 v66, v60
	v_mov_b32_e32 v68, v62
	v_cndmask_b32_e64 v67, v61, v67, s[0:1]
	v_cndmask_b32_e32 v69, v63, v69, vcc
	v_add_f64 v[66:67], v[66:67], v[68:69]
	v_mov_b32_e32 v70, s16
	s_add_i32 s16, s16, 1
	v_cmp_lt_f64_e32 vcc, v[64:65], v[66:67]
	v_add_u32_e32 v57, 16, v57
	s_cmp_lg_u32 s20, s16
	v_cndmask_b32_e32 v45, v45, v61, vcc
	v_cndmask_b32_e32 v44, v44, v60, vcc
	;; [unrolled: 1-line block ×5, first 2 shown]
	s_cbranch_scc1 .LBB20_106
.LBB20_107:
	s_waitcnt lgkmcnt(0)
	v_cmp_eq_f64_e32 vcc, 0, v[44:45]
	v_cmp_eq_f64_e64 s[0:1], 0, v[46:47]
	s_and_b64 s[0:1], vcc, s[0:1]
	s_and_saveexec_b64 s[16:17], s[0:1]
	s_xor_b64 s[0:1], exec, s[16:17]
; %bb.108:
	v_cmp_ne_u32_e32 vcc, 0, v59
	s_nop 1
	v_cndmask_b32_e32 v59, 6, v59, vcc
; %bb.109:
	s_andn2_saveexec_b64 s[0:1], s[0:1]
	s_cbranch_execz .LBB20_115
; %bb.110:
	v_cmp_ngt_f64_e64 s[16:17], |v[44:45]|, |v[46:47]|
	s_and_saveexec_b64 s[18:19], s[16:17]
	s_xor_b64 s[16:17], exec, s[18:19]
	s_cbranch_execz .LBB20_112
; %bb.111:
	v_div_scale_f64 v[60:61], s[18:19], v[46:47], v[46:47], v[44:45]
	v_rcp_f64_e32 v[62:63], v[60:61]
	v_div_scale_f64 v[64:65], vcc, v[44:45], v[46:47], v[44:45]
	v_fma_f64 v[66:67], -v[60:61], v[62:63], 1.0
	v_fmac_f64_e32 v[62:63], v[62:63], v[66:67]
	v_fma_f64 v[66:67], -v[60:61], v[62:63], 1.0
	v_fmac_f64_e32 v[62:63], v[62:63], v[66:67]
	v_mul_f64 v[66:67], v[64:65], v[62:63]
	v_fma_f64 v[60:61], -v[60:61], v[66:67], v[64:65]
	v_div_fmas_f64 v[60:61], v[60:61], v[62:63], v[66:67]
	v_div_fixup_f64 v[60:61], v[60:61], v[46:47], v[44:45]
	v_fmac_f64_e32 v[46:47], v[44:45], v[60:61]
	v_div_scale_f64 v[44:45], s[18:19], v[46:47], v[46:47], 1.0
	v_rcp_f64_e32 v[62:63], v[44:45]
	s_nop 0
	v_fma_f64 v[64:65], -v[44:45], v[62:63], 1.0
	v_fmac_f64_e32 v[62:63], v[62:63], v[64:65]
	v_fma_f64 v[64:65], -v[44:45], v[62:63], 1.0
	v_fmac_f64_e32 v[62:63], v[62:63], v[64:65]
	v_div_scale_f64 v[64:65], vcc, 1.0, v[46:47], 1.0
	v_mul_f64 v[66:67], v[64:65], v[62:63]
	v_fma_f64 v[44:45], -v[44:45], v[66:67], v[64:65]
	s_nop 1
	v_div_fmas_f64 v[44:45], v[44:45], v[62:63], v[66:67]
	v_div_fixup_f64 v[46:47], v[44:45], v[46:47], 1.0
	v_mul_f64 v[44:45], v[60:61], v[46:47]
	v_xor_b32_e32 v47, 0x80000000, v47
.LBB20_112:
	s_andn2_saveexec_b64 s[16:17], s[16:17]
	s_cbranch_execz .LBB20_114
; %bb.113:
	v_div_scale_f64 v[60:61], s[18:19], v[44:45], v[44:45], v[46:47]
	v_rcp_f64_e32 v[62:63], v[60:61]
	v_div_scale_f64 v[64:65], vcc, v[46:47], v[44:45], v[46:47]
	v_fma_f64 v[66:67], -v[60:61], v[62:63], 1.0
	v_fmac_f64_e32 v[62:63], v[62:63], v[66:67]
	v_fma_f64 v[66:67], -v[60:61], v[62:63], 1.0
	v_fmac_f64_e32 v[62:63], v[62:63], v[66:67]
	v_mul_f64 v[66:67], v[64:65], v[62:63]
	v_fma_f64 v[60:61], -v[60:61], v[66:67], v[64:65]
	v_div_fmas_f64 v[60:61], v[60:61], v[62:63], v[66:67]
	v_div_fixup_f64 v[60:61], v[60:61], v[44:45], v[46:47]
	v_fmac_f64_e32 v[44:45], v[46:47], v[60:61]
	v_div_scale_f64 v[46:47], s[18:19], v[44:45], v[44:45], 1.0
	v_rcp_f64_e32 v[62:63], v[46:47]
	s_nop 0
	v_fma_f64 v[64:65], -v[46:47], v[62:63], 1.0
	v_fmac_f64_e32 v[62:63], v[62:63], v[64:65]
	v_fma_f64 v[64:65], -v[46:47], v[62:63], 1.0
	v_fmac_f64_e32 v[62:63], v[62:63], v[64:65]
	v_div_scale_f64 v[64:65], vcc, 1.0, v[44:45], 1.0
	v_mul_f64 v[66:67], v[64:65], v[62:63]
	v_fma_f64 v[46:47], -v[46:47], v[66:67], v[64:65]
	s_nop 1
	v_div_fmas_f64 v[46:47], v[46:47], v[62:63], v[66:67]
	v_div_fixup_f64 v[44:45], v[46:47], v[44:45], 1.0
	v_mul_f64 v[46:47], v[60:61], -v[44:45]
.LBB20_114:
	s_or_b64 exec, exec, s[16:17]
.LBB20_115:
	s_or_b64 exec, exec, s[0:1]
	v_cmp_ne_u32_e32 vcc, v55, v54
	s_and_saveexec_b64 s[0:1], vcc
	s_xor_b64 s[0:1], exec, s[0:1]
	s_cbranch_execz .LBB20_121
; %bb.116:
	v_cmp_eq_u32_e32 vcc, 5, v55
	s_and_saveexec_b64 s[16:17], vcc
	s_cbranch_execz .LBB20_120
; %bb.117:
	v_cmp_ne_u32_e32 vcc, 5, v54
	s_xor_b64 s[18:19], s[14:15], -1
	s_and_b64 s[22:23], s[18:19], vcc
	s_and_saveexec_b64 s[18:19], s[22:23]
	s_cbranch_execz .LBB20_119
; %bb.118:
	v_ashrrev_i32_e32 v55, 31, v54
	v_lshl_add_u64 v[60:61], v[54:55], 2, v[52:53]
	global_load_dword v55, v[60:61], off
	global_load_dword v57, v[52:53], off offset:20
	s_waitcnt vmcnt(1)
	global_store_dword v[52:53], v55, off offset:20
	s_waitcnt vmcnt(1)
	global_store_dword v[60:61], v57, off
.LBB20_119:
	s_or_b64 exec, exec, s[18:19]
	v_mov_b32_e32 v55, v54
	v_mov_b32_e32 v58, v54
.LBB20_120:
	s_or_b64 exec, exec, s[16:17]
.LBB20_121:
	s_andn2_saveexec_b64 s[0:1], s[0:1]
	s_cbranch_execz .LBB20_123
; %bb.122:
	v_mov_b32_e32 v55, 5
	s_waitcnt vmcnt(4)
	ds_write2_b64 v56, v[16:17], v[18:19] offset0:12 offset1:13
	s_waitcnt vmcnt(3)
	ds_write2_b64 v56, v[4:5], v[6:7] offset0:14 offset1:15
	;; [unrolled: 2-line block ×5, first 2 shown]
.LBB20_123:
	s_or_b64 exec, exec, s[0:1]
	v_cmp_lt_i32_e32 vcc, 5, v55
	s_waitcnt lgkmcnt(0)
	s_barrier
	s_and_saveexec_b64 s[0:1], vcc
	s_cbranch_execz .LBB20_125
; %bb.124:
	ds_read2_b64 v[60:63], v56 offset0:12 offset1:13
	v_mul_f64 v[64:65], v[44:45], v[14:15]
	v_fmac_f64_e32 v[64:65], v[46:47], v[12:13]
	v_mul_f64 v[14:15], v[46:47], v[14:15]
	v_fma_f64 v[12:13], v[44:45], v[12:13], -v[14:15]
	ds_read2_b64 v[44:47], v56 offset0:14 offset1:15
	s_waitcnt lgkmcnt(1)
	v_mul_f64 v[14:15], v[62:63], v[64:65]
	v_fma_f64 v[14:15], v[60:61], v[12:13], -v[14:15]
	v_mul_f64 v[60:61], v[60:61], v[64:65]
	v_fmac_f64_e32 v[60:61], v[62:63], v[12:13]
	s_waitcnt vmcnt(4)
	v_add_f64 v[18:19], v[18:19], -v[60:61]
	ds_read2_b64 v[60:63], v56 offset0:16 offset1:17
	v_add_f64 v[16:17], v[16:17], -v[14:15]
	s_waitcnt lgkmcnt(1)
	v_mul_f64 v[14:15], v[46:47], v[64:65]
	v_fma_f64 v[14:15], v[44:45], v[12:13], -v[14:15]
	v_mul_f64 v[44:45], v[44:45], v[64:65]
	v_fmac_f64_e32 v[44:45], v[46:47], v[12:13]
	s_waitcnt vmcnt(3)
	v_add_f64 v[4:5], v[4:5], -v[14:15]
	v_add_f64 v[6:7], v[6:7], -v[44:45]
	ds_read2_b64 v[44:47], v56 offset0:18 offset1:19
	s_waitcnt lgkmcnt(1)
	v_mul_f64 v[14:15], v[62:63], v[64:65]
	v_fma_f64 v[14:15], v[60:61], v[12:13], -v[14:15]
	v_mul_f64 v[60:61], v[60:61], v[64:65]
	v_fmac_f64_e32 v[60:61], v[62:63], v[12:13]
	s_waitcnt vmcnt(2)
	v_add_f64 v[10:11], v[10:11], -v[60:61]
	ds_read2_b64 v[60:63], v56 offset0:20 offset1:21
	v_add_f64 v[8:9], v[8:9], -v[14:15]
	s_waitcnt lgkmcnt(1)
	v_mul_f64 v[14:15], v[46:47], v[64:65]
	v_fma_f64 v[14:15], v[44:45], v[12:13], -v[14:15]
	v_mul_f64 v[44:45], v[44:45], v[64:65]
	v_fmac_f64_e32 v[44:45], v[46:47], v[12:13]
	s_waitcnt vmcnt(1)
	v_add_f64 v[0:1], v[0:1], -v[14:15]
	v_add_f64 v[2:3], v[2:3], -v[44:45]
	s_waitcnt lgkmcnt(0)
	v_mul_f64 v[14:15], v[62:63], v[64:65]
	v_mul_f64 v[44:45], v[60:61], v[64:65]
	v_fma_f64 v[14:15], v[60:61], v[12:13], -v[14:15]
	v_fmac_f64_e32 v[44:45], v[62:63], v[12:13]
	s_waitcnt vmcnt(0)
	v_add_f64 v[40:41], v[40:41], -v[14:15]
	v_add_f64 v[42:43], v[42:43], -v[44:45]
	v_mov_b64_e32 v[14:15], v[64:65]
.LBB20_125:
	s_or_b64 exec, exec, s[0:1]
	v_lshl_add_u32 v44, v55, 4, v56
	s_barrier
	s_waitcnt vmcnt(4)
	ds_write2_b64 v44, v[16:17], v[18:19] offset1:1
	s_waitcnt lgkmcnt(0)
	s_barrier
	ds_read2_b64 v[44:47], v56 offset0:12 offset1:13
	s_cmp_lt_i32 s20, 8
	v_mov_b32_e32 v54, 6
	s_cbranch_scc1 .LBB20_128
; %bb.126:
	v_add_u32_e32 v57, 0x70, v56
	s_mov_b32 s16, 7
	v_mov_b32_e32 v54, 6
.LBB20_127:                             ; =>This Inner Loop Header: Depth=1
	ds_read2_b64 v[60:63], v57 offset1:1
	s_waitcnt lgkmcnt(1)
	v_xor_b32_e32 v65, 0x80000000, v45
	v_xor_b32_e32 v67, 0x80000000, v47
	v_cmp_gt_f64_e32 vcc, 0, v[46:47]
	v_cmp_gt_f64_e64 s[0:1], 0, v[44:45]
	v_mov_b32_e32 v64, v44
	v_mov_b32_e32 v66, v46
	v_cndmask_b32_e64 v65, v45, v65, s[0:1]
	v_cndmask_b32_e32 v67, v47, v67, vcc
	v_add_f64 v[64:65], v[64:65], v[66:67]
	s_waitcnt lgkmcnt(0)
	v_xor_b32_e32 v67, 0x80000000, v61
	v_xor_b32_e32 v69, 0x80000000, v63
	v_cmp_gt_f64_e32 vcc, 0, v[62:63]
	v_cmp_gt_f64_e64 s[0:1], 0, v[60:61]
	v_mov_b32_e32 v66, v60
	v_mov_b32_e32 v68, v62
	v_cndmask_b32_e64 v67, v61, v67, s[0:1]
	v_cndmask_b32_e32 v69, v63, v69, vcc
	v_add_f64 v[66:67], v[66:67], v[68:69]
	v_mov_b32_e32 v70, s16
	s_add_i32 s16, s16, 1
	v_cmp_lt_f64_e32 vcc, v[64:65], v[66:67]
	v_add_u32_e32 v57, 16, v57
	s_cmp_lg_u32 s20, s16
	v_cndmask_b32_e32 v45, v45, v61, vcc
	v_cndmask_b32_e32 v44, v44, v60, vcc
	v_cndmask_b32_e32 v47, v47, v63, vcc
	v_cndmask_b32_e32 v46, v46, v62, vcc
	v_cndmask_b32_e32 v54, v54, v70, vcc
	s_cbranch_scc1 .LBB20_127
.LBB20_128:
	s_waitcnt lgkmcnt(0)
	v_cmp_eq_f64_e32 vcc, 0, v[44:45]
	v_cmp_eq_f64_e64 s[0:1], 0, v[46:47]
	s_and_b64 s[0:1], vcc, s[0:1]
	s_and_saveexec_b64 s[16:17], s[0:1]
	s_xor_b64 s[0:1], exec, s[16:17]
; %bb.129:
	v_cmp_ne_u32_e32 vcc, 0, v59
	s_nop 1
	v_cndmask_b32_e32 v59, 7, v59, vcc
; %bb.130:
	s_andn2_saveexec_b64 s[0:1], s[0:1]
	s_cbranch_execz .LBB20_136
; %bb.131:
	v_cmp_ngt_f64_e64 s[16:17], |v[44:45]|, |v[46:47]|
	s_and_saveexec_b64 s[18:19], s[16:17]
	s_xor_b64 s[16:17], exec, s[18:19]
	s_cbranch_execz .LBB20_133
; %bb.132:
	v_div_scale_f64 v[60:61], s[18:19], v[46:47], v[46:47], v[44:45]
	v_rcp_f64_e32 v[62:63], v[60:61]
	v_div_scale_f64 v[64:65], vcc, v[44:45], v[46:47], v[44:45]
	v_fma_f64 v[66:67], -v[60:61], v[62:63], 1.0
	v_fmac_f64_e32 v[62:63], v[62:63], v[66:67]
	v_fma_f64 v[66:67], -v[60:61], v[62:63], 1.0
	v_fmac_f64_e32 v[62:63], v[62:63], v[66:67]
	v_mul_f64 v[66:67], v[64:65], v[62:63]
	v_fma_f64 v[60:61], -v[60:61], v[66:67], v[64:65]
	v_div_fmas_f64 v[60:61], v[60:61], v[62:63], v[66:67]
	v_div_fixup_f64 v[60:61], v[60:61], v[46:47], v[44:45]
	v_fmac_f64_e32 v[46:47], v[44:45], v[60:61]
	v_div_scale_f64 v[44:45], s[18:19], v[46:47], v[46:47], 1.0
	v_rcp_f64_e32 v[62:63], v[44:45]
	s_nop 0
	v_fma_f64 v[64:65], -v[44:45], v[62:63], 1.0
	v_fmac_f64_e32 v[62:63], v[62:63], v[64:65]
	v_fma_f64 v[64:65], -v[44:45], v[62:63], 1.0
	v_fmac_f64_e32 v[62:63], v[62:63], v[64:65]
	v_div_scale_f64 v[64:65], vcc, 1.0, v[46:47], 1.0
	v_mul_f64 v[66:67], v[64:65], v[62:63]
	v_fma_f64 v[44:45], -v[44:45], v[66:67], v[64:65]
	s_nop 1
	v_div_fmas_f64 v[44:45], v[44:45], v[62:63], v[66:67]
	v_div_fixup_f64 v[46:47], v[44:45], v[46:47], 1.0
	v_mul_f64 v[44:45], v[60:61], v[46:47]
	v_xor_b32_e32 v47, 0x80000000, v47
.LBB20_133:
	s_andn2_saveexec_b64 s[16:17], s[16:17]
	s_cbranch_execz .LBB20_135
; %bb.134:
	v_div_scale_f64 v[60:61], s[18:19], v[44:45], v[44:45], v[46:47]
	v_rcp_f64_e32 v[62:63], v[60:61]
	v_div_scale_f64 v[64:65], vcc, v[46:47], v[44:45], v[46:47]
	v_fma_f64 v[66:67], -v[60:61], v[62:63], 1.0
	v_fmac_f64_e32 v[62:63], v[62:63], v[66:67]
	v_fma_f64 v[66:67], -v[60:61], v[62:63], 1.0
	v_fmac_f64_e32 v[62:63], v[62:63], v[66:67]
	v_mul_f64 v[66:67], v[64:65], v[62:63]
	v_fma_f64 v[60:61], -v[60:61], v[66:67], v[64:65]
	v_div_fmas_f64 v[60:61], v[60:61], v[62:63], v[66:67]
	v_div_fixup_f64 v[60:61], v[60:61], v[44:45], v[46:47]
	v_fmac_f64_e32 v[44:45], v[46:47], v[60:61]
	v_div_scale_f64 v[46:47], s[18:19], v[44:45], v[44:45], 1.0
	v_rcp_f64_e32 v[62:63], v[46:47]
	s_nop 0
	v_fma_f64 v[64:65], -v[46:47], v[62:63], 1.0
	v_fmac_f64_e32 v[62:63], v[62:63], v[64:65]
	v_fma_f64 v[64:65], -v[46:47], v[62:63], 1.0
	v_fmac_f64_e32 v[62:63], v[62:63], v[64:65]
	v_div_scale_f64 v[64:65], vcc, 1.0, v[44:45], 1.0
	v_mul_f64 v[66:67], v[64:65], v[62:63]
	v_fma_f64 v[46:47], -v[46:47], v[66:67], v[64:65]
	s_nop 1
	v_div_fmas_f64 v[46:47], v[46:47], v[62:63], v[66:67]
	v_div_fixup_f64 v[44:45], v[46:47], v[44:45], 1.0
	v_mul_f64 v[46:47], v[60:61], -v[44:45]
.LBB20_135:
	s_or_b64 exec, exec, s[16:17]
.LBB20_136:
	s_or_b64 exec, exec, s[0:1]
	v_cmp_ne_u32_e32 vcc, v55, v54
	s_and_saveexec_b64 s[0:1], vcc
	s_xor_b64 s[0:1], exec, s[0:1]
	s_cbranch_execz .LBB20_142
; %bb.137:
	v_cmp_eq_u32_e32 vcc, 6, v55
	s_and_saveexec_b64 s[16:17], vcc
	s_cbranch_execz .LBB20_141
; %bb.138:
	v_cmp_ne_u32_e32 vcc, 6, v54
	s_xor_b64 s[18:19], s[14:15], -1
	s_and_b64 s[22:23], s[18:19], vcc
	s_and_saveexec_b64 s[18:19], s[22:23]
	s_cbranch_execz .LBB20_140
; %bb.139:
	v_ashrrev_i32_e32 v55, 31, v54
	v_lshl_add_u64 v[60:61], v[54:55], 2, v[52:53]
	global_load_dword v55, v[60:61], off
	global_load_dword v57, v[52:53], off offset:24
	s_waitcnt vmcnt(1)
	global_store_dword v[52:53], v55, off offset:24
	s_waitcnt vmcnt(1)
	global_store_dword v[60:61], v57, off
.LBB20_140:
	s_or_b64 exec, exec, s[18:19]
	v_mov_b32_e32 v55, v54
	v_mov_b32_e32 v58, v54
.LBB20_141:
	s_or_b64 exec, exec, s[16:17]
.LBB20_142:
	s_andn2_saveexec_b64 s[0:1], s[0:1]
	s_cbranch_execz .LBB20_144
; %bb.143:
	v_mov_b32_e32 v55, 6
	s_waitcnt vmcnt(3)
	ds_write2_b64 v56, v[4:5], v[6:7] offset0:14 offset1:15
	s_waitcnt vmcnt(2)
	ds_write2_b64 v56, v[8:9], v[10:11] offset0:16 offset1:17
	;; [unrolled: 2-line block ×4, first 2 shown]
.LBB20_144:
	s_or_b64 exec, exec, s[0:1]
	v_cmp_lt_i32_e32 vcc, 6, v55
	s_waitcnt lgkmcnt(0)
	s_barrier
	s_and_saveexec_b64 s[0:1], vcc
	s_cbranch_execz .LBB20_146
; %bb.145:
	ds_read2_b64 v[60:63], v56 offset0:14 offset1:15
	v_mul_f64 v[64:65], v[44:45], v[18:19]
	v_mul_f64 v[18:19], v[46:47], v[18:19]
	v_fmac_f64_e32 v[64:65], v[46:47], v[16:17]
	v_fma_f64 v[16:17], v[44:45], v[16:17], -v[18:19]
	ds_read2_b64 v[44:47], v56 offset0:16 offset1:17
	s_waitcnt lgkmcnt(1)
	v_mul_f64 v[18:19], v[62:63], v[64:65]
	v_fma_f64 v[18:19], v[60:61], v[16:17], -v[18:19]
	v_mul_f64 v[60:61], v[60:61], v[64:65]
	v_fmac_f64_e32 v[60:61], v[62:63], v[16:17]
	s_waitcnt vmcnt(3)
	v_add_f64 v[4:5], v[4:5], -v[18:19]
	s_waitcnt lgkmcnt(0)
	v_mul_f64 v[18:19], v[46:47], v[64:65]
	v_add_f64 v[6:7], v[6:7], -v[60:61]
	v_fma_f64 v[18:19], v[44:45], v[16:17], -v[18:19]
	v_mul_f64 v[44:45], v[44:45], v[64:65]
	ds_read2_b64 v[60:63], v56 offset0:18 offset1:19
	v_fmac_f64_e32 v[44:45], v[46:47], v[16:17]
	s_waitcnt vmcnt(2)
	v_add_f64 v[10:11], v[10:11], -v[44:45]
	ds_read2_b64 v[44:47], v56 offset0:20 offset1:21
	v_add_f64 v[8:9], v[8:9], -v[18:19]
	s_waitcnt lgkmcnt(1)
	v_mul_f64 v[18:19], v[62:63], v[64:65]
	v_fma_f64 v[18:19], v[60:61], v[16:17], -v[18:19]
	s_waitcnt vmcnt(1)
	v_add_f64 v[0:1], v[0:1], -v[18:19]
	s_waitcnt lgkmcnt(0)
	v_mul_f64 v[18:19], v[46:47], v[64:65]
	v_mul_f64 v[60:61], v[60:61], v[64:65]
	v_fma_f64 v[18:19], v[44:45], v[16:17], -v[18:19]
	v_mul_f64 v[44:45], v[44:45], v[64:65]
	v_fmac_f64_e32 v[60:61], v[62:63], v[16:17]
	v_fmac_f64_e32 v[44:45], v[46:47], v[16:17]
	v_add_f64 v[2:3], v[2:3], -v[60:61]
	s_waitcnt vmcnt(0)
	v_add_f64 v[40:41], v[40:41], -v[18:19]
	v_add_f64 v[42:43], v[42:43], -v[44:45]
	v_mov_b64_e32 v[18:19], v[64:65]
.LBB20_146:
	s_or_b64 exec, exec, s[0:1]
	v_lshl_add_u32 v44, v55, 4, v56
	s_barrier
	s_waitcnt vmcnt(3)
	ds_write2_b64 v44, v[4:5], v[6:7] offset1:1
	s_waitcnt lgkmcnt(0)
	s_barrier
	ds_read2_b64 v[44:47], v56 offset0:14 offset1:15
	s_cmp_lt_i32 s20, 9
	v_mov_b32_e32 v54, 7
	s_cbranch_scc1 .LBB20_149
; %bb.147:
	v_add_u32_e32 v57, 0x80, v56
	s_mov_b32 s16, 8
	v_mov_b32_e32 v54, 7
.LBB20_148:                             ; =>This Inner Loop Header: Depth=1
	ds_read2_b64 v[60:63], v57 offset1:1
	s_waitcnt lgkmcnt(1)
	v_xor_b32_e32 v65, 0x80000000, v45
	v_xor_b32_e32 v67, 0x80000000, v47
	v_cmp_gt_f64_e32 vcc, 0, v[46:47]
	v_cmp_gt_f64_e64 s[0:1], 0, v[44:45]
	v_mov_b32_e32 v64, v44
	v_mov_b32_e32 v66, v46
	v_cndmask_b32_e64 v65, v45, v65, s[0:1]
	v_cndmask_b32_e32 v67, v47, v67, vcc
	v_add_f64 v[64:65], v[64:65], v[66:67]
	s_waitcnt lgkmcnt(0)
	v_xor_b32_e32 v67, 0x80000000, v61
	v_xor_b32_e32 v69, 0x80000000, v63
	v_cmp_gt_f64_e32 vcc, 0, v[62:63]
	v_cmp_gt_f64_e64 s[0:1], 0, v[60:61]
	v_mov_b32_e32 v66, v60
	v_mov_b32_e32 v68, v62
	v_cndmask_b32_e64 v67, v61, v67, s[0:1]
	v_cndmask_b32_e32 v69, v63, v69, vcc
	v_add_f64 v[66:67], v[66:67], v[68:69]
	v_mov_b32_e32 v70, s16
	s_add_i32 s16, s16, 1
	v_cmp_lt_f64_e32 vcc, v[64:65], v[66:67]
	v_add_u32_e32 v57, 16, v57
	s_cmp_lg_u32 s20, s16
	v_cndmask_b32_e32 v45, v45, v61, vcc
	v_cndmask_b32_e32 v44, v44, v60, vcc
	v_cndmask_b32_e32 v47, v47, v63, vcc
	v_cndmask_b32_e32 v46, v46, v62, vcc
	v_cndmask_b32_e32 v54, v54, v70, vcc
	s_cbranch_scc1 .LBB20_148
.LBB20_149:
	s_waitcnt lgkmcnt(0)
	v_cmp_eq_f64_e32 vcc, 0, v[44:45]
	v_cmp_eq_f64_e64 s[0:1], 0, v[46:47]
	s_and_b64 s[0:1], vcc, s[0:1]
	s_and_saveexec_b64 s[16:17], s[0:1]
	s_xor_b64 s[0:1], exec, s[16:17]
; %bb.150:
	v_cmp_ne_u32_e32 vcc, 0, v59
	s_nop 1
	v_cndmask_b32_e32 v59, 8, v59, vcc
; %bb.151:
	s_andn2_saveexec_b64 s[0:1], s[0:1]
	s_cbranch_execz .LBB20_157
; %bb.152:
	v_cmp_ngt_f64_e64 s[16:17], |v[44:45]|, |v[46:47]|
	s_and_saveexec_b64 s[18:19], s[16:17]
	s_xor_b64 s[16:17], exec, s[18:19]
	s_cbranch_execz .LBB20_154
; %bb.153:
	v_div_scale_f64 v[60:61], s[18:19], v[46:47], v[46:47], v[44:45]
	v_rcp_f64_e32 v[62:63], v[60:61]
	v_div_scale_f64 v[64:65], vcc, v[44:45], v[46:47], v[44:45]
	v_fma_f64 v[66:67], -v[60:61], v[62:63], 1.0
	v_fmac_f64_e32 v[62:63], v[62:63], v[66:67]
	v_fma_f64 v[66:67], -v[60:61], v[62:63], 1.0
	v_fmac_f64_e32 v[62:63], v[62:63], v[66:67]
	v_mul_f64 v[66:67], v[64:65], v[62:63]
	v_fma_f64 v[60:61], -v[60:61], v[66:67], v[64:65]
	v_div_fmas_f64 v[60:61], v[60:61], v[62:63], v[66:67]
	v_div_fixup_f64 v[60:61], v[60:61], v[46:47], v[44:45]
	v_fmac_f64_e32 v[46:47], v[44:45], v[60:61]
	v_div_scale_f64 v[44:45], s[18:19], v[46:47], v[46:47], 1.0
	v_rcp_f64_e32 v[62:63], v[44:45]
	s_nop 0
	v_fma_f64 v[64:65], -v[44:45], v[62:63], 1.0
	v_fmac_f64_e32 v[62:63], v[62:63], v[64:65]
	v_fma_f64 v[64:65], -v[44:45], v[62:63], 1.0
	v_fmac_f64_e32 v[62:63], v[62:63], v[64:65]
	v_div_scale_f64 v[64:65], vcc, 1.0, v[46:47], 1.0
	v_mul_f64 v[66:67], v[64:65], v[62:63]
	v_fma_f64 v[44:45], -v[44:45], v[66:67], v[64:65]
	s_nop 1
	v_div_fmas_f64 v[44:45], v[44:45], v[62:63], v[66:67]
	v_div_fixup_f64 v[46:47], v[44:45], v[46:47], 1.0
	v_mul_f64 v[44:45], v[60:61], v[46:47]
	v_xor_b32_e32 v47, 0x80000000, v47
.LBB20_154:
	s_andn2_saveexec_b64 s[16:17], s[16:17]
	s_cbranch_execz .LBB20_156
; %bb.155:
	v_div_scale_f64 v[60:61], s[18:19], v[44:45], v[44:45], v[46:47]
	v_rcp_f64_e32 v[62:63], v[60:61]
	v_div_scale_f64 v[64:65], vcc, v[46:47], v[44:45], v[46:47]
	v_fma_f64 v[66:67], -v[60:61], v[62:63], 1.0
	v_fmac_f64_e32 v[62:63], v[62:63], v[66:67]
	v_fma_f64 v[66:67], -v[60:61], v[62:63], 1.0
	v_fmac_f64_e32 v[62:63], v[62:63], v[66:67]
	v_mul_f64 v[66:67], v[64:65], v[62:63]
	v_fma_f64 v[60:61], -v[60:61], v[66:67], v[64:65]
	v_div_fmas_f64 v[60:61], v[60:61], v[62:63], v[66:67]
	v_div_fixup_f64 v[60:61], v[60:61], v[44:45], v[46:47]
	v_fmac_f64_e32 v[44:45], v[46:47], v[60:61]
	v_div_scale_f64 v[46:47], s[18:19], v[44:45], v[44:45], 1.0
	v_rcp_f64_e32 v[62:63], v[46:47]
	s_nop 0
	v_fma_f64 v[64:65], -v[46:47], v[62:63], 1.0
	v_fmac_f64_e32 v[62:63], v[62:63], v[64:65]
	v_fma_f64 v[64:65], -v[46:47], v[62:63], 1.0
	v_fmac_f64_e32 v[62:63], v[62:63], v[64:65]
	v_div_scale_f64 v[64:65], vcc, 1.0, v[44:45], 1.0
	v_mul_f64 v[66:67], v[64:65], v[62:63]
	v_fma_f64 v[46:47], -v[46:47], v[66:67], v[64:65]
	s_nop 1
	v_div_fmas_f64 v[46:47], v[46:47], v[62:63], v[66:67]
	v_div_fixup_f64 v[44:45], v[46:47], v[44:45], 1.0
	v_mul_f64 v[46:47], v[60:61], -v[44:45]
.LBB20_156:
	s_or_b64 exec, exec, s[16:17]
.LBB20_157:
	s_or_b64 exec, exec, s[0:1]
	v_cmp_ne_u32_e32 vcc, v55, v54
	s_and_saveexec_b64 s[0:1], vcc
	s_xor_b64 s[0:1], exec, s[0:1]
	s_cbranch_execz .LBB20_163
; %bb.158:
	v_cmp_eq_u32_e32 vcc, 7, v55
	s_and_saveexec_b64 s[16:17], vcc
	s_cbranch_execz .LBB20_162
; %bb.159:
	v_cmp_ne_u32_e32 vcc, 7, v54
	s_xor_b64 s[18:19], s[14:15], -1
	s_and_b64 s[22:23], s[18:19], vcc
	s_and_saveexec_b64 s[18:19], s[22:23]
	s_cbranch_execz .LBB20_161
; %bb.160:
	v_ashrrev_i32_e32 v55, 31, v54
	v_lshl_add_u64 v[60:61], v[54:55], 2, v[52:53]
	global_load_dword v55, v[60:61], off
	global_load_dword v57, v[52:53], off offset:28
	s_waitcnt vmcnt(1)
	global_store_dword v[52:53], v55, off offset:28
	s_waitcnt vmcnt(1)
	global_store_dword v[60:61], v57, off
.LBB20_161:
	s_or_b64 exec, exec, s[18:19]
	v_mov_b32_e32 v55, v54
	v_mov_b32_e32 v58, v54
.LBB20_162:
	s_or_b64 exec, exec, s[16:17]
.LBB20_163:
	s_andn2_saveexec_b64 s[0:1], s[0:1]
	s_cbranch_execz .LBB20_165
; %bb.164:
	v_mov_b32_e32 v55, 7
	s_waitcnt vmcnt(2)
	ds_write2_b64 v56, v[8:9], v[10:11] offset0:16 offset1:17
	s_waitcnt vmcnt(1)
	ds_write2_b64 v56, v[0:1], v[2:3] offset0:18 offset1:19
	;; [unrolled: 2-line block ×3, first 2 shown]
.LBB20_165:
	s_or_b64 exec, exec, s[0:1]
	v_cmp_lt_i32_e32 vcc, 7, v55
	s_waitcnt lgkmcnt(0)
	s_barrier
	s_and_saveexec_b64 s[0:1], vcc
	s_cbranch_execz .LBB20_167
; %bb.166:
	ds_read2_b64 v[60:63], v56 offset0:16 offset1:17
	v_mul_f64 v[64:65], v[44:45], v[6:7]
	v_fmac_f64_e32 v[64:65], v[46:47], v[4:5]
	v_mul_f64 v[6:7], v[46:47], v[6:7]
	v_fma_f64 v[4:5], v[44:45], v[4:5], -v[6:7]
	ds_read2_b64 v[44:47], v56 offset0:18 offset1:19
	s_waitcnt lgkmcnt(1)
	v_mul_f64 v[6:7], v[62:63], v[64:65]
	v_fma_f64 v[6:7], v[60:61], v[4:5], -v[6:7]
	v_mul_f64 v[60:61], v[60:61], v[64:65]
	v_fmac_f64_e32 v[60:61], v[62:63], v[4:5]
	s_waitcnt vmcnt(2)
	v_add_f64 v[10:11], v[10:11], -v[60:61]
	ds_read2_b64 v[60:63], v56 offset0:20 offset1:21
	v_add_f64 v[8:9], v[8:9], -v[6:7]
	s_waitcnt lgkmcnt(1)
	v_mul_f64 v[6:7], v[46:47], v[64:65]
	v_fma_f64 v[6:7], v[44:45], v[4:5], -v[6:7]
	v_mul_f64 v[44:45], v[44:45], v[64:65]
	v_fmac_f64_e32 v[44:45], v[46:47], v[4:5]
	s_waitcnt vmcnt(1)
	v_add_f64 v[0:1], v[0:1], -v[6:7]
	v_add_f64 v[2:3], v[2:3], -v[44:45]
	s_waitcnt lgkmcnt(0)
	v_mul_f64 v[6:7], v[62:63], v[64:65]
	v_mul_f64 v[44:45], v[60:61], v[64:65]
	v_fma_f64 v[6:7], v[60:61], v[4:5], -v[6:7]
	v_fmac_f64_e32 v[44:45], v[62:63], v[4:5]
	s_waitcnt vmcnt(0)
	v_add_f64 v[40:41], v[40:41], -v[6:7]
	v_add_f64 v[42:43], v[42:43], -v[44:45]
	v_mov_b64_e32 v[6:7], v[64:65]
.LBB20_167:
	s_or_b64 exec, exec, s[0:1]
	v_lshl_add_u32 v44, v55, 4, v56
	s_barrier
	s_waitcnt vmcnt(2)
	ds_write2_b64 v44, v[8:9], v[10:11] offset1:1
	s_waitcnt lgkmcnt(0)
	s_barrier
	ds_read2_b64 v[44:47], v56 offset0:16 offset1:17
	s_cmp_lt_i32 s20, 10
	v_mov_b32_e32 v54, 8
	s_cbranch_scc1 .LBB20_170
; %bb.168:
	v_add_u32_e32 v57, 0x90, v56
	s_mov_b32 s16, 9
	v_mov_b32_e32 v54, 8
.LBB20_169:                             ; =>This Inner Loop Header: Depth=1
	ds_read2_b64 v[60:63], v57 offset1:1
	s_waitcnt lgkmcnt(1)
	v_xor_b32_e32 v65, 0x80000000, v45
	v_xor_b32_e32 v67, 0x80000000, v47
	v_cmp_gt_f64_e32 vcc, 0, v[46:47]
	v_cmp_gt_f64_e64 s[0:1], 0, v[44:45]
	v_mov_b32_e32 v64, v44
	v_mov_b32_e32 v66, v46
	v_cndmask_b32_e64 v65, v45, v65, s[0:1]
	v_cndmask_b32_e32 v67, v47, v67, vcc
	v_add_f64 v[64:65], v[64:65], v[66:67]
	s_waitcnt lgkmcnt(0)
	v_xor_b32_e32 v67, 0x80000000, v61
	v_xor_b32_e32 v69, 0x80000000, v63
	v_cmp_gt_f64_e32 vcc, 0, v[62:63]
	v_cmp_gt_f64_e64 s[0:1], 0, v[60:61]
	v_mov_b32_e32 v66, v60
	v_mov_b32_e32 v68, v62
	v_cndmask_b32_e64 v67, v61, v67, s[0:1]
	v_cndmask_b32_e32 v69, v63, v69, vcc
	v_add_f64 v[66:67], v[66:67], v[68:69]
	v_mov_b32_e32 v70, s16
	s_add_i32 s16, s16, 1
	v_cmp_lt_f64_e32 vcc, v[64:65], v[66:67]
	v_add_u32_e32 v57, 16, v57
	s_cmp_lg_u32 s20, s16
	v_cndmask_b32_e32 v45, v45, v61, vcc
	v_cndmask_b32_e32 v44, v44, v60, vcc
	;; [unrolled: 1-line block ×5, first 2 shown]
	s_cbranch_scc1 .LBB20_169
.LBB20_170:
	s_waitcnt lgkmcnt(0)
	v_cmp_eq_f64_e32 vcc, 0, v[44:45]
	v_cmp_eq_f64_e64 s[0:1], 0, v[46:47]
	s_and_b64 s[0:1], vcc, s[0:1]
	s_and_saveexec_b64 s[16:17], s[0:1]
	s_xor_b64 s[0:1], exec, s[16:17]
; %bb.171:
	v_cmp_ne_u32_e32 vcc, 0, v59
	s_nop 1
	v_cndmask_b32_e32 v59, 9, v59, vcc
; %bb.172:
	s_andn2_saveexec_b64 s[0:1], s[0:1]
	s_cbranch_execz .LBB20_178
; %bb.173:
	v_cmp_ngt_f64_e64 s[16:17], |v[44:45]|, |v[46:47]|
	s_and_saveexec_b64 s[18:19], s[16:17]
	s_xor_b64 s[16:17], exec, s[18:19]
	s_cbranch_execz .LBB20_175
; %bb.174:
	v_div_scale_f64 v[60:61], s[18:19], v[46:47], v[46:47], v[44:45]
	v_rcp_f64_e32 v[62:63], v[60:61]
	v_div_scale_f64 v[64:65], vcc, v[44:45], v[46:47], v[44:45]
	v_fma_f64 v[66:67], -v[60:61], v[62:63], 1.0
	v_fmac_f64_e32 v[62:63], v[62:63], v[66:67]
	v_fma_f64 v[66:67], -v[60:61], v[62:63], 1.0
	v_fmac_f64_e32 v[62:63], v[62:63], v[66:67]
	v_mul_f64 v[66:67], v[64:65], v[62:63]
	v_fma_f64 v[60:61], -v[60:61], v[66:67], v[64:65]
	v_div_fmas_f64 v[60:61], v[60:61], v[62:63], v[66:67]
	v_div_fixup_f64 v[60:61], v[60:61], v[46:47], v[44:45]
	v_fmac_f64_e32 v[46:47], v[44:45], v[60:61]
	v_div_scale_f64 v[44:45], s[18:19], v[46:47], v[46:47], 1.0
	v_rcp_f64_e32 v[62:63], v[44:45]
	s_nop 0
	v_fma_f64 v[64:65], -v[44:45], v[62:63], 1.0
	v_fmac_f64_e32 v[62:63], v[62:63], v[64:65]
	v_fma_f64 v[64:65], -v[44:45], v[62:63], 1.0
	v_fmac_f64_e32 v[62:63], v[62:63], v[64:65]
	v_div_scale_f64 v[64:65], vcc, 1.0, v[46:47], 1.0
	v_mul_f64 v[66:67], v[64:65], v[62:63]
	v_fma_f64 v[44:45], -v[44:45], v[66:67], v[64:65]
	s_nop 1
	v_div_fmas_f64 v[44:45], v[44:45], v[62:63], v[66:67]
	v_div_fixup_f64 v[46:47], v[44:45], v[46:47], 1.0
	v_mul_f64 v[44:45], v[60:61], v[46:47]
	v_xor_b32_e32 v47, 0x80000000, v47
.LBB20_175:
	s_andn2_saveexec_b64 s[16:17], s[16:17]
	s_cbranch_execz .LBB20_177
; %bb.176:
	v_div_scale_f64 v[60:61], s[18:19], v[44:45], v[44:45], v[46:47]
	v_rcp_f64_e32 v[62:63], v[60:61]
	v_div_scale_f64 v[64:65], vcc, v[46:47], v[44:45], v[46:47]
	v_fma_f64 v[66:67], -v[60:61], v[62:63], 1.0
	v_fmac_f64_e32 v[62:63], v[62:63], v[66:67]
	v_fma_f64 v[66:67], -v[60:61], v[62:63], 1.0
	v_fmac_f64_e32 v[62:63], v[62:63], v[66:67]
	v_mul_f64 v[66:67], v[64:65], v[62:63]
	v_fma_f64 v[60:61], -v[60:61], v[66:67], v[64:65]
	v_div_fmas_f64 v[60:61], v[60:61], v[62:63], v[66:67]
	v_div_fixup_f64 v[60:61], v[60:61], v[44:45], v[46:47]
	v_fmac_f64_e32 v[44:45], v[46:47], v[60:61]
	v_div_scale_f64 v[46:47], s[18:19], v[44:45], v[44:45], 1.0
	v_rcp_f64_e32 v[62:63], v[46:47]
	s_nop 0
	v_fma_f64 v[64:65], -v[46:47], v[62:63], 1.0
	v_fmac_f64_e32 v[62:63], v[62:63], v[64:65]
	v_fma_f64 v[64:65], -v[46:47], v[62:63], 1.0
	v_fmac_f64_e32 v[62:63], v[62:63], v[64:65]
	v_div_scale_f64 v[64:65], vcc, 1.0, v[44:45], 1.0
	v_mul_f64 v[66:67], v[64:65], v[62:63]
	v_fma_f64 v[46:47], -v[46:47], v[66:67], v[64:65]
	s_nop 1
	v_div_fmas_f64 v[46:47], v[46:47], v[62:63], v[66:67]
	v_div_fixup_f64 v[44:45], v[46:47], v[44:45], 1.0
	v_mul_f64 v[46:47], v[60:61], -v[44:45]
.LBB20_177:
	s_or_b64 exec, exec, s[16:17]
.LBB20_178:
	s_or_b64 exec, exec, s[0:1]
	v_cmp_ne_u32_e32 vcc, v55, v54
	s_and_saveexec_b64 s[0:1], vcc
	s_xor_b64 s[0:1], exec, s[0:1]
	s_cbranch_execz .LBB20_184
; %bb.179:
	v_cmp_eq_u32_e32 vcc, 8, v55
	s_and_saveexec_b64 s[16:17], vcc
	s_cbranch_execz .LBB20_183
; %bb.180:
	v_cmp_ne_u32_e32 vcc, 8, v54
	s_xor_b64 s[18:19], s[14:15], -1
	s_and_b64 s[22:23], s[18:19], vcc
	s_and_saveexec_b64 s[18:19], s[22:23]
	s_cbranch_execz .LBB20_182
; %bb.181:
	v_ashrrev_i32_e32 v55, 31, v54
	v_lshl_add_u64 v[60:61], v[54:55], 2, v[52:53]
	global_load_dword v55, v[60:61], off
	global_load_dword v57, v[52:53], off offset:32
	s_waitcnt vmcnt(1)
	global_store_dword v[52:53], v55, off offset:32
	s_waitcnt vmcnt(1)
	global_store_dword v[60:61], v57, off
.LBB20_182:
	s_or_b64 exec, exec, s[18:19]
	v_mov_b32_e32 v55, v54
	v_mov_b32_e32 v58, v54
.LBB20_183:
	s_or_b64 exec, exec, s[16:17]
.LBB20_184:
	s_andn2_saveexec_b64 s[0:1], s[0:1]
	s_cbranch_execz .LBB20_186
; %bb.185:
	v_mov_b32_e32 v55, 8
	s_waitcnt vmcnt(1)
	ds_write2_b64 v56, v[0:1], v[2:3] offset0:18 offset1:19
	s_waitcnt vmcnt(0)
	ds_write2_b64 v56, v[40:41], v[42:43] offset0:20 offset1:21
.LBB20_186:
	s_or_b64 exec, exec, s[0:1]
	v_cmp_lt_i32_e32 vcc, 8, v55
	s_waitcnt lgkmcnt(0)
	s_barrier
	s_and_saveexec_b64 s[0:1], vcc
	s_cbranch_execz .LBB20_188
; %bb.187:
	ds_read2_b64 v[60:63], v56 offset0:18 offset1:19
	v_mul_f64 v[64:65], v[44:45], v[10:11]
	v_mul_f64 v[10:11], v[46:47], v[10:11]
	v_fmac_f64_e32 v[64:65], v[46:47], v[8:9]
	v_fma_f64 v[8:9], v[44:45], v[8:9], -v[10:11]
	ds_read2_b64 v[44:47], v56 offset0:20 offset1:21
	s_waitcnt lgkmcnt(1)
	v_mul_f64 v[10:11], v[62:63], v[64:65]
	v_fma_f64 v[10:11], v[60:61], v[8:9], -v[10:11]
	s_waitcnt vmcnt(1)
	v_add_f64 v[0:1], v[0:1], -v[10:11]
	v_mul_f64 v[60:61], v[60:61], v[64:65]
	s_waitcnt lgkmcnt(0)
	v_mul_f64 v[10:11], v[46:47], v[64:65]
	v_fma_f64 v[10:11], v[44:45], v[8:9], -v[10:11]
	v_mul_f64 v[44:45], v[44:45], v[64:65]
	v_fmac_f64_e32 v[60:61], v[62:63], v[8:9]
	v_fmac_f64_e32 v[44:45], v[46:47], v[8:9]
	v_add_f64 v[2:3], v[2:3], -v[60:61]
	s_waitcnt vmcnt(0)
	v_add_f64 v[40:41], v[40:41], -v[10:11]
	v_add_f64 v[42:43], v[42:43], -v[44:45]
	v_mov_b64_e32 v[10:11], v[64:65]
.LBB20_188:
	s_or_b64 exec, exec, s[0:1]
	v_lshl_add_u32 v44, v55, 4, v56
	s_barrier
	s_waitcnt vmcnt(1)
	ds_write2_b64 v44, v[0:1], v[2:3] offset1:1
	s_waitcnt lgkmcnt(0)
	s_barrier
	ds_read2_b64 v[44:47], v56 offset0:18 offset1:19
	s_cmp_lt_i32 s20, 11
	v_mov_b32_e32 v54, 9
	s_cbranch_scc1 .LBB20_191
; %bb.189:
	v_add_u32_e32 v57, 0xa0, v56
	s_mov_b32 s16, 10
	v_mov_b32_e32 v54, 9
.LBB20_190:                             ; =>This Inner Loop Header: Depth=1
	ds_read2_b64 v[60:63], v57 offset1:1
	s_waitcnt lgkmcnt(1)
	v_xor_b32_e32 v65, 0x80000000, v45
	v_xor_b32_e32 v67, 0x80000000, v47
	v_cmp_gt_f64_e32 vcc, 0, v[46:47]
	v_cmp_gt_f64_e64 s[0:1], 0, v[44:45]
	v_mov_b32_e32 v64, v44
	v_mov_b32_e32 v66, v46
	v_cndmask_b32_e64 v65, v45, v65, s[0:1]
	v_cndmask_b32_e32 v67, v47, v67, vcc
	v_add_f64 v[64:65], v[64:65], v[66:67]
	s_waitcnt lgkmcnt(0)
	v_xor_b32_e32 v67, 0x80000000, v61
	v_xor_b32_e32 v69, 0x80000000, v63
	v_cmp_gt_f64_e32 vcc, 0, v[62:63]
	v_cmp_gt_f64_e64 s[0:1], 0, v[60:61]
	v_mov_b32_e32 v66, v60
	v_mov_b32_e32 v68, v62
	v_cndmask_b32_e64 v67, v61, v67, s[0:1]
	v_cndmask_b32_e32 v69, v63, v69, vcc
	v_add_f64 v[66:67], v[66:67], v[68:69]
	v_mov_b32_e32 v70, s16
	s_add_i32 s16, s16, 1
	v_cmp_lt_f64_e32 vcc, v[64:65], v[66:67]
	v_add_u32_e32 v57, 16, v57
	s_cmp_lg_u32 s20, s16
	v_cndmask_b32_e32 v45, v45, v61, vcc
	v_cndmask_b32_e32 v44, v44, v60, vcc
	;; [unrolled: 1-line block ×5, first 2 shown]
	s_cbranch_scc1 .LBB20_190
.LBB20_191:
	s_waitcnt lgkmcnt(0)
	v_cmp_eq_f64_e32 vcc, 0, v[44:45]
	v_cmp_eq_f64_e64 s[0:1], 0, v[46:47]
	s_and_b64 s[0:1], vcc, s[0:1]
	s_and_saveexec_b64 s[16:17], s[0:1]
	s_xor_b64 s[0:1], exec, s[16:17]
; %bb.192:
	v_cmp_ne_u32_e32 vcc, 0, v59
	s_nop 1
	v_cndmask_b32_e32 v59, 10, v59, vcc
; %bb.193:
	s_andn2_saveexec_b64 s[0:1], s[0:1]
	s_cbranch_execz .LBB20_199
; %bb.194:
	v_cmp_ngt_f64_e64 s[16:17], |v[44:45]|, |v[46:47]|
	s_and_saveexec_b64 s[18:19], s[16:17]
	s_xor_b64 s[16:17], exec, s[18:19]
	s_cbranch_execz .LBB20_196
; %bb.195:
	v_div_scale_f64 v[60:61], s[18:19], v[46:47], v[46:47], v[44:45]
	v_rcp_f64_e32 v[62:63], v[60:61]
	v_div_scale_f64 v[64:65], vcc, v[44:45], v[46:47], v[44:45]
	v_fma_f64 v[66:67], -v[60:61], v[62:63], 1.0
	v_fmac_f64_e32 v[62:63], v[62:63], v[66:67]
	v_fma_f64 v[66:67], -v[60:61], v[62:63], 1.0
	v_fmac_f64_e32 v[62:63], v[62:63], v[66:67]
	v_mul_f64 v[66:67], v[64:65], v[62:63]
	v_fma_f64 v[60:61], -v[60:61], v[66:67], v[64:65]
	v_div_fmas_f64 v[60:61], v[60:61], v[62:63], v[66:67]
	v_div_fixup_f64 v[60:61], v[60:61], v[46:47], v[44:45]
	v_fmac_f64_e32 v[46:47], v[44:45], v[60:61]
	v_div_scale_f64 v[44:45], s[18:19], v[46:47], v[46:47], 1.0
	v_rcp_f64_e32 v[62:63], v[44:45]
	s_nop 0
	v_fma_f64 v[64:65], -v[44:45], v[62:63], 1.0
	v_fmac_f64_e32 v[62:63], v[62:63], v[64:65]
	v_fma_f64 v[64:65], -v[44:45], v[62:63], 1.0
	v_fmac_f64_e32 v[62:63], v[62:63], v[64:65]
	v_div_scale_f64 v[64:65], vcc, 1.0, v[46:47], 1.0
	v_mul_f64 v[66:67], v[64:65], v[62:63]
	v_fma_f64 v[44:45], -v[44:45], v[66:67], v[64:65]
	s_nop 1
	v_div_fmas_f64 v[44:45], v[44:45], v[62:63], v[66:67]
	v_div_fixup_f64 v[46:47], v[44:45], v[46:47], 1.0
	v_mul_f64 v[44:45], v[60:61], v[46:47]
	v_xor_b32_e32 v47, 0x80000000, v47
.LBB20_196:
	s_andn2_saveexec_b64 s[16:17], s[16:17]
	s_cbranch_execz .LBB20_198
; %bb.197:
	v_div_scale_f64 v[60:61], s[18:19], v[44:45], v[44:45], v[46:47]
	v_rcp_f64_e32 v[62:63], v[60:61]
	v_div_scale_f64 v[64:65], vcc, v[46:47], v[44:45], v[46:47]
	v_fma_f64 v[66:67], -v[60:61], v[62:63], 1.0
	v_fmac_f64_e32 v[62:63], v[62:63], v[66:67]
	v_fma_f64 v[66:67], -v[60:61], v[62:63], 1.0
	v_fmac_f64_e32 v[62:63], v[62:63], v[66:67]
	v_mul_f64 v[66:67], v[64:65], v[62:63]
	v_fma_f64 v[60:61], -v[60:61], v[66:67], v[64:65]
	v_div_fmas_f64 v[60:61], v[60:61], v[62:63], v[66:67]
	v_div_fixup_f64 v[60:61], v[60:61], v[44:45], v[46:47]
	v_fmac_f64_e32 v[44:45], v[46:47], v[60:61]
	v_div_scale_f64 v[46:47], s[18:19], v[44:45], v[44:45], 1.0
	v_rcp_f64_e32 v[62:63], v[46:47]
	s_nop 0
	v_fma_f64 v[64:65], -v[46:47], v[62:63], 1.0
	v_fmac_f64_e32 v[62:63], v[62:63], v[64:65]
	v_fma_f64 v[64:65], -v[46:47], v[62:63], 1.0
	v_fmac_f64_e32 v[62:63], v[62:63], v[64:65]
	v_div_scale_f64 v[64:65], vcc, 1.0, v[44:45], 1.0
	v_mul_f64 v[66:67], v[64:65], v[62:63]
	v_fma_f64 v[46:47], -v[46:47], v[66:67], v[64:65]
	s_nop 1
	v_div_fmas_f64 v[46:47], v[46:47], v[62:63], v[66:67]
	v_div_fixup_f64 v[44:45], v[46:47], v[44:45], 1.0
	v_mul_f64 v[46:47], v[60:61], -v[44:45]
.LBB20_198:
	s_or_b64 exec, exec, s[16:17]
.LBB20_199:
	s_or_b64 exec, exec, s[0:1]
	v_cmp_ne_u32_e32 vcc, v55, v54
	s_and_saveexec_b64 s[0:1], vcc
	s_xor_b64 s[0:1], exec, s[0:1]
	s_cbranch_execz .LBB20_205
; %bb.200:
	v_cmp_eq_u32_e32 vcc, 9, v55
	s_and_saveexec_b64 s[16:17], vcc
	s_cbranch_execz .LBB20_204
; %bb.201:
	v_cmp_ne_u32_e32 vcc, 9, v54
	s_xor_b64 s[18:19], s[14:15], -1
	s_and_b64 s[22:23], s[18:19], vcc
	s_and_saveexec_b64 s[18:19], s[22:23]
	s_cbranch_execz .LBB20_203
; %bb.202:
	v_ashrrev_i32_e32 v55, 31, v54
	v_lshl_add_u64 v[60:61], v[54:55], 2, v[52:53]
	global_load_dword v55, v[60:61], off
	global_load_dword v57, v[52:53], off offset:36
	s_waitcnt vmcnt(1)
	global_store_dword v[52:53], v55, off offset:36
	s_waitcnt vmcnt(1)
	global_store_dword v[60:61], v57, off
.LBB20_203:
	s_or_b64 exec, exec, s[18:19]
	v_mov_b32_e32 v55, v54
	v_mov_b32_e32 v58, v54
.LBB20_204:
	s_or_b64 exec, exec, s[16:17]
.LBB20_205:
	s_andn2_saveexec_b64 s[0:1], s[0:1]
	s_cbranch_execz .LBB20_207
; %bb.206:
	v_mov_b32_e32 v55, 9
	s_waitcnt vmcnt(0)
	ds_write2_b64 v56, v[40:41], v[42:43] offset0:20 offset1:21
.LBB20_207:
	s_or_b64 exec, exec, s[0:1]
	v_cmp_lt_i32_e32 vcc, 9, v55
	s_waitcnt lgkmcnt(0)
	s_barrier
	s_and_saveexec_b64 s[0:1], vcc
	s_cbranch_execz .LBB20_209
; %bb.208:
	ds_read2_b64 v[60:63], v56 offset0:20 offset1:21
	v_mul_f64 v[64:65], v[44:45], v[2:3]
	v_mul_f64 v[2:3], v[46:47], v[2:3]
	v_fmac_f64_e32 v[64:65], v[46:47], v[0:1]
	v_fma_f64 v[0:1], v[44:45], v[0:1], -v[2:3]
	s_waitcnt lgkmcnt(0)
	v_mul_f64 v[2:3], v[62:63], v[64:65]
	v_mul_f64 v[44:45], v[60:61], v[64:65]
	v_fma_f64 v[2:3], v[60:61], v[0:1], -v[2:3]
	v_fmac_f64_e32 v[44:45], v[62:63], v[0:1]
	s_waitcnt vmcnt(0)
	v_add_f64 v[40:41], v[40:41], -v[2:3]
	v_add_f64 v[42:43], v[42:43], -v[44:45]
	v_mov_b64_e32 v[2:3], v[64:65]
.LBB20_209:
	s_or_b64 exec, exec, s[0:1]
	v_lshl_add_u32 v44, v55, 4, v56
	s_barrier
	s_waitcnt vmcnt(0)
	ds_write2_b64 v44, v[40:41], v[42:43] offset1:1
	s_waitcnt lgkmcnt(0)
	s_barrier
	ds_read2_b64 v[44:47], v56 offset0:20 offset1:21
	s_cmp_lt_i32 s20, 12
	v_mov_b32_e32 v54, 10
	s_cbranch_scc1 .LBB20_212
; %bb.210:
	v_add_u32_e32 v56, 0xb0, v56
	s_mov_b32 s16, 11
	v_mov_b32_e32 v54, 10
.LBB20_211:                             ; =>This Inner Loop Header: Depth=1
	ds_read2_b64 v[60:63], v56 offset1:1
	s_waitcnt lgkmcnt(1)
	v_xor_b32_e32 v57, 0x80000000, v45
	v_xor_b32_e32 v67, 0x80000000, v47
	v_cmp_gt_f64_e32 vcc, 0, v[46:47]
	v_cmp_gt_f64_e64 s[0:1], 0, v[44:45]
	v_mov_b32_e32 v64, v44
	v_mov_b32_e32 v66, v46
	v_cndmask_b32_e64 v65, v45, v57, s[0:1]
	v_cndmask_b32_e32 v67, v47, v67, vcc
	s_waitcnt lgkmcnt(0)
	v_xor_b32_e32 v57, 0x80000000, v61
	v_xor_b32_e32 v69, 0x80000000, v63
	v_cmp_gt_f64_e32 vcc, 0, v[62:63]
	v_cmp_gt_f64_e64 s[0:1], 0, v[60:61]
	v_add_f64 v[64:65], v[64:65], v[66:67]
	v_mov_b32_e32 v66, v60
	v_mov_b32_e32 v68, v62
	v_cndmask_b32_e64 v67, v61, v57, s[0:1]
	v_cndmask_b32_e32 v69, v63, v69, vcc
	v_add_f64 v[66:67], v[66:67], v[68:69]
	v_mov_b32_e32 v70, s16
	s_add_i32 s16, s16, 1
	v_cmp_lt_f64_e32 vcc, v[64:65], v[66:67]
	v_add_u32_e32 v56, 16, v56
	s_cmp_lg_u32 s20, s16
	v_cndmask_b32_e32 v45, v45, v61, vcc
	v_cndmask_b32_e32 v44, v44, v60, vcc
	;; [unrolled: 1-line block ×5, first 2 shown]
	s_cbranch_scc1 .LBB20_211
.LBB20_212:
	s_waitcnt lgkmcnt(0)
	v_cmp_eq_f64_e32 vcc, 0, v[44:45]
	v_cmp_eq_f64_e64 s[0:1], 0, v[46:47]
	s_and_b64 s[0:1], vcc, s[0:1]
	s_and_saveexec_b64 s[16:17], s[0:1]
	s_xor_b64 s[0:1], exec, s[16:17]
; %bb.213:
	v_cmp_ne_u32_e32 vcc, 0, v59
	s_nop 1
	v_cndmask_b32_e32 v59, 11, v59, vcc
; %bb.214:
	s_andn2_saveexec_b64 s[0:1], s[0:1]
	s_cbranch_execz .LBB20_220
; %bb.215:
	v_cmp_ngt_f64_e64 s[16:17], |v[44:45]|, |v[46:47]|
	s_and_saveexec_b64 s[18:19], s[16:17]
	s_xor_b64 s[16:17], exec, s[18:19]
	s_cbranch_execz .LBB20_217
; %bb.216:
	v_div_scale_f64 v[56:57], s[18:19], v[46:47], v[46:47], v[44:45]
	v_rcp_f64_e32 v[60:61], v[56:57]
	v_div_scale_f64 v[62:63], vcc, v[44:45], v[46:47], v[44:45]
	v_fma_f64 v[64:65], -v[56:57], v[60:61], 1.0
	v_fmac_f64_e32 v[60:61], v[60:61], v[64:65]
	v_fma_f64 v[64:65], -v[56:57], v[60:61], 1.0
	v_fmac_f64_e32 v[60:61], v[60:61], v[64:65]
	v_mul_f64 v[64:65], v[62:63], v[60:61]
	v_fma_f64 v[56:57], -v[56:57], v[64:65], v[62:63]
	v_div_fmas_f64 v[56:57], v[56:57], v[60:61], v[64:65]
	v_div_fixup_f64 v[56:57], v[56:57], v[46:47], v[44:45]
	v_fmac_f64_e32 v[46:47], v[44:45], v[56:57]
	v_div_scale_f64 v[44:45], s[18:19], v[46:47], v[46:47], 1.0
	v_rcp_f64_e32 v[60:61], v[44:45]
	s_nop 0
	v_fma_f64 v[62:63], -v[44:45], v[60:61], 1.0
	v_fmac_f64_e32 v[60:61], v[60:61], v[62:63]
	v_fma_f64 v[62:63], -v[44:45], v[60:61], 1.0
	v_fmac_f64_e32 v[60:61], v[60:61], v[62:63]
	v_div_scale_f64 v[62:63], vcc, 1.0, v[46:47], 1.0
	v_mul_f64 v[64:65], v[62:63], v[60:61]
	v_fma_f64 v[44:45], -v[44:45], v[64:65], v[62:63]
	s_nop 1
	v_div_fmas_f64 v[44:45], v[44:45], v[60:61], v[64:65]
	v_div_fixup_f64 v[46:47], v[44:45], v[46:47], 1.0
	v_mul_f64 v[44:45], v[56:57], v[46:47]
	v_xor_b32_e32 v47, 0x80000000, v47
.LBB20_217:
	s_andn2_saveexec_b64 s[16:17], s[16:17]
	s_cbranch_execz .LBB20_219
; %bb.218:
	v_div_scale_f64 v[56:57], s[18:19], v[44:45], v[44:45], v[46:47]
	v_rcp_f64_e32 v[60:61], v[56:57]
	v_div_scale_f64 v[62:63], vcc, v[46:47], v[44:45], v[46:47]
	v_fma_f64 v[64:65], -v[56:57], v[60:61], 1.0
	v_fmac_f64_e32 v[60:61], v[60:61], v[64:65]
	v_fma_f64 v[64:65], -v[56:57], v[60:61], 1.0
	v_fmac_f64_e32 v[60:61], v[60:61], v[64:65]
	v_mul_f64 v[64:65], v[62:63], v[60:61]
	v_fma_f64 v[56:57], -v[56:57], v[64:65], v[62:63]
	v_div_fmas_f64 v[56:57], v[56:57], v[60:61], v[64:65]
	v_div_fixup_f64 v[56:57], v[56:57], v[44:45], v[46:47]
	v_fmac_f64_e32 v[44:45], v[46:47], v[56:57]
	v_div_scale_f64 v[46:47], s[18:19], v[44:45], v[44:45], 1.0
	v_rcp_f64_e32 v[60:61], v[46:47]
	s_nop 0
	v_fma_f64 v[62:63], -v[46:47], v[60:61], 1.0
	v_fmac_f64_e32 v[60:61], v[60:61], v[62:63]
	v_fma_f64 v[62:63], -v[46:47], v[60:61], 1.0
	v_fmac_f64_e32 v[60:61], v[60:61], v[62:63]
	v_div_scale_f64 v[62:63], vcc, 1.0, v[44:45], 1.0
	v_mul_f64 v[64:65], v[62:63], v[60:61]
	v_fma_f64 v[46:47], -v[46:47], v[64:65], v[62:63]
	s_nop 1
	v_div_fmas_f64 v[46:47], v[46:47], v[60:61], v[64:65]
	v_div_fixup_f64 v[44:45], v[46:47], v[44:45], 1.0
	v_mul_f64 v[46:47], v[56:57], -v[44:45]
.LBB20_219:
	s_or_b64 exec, exec, s[16:17]
.LBB20_220:
	s_or_b64 exec, exec, s[0:1]
	v_cmp_ne_u32_e32 vcc, v55, v54
	v_mov_b32_e32 v56, 10
	s_and_saveexec_b64 s[0:1], vcc
	s_cbranch_execz .LBB20_226
; %bb.221:
	v_cmp_eq_u32_e32 vcc, 10, v55
	s_and_saveexec_b64 s[16:17], vcc
	s_cbranch_execz .LBB20_225
; %bb.222:
	v_cmp_ne_u32_e32 vcc, 10, v54
	s_xor_b64 s[14:15], s[14:15], -1
	s_and_b64 s[18:19], s[14:15], vcc
	s_and_saveexec_b64 s[14:15], s[18:19]
	s_cbranch_execz .LBB20_224
; %bb.223:
	v_ashrrev_i32_e32 v55, 31, v54
	v_lshl_add_u64 v[56:57], v[54:55], 2, v[52:53]
	global_load_dword v55, v[56:57], off
	global_load_dword v58, v[52:53], off offset:40
	s_waitcnt vmcnt(1)
	global_store_dword v[52:53], v55, off offset:40
	s_waitcnt vmcnt(1)
	global_store_dword v[56:57], v58, off
.LBB20_224:
	s_or_b64 exec, exec, s[14:15]
	v_mov_b32_e32 v55, v54
	v_mov_b32_e32 v58, v54
.LBB20_225:
	s_or_b64 exec, exec, s[16:17]
	v_mov_b32_e32 v56, v55
.LBB20_226:
	s_or_b64 exec, exec, s[0:1]
	v_cmp_gt_i32_e32 vcc, 11, v56
	v_ashrrev_i32_e32 v57, 31, v56
	s_barrier
	s_barrier
	s_and_saveexec_b64 s[0:1], vcc
	s_cbranch_execz .LBB20_228
; %bb.227:
	v_mov_b32_e32 v52, s6
	v_mov_b32_e32 v53, s7
	v_mul_lo_u32 v60, s11, v50
	v_mul_lo_u32 v61, s10, v51
	v_mad_u64_u32 v[54:55], s[6:7], s10, v50, 0
	v_add3_u32 v55, v55, v61, v60
	v_lshl_add_u64 v[52:53], v[54:55], 2, v[52:53]
	v_lshl_add_u64 v[52:53], s[8:9], 2, v[52:53]
	;; [unrolled: 1-line block ×3, first 2 shown]
	v_add3_u32 v54, v58, s13, 1
	global_store_dword v[52:53], v54, off
.LBB20_228:
	s_or_b64 exec, exec, s[0:1]
	v_cmp_eq_u32_e32 vcc, 0, v56
	s_and_saveexec_b64 s[6:7], vcc
	s_cbranch_execz .LBB20_231
; %bb.229:
	v_mov_b32_e32 v52, s4
	v_mov_b32_e32 v53, s5
	v_lshl_add_u64 v[50:51], v[50:51], 2, v[52:53]
	global_load_dword v52, v[50:51], off
	v_cmp_ne_u32_e64 s[0:1], 0, v59
	s_waitcnt vmcnt(0)
	v_cmp_eq_u32_e32 vcc, 0, v52
	s_and_b64 s[0:1], vcc, s[0:1]
	s_and_b64 exec, exec, s[0:1]
	s_cbranch_execz .LBB20_231
; %bb.230:
	v_add_u32_e32 v52, s13, v59
	global_store_dword v[50:51], v52, off
.LBB20_231:
	s_or_b64 exec, exec, s[6:7]
	v_mul_f64 v[50:51], v[46:47], v[42:43]
	v_fma_f64 v[50:51], v[44:45], v[40:41], -v[50:51]
	v_mul_f64 v[44:45], v[44:45], v[42:43]
	v_fmac_f64_e32 v[44:45], v[46:47], v[40:41]
	v_cmp_lt_i32_e32 vcc, 10, v56
	s_nop 1
	v_cndmask_b32_e32 v43, v43, v45, vcc
	v_cndmask_b32_e32 v42, v42, v44, vcc
	v_lshl_add_u64 v[44:45], v[56:57], 4, v[48:49]
	global_store_dwordx4 v[44:45], v[32:35], off
	v_cndmask_b32_e32 v41, v41, v51, vcc
	v_cndmask_b32_e32 v40, v40, v50, vcc
	v_lshl_add_u64 v[32:33], s[2:3], 4, v[44:45]
	global_store_dwordx4 v[32:33], v[28:31], off
	s_nop 1
	v_add_u32_e32 v28, s12, v56
	v_ashrrev_i32_e32 v29, 31, v28
	v_lshl_add_u64 v[30:31], v[28:29], 4, v[48:49]
	v_add_u32_e32 v28, s2, v28
	v_ashrrev_i32_e32 v29, 31, v28
	global_store_dwordx4 v[30:31], v[36:39], off
	v_lshl_add_u64 v[30:31], v[28:29], 4, v[48:49]
	global_store_dwordx4 v[30:31], v[20:23], off
	s_nop 1
	v_add_u32_e32 v20, s2, v28
	v_ashrrev_i32_e32 v21, 31, v20
	v_lshl_add_u64 v[22:23], v[20:21], 4, v[48:49]
	v_add_u32_e32 v20, s2, v20
	v_ashrrev_i32_e32 v21, 31, v20
	global_store_dwordx4 v[22:23], v[24:27], off
	;; [unrolled: 9-line block ×4, first 2 shown]
	v_lshl_add_u64 v[6:7], v[4:5], 4, v[48:49]
	global_store_dwordx4 v[6:7], v[0:3], off
	s_nop 1
	v_add_u32_e32 v0, s2, v4
	v_ashrrev_i32_e32 v1, 31, v0
	v_lshl_add_u64 v[0:1], v[0:1], 4, v[48:49]
	global_store_dwordx4 v[0:1], v[40:43], off
.LBB20_232:
	s_endpgm
	.section	.rodata,"a",@progbits
	.p2align	6, 0x0
	.amdhsa_kernel _ZN9rocsolver6v33100L18getf2_small_kernelILi11E19rocblas_complex_numIdEiiPS3_EEvT1_T3_lS5_lPS5_llPT2_S5_S5_S7_l
		.amdhsa_group_segment_fixed_size 0
		.amdhsa_private_segment_fixed_size 0
		.amdhsa_kernarg_size 352
		.amdhsa_user_sgpr_count 2
		.amdhsa_user_sgpr_dispatch_ptr 0
		.amdhsa_user_sgpr_queue_ptr 0
		.amdhsa_user_sgpr_kernarg_segment_ptr 1
		.amdhsa_user_sgpr_dispatch_id 0
		.amdhsa_user_sgpr_kernarg_preload_length 0
		.amdhsa_user_sgpr_kernarg_preload_offset 0
		.amdhsa_user_sgpr_private_segment_size 0
		.amdhsa_uses_dynamic_stack 0
		.amdhsa_enable_private_segment 0
		.amdhsa_system_sgpr_workgroup_id_x 1
		.amdhsa_system_sgpr_workgroup_id_y 1
		.amdhsa_system_sgpr_workgroup_id_z 0
		.amdhsa_system_sgpr_workgroup_info 0
		.amdhsa_system_vgpr_workitem_id 1
		.amdhsa_next_free_vgpr 73
		.amdhsa_next_free_sgpr 24
		.amdhsa_accum_offset 76
		.amdhsa_reserve_vcc 1
		.amdhsa_float_round_mode_32 0
		.amdhsa_float_round_mode_16_64 0
		.amdhsa_float_denorm_mode_32 3
		.amdhsa_float_denorm_mode_16_64 3
		.amdhsa_dx10_clamp 1
		.amdhsa_ieee_mode 1
		.amdhsa_fp16_overflow 0
		.amdhsa_tg_split 0
		.amdhsa_exception_fp_ieee_invalid_op 0
		.amdhsa_exception_fp_denorm_src 0
		.amdhsa_exception_fp_ieee_div_zero 0
		.amdhsa_exception_fp_ieee_overflow 0
		.amdhsa_exception_fp_ieee_underflow 0
		.amdhsa_exception_fp_ieee_inexact 0
		.amdhsa_exception_int_div_zero 0
	.end_amdhsa_kernel
	.section	.text._ZN9rocsolver6v33100L18getf2_small_kernelILi11E19rocblas_complex_numIdEiiPS3_EEvT1_T3_lS5_lPS5_llPT2_S5_S5_S7_l,"axG",@progbits,_ZN9rocsolver6v33100L18getf2_small_kernelILi11E19rocblas_complex_numIdEiiPS3_EEvT1_T3_lS5_lPS5_llPT2_S5_S5_S7_l,comdat
.Lfunc_end20:
	.size	_ZN9rocsolver6v33100L18getf2_small_kernelILi11E19rocblas_complex_numIdEiiPS3_EEvT1_T3_lS5_lPS5_llPT2_S5_S5_S7_l, .Lfunc_end20-_ZN9rocsolver6v33100L18getf2_small_kernelILi11E19rocblas_complex_numIdEiiPS3_EEvT1_T3_lS5_lPS5_llPT2_S5_S5_S7_l
                                        ; -- End function
	.set _ZN9rocsolver6v33100L18getf2_small_kernelILi11E19rocblas_complex_numIdEiiPS3_EEvT1_T3_lS5_lPS5_llPT2_S5_S5_S7_l.num_vgpr, 73
	.set _ZN9rocsolver6v33100L18getf2_small_kernelILi11E19rocblas_complex_numIdEiiPS3_EEvT1_T3_lS5_lPS5_llPT2_S5_S5_S7_l.num_agpr, 0
	.set _ZN9rocsolver6v33100L18getf2_small_kernelILi11E19rocblas_complex_numIdEiiPS3_EEvT1_T3_lS5_lPS5_llPT2_S5_S5_S7_l.numbered_sgpr, 24
	.set _ZN9rocsolver6v33100L18getf2_small_kernelILi11E19rocblas_complex_numIdEiiPS3_EEvT1_T3_lS5_lPS5_llPT2_S5_S5_S7_l.num_named_barrier, 0
	.set _ZN9rocsolver6v33100L18getf2_small_kernelILi11E19rocblas_complex_numIdEiiPS3_EEvT1_T3_lS5_lPS5_llPT2_S5_S5_S7_l.private_seg_size, 0
	.set _ZN9rocsolver6v33100L18getf2_small_kernelILi11E19rocblas_complex_numIdEiiPS3_EEvT1_T3_lS5_lPS5_llPT2_S5_S5_S7_l.uses_vcc, 1
	.set _ZN9rocsolver6v33100L18getf2_small_kernelILi11E19rocblas_complex_numIdEiiPS3_EEvT1_T3_lS5_lPS5_llPT2_S5_S5_S7_l.uses_flat_scratch, 0
	.set _ZN9rocsolver6v33100L18getf2_small_kernelILi11E19rocblas_complex_numIdEiiPS3_EEvT1_T3_lS5_lPS5_llPT2_S5_S5_S7_l.has_dyn_sized_stack, 0
	.set _ZN9rocsolver6v33100L18getf2_small_kernelILi11E19rocblas_complex_numIdEiiPS3_EEvT1_T3_lS5_lPS5_llPT2_S5_S5_S7_l.has_recursion, 0
	.set _ZN9rocsolver6v33100L18getf2_small_kernelILi11E19rocblas_complex_numIdEiiPS3_EEvT1_T3_lS5_lPS5_llPT2_S5_S5_S7_l.has_indirect_call, 0
	.section	.AMDGPU.csdata,"",@progbits
; Kernel info:
; codeLenInByte = 14416
; TotalNumSgprs: 30
; NumVgprs: 73
; NumAgprs: 0
; TotalNumVgprs: 73
; ScratchSize: 0
; MemoryBound: 0
; FloatMode: 240
; IeeeMode: 1
; LDSByteSize: 0 bytes/workgroup (compile time only)
; SGPRBlocks: 3
; VGPRBlocks: 9
; NumSGPRsForWavesPerEU: 30
; NumVGPRsForWavesPerEU: 73
; AccumOffset: 76
; Occupancy: 6
; WaveLimiterHint : 0
; COMPUTE_PGM_RSRC2:SCRATCH_EN: 0
; COMPUTE_PGM_RSRC2:USER_SGPR: 2
; COMPUTE_PGM_RSRC2:TRAP_HANDLER: 0
; COMPUTE_PGM_RSRC2:TGID_X_EN: 1
; COMPUTE_PGM_RSRC2:TGID_Y_EN: 1
; COMPUTE_PGM_RSRC2:TGID_Z_EN: 0
; COMPUTE_PGM_RSRC2:TIDIG_COMP_CNT: 1
; COMPUTE_PGM_RSRC3_GFX90A:ACCUM_OFFSET: 18
; COMPUTE_PGM_RSRC3_GFX90A:TG_SPLIT: 0
	.section	.text._ZN9rocsolver6v33100L23getf2_npvt_small_kernelILi11E19rocblas_complex_numIdEiiPS3_EEvT1_T3_lS5_lPT2_S5_S5_,"axG",@progbits,_ZN9rocsolver6v33100L23getf2_npvt_small_kernelILi11E19rocblas_complex_numIdEiiPS3_EEvT1_T3_lS5_lPT2_S5_S5_,comdat
	.globl	_ZN9rocsolver6v33100L23getf2_npvt_small_kernelILi11E19rocblas_complex_numIdEiiPS3_EEvT1_T3_lS5_lPT2_S5_S5_ ; -- Begin function _ZN9rocsolver6v33100L23getf2_npvt_small_kernelILi11E19rocblas_complex_numIdEiiPS3_EEvT1_T3_lS5_lPT2_S5_S5_
	.p2align	8
	.type	_ZN9rocsolver6v33100L23getf2_npvt_small_kernelILi11E19rocblas_complex_numIdEiiPS3_EEvT1_T3_lS5_lPT2_S5_S5_,@function
_ZN9rocsolver6v33100L23getf2_npvt_small_kernelILi11E19rocblas_complex_numIdEiiPS3_EEvT1_T3_lS5_lPT2_S5_S5_: ; @_ZN9rocsolver6v33100L23getf2_npvt_small_kernelILi11E19rocblas_complex_numIdEiiPS3_EEvT1_T3_lS5_lPT2_S5_S5_
; %bb.0:
	s_load_dword s2, s[0:1], 0x44
	s_load_dwordx2 s[44:45], s[0:1], 0x30
	v_bfe_u32 v44, v0, 10, 10
	s_waitcnt lgkmcnt(0)
	s_lshr_b32 s8, s2, 16
	s_mul_i32 s3, s3, s8
	v_add_u32_e32 v104, s3, v44
	v_cmp_gt_i32_e32 vcc, s44, v104
	s_and_saveexec_b64 s[2:3], vcc
	s_cbranch_execz .LBB21_102
; %bb.1:
	s_load_dwordx4 s[12:15], s[0:1], 0x8
	s_load_dword s2, s[0:1], 0x18
	s_load_dwordx4 s[4:7], s[0:1], 0x20
	v_and_b32_e32 v112, 0x3ff, v0
	v_ashrrev_i32_e32 v105, 31, v104
	s_waitcnt lgkmcnt(0)
	v_mov_b32_e32 v2, s12
	v_mov_b32_e32 v3, s13
	v_mad_u64_u32 v[0:1], s[0:1], s4, v104, 0
	v_mul_lo_u32 v4, s5, v104
	v_mul_lo_u32 v5, s4, v105
	s_add_i32 s0, s2, s2
	v_add3_u32 v1, v1, v5, v4
	v_add_u32_e32 v8, s0, v112
	v_lshl_add_u64 v[0:1], v[0:1], 4, v[2:3]
	v_add_u32_e32 v16, s2, v8
	v_lshl_add_u64 v[32:33], s[14:15], 4, v[0:1]
	v_ashrrev_i32_e32 v17, 31, v16
	v_lshl_add_u64 v[94:95], v[16:17], 4, v[32:33]
	v_add_u32_e32 v16, s2, v16
	v_add_u32_e32 v24, s2, v16
	v_ashrrev_i32_e32 v25, 31, v24
	v_lshl_add_u64 v[98:99], v[24:25], 4, v[32:33]
	v_add_u32_e32 v24, s2, v24
	v_add_u32_e32 v34, s2, v24
	v_ashrrev_i32_e32 v35, 31, v34
	v_lshl_add_u64 v[102:103], v[34:35], 4, v[32:33]
	v_add_u32_e32 v34, s2, v34
	v_ashrrev_i32_e32 v35, 31, v34
	v_lshl_add_u64 v[106:107], v[34:35], 4, v[32:33]
	v_add_u32_e32 v34, s2, v34
	v_ashrrev_i32_e32 v35, 31, v34
	v_lshlrev_b32_e32 v0, 4, v112
	v_mov_b32_e32 v1, 0
	v_ashrrev_i32_e32 v9, 31, v8
	v_ashrrev_i32_e32 v17, 31, v16
	;; [unrolled: 1-line block ×3, first 2 shown]
	v_lshl_add_u64 v[108:109], v[34:35], 4, v[32:33]
	v_add_u32_e32 v34, s2, v34
	s_ashr_i32 s3, s2, 31
	v_lshl_add_u64 v[88:89], v[32:33], 0, v[0:1]
	v_lshl_add_u64 v[92:93], v[8:9], 4, v[32:33]
	v_lshl_add_u64 v[96:97], v[16:17], 4, v[32:33]
	v_lshl_add_u64 v[100:101], v[24:25], 4, v[32:33]
	v_ashrrev_i32_e32 v35, 31, v34
	v_lshl_add_u64 v[90:91], s[2:3], 4, v[88:89]
	global_load_dwordx4 v[4:7], v[88:89], off
	global_load_dwordx4 v[0:3], v[90:91], off
	;; [unrolled: 1-line block ×8, first 2 shown]
	v_lshl_add_u64 v[110:111], v[34:35], 4, v[32:33]
	global_load_dwordx4 v[36:39], v[106:107], off
	global_load_dwordx4 v[32:35], v[108:109], off
	;; [unrolled: 1-line block ×3, first 2 shown]
	s_mulk_i32 s8, 0xb0
	s_movk_i32 s0, 0xb0
	s_add_i32 s1, s8, 0
	v_mad_u32_u24 v114, v44, s0, 0
	v_lshl_add_u32 v113, v44, 4, s1
	v_cmp_ne_u32_e64 s[2:3], 0, v112
	v_cmp_eq_u32_e64 s[0:1], 0, v112
	s_and_saveexec_b64 s[8:9], s[0:1]
	s_cbranch_execz .LBB21_8
; %bb.2:
	s_waitcnt vmcnt(10)
	ds_write2_b64 v113, v[4:5], v[6:7] offset1:1
	s_waitcnt vmcnt(9)
	ds_write2_b64 v114, v[0:1], v[2:3] offset0:2 offset1:3
	s_waitcnt vmcnt(8)
	ds_write2_b64 v114, v[12:13], v[14:15] offset0:4 offset1:5
	;; [unrolled: 2-line block ×10, first 2 shown]
	ds_read2_b64 v[44:47], v113 offset1:1
	s_waitcnt lgkmcnt(0)
	v_cmp_neq_f64_e32 vcc, 0, v[44:45]
	v_cmp_neq_f64_e64 s[4:5], 0, v[46:47]
	s_or_b64 s[4:5], vcc, s[4:5]
	s_and_b64 exec, exec, s[4:5]
	s_cbranch_execz .LBB21_8
; %bb.3:
	v_cmp_ngt_f64_e64 s[4:5], |v[44:45]|, |v[46:47]|
                                        ; implicit-def: $vgpr48_vgpr49
	s_and_saveexec_b64 s[10:11], s[4:5]
	s_xor_b64 s[4:5], exec, s[10:11]
                                        ; implicit-def: $vgpr50_vgpr51
	s_cbranch_execz .LBB21_5
; %bb.4:
	v_div_scale_f64 v[48:49], s[10:11], v[46:47], v[46:47], v[44:45]
	v_rcp_f64_e32 v[50:51], v[48:49]
	v_div_scale_f64 v[52:53], vcc, v[44:45], v[46:47], v[44:45]
	v_fma_f64 v[54:55], -v[48:49], v[50:51], 1.0
	v_fmac_f64_e32 v[50:51], v[50:51], v[54:55]
	v_fma_f64 v[54:55], -v[48:49], v[50:51], 1.0
	v_fmac_f64_e32 v[50:51], v[50:51], v[54:55]
	v_mul_f64 v[54:55], v[52:53], v[50:51]
	v_fma_f64 v[48:49], -v[48:49], v[54:55], v[52:53]
	v_div_fmas_f64 v[48:49], v[48:49], v[50:51], v[54:55]
	v_div_fixup_f64 v[48:49], v[48:49], v[46:47], v[44:45]
	v_fmac_f64_e32 v[46:47], v[44:45], v[48:49]
	v_div_scale_f64 v[44:45], s[10:11], v[46:47], v[46:47], 1.0
	v_rcp_f64_e32 v[50:51], v[44:45]
	s_nop 0
	v_fma_f64 v[52:53], -v[44:45], v[50:51], 1.0
	v_fmac_f64_e32 v[50:51], v[50:51], v[52:53]
	v_fma_f64 v[52:53], -v[44:45], v[50:51], 1.0
	v_fmac_f64_e32 v[50:51], v[50:51], v[52:53]
	v_div_scale_f64 v[52:53], vcc, 1.0, v[46:47], 1.0
	v_mul_f64 v[54:55], v[52:53], v[50:51]
	v_fma_f64 v[44:45], -v[44:45], v[54:55], v[52:53]
	s_nop 1
	v_div_fmas_f64 v[44:45], v[44:45], v[50:51], v[54:55]
	v_div_fixup_f64 v[50:51], v[44:45], v[46:47], 1.0
	v_mul_f64 v[48:49], v[48:49], v[50:51]
	v_xor_b32_e32 v51, 0x80000000, v51
                                        ; implicit-def: $vgpr44_vgpr45
.LBB21_5:
	s_andn2_saveexec_b64 s[4:5], s[4:5]
	s_cbranch_execz .LBB21_7
; %bb.6:
	v_div_scale_f64 v[48:49], s[10:11], v[44:45], v[44:45], v[46:47]
	v_rcp_f64_e32 v[50:51], v[48:49]
	v_div_scale_f64 v[52:53], vcc, v[46:47], v[44:45], v[46:47]
	v_fma_f64 v[54:55], -v[48:49], v[50:51], 1.0
	v_fmac_f64_e32 v[50:51], v[50:51], v[54:55]
	v_fma_f64 v[54:55], -v[48:49], v[50:51], 1.0
	v_fmac_f64_e32 v[50:51], v[50:51], v[54:55]
	v_mul_f64 v[54:55], v[52:53], v[50:51]
	v_fma_f64 v[48:49], -v[48:49], v[54:55], v[52:53]
	v_div_fmas_f64 v[48:49], v[48:49], v[50:51], v[54:55]
	v_div_fixup_f64 v[50:51], v[48:49], v[44:45], v[46:47]
	v_fmac_f64_e32 v[44:45], v[46:47], v[50:51]
	v_div_scale_f64 v[46:47], s[10:11], v[44:45], v[44:45], 1.0
	v_rcp_f64_e32 v[48:49], v[46:47]
	s_nop 0
	v_fma_f64 v[52:53], -v[46:47], v[48:49], 1.0
	v_fmac_f64_e32 v[48:49], v[48:49], v[52:53]
	v_fma_f64 v[52:53], -v[46:47], v[48:49], 1.0
	v_fmac_f64_e32 v[48:49], v[48:49], v[52:53]
	v_div_scale_f64 v[52:53], vcc, 1.0, v[44:45], 1.0
	v_mul_f64 v[54:55], v[52:53], v[48:49]
	v_fma_f64 v[46:47], -v[46:47], v[54:55], v[52:53]
	s_nop 1
	v_div_fmas_f64 v[46:47], v[46:47], v[48:49], v[54:55]
	v_div_fixup_f64 v[48:49], v[46:47], v[44:45], 1.0
	v_mul_f64 v[50:51], v[50:51], -v[48:49]
.LBB21_7:
	s_or_b64 exec, exec, s[4:5]
	ds_write2_b64 v113, v[48:49], v[50:51] offset1:1
.LBB21_8:
	s_or_b64 exec, exec, s[8:9]
	s_waitcnt lgkmcnt(0)
	s_barrier
	ds_read2_b64 v[44:47], v113 offset1:1
	s_and_saveexec_b64 s[4:5], s[2:3]
	s_cbranch_execz .LBB21_10
; %bb.9:
	ds_read2_b64 v[48:51], v114 offset0:2 offset1:3
	ds_read2_b64 v[52:55], v114 offset0:4 offset1:5
	s_waitcnt vmcnt(10) lgkmcnt(2)
	v_mul_f64 v[56:57], v[44:45], v[6:7]
	v_fmac_f64_e32 v[56:57], v[46:47], v[4:5]
	v_mul_f64 v[6:7], v[46:47], v[6:7]
	v_fma_f64 v[4:5], v[44:45], v[4:5], -v[6:7]
	s_waitcnt lgkmcnt(1)
	v_mul_f64 v[6:7], v[50:51], v[56:57]
	v_fma_f64 v[6:7], v[48:49], v[4:5], -v[6:7]
	v_mul_f64 v[48:49], v[48:49], v[56:57]
	v_fmac_f64_e32 v[48:49], v[50:51], v[4:5]
	s_waitcnt vmcnt(9)
	v_add_f64 v[0:1], v[0:1], -v[6:7]
	v_add_f64 v[2:3], v[2:3], -v[48:49]
	s_waitcnt lgkmcnt(0)
	v_mul_f64 v[6:7], v[54:55], v[56:57]
	ds_read2_b64 v[48:51], v114 offset0:6 offset1:7
	v_fma_f64 v[6:7], v[52:53], v[4:5], -v[6:7]
	v_mul_f64 v[52:53], v[52:53], v[56:57]
	v_fmac_f64_e32 v[52:53], v[54:55], v[4:5]
	s_waitcnt vmcnt(8)
	v_add_f64 v[14:15], v[14:15], -v[52:53]
	ds_read2_b64 v[52:55], v114 offset0:8 offset1:9
	v_add_f64 v[12:13], v[12:13], -v[6:7]
	s_waitcnt lgkmcnt(1)
	v_mul_f64 v[6:7], v[50:51], v[56:57]
	v_fma_f64 v[6:7], v[48:49], v[4:5], -v[6:7]
	v_mul_f64 v[48:49], v[48:49], v[56:57]
	v_fmac_f64_e32 v[48:49], v[50:51], v[4:5]
	s_waitcnt vmcnt(7)
	v_add_f64 v[8:9], v[8:9], -v[6:7]
	v_add_f64 v[10:11], v[10:11], -v[48:49]
	s_waitcnt lgkmcnt(0)
	v_mul_f64 v[6:7], v[54:55], v[56:57]
	ds_read2_b64 v[48:51], v114 offset0:10 offset1:11
	v_fma_f64 v[6:7], v[52:53], v[4:5], -v[6:7]
	v_mul_f64 v[52:53], v[52:53], v[56:57]
	v_fmac_f64_e32 v[52:53], v[54:55], v[4:5]
	s_waitcnt vmcnt(6)
	v_add_f64 v[22:23], v[22:23], -v[52:53]
	ds_read2_b64 v[52:55], v114 offset0:12 offset1:13
	v_add_f64 v[20:21], v[20:21], -v[6:7]
	;; [unrolled: 18-line block ×4, first 2 shown]
	s_waitcnt lgkmcnt(1)
	v_mul_f64 v[6:7], v[50:51], v[56:57]
	v_fma_f64 v[6:7], v[48:49], v[4:5], -v[6:7]
	v_mul_f64 v[48:49], v[48:49], v[56:57]
	v_fmac_f64_e32 v[48:49], v[50:51], v[4:5]
	s_waitcnt vmcnt(1)
	v_add_f64 v[32:33], v[32:33], -v[6:7]
	v_add_f64 v[34:35], v[34:35], -v[48:49]
	s_waitcnt lgkmcnt(0)
	v_mul_f64 v[6:7], v[54:55], v[56:57]
	v_mul_f64 v[48:49], v[52:53], v[56:57]
	v_fma_f64 v[6:7], v[52:53], v[4:5], -v[6:7]
	v_fmac_f64_e32 v[48:49], v[54:55], v[4:5]
	s_waitcnt vmcnt(0)
	v_add_f64 v[40:41], v[40:41], -v[6:7]
	v_add_f64 v[42:43], v[42:43], -v[48:49]
	v_mov_b64_e32 v[6:7], v[56:57]
.LBB21_10:
	s_or_b64 exec, exec, s[4:5]
	v_cmp_eq_u32_e32 vcc, 1, v112
	s_waitcnt lgkmcnt(0)
	s_barrier
	s_and_saveexec_b64 s[4:5], vcc
	s_cbranch_execz .LBB21_17
; %bb.11:
	s_waitcnt vmcnt(9)
	ds_write2_b64 v113, v[0:1], v[2:3] offset1:1
	s_waitcnt vmcnt(8)
	ds_write2_b64 v114, v[12:13], v[14:15] offset0:4 offset1:5
	s_waitcnt vmcnt(7)
	ds_write2_b64 v114, v[8:9], v[10:11] offset0:6 offset1:7
	;; [unrolled: 2-line block ×9, first 2 shown]
	ds_read2_b64 v[48:51], v113 offset1:1
	s_waitcnt lgkmcnt(0)
	v_cmp_neq_f64_e32 vcc, 0, v[48:49]
	v_cmp_neq_f64_e64 s[2:3], 0, v[50:51]
	s_or_b64 s[2:3], vcc, s[2:3]
	s_and_b64 exec, exec, s[2:3]
	s_cbranch_execz .LBB21_17
; %bb.12:
	v_cmp_ngt_f64_e64 s[2:3], |v[48:49]|, |v[50:51]|
                                        ; implicit-def: $vgpr52_vgpr53
	s_and_saveexec_b64 s[8:9], s[2:3]
	s_xor_b64 s[2:3], exec, s[8:9]
                                        ; implicit-def: $vgpr54_vgpr55
	s_cbranch_execz .LBB21_14
; %bb.13:
	v_div_scale_f64 v[52:53], s[8:9], v[50:51], v[50:51], v[48:49]
	v_rcp_f64_e32 v[54:55], v[52:53]
	v_div_scale_f64 v[56:57], vcc, v[48:49], v[50:51], v[48:49]
	v_fma_f64 v[58:59], -v[52:53], v[54:55], 1.0
	v_fmac_f64_e32 v[54:55], v[54:55], v[58:59]
	v_fma_f64 v[58:59], -v[52:53], v[54:55], 1.0
	v_fmac_f64_e32 v[54:55], v[54:55], v[58:59]
	v_mul_f64 v[58:59], v[56:57], v[54:55]
	v_fma_f64 v[52:53], -v[52:53], v[58:59], v[56:57]
	v_div_fmas_f64 v[52:53], v[52:53], v[54:55], v[58:59]
	v_div_fixup_f64 v[52:53], v[52:53], v[50:51], v[48:49]
	v_fmac_f64_e32 v[50:51], v[48:49], v[52:53]
	v_div_scale_f64 v[48:49], s[8:9], v[50:51], v[50:51], 1.0
	v_rcp_f64_e32 v[54:55], v[48:49]
	s_nop 0
	v_fma_f64 v[56:57], -v[48:49], v[54:55], 1.0
	v_fmac_f64_e32 v[54:55], v[54:55], v[56:57]
	v_fma_f64 v[56:57], -v[48:49], v[54:55], 1.0
	v_fmac_f64_e32 v[54:55], v[54:55], v[56:57]
	v_div_scale_f64 v[56:57], vcc, 1.0, v[50:51], 1.0
	v_mul_f64 v[58:59], v[56:57], v[54:55]
	v_fma_f64 v[48:49], -v[48:49], v[58:59], v[56:57]
	s_nop 1
	v_div_fmas_f64 v[48:49], v[48:49], v[54:55], v[58:59]
	v_div_fixup_f64 v[54:55], v[48:49], v[50:51], 1.0
	v_mul_f64 v[52:53], v[52:53], v[54:55]
	v_xor_b32_e32 v55, 0x80000000, v55
                                        ; implicit-def: $vgpr48_vgpr49
.LBB21_14:
	s_andn2_saveexec_b64 s[2:3], s[2:3]
	s_cbranch_execz .LBB21_16
; %bb.15:
	v_div_scale_f64 v[52:53], s[8:9], v[48:49], v[48:49], v[50:51]
	v_rcp_f64_e32 v[54:55], v[52:53]
	v_div_scale_f64 v[56:57], vcc, v[50:51], v[48:49], v[50:51]
	v_fma_f64 v[58:59], -v[52:53], v[54:55], 1.0
	v_fmac_f64_e32 v[54:55], v[54:55], v[58:59]
	v_fma_f64 v[58:59], -v[52:53], v[54:55], 1.0
	v_fmac_f64_e32 v[54:55], v[54:55], v[58:59]
	v_mul_f64 v[58:59], v[56:57], v[54:55]
	v_fma_f64 v[52:53], -v[52:53], v[58:59], v[56:57]
	v_div_fmas_f64 v[52:53], v[52:53], v[54:55], v[58:59]
	v_div_fixup_f64 v[54:55], v[52:53], v[48:49], v[50:51]
	v_fmac_f64_e32 v[48:49], v[50:51], v[54:55]
	v_div_scale_f64 v[50:51], s[8:9], v[48:49], v[48:49], 1.0
	v_rcp_f64_e32 v[52:53], v[50:51]
	s_nop 0
	v_fma_f64 v[56:57], -v[50:51], v[52:53], 1.0
	v_fmac_f64_e32 v[52:53], v[52:53], v[56:57]
	v_fma_f64 v[56:57], -v[50:51], v[52:53], 1.0
	v_fmac_f64_e32 v[52:53], v[52:53], v[56:57]
	v_div_scale_f64 v[56:57], vcc, 1.0, v[48:49], 1.0
	v_mul_f64 v[58:59], v[56:57], v[52:53]
	v_fma_f64 v[50:51], -v[50:51], v[58:59], v[56:57]
	s_nop 1
	v_div_fmas_f64 v[50:51], v[50:51], v[52:53], v[58:59]
	v_div_fixup_f64 v[52:53], v[50:51], v[48:49], 1.0
	v_mul_f64 v[54:55], v[54:55], -v[52:53]
.LBB21_16:
	s_or_b64 exec, exec, s[2:3]
	ds_write2_b64 v113, v[52:53], v[54:55] offset1:1
.LBB21_17:
	s_or_b64 exec, exec, s[4:5]
	s_waitcnt lgkmcnt(0)
	s_barrier
	ds_read2_b64 v[48:51], v113 offset1:1
	v_cmp_lt_u32_e32 vcc, 1, v112
	s_and_saveexec_b64 s[2:3], vcc
	s_cbranch_execz .LBB21_19
; %bb.18:
	ds_read2_b64 v[52:55], v114 offset0:4 offset1:5
	ds_read2_b64 v[56:59], v114 offset0:6 offset1:7
	s_waitcnt vmcnt(9) lgkmcnt(2)
	v_mul_f64 v[60:61], v[48:49], v[2:3]
	v_fmac_f64_e32 v[60:61], v[50:51], v[0:1]
	v_mul_f64 v[2:3], v[50:51], v[2:3]
	v_fma_f64 v[0:1], v[48:49], v[0:1], -v[2:3]
	s_waitcnt lgkmcnt(1)
	v_mul_f64 v[2:3], v[54:55], v[60:61]
	v_fma_f64 v[2:3], v[52:53], v[0:1], -v[2:3]
	v_mul_f64 v[52:53], v[52:53], v[60:61]
	v_fmac_f64_e32 v[52:53], v[54:55], v[0:1]
	s_waitcnt vmcnt(8)
	v_add_f64 v[14:15], v[14:15], -v[52:53]
	ds_read2_b64 v[52:55], v114 offset0:8 offset1:9
	v_add_f64 v[12:13], v[12:13], -v[2:3]
	s_waitcnt lgkmcnt(1)
	v_mul_f64 v[2:3], v[58:59], v[60:61]
	v_fma_f64 v[2:3], v[56:57], v[0:1], -v[2:3]
	v_mul_f64 v[56:57], v[56:57], v[60:61]
	v_fmac_f64_e32 v[56:57], v[58:59], v[0:1]
	s_waitcnt vmcnt(7)
	v_add_f64 v[8:9], v[8:9], -v[2:3]
	v_add_f64 v[10:11], v[10:11], -v[56:57]
	ds_read2_b64 v[56:59], v114 offset0:10 offset1:11
	s_waitcnt lgkmcnt(1)
	v_mul_f64 v[2:3], v[54:55], v[60:61]
	v_fma_f64 v[2:3], v[52:53], v[0:1], -v[2:3]
	v_mul_f64 v[52:53], v[52:53], v[60:61]
	v_fmac_f64_e32 v[52:53], v[54:55], v[0:1]
	s_waitcnt vmcnt(6)
	v_add_f64 v[22:23], v[22:23], -v[52:53]
	ds_read2_b64 v[52:55], v114 offset0:12 offset1:13
	v_add_f64 v[20:21], v[20:21], -v[2:3]
	s_waitcnt lgkmcnt(1)
	v_mul_f64 v[2:3], v[58:59], v[60:61]
	v_fma_f64 v[2:3], v[56:57], v[0:1], -v[2:3]
	v_mul_f64 v[56:57], v[56:57], v[60:61]
	v_fmac_f64_e32 v[56:57], v[58:59], v[0:1]
	s_waitcnt vmcnt(5)
	v_add_f64 v[16:17], v[16:17], -v[2:3]
	v_add_f64 v[18:19], v[18:19], -v[56:57]
	ds_read2_b64 v[56:59], v114 offset0:14 offset1:15
	;; [unrolled: 18-line block ×3, first 2 shown]
	s_waitcnt lgkmcnt(1)
	v_mul_f64 v[2:3], v[54:55], v[60:61]
	v_fma_f64 v[2:3], v[52:53], v[0:1], -v[2:3]
	v_mul_f64 v[52:53], v[52:53], v[60:61]
	v_fmac_f64_e32 v[52:53], v[54:55], v[0:1]
	s_waitcnt vmcnt(2)
	v_add_f64 v[38:39], v[38:39], -v[52:53]
	ds_read2_b64 v[52:55], v114 offset0:20 offset1:21
	v_add_f64 v[36:37], v[36:37], -v[2:3]
	s_waitcnt lgkmcnt(1)
	v_mul_f64 v[2:3], v[58:59], v[60:61]
	v_fma_f64 v[2:3], v[56:57], v[0:1], -v[2:3]
	s_waitcnt vmcnt(1)
	v_add_f64 v[32:33], v[32:33], -v[2:3]
	s_waitcnt lgkmcnt(0)
	v_mul_f64 v[2:3], v[54:55], v[60:61]
	v_mul_f64 v[56:57], v[56:57], v[60:61]
	v_fma_f64 v[2:3], v[52:53], v[0:1], -v[2:3]
	v_mul_f64 v[52:53], v[52:53], v[60:61]
	v_fmac_f64_e32 v[56:57], v[58:59], v[0:1]
	v_fmac_f64_e32 v[52:53], v[54:55], v[0:1]
	v_add_f64 v[34:35], v[34:35], -v[56:57]
	s_waitcnt vmcnt(0)
	v_add_f64 v[40:41], v[40:41], -v[2:3]
	v_add_f64 v[42:43], v[42:43], -v[52:53]
	v_mov_b64_e32 v[2:3], v[60:61]
.LBB21_19:
	s_or_b64 exec, exec, s[2:3]
	v_cmp_eq_u32_e32 vcc, 2, v112
	s_waitcnt lgkmcnt(0)
	s_barrier
	s_and_saveexec_b64 s[4:5], vcc
	s_cbranch_execz .LBB21_26
; %bb.20:
	s_waitcnt vmcnt(8)
	ds_write2_b64 v113, v[12:13], v[14:15] offset1:1
	s_waitcnt vmcnt(7)
	ds_write2_b64 v114, v[8:9], v[10:11] offset0:6 offset1:7
	s_waitcnt vmcnt(6)
	ds_write2_b64 v114, v[20:21], v[22:23] offset0:8 offset1:9
	;; [unrolled: 2-line block ×8, first 2 shown]
	ds_read2_b64 v[52:55], v113 offset1:1
	s_waitcnt lgkmcnt(0)
	v_cmp_neq_f64_e32 vcc, 0, v[52:53]
	v_cmp_neq_f64_e64 s[2:3], 0, v[54:55]
	s_or_b64 s[2:3], vcc, s[2:3]
	s_and_b64 exec, exec, s[2:3]
	s_cbranch_execz .LBB21_26
; %bb.21:
	v_cmp_ngt_f64_e64 s[2:3], |v[52:53]|, |v[54:55]|
                                        ; implicit-def: $vgpr56_vgpr57
	s_and_saveexec_b64 s[8:9], s[2:3]
	s_xor_b64 s[2:3], exec, s[8:9]
                                        ; implicit-def: $vgpr58_vgpr59
	s_cbranch_execz .LBB21_23
; %bb.22:
	v_div_scale_f64 v[56:57], s[8:9], v[54:55], v[54:55], v[52:53]
	v_rcp_f64_e32 v[58:59], v[56:57]
	v_div_scale_f64 v[60:61], vcc, v[52:53], v[54:55], v[52:53]
	v_fma_f64 v[62:63], -v[56:57], v[58:59], 1.0
	v_fmac_f64_e32 v[58:59], v[58:59], v[62:63]
	v_fma_f64 v[62:63], -v[56:57], v[58:59], 1.0
	v_fmac_f64_e32 v[58:59], v[58:59], v[62:63]
	v_mul_f64 v[62:63], v[60:61], v[58:59]
	v_fma_f64 v[56:57], -v[56:57], v[62:63], v[60:61]
	v_div_fmas_f64 v[56:57], v[56:57], v[58:59], v[62:63]
	v_div_fixup_f64 v[56:57], v[56:57], v[54:55], v[52:53]
	v_fmac_f64_e32 v[54:55], v[52:53], v[56:57]
	v_div_scale_f64 v[52:53], s[8:9], v[54:55], v[54:55], 1.0
	v_rcp_f64_e32 v[58:59], v[52:53]
	s_nop 0
	v_fma_f64 v[60:61], -v[52:53], v[58:59], 1.0
	v_fmac_f64_e32 v[58:59], v[58:59], v[60:61]
	v_fma_f64 v[60:61], -v[52:53], v[58:59], 1.0
	v_fmac_f64_e32 v[58:59], v[58:59], v[60:61]
	v_div_scale_f64 v[60:61], vcc, 1.0, v[54:55], 1.0
	v_mul_f64 v[62:63], v[60:61], v[58:59]
	v_fma_f64 v[52:53], -v[52:53], v[62:63], v[60:61]
	s_nop 1
	v_div_fmas_f64 v[52:53], v[52:53], v[58:59], v[62:63]
	v_div_fixup_f64 v[58:59], v[52:53], v[54:55], 1.0
	v_mul_f64 v[56:57], v[56:57], v[58:59]
	v_xor_b32_e32 v59, 0x80000000, v59
                                        ; implicit-def: $vgpr52_vgpr53
.LBB21_23:
	s_andn2_saveexec_b64 s[2:3], s[2:3]
	s_cbranch_execz .LBB21_25
; %bb.24:
	v_div_scale_f64 v[56:57], s[8:9], v[52:53], v[52:53], v[54:55]
	v_rcp_f64_e32 v[58:59], v[56:57]
	v_div_scale_f64 v[60:61], vcc, v[54:55], v[52:53], v[54:55]
	v_fma_f64 v[62:63], -v[56:57], v[58:59], 1.0
	v_fmac_f64_e32 v[58:59], v[58:59], v[62:63]
	v_fma_f64 v[62:63], -v[56:57], v[58:59], 1.0
	v_fmac_f64_e32 v[58:59], v[58:59], v[62:63]
	v_mul_f64 v[62:63], v[60:61], v[58:59]
	v_fma_f64 v[56:57], -v[56:57], v[62:63], v[60:61]
	v_div_fmas_f64 v[56:57], v[56:57], v[58:59], v[62:63]
	v_div_fixup_f64 v[58:59], v[56:57], v[52:53], v[54:55]
	v_fmac_f64_e32 v[52:53], v[54:55], v[58:59]
	v_div_scale_f64 v[54:55], s[8:9], v[52:53], v[52:53], 1.0
	v_rcp_f64_e32 v[56:57], v[54:55]
	s_nop 0
	v_fma_f64 v[60:61], -v[54:55], v[56:57], 1.0
	v_fmac_f64_e32 v[56:57], v[56:57], v[60:61]
	v_fma_f64 v[60:61], -v[54:55], v[56:57], 1.0
	v_fmac_f64_e32 v[56:57], v[56:57], v[60:61]
	v_div_scale_f64 v[60:61], vcc, 1.0, v[52:53], 1.0
	v_mul_f64 v[62:63], v[60:61], v[56:57]
	v_fma_f64 v[54:55], -v[54:55], v[62:63], v[60:61]
	s_nop 1
	v_div_fmas_f64 v[54:55], v[54:55], v[56:57], v[62:63]
	v_div_fixup_f64 v[56:57], v[54:55], v[52:53], 1.0
	v_mul_f64 v[58:59], v[58:59], -v[56:57]
.LBB21_25:
	s_or_b64 exec, exec, s[2:3]
	ds_write2_b64 v113, v[56:57], v[58:59] offset1:1
.LBB21_26:
	s_or_b64 exec, exec, s[4:5]
	s_waitcnt lgkmcnt(0)
	s_barrier
	ds_read2_b64 v[52:55], v113 offset1:1
	v_cmp_lt_u32_e32 vcc, 2, v112
	s_and_saveexec_b64 s[2:3], vcc
	s_cbranch_execz .LBB21_28
; %bb.27:
	ds_read2_b64 v[56:59], v114 offset0:6 offset1:7
	ds_read2_b64 v[60:63], v114 offset0:8 offset1:9
	s_waitcnt vmcnt(8) lgkmcnt(2)
	v_mul_f64 v[64:65], v[52:53], v[14:15]
	v_fmac_f64_e32 v[64:65], v[54:55], v[12:13]
	v_mul_f64 v[14:15], v[54:55], v[14:15]
	v_fma_f64 v[12:13], v[52:53], v[12:13], -v[14:15]
	s_waitcnt lgkmcnt(1)
	v_mul_f64 v[14:15], v[58:59], v[64:65]
	v_fma_f64 v[14:15], v[56:57], v[12:13], -v[14:15]
	v_mul_f64 v[56:57], v[56:57], v[64:65]
	v_fmac_f64_e32 v[56:57], v[58:59], v[12:13]
	s_waitcnt vmcnt(7)
	v_add_f64 v[8:9], v[8:9], -v[14:15]
	v_add_f64 v[10:11], v[10:11], -v[56:57]
	s_waitcnt lgkmcnt(0)
	v_mul_f64 v[14:15], v[62:63], v[64:65]
	ds_read2_b64 v[56:59], v114 offset0:10 offset1:11
	v_fma_f64 v[14:15], v[60:61], v[12:13], -v[14:15]
	v_mul_f64 v[60:61], v[60:61], v[64:65]
	v_fmac_f64_e32 v[60:61], v[62:63], v[12:13]
	s_waitcnt vmcnt(6)
	v_add_f64 v[22:23], v[22:23], -v[60:61]
	ds_read2_b64 v[60:63], v114 offset0:12 offset1:13
	v_add_f64 v[20:21], v[20:21], -v[14:15]
	s_waitcnt lgkmcnt(1)
	v_mul_f64 v[14:15], v[58:59], v[64:65]
	v_fma_f64 v[14:15], v[56:57], v[12:13], -v[14:15]
	v_mul_f64 v[56:57], v[56:57], v[64:65]
	v_fmac_f64_e32 v[56:57], v[58:59], v[12:13]
	s_waitcnt vmcnt(5)
	v_add_f64 v[16:17], v[16:17], -v[14:15]
	v_add_f64 v[18:19], v[18:19], -v[56:57]
	s_waitcnt lgkmcnt(0)
	v_mul_f64 v[14:15], v[62:63], v[64:65]
	ds_read2_b64 v[56:59], v114 offset0:14 offset1:15
	v_fma_f64 v[14:15], v[60:61], v[12:13], -v[14:15]
	v_mul_f64 v[60:61], v[60:61], v[64:65]
	v_fmac_f64_e32 v[60:61], v[62:63], v[12:13]
	s_waitcnt vmcnt(4)
	v_add_f64 v[30:31], v[30:31], -v[60:61]
	ds_read2_b64 v[60:63], v114 offset0:16 offset1:17
	v_add_f64 v[28:29], v[28:29], -v[14:15]
	s_waitcnt lgkmcnt(1)
	v_mul_f64 v[14:15], v[58:59], v[64:65]
	v_fma_f64 v[14:15], v[56:57], v[12:13], -v[14:15]
	v_mul_f64 v[56:57], v[56:57], v[64:65]
	v_fmac_f64_e32 v[56:57], v[58:59], v[12:13]
	s_waitcnt vmcnt(3)
	v_add_f64 v[24:25], v[24:25], -v[14:15]
	v_add_f64 v[26:27], v[26:27], -v[56:57]
	s_waitcnt lgkmcnt(0)
	v_mul_f64 v[14:15], v[62:63], v[64:65]
	ds_read2_b64 v[56:59], v114 offset0:18 offset1:19
	v_fma_f64 v[14:15], v[60:61], v[12:13], -v[14:15]
	v_mul_f64 v[60:61], v[60:61], v[64:65]
	v_fmac_f64_e32 v[60:61], v[62:63], v[12:13]
	s_waitcnt vmcnt(2)
	v_add_f64 v[38:39], v[38:39], -v[60:61]
	ds_read2_b64 v[60:63], v114 offset0:20 offset1:21
	v_add_f64 v[36:37], v[36:37], -v[14:15]
	s_waitcnt lgkmcnt(1)
	v_mul_f64 v[14:15], v[58:59], v[64:65]
	v_fma_f64 v[14:15], v[56:57], v[12:13], -v[14:15]
	v_mul_f64 v[56:57], v[56:57], v[64:65]
	v_fmac_f64_e32 v[56:57], v[58:59], v[12:13]
	s_waitcnt vmcnt(1)
	v_add_f64 v[32:33], v[32:33], -v[14:15]
	v_add_f64 v[34:35], v[34:35], -v[56:57]
	s_waitcnt lgkmcnt(0)
	v_mul_f64 v[14:15], v[62:63], v[64:65]
	v_mul_f64 v[56:57], v[60:61], v[64:65]
	v_fma_f64 v[14:15], v[60:61], v[12:13], -v[14:15]
	v_fmac_f64_e32 v[56:57], v[62:63], v[12:13]
	s_waitcnt vmcnt(0)
	v_add_f64 v[40:41], v[40:41], -v[14:15]
	v_add_f64 v[42:43], v[42:43], -v[56:57]
	v_mov_b64_e32 v[14:15], v[64:65]
.LBB21_28:
	s_or_b64 exec, exec, s[2:3]
	v_cmp_eq_u32_e32 vcc, 3, v112
	s_waitcnt lgkmcnt(0)
	s_barrier
	s_and_saveexec_b64 s[4:5], vcc
	s_cbranch_execz .LBB21_35
; %bb.29:
	s_waitcnt vmcnt(7)
	ds_write2_b64 v113, v[8:9], v[10:11] offset1:1
	s_waitcnt vmcnt(6)
	ds_write2_b64 v114, v[20:21], v[22:23] offset0:8 offset1:9
	s_waitcnt vmcnt(5)
	ds_write2_b64 v114, v[16:17], v[18:19] offset0:10 offset1:11
	;; [unrolled: 2-line block ×7, first 2 shown]
	ds_read2_b64 v[56:59], v113 offset1:1
	s_waitcnt lgkmcnt(0)
	v_cmp_neq_f64_e32 vcc, 0, v[56:57]
	v_cmp_neq_f64_e64 s[2:3], 0, v[58:59]
	s_or_b64 s[2:3], vcc, s[2:3]
	s_and_b64 exec, exec, s[2:3]
	s_cbranch_execz .LBB21_35
; %bb.30:
	v_cmp_ngt_f64_e64 s[2:3], |v[56:57]|, |v[58:59]|
                                        ; implicit-def: $vgpr60_vgpr61
	s_and_saveexec_b64 s[8:9], s[2:3]
	s_xor_b64 s[2:3], exec, s[8:9]
                                        ; implicit-def: $vgpr62_vgpr63
	s_cbranch_execz .LBB21_32
; %bb.31:
	v_div_scale_f64 v[60:61], s[8:9], v[58:59], v[58:59], v[56:57]
	v_rcp_f64_e32 v[62:63], v[60:61]
	v_div_scale_f64 v[64:65], vcc, v[56:57], v[58:59], v[56:57]
	v_fma_f64 v[66:67], -v[60:61], v[62:63], 1.0
	v_fmac_f64_e32 v[62:63], v[62:63], v[66:67]
	v_fma_f64 v[66:67], -v[60:61], v[62:63], 1.0
	v_fmac_f64_e32 v[62:63], v[62:63], v[66:67]
	v_mul_f64 v[66:67], v[64:65], v[62:63]
	v_fma_f64 v[60:61], -v[60:61], v[66:67], v[64:65]
	v_div_fmas_f64 v[60:61], v[60:61], v[62:63], v[66:67]
	v_div_fixup_f64 v[60:61], v[60:61], v[58:59], v[56:57]
	v_fmac_f64_e32 v[58:59], v[56:57], v[60:61]
	v_div_scale_f64 v[56:57], s[8:9], v[58:59], v[58:59], 1.0
	v_rcp_f64_e32 v[62:63], v[56:57]
	s_nop 0
	v_fma_f64 v[64:65], -v[56:57], v[62:63], 1.0
	v_fmac_f64_e32 v[62:63], v[62:63], v[64:65]
	v_fma_f64 v[64:65], -v[56:57], v[62:63], 1.0
	v_fmac_f64_e32 v[62:63], v[62:63], v[64:65]
	v_div_scale_f64 v[64:65], vcc, 1.0, v[58:59], 1.0
	v_mul_f64 v[66:67], v[64:65], v[62:63]
	v_fma_f64 v[56:57], -v[56:57], v[66:67], v[64:65]
	s_nop 1
	v_div_fmas_f64 v[56:57], v[56:57], v[62:63], v[66:67]
	v_div_fixup_f64 v[62:63], v[56:57], v[58:59], 1.0
	v_mul_f64 v[60:61], v[60:61], v[62:63]
	v_xor_b32_e32 v63, 0x80000000, v63
                                        ; implicit-def: $vgpr56_vgpr57
.LBB21_32:
	s_andn2_saveexec_b64 s[2:3], s[2:3]
	s_cbranch_execz .LBB21_34
; %bb.33:
	v_div_scale_f64 v[60:61], s[8:9], v[56:57], v[56:57], v[58:59]
	v_rcp_f64_e32 v[62:63], v[60:61]
	v_div_scale_f64 v[64:65], vcc, v[58:59], v[56:57], v[58:59]
	v_fma_f64 v[66:67], -v[60:61], v[62:63], 1.0
	v_fmac_f64_e32 v[62:63], v[62:63], v[66:67]
	v_fma_f64 v[66:67], -v[60:61], v[62:63], 1.0
	v_fmac_f64_e32 v[62:63], v[62:63], v[66:67]
	v_mul_f64 v[66:67], v[64:65], v[62:63]
	v_fma_f64 v[60:61], -v[60:61], v[66:67], v[64:65]
	v_div_fmas_f64 v[60:61], v[60:61], v[62:63], v[66:67]
	v_div_fixup_f64 v[62:63], v[60:61], v[56:57], v[58:59]
	v_fmac_f64_e32 v[56:57], v[58:59], v[62:63]
	v_div_scale_f64 v[58:59], s[8:9], v[56:57], v[56:57], 1.0
	v_rcp_f64_e32 v[60:61], v[58:59]
	s_nop 0
	v_fma_f64 v[64:65], -v[58:59], v[60:61], 1.0
	v_fmac_f64_e32 v[60:61], v[60:61], v[64:65]
	v_fma_f64 v[64:65], -v[58:59], v[60:61], 1.0
	v_fmac_f64_e32 v[60:61], v[60:61], v[64:65]
	v_div_scale_f64 v[64:65], vcc, 1.0, v[56:57], 1.0
	v_mul_f64 v[66:67], v[64:65], v[60:61]
	v_fma_f64 v[58:59], -v[58:59], v[66:67], v[64:65]
	s_nop 1
	v_div_fmas_f64 v[58:59], v[58:59], v[60:61], v[66:67]
	v_div_fixup_f64 v[60:61], v[58:59], v[56:57], 1.0
	v_mul_f64 v[62:63], v[62:63], -v[60:61]
.LBB21_34:
	s_or_b64 exec, exec, s[2:3]
	ds_write2_b64 v113, v[60:61], v[62:63] offset1:1
.LBB21_35:
	s_or_b64 exec, exec, s[4:5]
	s_waitcnt lgkmcnt(0)
	s_barrier
	ds_read2_b64 v[56:59], v113 offset1:1
	v_cmp_lt_u32_e32 vcc, 3, v112
	s_and_saveexec_b64 s[2:3], vcc
	s_cbranch_execz .LBB21_37
; %bb.36:
	ds_read2_b64 v[60:63], v114 offset0:8 offset1:9
	ds_read2_b64 v[64:67], v114 offset0:10 offset1:11
	s_waitcnt vmcnt(7) lgkmcnt(2)
	v_mul_f64 v[68:69], v[56:57], v[10:11]
	v_fmac_f64_e32 v[68:69], v[58:59], v[8:9]
	v_mul_f64 v[10:11], v[58:59], v[10:11]
	v_fma_f64 v[8:9], v[56:57], v[8:9], -v[10:11]
	s_waitcnt lgkmcnt(1)
	v_mul_f64 v[10:11], v[62:63], v[68:69]
	v_fma_f64 v[10:11], v[60:61], v[8:9], -v[10:11]
	v_mul_f64 v[60:61], v[60:61], v[68:69]
	v_fmac_f64_e32 v[60:61], v[62:63], v[8:9]
	s_waitcnt vmcnt(6)
	v_add_f64 v[22:23], v[22:23], -v[60:61]
	ds_read2_b64 v[60:63], v114 offset0:12 offset1:13
	v_add_f64 v[20:21], v[20:21], -v[10:11]
	s_waitcnt lgkmcnt(1)
	v_mul_f64 v[10:11], v[66:67], v[68:69]
	v_fma_f64 v[10:11], v[64:65], v[8:9], -v[10:11]
	v_mul_f64 v[64:65], v[64:65], v[68:69]
	v_fmac_f64_e32 v[64:65], v[66:67], v[8:9]
	s_waitcnt vmcnt(5)
	v_add_f64 v[16:17], v[16:17], -v[10:11]
	v_add_f64 v[18:19], v[18:19], -v[64:65]
	ds_read2_b64 v[64:67], v114 offset0:14 offset1:15
	s_waitcnt lgkmcnt(1)
	v_mul_f64 v[10:11], v[62:63], v[68:69]
	v_fma_f64 v[10:11], v[60:61], v[8:9], -v[10:11]
	v_mul_f64 v[60:61], v[60:61], v[68:69]
	v_fmac_f64_e32 v[60:61], v[62:63], v[8:9]
	s_waitcnt vmcnt(4)
	v_add_f64 v[30:31], v[30:31], -v[60:61]
	ds_read2_b64 v[60:63], v114 offset0:16 offset1:17
	v_add_f64 v[28:29], v[28:29], -v[10:11]
	s_waitcnt lgkmcnt(1)
	v_mul_f64 v[10:11], v[66:67], v[68:69]
	v_fma_f64 v[10:11], v[64:65], v[8:9], -v[10:11]
	v_mul_f64 v[64:65], v[64:65], v[68:69]
	v_fmac_f64_e32 v[64:65], v[66:67], v[8:9]
	s_waitcnt vmcnt(3)
	v_add_f64 v[24:25], v[24:25], -v[10:11]
	v_add_f64 v[26:27], v[26:27], -v[64:65]
	ds_read2_b64 v[64:67], v114 offset0:18 offset1:19
	s_waitcnt lgkmcnt(1)
	v_mul_f64 v[10:11], v[62:63], v[68:69]
	v_fma_f64 v[10:11], v[60:61], v[8:9], -v[10:11]
	v_mul_f64 v[60:61], v[60:61], v[68:69]
	v_fmac_f64_e32 v[60:61], v[62:63], v[8:9]
	s_waitcnt vmcnt(2)
	v_add_f64 v[38:39], v[38:39], -v[60:61]
	ds_read2_b64 v[60:63], v114 offset0:20 offset1:21
	v_add_f64 v[36:37], v[36:37], -v[10:11]
	s_waitcnt lgkmcnt(1)
	v_mul_f64 v[10:11], v[66:67], v[68:69]
	v_fma_f64 v[10:11], v[64:65], v[8:9], -v[10:11]
	s_waitcnt vmcnt(1)
	v_add_f64 v[32:33], v[32:33], -v[10:11]
	s_waitcnt lgkmcnt(0)
	v_mul_f64 v[10:11], v[62:63], v[68:69]
	v_mul_f64 v[64:65], v[64:65], v[68:69]
	v_fma_f64 v[10:11], v[60:61], v[8:9], -v[10:11]
	v_mul_f64 v[60:61], v[60:61], v[68:69]
	v_fmac_f64_e32 v[64:65], v[66:67], v[8:9]
	v_fmac_f64_e32 v[60:61], v[62:63], v[8:9]
	v_add_f64 v[34:35], v[34:35], -v[64:65]
	s_waitcnt vmcnt(0)
	v_add_f64 v[40:41], v[40:41], -v[10:11]
	v_add_f64 v[42:43], v[42:43], -v[60:61]
	v_mov_b64_e32 v[10:11], v[68:69]
.LBB21_37:
	s_or_b64 exec, exec, s[2:3]
	v_cmp_eq_u32_e32 vcc, 4, v112
	s_waitcnt lgkmcnt(0)
	s_barrier
	s_and_saveexec_b64 s[4:5], vcc
	s_cbranch_execz .LBB21_44
; %bb.38:
	s_waitcnt vmcnt(6)
	ds_write2_b64 v113, v[20:21], v[22:23] offset1:1
	s_waitcnt vmcnt(5)
	ds_write2_b64 v114, v[16:17], v[18:19] offset0:10 offset1:11
	s_waitcnt vmcnt(4)
	ds_write2_b64 v114, v[28:29], v[30:31] offset0:12 offset1:13
	;; [unrolled: 2-line block ×6, first 2 shown]
	ds_read2_b64 v[60:63], v113 offset1:1
	s_waitcnt lgkmcnt(0)
	v_cmp_neq_f64_e32 vcc, 0, v[60:61]
	v_cmp_neq_f64_e64 s[2:3], 0, v[62:63]
	s_or_b64 s[2:3], vcc, s[2:3]
	s_and_b64 exec, exec, s[2:3]
	s_cbranch_execz .LBB21_44
; %bb.39:
	v_cmp_ngt_f64_e64 s[2:3], |v[60:61]|, |v[62:63]|
                                        ; implicit-def: $vgpr64_vgpr65
	s_and_saveexec_b64 s[8:9], s[2:3]
	s_xor_b64 s[2:3], exec, s[8:9]
                                        ; implicit-def: $vgpr66_vgpr67
	s_cbranch_execz .LBB21_41
; %bb.40:
	v_div_scale_f64 v[64:65], s[8:9], v[62:63], v[62:63], v[60:61]
	v_rcp_f64_e32 v[66:67], v[64:65]
	v_div_scale_f64 v[68:69], vcc, v[60:61], v[62:63], v[60:61]
	v_fma_f64 v[70:71], -v[64:65], v[66:67], 1.0
	v_fmac_f64_e32 v[66:67], v[66:67], v[70:71]
	v_fma_f64 v[70:71], -v[64:65], v[66:67], 1.0
	v_fmac_f64_e32 v[66:67], v[66:67], v[70:71]
	v_mul_f64 v[70:71], v[68:69], v[66:67]
	v_fma_f64 v[64:65], -v[64:65], v[70:71], v[68:69]
	v_div_fmas_f64 v[64:65], v[64:65], v[66:67], v[70:71]
	v_div_fixup_f64 v[64:65], v[64:65], v[62:63], v[60:61]
	v_fmac_f64_e32 v[62:63], v[60:61], v[64:65]
	v_div_scale_f64 v[60:61], s[8:9], v[62:63], v[62:63], 1.0
	v_rcp_f64_e32 v[66:67], v[60:61]
	s_nop 0
	v_fma_f64 v[68:69], -v[60:61], v[66:67], 1.0
	v_fmac_f64_e32 v[66:67], v[66:67], v[68:69]
	v_fma_f64 v[68:69], -v[60:61], v[66:67], 1.0
	v_fmac_f64_e32 v[66:67], v[66:67], v[68:69]
	v_div_scale_f64 v[68:69], vcc, 1.0, v[62:63], 1.0
	v_mul_f64 v[70:71], v[68:69], v[66:67]
	v_fma_f64 v[60:61], -v[60:61], v[70:71], v[68:69]
	s_nop 1
	v_div_fmas_f64 v[60:61], v[60:61], v[66:67], v[70:71]
	v_div_fixup_f64 v[66:67], v[60:61], v[62:63], 1.0
	v_mul_f64 v[64:65], v[64:65], v[66:67]
	v_xor_b32_e32 v67, 0x80000000, v67
                                        ; implicit-def: $vgpr60_vgpr61
.LBB21_41:
	s_andn2_saveexec_b64 s[2:3], s[2:3]
	s_cbranch_execz .LBB21_43
; %bb.42:
	v_div_scale_f64 v[64:65], s[8:9], v[60:61], v[60:61], v[62:63]
	v_rcp_f64_e32 v[66:67], v[64:65]
	v_div_scale_f64 v[68:69], vcc, v[62:63], v[60:61], v[62:63]
	v_fma_f64 v[70:71], -v[64:65], v[66:67], 1.0
	v_fmac_f64_e32 v[66:67], v[66:67], v[70:71]
	v_fma_f64 v[70:71], -v[64:65], v[66:67], 1.0
	v_fmac_f64_e32 v[66:67], v[66:67], v[70:71]
	v_mul_f64 v[70:71], v[68:69], v[66:67]
	v_fma_f64 v[64:65], -v[64:65], v[70:71], v[68:69]
	v_div_fmas_f64 v[64:65], v[64:65], v[66:67], v[70:71]
	v_div_fixup_f64 v[66:67], v[64:65], v[60:61], v[62:63]
	v_fmac_f64_e32 v[60:61], v[62:63], v[66:67]
	v_div_scale_f64 v[62:63], s[8:9], v[60:61], v[60:61], 1.0
	v_rcp_f64_e32 v[64:65], v[62:63]
	s_nop 0
	v_fma_f64 v[68:69], -v[62:63], v[64:65], 1.0
	v_fmac_f64_e32 v[64:65], v[64:65], v[68:69]
	v_fma_f64 v[68:69], -v[62:63], v[64:65], 1.0
	v_fmac_f64_e32 v[64:65], v[64:65], v[68:69]
	v_div_scale_f64 v[68:69], vcc, 1.0, v[60:61], 1.0
	v_mul_f64 v[70:71], v[68:69], v[64:65]
	v_fma_f64 v[62:63], -v[62:63], v[70:71], v[68:69]
	s_nop 1
	v_div_fmas_f64 v[62:63], v[62:63], v[64:65], v[70:71]
	v_div_fixup_f64 v[64:65], v[62:63], v[60:61], 1.0
	v_mul_f64 v[66:67], v[66:67], -v[64:65]
.LBB21_43:
	s_or_b64 exec, exec, s[2:3]
	ds_write2_b64 v113, v[64:65], v[66:67] offset1:1
.LBB21_44:
	s_or_b64 exec, exec, s[4:5]
	s_waitcnt lgkmcnt(0)
	s_barrier
	ds_read2_b64 v[60:63], v113 offset1:1
	v_cmp_lt_u32_e32 vcc, 4, v112
	s_and_saveexec_b64 s[2:3], vcc
	s_cbranch_execz .LBB21_46
; %bb.45:
	ds_read2_b64 v[64:67], v114 offset0:10 offset1:11
	ds_read2_b64 v[68:71], v114 offset0:12 offset1:13
	s_waitcnt vmcnt(6) lgkmcnt(2)
	v_mul_f64 v[72:73], v[60:61], v[22:23]
	v_fmac_f64_e32 v[72:73], v[62:63], v[20:21]
	v_mul_f64 v[22:23], v[62:63], v[22:23]
	v_fma_f64 v[20:21], v[60:61], v[20:21], -v[22:23]
	s_waitcnt lgkmcnt(1)
	v_mul_f64 v[22:23], v[66:67], v[72:73]
	v_fma_f64 v[22:23], v[64:65], v[20:21], -v[22:23]
	v_mul_f64 v[64:65], v[64:65], v[72:73]
	v_fmac_f64_e32 v[64:65], v[66:67], v[20:21]
	s_waitcnt vmcnt(5)
	v_add_f64 v[16:17], v[16:17], -v[22:23]
	v_add_f64 v[18:19], v[18:19], -v[64:65]
	s_waitcnt lgkmcnt(0)
	v_mul_f64 v[22:23], v[70:71], v[72:73]
	ds_read2_b64 v[64:67], v114 offset0:14 offset1:15
	v_fma_f64 v[22:23], v[68:69], v[20:21], -v[22:23]
	v_mul_f64 v[68:69], v[68:69], v[72:73]
	v_fmac_f64_e32 v[68:69], v[70:71], v[20:21]
	s_waitcnt vmcnt(4)
	v_add_f64 v[30:31], v[30:31], -v[68:69]
	ds_read2_b64 v[68:71], v114 offset0:16 offset1:17
	v_add_f64 v[28:29], v[28:29], -v[22:23]
	s_waitcnt lgkmcnt(1)
	v_mul_f64 v[22:23], v[66:67], v[72:73]
	v_fma_f64 v[22:23], v[64:65], v[20:21], -v[22:23]
	v_mul_f64 v[64:65], v[64:65], v[72:73]
	v_fmac_f64_e32 v[64:65], v[66:67], v[20:21]
	s_waitcnt vmcnt(3)
	v_add_f64 v[24:25], v[24:25], -v[22:23]
	v_add_f64 v[26:27], v[26:27], -v[64:65]
	s_waitcnt lgkmcnt(0)
	v_mul_f64 v[22:23], v[70:71], v[72:73]
	ds_read2_b64 v[64:67], v114 offset0:18 offset1:19
	v_fma_f64 v[22:23], v[68:69], v[20:21], -v[22:23]
	v_mul_f64 v[68:69], v[68:69], v[72:73]
	v_fmac_f64_e32 v[68:69], v[70:71], v[20:21]
	s_waitcnt vmcnt(2)
	v_add_f64 v[38:39], v[38:39], -v[68:69]
	ds_read2_b64 v[68:71], v114 offset0:20 offset1:21
	v_add_f64 v[36:37], v[36:37], -v[22:23]
	s_waitcnt lgkmcnt(1)
	v_mul_f64 v[22:23], v[66:67], v[72:73]
	v_fma_f64 v[22:23], v[64:65], v[20:21], -v[22:23]
	v_mul_f64 v[64:65], v[64:65], v[72:73]
	v_fmac_f64_e32 v[64:65], v[66:67], v[20:21]
	s_waitcnt vmcnt(1)
	v_add_f64 v[32:33], v[32:33], -v[22:23]
	v_add_f64 v[34:35], v[34:35], -v[64:65]
	s_waitcnt lgkmcnt(0)
	v_mul_f64 v[22:23], v[70:71], v[72:73]
	v_mul_f64 v[64:65], v[68:69], v[72:73]
	v_fma_f64 v[22:23], v[68:69], v[20:21], -v[22:23]
	v_fmac_f64_e32 v[64:65], v[70:71], v[20:21]
	s_waitcnt vmcnt(0)
	v_add_f64 v[40:41], v[40:41], -v[22:23]
	v_add_f64 v[42:43], v[42:43], -v[64:65]
	v_mov_b64_e32 v[22:23], v[72:73]
.LBB21_46:
	s_or_b64 exec, exec, s[2:3]
	v_cmp_eq_u32_e32 vcc, 5, v112
	s_waitcnt lgkmcnt(0)
	s_barrier
	s_and_saveexec_b64 s[4:5], vcc
	s_cbranch_execz .LBB21_53
; %bb.47:
	s_waitcnt vmcnt(5)
	ds_write2_b64 v113, v[16:17], v[18:19] offset1:1
	s_waitcnt vmcnt(4)
	ds_write2_b64 v114, v[28:29], v[30:31] offset0:12 offset1:13
	s_waitcnt vmcnt(3)
	ds_write2_b64 v114, v[24:25], v[26:27] offset0:14 offset1:15
	;; [unrolled: 2-line block ×5, first 2 shown]
	ds_read2_b64 v[64:67], v113 offset1:1
	s_waitcnt lgkmcnt(0)
	v_cmp_neq_f64_e32 vcc, 0, v[64:65]
	v_cmp_neq_f64_e64 s[2:3], 0, v[66:67]
	s_or_b64 s[2:3], vcc, s[2:3]
	s_and_b64 exec, exec, s[2:3]
	s_cbranch_execz .LBB21_53
; %bb.48:
	v_cmp_ngt_f64_e64 s[2:3], |v[64:65]|, |v[66:67]|
                                        ; implicit-def: $vgpr68_vgpr69
	s_and_saveexec_b64 s[8:9], s[2:3]
	s_xor_b64 s[2:3], exec, s[8:9]
                                        ; implicit-def: $vgpr70_vgpr71
	s_cbranch_execz .LBB21_50
; %bb.49:
	v_div_scale_f64 v[68:69], s[8:9], v[66:67], v[66:67], v[64:65]
	v_rcp_f64_e32 v[70:71], v[68:69]
	v_div_scale_f64 v[72:73], vcc, v[64:65], v[66:67], v[64:65]
	v_fma_f64 v[74:75], -v[68:69], v[70:71], 1.0
	v_fmac_f64_e32 v[70:71], v[70:71], v[74:75]
	v_fma_f64 v[74:75], -v[68:69], v[70:71], 1.0
	v_fmac_f64_e32 v[70:71], v[70:71], v[74:75]
	v_mul_f64 v[74:75], v[72:73], v[70:71]
	v_fma_f64 v[68:69], -v[68:69], v[74:75], v[72:73]
	v_div_fmas_f64 v[68:69], v[68:69], v[70:71], v[74:75]
	v_div_fixup_f64 v[68:69], v[68:69], v[66:67], v[64:65]
	v_fmac_f64_e32 v[66:67], v[64:65], v[68:69]
	v_div_scale_f64 v[64:65], s[8:9], v[66:67], v[66:67], 1.0
	v_rcp_f64_e32 v[70:71], v[64:65]
	s_nop 0
	v_fma_f64 v[72:73], -v[64:65], v[70:71], 1.0
	v_fmac_f64_e32 v[70:71], v[70:71], v[72:73]
	v_fma_f64 v[72:73], -v[64:65], v[70:71], 1.0
	v_fmac_f64_e32 v[70:71], v[70:71], v[72:73]
	v_div_scale_f64 v[72:73], vcc, 1.0, v[66:67], 1.0
	v_mul_f64 v[74:75], v[72:73], v[70:71]
	v_fma_f64 v[64:65], -v[64:65], v[74:75], v[72:73]
	s_nop 1
	v_div_fmas_f64 v[64:65], v[64:65], v[70:71], v[74:75]
	v_div_fixup_f64 v[70:71], v[64:65], v[66:67], 1.0
	v_mul_f64 v[68:69], v[68:69], v[70:71]
	v_xor_b32_e32 v71, 0x80000000, v71
                                        ; implicit-def: $vgpr64_vgpr65
.LBB21_50:
	s_andn2_saveexec_b64 s[2:3], s[2:3]
	s_cbranch_execz .LBB21_52
; %bb.51:
	v_div_scale_f64 v[68:69], s[8:9], v[64:65], v[64:65], v[66:67]
	v_rcp_f64_e32 v[70:71], v[68:69]
	v_div_scale_f64 v[72:73], vcc, v[66:67], v[64:65], v[66:67]
	v_fma_f64 v[74:75], -v[68:69], v[70:71], 1.0
	v_fmac_f64_e32 v[70:71], v[70:71], v[74:75]
	v_fma_f64 v[74:75], -v[68:69], v[70:71], 1.0
	v_fmac_f64_e32 v[70:71], v[70:71], v[74:75]
	v_mul_f64 v[74:75], v[72:73], v[70:71]
	v_fma_f64 v[68:69], -v[68:69], v[74:75], v[72:73]
	v_div_fmas_f64 v[68:69], v[68:69], v[70:71], v[74:75]
	v_div_fixup_f64 v[70:71], v[68:69], v[64:65], v[66:67]
	v_fmac_f64_e32 v[64:65], v[66:67], v[70:71]
	v_div_scale_f64 v[66:67], s[8:9], v[64:65], v[64:65], 1.0
	v_rcp_f64_e32 v[68:69], v[66:67]
	s_nop 0
	v_fma_f64 v[72:73], -v[66:67], v[68:69], 1.0
	v_fmac_f64_e32 v[68:69], v[68:69], v[72:73]
	v_fma_f64 v[72:73], -v[66:67], v[68:69], 1.0
	v_fmac_f64_e32 v[68:69], v[68:69], v[72:73]
	v_div_scale_f64 v[72:73], vcc, 1.0, v[64:65], 1.0
	v_mul_f64 v[74:75], v[72:73], v[68:69]
	v_fma_f64 v[66:67], -v[66:67], v[74:75], v[72:73]
	s_nop 1
	v_div_fmas_f64 v[66:67], v[66:67], v[68:69], v[74:75]
	v_div_fixup_f64 v[68:69], v[66:67], v[64:65], 1.0
	v_mul_f64 v[70:71], v[70:71], -v[68:69]
.LBB21_52:
	s_or_b64 exec, exec, s[2:3]
	ds_write2_b64 v113, v[68:69], v[70:71] offset1:1
.LBB21_53:
	s_or_b64 exec, exec, s[4:5]
	s_waitcnt lgkmcnt(0)
	s_barrier
	ds_read2_b64 v[64:67], v113 offset1:1
	v_cmp_lt_u32_e32 vcc, 5, v112
	s_and_saveexec_b64 s[2:3], vcc
	s_cbranch_execz .LBB21_55
; %bb.54:
	ds_read2_b64 v[68:71], v114 offset0:12 offset1:13
	ds_read2_b64 v[72:75], v114 offset0:14 offset1:15
	s_waitcnt vmcnt(5) lgkmcnt(2)
	v_mul_f64 v[76:77], v[64:65], v[18:19]
	v_fmac_f64_e32 v[76:77], v[66:67], v[16:17]
	v_mul_f64 v[18:19], v[66:67], v[18:19]
	v_fma_f64 v[16:17], v[64:65], v[16:17], -v[18:19]
	s_waitcnt lgkmcnt(1)
	v_mul_f64 v[18:19], v[70:71], v[76:77]
	v_fma_f64 v[18:19], v[68:69], v[16:17], -v[18:19]
	v_mul_f64 v[68:69], v[68:69], v[76:77]
	v_fmac_f64_e32 v[68:69], v[70:71], v[16:17]
	s_waitcnt vmcnt(4)
	v_add_f64 v[30:31], v[30:31], -v[68:69]
	ds_read2_b64 v[68:71], v114 offset0:16 offset1:17
	v_add_f64 v[28:29], v[28:29], -v[18:19]
	s_waitcnt lgkmcnt(1)
	v_mul_f64 v[18:19], v[74:75], v[76:77]
	v_fma_f64 v[18:19], v[72:73], v[16:17], -v[18:19]
	v_mul_f64 v[72:73], v[72:73], v[76:77]
	v_fmac_f64_e32 v[72:73], v[74:75], v[16:17]
	s_waitcnt vmcnt(3)
	v_add_f64 v[24:25], v[24:25], -v[18:19]
	v_add_f64 v[26:27], v[26:27], -v[72:73]
	ds_read2_b64 v[72:75], v114 offset0:18 offset1:19
	s_waitcnt lgkmcnt(1)
	v_mul_f64 v[18:19], v[70:71], v[76:77]
	v_fma_f64 v[18:19], v[68:69], v[16:17], -v[18:19]
	v_mul_f64 v[68:69], v[68:69], v[76:77]
	v_fmac_f64_e32 v[68:69], v[70:71], v[16:17]
	s_waitcnt vmcnt(2)
	v_add_f64 v[38:39], v[38:39], -v[68:69]
	ds_read2_b64 v[68:71], v114 offset0:20 offset1:21
	v_add_f64 v[36:37], v[36:37], -v[18:19]
	s_waitcnt lgkmcnt(1)
	v_mul_f64 v[18:19], v[74:75], v[76:77]
	v_fma_f64 v[18:19], v[72:73], v[16:17], -v[18:19]
	s_waitcnt vmcnt(1)
	v_add_f64 v[32:33], v[32:33], -v[18:19]
	s_waitcnt lgkmcnt(0)
	v_mul_f64 v[18:19], v[70:71], v[76:77]
	v_mul_f64 v[72:73], v[72:73], v[76:77]
	v_fma_f64 v[18:19], v[68:69], v[16:17], -v[18:19]
	v_mul_f64 v[68:69], v[68:69], v[76:77]
	v_fmac_f64_e32 v[72:73], v[74:75], v[16:17]
	v_fmac_f64_e32 v[68:69], v[70:71], v[16:17]
	v_add_f64 v[34:35], v[34:35], -v[72:73]
	s_waitcnt vmcnt(0)
	v_add_f64 v[40:41], v[40:41], -v[18:19]
	v_add_f64 v[42:43], v[42:43], -v[68:69]
	v_mov_b64_e32 v[18:19], v[76:77]
.LBB21_55:
	s_or_b64 exec, exec, s[2:3]
	v_cmp_eq_u32_e32 vcc, 6, v112
	s_waitcnt lgkmcnt(0)
	s_barrier
	s_and_saveexec_b64 s[4:5], vcc
	s_cbranch_execz .LBB21_62
; %bb.56:
	s_waitcnt vmcnt(4)
	ds_write2_b64 v113, v[28:29], v[30:31] offset1:1
	s_waitcnt vmcnt(3)
	ds_write2_b64 v114, v[24:25], v[26:27] offset0:14 offset1:15
	s_waitcnt vmcnt(2)
	ds_write2_b64 v114, v[36:37], v[38:39] offset0:16 offset1:17
	;; [unrolled: 2-line block ×4, first 2 shown]
	ds_read2_b64 v[68:71], v113 offset1:1
	s_waitcnt lgkmcnt(0)
	v_cmp_neq_f64_e32 vcc, 0, v[68:69]
	v_cmp_neq_f64_e64 s[2:3], 0, v[70:71]
	s_or_b64 s[2:3], vcc, s[2:3]
	s_and_b64 exec, exec, s[2:3]
	s_cbranch_execz .LBB21_62
; %bb.57:
	v_cmp_ngt_f64_e64 s[2:3], |v[68:69]|, |v[70:71]|
                                        ; implicit-def: $vgpr72_vgpr73
	s_and_saveexec_b64 s[8:9], s[2:3]
	s_xor_b64 s[2:3], exec, s[8:9]
                                        ; implicit-def: $vgpr74_vgpr75
	s_cbranch_execz .LBB21_59
; %bb.58:
	v_div_scale_f64 v[72:73], s[8:9], v[70:71], v[70:71], v[68:69]
	v_rcp_f64_e32 v[74:75], v[72:73]
	v_div_scale_f64 v[76:77], vcc, v[68:69], v[70:71], v[68:69]
	v_fma_f64 v[78:79], -v[72:73], v[74:75], 1.0
	v_fmac_f64_e32 v[74:75], v[74:75], v[78:79]
	v_fma_f64 v[78:79], -v[72:73], v[74:75], 1.0
	v_fmac_f64_e32 v[74:75], v[74:75], v[78:79]
	v_mul_f64 v[78:79], v[76:77], v[74:75]
	v_fma_f64 v[72:73], -v[72:73], v[78:79], v[76:77]
	v_div_fmas_f64 v[72:73], v[72:73], v[74:75], v[78:79]
	v_div_fixup_f64 v[72:73], v[72:73], v[70:71], v[68:69]
	v_fmac_f64_e32 v[70:71], v[68:69], v[72:73]
	v_div_scale_f64 v[68:69], s[8:9], v[70:71], v[70:71], 1.0
	v_rcp_f64_e32 v[74:75], v[68:69]
	s_nop 0
	v_fma_f64 v[76:77], -v[68:69], v[74:75], 1.0
	v_fmac_f64_e32 v[74:75], v[74:75], v[76:77]
	v_fma_f64 v[76:77], -v[68:69], v[74:75], 1.0
	v_fmac_f64_e32 v[74:75], v[74:75], v[76:77]
	v_div_scale_f64 v[76:77], vcc, 1.0, v[70:71], 1.0
	v_mul_f64 v[78:79], v[76:77], v[74:75]
	v_fma_f64 v[68:69], -v[68:69], v[78:79], v[76:77]
	s_nop 1
	v_div_fmas_f64 v[68:69], v[68:69], v[74:75], v[78:79]
	v_div_fixup_f64 v[74:75], v[68:69], v[70:71], 1.0
	v_mul_f64 v[72:73], v[72:73], v[74:75]
	v_xor_b32_e32 v75, 0x80000000, v75
                                        ; implicit-def: $vgpr68_vgpr69
.LBB21_59:
	s_andn2_saveexec_b64 s[2:3], s[2:3]
	s_cbranch_execz .LBB21_61
; %bb.60:
	v_div_scale_f64 v[72:73], s[8:9], v[68:69], v[68:69], v[70:71]
	v_rcp_f64_e32 v[74:75], v[72:73]
	v_div_scale_f64 v[76:77], vcc, v[70:71], v[68:69], v[70:71]
	v_fma_f64 v[78:79], -v[72:73], v[74:75], 1.0
	v_fmac_f64_e32 v[74:75], v[74:75], v[78:79]
	v_fma_f64 v[78:79], -v[72:73], v[74:75], 1.0
	v_fmac_f64_e32 v[74:75], v[74:75], v[78:79]
	v_mul_f64 v[78:79], v[76:77], v[74:75]
	v_fma_f64 v[72:73], -v[72:73], v[78:79], v[76:77]
	v_div_fmas_f64 v[72:73], v[72:73], v[74:75], v[78:79]
	v_div_fixup_f64 v[74:75], v[72:73], v[68:69], v[70:71]
	v_fmac_f64_e32 v[68:69], v[70:71], v[74:75]
	v_div_scale_f64 v[70:71], s[8:9], v[68:69], v[68:69], 1.0
	v_rcp_f64_e32 v[72:73], v[70:71]
	s_nop 0
	v_fma_f64 v[76:77], -v[70:71], v[72:73], 1.0
	v_fmac_f64_e32 v[72:73], v[72:73], v[76:77]
	v_fma_f64 v[76:77], -v[70:71], v[72:73], 1.0
	v_fmac_f64_e32 v[72:73], v[72:73], v[76:77]
	v_div_scale_f64 v[76:77], vcc, 1.0, v[68:69], 1.0
	v_mul_f64 v[78:79], v[76:77], v[72:73]
	v_fma_f64 v[70:71], -v[70:71], v[78:79], v[76:77]
	s_nop 1
	v_div_fmas_f64 v[70:71], v[70:71], v[72:73], v[78:79]
	v_div_fixup_f64 v[72:73], v[70:71], v[68:69], 1.0
	v_mul_f64 v[74:75], v[74:75], -v[72:73]
.LBB21_61:
	s_or_b64 exec, exec, s[2:3]
	ds_write2_b64 v113, v[72:73], v[74:75] offset1:1
.LBB21_62:
	s_or_b64 exec, exec, s[4:5]
	s_waitcnt lgkmcnt(0)
	s_barrier
	ds_read2_b64 v[68:71], v113 offset1:1
	v_cmp_lt_u32_e32 vcc, 6, v112
	s_and_saveexec_b64 s[2:3], vcc
	s_cbranch_execz .LBB21_64
; %bb.63:
	ds_read2_b64 v[72:75], v114 offset0:14 offset1:15
	ds_read2_b64 v[76:79], v114 offset0:16 offset1:17
	s_waitcnt vmcnt(4) lgkmcnt(2)
	v_mul_f64 v[80:81], v[68:69], v[30:31]
	v_fmac_f64_e32 v[80:81], v[70:71], v[28:29]
	v_mul_f64 v[30:31], v[70:71], v[30:31]
	v_fma_f64 v[28:29], v[68:69], v[28:29], -v[30:31]
	s_waitcnt lgkmcnt(1)
	v_mul_f64 v[30:31], v[74:75], v[80:81]
	v_fma_f64 v[30:31], v[72:73], v[28:29], -v[30:31]
	v_mul_f64 v[72:73], v[72:73], v[80:81]
	v_fmac_f64_e32 v[72:73], v[74:75], v[28:29]
	s_waitcnt vmcnt(3)
	v_add_f64 v[24:25], v[24:25], -v[30:31]
	v_add_f64 v[26:27], v[26:27], -v[72:73]
	s_waitcnt lgkmcnt(0)
	v_mul_f64 v[30:31], v[78:79], v[80:81]
	ds_read2_b64 v[72:75], v114 offset0:18 offset1:19
	v_fma_f64 v[30:31], v[76:77], v[28:29], -v[30:31]
	v_mul_f64 v[76:77], v[76:77], v[80:81]
	v_fmac_f64_e32 v[76:77], v[78:79], v[28:29]
	s_waitcnt vmcnt(2)
	v_add_f64 v[38:39], v[38:39], -v[76:77]
	ds_read2_b64 v[76:79], v114 offset0:20 offset1:21
	v_add_f64 v[36:37], v[36:37], -v[30:31]
	s_waitcnt lgkmcnt(1)
	v_mul_f64 v[30:31], v[74:75], v[80:81]
	v_fma_f64 v[30:31], v[72:73], v[28:29], -v[30:31]
	v_mul_f64 v[72:73], v[72:73], v[80:81]
	v_fmac_f64_e32 v[72:73], v[74:75], v[28:29]
	s_waitcnt vmcnt(1)
	v_add_f64 v[32:33], v[32:33], -v[30:31]
	v_add_f64 v[34:35], v[34:35], -v[72:73]
	s_waitcnt lgkmcnt(0)
	v_mul_f64 v[30:31], v[78:79], v[80:81]
	v_mul_f64 v[72:73], v[76:77], v[80:81]
	v_fma_f64 v[30:31], v[76:77], v[28:29], -v[30:31]
	v_fmac_f64_e32 v[72:73], v[78:79], v[28:29]
	s_waitcnt vmcnt(0)
	v_add_f64 v[40:41], v[40:41], -v[30:31]
	v_add_f64 v[42:43], v[42:43], -v[72:73]
	v_mov_b64_e32 v[30:31], v[80:81]
.LBB21_64:
	s_or_b64 exec, exec, s[2:3]
	v_cmp_eq_u32_e32 vcc, 7, v112
	s_waitcnt lgkmcnt(0)
	s_barrier
	s_and_saveexec_b64 s[4:5], vcc
	s_cbranch_execz .LBB21_71
; %bb.65:
	s_waitcnt vmcnt(3)
	ds_write2_b64 v113, v[24:25], v[26:27] offset1:1
	s_waitcnt vmcnt(2)
	ds_write2_b64 v114, v[36:37], v[38:39] offset0:16 offset1:17
	s_waitcnt vmcnt(1)
	ds_write2_b64 v114, v[32:33], v[34:35] offset0:18 offset1:19
	;; [unrolled: 2-line block ×3, first 2 shown]
	ds_read2_b64 v[72:75], v113 offset1:1
	s_waitcnt lgkmcnt(0)
	v_cmp_neq_f64_e32 vcc, 0, v[72:73]
	v_cmp_neq_f64_e64 s[2:3], 0, v[74:75]
	s_or_b64 s[2:3], vcc, s[2:3]
	s_and_b64 exec, exec, s[2:3]
	s_cbranch_execz .LBB21_71
; %bb.66:
	v_cmp_ngt_f64_e64 s[2:3], |v[72:73]|, |v[74:75]|
                                        ; implicit-def: $vgpr76_vgpr77
	s_and_saveexec_b64 s[8:9], s[2:3]
	s_xor_b64 s[2:3], exec, s[8:9]
                                        ; implicit-def: $vgpr78_vgpr79
	s_cbranch_execz .LBB21_68
; %bb.67:
	v_div_scale_f64 v[76:77], s[8:9], v[74:75], v[74:75], v[72:73]
	v_rcp_f64_e32 v[78:79], v[76:77]
	v_div_scale_f64 v[80:81], vcc, v[72:73], v[74:75], v[72:73]
	v_fma_f64 v[82:83], -v[76:77], v[78:79], 1.0
	v_fmac_f64_e32 v[78:79], v[78:79], v[82:83]
	v_fma_f64 v[82:83], -v[76:77], v[78:79], 1.0
	v_fmac_f64_e32 v[78:79], v[78:79], v[82:83]
	v_mul_f64 v[82:83], v[80:81], v[78:79]
	v_fma_f64 v[76:77], -v[76:77], v[82:83], v[80:81]
	v_div_fmas_f64 v[76:77], v[76:77], v[78:79], v[82:83]
	v_div_fixup_f64 v[76:77], v[76:77], v[74:75], v[72:73]
	v_fmac_f64_e32 v[74:75], v[72:73], v[76:77]
	v_div_scale_f64 v[72:73], s[8:9], v[74:75], v[74:75], 1.0
	v_rcp_f64_e32 v[78:79], v[72:73]
	s_nop 0
	v_fma_f64 v[80:81], -v[72:73], v[78:79], 1.0
	v_fmac_f64_e32 v[78:79], v[78:79], v[80:81]
	v_fma_f64 v[80:81], -v[72:73], v[78:79], 1.0
	v_fmac_f64_e32 v[78:79], v[78:79], v[80:81]
	v_div_scale_f64 v[80:81], vcc, 1.0, v[74:75], 1.0
	v_mul_f64 v[82:83], v[80:81], v[78:79]
	v_fma_f64 v[72:73], -v[72:73], v[82:83], v[80:81]
	s_nop 1
	v_div_fmas_f64 v[72:73], v[72:73], v[78:79], v[82:83]
	v_div_fixup_f64 v[78:79], v[72:73], v[74:75], 1.0
	v_mul_f64 v[76:77], v[76:77], v[78:79]
	v_xor_b32_e32 v79, 0x80000000, v79
                                        ; implicit-def: $vgpr72_vgpr73
.LBB21_68:
	s_andn2_saveexec_b64 s[2:3], s[2:3]
	s_cbranch_execz .LBB21_70
; %bb.69:
	v_div_scale_f64 v[76:77], s[8:9], v[72:73], v[72:73], v[74:75]
	v_rcp_f64_e32 v[78:79], v[76:77]
	v_div_scale_f64 v[80:81], vcc, v[74:75], v[72:73], v[74:75]
	v_fma_f64 v[82:83], -v[76:77], v[78:79], 1.0
	v_fmac_f64_e32 v[78:79], v[78:79], v[82:83]
	v_fma_f64 v[82:83], -v[76:77], v[78:79], 1.0
	v_fmac_f64_e32 v[78:79], v[78:79], v[82:83]
	v_mul_f64 v[82:83], v[80:81], v[78:79]
	v_fma_f64 v[76:77], -v[76:77], v[82:83], v[80:81]
	v_div_fmas_f64 v[76:77], v[76:77], v[78:79], v[82:83]
	v_div_fixup_f64 v[78:79], v[76:77], v[72:73], v[74:75]
	v_fmac_f64_e32 v[72:73], v[74:75], v[78:79]
	v_div_scale_f64 v[74:75], s[8:9], v[72:73], v[72:73], 1.0
	v_rcp_f64_e32 v[76:77], v[74:75]
	s_nop 0
	v_fma_f64 v[80:81], -v[74:75], v[76:77], 1.0
	v_fmac_f64_e32 v[76:77], v[76:77], v[80:81]
	v_fma_f64 v[80:81], -v[74:75], v[76:77], 1.0
	v_fmac_f64_e32 v[76:77], v[76:77], v[80:81]
	v_div_scale_f64 v[80:81], vcc, 1.0, v[72:73], 1.0
	v_mul_f64 v[82:83], v[80:81], v[76:77]
	v_fma_f64 v[74:75], -v[74:75], v[82:83], v[80:81]
	s_nop 1
	v_div_fmas_f64 v[74:75], v[74:75], v[76:77], v[82:83]
	v_div_fixup_f64 v[76:77], v[74:75], v[72:73], 1.0
	v_mul_f64 v[78:79], v[78:79], -v[76:77]
.LBB21_70:
	s_or_b64 exec, exec, s[2:3]
	ds_write2_b64 v113, v[76:77], v[78:79] offset1:1
.LBB21_71:
	s_or_b64 exec, exec, s[4:5]
	s_waitcnt lgkmcnt(0)
	s_barrier
	ds_read2_b64 v[72:75], v113 offset1:1
	v_cmp_lt_u32_e32 vcc, 7, v112
	s_and_saveexec_b64 s[2:3], vcc
	s_cbranch_execz .LBB21_73
; %bb.72:
	ds_read2_b64 v[76:79], v114 offset0:16 offset1:17
	ds_read2_b64 v[80:83], v114 offset0:18 offset1:19
	s_waitcnt vmcnt(3) lgkmcnt(2)
	v_mul_f64 v[84:85], v[72:73], v[26:27]
	v_fmac_f64_e32 v[84:85], v[74:75], v[24:25]
	v_mul_f64 v[26:27], v[74:75], v[26:27]
	v_fma_f64 v[24:25], v[72:73], v[24:25], -v[26:27]
	s_waitcnt lgkmcnt(1)
	v_mul_f64 v[26:27], v[78:79], v[84:85]
	v_fma_f64 v[26:27], v[76:77], v[24:25], -v[26:27]
	v_mul_f64 v[76:77], v[76:77], v[84:85]
	v_fmac_f64_e32 v[76:77], v[78:79], v[24:25]
	s_waitcnt vmcnt(2)
	v_add_f64 v[38:39], v[38:39], -v[76:77]
	ds_read2_b64 v[76:79], v114 offset0:20 offset1:21
	v_add_f64 v[36:37], v[36:37], -v[26:27]
	s_waitcnt lgkmcnt(1)
	v_mul_f64 v[26:27], v[82:83], v[84:85]
	v_fma_f64 v[26:27], v[80:81], v[24:25], -v[26:27]
	s_waitcnt vmcnt(1)
	v_add_f64 v[32:33], v[32:33], -v[26:27]
	s_waitcnt lgkmcnt(0)
	v_mul_f64 v[26:27], v[78:79], v[84:85]
	v_mul_f64 v[80:81], v[80:81], v[84:85]
	v_fma_f64 v[26:27], v[76:77], v[24:25], -v[26:27]
	v_mul_f64 v[76:77], v[76:77], v[84:85]
	v_fmac_f64_e32 v[80:81], v[82:83], v[24:25]
	v_fmac_f64_e32 v[76:77], v[78:79], v[24:25]
	v_add_f64 v[34:35], v[34:35], -v[80:81]
	s_waitcnt vmcnt(0)
	v_add_f64 v[40:41], v[40:41], -v[26:27]
	v_add_f64 v[42:43], v[42:43], -v[76:77]
	v_mov_b64_e32 v[26:27], v[84:85]
.LBB21_73:
	s_or_b64 exec, exec, s[2:3]
	v_cmp_eq_u32_e32 vcc, 8, v112
	s_waitcnt lgkmcnt(0)
	s_barrier
	s_and_saveexec_b64 s[4:5], vcc
	s_cbranch_execz .LBB21_80
; %bb.74:
	s_waitcnt vmcnt(2)
	ds_write2_b64 v113, v[36:37], v[38:39] offset1:1
	s_waitcnt vmcnt(1)
	ds_write2_b64 v114, v[32:33], v[34:35] offset0:18 offset1:19
	s_waitcnt vmcnt(0)
	ds_write2_b64 v114, v[40:41], v[42:43] offset0:20 offset1:21
	ds_read2_b64 v[76:79], v113 offset1:1
	s_waitcnt lgkmcnt(0)
	v_cmp_neq_f64_e32 vcc, 0, v[76:77]
	v_cmp_neq_f64_e64 s[2:3], 0, v[78:79]
	s_or_b64 s[2:3], vcc, s[2:3]
	s_and_b64 exec, exec, s[2:3]
	s_cbranch_execz .LBB21_80
; %bb.75:
	v_cmp_ngt_f64_e64 s[2:3], |v[76:77]|, |v[78:79]|
                                        ; implicit-def: $vgpr80_vgpr81
	s_and_saveexec_b64 s[8:9], s[2:3]
	s_xor_b64 s[2:3], exec, s[8:9]
                                        ; implicit-def: $vgpr82_vgpr83
	s_cbranch_execz .LBB21_77
; %bb.76:
	v_div_scale_f64 v[80:81], s[8:9], v[78:79], v[78:79], v[76:77]
	v_rcp_f64_e32 v[82:83], v[80:81]
	v_div_scale_f64 v[84:85], vcc, v[76:77], v[78:79], v[76:77]
	v_fma_f64 v[86:87], -v[80:81], v[82:83], 1.0
	v_fmac_f64_e32 v[82:83], v[82:83], v[86:87]
	v_fma_f64 v[86:87], -v[80:81], v[82:83], 1.0
	v_fmac_f64_e32 v[82:83], v[82:83], v[86:87]
	v_mul_f64 v[86:87], v[84:85], v[82:83]
	v_fma_f64 v[80:81], -v[80:81], v[86:87], v[84:85]
	v_div_fmas_f64 v[80:81], v[80:81], v[82:83], v[86:87]
	v_div_fixup_f64 v[80:81], v[80:81], v[78:79], v[76:77]
	v_fmac_f64_e32 v[78:79], v[76:77], v[80:81]
	v_div_scale_f64 v[76:77], s[8:9], v[78:79], v[78:79], 1.0
	v_rcp_f64_e32 v[82:83], v[76:77]
	s_nop 0
	v_fma_f64 v[84:85], -v[76:77], v[82:83], 1.0
	v_fmac_f64_e32 v[82:83], v[82:83], v[84:85]
	v_fma_f64 v[84:85], -v[76:77], v[82:83], 1.0
	v_fmac_f64_e32 v[82:83], v[82:83], v[84:85]
	v_div_scale_f64 v[84:85], vcc, 1.0, v[78:79], 1.0
	v_mul_f64 v[86:87], v[84:85], v[82:83]
	v_fma_f64 v[76:77], -v[76:77], v[86:87], v[84:85]
	s_nop 1
	v_div_fmas_f64 v[76:77], v[76:77], v[82:83], v[86:87]
	v_div_fixup_f64 v[82:83], v[76:77], v[78:79], 1.0
	v_mul_f64 v[80:81], v[80:81], v[82:83]
	v_xor_b32_e32 v83, 0x80000000, v83
                                        ; implicit-def: $vgpr76_vgpr77
.LBB21_77:
	s_andn2_saveexec_b64 s[2:3], s[2:3]
	s_cbranch_execz .LBB21_79
; %bb.78:
	v_div_scale_f64 v[80:81], s[8:9], v[76:77], v[76:77], v[78:79]
	v_rcp_f64_e32 v[82:83], v[80:81]
	v_div_scale_f64 v[84:85], vcc, v[78:79], v[76:77], v[78:79]
	v_fma_f64 v[86:87], -v[80:81], v[82:83], 1.0
	v_fmac_f64_e32 v[82:83], v[82:83], v[86:87]
	v_fma_f64 v[86:87], -v[80:81], v[82:83], 1.0
	v_fmac_f64_e32 v[82:83], v[82:83], v[86:87]
	v_mul_f64 v[86:87], v[84:85], v[82:83]
	v_fma_f64 v[80:81], -v[80:81], v[86:87], v[84:85]
	v_div_fmas_f64 v[80:81], v[80:81], v[82:83], v[86:87]
	v_div_fixup_f64 v[82:83], v[80:81], v[76:77], v[78:79]
	v_fmac_f64_e32 v[76:77], v[78:79], v[82:83]
	v_div_scale_f64 v[78:79], s[8:9], v[76:77], v[76:77], 1.0
	v_rcp_f64_e32 v[80:81], v[78:79]
	s_nop 0
	v_fma_f64 v[84:85], -v[78:79], v[80:81], 1.0
	v_fmac_f64_e32 v[80:81], v[80:81], v[84:85]
	v_fma_f64 v[84:85], -v[78:79], v[80:81], 1.0
	v_fmac_f64_e32 v[80:81], v[80:81], v[84:85]
	v_div_scale_f64 v[84:85], vcc, 1.0, v[76:77], 1.0
	v_mul_f64 v[86:87], v[84:85], v[80:81]
	v_fma_f64 v[78:79], -v[78:79], v[86:87], v[84:85]
	s_nop 1
	v_div_fmas_f64 v[78:79], v[78:79], v[80:81], v[86:87]
	v_div_fixup_f64 v[80:81], v[78:79], v[76:77], 1.0
	v_mul_f64 v[82:83], v[82:83], -v[80:81]
.LBB21_79:
	s_or_b64 exec, exec, s[2:3]
	ds_write2_b64 v113, v[80:81], v[82:83] offset1:1
.LBB21_80:
	s_or_b64 exec, exec, s[4:5]
	s_waitcnt lgkmcnt(0)
	s_barrier
	ds_read2_b64 v[76:79], v113 offset1:1
	v_cmp_lt_u32_e32 vcc, 8, v112
	s_and_saveexec_b64 s[2:3], vcc
	s_cbranch_execz .LBB21_82
; %bb.81:
	ds_read2_b64 v[80:83], v114 offset0:18 offset1:19
	ds_read2_b64 v[84:87], v114 offset0:20 offset1:21
	s_waitcnt vmcnt(2) lgkmcnt(2)
	v_mul_f64 v[116:117], v[76:77], v[38:39]
	v_fmac_f64_e32 v[116:117], v[78:79], v[36:37]
	v_mul_f64 v[38:39], v[78:79], v[38:39]
	v_fma_f64 v[36:37], v[76:77], v[36:37], -v[38:39]
	s_waitcnt lgkmcnt(1)
	v_mul_f64 v[38:39], v[82:83], v[116:117]
	v_fma_f64 v[38:39], v[80:81], v[36:37], -v[38:39]
	v_mul_f64 v[80:81], v[80:81], v[116:117]
	v_fmac_f64_e32 v[80:81], v[82:83], v[36:37]
	s_waitcnt vmcnt(1)
	v_add_f64 v[32:33], v[32:33], -v[38:39]
	v_add_f64 v[34:35], v[34:35], -v[80:81]
	s_waitcnt lgkmcnt(0)
	v_mul_f64 v[38:39], v[86:87], v[116:117]
	v_mul_f64 v[80:81], v[84:85], v[116:117]
	v_fma_f64 v[38:39], v[84:85], v[36:37], -v[38:39]
	v_fmac_f64_e32 v[80:81], v[86:87], v[36:37]
	s_waitcnt vmcnt(0)
	v_add_f64 v[40:41], v[40:41], -v[38:39]
	v_add_f64 v[42:43], v[42:43], -v[80:81]
	v_mov_b64_e32 v[38:39], v[116:117]
.LBB21_82:
	s_or_b64 exec, exec, s[2:3]
	v_cmp_eq_u32_e32 vcc, 9, v112
	s_waitcnt lgkmcnt(0)
	s_barrier
	s_and_saveexec_b64 s[4:5], vcc
	s_cbranch_execz .LBB21_89
; %bb.83:
	s_waitcnt vmcnt(1)
	ds_write2_b64 v113, v[32:33], v[34:35] offset1:1
	s_waitcnt vmcnt(0)
	ds_write2_b64 v114, v[40:41], v[42:43] offset0:20 offset1:21
	ds_read2_b64 v[80:83], v113 offset1:1
	s_waitcnt lgkmcnt(0)
	v_cmp_neq_f64_e32 vcc, 0, v[80:81]
	v_cmp_neq_f64_e64 s[2:3], 0, v[82:83]
	s_or_b64 s[2:3], vcc, s[2:3]
	s_and_b64 exec, exec, s[2:3]
	s_cbranch_execz .LBB21_89
; %bb.84:
	v_cmp_ngt_f64_e64 s[2:3], |v[80:81]|, |v[82:83]|
                                        ; implicit-def: $vgpr84_vgpr85
	s_and_saveexec_b64 s[8:9], s[2:3]
	s_xor_b64 s[2:3], exec, s[8:9]
                                        ; implicit-def: $vgpr86_vgpr87
	s_cbranch_execz .LBB21_86
; %bb.85:
	v_div_scale_f64 v[84:85], s[8:9], v[82:83], v[82:83], v[80:81]
	v_rcp_f64_e32 v[86:87], v[84:85]
	v_div_scale_f64 v[116:117], vcc, v[80:81], v[82:83], v[80:81]
	v_fma_f64 v[118:119], -v[84:85], v[86:87], 1.0
	v_fmac_f64_e32 v[86:87], v[86:87], v[118:119]
	v_fma_f64 v[118:119], -v[84:85], v[86:87], 1.0
	v_fmac_f64_e32 v[86:87], v[86:87], v[118:119]
	v_mul_f64 v[118:119], v[116:117], v[86:87]
	v_fma_f64 v[84:85], -v[84:85], v[118:119], v[116:117]
	v_div_fmas_f64 v[84:85], v[84:85], v[86:87], v[118:119]
	v_div_fixup_f64 v[84:85], v[84:85], v[82:83], v[80:81]
	v_fmac_f64_e32 v[82:83], v[80:81], v[84:85]
	v_div_scale_f64 v[80:81], s[8:9], v[82:83], v[82:83], 1.0
	v_rcp_f64_e32 v[86:87], v[80:81]
	s_nop 0
	v_fma_f64 v[116:117], -v[80:81], v[86:87], 1.0
	v_fmac_f64_e32 v[86:87], v[86:87], v[116:117]
	v_fma_f64 v[116:117], -v[80:81], v[86:87], 1.0
	v_fmac_f64_e32 v[86:87], v[86:87], v[116:117]
	v_div_scale_f64 v[116:117], vcc, 1.0, v[82:83], 1.0
	v_mul_f64 v[118:119], v[116:117], v[86:87]
	v_fma_f64 v[80:81], -v[80:81], v[118:119], v[116:117]
	s_nop 1
	v_div_fmas_f64 v[80:81], v[80:81], v[86:87], v[118:119]
	v_div_fixup_f64 v[86:87], v[80:81], v[82:83], 1.0
	v_mul_f64 v[84:85], v[84:85], v[86:87]
	v_xor_b32_e32 v87, 0x80000000, v87
                                        ; implicit-def: $vgpr80_vgpr81
.LBB21_86:
	s_andn2_saveexec_b64 s[2:3], s[2:3]
	s_cbranch_execz .LBB21_88
; %bb.87:
	v_div_scale_f64 v[84:85], s[8:9], v[80:81], v[80:81], v[82:83]
	v_rcp_f64_e32 v[86:87], v[84:85]
	v_div_scale_f64 v[116:117], vcc, v[82:83], v[80:81], v[82:83]
	v_fma_f64 v[118:119], -v[84:85], v[86:87], 1.0
	v_fmac_f64_e32 v[86:87], v[86:87], v[118:119]
	v_fma_f64 v[118:119], -v[84:85], v[86:87], 1.0
	v_fmac_f64_e32 v[86:87], v[86:87], v[118:119]
	v_mul_f64 v[118:119], v[116:117], v[86:87]
	v_fma_f64 v[84:85], -v[84:85], v[118:119], v[116:117]
	v_div_fmas_f64 v[84:85], v[84:85], v[86:87], v[118:119]
	v_div_fixup_f64 v[86:87], v[84:85], v[80:81], v[82:83]
	v_fmac_f64_e32 v[80:81], v[82:83], v[86:87]
	v_div_scale_f64 v[82:83], s[8:9], v[80:81], v[80:81], 1.0
	v_rcp_f64_e32 v[84:85], v[82:83]
	s_nop 0
	v_fma_f64 v[116:117], -v[82:83], v[84:85], 1.0
	v_fmac_f64_e32 v[84:85], v[84:85], v[116:117]
	v_fma_f64 v[116:117], -v[82:83], v[84:85], 1.0
	v_fmac_f64_e32 v[84:85], v[84:85], v[116:117]
	v_div_scale_f64 v[116:117], vcc, 1.0, v[80:81], 1.0
	v_mul_f64 v[118:119], v[116:117], v[84:85]
	v_fma_f64 v[82:83], -v[82:83], v[118:119], v[116:117]
	s_nop 1
	v_div_fmas_f64 v[82:83], v[82:83], v[84:85], v[118:119]
	v_div_fixup_f64 v[84:85], v[82:83], v[80:81], 1.0
	v_mul_f64 v[86:87], v[86:87], -v[84:85]
.LBB21_88:
	s_or_b64 exec, exec, s[2:3]
	ds_write2_b64 v113, v[84:85], v[86:87] offset1:1
.LBB21_89:
	s_or_b64 exec, exec, s[4:5]
	s_waitcnt lgkmcnt(0)
	s_barrier
	ds_read2_b64 v[80:83], v113 offset1:1
	v_cmp_lt_u32_e32 vcc, 9, v112
	s_and_saveexec_b64 s[2:3], vcc
	s_cbranch_execz .LBB21_91
; %bb.90:
	ds_read2_b64 v[84:87], v114 offset0:20 offset1:21
	s_waitcnt vmcnt(1) lgkmcnt(1)
	v_mul_f64 v[114:115], v[80:81], v[34:35]
	v_mul_f64 v[34:35], v[82:83], v[34:35]
	v_fmac_f64_e32 v[114:115], v[82:83], v[32:33]
	v_fma_f64 v[32:33], v[80:81], v[32:33], -v[34:35]
	s_waitcnt lgkmcnt(0)
	v_mul_f64 v[34:35], v[86:87], v[114:115]
	v_fma_f64 v[34:35], v[84:85], v[32:33], -v[34:35]
	v_mul_f64 v[84:85], v[84:85], v[114:115]
	v_fmac_f64_e32 v[84:85], v[86:87], v[32:33]
	s_waitcnt vmcnt(0)
	v_add_f64 v[40:41], v[40:41], -v[34:35]
	v_add_f64 v[42:43], v[42:43], -v[84:85]
	v_mov_b64_e32 v[34:35], v[114:115]
.LBB21_91:
	s_or_b64 exec, exec, s[2:3]
	v_cmp_eq_u32_e32 vcc, 10, v112
	s_waitcnt lgkmcnt(0)
	s_barrier
	s_and_saveexec_b64 s[4:5], vcc
	s_cbranch_execz .LBB21_98
; %bb.92:
	s_waitcnt vmcnt(0)
	v_cmp_neq_f64_e32 vcc, 0, v[40:41]
	v_cmp_neq_f64_e64 s[2:3], 0, v[42:43]
	s_or_b64 s[2:3], vcc, s[2:3]
	ds_write2_b64 v113, v[40:41], v[42:43] offset1:1
	s_and_b64 exec, exec, s[2:3]
	s_cbranch_execz .LBB21_98
; %bb.93:
	v_cmp_ngt_f64_e64 s[2:3], |v[40:41]|, |v[42:43]|
                                        ; implicit-def: $vgpr84_vgpr85
	s_and_saveexec_b64 s[8:9], s[2:3]
	s_xor_b64 s[2:3], exec, s[8:9]
                                        ; implicit-def: $vgpr86_vgpr87
	s_cbranch_execz .LBB21_95
; %bb.94:
	v_div_scale_f64 v[84:85], s[8:9], v[42:43], v[42:43], v[40:41]
	v_rcp_f64_e32 v[86:87], v[84:85]
	v_div_scale_f64 v[114:115], vcc, v[40:41], v[42:43], v[40:41]
	v_fma_f64 v[116:117], -v[84:85], v[86:87], 1.0
	v_fmac_f64_e32 v[86:87], v[86:87], v[116:117]
	v_fma_f64 v[116:117], -v[84:85], v[86:87], 1.0
	v_fmac_f64_e32 v[86:87], v[86:87], v[116:117]
	v_mul_f64 v[116:117], v[114:115], v[86:87]
	v_fma_f64 v[84:85], -v[84:85], v[116:117], v[114:115]
	v_div_fmas_f64 v[84:85], v[84:85], v[86:87], v[116:117]
	v_div_fixup_f64 v[84:85], v[84:85], v[42:43], v[40:41]
	v_fma_f64 v[86:87], v[40:41], v[84:85], v[42:43]
	v_div_scale_f64 v[114:115], s[8:9], v[86:87], v[86:87], 1.0
	v_rcp_f64_e32 v[116:117], v[114:115]
	s_nop 0
	v_fma_f64 v[118:119], -v[114:115], v[116:117], 1.0
	v_fmac_f64_e32 v[116:117], v[116:117], v[118:119]
	v_fma_f64 v[118:119], -v[114:115], v[116:117], 1.0
	v_fmac_f64_e32 v[116:117], v[116:117], v[118:119]
	v_div_scale_f64 v[118:119], vcc, 1.0, v[86:87], 1.0
	v_mul_f64 v[120:121], v[118:119], v[116:117]
	v_fma_f64 v[114:115], -v[114:115], v[120:121], v[118:119]
	s_nop 1
	v_div_fmas_f64 v[114:115], v[114:115], v[116:117], v[120:121]
	v_div_fixup_f64 v[86:87], v[114:115], v[86:87], 1.0
	v_mul_f64 v[84:85], v[84:85], v[86:87]
	v_xor_b32_e32 v87, 0x80000000, v87
.LBB21_95:
	s_andn2_saveexec_b64 s[2:3], s[2:3]
	s_cbranch_execz .LBB21_97
; %bb.96:
	v_div_scale_f64 v[84:85], s[8:9], v[40:41], v[40:41], v[42:43]
	v_rcp_f64_e32 v[86:87], v[84:85]
	v_div_scale_f64 v[114:115], vcc, v[42:43], v[40:41], v[42:43]
	v_fma_f64 v[116:117], -v[84:85], v[86:87], 1.0
	v_fmac_f64_e32 v[86:87], v[86:87], v[116:117]
	v_fma_f64 v[116:117], -v[84:85], v[86:87], 1.0
	v_fmac_f64_e32 v[86:87], v[86:87], v[116:117]
	v_mul_f64 v[116:117], v[114:115], v[86:87]
	v_fma_f64 v[84:85], -v[84:85], v[116:117], v[114:115]
	v_div_fmas_f64 v[84:85], v[84:85], v[86:87], v[116:117]
	v_div_fixup_f64 v[86:87], v[84:85], v[40:41], v[42:43]
	v_fma_f64 v[84:85], v[42:43], v[86:87], v[40:41]
	v_div_scale_f64 v[114:115], s[8:9], v[84:85], v[84:85], 1.0
	v_rcp_f64_e32 v[116:117], v[114:115]
	s_nop 0
	v_fma_f64 v[118:119], -v[114:115], v[116:117], 1.0
	v_fmac_f64_e32 v[116:117], v[116:117], v[118:119]
	v_fma_f64 v[118:119], -v[114:115], v[116:117], 1.0
	v_fmac_f64_e32 v[116:117], v[116:117], v[118:119]
	v_div_scale_f64 v[118:119], vcc, 1.0, v[84:85], 1.0
	v_mul_f64 v[120:121], v[118:119], v[116:117]
	v_fma_f64 v[114:115], -v[114:115], v[120:121], v[118:119]
	s_nop 1
	v_div_fmas_f64 v[114:115], v[114:115], v[116:117], v[120:121]
	v_div_fixup_f64 v[84:85], v[114:115], v[84:85], 1.0
	v_mul_f64 v[86:87], v[86:87], -v[84:85]
.LBB21_97:
	s_or_b64 exec, exec, s[2:3]
	ds_write2_b64 v113, v[84:85], v[86:87] offset1:1
.LBB21_98:
	s_or_b64 exec, exec, s[4:5]
	s_waitcnt lgkmcnt(0)
	s_barrier
	ds_read2_b64 v[84:87], v113 offset1:1
	s_waitcnt lgkmcnt(0)
	s_barrier
	s_and_saveexec_b64 s[46:47], s[0:1]
	s_cbranch_execz .LBB21_101
; %bb.99:
	v_mov_b32_e32 v114, s6
	v_mov_b32_e32 v115, s7
	v_lshl_add_u64 v[104:105], v[104:105], 2, v[114:115]
	global_load_dword v113, v[104:105], off
	v_cmp_eq_f64_e32 vcc, 0, v[44:45]
	v_cmp_eq_f64_e64 s[0:1], 0, v[46:47]
	v_cmp_neq_f64_e64 s[2:3], 0, v[48:49]
	v_cmp_neq_f64_e64 s[4:5], 0, v[50:51]
	s_and_b64 s[0:1], vcc, s[0:1]
	s_or_b64 s[2:3], s[2:3], s[4:5]
	v_cndmask_b32_e64 v44, 0, 1, s[0:1]
	s_or_b64 vcc, s[2:3], s[0:1]
	v_cmp_eq_f64_e64 s[6:7], 0, v[52:53]
	v_cmp_eq_f64_e64 s[8:9], 0, v[54:55]
	v_cndmask_b32_e32 v44, 2, v44, vcc
	s_and_b64 s[4:5], s[6:7], s[8:9]
	v_cmp_eq_u32_e32 vcc, 0, v44
	s_and_b64 s[0:1], s[4:5], vcc
	v_cmp_eq_f64_e64 s[10:11], 0, v[56:57]
	v_cmp_eq_f64_e64 s[12:13], 0, v[58:59]
	v_cndmask_b32_e64 v44, v44, 3, s[0:1]
	s_and_b64 s[6:7], s[10:11], s[12:13]
	v_cmp_eq_u32_e32 vcc, 0, v44
	s_and_b64 s[0:1], s[6:7], vcc
	v_cmp_eq_f64_e64 s[14:15], 0, v[60:61]
	v_cmp_eq_f64_e64 s[16:17], 0, v[62:63]
	v_cndmask_b32_e64 v44, v44, 4, s[0:1]
	;; [unrolled: 6-line block ×8, first 2 shown]
	s_and_b64 s[20:21], s[40:41], s[42:43]
	v_cmp_eq_u32_e32 vcc, 0, v44
	s_and_b64 s[0:1], s[20:21], vcc
	v_cndmask_b32_e64 v44, v44, 11, s[0:1]
	v_cmp_ne_u32_e64 s[0:1], 0, v44
	s_waitcnt vmcnt(0)
	v_cmp_eq_u32_e32 vcc, 0, v113
	s_and_b64 s[0:1], vcc, s[0:1]
	s_and_b64 exec, exec, s[0:1]
	s_cbranch_execz .LBB21_101
; %bb.100:
	v_add_u32_e32 v44, s45, v44
	global_store_dword v[104:105], v44, off
.LBB21_101:
	s_or_b64 exec, exec, s[46:47]
	s_waitcnt vmcnt(0)
	v_mul_f64 v[44:45], v[86:87], v[42:43]
	v_mul_f64 v[46:47], v[84:85], v[42:43]
	v_fma_f64 v[44:45], v[84:85], v[40:41], -v[44:45]
	v_fmac_f64_e32 v[46:47], v[86:87], v[40:41]
	v_cmp_lt_u32_e32 vcc, 10, v112
	s_nop 1
	v_cndmask_b32_e32 v43, v43, v47, vcc
	v_cndmask_b32_e32 v42, v42, v46, vcc
	;; [unrolled: 1-line block ×4, first 2 shown]
	global_store_dwordx4 v[88:89], v[4:7], off
	global_store_dwordx4 v[90:91], v[0:3], off
	;; [unrolled: 1-line block ×11, first 2 shown]
.LBB21_102:
	s_endpgm
	.section	.rodata,"a",@progbits
	.p2align	6, 0x0
	.amdhsa_kernel _ZN9rocsolver6v33100L23getf2_npvt_small_kernelILi11E19rocblas_complex_numIdEiiPS3_EEvT1_T3_lS5_lPT2_S5_S5_
		.amdhsa_group_segment_fixed_size 0
		.amdhsa_private_segment_fixed_size 0
		.amdhsa_kernarg_size 312
		.amdhsa_user_sgpr_count 2
		.amdhsa_user_sgpr_dispatch_ptr 0
		.amdhsa_user_sgpr_queue_ptr 0
		.amdhsa_user_sgpr_kernarg_segment_ptr 1
		.amdhsa_user_sgpr_dispatch_id 0
		.amdhsa_user_sgpr_kernarg_preload_length 0
		.amdhsa_user_sgpr_kernarg_preload_offset 0
		.amdhsa_user_sgpr_private_segment_size 0
		.amdhsa_uses_dynamic_stack 0
		.amdhsa_enable_private_segment 0
		.amdhsa_system_sgpr_workgroup_id_x 1
		.amdhsa_system_sgpr_workgroup_id_y 1
		.amdhsa_system_sgpr_workgroup_id_z 0
		.amdhsa_system_sgpr_workgroup_info 0
		.amdhsa_system_vgpr_workitem_id 1
		.amdhsa_next_free_vgpr 122
		.amdhsa_next_free_sgpr 48
		.amdhsa_accum_offset 124
		.amdhsa_reserve_vcc 1
		.amdhsa_float_round_mode_32 0
		.amdhsa_float_round_mode_16_64 0
		.amdhsa_float_denorm_mode_32 3
		.amdhsa_float_denorm_mode_16_64 3
		.amdhsa_dx10_clamp 1
		.amdhsa_ieee_mode 1
		.amdhsa_fp16_overflow 0
		.amdhsa_tg_split 0
		.amdhsa_exception_fp_ieee_invalid_op 0
		.amdhsa_exception_fp_denorm_src 0
		.amdhsa_exception_fp_ieee_div_zero 0
		.amdhsa_exception_fp_ieee_overflow 0
		.amdhsa_exception_fp_ieee_underflow 0
		.amdhsa_exception_fp_ieee_inexact 0
		.amdhsa_exception_int_div_zero 0
	.end_amdhsa_kernel
	.section	.text._ZN9rocsolver6v33100L23getf2_npvt_small_kernelILi11E19rocblas_complex_numIdEiiPS3_EEvT1_T3_lS5_lPT2_S5_S5_,"axG",@progbits,_ZN9rocsolver6v33100L23getf2_npvt_small_kernelILi11E19rocblas_complex_numIdEiiPS3_EEvT1_T3_lS5_lPT2_S5_S5_,comdat
.Lfunc_end21:
	.size	_ZN9rocsolver6v33100L23getf2_npvt_small_kernelILi11E19rocblas_complex_numIdEiiPS3_EEvT1_T3_lS5_lPT2_S5_S5_, .Lfunc_end21-_ZN9rocsolver6v33100L23getf2_npvt_small_kernelILi11E19rocblas_complex_numIdEiiPS3_EEvT1_T3_lS5_lPT2_S5_S5_
                                        ; -- End function
	.set _ZN9rocsolver6v33100L23getf2_npvt_small_kernelILi11E19rocblas_complex_numIdEiiPS3_EEvT1_T3_lS5_lPT2_S5_S5_.num_vgpr, 122
	.set _ZN9rocsolver6v33100L23getf2_npvt_small_kernelILi11E19rocblas_complex_numIdEiiPS3_EEvT1_T3_lS5_lPT2_S5_S5_.num_agpr, 0
	.set _ZN9rocsolver6v33100L23getf2_npvt_small_kernelILi11E19rocblas_complex_numIdEiiPS3_EEvT1_T3_lS5_lPT2_S5_S5_.numbered_sgpr, 48
	.set _ZN9rocsolver6v33100L23getf2_npvt_small_kernelILi11E19rocblas_complex_numIdEiiPS3_EEvT1_T3_lS5_lPT2_S5_S5_.num_named_barrier, 0
	.set _ZN9rocsolver6v33100L23getf2_npvt_small_kernelILi11E19rocblas_complex_numIdEiiPS3_EEvT1_T3_lS5_lPT2_S5_S5_.private_seg_size, 0
	.set _ZN9rocsolver6v33100L23getf2_npvt_small_kernelILi11E19rocblas_complex_numIdEiiPS3_EEvT1_T3_lS5_lPT2_S5_S5_.uses_vcc, 1
	.set _ZN9rocsolver6v33100L23getf2_npvt_small_kernelILi11E19rocblas_complex_numIdEiiPS3_EEvT1_T3_lS5_lPT2_S5_S5_.uses_flat_scratch, 0
	.set _ZN9rocsolver6v33100L23getf2_npvt_small_kernelILi11E19rocblas_complex_numIdEiiPS3_EEvT1_T3_lS5_lPT2_S5_S5_.has_dyn_sized_stack, 0
	.set _ZN9rocsolver6v33100L23getf2_npvt_small_kernelILi11E19rocblas_complex_numIdEiiPS3_EEvT1_T3_lS5_lPT2_S5_S5_.has_recursion, 0
	.set _ZN9rocsolver6v33100L23getf2_npvt_small_kernelILi11E19rocblas_complex_numIdEiiPS3_EEvT1_T3_lS5_lPT2_S5_S5_.has_indirect_call, 0
	.section	.AMDGPU.csdata,"",@progbits
; Kernel info:
; codeLenInByte = 10804
; TotalNumSgprs: 54
; NumVgprs: 122
; NumAgprs: 0
; TotalNumVgprs: 122
; ScratchSize: 0
; MemoryBound: 0
; FloatMode: 240
; IeeeMode: 1
; LDSByteSize: 0 bytes/workgroup (compile time only)
; SGPRBlocks: 6
; VGPRBlocks: 15
; NumSGPRsForWavesPerEU: 54
; NumVGPRsForWavesPerEU: 122
; AccumOffset: 124
; Occupancy: 4
; WaveLimiterHint : 0
; COMPUTE_PGM_RSRC2:SCRATCH_EN: 0
; COMPUTE_PGM_RSRC2:USER_SGPR: 2
; COMPUTE_PGM_RSRC2:TRAP_HANDLER: 0
; COMPUTE_PGM_RSRC2:TGID_X_EN: 1
; COMPUTE_PGM_RSRC2:TGID_Y_EN: 1
; COMPUTE_PGM_RSRC2:TGID_Z_EN: 0
; COMPUTE_PGM_RSRC2:TIDIG_COMP_CNT: 1
; COMPUTE_PGM_RSRC3_GFX90A:ACCUM_OFFSET: 30
; COMPUTE_PGM_RSRC3_GFX90A:TG_SPLIT: 0
	.section	.text._ZN9rocsolver6v33100L18getf2_small_kernelILi12E19rocblas_complex_numIdEiiPS3_EEvT1_T3_lS5_lPS5_llPT2_S5_S5_S7_l,"axG",@progbits,_ZN9rocsolver6v33100L18getf2_small_kernelILi12E19rocblas_complex_numIdEiiPS3_EEvT1_T3_lS5_lPS5_llPT2_S5_S5_S7_l,comdat
	.globl	_ZN9rocsolver6v33100L18getf2_small_kernelILi12E19rocblas_complex_numIdEiiPS3_EEvT1_T3_lS5_lPS5_llPT2_S5_S5_S7_l ; -- Begin function _ZN9rocsolver6v33100L18getf2_small_kernelILi12E19rocblas_complex_numIdEiiPS3_EEvT1_T3_lS5_lPS5_llPT2_S5_S5_S7_l
	.p2align	8
	.type	_ZN9rocsolver6v33100L18getf2_small_kernelILi12E19rocblas_complex_numIdEiiPS3_EEvT1_T3_lS5_lPS5_llPT2_S5_S5_S7_l,@function
_ZN9rocsolver6v33100L18getf2_small_kernelILi12E19rocblas_complex_numIdEiiPS3_EEvT1_T3_lS5_lPS5_llPT2_S5_S5_S7_l: ; @_ZN9rocsolver6v33100L18getf2_small_kernelILi12E19rocblas_complex_numIdEiiPS3_EEvT1_T3_lS5_lPS5_llPT2_S5_S5_S7_l
; %bb.0:
	s_load_dword s2, s[0:1], 0x6c
	s_load_dwordx2 s[16:17], s[0:1], 0x48
	v_bfe_u32 v48, v0, 10, 10
	s_waitcnt lgkmcnt(0)
	s_lshr_b32 s2, s2, 16
	s_mul_i32 s3, s3, s2
	v_add_u32_e32 v52, s3, v48
	v_cmp_gt_i32_e32 vcc, s16, v52
	s_and_saveexec_b64 s[2:3], vcc
	s_cbranch_execz .LBB22_253
; %bb.1:
	s_load_dwordx4 s[4:7], s[0:1], 0x50
	v_ashrrev_i32_e32 v53, 31, v52
	v_mov_b64_e32 v[56:57], 0
	s_waitcnt lgkmcnt(0)
	s_cmp_eq_u64 s[4:5], 0
	s_cselect_b64 s[18:19], -1, 0
	s_and_b64 vcc, exec, s[18:19]
	s_cbranch_vccnz .LBB22_3
; %bb.2:
	v_mul_lo_u32 v1, s7, v52
	v_mul_lo_u32 v4, s6, v53
	v_mad_u64_u32 v[2:3], s[2:3], s6, v52, 0
	v_add3_u32 v3, v3, v4, v1
	v_lshl_add_u64 v[56:57], v[2:3], 2, s[4:5]
.LBB22_3:
	s_load_dwordx4 s[12:15], s[0:1], 0x8
	s_load_dwordx8 s[4:11], s[0:1], 0x20
	s_load_dword s2, s[0:1], 0x18
	s_load_dword s20, s[0:1], 0x0
	v_and_b32_e32 v62, 0x3ff, v0
	s_waitcnt lgkmcnt(0)
	v_mov_b32_e32 v2, s12
	v_mul_lo_u32 v1, s5, v52
	v_mul_lo_u32 v6, s4, v53
	v_mad_u64_u32 v[4:5], s[4:5], s4, v52, 0
	v_mov_b32_e32 v3, s13
	v_add3_u32 v5, v5, v6, v1
	v_lshl_add_u64 v[2:3], v[4:5], 4, v[2:3]
	v_lshl_add_u64 v[54:55], s[14:15], 4, v[2:3]
	v_lshlrev_b32_e32 v58, 4, v62
	v_mov_b32_e32 v59, 0
	v_lshl_add_u64 v[0:1], v[54:55], 0, v[58:59]
	s_ashr_i32 s3, s2, 31
	s_add_i32 s16, s2, s2
	v_lshl_add_u64 v[2:3], s[2:3], 4, v[0:1]
	global_load_dwordx4 v[40:43], v[0:1], off
	global_load_dwordx4 v[36:39], v[2:3], off
	v_add_u32_e32 v0, s16, v62
	v_ashrrev_i32_e32 v1, 31, v0
	v_lshl_add_u64 v[2:3], v[0:1], 4, v[54:55]
	v_add_u32_e32 v0, s2, v0
	v_ashrrev_i32_e32 v1, 31, v0
	v_lshl_add_u64 v[4:5], v[0:1], 4, v[54:55]
	v_add_u32_e32 v0, s2, v0
	v_ashrrev_i32_e32 v1, 31, v0
	global_load_dwordx4 v[32:35], v[2:3], off
	global_load_dwordx4 v[28:31], v[4:5], off
	v_lshl_add_u64 v[2:3], v[0:1], 4, v[54:55]
	v_add_u32_e32 v0, s2, v0
	v_ashrrev_i32_e32 v1, 31, v0
	v_lshl_add_u64 v[4:5], v[0:1], 4, v[54:55]
	v_add_u32_e32 v0, s2, v0
	v_ashrrev_i32_e32 v1, 31, v0
	global_load_dwordx4 v[24:27], v[2:3], off
	global_load_dwordx4 v[20:23], v[4:5], off
	;; [unrolled: 8-line block ×3, first 2 shown]
	v_lshl_add_u64 v[2:3], v[0:1], 4, v[54:55]
	v_add_u32_e32 v0, s2, v0
	v_ashrrev_i32_e32 v1, 31, v0
	v_lshl_add_u64 v[44:45], v[0:1], 4, v[54:55]
	v_add_u32_e32 v0, s2, v0
	v_ashrrev_i32_e32 v1, 31, v0
	;; [unrolled: 3-line block ×3, first 2 shown]
	global_load_dwordx4 v[8:11], v[2:3], off
	global_load_dwordx4 v[4:7], v[44:45], off
	v_lshl_add_u64 v[60:61], v[0:1], 4, v[54:55]
	global_load_dwordx4 v[0:3], v[50:51], off
	global_load_dwordx4 v[44:47], v[60:61], off
	s_load_dwordx2 s[4:5], s[0:1], 0x40
	s_max_i32 s0, s20, 12
	v_mul_lo_u32 v61, s0, v48
	v_lshl_add_u32 v60, v61, 4, 0
	v_add_u32_e32 v48, v60, v58
	s_cmp_lt_i32 s20, 2
	v_lshlrev_b32_e32 v61, 4, v61
	s_waitcnt vmcnt(11)
	ds_write2_b64 v48, v[40:41], v[42:43] offset1:1
	s_waitcnt lgkmcnt(0)
	s_barrier
	ds_read2_b64 v[48:51], v60 offset1:1
	s_cbranch_scc1 .LBB22_6
; %bb.4:
	v_add3_u32 v58, v61, 0, 16
	s_mov_b32 s12, 1
	v_mov_b32_e32 v59, 0
.LBB22_5:                               ; =>This Inner Loop Header: Depth=1
	ds_read2_b64 v[64:67], v58 offset1:1
	s_waitcnt lgkmcnt(1)
	v_xor_b32_e32 v63, 0x80000000, v49
	v_xor_b32_e32 v71, 0x80000000, v51
	v_cmp_gt_f64_e32 vcc, 0, v[50:51]
	v_cmp_gt_f64_e64 s[0:1], 0, v[48:49]
	v_mov_b32_e32 v68, v48
	v_mov_b32_e32 v70, v50
	v_cndmask_b32_e64 v69, v49, v63, s[0:1]
	v_cndmask_b32_e32 v71, v51, v71, vcc
	s_waitcnt lgkmcnt(0)
	v_xor_b32_e32 v63, 0x80000000, v65
	v_xor_b32_e32 v73, 0x80000000, v67
	v_cmp_gt_f64_e32 vcc, 0, v[66:67]
	v_cmp_gt_f64_e64 s[0:1], 0, v[64:65]
	v_add_f64 v[68:69], v[68:69], v[70:71]
	v_mov_b32_e32 v70, v64
	v_mov_b32_e32 v72, v66
	v_cndmask_b32_e64 v71, v65, v63, s[0:1]
	v_cndmask_b32_e32 v73, v67, v73, vcc
	v_add_f64 v[70:71], v[70:71], v[72:73]
	v_mov_b32_e32 v74, s12
	s_add_i32 s12, s12, 1
	v_cmp_lt_f64_e32 vcc, v[68:69], v[70:71]
	v_add_u32_e32 v58, 16, v58
	s_cmp_eq_u32 s20, s12
	v_cndmask_b32_e32 v49, v49, v65, vcc
	v_cndmask_b32_e32 v48, v48, v64, vcc
	v_cndmask_b32_e32 v51, v51, v67, vcc
	v_cndmask_b32_e32 v50, v50, v66, vcc
	v_cndmask_b32_e32 v59, v59, v74, vcc
	s_cbranch_scc0 .LBB22_5
.LBB22_6:
	s_waitcnt lgkmcnt(0)
	v_cmp_neq_f64_e32 vcc, 0, v[48:49]
	v_cmp_neq_f64_e64 s[0:1], 0, v[50:51]
	s_or_b64 s[12:13], vcc, s[0:1]
	v_mov_b32_e32 v63, 1
	v_mov_b32_e32 v64, 1
	s_and_saveexec_b64 s[0:1], s[12:13]
	s_cbranch_execz .LBB22_12
; %bb.7:
	v_cmp_ngt_f64_e64 s[12:13], |v[48:49]|, |v[50:51]|
	s_and_saveexec_b64 s[14:15], s[12:13]
	s_xor_b64 s[12:13], exec, s[14:15]
	s_cbranch_execz .LBB22_9
; %bb.8:
	v_div_scale_f64 v[64:65], s[14:15], v[50:51], v[50:51], v[48:49]
	v_rcp_f64_e32 v[66:67], v[64:65]
	v_div_scale_f64 v[68:69], vcc, v[48:49], v[50:51], v[48:49]
	v_fma_f64 v[70:71], -v[64:65], v[66:67], 1.0
	v_fmac_f64_e32 v[66:67], v[66:67], v[70:71]
	v_fma_f64 v[70:71], -v[64:65], v[66:67], 1.0
	v_fmac_f64_e32 v[66:67], v[66:67], v[70:71]
	v_mul_f64 v[70:71], v[68:69], v[66:67]
	v_fma_f64 v[64:65], -v[64:65], v[70:71], v[68:69]
	v_div_fmas_f64 v[64:65], v[64:65], v[66:67], v[70:71]
	v_div_fixup_f64 v[64:65], v[64:65], v[50:51], v[48:49]
	v_fmac_f64_e32 v[50:51], v[48:49], v[64:65]
	v_div_scale_f64 v[48:49], s[14:15], v[50:51], v[50:51], 1.0
	v_rcp_f64_e32 v[66:67], v[48:49]
	s_nop 0
	v_fma_f64 v[68:69], -v[48:49], v[66:67], 1.0
	v_fmac_f64_e32 v[66:67], v[66:67], v[68:69]
	v_fma_f64 v[68:69], -v[48:49], v[66:67], 1.0
	v_fmac_f64_e32 v[66:67], v[66:67], v[68:69]
	v_div_scale_f64 v[68:69], vcc, 1.0, v[50:51], 1.0
	v_mul_f64 v[70:71], v[68:69], v[66:67]
	v_fma_f64 v[48:49], -v[48:49], v[70:71], v[68:69]
	s_nop 1
	v_div_fmas_f64 v[48:49], v[48:49], v[66:67], v[70:71]
	v_div_fixup_f64 v[50:51], v[48:49], v[50:51], 1.0
	v_mul_f64 v[48:49], v[64:65], v[50:51]
	v_xor_b32_e32 v51, 0x80000000, v51
.LBB22_9:
	s_andn2_saveexec_b64 s[12:13], s[12:13]
	s_cbranch_execz .LBB22_11
; %bb.10:
	v_div_scale_f64 v[64:65], s[14:15], v[48:49], v[48:49], v[50:51]
	v_rcp_f64_e32 v[66:67], v[64:65]
	v_div_scale_f64 v[68:69], vcc, v[50:51], v[48:49], v[50:51]
	v_fma_f64 v[70:71], -v[64:65], v[66:67], 1.0
	v_fmac_f64_e32 v[66:67], v[66:67], v[70:71]
	v_fma_f64 v[70:71], -v[64:65], v[66:67], 1.0
	v_fmac_f64_e32 v[66:67], v[66:67], v[70:71]
	v_mul_f64 v[70:71], v[68:69], v[66:67]
	v_fma_f64 v[64:65], -v[64:65], v[70:71], v[68:69]
	v_div_fmas_f64 v[64:65], v[64:65], v[66:67], v[70:71]
	v_div_fixup_f64 v[64:65], v[64:65], v[48:49], v[50:51]
	v_fmac_f64_e32 v[48:49], v[50:51], v[64:65]
	v_div_scale_f64 v[50:51], s[14:15], v[48:49], v[48:49], 1.0
	v_rcp_f64_e32 v[66:67], v[50:51]
	s_nop 0
	v_fma_f64 v[68:69], -v[50:51], v[66:67], 1.0
	v_fmac_f64_e32 v[66:67], v[66:67], v[68:69]
	v_fma_f64 v[68:69], -v[50:51], v[66:67], 1.0
	v_fmac_f64_e32 v[66:67], v[66:67], v[68:69]
	v_div_scale_f64 v[68:69], vcc, 1.0, v[48:49], 1.0
	v_mul_f64 v[70:71], v[68:69], v[66:67]
	v_fma_f64 v[50:51], -v[50:51], v[70:71], v[68:69]
	s_nop 1
	v_div_fmas_f64 v[50:51], v[50:51], v[66:67], v[70:71]
	v_div_fixup_f64 v[48:49], v[50:51], v[48:49], 1.0
	v_mul_f64 v[50:51], v[64:65], -v[48:49]
.LBB22_11:
	s_or_b64 exec, exec, s[12:13]
	v_mov_b32_e32 v64, 0
	v_mov_b32_e32 v63, 2
.LBB22_12:
	s_or_b64 exec, exec, s[0:1]
	v_cmp_ne_u32_e32 vcc, v62, v59
	s_and_saveexec_b64 s[0:1], vcc
	s_xor_b64 s[0:1], exec, s[0:1]
	s_cbranch_execz .LBB22_18
; %bb.13:
	v_cmp_eq_u32_e32 vcc, 0, v62
	s_and_saveexec_b64 s[12:13], vcc
	s_cbranch_execz .LBB22_17
; %bb.14:
	v_cmp_ne_u32_e32 vcc, 0, v59
	s_xor_b64 s[14:15], s[18:19], -1
	s_and_b64 s[22:23], s[14:15], vcc
	s_and_saveexec_b64 s[14:15], s[22:23]
	s_cbranch_execz .LBB22_16
; %bb.15:
	v_ashrrev_i32_e32 v67, 31, v59
	v_mov_b32_e32 v66, v59
	v_lshl_add_u64 v[66:67], v[66:67], 2, v[56:57]
	global_load_dword v58, v[66:67], off
	global_load_dword v62, v[56:57], off
	s_waitcnt vmcnt(1)
	global_store_dword v[56:57], v58, off
	s_waitcnt vmcnt(1)
	global_store_dword v[66:67], v62, off
.LBB22_16:
	s_or_b64 exec, exec, s[14:15]
	v_mov_b32_e32 v62, v59
.LBB22_17:
	s_or_b64 exec, exec, s[12:13]
.LBB22_18:
	s_or_saveexec_b64 s[0:1], s[0:1]
	v_mov_b32_e32 v59, v62
	s_xor_b64 exec, exec, s[0:1]
	s_cbranch_execz .LBB22_20
; %bb.19:
	v_mov_b32_e32 v59, 0
	s_waitcnt vmcnt(10)
	ds_write2_b64 v60, v[36:37], v[38:39] offset0:2 offset1:3
	s_waitcnt vmcnt(9)
	ds_write2_b64 v60, v[32:33], v[34:35] offset0:4 offset1:5
	;; [unrolled: 2-line block ×11, first 2 shown]
.LBB22_20:
	s_or_b64 exec, exec, s[0:1]
	v_cmp_lt_i32_e32 vcc, 0, v59
	s_waitcnt lgkmcnt(0)
	s_barrier
	s_and_saveexec_b64 s[0:1], vcc
	s_cbranch_execz .LBB22_22
; %bb.21:
	ds_read2_b64 v[66:69], v60 offset0:2 offset1:3
	v_mul_f64 v[70:71], v[48:49], v[42:43]
	v_fmac_f64_e32 v[70:71], v[50:51], v[40:41]
	v_mul_f64 v[42:43], v[50:51], v[42:43]
	v_fma_f64 v[40:41], v[48:49], v[40:41], -v[42:43]
	ds_read2_b64 v[48:51], v60 offset0:4 offset1:5
	s_waitcnt lgkmcnt(1)
	v_mul_f64 v[42:43], v[68:69], v[70:71]
	v_fma_f64 v[42:43], v[66:67], v[40:41], -v[42:43]
	v_mul_f64 v[66:67], v[66:67], v[70:71]
	v_fmac_f64_e32 v[66:67], v[68:69], v[40:41]
	s_waitcnt vmcnt(10)
	v_add_f64 v[38:39], v[38:39], -v[66:67]
	ds_read2_b64 v[66:69], v60 offset0:6 offset1:7
	v_add_f64 v[36:37], v[36:37], -v[42:43]
	s_waitcnt lgkmcnt(1)
	v_mul_f64 v[42:43], v[50:51], v[70:71]
	v_fma_f64 v[42:43], v[48:49], v[40:41], -v[42:43]
	v_mul_f64 v[48:49], v[48:49], v[70:71]
	v_fmac_f64_e32 v[48:49], v[50:51], v[40:41]
	s_waitcnt vmcnt(9)
	v_add_f64 v[32:33], v[32:33], -v[42:43]
	v_add_f64 v[34:35], v[34:35], -v[48:49]
	ds_read2_b64 v[48:51], v60 offset0:8 offset1:9
	s_waitcnt lgkmcnt(1)
	v_mul_f64 v[42:43], v[68:69], v[70:71]
	v_fma_f64 v[42:43], v[66:67], v[40:41], -v[42:43]
	v_mul_f64 v[66:67], v[66:67], v[70:71]
	v_fmac_f64_e32 v[66:67], v[68:69], v[40:41]
	s_waitcnt vmcnt(8)
	v_add_f64 v[30:31], v[30:31], -v[66:67]
	ds_read2_b64 v[66:69], v60 offset0:10 offset1:11
	v_add_f64 v[28:29], v[28:29], -v[42:43]
	s_waitcnt lgkmcnt(1)
	v_mul_f64 v[42:43], v[50:51], v[70:71]
	v_fma_f64 v[42:43], v[48:49], v[40:41], -v[42:43]
	v_mul_f64 v[48:49], v[48:49], v[70:71]
	v_fmac_f64_e32 v[48:49], v[50:51], v[40:41]
	s_waitcnt vmcnt(7)
	v_add_f64 v[24:25], v[24:25], -v[42:43]
	v_add_f64 v[26:27], v[26:27], -v[48:49]
	;; [unrolled: 18-line block ×5, first 2 shown]
	s_waitcnt lgkmcnt(0)
	v_mul_f64 v[42:43], v[68:69], v[70:71]
	v_mul_f64 v[48:49], v[66:67], v[70:71]
	v_fma_f64 v[42:43], v[66:67], v[40:41], -v[42:43]
	v_fmac_f64_e32 v[48:49], v[68:69], v[40:41]
	s_waitcnt vmcnt(0)
	v_add_f64 v[44:45], v[44:45], -v[42:43]
	v_add_f64 v[46:47], v[46:47], -v[48:49]
	v_mov_b64_e32 v[42:43], v[70:71]
.LBB22_22:
	s_or_b64 exec, exec, s[0:1]
	v_lshl_add_u32 v48, v59, 4, v60
	s_barrier
	s_waitcnt vmcnt(10)
	ds_write2_b64 v48, v[36:37], v[38:39] offset1:1
	s_waitcnt lgkmcnt(0)
	s_barrier
	ds_read2_b64 v[48:51], v60 offset0:2 offset1:3
	s_cmp_lt_i32 s20, 3
	v_mov_b32_e32 v58, 1
	s_cbranch_scc1 .LBB22_25
; %bb.23:
	v_add3_u32 v65, v61, 0, 32
	s_mov_b32 s12, 2
	v_mov_b32_e32 v58, 1
.LBB22_24:                              ; =>This Inner Loop Header: Depth=1
	ds_read2_b64 v[66:69], v65 offset1:1
	s_waitcnt lgkmcnt(1)
	v_xor_b32_e32 v71, 0x80000000, v49
	v_xor_b32_e32 v73, 0x80000000, v51
	v_cmp_gt_f64_e32 vcc, 0, v[50:51]
	v_cmp_gt_f64_e64 s[0:1], 0, v[48:49]
	v_mov_b32_e32 v70, v48
	v_mov_b32_e32 v72, v50
	v_cndmask_b32_e64 v71, v49, v71, s[0:1]
	v_cndmask_b32_e32 v73, v51, v73, vcc
	v_add_f64 v[70:71], v[70:71], v[72:73]
	s_waitcnt lgkmcnt(0)
	v_xor_b32_e32 v73, 0x80000000, v67
	v_xor_b32_e32 v75, 0x80000000, v69
	v_cmp_gt_f64_e32 vcc, 0, v[68:69]
	v_cmp_gt_f64_e64 s[0:1], 0, v[66:67]
	v_mov_b32_e32 v72, v66
	v_mov_b32_e32 v74, v68
	v_cndmask_b32_e64 v73, v67, v73, s[0:1]
	v_cndmask_b32_e32 v75, v69, v75, vcc
	v_add_f64 v[72:73], v[72:73], v[74:75]
	v_mov_b32_e32 v76, s12
	s_add_i32 s12, s12, 1
	v_cmp_lt_f64_e32 vcc, v[70:71], v[72:73]
	v_add_u32_e32 v65, 16, v65
	s_cmp_lg_u32 s20, s12
	v_cndmask_b32_e32 v49, v49, v67, vcc
	v_cndmask_b32_e32 v48, v48, v66, vcc
	;; [unrolled: 1-line block ×5, first 2 shown]
	s_cbranch_scc1 .LBB22_24
.LBB22_25:
	s_waitcnt lgkmcnt(0)
	v_cmp_neq_f64_e32 vcc, 0, v[48:49]
	v_cmp_neq_f64_e64 s[0:1], 0, v[50:51]
	s_or_b64 s[12:13], vcc, s[0:1]
	s_and_saveexec_b64 s[0:1], s[12:13]
	s_cbranch_execz .LBB22_31
; %bb.26:
	v_cmp_ngt_f64_e64 s[12:13], |v[48:49]|, |v[50:51]|
	s_and_saveexec_b64 s[14:15], s[12:13]
	s_xor_b64 s[12:13], exec, s[14:15]
	s_cbranch_execz .LBB22_28
; %bb.27:
	v_div_scale_f64 v[66:67], s[14:15], v[50:51], v[50:51], v[48:49]
	v_rcp_f64_e32 v[68:69], v[66:67]
	v_div_scale_f64 v[70:71], vcc, v[48:49], v[50:51], v[48:49]
	v_fma_f64 v[72:73], -v[66:67], v[68:69], 1.0
	v_fmac_f64_e32 v[68:69], v[68:69], v[72:73]
	v_fma_f64 v[72:73], -v[66:67], v[68:69], 1.0
	v_fmac_f64_e32 v[68:69], v[68:69], v[72:73]
	v_mul_f64 v[72:73], v[70:71], v[68:69]
	v_fma_f64 v[66:67], -v[66:67], v[72:73], v[70:71]
	v_div_fmas_f64 v[66:67], v[66:67], v[68:69], v[72:73]
	v_div_fixup_f64 v[66:67], v[66:67], v[50:51], v[48:49]
	v_fmac_f64_e32 v[50:51], v[48:49], v[66:67]
	v_div_scale_f64 v[48:49], s[14:15], v[50:51], v[50:51], 1.0
	v_rcp_f64_e32 v[68:69], v[48:49]
	s_nop 0
	v_fma_f64 v[70:71], -v[48:49], v[68:69], 1.0
	v_fmac_f64_e32 v[68:69], v[68:69], v[70:71]
	v_fma_f64 v[70:71], -v[48:49], v[68:69], 1.0
	v_fmac_f64_e32 v[68:69], v[68:69], v[70:71]
	v_div_scale_f64 v[70:71], vcc, 1.0, v[50:51], 1.0
	v_mul_f64 v[72:73], v[70:71], v[68:69]
	v_fma_f64 v[48:49], -v[48:49], v[72:73], v[70:71]
	s_nop 1
	v_div_fmas_f64 v[48:49], v[48:49], v[68:69], v[72:73]
	v_div_fixup_f64 v[50:51], v[48:49], v[50:51], 1.0
	v_mul_f64 v[48:49], v[66:67], v[50:51]
	v_xor_b32_e32 v51, 0x80000000, v51
.LBB22_28:
	s_andn2_saveexec_b64 s[12:13], s[12:13]
	s_cbranch_execz .LBB22_30
; %bb.29:
	v_div_scale_f64 v[66:67], s[14:15], v[48:49], v[48:49], v[50:51]
	v_rcp_f64_e32 v[68:69], v[66:67]
	v_div_scale_f64 v[70:71], vcc, v[50:51], v[48:49], v[50:51]
	v_fma_f64 v[72:73], -v[66:67], v[68:69], 1.0
	v_fmac_f64_e32 v[68:69], v[68:69], v[72:73]
	v_fma_f64 v[72:73], -v[66:67], v[68:69], 1.0
	v_fmac_f64_e32 v[68:69], v[68:69], v[72:73]
	v_mul_f64 v[72:73], v[70:71], v[68:69]
	v_fma_f64 v[66:67], -v[66:67], v[72:73], v[70:71]
	v_div_fmas_f64 v[66:67], v[66:67], v[68:69], v[72:73]
	v_div_fixup_f64 v[66:67], v[66:67], v[48:49], v[50:51]
	v_fmac_f64_e32 v[48:49], v[50:51], v[66:67]
	v_div_scale_f64 v[50:51], s[14:15], v[48:49], v[48:49], 1.0
	v_rcp_f64_e32 v[68:69], v[50:51]
	s_nop 0
	v_fma_f64 v[70:71], -v[50:51], v[68:69], 1.0
	v_fmac_f64_e32 v[68:69], v[68:69], v[70:71]
	v_fma_f64 v[70:71], -v[50:51], v[68:69], 1.0
	v_fmac_f64_e32 v[68:69], v[68:69], v[70:71]
	v_div_scale_f64 v[70:71], vcc, 1.0, v[48:49], 1.0
	v_mul_f64 v[72:73], v[70:71], v[68:69]
	v_fma_f64 v[50:51], -v[50:51], v[72:73], v[70:71]
	s_nop 1
	v_div_fmas_f64 v[50:51], v[50:51], v[68:69], v[72:73]
	v_div_fixup_f64 v[48:49], v[50:51], v[48:49], 1.0
	v_mul_f64 v[50:51], v[66:67], -v[48:49]
.LBB22_30:
	s_or_b64 exec, exec, s[12:13]
	v_mov_b32_e32 v63, v64
.LBB22_31:
	s_or_b64 exec, exec, s[0:1]
	v_cmp_ne_u32_e32 vcc, v59, v58
	s_and_saveexec_b64 s[0:1], vcc
	s_xor_b64 s[0:1], exec, s[0:1]
	s_cbranch_execz .LBB22_37
; %bb.32:
	v_cmp_eq_u32_e32 vcc, 1, v59
	s_and_saveexec_b64 s[12:13], vcc
	s_cbranch_execz .LBB22_36
; %bb.33:
	v_cmp_ne_u32_e32 vcc, 1, v58
	s_xor_b64 s[14:15], s[18:19], -1
	s_and_b64 s[22:23], s[14:15], vcc
	s_and_saveexec_b64 s[14:15], s[22:23]
	s_cbranch_execz .LBB22_35
; %bb.34:
	v_ashrrev_i32_e32 v59, 31, v58
	v_lshl_add_u64 v[64:65], v[58:59], 2, v[56:57]
	global_load_dword v59, v[64:65], off
	global_load_dword v62, v[56:57], off offset:4
	s_waitcnt vmcnt(1)
	global_store_dword v[56:57], v59, off offset:4
	s_waitcnt vmcnt(1)
	global_store_dword v[64:65], v62, off
.LBB22_35:
	s_or_b64 exec, exec, s[14:15]
	v_mov_b32_e32 v59, v58
	v_mov_b32_e32 v62, v58
.LBB22_36:
	s_or_b64 exec, exec, s[12:13]
.LBB22_37:
	s_andn2_saveexec_b64 s[0:1], s[0:1]
	s_cbranch_execz .LBB22_39
; %bb.38:
	v_mov_b32_e32 v59, 1
	s_waitcnt vmcnt(9)
	ds_write2_b64 v60, v[32:33], v[34:35] offset0:4 offset1:5
	s_waitcnt vmcnt(8)
	ds_write2_b64 v60, v[28:29], v[30:31] offset0:6 offset1:7
	;; [unrolled: 2-line block ×10, first 2 shown]
.LBB22_39:
	s_or_b64 exec, exec, s[0:1]
	v_cmp_lt_i32_e32 vcc, 1, v59
	s_waitcnt lgkmcnt(0)
	s_barrier
	s_and_saveexec_b64 s[0:1], vcc
	s_cbranch_execz .LBB22_41
; %bb.40:
	ds_read2_b64 v[64:67], v60 offset0:4 offset1:5
	v_mul_f64 v[68:69], v[48:49], v[38:39]
	v_mul_f64 v[38:39], v[50:51], v[38:39]
	v_fmac_f64_e32 v[68:69], v[50:51], v[36:37]
	v_fma_f64 v[36:37], v[48:49], v[36:37], -v[38:39]
	ds_read2_b64 v[48:51], v60 offset0:6 offset1:7
	s_waitcnt lgkmcnt(1)
	v_mul_f64 v[38:39], v[66:67], v[68:69]
	v_fma_f64 v[38:39], v[64:65], v[36:37], -v[38:39]
	v_mul_f64 v[64:65], v[64:65], v[68:69]
	v_fmac_f64_e32 v[64:65], v[66:67], v[36:37]
	s_waitcnt vmcnt(9)
	v_add_f64 v[32:33], v[32:33], -v[38:39]
	s_waitcnt lgkmcnt(0)
	v_mul_f64 v[38:39], v[50:51], v[68:69]
	v_add_f64 v[34:35], v[34:35], -v[64:65]
	v_fma_f64 v[38:39], v[48:49], v[36:37], -v[38:39]
	v_mul_f64 v[48:49], v[48:49], v[68:69]
	ds_read2_b64 v[64:67], v60 offset0:8 offset1:9
	v_fmac_f64_e32 v[48:49], v[50:51], v[36:37]
	s_waitcnt vmcnt(8)
	v_add_f64 v[30:31], v[30:31], -v[48:49]
	ds_read2_b64 v[48:51], v60 offset0:10 offset1:11
	v_add_f64 v[28:29], v[28:29], -v[38:39]
	s_waitcnt lgkmcnt(1)
	v_mul_f64 v[38:39], v[66:67], v[68:69]
	v_fma_f64 v[38:39], v[64:65], v[36:37], -v[38:39]
	v_mul_f64 v[64:65], v[64:65], v[68:69]
	v_fmac_f64_e32 v[64:65], v[66:67], v[36:37]
	s_waitcnt vmcnt(7)
	v_add_f64 v[24:25], v[24:25], -v[38:39]
	s_waitcnt lgkmcnt(0)
	v_mul_f64 v[38:39], v[50:51], v[68:69]
	v_add_f64 v[26:27], v[26:27], -v[64:65]
	v_fma_f64 v[38:39], v[48:49], v[36:37], -v[38:39]
	v_mul_f64 v[48:49], v[48:49], v[68:69]
	ds_read2_b64 v[64:67], v60 offset0:12 offset1:13
	v_fmac_f64_e32 v[48:49], v[50:51], v[36:37]
	s_waitcnt vmcnt(6)
	v_add_f64 v[22:23], v[22:23], -v[48:49]
	ds_read2_b64 v[48:51], v60 offset0:14 offset1:15
	v_add_f64 v[20:21], v[20:21], -v[38:39]
	;; [unrolled: 18-line block ×4, first 2 shown]
	s_waitcnt lgkmcnt(1)
	v_mul_f64 v[38:39], v[66:67], v[68:69]
	v_fma_f64 v[38:39], v[64:65], v[36:37], -v[38:39]
	s_waitcnt vmcnt(1)
	v_add_f64 v[0:1], v[0:1], -v[38:39]
	s_waitcnt lgkmcnt(0)
	v_mul_f64 v[38:39], v[50:51], v[68:69]
	v_mul_f64 v[64:65], v[64:65], v[68:69]
	v_fma_f64 v[38:39], v[48:49], v[36:37], -v[38:39]
	v_mul_f64 v[48:49], v[48:49], v[68:69]
	v_fmac_f64_e32 v[64:65], v[66:67], v[36:37]
	v_fmac_f64_e32 v[48:49], v[50:51], v[36:37]
	v_add_f64 v[2:3], v[2:3], -v[64:65]
	s_waitcnt vmcnt(0)
	v_add_f64 v[44:45], v[44:45], -v[38:39]
	v_add_f64 v[46:47], v[46:47], -v[48:49]
	v_mov_b64_e32 v[38:39], v[68:69]
.LBB22_41:
	s_or_b64 exec, exec, s[0:1]
	v_lshl_add_u32 v48, v59, 4, v60
	s_barrier
	s_waitcnt vmcnt(9)
	ds_write2_b64 v48, v[32:33], v[34:35] offset1:1
	s_waitcnt lgkmcnt(0)
	s_barrier
	ds_read2_b64 v[48:51], v60 offset0:4 offset1:5
	s_cmp_lt_i32 s20, 4
	v_mov_b32_e32 v58, 2
	s_cbranch_scc1 .LBB22_44
; %bb.42:
	v_add3_u32 v64, v61, 0, 48
	s_mov_b32 s12, 3
	v_mov_b32_e32 v58, 2
.LBB22_43:                              ; =>This Inner Loop Header: Depth=1
	ds_read2_b64 v[66:69], v64 offset1:1
	s_waitcnt lgkmcnt(1)
	v_xor_b32_e32 v65, 0x80000000, v49
	v_xor_b32_e32 v73, 0x80000000, v51
	v_cmp_gt_f64_e32 vcc, 0, v[50:51]
	v_cmp_gt_f64_e64 s[0:1], 0, v[48:49]
	v_mov_b32_e32 v70, v48
	v_mov_b32_e32 v72, v50
	v_cndmask_b32_e64 v71, v49, v65, s[0:1]
	v_cndmask_b32_e32 v73, v51, v73, vcc
	s_waitcnt lgkmcnt(0)
	v_xor_b32_e32 v65, 0x80000000, v67
	v_xor_b32_e32 v75, 0x80000000, v69
	v_cmp_gt_f64_e32 vcc, 0, v[68:69]
	v_cmp_gt_f64_e64 s[0:1], 0, v[66:67]
	v_add_f64 v[70:71], v[70:71], v[72:73]
	v_mov_b32_e32 v72, v66
	v_mov_b32_e32 v74, v68
	v_cndmask_b32_e64 v73, v67, v65, s[0:1]
	v_cndmask_b32_e32 v75, v69, v75, vcc
	v_add_f64 v[72:73], v[72:73], v[74:75]
	v_mov_b32_e32 v76, s12
	s_add_i32 s12, s12, 1
	v_cmp_lt_f64_e32 vcc, v[70:71], v[72:73]
	v_add_u32_e32 v64, 16, v64
	s_cmp_lg_u32 s20, s12
	v_cndmask_b32_e32 v49, v49, v67, vcc
	v_cndmask_b32_e32 v48, v48, v66, vcc
	;; [unrolled: 1-line block ×5, first 2 shown]
	s_cbranch_scc1 .LBB22_43
.LBB22_44:
	s_waitcnt lgkmcnt(0)
	v_cmp_eq_f64_e32 vcc, 0, v[48:49]
	v_cmp_eq_f64_e64 s[0:1], 0, v[50:51]
	s_and_b64 s[0:1], vcc, s[0:1]
	s_and_saveexec_b64 s[12:13], s[0:1]
	s_xor_b64 s[0:1], exec, s[12:13]
; %bb.45:
	v_cmp_ne_u32_e32 vcc, 0, v63
	s_nop 1
	v_cndmask_b32_e32 v63, 3, v63, vcc
; %bb.46:
	s_andn2_saveexec_b64 s[0:1], s[0:1]
	s_cbranch_execz .LBB22_52
; %bb.47:
	v_cmp_ngt_f64_e64 s[12:13], |v[48:49]|, |v[50:51]|
	s_and_saveexec_b64 s[14:15], s[12:13]
	s_xor_b64 s[12:13], exec, s[14:15]
	s_cbranch_execz .LBB22_49
; %bb.48:
	v_div_scale_f64 v[64:65], s[14:15], v[50:51], v[50:51], v[48:49]
	v_rcp_f64_e32 v[66:67], v[64:65]
	v_div_scale_f64 v[68:69], vcc, v[48:49], v[50:51], v[48:49]
	v_fma_f64 v[70:71], -v[64:65], v[66:67], 1.0
	v_fmac_f64_e32 v[66:67], v[66:67], v[70:71]
	v_fma_f64 v[70:71], -v[64:65], v[66:67], 1.0
	v_fmac_f64_e32 v[66:67], v[66:67], v[70:71]
	v_mul_f64 v[70:71], v[68:69], v[66:67]
	v_fma_f64 v[64:65], -v[64:65], v[70:71], v[68:69]
	v_div_fmas_f64 v[64:65], v[64:65], v[66:67], v[70:71]
	v_div_fixup_f64 v[64:65], v[64:65], v[50:51], v[48:49]
	v_fmac_f64_e32 v[50:51], v[48:49], v[64:65]
	v_div_scale_f64 v[48:49], s[14:15], v[50:51], v[50:51], 1.0
	v_rcp_f64_e32 v[66:67], v[48:49]
	s_nop 0
	v_fma_f64 v[68:69], -v[48:49], v[66:67], 1.0
	v_fmac_f64_e32 v[66:67], v[66:67], v[68:69]
	v_fma_f64 v[68:69], -v[48:49], v[66:67], 1.0
	v_fmac_f64_e32 v[66:67], v[66:67], v[68:69]
	v_div_scale_f64 v[68:69], vcc, 1.0, v[50:51], 1.0
	v_mul_f64 v[70:71], v[68:69], v[66:67]
	v_fma_f64 v[48:49], -v[48:49], v[70:71], v[68:69]
	s_nop 1
	v_div_fmas_f64 v[48:49], v[48:49], v[66:67], v[70:71]
	v_div_fixup_f64 v[50:51], v[48:49], v[50:51], 1.0
	v_mul_f64 v[48:49], v[64:65], v[50:51]
	v_xor_b32_e32 v51, 0x80000000, v51
.LBB22_49:
	s_andn2_saveexec_b64 s[12:13], s[12:13]
	s_cbranch_execz .LBB22_51
; %bb.50:
	v_div_scale_f64 v[64:65], s[14:15], v[48:49], v[48:49], v[50:51]
	v_rcp_f64_e32 v[66:67], v[64:65]
	v_div_scale_f64 v[68:69], vcc, v[50:51], v[48:49], v[50:51]
	v_fma_f64 v[70:71], -v[64:65], v[66:67], 1.0
	v_fmac_f64_e32 v[66:67], v[66:67], v[70:71]
	v_fma_f64 v[70:71], -v[64:65], v[66:67], 1.0
	v_fmac_f64_e32 v[66:67], v[66:67], v[70:71]
	v_mul_f64 v[70:71], v[68:69], v[66:67]
	v_fma_f64 v[64:65], -v[64:65], v[70:71], v[68:69]
	v_div_fmas_f64 v[64:65], v[64:65], v[66:67], v[70:71]
	v_div_fixup_f64 v[64:65], v[64:65], v[48:49], v[50:51]
	v_fmac_f64_e32 v[48:49], v[50:51], v[64:65]
	v_div_scale_f64 v[50:51], s[14:15], v[48:49], v[48:49], 1.0
	v_rcp_f64_e32 v[66:67], v[50:51]
	s_nop 0
	v_fma_f64 v[68:69], -v[50:51], v[66:67], 1.0
	v_fmac_f64_e32 v[66:67], v[66:67], v[68:69]
	v_fma_f64 v[68:69], -v[50:51], v[66:67], 1.0
	v_fmac_f64_e32 v[66:67], v[66:67], v[68:69]
	v_div_scale_f64 v[68:69], vcc, 1.0, v[48:49], 1.0
	v_mul_f64 v[70:71], v[68:69], v[66:67]
	v_fma_f64 v[50:51], -v[50:51], v[70:71], v[68:69]
	s_nop 1
	v_div_fmas_f64 v[50:51], v[50:51], v[66:67], v[70:71]
	v_div_fixup_f64 v[48:49], v[50:51], v[48:49], 1.0
	v_mul_f64 v[50:51], v[64:65], -v[48:49]
.LBB22_51:
	s_or_b64 exec, exec, s[12:13]
.LBB22_52:
	s_or_b64 exec, exec, s[0:1]
	v_cmp_ne_u32_e32 vcc, v59, v58
	s_and_saveexec_b64 s[0:1], vcc
	s_xor_b64 s[0:1], exec, s[0:1]
	s_cbranch_execz .LBB22_58
; %bb.53:
	v_cmp_eq_u32_e32 vcc, 2, v59
	s_and_saveexec_b64 s[12:13], vcc
	s_cbranch_execz .LBB22_57
; %bb.54:
	v_cmp_ne_u32_e32 vcc, 2, v58
	s_xor_b64 s[14:15], s[18:19], -1
	s_and_b64 s[22:23], s[14:15], vcc
	s_and_saveexec_b64 s[14:15], s[22:23]
	s_cbranch_execz .LBB22_56
; %bb.55:
	v_ashrrev_i32_e32 v59, 31, v58
	v_lshl_add_u64 v[64:65], v[58:59], 2, v[56:57]
	global_load_dword v59, v[64:65], off
	global_load_dword v62, v[56:57], off offset:8
	s_waitcnt vmcnt(1)
	global_store_dword v[56:57], v59, off offset:8
	s_waitcnt vmcnt(1)
	global_store_dword v[64:65], v62, off
.LBB22_56:
	s_or_b64 exec, exec, s[14:15]
	v_mov_b32_e32 v59, v58
	v_mov_b32_e32 v62, v58
.LBB22_57:
	s_or_b64 exec, exec, s[12:13]
.LBB22_58:
	s_andn2_saveexec_b64 s[0:1], s[0:1]
	s_cbranch_execz .LBB22_60
; %bb.59:
	v_mov_b32_e32 v59, 2
	s_waitcnt vmcnt(8)
	ds_write2_b64 v60, v[28:29], v[30:31] offset0:6 offset1:7
	s_waitcnt vmcnt(7)
	ds_write2_b64 v60, v[24:25], v[26:27] offset0:8 offset1:9
	s_waitcnt vmcnt(6)
	ds_write2_b64 v60, v[20:21], v[22:23] offset0:10 offset1:11
	s_waitcnt vmcnt(5)
	ds_write2_b64 v60, v[16:17], v[18:19] offset0:12 offset1:13
	s_waitcnt vmcnt(4)
	ds_write2_b64 v60, v[12:13], v[14:15] offset0:14 offset1:15
	s_waitcnt vmcnt(3)
	ds_write2_b64 v60, v[8:9], v[10:11] offset0:16 offset1:17
	s_waitcnt vmcnt(2)
	ds_write2_b64 v60, v[4:5], v[6:7] offset0:18 offset1:19
	s_waitcnt vmcnt(1)
	ds_write2_b64 v60, v[0:1], v[2:3] offset0:20 offset1:21
	s_waitcnt vmcnt(0)
	ds_write2_b64 v60, v[44:45], v[46:47] offset0:22 offset1:23
.LBB22_60:
	s_or_b64 exec, exec, s[0:1]
	v_cmp_lt_i32_e32 vcc, 2, v59
	s_waitcnt lgkmcnt(0)
	s_barrier
	s_and_saveexec_b64 s[0:1], vcc
	s_cbranch_execz .LBB22_62
; %bb.61:
	ds_read2_b64 v[64:67], v60 offset0:6 offset1:7
	v_mul_f64 v[68:69], v[48:49], v[34:35]
	v_fmac_f64_e32 v[68:69], v[50:51], v[32:33]
	v_mul_f64 v[34:35], v[50:51], v[34:35]
	v_fma_f64 v[32:33], v[48:49], v[32:33], -v[34:35]
	ds_read2_b64 v[48:51], v60 offset0:8 offset1:9
	s_waitcnt lgkmcnt(1)
	v_mul_f64 v[34:35], v[66:67], v[68:69]
	v_fma_f64 v[34:35], v[64:65], v[32:33], -v[34:35]
	v_mul_f64 v[64:65], v[64:65], v[68:69]
	v_fmac_f64_e32 v[64:65], v[66:67], v[32:33]
	s_waitcnt vmcnt(8)
	v_add_f64 v[30:31], v[30:31], -v[64:65]
	ds_read2_b64 v[64:67], v60 offset0:10 offset1:11
	v_add_f64 v[28:29], v[28:29], -v[34:35]
	s_waitcnt lgkmcnt(1)
	v_mul_f64 v[34:35], v[50:51], v[68:69]
	v_fma_f64 v[34:35], v[48:49], v[32:33], -v[34:35]
	v_mul_f64 v[48:49], v[48:49], v[68:69]
	v_fmac_f64_e32 v[48:49], v[50:51], v[32:33]
	s_waitcnt vmcnt(7)
	v_add_f64 v[24:25], v[24:25], -v[34:35]
	v_add_f64 v[26:27], v[26:27], -v[48:49]
	ds_read2_b64 v[48:51], v60 offset0:12 offset1:13
	s_waitcnt lgkmcnt(1)
	v_mul_f64 v[34:35], v[66:67], v[68:69]
	v_fma_f64 v[34:35], v[64:65], v[32:33], -v[34:35]
	v_mul_f64 v[64:65], v[64:65], v[68:69]
	v_fmac_f64_e32 v[64:65], v[66:67], v[32:33]
	s_waitcnt vmcnt(6)
	v_add_f64 v[22:23], v[22:23], -v[64:65]
	ds_read2_b64 v[64:67], v60 offset0:14 offset1:15
	v_add_f64 v[20:21], v[20:21], -v[34:35]
	s_waitcnt lgkmcnt(1)
	v_mul_f64 v[34:35], v[50:51], v[68:69]
	v_fma_f64 v[34:35], v[48:49], v[32:33], -v[34:35]
	v_mul_f64 v[48:49], v[48:49], v[68:69]
	v_fmac_f64_e32 v[48:49], v[50:51], v[32:33]
	s_waitcnt vmcnt(5)
	v_add_f64 v[16:17], v[16:17], -v[34:35]
	v_add_f64 v[18:19], v[18:19], -v[48:49]
	;; [unrolled: 18-line block ×4, first 2 shown]
	s_waitcnt lgkmcnt(0)
	v_mul_f64 v[34:35], v[66:67], v[68:69]
	v_mul_f64 v[48:49], v[64:65], v[68:69]
	v_fma_f64 v[34:35], v[64:65], v[32:33], -v[34:35]
	v_fmac_f64_e32 v[48:49], v[66:67], v[32:33]
	s_waitcnt vmcnt(0)
	v_add_f64 v[44:45], v[44:45], -v[34:35]
	v_add_f64 v[46:47], v[46:47], -v[48:49]
	v_mov_b64_e32 v[34:35], v[68:69]
.LBB22_62:
	s_or_b64 exec, exec, s[0:1]
	v_lshl_add_u32 v48, v59, 4, v60
	s_barrier
	s_waitcnt vmcnt(8)
	ds_write2_b64 v48, v[28:29], v[30:31] offset1:1
	s_waitcnt lgkmcnt(0)
	s_barrier
	ds_read2_b64 v[48:51], v60 offset0:6 offset1:7
	s_mov_b32 s12, 4
	s_cmp_lt_i32 s20, 5
	v_mov_b32_e32 v58, 3
	s_cbranch_scc1 .LBB22_65
; %bb.63:
	v_add3_u32 v61, v61, 0, 64
	v_mov_b32_e32 v58, 3
.LBB22_64:                              ; =>This Inner Loop Header: Depth=1
	ds_read2_b64 v[64:67], v61 offset1:1
	s_waitcnt lgkmcnt(1)
	v_xor_b32_e32 v69, 0x80000000, v49
	v_xor_b32_e32 v71, 0x80000000, v51
	v_cmp_gt_f64_e32 vcc, 0, v[50:51]
	v_cmp_gt_f64_e64 s[0:1], 0, v[48:49]
	v_mov_b32_e32 v68, v48
	v_mov_b32_e32 v70, v50
	v_cndmask_b32_e64 v69, v49, v69, s[0:1]
	v_cndmask_b32_e32 v71, v51, v71, vcc
	v_add_f64 v[68:69], v[68:69], v[70:71]
	s_waitcnt lgkmcnt(0)
	v_xor_b32_e32 v71, 0x80000000, v65
	v_xor_b32_e32 v73, 0x80000000, v67
	v_cmp_gt_f64_e32 vcc, 0, v[66:67]
	v_cmp_gt_f64_e64 s[0:1], 0, v[64:65]
	v_mov_b32_e32 v70, v64
	v_mov_b32_e32 v72, v66
	v_cndmask_b32_e64 v71, v65, v71, s[0:1]
	v_cndmask_b32_e32 v73, v67, v73, vcc
	v_add_f64 v[70:71], v[70:71], v[72:73]
	v_mov_b32_e32 v74, s12
	s_add_i32 s12, s12, 1
	v_cmp_lt_f64_e32 vcc, v[68:69], v[70:71]
	v_add_u32_e32 v61, 16, v61
	s_cmp_lg_u32 s20, s12
	v_cndmask_b32_e32 v49, v49, v65, vcc
	v_cndmask_b32_e32 v48, v48, v64, vcc
	;; [unrolled: 1-line block ×5, first 2 shown]
	s_cbranch_scc1 .LBB22_64
.LBB22_65:
	s_waitcnt lgkmcnt(0)
	v_cmp_eq_f64_e32 vcc, 0, v[48:49]
	v_cmp_eq_f64_e64 s[0:1], 0, v[50:51]
	s_and_b64 s[0:1], vcc, s[0:1]
	s_and_saveexec_b64 s[12:13], s[0:1]
	s_xor_b64 s[0:1], exec, s[12:13]
; %bb.66:
	v_cmp_ne_u32_e32 vcc, 0, v63
	s_nop 1
	v_cndmask_b32_e32 v63, 4, v63, vcc
; %bb.67:
	s_andn2_saveexec_b64 s[0:1], s[0:1]
	s_cbranch_execz .LBB22_73
; %bb.68:
	v_cmp_ngt_f64_e64 s[12:13], |v[48:49]|, |v[50:51]|
	s_and_saveexec_b64 s[14:15], s[12:13]
	s_xor_b64 s[12:13], exec, s[14:15]
	s_cbranch_execz .LBB22_70
; %bb.69:
	v_div_scale_f64 v[64:65], s[14:15], v[50:51], v[50:51], v[48:49]
	v_rcp_f64_e32 v[66:67], v[64:65]
	v_div_scale_f64 v[68:69], vcc, v[48:49], v[50:51], v[48:49]
	v_fma_f64 v[70:71], -v[64:65], v[66:67], 1.0
	v_fmac_f64_e32 v[66:67], v[66:67], v[70:71]
	v_fma_f64 v[70:71], -v[64:65], v[66:67], 1.0
	v_fmac_f64_e32 v[66:67], v[66:67], v[70:71]
	v_mul_f64 v[70:71], v[68:69], v[66:67]
	v_fma_f64 v[64:65], -v[64:65], v[70:71], v[68:69]
	v_div_fmas_f64 v[64:65], v[64:65], v[66:67], v[70:71]
	v_div_fixup_f64 v[64:65], v[64:65], v[50:51], v[48:49]
	v_fmac_f64_e32 v[50:51], v[48:49], v[64:65]
	v_div_scale_f64 v[48:49], s[14:15], v[50:51], v[50:51], 1.0
	v_rcp_f64_e32 v[66:67], v[48:49]
	s_nop 0
	v_fma_f64 v[68:69], -v[48:49], v[66:67], 1.0
	v_fmac_f64_e32 v[66:67], v[66:67], v[68:69]
	v_fma_f64 v[68:69], -v[48:49], v[66:67], 1.0
	v_fmac_f64_e32 v[66:67], v[66:67], v[68:69]
	v_div_scale_f64 v[68:69], vcc, 1.0, v[50:51], 1.0
	v_mul_f64 v[70:71], v[68:69], v[66:67]
	v_fma_f64 v[48:49], -v[48:49], v[70:71], v[68:69]
	s_nop 1
	v_div_fmas_f64 v[48:49], v[48:49], v[66:67], v[70:71]
	v_div_fixup_f64 v[50:51], v[48:49], v[50:51], 1.0
	v_mul_f64 v[48:49], v[64:65], v[50:51]
	v_xor_b32_e32 v51, 0x80000000, v51
.LBB22_70:
	s_andn2_saveexec_b64 s[12:13], s[12:13]
	s_cbranch_execz .LBB22_72
; %bb.71:
	v_div_scale_f64 v[64:65], s[14:15], v[48:49], v[48:49], v[50:51]
	v_rcp_f64_e32 v[66:67], v[64:65]
	v_div_scale_f64 v[68:69], vcc, v[50:51], v[48:49], v[50:51]
	v_fma_f64 v[70:71], -v[64:65], v[66:67], 1.0
	v_fmac_f64_e32 v[66:67], v[66:67], v[70:71]
	v_fma_f64 v[70:71], -v[64:65], v[66:67], 1.0
	v_fmac_f64_e32 v[66:67], v[66:67], v[70:71]
	v_mul_f64 v[70:71], v[68:69], v[66:67]
	v_fma_f64 v[64:65], -v[64:65], v[70:71], v[68:69]
	v_div_fmas_f64 v[64:65], v[64:65], v[66:67], v[70:71]
	v_div_fixup_f64 v[64:65], v[64:65], v[48:49], v[50:51]
	v_fmac_f64_e32 v[48:49], v[50:51], v[64:65]
	v_div_scale_f64 v[50:51], s[14:15], v[48:49], v[48:49], 1.0
	v_rcp_f64_e32 v[66:67], v[50:51]
	s_nop 0
	v_fma_f64 v[68:69], -v[50:51], v[66:67], 1.0
	v_fmac_f64_e32 v[66:67], v[66:67], v[68:69]
	v_fma_f64 v[68:69], -v[50:51], v[66:67], 1.0
	v_fmac_f64_e32 v[66:67], v[66:67], v[68:69]
	v_div_scale_f64 v[68:69], vcc, 1.0, v[48:49], 1.0
	v_mul_f64 v[70:71], v[68:69], v[66:67]
	v_fma_f64 v[50:51], -v[50:51], v[70:71], v[68:69]
	s_nop 1
	v_div_fmas_f64 v[50:51], v[50:51], v[66:67], v[70:71]
	v_div_fixup_f64 v[48:49], v[50:51], v[48:49], 1.0
	v_mul_f64 v[50:51], v[64:65], -v[48:49]
.LBB22_72:
	s_or_b64 exec, exec, s[12:13]
.LBB22_73:
	s_or_b64 exec, exec, s[0:1]
	v_cmp_ne_u32_e32 vcc, v59, v58
	s_and_saveexec_b64 s[0:1], vcc
	s_xor_b64 s[0:1], exec, s[0:1]
	s_cbranch_execz .LBB22_79
; %bb.74:
	v_cmp_eq_u32_e32 vcc, 3, v59
	s_and_saveexec_b64 s[12:13], vcc
	s_cbranch_execz .LBB22_78
; %bb.75:
	v_cmp_ne_u32_e32 vcc, 3, v58
	s_xor_b64 s[14:15], s[18:19], -1
	s_and_b64 s[22:23], s[14:15], vcc
	s_and_saveexec_b64 s[14:15], s[22:23]
	s_cbranch_execz .LBB22_77
; %bb.76:
	v_ashrrev_i32_e32 v59, 31, v58
	v_lshl_add_u64 v[64:65], v[58:59], 2, v[56:57]
	global_load_dword v59, v[64:65], off
	global_load_dword v61, v[56:57], off offset:12
	s_waitcnt vmcnt(1)
	global_store_dword v[56:57], v59, off offset:12
	s_waitcnt vmcnt(1)
	global_store_dword v[64:65], v61, off
.LBB22_77:
	s_or_b64 exec, exec, s[14:15]
	v_mov_b32_e32 v59, v58
	v_mov_b32_e32 v62, v58
.LBB22_78:
	s_or_b64 exec, exec, s[12:13]
.LBB22_79:
	s_andn2_saveexec_b64 s[0:1], s[0:1]
	s_cbranch_execz .LBB22_81
; %bb.80:
	v_mov_b32_e32 v59, 3
	s_waitcnt vmcnt(7)
	ds_write2_b64 v60, v[24:25], v[26:27] offset0:8 offset1:9
	s_waitcnt vmcnt(6)
	ds_write2_b64 v60, v[20:21], v[22:23] offset0:10 offset1:11
	;; [unrolled: 2-line block ×8, first 2 shown]
.LBB22_81:
	s_or_b64 exec, exec, s[0:1]
	v_cmp_lt_i32_e32 vcc, 3, v59
	s_waitcnt lgkmcnt(0)
	s_barrier
	s_and_saveexec_b64 s[0:1], vcc
	s_cbranch_execz .LBB22_83
; %bb.82:
	ds_read2_b64 v[64:67], v60 offset0:8 offset1:9
	v_mul_f64 v[68:69], v[48:49], v[30:31]
	v_mul_f64 v[30:31], v[50:51], v[30:31]
	v_fmac_f64_e32 v[68:69], v[50:51], v[28:29]
	v_fma_f64 v[28:29], v[48:49], v[28:29], -v[30:31]
	ds_read2_b64 v[48:51], v60 offset0:10 offset1:11
	s_waitcnt lgkmcnt(1)
	v_mul_f64 v[30:31], v[66:67], v[68:69]
	v_fma_f64 v[30:31], v[64:65], v[28:29], -v[30:31]
	v_mul_f64 v[64:65], v[64:65], v[68:69]
	v_fmac_f64_e32 v[64:65], v[66:67], v[28:29]
	s_waitcnt vmcnt(7)
	v_add_f64 v[24:25], v[24:25], -v[30:31]
	s_waitcnt lgkmcnt(0)
	v_mul_f64 v[30:31], v[50:51], v[68:69]
	v_add_f64 v[26:27], v[26:27], -v[64:65]
	v_fma_f64 v[30:31], v[48:49], v[28:29], -v[30:31]
	v_mul_f64 v[48:49], v[48:49], v[68:69]
	ds_read2_b64 v[64:67], v60 offset0:12 offset1:13
	v_fmac_f64_e32 v[48:49], v[50:51], v[28:29]
	s_waitcnt vmcnt(6)
	v_add_f64 v[22:23], v[22:23], -v[48:49]
	ds_read2_b64 v[48:51], v60 offset0:14 offset1:15
	v_add_f64 v[20:21], v[20:21], -v[30:31]
	s_waitcnt lgkmcnt(1)
	v_mul_f64 v[30:31], v[66:67], v[68:69]
	v_fma_f64 v[30:31], v[64:65], v[28:29], -v[30:31]
	v_mul_f64 v[64:65], v[64:65], v[68:69]
	v_fmac_f64_e32 v[64:65], v[66:67], v[28:29]
	s_waitcnt vmcnt(5)
	v_add_f64 v[16:17], v[16:17], -v[30:31]
	s_waitcnt lgkmcnt(0)
	v_mul_f64 v[30:31], v[50:51], v[68:69]
	v_add_f64 v[18:19], v[18:19], -v[64:65]
	v_fma_f64 v[30:31], v[48:49], v[28:29], -v[30:31]
	v_mul_f64 v[48:49], v[48:49], v[68:69]
	ds_read2_b64 v[64:67], v60 offset0:16 offset1:17
	v_fmac_f64_e32 v[48:49], v[50:51], v[28:29]
	s_waitcnt vmcnt(4)
	v_add_f64 v[14:15], v[14:15], -v[48:49]
	ds_read2_b64 v[48:51], v60 offset0:18 offset1:19
	v_add_f64 v[12:13], v[12:13], -v[30:31]
	;; [unrolled: 18-line block ×3, first 2 shown]
	s_waitcnt lgkmcnt(1)
	v_mul_f64 v[30:31], v[66:67], v[68:69]
	v_fma_f64 v[30:31], v[64:65], v[28:29], -v[30:31]
	s_waitcnt vmcnt(1)
	v_add_f64 v[0:1], v[0:1], -v[30:31]
	s_waitcnt lgkmcnt(0)
	v_mul_f64 v[30:31], v[50:51], v[68:69]
	v_mul_f64 v[64:65], v[64:65], v[68:69]
	v_fma_f64 v[30:31], v[48:49], v[28:29], -v[30:31]
	v_mul_f64 v[48:49], v[48:49], v[68:69]
	v_fmac_f64_e32 v[64:65], v[66:67], v[28:29]
	v_fmac_f64_e32 v[48:49], v[50:51], v[28:29]
	v_add_f64 v[2:3], v[2:3], -v[64:65]
	s_waitcnt vmcnt(0)
	v_add_f64 v[44:45], v[44:45], -v[30:31]
	v_add_f64 v[46:47], v[46:47], -v[48:49]
	v_mov_b64_e32 v[30:31], v[68:69]
.LBB22_83:
	s_or_b64 exec, exec, s[0:1]
	v_lshl_add_u32 v48, v59, 4, v60
	s_barrier
	s_waitcnt vmcnt(7)
	ds_write2_b64 v48, v[24:25], v[26:27] offset1:1
	s_waitcnt lgkmcnt(0)
	s_barrier
	ds_read2_b64 v[48:51], v60 offset0:8 offset1:9
	s_cmp_lt_i32 s20, 6
	v_mov_b32_e32 v58, 4
	s_cbranch_scc1 .LBB22_86
; %bb.84:
	v_mov_b32_e32 v58, 4
	v_add_u32_e32 v61, 0x50, v60
	s_mov_b32 s12, 5
.LBB22_85:                              ; =>This Inner Loop Header: Depth=1
	ds_read2_b64 v[64:67], v61 offset1:1
	s_waitcnt lgkmcnt(1)
	v_xor_b32_e32 v69, 0x80000000, v49
	v_xor_b32_e32 v71, 0x80000000, v51
	v_cmp_gt_f64_e32 vcc, 0, v[50:51]
	v_cmp_gt_f64_e64 s[0:1], 0, v[48:49]
	v_mov_b32_e32 v68, v48
	v_mov_b32_e32 v70, v50
	v_cndmask_b32_e64 v69, v49, v69, s[0:1]
	v_cndmask_b32_e32 v71, v51, v71, vcc
	v_add_f64 v[68:69], v[68:69], v[70:71]
	s_waitcnt lgkmcnt(0)
	v_xor_b32_e32 v71, 0x80000000, v65
	v_xor_b32_e32 v73, 0x80000000, v67
	v_cmp_gt_f64_e32 vcc, 0, v[66:67]
	v_cmp_gt_f64_e64 s[0:1], 0, v[64:65]
	v_mov_b32_e32 v70, v64
	v_mov_b32_e32 v72, v66
	v_cndmask_b32_e64 v71, v65, v71, s[0:1]
	v_cndmask_b32_e32 v73, v67, v73, vcc
	v_add_f64 v[70:71], v[70:71], v[72:73]
	v_mov_b32_e32 v74, s12
	s_add_i32 s12, s12, 1
	v_cmp_lt_f64_e32 vcc, v[68:69], v[70:71]
	v_add_u32_e32 v61, 16, v61
	s_cmp_lg_u32 s20, s12
	v_cndmask_b32_e32 v49, v49, v65, vcc
	v_cndmask_b32_e32 v48, v48, v64, vcc
	;; [unrolled: 1-line block ×5, first 2 shown]
	s_cbranch_scc1 .LBB22_85
.LBB22_86:
	s_waitcnt lgkmcnt(0)
	v_cmp_eq_f64_e32 vcc, 0, v[48:49]
	v_cmp_eq_f64_e64 s[0:1], 0, v[50:51]
	s_and_b64 s[0:1], vcc, s[0:1]
	s_and_saveexec_b64 s[12:13], s[0:1]
	s_xor_b64 s[0:1], exec, s[12:13]
; %bb.87:
	v_cmp_ne_u32_e32 vcc, 0, v63
	s_nop 1
	v_cndmask_b32_e32 v63, 5, v63, vcc
; %bb.88:
	s_andn2_saveexec_b64 s[0:1], s[0:1]
	s_cbranch_execz .LBB22_94
; %bb.89:
	v_cmp_ngt_f64_e64 s[12:13], |v[48:49]|, |v[50:51]|
	s_and_saveexec_b64 s[14:15], s[12:13]
	s_xor_b64 s[12:13], exec, s[14:15]
	s_cbranch_execz .LBB22_91
; %bb.90:
	v_div_scale_f64 v[64:65], s[14:15], v[50:51], v[50:51], v[48:49]
	v_rcp_f64_e32 v[66:67], v[64:65]
	v_div_scale_f64 v[68:69], vcc, v[48:49], v[50:51], v[48:49]
	v_fma_f64 v[70:71], -v[64:65], v[66:67], 1.0
	v_fmac_f64_e32 v[66:67], v[66:67], v[70:71]
	v_fma_f64 v[70:71], -v[64:65], v[66:67], 1.0
	v_fmac_f64_e32 v[66:67], v[66:67], v[70:71]
	v_mul_f64 v[70:71], v[68:69], v[66:67]
	v_fma_f64 v[64:65], -v[64:65], v[70:71], v[68:69]
	v_div_fmas_f64 v[64:65], v[64:65], v[66:67], v[70:71]
	v_div_fixup_f64 v[64:65], v[64:65], v[50:51], v[48:49]
	v_fmac_f64_e32 v[50:51], v[48:49], v[64:65]
	v_div_scale_f64 v[48:49], s[14:15], v[50:51], v[50:51], 1.0
	v_rcp_f64_e32 v[66:67], v[48:49]
	s_nop 0
	v_fma_f64 v[68:69], -v[48:49], v[66:67], 1.0
	v_fmac_f64_e32 v[66:67], v[66:67], v[68:69]
	v_fma_f64 v[68:69], -v[48:49], v[66:67], 1.0
	v_fmac_f64_e32 v[66:67], v[66:67], v[68:69]
	v_div_scale_f64 v[68:69], vcc, 1.0, v[50:51], 1.0
	v_mul_f64 v[70:71], v[68:69], v[66:67]
	v_fma_f64 v[48:49], -v[48:49], v[70:71], v[68:69]
	s_nop 1
	v_div_fmas_f64 v[48:49], v[48:49], v[66:67], v[70:71]
	v_div_fixup_f64 v[50:51], v[48:49], v[50:51], 1.0
	v_mul_f64 v[48:49], v[64:65], v[50:51]
	v_xor_b32_e32 v51, 0x80000000, v51
.LBB22_91:
	s_andn2_saveexec_b64 s[12:13], s[12:13]
	s_cbranch_execz .LBB22_93
; %bb.92:
	v_div_scale_f64 v[64:65], s[14:15], v[48:49], v[48:49], v[50:51]
	v_rcp_f64_e32 v[66:67], v[64:65]
	v_div_scale_f64 v[68:69], vcc, v[50:51], v[48:49], v[50:51]
	v_fma_f64 v[70:71], -v[64:65], v[66:67], 1.0
	v_fmac_f64_e32 v[66:67], v[66:67], v[70:71]
	v_fma_f64 v[70:71], -v[64:65], v[66:67], 1.0
	v_fmac_f64_e32 v[66:67], v[66:67], v[70:71]
	v_mul_f64 v[70:71], v[68:69], v[66:67]
	v_fma_f64 v[64:65], -v[64:65], v[70:71], v[68:69]
	v_div_fmas_f64 v[64:65], v[64:65], v[66:67], v[70:71]
	v_div_fixup_f64 v[64:65], v[64:65], v[48:49], v[50:51]
	v_fmac_f64_e32 v[48:49], v[50:51], v[64:65]
	v_div_scale_f64 v[50:51], s[14:15], v[48:49], v[48:49], 1.0
	v_rcp_f64_e32 v[66:67], v[50:51]
	s_nop 0
	v_fma_f64 v[68:69], -v[50:51], v[66:67], 1.0
	v_fmac_f64_e32 v[66:67], v[66:67], v[68:69]
	v_fma_f64 v[68:69], -v[50:51], v[66:67], 1.0
	v_fmac_f64_e32 v[66:67], v[66:67], v[68:69]
	v_div_scale_f64 v[68:69], vcc, 1.0, v[48:49], 1.0
	v_mul_f64 v[70:71], v[68:69], v[66:67]
	v_fma_f64 v[50:51], -v[50:51], v[70:71], v[68:69]
	s_nop 1
	v_div_fmas_f64 v[50:51], v[50:51], v[66:67], v[70:71]
	v_div_fixup_f64 v[48:49], v[50:51], v[48:49], 1.0
	v_mul_f64 v[50:51], v[64:65], -v[48:49]
.LBB22_93:
	s_or_b64 exec, exec, s[12:13]
.LBB22_94:
	s_or_b64 exec, exec, s[0:1]
	v_cmp_ne_u32_e32 vcc, v59, v58
	s_and_saveexec_b64 s[0:1], vcc
	s_xor_b64 s[0:1], exec, s[0:1]
	s_cbranch_execz .LBB22_100
; %bb.95:
	v_cmp_eq_u32_e32 vcc, 4, v59
	s_and_saveexec_b64 s[12:13], vcc
	s_cbranch_execz .LBB22_99
; %bb.96:
	v_cmp_ne_u32_e32 vcc, 4, v58
	s_xor_b64 s[14:15], s[18:19], -1
	s_and_b64 s[22:23], s[14:15], vcc
	s_and_saveexec_b64 s[14:15], s[22:23]
	s_cbranch_execz .LBB22_98
; %bb.97:
	v_ashrrev_i32_e32 v59, 31, v58
	v_lshl_add_u64 v[64:65], v[58:59], 2, v[56:57]
	global_load_dword v59, v[64:65], off
	global_load_dword v61, v[56:57], off offset:16
	s_waitcnt vmcnt(1)
	global_store_dword v[56:57], v59, off offset:16
	s_waitcnt vmcnt(1)
	global_store_dword v[64:65], v61, off
.LBB22_98:
	s_or_b64 exec, exec, s[14:15]
	v_mov_b32_e32 v59, v58
	v_mov_b32_e32 v62, v58
.LBB22_99:
	s_or_b64 exec, exec, s[12:13]
.LBB22_100:
	s_andn2_saveexec_b64 s[0:1], s[0:1]
	s_cbranch_execz .LBB22_102
; %bb.101:
	v_mov_b32_e32 v59, 4
	s_waitcnt vmcnt(6)
	ds_write2_b64 v60, v[20:21], v[22:23] offset0:10 offset1:11
	s_waitcnt vmcnt(5)
	ds_write2_b64 v60, v[16:17], v[18:19] offset0:12 offset1:13
	;; [unrolled: 2-line block ×7, first 2 shown]
.LBB22_102:
	s_or_b64 exec, exec, s[0:1]
	v_cmp_lt_i32_e32 vcc, 4, v59
	s_waitcnt lgkmcnt(0)
	s_barrier
	s_and_saveexec_b64 s[0:1], vcc
	s_cbranch_execz .LBB22_104
; %bb.103:
	ds_read2_b64 v[64:67], v60 offset0:10 offset1:11
	v_mul_f64 v[68:69], v[48:49], v[26:27]
	v_fmac_f64_e32 v[68:69], v[50:51], v[24:25]
	v_mul_f64 v[26:27], v[50:51], v[26:27]
	v_fma_f64 v[24:25], v[48:49], v[24:25], -v[26:27]
	ds_read2_b64 v[48:51], v60 offset0:12 offset1:13
	s_waitcnt lgkmcnt(1)
	v_mul_f64 v[26:27], v[66:67], v[68:69]
	v_fma_f64 v[26:27], v[64:65], v[24:25], -v[26:27]
	v_mul_f64 v[64:65], v[64:65], v[68:69]
	v_fmac_f64_e32 v[64:65], v[66:67], v[24:25]
	s_waitcnt vmcnt(6)
	v_add_f64 v[22:23], v[22:23], -v[64:65]
	ds_read2_b64 v[64:67], v60 offset0:14 offset1:15
	v_add_f64 v[20:21], v[20:21], -v[26:27]
	s_waitcnt lgkmcnt(1)
	v_mul_f64 v[26:27], v[50:51], v[68:69]
	v_fma_f64 v[26:27], v[48:49], v[24:25], -v[26:27]
	v_mul_f64 v[48:49], v[48:49], v[68:69]
	v_fmac_f64_e32 v[48:49], v[50:51], v[24:25]
	s_waitcnt vmcnt(5)
	v_add_f64 v[16:17], v[16:17], -v[26:27]
	v_add_f64 v[18:19], v[18:19], -v[48:49]
	ds_read2_b64 v[48:51], v60 offset0:16 offset1:17
	s_waitcnt lgkmcnt(1)
	v_mul_f64 v[26:27], v[66:67], v[68:69]
	v_fma_f64 v[26:27], v[64:65], v[24:25], -v[26:27]
	v_mul_f64 v[64:65], v[64:65], v[68:69]
	v_fmac_f64_e32 v[64:65], v[66:67], v[24:25]
	s_waitcnt vmcnt(4)
	v_add_f64 v[14:15], v[14:15], -v[64:65]
	ds_read2_b64 v[64:67], v60 offset0:18 offset1:19
	v_add_f64 v[12:13], v[12:13], -v[26:27]
	s_waitcnt lgkmcnt(1)
	v_mul_f64 v[26:27], v[50:51], v[68:69]
	v_fma_f64 v[26:27], v[48:49], v[24:25], -v[26:27]
	v_mul_f64 v[48:49], v[48:49], v[68:69]
	v_fmac_f64_e32 v[48:49], v[50:51], v[24:25]
	s_waitcnt vmcnt(3)
	v_add_f64 v[8:9], v[8:9], -v[26:27]
	v_add_f64 v[10:11], v[10:11], -v[48:49]
	;; [unrolled: 18-line block ×3, first 2 shown]
	s_waitcnt lgkmcnt(0)
	v_mul_f64 v[26:27], v[66:67], v[68:69]
	v_mul_f64 v[48:49], v[64:65], v[68:69]
	v_fma_f64 v[26:27], v[64:65], v[24:25], -v[26:27]
	v_fmac_f64_e32 v[48:49], v[66:67], v[24:25]
	s_waitcnt vmcnt(0)
	v_add_f64 v[44:45], v[44:45], -v[26:27]
	v_add_f64 v[46:47], v[46:47], -v[48:49]
	v_mov_b64_e32 v[26:27], v[68:69]
.LBB22_104:
	s_or_b64 exec, exec, s[0:1]
	v_lshl_add_u32 v48, v59, 4, v60
	s_barrier
	s_waitcnt vmcnt(6)
	ds_write2_b64 v48, v[20:21], v[22:23] offset1:1
	s_waitcnt lgkmcnt(0)
	s_barrier
	ds_read2_b64 v[48:51], v60 offset0:10 offset1:11
	s_cmp_lt_i32 s20, 7
	v_mov_b32_e32 v58, 5
	s_cbranch_scc1 .LBB22_107
; %bb.105:
	v_add_u32_e32 v61, 0x60, v60
	s_mov_b32 s12, 6
	v_mov_b32_e32 v58, 5
.LBB22_106:                             ; =>This Inner Loop Header: Depth=1
	ds_read2_b64 v[64:67], v61 offset1:1
	s_waitcnt lgkmcnt(1)
	v_xor_b32_e32 v69, 0x80000000, v49
	v_xor_b32_e32 v71, 0x80000000, v51
	v_cmp_gt_f64_e32 vcc, 0, v[50:51]
	v_cmp_gt_f64_e64 s[0:1], 0, v[48:49]
	v_mov_b32_e32 v68, v48
	v_mov_b32_e32 v70, v50
	v_cndmask_b32_e64 v69, v49, v69, s[0:1]
	v_cndmask_b32_e32 v71, v51, v71, vcc
	v_add_f64 v[68:69], v[68:69], v[70:71]
	s_waitcnt lgkmcnt(0)
	v_xor_b32_e32 v71, 0x80000000, v65
	v_xor_b32_e32 v73, 0x80000000, v67
	v_cmp_gt_f64_e32 vcc, 0, v[66:67]
	v_cmp_gt_f64_e64 s[0:1], 0, v[64:65]
	v_mov_b32_e32 v70, v64
	v_mov_b32_e32 v72, v66
	v_cndmask_b32_e64 v71, v65, v71, s[0:1]
	v_cndmask_b32_e32 v73, v67, v73, vcc
	v_add_f64 v[70:71], v[70:71], v[72:73]
	v_mov_b32_e32 v74, s12
	s_add_i32 s12, s12, 1
	v_cmp_lt_f64_e32 vcc, v[68:69], v[70:71]
	v_add_u32_e32 v61, 16, v61
	s_cmp_lg_u32 s20, s12
	v_cndmask_b32_e32 v49, v49, v65, vcc
	v_cndmask_b32_e32 v48, v48, v64, vcc
	v_cndmask_b32_e32 v51, v51, v67, vcc
	v_cndmask_b32_e32 v50, v50, v66, vcc
	v_cndmask_b32_e32 v58, v58, v74, vcc
	s_cbranch_scc1 .LBB22_106
.LBB22_107:
	s_waitcnt lgkmcnt(0)
	v_cmp_eq_f64_e32 vcc, 0, v[48:49]
	v_cmp_eq_f64_e64 s[0:1], 0, v[50:51]
	s_and_b64 s[0:1], vcc, s[0:1]
	s_and_saveexec_b64 s[12:13], s[0:1]
	s_xor_b64 s[0:1], exec, s[12:13]
; %bb.108:
	v_cmp_ne_u32_e32 vcc, 0, v63
	s_nop 1
	v_cndmask_b32_e32 v63, 6, v63, vcc
; %bb.109:
	s_andn2_saveexec_b64 s[0:1], s[0:1]
	s_cbranch_execz .LBB22_115
; %bb.110:
	v_cmp_ngt_f64_e64 s[12:13], |v[48:49]|, |v[50:51]|
	s_and_saveexec_b64 s[14:15], s[12:13]
	s_xor_b64 s[12:13], exec, s[14:15]
	s_cbranch_execz .LBB22_112
; %bb.111:
	v_div_scale_f64 v[64:65], s[14:15], v[50:51], v[50:51], v[48:49]
	v_rcp_f64_e32 v[66:67], v[64:65]
	v_div_scale_f64 v[68:69], vcc, v[48:49], v[50:51], v[48:49]
	v_fma_f64 v[70:71], -v[64:65], v[66:67], 1.0
	v_fmac_f64_e32 v[66:67], v[66:67], v[70:71]
	v_fma_f64 v[70:71], -v[64:65], v[66:67], 1.0
	v_fmac_f64_e32 v[66:67], v[66:67], v[70:71]
	v_mul_f64 v[70:71], v[68:69], v[66:67]
	v_fma_f64 v[64:65], -v[64:65], v[70:71], v[68:69]
	v_div_fmas_f64 v[64:65], v[64:65], v[66:67], v[70:71]
	v_div_fixup_f64 v[64:65], v[64:65], v[50:51], v[48:49]
	v_fmac_f64_e32 v[50:51], v[48:49], v[64:65]
	v_div_scale_f64 v[48:49], s[14:15], v[50:51], v[50:51], 1.0
	v_rcp_f64_e32 v[66:67], v[48:49]
	s_nop 0
	v_fma_f64 v[68:69], -v[48:49], v[66:67], 1.0
	v_fmac_f64_e32 v[66:67], v[66:67], v[68:69]
	v_fma_f64 v[68:69], -v[48:49], v[66:67], 1.0
	v_fmac_f64_e32 v[66:67], v[66:67], v[68:69]
	v_div_scale_f64 v[68:69], vcc, 1.0, v[50:51], 1.0
	v_mul_f64 v[70:71], v[68:69], v[66:67]
	v_fma_f64 v[48:49], -v[48:49], v[70:71], v[68:69]
	s_nop 1
	v_div_fmas_f64 v[48:49], v[48:49], v[66:67], v[70:71]
	v_div_fixup_f64 v[50:51], v[48:49], v[50:51], 1.0
	v_mul_f64 v[48:49], v[64:65], v[50:51]
	v_xor_b32_e32 v51, 0x80000000, v51
.LBB22_112:
	s_andn2_saveexec_b64 s[12:13], s[12:13]
	s_cbranch_execz .LBB22_114
; %bb.113:
	v_div_scale_f64 v[64:65], s[14:15], v[48:49], v[48:49], v[50:51]
	v_rcp_f64_e32 v[66:67], v[64:65]
	v_div_scale_f64 v[68:69], vcc, v[50:51], v[48:49], v[50:51]
	v_fma_f64 v[70:71], -v[64:65], v[66:67], 1.0
	v_fmac_f64_e32 v[66:67], v[66:67], v[70:71]
	v_fma_f64 v[70:71], -v[64:65], v[66:67], 1.0
	v_fmac_f64_e32 v[66:67], v[66:67], v[70:71]
	v_mul_f64 v[70:71], v[68:69], v[66:67]
	v_fma_f64 v[64:65], -v[64:65], v[70:71], v[68:69]
	v_div_fmas_f64 v[64:65], v[64:65], v[66:67], v[70:71]
	v_div_fixup_f64 v[64:65], v[64:65], v[48:49], v[50:51]
	v_fmac_f64_e32 v[48:49], v[50:51], v[64:65]
	v_div_scale_f64 v[50:51], s[14:15], v[48:49], v[48:49], 1.0
	v_rcp_f64_e32 v[66:67], v[50:51]
	s_nop 0
	v_fma_f64 v[68:69], -v[50:51], v[66:67], 1.0
	v_fmac_f64_e32 v[66:67], v[66:67], v[68:69]
	v_fma_f64 v[68:69], -v[50:51], v[66:67], 1.0
	v_fmac_f64_e32 v[66:67], v[66:67], v[68:69]
	v_div_scale_f64 v[68:69], vcc, 1.0, v[48:49], 1.0
	v_mul_f64 v[70:71], v[68:69], v[66:67]
	v_fma_f64 v[50:51], -v[50:51], v[70:71], v[68:69]
	s_nop 1
	v_div_fmas_f64 v[50:51], v[50:51], v[66:67], v[70:71]
	v_div_fixup_f64 v[48:49], v[50:51], v[48:49], 1.0
	v_mul_f64 v[50:51], v[64:65], -v[48:49]
.LBB22_114:
	s_or_b64 exec, exec, s[12:13]
.LBB22_115:
	s_or_b64 exec, exec, s[0:1]
	v_cmp_ne_u32_e32 vcc, v59, v58
	s_and_saveexec_b64 s[0:1], vcc
	s_xor_b64 s[0:1], exec, s[0:1]
	s_cbranch_execz .LBB22_121
; %bb.116:
	v_cmp_eq_u32_e32 vcc, 5, v59
	s_and_saveexec_b64 s[12:13], vcc
	s_cbranch_execz .LBB22_120
; %bb.117:
	v_cmp_ne_u32_e32 vcc, 5, v58
	s_xor_b64 s[14:15], s[18:19], -1
	s_and_b64 s[22:23], s[14:15], vcc
	s_and_saveexec_b64 s[14:15], s[22:23]
	s_cbranch_execz .LBB22_119
; %bb.118:
	v_ashrrev_i32_e32 v59, 31, v58
	v_lshl_add_u64 v[64:65], v[58:59], 2, v[56:57]
	global_load_dword v59, v[64:65], off
	global_load_dword v61, v[56:57], off offset:20
	s_waitcnt vmcnt(1)
	global_store_dword v[56:57], v59, off offset:20
	s_waitcnt vmcnt(1)
	global_store_dword v[64:65], v61, off
.LBB22_119:
	s_or_b64 exec, exec, s[14:15]
	v_mov_b32_e32 v59, v58
	v_mov_b32_e32 v62, v58
.LBB22_120:
	s_or_b64 exec, exec, s[12:13]
.LBB22_121:
	s_andn2_saveexec_b64 s[0:1], s[0:1]
	s_cbranch_execz .LBB22_123
; %bb.122:
	v_mov_b32_e32 v59, 5
	s_waitcnt vmcnt(5)
	ds_write2_b64 v60, v[16:17], v[18:19] offset0:12 offset1:13
	s_waitcnt vmcnt(4)
	ds_write2_b64 v60, v[12:13], v[14:15] offset0:14 offset1:15
	;; [unrolled: 2-line block ×6, first 2 shown]
.LBB22_123:
	s_or_b64 exec, exec, s[0:1]
	v_cmp_lt_i32_e32 vcc, 5, v59
	s_waitcnt lgkmcnt(0)
	s_barrier
	s_and_saveexec_b64 s[0:1], vcc
	s_cbranch_execz .LBB22_125
; %bb.124:
	ds_read2_b64 v[64:67], v60 offset0:12 offset1:13
	v_mul_f64 v[68:69], v[48:49], v[22:23]
	v_mul_f64 v[22:23], v[50:51], v[22:23]
	v_fmac_f64_e32 v[68:69], v[50:51], v[20:21]
	v_fma_f64 v[20:21], v[48:49], v[20:21], -v[22:23]
	ds_read2_b64 v[48:51], v60 offset0:14 offset1:15
	s_waitcnt lgkmcnt(1)
	v_mul_f64 v[22:23], v[66:67], v[68:69]
	v_fma_f64 v[22:23], v[64:65], v[20:21], -v[22:23]
	v_mul_f64 v[64:65], v[64:65], v[68:69]
	v_fmac_f64_e32 v[64:65], v[66:67], v[20:21]
	s_waitcnt vmcnt(5)
	v_add_f64 v[16:17], v[16:17], -v[22:23]
	s_waitcnt lgkmcnt(0)
	v_mul_f64 v[22:23], v[50:51], v[68:69]
	v_add_f64 v[18:19], v[18:19], -v[64:65]
	v_fma_f64 v[22:23], v[48:49], v[20:21], -v[22:23]
	v_mul_f64 v[48:49], v[48:49], v[68:69]
	ds_read2_b64 v[64:67], v60 offset0:16 offset1:17
	v_fmac_f64_e32 v[48:49], v[50:51], v[20:21]
	s_waitcnt vmcnt(4)
	v_add_f64 v[14:15], v[14:15], -v[48:49]
	ds_read2_b64 v[48:51], v60 offset0:18 offset1:19
	v_add_f64 v[12:13], v[12:13], -v[22:23]
	s_waitcnt lgkmcnt(1)
	v_mul_f64 v[22:23], v[66:67], v[68:69]
	v_fma_f64 v[22:23], v[64:65], v[20:21], -v[22:23]
	v_mul_f64 v[64:65], v[64:65], v[68:69]
	v_fmac_f64_e32 v[64:65], v[66:67], v[20:21]
	s_waitcnt vmcnt(3)
	v_add_f64 v[8:9], v[8:9], -v[22:23]
	s_waitcnt lgkmcnt(0)
	v_mul_f64 v[22:23], v[50:51], v[68:69]
	v_add_f64 v[10:11], v[10:11], -v[64:65]
	v_fma_f64 v[22:23], v[48:49], v[20:21], -v[22:23]
	v_mul_f64 v[48:49], v[48:49], v[68:69]
	ds_read2_b64 v[64:67], v60 offset0:20 offset1:21
	v_fmac_f64_e32 v[48:49], v[50:51], v[20:21]
	s_waitcnt vmcnt(2)
	v_add_f64 v[6:7], v[6:7], -v[48:49]
	ds_read2_b64 v[48:51], v60 offset0:22 offset1:23
	v_add_f64 v[4:5], v[4:5], -v[22:23]
	s_waitcnt lgkmcnt(1)
	v_mul_f64 v[22:23], v[66:67], v[68:69]
	v_fma_f64 v[22:23], v[64:65], v[20:21], -v[22:23]
	s_waitcnt vmcnt(1)
	v_add_f64 v[0:1], v[0:1], -v[22:23]
	s_waitcnt lgkmcnt(0)
	v_mul_f64 v[22:23], v[50:51], v[68:69]
	v_mul_f64 v[64:65], v[64:65], v[68:69]
	v_fma_f64 v[22:23], v[48:49], v[20:21], -v[22:23]
	v_mul_f64 v[48:49], v[48:49], v[68:69]
	v_fmac_f64_e32 v[64:65], v[66:67], v[20:21]
	v_fmac_f64_e32 v[48:49], v[50:51], v[20:21]
	v_add_f64 v[2:3], v[2:3], -v[64:65]
	s_waitcnt vmcnt(0)
	v_add_f64 v[44:45], v[44:45], -v[22:23]
	v_add_f64 v[46:47], v[46:47], -v[48:49]
	v_mov_b64_e32 v[22:23], v[68:69]
.LBB22_125:
	s_or_b64 exec, exec, s[0:1]
	v_lshl_add_u32 v48, v59, 4, v60
	s_barrier
	s_waitcnt vmcnt(5)
	ds_write2_b64 v48, v[16:17], v[18:19] offset1:1
	s_waitcnt lgkmcnt(0)
	s_barrier
	ds_read2_b64 v[48:51], v60 offset0:12 offset1:13
	s_cmp_lt_i32 s20, 8
	v_mov_b32_e32 v58, 6
	s_cbranch_scc1 .LBB22_128
; %bb.126:
	v_add_u32_e32 v61, 0x70, v60
	s_mov_b32 s12, 7
	v_mov_b32_e32 v58, 6
.LBB22_127:                             ; =>This Inner Loop Header: Depth=1
	ds_read2_b64 v[64:67], v61 offset1:1
	s_waitcnt lgkmcnt(1)
	v_xor_b32_e32 v69, 0x80000000, v49
	v_xor_b32_e32 v71, 0x80000000, v51
	v_cmp_gt_f64_e32 vcc, 0, v[50:51]
	v_cmp_gt_f64_e64 s[0:1], 0, v[48:49]
	v_mov_b32_e32 v68, v48
	v_mov_b32_e32 v70, v50
	v_cndmask_b32_e64 v69, v49, v69, s[0:1]
	v_cndmask_b32_e32 v71, v51, v71, vcc
	v_add_f64 v[68:69], v[68:69], v[70:71]
	s_waitcnt lgkmcnt(0)
	v_xor_b32_e32 v71, 0x80000000, v65
	v_xor_b32_e32 v73, 0x80000000, v67
	v_cmp_gt_f64_e32 vcc, 0, v[66:67]
	v_cmp_gt_f64_e64 s[0:1], 0, v[64:65]
	v_mov_b32_e32 v70, v64
	v_mov_b32_e32 v72, v66
	v_cndmask_b32_e64 v71, v65, v71, s[0:1]
	v_cndmask_b32_e32 v73, v67, v73, vcc
	v_add_f64 v[70:71], v[70:71], v[72:73]
	v_mov_b32_e32 v74, s12
	s_add_i32 s12, s12, 1
	v_cmp_lt_f64_e32 vcc, v[68:69], v[70:71]
	v_add_u32_e32 v61, 16, v61
	s_cmp_lg_u32 s20, s12
	v_cndmask_b32_e32 v49, v49, v65, vcc
	v_cndmask_b32_e32 v48, v48, v64, vcc
	;; [unrolled: 1-line block ×5, first 2 shown]
	s_cbranch_scc1 .LBB22_127
.LBB22_128:
	s_waitcnt lgkmcnt(0)
	v_cmp_eq_f64_e32 vcc, 0, v[48:49]
	v_cmp_eq_f64_e64 s[0:1], 0, v[50:51]
	s_and_b64 s[0:1], vcc, s[0:1]
	s_and_saveexec_b64 s[12:13], s[0:1]
	s_xor_b64 s[0:1], exec, s[12:13]
; %bb.129:
	v_cmp_ne_u32_e32 vcc, 0, v63
	s_nop 1
	v_cndmask_b32_e32 v63, 7, v63, vcc
; %bb.130:
	s_andn2_saveexec_b64 s[0:1], s[0:1]
	s_cbranch_execz .LBB22_136
; %bb.131:
	v_cmp_ngt_f64_e64 s[12:13], |v[48:49]|, |v[50:51]|
	s_and_saveexec_b64 s[14:15], s[12:13]
	s_xor_b64 s[12:13], exec, s[14:15]
	s_cbranch_execz .LBB22_133
; %bb.132:
	v_div_scale_f64 v[64:65], s[14:15], v[50:51], v[50:51], v[48:49]
	v_rcp_f64_e32 v[66:67], v[64:65]
	v_div_scale_f64 v[68:69], vcc, v[48:49], v[50:51], v[48:49]
	v_fma_f64 v[70:71], -v[64:65], v[66:67], 1.0
	v_fmac_f64_e32 v[66:67], v[66:67], v[70:71]
	v_fma_f64 v[70:71], -v[64:65], v[66:67], 1.0
	v_fmac_f64_e32 v[66:67], v[66:67], v[70:71]
	v_mul_f64 v[70:71], v[68:69], v[66:67]
	v_fma_f64 v[64:65], -v[64:65], v[70:71], v[68:69]
	v_div_fmas_f64 v[64:65], v[64:65], v[66:67], v[70:71]
	v_div_fixup_f64 v[64:65], v[64:65], v[50:51], v[48:49]
	v_fmac_f64_e32 v[50:51], v[48:49], v[64:65]
	v_div_scale_f64 v[48:49], s[14:15], v[50:51], v[50:51], 1.0
	v_rcp_f64_e32 v[66:67], v[48:49]
	s_nop 0
	v_fma_f64 v[68:69], -v[48:49], v[66:67], 1.0
	v_fmac_f64_e32 v[66:67], v[66:67], v[68:69]
	v_fma_f64 v[68:69], -v[48:49], v[66:67], 1.0
	v_fmac_f64_e32 v[66:67], v[66:67], v[68:69]
	v_div_scale_f64 v[68:69], vcc, 1.0, v[50:51], 1.0
	v_mul_f64 v[70:71], v[68:69], v[66:67]
	v_fma_f64 v[48:49], -v[48:49], v[70:71], v[68:69]
	s_nop 1
	v_div_fmas_f64 v[48:49], v[48:49], v[66:67], v[70:71]
	v_div_fixup_f64 v[50:51], v[48:49], v[50:51], 1.0
	v_mul_f64 v[48:49], v[64:65], v[50:51]
	v_xor_b32_e32 v51, 0x80000000, v51
.LBB22_133:
	s_andn2_saveexec_b64 s[12:13], s[12:13]
	s_cbranch_execz .LBB22_135
; %bb.134:
	v_div_scale_f64 v[64:65], s[14:15], v[48:49], v[48:49], v[50:51]
	v_rcp_f64_e32 v[66:67], v[64:65]
	v_div_scale_f64 v[68:69], vcc, v[50:51], v[48:49], v[50:51]
	v_fma_f64 v[70:71], -v[64:65], v[66:67], 1.0
	v_fmac_f64_e32 v[66:67], v[66:67], v[70:71]
	v_fma_f64 v[70:71], -v[64:65], v[66:67], 1.0
	v_fmac_f64_e32 v[66:67], v[66:67], v[70:71]
	v_mul_f64 v[70:71], v[68:69], v[66:67]
	v_fma_f64 v[64:65], -v[64:65], v[70:71], v[68:69]
	v_div_fmas_f64 v[64:65], v[64:65], v[66:67], v[70:71]
	v_div_fixup_f64 v[64:65], v[64:65], v[48:49], v[50:51]
	v_fmac_f64_e32 v[48:49], v[50:51], v[64:65]
	v_div_scale_f64 v[50:51], s[14:15], v[48:49], v[48:49], 1.0
	v_rcp_f64_e32 v[66:67], v[50:51]
	s_nop 0
	v_fma_f64 v[68:69], -v[50:51], v[66:67], 1.0
	v_fmac_f64_e32 v[66:67], v[66:67], v[68:69]
	v_fma_f64 v[68:69], -v[50:51], v[66:67], 1.0
	v_fmac_f64_e32 v[66:67], v[66:67], v[68:69]
	v_div_scale_f64 v[68:69], vcc, 1.0, v[48:49], 1.0
	v_mul_f64 v[70:71], v[68:69], v[66:67]
	v_fma_f64 v[50:51], -v[50:51], v[70:71], v[68:69]
	s_nop 1
	v_div_fmas_f64 v[50:51], v[50:51], v[66:67], v[70:71]
	v_div_fixup_f64 v[48:49], v[50:51], v[48:49], 1.0
	v_mul_f64 v[50:51], v[64:65], -v[48:49]
.LBB22_135:
	s_or_b64 exec, exec, s[12:13]
.LBB22_136:
	s_or_b64 exec, exec, s[0:1]
	v_cmp_ne_u32_e32 vcc, v59, v58
	s_and_saveexec_b64 s[0:1], vcc
	s_xor_b64 s[0:1], exec, s[0:1]
	s_cbranch_execz .LBB22_142
; %bb.137:
	v_cmp_eq_u32_e32 vcc, 6, v59
	s_and_saveexec_b64 s[12:13], vcc
	s_cbranch_execz .LBB22_141
; %bb.138:
	v_cmp_ne_u32_e32 vcc, 6, v58
	s_xor_b64 s[14:15], s[18:19], -1
	s_and_b64 s[22:23], s[14:15], vcc
	s_and_saveexec_b64 s[14:15], s[22:23]
	s_cbranch_execz .LBB22_140
; %bb.139:
	v_ashrrev_i32_e32 v59, 31, v58
	v_lshl_add_u64 v[64:65], v[58:59], 2, v[56:57]
	global_load_dword v59, v[64:65], off
	global_load_dword v61, v[56:57], off offset:24
	s_waitcnt vmcnt(1)
	global_store_dword v[56:57], v59, off offset:24
	s_waitcnt vmcnt(1)
	global_store_dword v[64:65], v61, off
.LBB22_140:
	s_or_b64 exec, exec, s[14:15]
	v_mov_b32_e32 v59, v58
	v_mov_b32_e32 v62, v58
.LBB22_141:
	s_or_b64 exec, exec, s[12:13]
.LBB22_142:
	s_andn2_saveexec_b64 s[0:1], s[0:1]
	s_cbranch_execz .LBB22_144
; %bb.143:
	v_mov_b32_e32 v59, 6
	s_waitcnt vmcnt(4)
	ds_write2_b64 v60, v[12:13], v[14:15] offset0:14 offset1:15
	s_waitcnt vmcnt(3)
	ds_write2_b64 v60, v[8:9], v[10:11] offset0:16 offset1:17
	;; [unrolled: 2-line block ×5, first 2 shown]
.LBB22_144:
	s_or_b64 exec, exec, s[0:1]
	v_cmp_lt_i32_e32 vcc, 6, v59
	s_waitcnt lgkmcnt(0)
	s_barrier
	s_and_saveexec_b64 s[0:1], vcc
	s_cbranch_execz .LBB22_146
; %bb.145:
	ds_read2_b64 v[64:67], v60 offset0:14 offset1:15
	v_mul_f64 v[68:69], v[48:49], v[18:19]
	v_fmac_f64_e32 v[68:69], v[50:51], v[16:17]
	v_mul_f64 v[18:19], v[50:51], v[18:19]
	v_fma_f64 v[16:17], v[48:49], v[16:17], -v[18:19]
	ds_read2_b64 v[48:51], v60 offset0:16 offset1:17
	s_waitcnt lgkmcnt(1)
	v_mul_f64 v[18:19], v[66:67], v[68:69]
	v_fma_f64 v[18:19], v[64:65], v[16:17], -v[18:19]
	v_mul_f64 v[64:65], v[64:65], v[68:69]
	v_fmac_f64_e32 v[64:65], v[66:67], v[16:17]
	s_waitcnt vmcnt(4)
	v_add_f64 v[14:15], v[14:15], -v[64:65]
	ds_read2_b64 v[64:67], v60 offset0:18 offset1:19
	v_add_f64 v[12:13], v[12:13], -v[18:19]
	s_waitcnt lgkmcnt(1)
	v_mul_f64 v[18:19], v[50:51], v[68:69]
	v_fma_f64 v[18:19], v[48:49], v[16:17], -v[18:19]
	v_mul_f64 v[48:49], v[48:49], v[68:69]
	v_fmac_f64_e32 v[48:49], v[50:51], v[16:17]
	s_waitcnt vmcnt(3)
	v_add_f64 v[8:9], v[8:9], -v[18:19]
	v_add_f64 v[10:11], v[10:11], -v[48:49]
	ds_read2_b64 v[48:51], v60 offset0:20 offset1:21
	s_waitcnt lgkmcnt(1)
	v_mul_f64 v[18:19], v[66:67], v[68:69]
	v_fma_f64 v[18:19], v[64:65], v[16:17], -v[18:19]
	v_mul_f64 v[64:65], v[64:65], v[68:69]
	v_fmac_f64_e32 v[64:65], v[66:67], v[16:17]
	s_waitcnt vmcnt(2)
	v_add_f64 v[6:7], v[6:7], -v[64:65]
	ds_read2_b64 v[64:67], v60 offset0:22 offset1:23
	v_add_f64 v[4:5], v[4:5], -v[18:19]
	s_waitcnt lgkmcnt(1)
	v_mul_f64 v[18:19], v[50:51], v[68:69]
	v_fma_f64 v[18:19], v[48:49], v[16:17], -v[18:19]
	v_mul_f64 v[48:49], v[48:49], v[68:69]
	v_fmac_f64_e32 v[48:49], v[50:51], v[16:17]
	s_waitcnt vmcnt(1)
	v_add_f64 v[0:1], v[0:1], -v[18:19]
	v_add_f64 v[2:3], v[2:3], -v[48:49]
	s_waitcnt lgkmcnt(0)
	v_mul_f64 v[18:19], v[66:67], v[68:69]
	v_mul_f64 v[48:49], v[64:65], v[68:69]
	v_fma_f64 v[18:19], v[64:65], v[16:17], -v[18:19]
	v_fmac_f64_e32 v[48:49], v[66:67], v[16:17]
	s_waitcnt vmcnt(0)
	v_add_f64 v[44:45], v[44:45], -v[18:19]
	v_add_f64 v[46:47], v[46:47], -v[48:49]
	v_mov_b64_e32 v[18:19], v[68:69]
.LBB22_146:
	s_or_b64 exec, exec, s[0:1]
	v_lshl_add_u32 v48, v59, 4, v60
	s_barrier
	s_waitcnt vmcnt(4)
	ds_write2_b64 v48, v[12:13], v[14:15] offset1:1
	s_waitcnt lgkmcnt(0)
	s_barrier
	ds_read2_b64 v[48:51], v60 offset0:14 offset1:15
	s_cmp_lt_i32 s20, 9
	v_mov_b32_e32 v58, 7
	s_cbranch_scc1 .LBB22_149
; %bb.147:
	v_add_u32_e32 v61, 0x80, v60
	s_mov_b32 s12, 8
	v_mov_b32_e32 v58, 7
.LBB22_148:                             ; =>This Inner Loop Header: Depth=1
	ds_read2_b64 v[64:67], v61 offset1:1
	s_waitcnt lgkmcnt(1)
	v_xor_b32_e32 v69, 0x80000000, v49
	v_xor_b32_e32 v71, 0x80000000, v51
	v_cmp_gt_f64_e32 vcc, 0, v[50:51]
	v_cmp_gt_f64_e64 s[0:1], 0, v[48:49]
	v_mov_b32_e32 v68, v48
	v_mov_b32_e32 v70, v50
	v_cndmask_b32_e64 v69, v49, v69, s[0:1]
	v_cndmask_b32_e32 v71, v51, v71, vcc
	v_add_f64 v[68:69], v[68:69], v[70:71]
	s_waitcnt lgkmcnt(0)
	v_xor_b32_e32 v71, 0x80000000, v65
	v_xor_b32_e32 v73, 0x80000000, v67
	v_cmp_gt_f64_e32 vcc, 0, v[66:67]
	v_cmp_gt_f64_e64 s[0:1], 0, v[64:65]
	v_mov_b32_e32 v70, v64
	v_mov_b32_e32 v72, v66
	v_cndmask_b32_e64 v71, v65, v71, s[0:1]
	v_cndmask_b32_e32 v73, v67, v73, vcc
	v_add_f64 v[70:71], v[70:71], v[72:73]
	v_mov_b32_e32 v74, s12
	s_add_i32 s12, s12, 1
	v_cmp_lt_f64_e32 vcc, v[68:69], v[70:71]
	v_add_u32_e32 v61, 16, v61
	s_cmp_lg_u32 s20, s12
	v_cndmask_b32_e32 v49, v49, v65, vcc
	v_cndmask_b32_e32 v48, v48, v64, vcc
	v_cndmask_b32_e32 v51, v51, v67, vcc
	v_cndmask_b32_e32 v50, v50, v66, vcc
	v_cndmask_b32_e32 v58, v58, v74, vcc
	s_cbranch_scc1 .LBB22_148
.LBB22_149:
	s_waitcnt lgkmcnt(0)
	v_cmp_eq_f64_e32 vcc, 0, v[48:49]
	v_cmp_eq_f64_e64 s[0:1], 0, v[50:51]
	s_and_b64 s[0:1], vcc, s[0:1]
	s_and_saveexec_b64 s[12:13], s[0:1]
	s_xor_b64 s[0:1], exec, s[12:13]
; %bb.150:
	v_cmp_ne_u32_e32 vcc, 0, v63
	s_nop 1
	v_cndmask_b32_e32 v63, 8, v63, vcc
; %bb.151:
	s_andn2_saveexec_b64 s[0:1], s[0:1]
	s_cbranch_execz .LBB22_157
; %bb.152:
	v_cmp_ngt_f64_e64 s[12:13], |v[48:49]|, |v[50:51]|
	s_and_saveexec_b64 s[14:15], s[12:13]
	s_xor_b64 s[12:13], exec, s[14:15]
	s_cbranch_execz .LBB22_154
; %bb.153:
	v_div_scale_f64 v[64:65], s[14:15], v[50:51], v[50:51], v[48:49]
	v_rcp_f64_e32 v[66:67], v[64:65]
	v_div_scale_f64 v[68:69], vcc, v[48:49], v[50:51], v[48:49]
	v_fma_f64 v[70:71], -v[64:65], v[66:67], 1.0
	v_fmac_f64_e32 v[66:67], v[66:67], v[70:71]
	v_fma_f64 v[70:71], -v[64:65], v[66:67], 1.0
	v_fmac_f64_e32 v[66:67], v[66:67], v[70:71]
	v_mul_f64 v[70:71], v[68:69], v[66:67]
	v_fma_f64 v[64:65], -v[64:65], v[70:71], v[68:69]
	v_div_fmas_f64 v[64:65], v[64:65], v[66:67], v[70:71]
	v_div_fixup_f64 v[64:65], v[64:65], v[50:51], v[48:49]
	v_fmac_f64_e32 v[50:51], v[48:49], v[64:65]
	v_div_scale_f64 v[48:49], s[14:15], v[50:51], v[50:51], 1.0
	v_rcp_f64_e32 v[66:67], v[48:49]
	s_nop 0
	v_fma_f64 v[68:69], -v[48:49], v[66:67], 1.0
	v_fmac_f64_e32 v[66:67], v[66:67], v[68:69]
	v_fma_f64 v[68:69], -v[48:49], v[66:67], 1.0
	v_fmac_f64_e32 v[66:67], v[66:67], v[68:69]
	v_div_scale_f64 v[68:69], vcc, 1.0, v[50:51], 1.0
	v_mul_f64 v[70:71], v[68:69], v[66:67]
	v_fma_f64 v[48:49], -v[48:49], v[70:71], v[68:69]
	s_nop 1
	v_div_fmas_f64 v[48:49], v[48:49], v[66:67], v[70:71]
	v_div_fixup_f64 v[50:51], v[48:49], v[50:51], 1.0
	v_mul_f64 v[48:49], v[64:65], v[50:51]
	v_xor_b32_e32 v51, 0x80000000, v51
.LBB22_154:
	s_andn2_saveexec_b64 s[12:13], s[12:13]
	s_cbranch_execz .LBB22_156
; %bb.155:
	v_div_scale_f64 v[64:65], s[14:15], v[48:49], v[48:49], v[50:51]
	v_rcp_f64_e32 v[66:67], v[64:65]
	v_div_scale_f64 v[68:69], vcc, v[50:51], v[48:49], v[50:51]
	v_fma_f64 v[70:71], -v[64:65], v[66:67], 1.0
	v_fmac_f64_e32 v[66:67], v[66:67], v[70:71]
	v_fma_f64 v[70:71], -v[64:65], v[66:67], 1.0
	v_fmac_f64_e32 v[66:67], v[66:67], v[70:71]
	v_mul_f64 v[70:71], v[68:69], v[66:67]
	v_fma_f64 v[64:65], -v[64:65], v[70:71], v[68:69]
	v_div_fmas_f64 v[64:65], v[64:65], v[66:67], v[70:71]
	v_div_fixup_f64 v[64:65], v[64:65], v[48:49], v[50:51]
	v_fmac_f64_e32 v[48:49], v[50:51], v[64:65]
	v_div_scale_f64 v[50:51], s[14:15], v[48:49], v[48:49], 1.0
	v_rcp_f64_e32 v[66:67], v[50:51]
	s_nop 0
	v_fma_f64 v[68:69], -v[50:51], v[66:67], 1.0
	v_fmac_f64_e32 v[66:67], v[66:67], v[68:69]
	v_fma_f64 v[68:69], -v[50:51], v[66:67], 1.0
	v_fmac_f64_e32 v[66:67], v[66:67], v[68:69]
	v_div_scale_f64 v[68:69], vcc, 1.0, v[48:49], 1.0
	v_mul_f64 v[70:71], v[68:69], v[66:67]
	v_fma_f64 v[50:51], -v[50:51], v[70:71], v[68:69]
	s_nop 1
	v_div_fmas_f64 v[50:51], v[50:51], v[66:67], v[70:71]
	v_div_fixup_f64 v[48:49], v[50:51], v[48:49], 1.0
	v_mul_f64 v[50:51], v[64:65], -v[48:49]
.LBB22_156:
	s_or_b64 exec, exec, s[12:13]
.LBB22_157:
	s_or_b64 exec, exec, s[0:1]
	v_cmp_ne_u32_e32 vcc, v59, v58
	s_and_saveexec_b64 s[0:1], vcc
	s_xor_b64 s[0:1], exec, s[0:1]
	s_cbranch_execz .LBB22_163
; %bb.158:
	v_cmp_eq_u32_e32 vcc, 7, v59
	s_and_saveexec_b64 s[12:13], vcc
	s_cbranch_execz .LBB22_162
; %bb.159:
	v_cmp_ne_u32_e32 vcc, 7, v58
	s_xor_b64 s[14:15], s[18:19], -1
	s_and_b64 s[22:23], s[14:15], vcc
	s_and_saveexec_b64 s[14:15], s[22:23]
	s_cbranch_execz .LBB22_161
; %bb.160:
	v_ashrrev_i32_e32 v59, 31, v58
	v_lshl_add_u64 v[64:65], v[58:59], 2, v[56:57]
	global_load_dword v59, v[64:65], off
	global_load_dword v61, v[56:57], off offset:28
	s_waitcnt vmcnt(1)
	global_store_dword v[56:57], v59, off offset:28
	s_waitcnt vmcnt(1)
	global_store_dword v[64:65], v61, off
.LBB22_161:
	s_or_b64 exec, exec, s[14:15]
	v_mov_b32_e32 v59, v58
	v_mov_b32_e32 v62, v58
.LBB22_162:
	s_or_b64 exec, exec, s[12:13]
.LBB22_163:
	s_andn2_saveexec_b64 s[0:1], s[0:1]
	s_cbranch_execz .LBB22_165
; %bb.164:
	v_mov_b32_e32 v59, 7
	s_waitcnt vmcnt(3)
	ds_write2_b64 v60, v[8:9], v[10:11] offset0:16 offset1:17
	s_waitcnt vmcnt(2)
	ds_write2_b64 v60, v[4:5], v[6:7] offset0:18 offset1:19
	;; [unrolled: 2-line block ×4, first 2 shown]
.LBB22_165:
	s_or_b64 exec, exec, s[0:1]
	v_cmp_lt_i32_e32 vcc, 7, v59
	s_waitcnt lgkmcnt(0)
	s_barrier
	s_and_saveexec_b64 s[0:1], vcc
	s_cbranch_execz .LBB22_167
; %bb.166:
	ds_read2_b64 v[64:67], v60 offset0:16 offset1:17
	v_mul_f64 v[68:69], v[48:49], v[14:15]
	v_mul_f64 v[14:15], v[50:51], v[14:15]
	v_fmac_f64_e32 v[68:69], v[50:51], v[12:13]
	v_fma_f64 v[12:13], v[48:49], v[12:13], -v[14:15]
	ds_read2_b64 v[48:51], v60 offset0:18 offset1:19
	s_waitcnt lgkmcnt(1)
	v_mul_f64 v[14:15], v[66:67], v[68:69]
	v_fma_f64 v[14:15], v[64:65], v[12:13], -v[14:15]
	v_mul_f64 v[64:65], v[64:65], v[68:69]
	v_fmac_f64_e32 v[64:65], v[66:67], v[12:13]
	s_waitcnt vmcnt(3)
	v_add_f64 v[8:9], v[8:9], -v[14:15]
	s_waitcnt lgkmcnt(0)
	v_mul_f64 v[14:15], v[50:51], v[68:69]
	v_add_f64 v[10:11], v[10:11], -v[64:65]
	v_fma_f64 v[14:15], v[48:49], v[12:13], -v[14:15]
	v_mul_f64 v[48:49], v[48:49], v[68:69]
	ds_read2_b64 v[64:67], v60 offset0:20 offset1:21
	v_fmac_f64_e32 v[48:49], v[50:51], v[12:13]
	s_waitcnt vmcnt(2)
	v_add_f64 v[6:7], v[6:7], -v[48:49]
	ds_read2_b64 v[48:51], v60 offset0:22 offset1:23
	v_add_f64 v[4:5], v[4:5], -v[14:15]
	s_waitcnt lgkmcnt(1)
	v_mul_f64 v[14:15], v[66:67], v[68:69]
	v_fma_f64 v[14:15], v[64:65], v[12:13], -v[14:15]
	s_waitcnt vmcnt(1)
	v_add_f64 v[0:1], v[0:1], -v[14:15]
	s_waitcnt lgkmcnt(0)
	v_mul_f64 v[14:15], v[50:51], v[68:69]
	v_mul_f64 v[64:65], v[64:65], v[68:69]
	v_fma_f64 v[14:15], v[48:49], v[12:13], -v[14:15]
	v_mul_f64 v[48:49], v[48:49], v[68:69]
	v_fmac_f64_e32 v[64:65], v[66:67], v[12:13]
	v_fmac_f64_e32 v[48:49], v[50:51], v[12:13]
	v_add_f64 v[2:3], v[2:3], -v[64:65]
	s_waitcnt vmcnt(0)
	v_add_f64 v[44:45], v[44:45], -v[14:15]
	v_add_f64 v[46:47], v[46:47], -v[48:49]
	v_mov_b64_e32 v[14:15], v[68:69]
.LBB22_167:
	s_or_b64 exec, exec, s[0:1]
	v_lshl_add_u32 v48, v59, 4, v60
	s_barrier
	s_waitcnt vmcnt(3)
	ds_write2_b64 v48, v[8:9], v[10:11] offset1:1
	s_waitcnt lgkmcnt(0)
	s_barrier
	ds_read2_b64 v[48:51], v60 offset0:16 offset1:17
	s_cmp_lt_i32 s20, 10
	v_mov_b32_e32 v58, 8
	s_cbranch_scc1 .LBB22_170
; %bb.168:
	v_add_u32_e32 v61, 0x90, v60
	s_mov_b32 s12, 9
	v_mov_b32_e32 v58, 8
.LBB22_169:                             ; =>This Inner Loop Header: Depth=1
	ds_read2_b64 v[64:67], v61 offset1:1
	s_waitcnt lgkmcnt(1)
	v_xor_b32_e32 v69, 0x80000000, v49
	v_xor_b32_e32 v71, 0x80000000, v51
	v_cmp_gt_f64_e32 vcc, 0, v[50:51]
	v_cmp_gt_f64_e64 s[0:1], 0, v[48:49]
	v_mov_b32_e32 v68, v48
	v_mov_b32_e32 v70, v50
	v_cndmask_b32_e64 v69, v49, v69, s[0:1]
	v_cndmask_b32_e32 v71, v51, v71, vcc
	v_add_f64 v[68:69], v[68:69], v[70:71]
	s_waitcnt lgkmcnt(0)
	v_xor_b32_e32 v71, 0x80000000, v65
	v_xor_b32_e32 v73, 0x80000000, v67
	v_cmp_gt_f64_e32 vcc, 0, v[66:67]
	v_cmp_gt_f64_e64 s[0:1], 0, v[64:65]
	v_mov_b32_e32 v70, v64
	v_mov_b32_e32 v72, v66
	v_cndmask_b32_e64 v71, v65, v71, s[0:1]
	v_cndmask_b32_e32 v73, v67, v73, vcc
	v_add_f64 v[70:71], v[70:71], v[72:73]
	v_mov_b32_e32 v74, s12
	s_add_i32 s12, s12, 1
	v_cmp_lt_f64_e32 vcc, v[68:69], v[70:71]
	v_add_u32_e32 v61, 16, v61
	s_cmp_lg_u32 s20, s12
	v_cndmask_b32_e32 v49, v49, v65, vcc
	v_cndmask_b32_e32 v48, v48, v64, vcc
	;; [unrolled: 1-line block ×5, first 2 shown]
	s_cbranch_scc1 .LBB22_169
.LBB22_170:
	s_waitcnt lgkmcnt(0)
	v_cmp_eq_f64_e32 vcc, 0, v[48:49]
	v_cmp_eq_f64_e64 s[0:1], 0, v[50:51]
	s_and_b64 s[0:1], vcc, s[0:1]
	s_and_saveexec_b64 s[12:13], s[0:1]
	s_xor_b64 s[0:1], exec, s[12:13]
; %bb.171:
	v_cmp_ne_u32_e32 vcc, 0, v63
	s_nop 1
	v_cndmask_b32_e32 v63, 9, v63, vcc
; %bb.172:
	s_andn2_saveexec_b64 s[0:1], s[0:1]
	s_cbranch_execz .LBB22_178
; %bb.173:
	v_cmp_ngt_f64_e64 s[12:13], |v[48:49]|, |v[50:51]|
	s_and_saveexec_b64 s[14:15], s[12:13]
	s_xor_b64 s[12:13], exec, s[14:15]
	s_cbranch_execz .LBB22_175
; %bb.174:
	v_div_scale_f64 v[64:65], s[14:15], v[50:51], v[50:51], v[48:49]
	v_rcp_f64_e32 v[66:67], v[64:65]
	v_div_scale_f64 v[68:69], vcc, v[48:49], v[50:51], v[48:49]
	v_fma_f64 v[70:71], -v[64:65], v[66:67], 1.0
	v_fmac_f64_e32 v[66:67], v[66:67], v[70:71]
	v_fma_f64 v[70:71], -v[64:65], v[66:67], 1.0
	v_fmac_f64_e32 v[66:67], v[66:67], v[70:71]
	v_mul_f64 v[70:71], v[68:69], v[66:67]
	v_fma_f64 v[64:65], -v[64:65], v[70:71], v[68:69]
	v_div_fmas_f64 v[64:65], v[64:65], v[66:67], v[70:71]
	v_div_fixup_f64 v[64:65], v[64:65], v[50:51], v[48:49]
	v_fmac_f64_e32 v[50:51], v[48:49], v[64:65]
	v_div_scale_f64 v[48:49], s[14:15], v[50:51], v[50:51], 1.0
	v_rcp_f64_e32 v[66:67], v[48:49]
	s_nop 0
	v_fma_f64 v[68:69], -v[48:49], v[66:67], 1.0
	v_fmac_f64_e32 v[66:67], v[66:67], v[68:69]
	v_fma_f64 v[68:69], -v[48:49], v[66:67], 1.0
	v_fmac_f64_e32 v[66:67], v[66:67], v[68:69]
	v_div_scale_f64 v[68:69], vcc, 1.0, v[50:51], 1.0
	v_mul_f64 v[70:71], v[68:69], v[66:67]
	v_fma_f64 v[48:49], -v[48:49], v[70:71], v[68:69]
	s_nop 1
	v_div_fmas_f64 v[48:49], v[48:49], v[66:67], v[70:71]
	v_div_fixup_f64 v[50:51], v[48:49], v[50:51], 1.0
	v_mul_f64 v[48:49], v[64:65], v[50:51]
	v_xor_b32_e32 v51, 0x80000000, v51
.LBB22_175:
	s_andn2_saveexec_b64 s[12:13], s[12:13]
	s_cbranch_execz .LBB22_177
; %bb.176:
	v_div_scale_f64 v[64:65], s[14:15], v[48:49], v[48:49], v[50:51]
	v_rcp_f64_e32 v[66:67], v[64:65]
	v_div_scale_f64 v[68:69], vcc, v[50:51], v[48:49], v[50:51]
	v_fma_f64 v[70:71], -v[64:65], v[66:67], 1.0
	v_fmac_f64_e32 v[66:67], v[66:67], v[70:71]
	v_fma_f64 v[70:71], -v[64:65], v[66:67], 1.0
	v_fmac_f64_e32 v[66:67], v[66:67], v[70:71]
	v_mul_f64 v[70:71], v[68:69], v[66:67]
	v_fma_f64 v[64:65], -v[64:65], v[70:71], v[68:69]
	v_div_fmas_f64 v[64:65], v[64:65], v[66:67], v[70:71]
	v_div_fixup_f64 v[64:65], v[64:65], v[48:49], v[50:51]
	v_fmac_f64_e32 v[48:49], v[50:51], v[64:65]
	v_div_scale_f64 v[50:51], s[14:15], v[48:49], v[48:49], 1.0
	v_rcp_f64_e32 v[66:67], v[50:51]
	s_nop 0
	v_fma_f64 v[68:69], -v[50:51], v[66:67], 1.0
	v_fmac_f64_e32 v[66:67], v[66:67], v[68:69]
	v_fma_f64 v[68:69], -v[50:51], v[66:67], 1.0
	v_fmac_f64_e32 v[66:67], v[66:67], v[68:69]
	v_div_scale_f64 v[68:69], vcc, 1.0, v[48:49], 1.0
	v_mul_f64 v[70:71], v[68:69], v[66:67]
	v_fma_f64 v[50:51], -v[50:51], v[70:71], v[68:69]
	s_nop 1
	v_div_fmas_f64 v[50:51], v[50:51], v[66:67], v[70:71]
	v_div_fixup_f64 v[48:49], v[50:51], v[48:49], 1.0
	v_mul_f64 v[50:51], v[64:65], -v[48:49]
.LBB22_177:
	s_or_b64 exec, exec, s[12:13]
.LBB22_178:
	s_or_b64 exec, exec, s[0:1]
	v_cmp_ne_u32_e32 vcc, v59, v58
	s_and_saveexec_b64 s[0:1], vcc
	s_xor_b64 s[0:1], exec, s[0:1]
	s_cbranch_execz .LBB22_184
; %bb.179:
	v_cmp_eq_u32_e32 vcc, 8, v59
	s_and_saveexec_b64 s[12:13], vcc
	s_cbranch_execz .LBB22_183
; %bb.180:
	v_cmp_ne_u32_e32 vcc, 8, v58
	s_xor_b64 s[14:15], s[18:19], -1
	s_and_b64 s[22:23], s[14:15], vcc
	s_and_saveexec_b64 s[14:15], s[22:23]
	s_cbranch_execz .LBB22_182
; %bb.181:
	v_ashrrev_i32_e32 v59, 31, v58
	v_lshl_add_u64 v[64:65], v[58:59], 2, v[56:57]
	global_load_dword v59, v[64:65], off
	global_load_dword v61, v[56:57], off offset:32
	s_waitcnt vmcnt(1)
	global_store_dword v[56:57], v59, off offset:32
	s_waitcnt vmcnt(1)
	global_store_dword v[64:65], v61, off
.LBB22_182:
	s_or_b64 exec, exec, s[14:15]
	v_mov_b32_e32 v59, v58
	v_mov_b32_e32 v62, v58
.LBB22_183:
	s_or_b64 exec, exec, s[12:13]
.LBB22_184:
	s_andn2_saveexec_b64 s[0:1], s[0:1]
	s_cbranch_execz .LBB22_186
; %bb.185:
	v_mov_b32_e32 v59, 8
	s_waitcnt vmcnt(2)
	ds_write2_b64 v60, v[4:5], v[6:7] offset0:18 offset1:19
	s_waitcnt vmcnt(1)
	ds_write2_b64 v60, v[0:1], v[2:3] offset0:20 offset1:21
	;; [unrolled: 2-line block ×3, first 2 shown]
.LBB22_186:
	s_or_b64 exec, exec, s[0:1]
	v_cmp_lt_i32_e32 vcc, 8, v59
	s_waitcnt lgkmcnt(0)
	s_barrier
	s_and_saveexec_b64 s[0:1], vcc
	s_cbranch_execz .LBB22_188
; %bb.187:
	ds_read2_b64 v[64:67], v60 offset0:18 offset1:19
	v_mul_f64 v[68:69], v[48:49], v[10:11]
	v_fmac_f64_e32 v[68:69], v[50:51], v[8:9]
	v_mul_f64 v[10:11], v[50:51], v[10:11]
	v_fma_f64 v[8:9], v[48:49], v[8:9], -v[10:11]
	ds_read2_b64 v[48:51], v60 offset0:20 offset1:21
	s_waitcnt lgkmcnt(1)
	v_mul_f64 v[10:11], v[66:67], v[68:69]
	v_fma_f64 v[10:11], v[64:65], v[8:9], -v[10:11]
	v_mul_f64 v[64:65], v[64:65], v[68:69]
	v_fmac_f64_e32 v[64:65], v[66:67], v[8:9]
	s_waitcnt vmcnt(2)
	v_add_f64 v[6:7], v[6:7], -v[64:65]
	ds_read2_b64 v[64:67], v60 offset0:22 offset1:23
	v_add_f64 v[4:5], v[4:5], -v[10:11]
	s_waitcnt lgkmcnt(1)
	v_mul_f64 v[10:11], v[50:51], v[68:69]
	v_fma_f64 v[10:11], v[48:49], v[8:9], -v[10:11]
	v_mul_f64 v[48:49], v[48:49], v[68:69]
	v_fmac_f64_e32 v[48:49], v[50:51], v[8:9]
	s_waitcnt vmcnt(1)
	v_add_f64 v[0:1], v[0:1], -v[10:11]
	v_add_f64 v[2:3], v[2:3], -v[48:49]
	s_waitcnt lgkmcnt(0)
	v_mul_f64 v[10:11], v[66:67], v[68:69]
	v_mul_f64 v[48:49], v[64:65], v[68:69]
	v_fma_f64 v[10:11], v[64:65], v[8:9], -v[10:11]
	v_fmac_f64_e32 v[48:49], v[66:67], v[8:9]
	s_waitcnt vmcnt(0)
	v_add_f64 v[44:45], v[44:45], -v[10:11]
	v_add_f64 v[46:47], v[46:47], -v[48:49]
	v_mov_b64_e32 v[10:11], v[68:69]
.LBB22_188:
	s_or_b64 exec, exec, s[0:1]
	v_lshl_add_u32 v48, v59, 4, v60
	s_barrier
	s_waitcnt vmcnt(2)
	ds_write2_b64 v48, v[4:5], v[6:7] offset1:1
	s_waitcnt lgkmcnt(0)
	s_barrier
	ds_read2_b64 v[48:51], v60 offset0:18 offset1:19
	s_cmp_lt_i32 s20, 11
	v_mov_b32_e32 v58, 9
	s_cbranch_scc1 .LBB22_191
; %bb.189:
	v_add_u32_e32 v61, 0xa0, v60
	s_mov_b32 s12, 10
	v_mov_b32_e32 v58, 9
.LBB22_190:                             ; =>This Inner Loop Header: Depth=1
	ds_read2_b64 v[64:67], v61 offset1:1
	s_waitcnt lgkmcnt(1)
	v_xor_b32_e32 v69, 0x80000000, v49
	v_xor_b32_e32 v71, 0x80000000, v51
	v_cmp_gt_f64_e32 vcc, 0, v[50:51]
	v_cmp_gt_f64_e64 s[0:1], 0, v[48:49]
	v_mov_b32_e32 v68, v48
	v_mov_b32_e32 v70, v50
	v_cndmask_b32_e64 v69, v49, v69, s[0:1]
	v_cndmask_b32_e32 v71, v51, v71, vcc
	v_add_f64 v[68:69], v[68:69], v[70:71]
	s_waitcnt lgkmcnt(0)
	v_xor_b32_e32 v71, 0x80000000, v65
	v_xor_b32_e32 v73, 0x80000000, v67
	v_cmp_gt_f64_e32 vcc, 0, v[66:67]
	v_cmp_gt_f64_e64 s[0:1], 0, v[64:65]
	v_mov_b32_e32 v70, v64
	v_mov_b32_e32 v72, v66
	v_cndmask_b32_e64 v71, v65, v71, s[0:1]
	v_cndmask_b32_e32 v73, v67, v73, vcc
	v_add_f64 v[70:71], v[70:71], v[72:73]
	v_mov_b32_e32 v74, s12
	s_add_i32 s12, s12, 1
	v_cmp_lt_f64_e32 vcc, v[68:69], v[70:71]
	v_add_u32_e32 v61, 16, v61
	s_cmp_lg_u32 s20, s12
	v_cndmask_b32_e32 v49, v49, v65, vcc
	v_cndmask_b32_e32 v48, v48, v64, vcc
	;; [unrolled: 1-line block ×5, first 2 shown]
	s_cbranch_scc1 .LBB22_190
.LBB22_191:
	s_waitcnt lgkmcnt(0)
	v_cmp_eq_f64_e32 vcc, 0, v[48:49]
	v_cmp_eq_f64_e64 s[0:1], 0, v[50:51]
	s_and_b64 s[0:1], vcc, s[0:1]
	s_and_saveexec_b64 s[12:13], s[0:1]
	s_xor_b64 s[0:1], exec, s[12:13]
; %bb.192:
	v_cmp_ne_u32_e32 vcc, 0, v63
	s_nop 1
	v_cndmask_b32_e32 v63, 10, v63, vcc
; %bb.193:
	s_andn2_saveexec_b64 s[0:1], s[0:1]
	s_cbranch_execz .LBB22_199
; %bb.194:
	v_cmp_ngt_f64_e64 s[12:13], |v[48:49]|, |v[50:51]|
	s_and_saveexec_b64 s[14:15], s[12:13]
	s_xor_b64 s[12:13], exec, s[14:15]
	s_cbranch_execz .LBB22_196
; %bb.195:
	v_div_scale_f64 v[64:65], s[14:15], v[50:51], v[50:51], v[48:49]
	v_rcp_f64_e32 v[66:67], v[64:65]
	v_div_scale_f64 v[68:69], vcc, v[48:49], v[50:51], v[48:49]
	v_fma_f64 v[70:71], -v[64:65], v[66:67], 1.0
	v_fmac_f64_e32 v[66:67], v[66:67], v[70:71]
	v_fma_f64 v[70:71], -v[64:65], v[66:67], 1.0
	v_fmac_f64_e32 v[66:67], v[66:67], v[70:71]
	v_mul_f64 v[70:71], v[68:69], v[66:67]
	v_fma_f64 v[64:65], -v[64:65], v[70:71], v[68:69]
	v_div_fmas_f64 v[64:65], v[64:65], v[66:67], v[70:71]
	v_div_fixup_f64 v[64:65], v[64:65], v[50:51], v[48:49]
	v_fmac_f64_e32 v[50:51], v[48:49], v[64:65]
	v_div_scale_f64 v[48:49], s[14:15], v[50:51], v[50:51], 1.0
	v_rcp_f64_e32 v[66:67], v[48:49]
	s_nop 0
	v_fma_f64 v[68:69], -v[48:49], v[66:67], 1.0
	v_fmac_f64_e32 v[66:67], v[66:67], v[68:69]
	v_fma_f64 v[68:69], -v[48:49], v[66:67], 1.0
	v_fmac_f64_e32 v[66:67], v[66:67], v[68:69]
	v_div_scale_f64 v[68:69], vcc, 1.0, v[50:51], 1.0
	v_mul_f64 v[70:71], v[68:69], v[66:67]
	v_fma_f64 v[48:49], -v[48:49], v[70:71], v[68:69]
	s_nop 1
	v_div_fmas_f64 v[48:49], v[48:49], v[66:67], v[70:71]
	v_div_fixup_f64 v[50:51], v[48:49], v[50:51], 1.0
	v_mul_f64 v[48:49], v[64:65], v[50:51]
	v_xor_b32_e32 v51, 0x80000000, v51
.LBB22_196:
	s_andn2_saveexec_b64 s[12:13], s[12:13]
	s_cbranch_execz .LBB22_198
; %bb.197:
	v_div_scale_f64 v[64:65], s[14:15], v[48:49], v[48:49], v[50:51]
	v_rcp_f64_e32 v[66:67], v[64:65]
	v_div_scale_f64 v[68:69], vcc, v[50:51], v[48:49], v[50:51]
	v_fma_f64 v[70:71], -v[64:65], v[66:67], 1.0
	v_fmac_f64_e32 v[66:67], v[66:67], v[70:71]
	v_fma_f64 v[70:71], -v[64:65], v[66:67], 1.0
	v_fmac_f64_e32 v[66:67], v[66:67], v[70:71]
	v_mul_f64 v[70:71], v[68:69], v[66:67]
	v_fma_f64 v[64:65], -v[64:65], v[70:71], v[68:69]
	v_div_fmas_f64 v[64:65], v[64:65], v[66:67], v[70:71]
	v_div_fixup_f64 v[64:65], v[64:65], v[48:49], v[50:51]
	v_fmac_f64_e32 v[48:49], v[50:51], v[64:65]
	v_div_scale_f64 v[50:51], s[14:15], v[48:49], v[48:49], 1.0
	v_rcp_f64_e32 v[66:67], v[50:51]
	s_nop 0
	v_fma_f64 v[68:69], -v[50:51], v[66:67], 1.0
	v_fmac_f64_e32 v[66:67], v[66:67], v[68:69]
	v_fma_f64 v[68:69], -v[50:51], v[66:67], 1.0
	v_fmac_f64_e32 v[66:67], v[66:67], v[68:69]
	v_div_scale_f64 v[68:69], vcc, 1.0, v[48:49], 1.0
	v_mul_f64 v[70:71], v[68:69], v[66:67]
	v_fma_f64 v[50:51], -v[50:51], v[70:71], v[68:69]
	s_nop 1
	v_div_fmas_f64 v[50:51], v[50:51], v[66:67], v[70:71]
	v_div_fixup_f64 v[48:49], v[50:51], v[48:49], 1.0
	v_mul_f64 v[50:51], v[64:65], -v[48:49]
.LBB22_198:
	s_or_b64 exec, exec, s[12:13]
.LBB22_199:
	s_or_b64 exec, exec, s[0:1]
	v_cmp_ne_u32_e32 vcc, v59, v58
	s_and_saveexec_b64 s[0:1], vcc
	s_xor_b64 s[0:1], exec, s[0:1]
	s_cbranch_execz .LBB22_205
; %bb.200:
	v_cmp_eq_u32_e32 vcc, 9, v59
	s_and_saveexec_b64 s[12:13], vcc
	s_cbranch_execz .LBB22_204
; %bb.201:
	v_cmp_ne_u32_e32 vcc, 9, v58
	s_xor_b64 s[14:15], s[18:19], -1
	s_and_b64 s[22:23], s[14:15], vcc
	s_and_saveexec_b64 s[14:15], s[22:23]
	s_cbranch_execz .LBB22_203
; %bb.202:
	v_ashrrev_i32_e32 v59, 31, v58
	v_lshl_add_u64 v[64:65], v[58:59], 2, v[56:57]
	global_load_dword v59, v[64:65], off
	global_load_dword v61, v[56:57], off offset:36
	s_waitcnt vmcnt(1)
	global_store_dword v[56:57], v59, off offset:36
	s_waitcnt vmcnt(1)
	global_store_dword v[64:65], v61, off
.LBB22_203:
	s_or_b64 exec, exec, s[14:15]
	v_mov_b32_e32 v59, v58
	v_mov_b32_e32 v62, v58
.LBB22_204:
	s_or_b64 exec, exec, s[12:13]
.LBB22_205:
	s_andn2_saveexec_b64 s[0:1], s[0:1]
	s_cbranch_execz .LBB22_207
; %bb.206:
	v_mov_b32_e32 v59, 9
	s_waitcnt vmcnt(1)
	ds_write2_b64 v60, v[0:1], v[2:3] offset0:20 offset1:21
	s_waitcnt vmcnt(0)
	ds_write2_b64 v60, v[44:45], v[46:47] offset0:22 offset1:23
.LBB22_207:
	s_or_b64 exec, exec, s[0:1]
	v_cmp_lt_i32_e32 vcc, 9, v59
	s_waitcnt lgkmcnt(0)
	s_barrier
	s_and_saveexec_b64 s[0:1], vcc
	s_cbranch_execz .LBB22_209
; %bb.208:
	ds_read2_b64 v[64:67], v60 offset0:20 offset1:21
	v_mul_f64 v[68:69], v[48:49], v[6:7]
	v_mul_f64 v[6:7], v[50:51], v[6:7]
	v_fmac_f64_e32 v[68:69], v[50:51], v[4:5]
	v_fma_f64 v[4:5], v[48:49], v[4:5], -v[6:7]
	ds_read2_b64 v[48:51], v60 offset0:22 offset1:23
	s_waitcnt lgkmcnt(1)
	v_mul_f64 v[6:7], v[66:67], v[68:69]
	v_fma_f64 v[6:7], v[64:65], v[4:5], -v[6:7]
	s_waitcnt vmcnt(1)
	v_add_f64 v[0:1], v[0:1], -v[6:7]
	v_mul_f64 v[64:65], v[64:65], v[68:69]
	s_waitcnt lgkmcnt(0)
	v_mul_f64 v[6:7], v[50:51], v[68:69]
	v_fma_f64 v[6:7], v[48:49], v[4:5], -v[6:7]
	v_mul_f64 v[48:49], v[48:49], v[68:69]
	v_fmac_f64_e32 v[64:65], v[66:67], v[4:5]
	v_fmac_f64_e32 v[48:49], v[50:51], v[4:5]
	v_add_f64 v[2:3], v[2:3], -v[64:65]
	s_waitcnt vmcnt(0)
	v_add_f64 v[44:45], v[44:45], -v[6:7]
	v_add_f64 v[46:47], v[46:47], -v[48:49]
	v_mov_b64_e32 v[6:7], v[68:69]
.LBB22_209:
	s_or_b64 exec, exec, s[0:1]
	v_lshl_add_u32 v48, v59, 4, v60
	s_barrier
	s_waitcnt vmcnt(1)
	ds_write2_b64 v48, v[0:1], v[2:3] offset1:1
	s_waitcnt lgkmcnt(0)
	s_barrier
	ds_read2_b64 v[48:51], v60 offset0:20 offset1:21
	s_cmp_lt_i32 s20, 12
	v_mov_b32_e32 v58, 10
	s_cbranch_scc1 .LBB22_212
; %bb.210:
	v_add_u32_e32 v61, 0xb0, v60
	s_mov_b32 s12, 11
	v_mov_b32_e32 v58, 10
.LBB22_211:                             ; =>This Inner Loop Header: Depth=1
	ds_read2_b64 v[64:67], v61 offset1:1
	s_waitcnt lgkmcnt(1)
	v_xor_b32_e32 v69, 0x80000000, v49
	v_xor_b32_e32 v71, 0x80000000, v51
	v_cmp_gt_f64_e32 vcc, 0, v[50:51]
	v_cmp_gt_f64_e64 s[0:1], 0, v[48:49]
	v_mov_b32_e32 v68, v48
	v_mov_b32_e32 v70, v50
	v_cndmask_b32_e64 v69, v49, v69, s[0:1]
	v_cndmask_b32_e32 v71, v51, v71, vcc
	v_add_f64 v[68:69], v[68:69], v[70:71]
	s_waitcnt lgkmcnt(0)
	v_xor_b32_e32 v71, 0x80000000, v65
	v_xor_b32_e32 v73, 0x80000000, v67
	v_cmp_gt_f64_e32 vcc, 0, v[66:67]
	v_cmp_gt_f64_e64 s[0:1], 0, v[64:65]
	v_mov_b32_e32 v70, v64
	v_mov_b32_e32 v72, v66
	v_cndmask_b32_e64 v71, v65, v71, s[0:1]
	v_cndmask_b32_e32 v73, v67, v73, vcc
	v_add_f64 v[70:71], v[70:71], v[72:73]
	v_mov_b32_e32 v74, s12
	s_add_i32 s12, s12, 1
	v_cmp_lt_f64_e32 vcc, v[68:69], v[70:71]
	v_add_u32_e32 v61, 16, v61
	s_cmp_lg_u32 s20, s12
	v_cndmask_b32_e32 v49, v49, v65, vcc
	v_cndmask_b32_e32 v48, v48, v64, vcc
	;; [unrolled: 1-line block ×5, first 2 shown]
	s_cbranch_scc1 .LBB22_211
.LBB22_212:
	s_waitcnt lgkmcnt(0)
	v_cmp_eq_f64_e32 vcc, 0, v[48:49]
	v_cmp_eq_f64_e64 s[0:1], 0, v[50:51]
	s_and_b64 s[0:1], vcc, s[0:1]
	s_and_saveexec_b64 s[12:13], s[0:1]
	s_xor_b64 s[0:1], exec, s[12:13]
; %bb.213:
	v_cmp_ne_u32_e32 vcc, 0, v63
	s_nop 1
	v_cndmask_b32_e32 v63, 11, v63, vcc
; %bb.214:
	s_andn2_saveexec_b64 s[0:1], s[0:1]
	s_cbranch_execz .LBB22_220
; %bb.215:
	v_cmp_ngt_f64_e64 s[12:13], |v[48:49]|, |v[50:51]|
	s_and_saveexec_b64 s[14:15], s[12:13]
	s_xor_b64 s[12:13], exec, s[14:15]
	s_cbranch_execz .LBB22_217
; %bb.216:
	v_div_scale_f64 v[64:65], s[14:15], v[50:51], v[50:51], v[48:49]
	v_rcp_f64_e32 v[66:67], v[64:65]
	v_div_scale_f64 v[68:69], vcc, v[48:49], v[50:51], v[48:49]
	v_fma_f64 v[70:71], -v[64:65], v[66:67], 1.0
	v_fmac_f64_e32 v[66:67], v[66:67], v[70:71]
	v_fma_f64 v[70:71], -v[64:65], v[66:67], 1.0
	v_fmac_f64_e32 v[66:67], v[66:67], v[70:71]
	v_mul_f64 v[70:71], v[68:69], v[66:67]
	v_fma_f64 v[64:65], -v[64:65], v[70:71], v[68:69]
	v_div_fmas_f64 v[64:65], v[64:65], v[66:67], v[70:71]
	v_div_fixup_f64 v[64:65], v[64:65], v[50:51], v[48:49]
	v_fmac_f64_e32 v[50:51], v[48:49], v[64:65]
	v_div_scale_f64 v[48:49], s[14:15], v[50:51], v[50:51], 1.0
	v_rcp_f64_e32 v[66:67], v[48:49]
	s_nop 0
	v_fma_f64 v[68:69], -v[48:49], v[66:67], 1.0
	v_fmac_f64_e32 v[66:67], v[66:67], v[68:69]
	v_fma_f64 v[68:69], -v[48:49], v[66:67], 1.0
	v_fmac_f64_e32 v[66:67], v[66:67], v[68:69]
	v_div_scale_f64 v[68:69], vcc, 1.0, v[50:51], 1.0
	v_mul_f64 v[70:71], v[68:69], v[66:67]
	v_fma_f64 v[48:49], -v[48:49], v[70:71], v[68:69]
	s_nop 1
	v_div_fmas_f64 v[48:49], v[48:49], v[66:67], v[70:71]
	v_div_fixup_f64 v[50:51], v[48:49], v[50:51], 1.0
	v_mul_f64 v[48:49], v[64:65], v[50:51]
	v_xor_b32_e32 v51, 0x80000000, v51
.LBB22_217:
	s_andn2_saveexec_b64 s[12:13], s[12:13]
	s_cbranch_execz .LBB22_219
; %bb.218:
	v_div_scale_f64 v[64:65], s[14:15], v[48:49], v[48:49], v[50:51]
	v_rcp_f64_e32 v[66:67], v[64:65]
	v_div_scale_f64 v[68:69], vcc, v[50:51], v[48:49], v[50:51]
	v_fma_f64 v[70:71], -v[64:65], v[66:67], 1.0
	v_fmac_f64_e32 v[66:67], v[66:67], v[70:71]
	v_fma_f64 v[70:71], -v[64:65], v[66:67], 1.0
	v_fmac_f64_e32 v[66:67], v[66:67], v[70:71]
	v_mul_f64 v[70:71], v[68:69], v[66:67]
	v_fma_f64 v[64:65], -v[64:65], v[70:71], v[68:69]
	v_div_fmas_f64 v[64:65], v[64:65], v[66:67], v[70:71]
	v_div_fixup_f64 v[64:65], v[64:65], v[48:49], v[50:51]
	v_fmac_f64_e32 v[48:49], v[50:51], v[64:65]
	v_div_scale_f64 v[50:51], s[14:15], v[48:49], v[48:49], 1.0
	v_rcp_f64_e32 v[66:67], v[50:51]
	s_nop 0
	v_fma_f64 v[68:69], -v[50:51], v[66:67], 1.0
	v_fmac_f64_e32 v[66:67], v[66:67], v[68:69]
	v_fma_f64 v[68:69], -v[50:51], v[66:67], 1.0
	v_fmac_f64_e32 v[66:67], v[66:67], v[68:69]
	v_div_scale_f64 v[68:69], vcc, 1.0, v[48:49], 1.0
	v_mul_f64 v[70:71], v[68:69], v[66:67]
	v_fma_f64 v[50:51], -v[50:51], v[70:71], v[68:69]
	s_nop 1
	v_div_fmas_f64 v[50:51], v[50:51], v[66:67], v[70:71]
	v_div_fixup_f64 v[48:49], v[50:51], v[48:49], 1.0
	v_mul_f64 v[50:51], v[64:65], -v[48:49]
.LBB22_219:
	s_or_b64 exec, exec, s[12:13]
.LBB22_220:
	s_or_b64 exec, exec, s[0:1]
	v_cmp_ne_u32_e32 vcc, v59, v58
	s_and_saveexec_b64 s[0:1], vcc
	s_xor_b64 s[0:1], exec, s[0:1]
	s_cbranch_execz .LBB22_226
; %bb.221:
	v_cmp_eq_u32_e32 vcc, 10, v59
	s_and_saveexec_b64 s[12:13], vcc
	s_cbranch_execz .LBB22_225
; %bb.222:
	v_cmp_ne_u32_e32 vcc, 10, v58
	s_xor_b64 s[14:15], s[18:19], -1
	s_and_b64 s[22:23], s[14:15], vcc
	s_and_saveexec_b64 s[14:15], s[22:23]
	s_cbranch_execz .LBB22_224
; %bb.223:
	v_ashrrev_i32_e32 v59, 31, v58
	v_lshl_add_u64 v[64:65], v[58:59], 2, v[56:57]
	global_load_dword v59, v[64:65], off
	global_load_dword v61, v[56:57], off offset:40
	s_waitcnt vmcnt(1)
	global_store_dword v[56:57], v59, off offset:40
	s_waitcnt vmcnt(1)
	global_store_dword v[64:65], v61, off
.LBB22_224:
	s_or_b64 exec, exec, s[14:15]
	v_mov_b32_e32 v59, v58
	v_mov_b32_e32 v62, v58
.LBB22_225:
	s_or_b64 exec, exec, s[12:13]
.LBB22_226:
	s_andn2_saveexec_b64 s[0:1], s[0:1]
	s_cbranch_execz .LBB22_228
; %bb.227:
	v_mov_b32_e32 v59, 10
	s_waitcnt vmcnt(0)
	ds_write2_b64 v60, v[44:45], v[46:47] offset0:22 offset1:23
.LBB22_228:
	s_or_b64 exec, exec, s[0:1]
	v_cmp_lt_i32_e32 vcc, 10, v59
	s_waitcnt lgkmcnt(0)
	s_barrier
	s_and_saveexec_b64 s[0:1], vcc
	s_cbranch_execz .LBB22_230
; %bb.229:
	ds_read2_b64 v[64:67], v60 offset0:22 offset1:23
	v_mul_f64 v[68:69], v[48:49], v[2:3]
	v_mul_f64 v[2:3], v[50:51], v[2:3]
	v_fmac_f64_e32 v[68:69], v[50:51], v[0:1]
	v_fma_f64 v[0:1], v[48:49], v[0:1], -v[2:3]
	s_waitcnt lgkmcnt(0)
	v_mul_f64 v[2:3], v[66:67], v[68:69]
	v_mul_f64 v[48:49], v[64:65], v[68:69]
	v_fma_f64 v[2:3], v[64:65], v[0:1], -v[2:3]
	v_fmac_f64_e32 v[48:49], v[66:67], v[0:1]
	s_waitcnt vmcnt(0)
	v_add_f64 v[44:45], v[44:45], -v[2:3]
	v_add_f64 v[46:47], v[46:47], -v[48:49]
	v_mov_b64_e32 v[2:3], v[68:69]
.LBB22_230:
	s_or_b64 exec, exec, s[0:1]
	v_lshl_add_u32 v48, v59, 4, v60
	s_barrier
	s_waitcnt vmcnt(0)
	ds_write2_b64 v48, v[44:45], v[46:47] offset1:1
	s_waitcnt lgkmcnt(0)
	s_barrier
	ds_read2_b64 v[48:51], v60 offset0:22 offset1:23
	s_cmp_lt_i32 s20, 13
	v_mov_b32_e32 v58, 11
	s_cbranch_scc1 .LBB22_233
; %bb.231:
	v_add_u32_e32 v60, 0xc0, v60
	s_mov_b32 s12, 12
	v_mov_b32_e32 v58, 11
.LBB22_232:                             ; =>This Inner Loop Header: Depth=1
	ds_read2_b64 v[64:67], v60 offset1:1
	s_waitcnt lgkmcnt(1)
	v_xor_b32_e32 v61, 0x80000000, v49
	v_xor_b32_e32 v71, 0x80000000, v51
	v_cmp_gt_f64_e32 vcc, 0, v[50:51]
	v_cmp_gt_f64_e64 s[0:1], 0, v[48:49]
	v_mov_b32_e32 v68, v48
	v_mov_b32_e32 v70, v50
	v_cndmask_b32_e64 v69, v49, v61, s[0:1]
	v_cndmask_b32_e32 v71, v51, v71, vcc
	s_waitcnt lgkmcnt(0)
	v_xor_b32_e32 v61, 0x80000000, v65
	v_xor_b32_e32 v73, 0x80000000, v67
	v_cmp_gt_f64_e32 vcc, 0, v[66:67]
	v_cmp_gt_f64_e64 s[0:1], 0, v[64:65]
	v_add_f64 v[68:69], v[68:69], v[70:71]
	v_mov_b32_e32 v70, v64
	v_mov_b32_e32 v72, v66
	v_cndmask_b32_e64 v71, v65, v61, s[0:1]
	v_cndmask_b32_e32 v73, v67, v73, vcc
	v_add_f64 v[70:71], v[70:71], v[72:73]
	v_mov_b32_e32 v74, s12
	s_add_i32 s12, s12, 1
	v_cmp_lt_f64_e32 vcc, v[68:69], v[70:71]
	v_add_u32_e32 v60, 16, v60
	s_cmp_lg_u32 s20, s12
	v_cndmask_b32_e32 v49, v49, v65, vcc
	v_cndmask_b32_e32 v48, v48, v64, vcc
	;; [unrolled: 1-line block ×5, first 2 shown]
	s_cbranch_scc1 .LBB22_232
.LBB22_233:
	s_waitcnt lgkmcnt(0)
	v_cmp_eq_f64_e32 vcc, 0, v[48:49]
	v_cmp_eq_f64_e64 s[0:1], 0, v[50:51]
	s_and_b64 s[0:1], vcc, s[0:1]
	s_and_saveexec_b64 s[12:13], s[0:1]
	s_xor_b64 s[0:1], exec, s[12:13]
; %bb.234:
	v_cmp_ne_u32_e32 vcc, 0, v63
	s_nop 1
	v_cndmask_b32_e32 v63, 12, v63, vcc
; %bb.235:
	s_andn2_saveexec_b64 s[0:1], s[0:1]
	s_cbranch_execz .LBB22_241
; %bb.236:
	v_cmp_ngt_f64_e64 s[12:13], |v[48:49]|, |v[50:51]|
	s_and_saveexec_b64 s[14:15], s[12:13]
	s_xor_b64 s[12:13], exec, s[14:15]
	s_cbranch_execz .LBB22_238
; %bb.237:
	v_div_scale_f64 v[60:61], s[14:15], v[50:51], v[50:51], v[48:49]
	v_rcp_f64_e32 v[64:65], v[60:61]
	v_div_scale_f64 v[66:67], vcc, v[48:49], v[50:51], v[48:49]
	v_fma_f64 v[68:69], -v[60:61], v[64:65], 1.0
	v_fmac_f64_e32 v[64:65], v[64:65], v[68:69]
	v_fma_f64 v[68:69], -v[60:61], v[64:65], 1.0
	v_fmac_f64_e32 v[64:65], v[64:65], v[68:69]
	v_mul_f64 v[68:69], v[66:67], v[64:65]
	v_fma_f64 v[60:61], -v[60:61], v[68:69], v[66:67]
	v_div_fmas_f64 v[60:61], v[60:61], v[64:65], v[68:69]
	v_div_fixup_f64 v[60:61], v[60:61], v[50:51], v[48:49]
	v_fmac_f64_e32 v[50:51], v[48:49], v[60:61]
	v_div_scale_f64 v[48:49], s[14:15], v[50:51], v[50:51], 1.0
	v_rcp_f64_e32 v[64:65], v[48:49]
	s_nop 0
	v_fma_f64 v[66:67], -v[48:49], v[64:65], 1.0
	v_fmac_f64_e32 v[64:65], v[64:65], v[66:67]
	v_fma_f64 v[66:67], -v[48:49], v[64:65], 1.0
	v_fmac_f64_e32 v[64:65], v[64:65], v[66:67]
	v_div_scale_f64 v[66:67], vcc, 1.0, v[50:51], 1.0
	v_mul_f64 v[68:69], v[66:67], v[64:65]
	v_fma_f64 v[48:49], -v[48:49], v[68:69], v[66:67]
	s_nop 1
	v_div_fmas_f64 v[48:49], v[48:49], v[64:65], v[68:69]
	v_div_fixup_f64 v[50:51], v[48:49], v[50:51], 1.0
	v_mul_f64 v[48:49], v[60:61], v[50:51]
	v_xor_b32_e32 v51, 0x80000000, v51
.LBB22_238:
	s_andn2_saveexec_b64 s[12:13], s[12:13]
	s_cbranch_execz .LBB22_240
; %bb.239:
	v_div_scale_f64 v[60:61], s[14:15], v[48:49], v[48:49], v[50:51]
	v_rcp_f64_e32 v[64:65], v[60:61]
	v_div_scale_f64 v[66:67], vcc, v[50:51], v[48:49], v[50:51]
	v_fma_f64 v[68:69], -v[60:61], v[64:65], 1.0
	v_fmac_f64_e32 v[64:65], v[64:65], v[68:69]
	v_fma_f64 v[68:69], -v[60:61], v[64:65], 1.0
	v_fmac_f64_e32 v[64:65], v[64:65], v[68:69]
	v_mul_f64 v[68:69], v[66:67], v[64:65]
	v_fma_f64 v[60:61], -v[60:61], v[68:69], v[66:67]
	v_div_fmas_f64 v[60:61], v[60:61], v[64:65], v[68:69]
	v_div_fixup_f64 v[60:61], v[60:61], v[48:49], v[50:51]
	v_fmac_f64_e32 v[48:49], v[50:51], v[60:61]
	v_div_scale_f64 v[50:51], s[14:15], v[48:49], v[48:49], 1.0
	v_rcp_f64_e32 v[64:65], v[50:51]
	s_nop 0
	v_fma_f64 v[66:67], -v[50:51], v[64:65], 1.0
	v_fmac_f64_e32 v[64:65], v[64:65], v[66:67]
	v_fma_f64 v[66:67], -v[50:51], v[64:65], 1.0
	v_fmac_f64_e32 v[64:65], v[64:65], v[66:67]
	v_div_scale_f64 v[66:67], vcc, 1.0, v[48:49], 1.0
	v_mul_f64 v[68:69], v[66:67], v[64:65]
	v_fma_f64 v[50:51], -v[50:51], v[68:69], v[66:67]
	s_nop 1
	v_div_fmas_f64 v[50:51], v[50:51], v[64:65], v[68:69]
	v_div_fixup_f64 v[48:49], v[50:51], v[48:49], 1.0
	v_mul_f64 v[50:51], v[60:61], -v[48:49]
.LBB22_240:
	s_or_b64 exec, exec, s[12:13]
.LBB22_241:
	s_or_b64 exec, exec, s[0:1]
	v_cmp_ne_u32_e32 vcc, v59, v58
	v_mov_b32_e32 v60, 11
	s_and_saveexec_b64 s[0:1], vcc
	s_cbranch_execz .LBB22_247
; %bb.242:
	v_cmp_eq_u32_e32 vcc, 11, v59
	s_and_saveexec_b64 s[12:13], vcc
	s_cbranch_execz .LBB22_246
; %bb.243:
	v_cmp_ne_u32_e32 vcc, 11, v58
	s_xor_b64 s[14:15], s[18:19], -1
	s_and_b64 s[18:19], s[14:15], vcc
	s_and_saveexec_b64 s[14:15], s[18:19]
	s_cbranch_execz .LBB22_245
; %bb.244:
	v_ashrrev_i32_e32 v59, 31, v58
	v_lshl_add_u64 v[60:61], v[58:59], 2, v[56:57]
	global_load_dword v59, v[60:61], off
	global_load_dword v62, v[56:57], off offset:44
	s_waitcnt vmcnt(1)
	global_store_dword v[56:57], v59, off offset:44
	s_waitcnt vmcnt(1)
	global_store_dword v[60:61], v62, off
.LBB22_245:
	s_or_b64 exec, exec, s[14:15]
	v_mov_b32_e32 v59, v58
	v_mov_b32_e32 v62, v58
.LBB22_246:
	s_or_b64 exec, exec, s[12:13]
	v_mov_b32_e32 v60, v59
.LBB22_247:
	s_or_b64 exec, exec, s[0:1]
	v_cmp_gt_i32_e32 vcc, 12, v60
	v_ashrrev_i32_e32 v61, 31, v60
	s_barrier
	s_barrier
	s_and_saveexec_b64 s[0:1], vcc
	s_cbranch_execz .LBB22_249
; %bb.248:
	v_mov_b32_e32 v56, s6
	v_mov_b32_e32 v57, s7
	v_mul_lo_u32 v64, s11, v52
	v_mul_lo_u32 v65, s10, v53
	v_mad_u64_u32 v[58:59], s[6:7], s10, v52, 0
	v_add3_u32 v59, v59, v65, v64
	v_lshl_add_u64 v[56:57], v[58:59], 2, v[56:57]
	v_lshl_add_u64 v[56:57], s[8:9], 2, v[56:57]
	;; [unrolled: 1-line block ×3, first 2 shown]
	v_add3_u32 v58, v62, s17, 1
	global_store_dword v[56:57], v58, off
.LBB22_249:
	s_or_b64 exec, exec, s[0:1]
	v_cmp_eq_u32_e32 vcc, 0, v60
	s_and_saveexec_b64 s[6:7], vcc
	s_cbranch_execz .LBB22_252
; %bb.250:
	v_mov_b32_e32 v56, s4
	v_mov_b32_e32 v57, s5
	v_lshl_add_u64 v[52:53], v[52:53], 2, v[56:57]
	global_load_dword v56, v[52:53], off
	v_cmp_ne_u32_e64 s[0:1], 0, v63
	s_waitcnt vmcnt(0)
	v_cmp_eq_u32_e32 vcc, 0, v56
	s_and_b64 s[0:1], vcc, s[0:1]
	s_and_b64 exec, exec, s[0:1]
	s_cbranch_execz .LBB22_252
; %bb.251:
	v_add_u32_e32 v56, s17, v63
	global_store_dword v[52:53], v56, off
.LBB22_252:
	s_or_b64 exec, exec, s[6:7]
	v_mul_f64 v[52:53], v[50:51], v[46:47]
	v_fma_f64 v[52:53], v[48:49], v[44:45], -v[52:53]
	v_mul_f64 v[48:49], v[48:49], v[46:47]
	v_fmac_f64_e32 v[48:49], v[50:51], v[44:45]
	v_cmp_lt_i32_e32 vcc, 11, v60
	s_nop 1
	v_cndmask_b32_e32 v47, v47, v49, vcc
	v_cndmask_b32_e32 v46, v46, v48, vcc
	v_lshl_add_u64 v[48:49], v[60:61], 4, v[54:55]
	global_store_dwordx4 v[48:49], v[40:43], off
	v_cndmask_b32_e32 v45, v45, v53, vcc
	v_cndmask_b32_e32 v44, v44, v52, vcc
	v_lshl_add_u64 v[40:41], s[2:3], 4, v[48:49]
	global_store_dwordx4 v[40:41], v[36:39], off
	s_nop 1
	v_add_u32_e32 v36, s16, v60
	v_ashrrev_i32_e32 v37, 31, v36
	v_lshl_add_u64 v[38:39], v[36:37], 4, v[54:55]
	global_store_dwordx4 v[38:39], v[32:35], off
	s_nop 1
	v_add_u32_e32 v32, s2, v36
	v_ashrrev_i32_e32 v33, 31, v32
	;; [unrolled: 5-line block ×10, first 2 shown]
	v_lshl_add_u64 v[0:1], v[0:1], 4, v[54:55]
	global_store_dwordx4 v[0:1], v[44:47], off
.LBB22_253:
	s_endpgm
	.section	.rodata,"a",@progbits
	.p2align	6, 0x0
	.amdhsa_kernel _ZN9rocsolver6v33100L18getf2_small_kernelILi12E19rocblas_complex_numIdEiiPS3_EEvT1_T3_lS5_lPS5_llPT2_S5_S5_S7_l
		.amdhsa_group_segment_fixed_size 0
		.amdhsa_private_segment_fixed_size 0
		.amdhsa_kernarg_size 352
		.amdhsa_user_sgpr_count 2
		.amdhsa_user_sgpr_dispatch_ptr 0
		.amdhsa_user_sgpr_queue_ptr 0
		.amdhsa_user_sgpr_kernarg_segment_ptr 1
		.amdhsa_user_sgpr_dispatch_id 0
		.amdhsa_user_sgpr_kernarg_preload_length 0
		.amdhsa_user_sgpr_kernarg_preload_offset 0
		.amdhsa_user_sgpr_private_segment_size 0
		.amdhsa_uses_dynamic_stack 0
		.amdhsa_enable_private_segment 0
		.amdhsa_system_sgpr_workgroup_id_x 1
		.amdhsa_system_sgpr_workgroup_id_y 1
		.amdhsa_system_sgpr_workgroup_id_z 0
		.amdhsa_system_sgpr_workgroup_info 0
		.amdhsa_system_vgpr_workitem_id 1
		.amdhsa_next_free_vgpr 77
		.amdhsa_next_free_sgpr 24
		.amdhsa_accum_offset 80
		.amdhsa_reserve_vcc 1
		.amdhsa_float_round_mode_32 0
		.amdhsa_float_round_mode_16_64 0
		.amdhsa_float_denorm_mode_32 3
		.amdhsa_float_denorm_mode_16_64 3
		.amdhsa_dx10_clamp 1
		.amdhsa_ieee_mode 1
		.amdhsa_fp16_overflow 0
		.amdhsa_tg_split 0
		.amdhsa_exception_fp_ieee_invalid_op 0
		.amdhsa_exception_fp_denorm_src 0
		.amdhsa_exception_fp_ieee_div_zero 0
		.amdhsa_exception_fp_ieee_overflow 0
		.amdhsa_exception_fp_ieee_underflow 0
		.amdhsa_exception_fp_ieee_inexact 0
		.amdhsa_exception_int_div_zero 0
	.end_amdhsa_kernel
	.section	.text._ZN9rocsolver6v33100L18getf2_small_kernelILi12E19rocblas_complex_numIdEiiPS3_EEvT1_T3_lS5_lPS5_llPT2_S5_S5_S7_l,"axG",@progbits,_ZN9rocsolver6v33100L18getf2_small_kernelILi12E19rocblas_complex_numIdEiiPS3_EEvT1_T3_lS5_lPS5_llPT2_S5_S5_S7_l,comdat
.Lfunc_end22:
	.size	_ZN9rocsolver6v33100L18getf2_small_kernelILi12E19rocblas_complex_numIdEiiPS3_EEvT1_T3_lS5_lPS5_llPT2_S5_S5_S7_l, .Lfunc_end22-_ZN9rocsolver6v33100L18getf2_small_kernelILi12E19rocblas_complex_numIdEiiPS3_EEvT1_T3_lS5_lPS5_llPT2_S5_S5_S7_l
                                        ; -- End function
	.set _ZN9rocsolver6v33100L18getf2_small_kernelILi12E19rocblas_complex_numIdEiiPS3_EEvT1_T3_lS5_lPS5_llPT2_S5_S5_S7_l.num_vgpr, 77
	.set _ZN9rocsolver6v33100L18getf2_small_kernelILi12E19rocblas_complex_numIdEiiPS3_EEvT1_T3_lS5_lPS5_llPT2_S5_S5_S7_l.num_agpr, 0
	.set _ZN9rocsolver6v33100L18getf2_small_kernelILi12E19rocblas_complex_numIdEiiPS3_EEvT1_T3_lS5_lPS5_llPT2_S5_S5_S7_l.numbered_sgpr, 24
	.set _ZN9rocsolver6v33100L18getf2_small_kernelILi12E19rocblas_complex_numIdEiiPS3_EEvT1_T3_lS5_lPS5_llPT2_S5_S5_S7_l.num_named_barrier, 0
	.set _ZN9rocsolver6v33100L18getf2_small_kernelILi12E19rocblas_complex_numIdEiiPS3_EEvT1_T3_lS5_lPS5_llPT2_S5_S5_S7_l.private_seg_size, 0
	.set _ZN9rocsolver6v33100L18getf2_small_kernelILi12E19rocblas_complex_numIdEiiPS3_EEvT1_T3_lS5_lPS5_llPT2_S5_S5_S7_l.uses_vcc, 1
	.set _ZN9rocsolver6v33100L18getf2_small_kernelILi12E19rocblas_complex_numIdEiiPS3_EEvT1_T3_lS5_lPS5_llPT2_S5_S5_S7_l.uses_flat_scratch, 0
	.set _ZN9rocsolver6v33100L18getf2_small_kernelILi12E19rocblas_complex_numIdEiiPS3_EEvT1_T3_lS5_lPS5_llPT2_S5_S5_S7_l.has_dyn_sized_stack, 0
	.set _ZN9rocsolver6v33100L18getf2_small_kernelILi12E19rocblas_complex_numIdEiiPS3_EEvT1_T3_lS5_lPS5_llPT2_S5_S5_S7_l.has_recursion, 0
	.set _ZN9rocsolver6v33100L18getf2_small_kernelILi12E19rocblas_complex_numIdEiiPS3_EEvT1_T3_lS5_lPS5_llPT2_S5_S5_S7_l.has_indirect_call, 0
	.section	.AMDGPU.csdata,"",@progbits
; Kernel info:
; codeLenInByte = 16136
; TotalNumSgprs: 30
; NumVgprs: 77
; NumAgprs: 0
; TotalNumVgprs: 77
; ScratchSize: 0
; MemoryBound: 0
; FloatMode: 240
; IeeeMode: 1
; LDSByteSize: 0 bytes/workgroup (compile time only)
; SGPRBlocks: 3
; VGPRBlocks: 9
; NumSGPRsForWavesPerEU: 30
; NumVGPRsForWavesPerEU: 77
; AccumOffset: 80
; Occupancy: 6
; WaveLimiterHint : 0
; COMPUTE_PGM_RSRC2:SCRATCH_EN: 0
; COMPUTE_PGM_RSRC2:USER_SGPR: 2
; COMPUTE_PGM_RSRC2:TRAP_HANDLER: 0
; COMPUTE_PGM_RSRC2:TGID_X_EN: 1
; COMPUTE_PGM_RSRC2:TGID_Y_EN: 1
; COMPUTE_PGM_RSRC2:TGID_Z_EN: 0
; COMPUTE_PGM_RSRC2:TIDIG_COMP_CNT: 1
; COMPUTE_PGM_RSRC3_GFX90A:ACCUM_OFFSET: 19
; COMPUTE_PGM_RSRC3_GFX90A:TG_SPLIT: 0
	.section	.text._ZN9rocsolver6v33100L23getf2_npvt_small_kernelILi12E19rocblas_complex_numIdEiiPS3_EEvT1_T3_lS5_lPT2_S5_S5_,"axG",@progbits,_ZN9rocsolver6v33100L23getf2_npvt_small_kernelILi12E19rocblas_complex_numIdEiiPS3_EEvT1_T3_lS5_lPT2_S5_S5_,comdat
	.globl	_ZN9rocsolver6v33100L23getf2_npvt_small_kernelILi12E19rocblas_complex_numIdEiiPS3_EEvT1_T3_lS5_lPT2_S5_S5_ ; -- Begin function _ZN9rocsolver6v33100L23getf2_npvt_small_kernelILi12E19rocblas_complex_numIdEiiPS3_EEvT1_T3_lS5_lPT2_S5_S5_
	.p2align	8
	.type	_ZN9rocsolver6v33100L23getf2_npvt_small_kernelILi12E19rocblas_complex_numIdEiiPS3_EEvT1_T3_lS5_lPT2_S5_S5_,@function
_ZN9rocsolver6v33100L23getf2_npvt_small_kernelILi12E19rocblas_complex_numIdEiiPS3_EEvT1_T3_lS5_lPT2_S5_S5_: ; @_ZN9rocsolver6v33100L23getf2_npvt_small_kernelILi12E19rocblas_complex_numIdEiiPS3_EEvT1_T3_lS5_lPT2_S5_S5_
; %bb.0:
	s_load_dword s2, s[0:1], 0x44
	s_load_dwordx2 s[48:49], s[0:1], 0x30
	v_bfe_u32 v48, v0, 10, 10
	s_waitcnt lgkmcnt(0)
	s_lshr_b32 s8, s2, 16
	s_mul_i32 s3, s3, s8
	v_add_u32_e32 v114, s3, v48
	v_cmp_gt_i32_e32 vcc, s48, v114
	s_and_saveexec_b64 s[2:3], vcc
	s_cbranch_execz .LBB23_111
; %bb.1:
	s_load_dwordx4 s[12:15], s[0:1], 0x8
	s_load_dword s2, s[0:1], 0x18
	s_load_dwordx4 s[4:7], s[0:1], 0x20
	v_and_b32_e32 v122, 0x3ff, v0
	v_ashrrev_i32_e32 v115, 31, v114
	s_waitcnt lgkmcnt(0)
	v_mov_b32_e32 v2, s12
	v_mov_b32_e32 v3, s13
	v_mad_u64_u32 v[0:1], s[0:1], s4, v114, 0
	v_mul_lo_u32 v4, s5, v114
	v_mul_lo_u32 v5, s4, v115
	s_add_i32 s0, s2, s2
	v_add3_u32 v1, v1, v5, v4
	v_add_u32_e32 v8, s0, v122
	v_lshl_add_u64 v[0:1], v[0:1], 4, v[2:3]
	v_add_u32_e32 v16, s2, v8
	v_lshl_add_u64 v[24:25], s[14:15], 4, v[0:1]
	v_ashrrev_i32_e32 v17, 31, v16
	v_lshl_add_u64 v[102:103], v[16:17], 4, v[24:25]
	v_add_u32_e32 v16, s2, v16
	v_add_u32_e32 v26, s2, v16
	v_ashrrev_i32_e32 v27, 31, v26
	v_lshl_add_u64 v[106:107], v[26:27], 4, v[24:25]
	v_add_u32_e32 v26, s2, v26
	v_ashrrev_i32_e32 v27, 31, v26
	v_lshl_add_u64 v[108:109], v[26:27], 4, v[24:25]
	;; [unrolled: 3-line block ×5, first 2 shown]
	v_add_u32_e32 v26, s2, v26
	v_ashrrev_i32_e32 v27, 31, v26
	v_lshlrev_b32_e32 v0, 4, v122
	v_mov_b32_e32 v1, 0
	v_ashrrev_i32_e32 v9, 31, v8
	v_ashrrev_i32_e32 v17, 31, v16
	v_lshl_add_u64 v[118:119], v[26:27], 4, v[24:25]
	v_add_u32_e32 v26, s2, v26
	s_ashr_i32 s3, s2, 31
	v_lshl_add_u64 v[96:97], v[24:25], 0, v[0:1]
	v_lshl_add_u64 v[100:101], v[8:9], 4, v[24:25]
	;; [unrolled: 1-line block ×3, first 2 shown]
	v_ashrrev_i32_e32 v27, 31, v26
	v_lshl_add_u64 v[98:99], s[2:3], 4, v[96:97]
	global_load_dwordx4 v[4:7], v[96:97], off
	global_load_dwordx4 v[0:3], v[98:99], off
	;; [unrolled: 1-line block ×6, first 2 shown]
	v_lshl_add_u64 v[120:121], v[26:27], 4, v[24:25]
	global_load_dwordx4 v[40:43], v[108:109], off
	global_load_dwordx4 v[36:39], v[110:111], off
	;; [unrolled: 1-line block ×6, first 2 shown]
	s_mulk_i32 s8, 0xc0
	s_movk_i32 s0, 0xc0
	s_add_i32 s1, s8, 0
	v_mad_u32_u24 v124, v48, s0, 0
	v_lshl_add_u32 v123, v48, 4, s1
	v_cmp_ne_u32_e64 s[2:3], 0, v122
	v_cmp_eq_u32_e64 s[0:1], 0, v122
	s_and_saveexec_b64 s[8:9], s[0:1]
	s_cbranch_execz .LBB23_8
; %bb.2:
	s_waitcnt vmcnt(11)
	ds_write2_b64 v123, v[4:5], v[6:7] offset1:1
	s_waitcnt vmcnt(10)
	ds_write2_b64 v124, v[0:1], v[2:3] offset0:2 offset1:3
	s_waitcnt vmcnt(9)
	ds_write2_b64 v124, v[12:13], v[14:15] offset0:4 offset1:5
	;; [unrolled: 2-line block ×11, first 2 shown]
	ds_read2_b64 v[48:51], v123 offset1:1
	s_waitcnt lgkmcnt(0)
	v_cmp_neq_f64_e32 vcc, 0, v[48:49]
	v_cmp_neq_f64_e64 s[4:5], 0, v[50:51]
	s_or_b64 s[4:5], vcc, s[4:5]
	s_and_b64 exec, exec, s[4:5]
	s_cbranch_execz .LBB23_8
; %bb.3:
	v_cmp_ngt_f64_e64 s[4:5], |v[48:49]|, |v[50:51]|
                                        ; implicit-def: $vgpr52_vgpr53
	s_and_saveexec_b64 s[10:11], s[4:5]
	s_xor_b64 s[4:5], exec, s[10:11]
                                        ; implicit-def: $vgpr54_vgpr55
	s_cbranch_execz .LBB23_5
; %bb.4:
	v_div_scale_f64 v[52:53], s[10:11], v[50:51], v[50:51], v[48:49]
	v_rcp_f64_e32 v[54:55], v[52:53]
	v_div_scale_f64 v[56:57], vcc, v[48:49], v[50:51], v[48:49]
	v_fma_f64 v[58:59], -v[52:53], v[54:55], 1.0
	v_fmac_f64_e32 v[54:55], v[54:55], v[58:59]
	v_fma_f64 v[58:59], -v[52:53], v[54:55], 1.0
	v_fmac_f64_e32 v[54:55], v[54:55], v[58:59]
	v_mul_f64 v[58:59], v[56:57], v[54:55]
	v_fma_f64 v[52:53], -v[52:53], v[58:59], v[56:57]
	v_div_fmas_f64 v[52:53], v[52:53], v[54:55], v[58:59]
	v_div_fixup_f64 v[52:53], v[52:53], v[50:51], v[48:49]
	v_fmac_f64_e32 v[50:51], v[48:49], v[52:53]
	v_div_scale_f64 v[48:49], s[10:11], v[50:51], v[50:51], 1.0
	v_rcp_f64_e32 v[54:55], v[48:49]
	s_nop 0
	v_fma_f64 v[56:57], -v[48:49], v[54:55], 1.0
	v_fmac_f64_e32 v[54:55], v[54:55], v[56:57]
	v_fma_f64 v[56:57], -v[48:49], v[54:55], 1.0
	v_fmac_f64_e32 v[54:55], v[54:55], v[56:57]
	v_div_scale_f64 v[56:57], vcc, 1.0, v[50:51], 1.0
	v_mul_f64 v[58:59], v[56:57], v[54:55]
	v_fma_f64 v[48:49], -v[48:49], v[58:59], v[56:57]
	s_nop 1
	v_div_fmas_f64 v[48:49], v[48:49], v[54:55], v[58:59]
	v_div_fixup_f64 v[54:55], v[48:49], v[50:51], 1.0
	v_mul_f64 v[52:53], v[52:53], v[54:55]
	v_xor_b32_e32 v55, 0x80000000, v55
                                        ; implicit-def: $vgpr48_vgpr49
.LBB23_5:
	s_andn2_saveexec_b64 s[4:5], s[4:5]
	s_cbranch_execz .LBB23_7
; %bb.6:
	v_div_scale_f64 v[52:53], s[10:11], v[48:49], v[48:49], v[50:51]
	v_rcp_f64_e32 v[54:55], v[52:53]
	v_div_scale_f64 v[56:57], vcc, v[50:51], v[48:49], v[50:51]
	v_fma_f64 v[58:59], -v[52:53], v[54:55], 1.0
	v_fmac_f64_e32 v[54:55], v[54:55], v[58:59]
	v_fma_f64 v[58:59], -v[52:53], v[54:55], 1.0
	v_fmac_f64_e32 v[54:55], v[54:55], v[58:59]
	v_mul_f64 v[58:59], v[56:57], v[54:55]
	v_fma_f64 v[52:53], -v[52:53], v[58:59], v[56:57]
	v_div_fmas_f64 v[52:53], v[52:53], v[54:55], v[58:59]
	v_div_fixup_f64 v[54:55], v[52:53], v[48:49], v[50:51]
	v_fmac_f64_e32 v[48:49], v[50:51], v[54:55]
	v_div_scale_f64 v[50:51], s[10:11], v[48:49], v[48:49], 1.0
	v_rcp_f64_e32 v[52:53], v[50:51]
	s_nop 0
	v_fma_f64 v[56:57], -v[50:51], v[52:53], 1.0
	v_fmac_f64_e32 v[52:53], v[52:53], v[56:57]
	v_fma_f64 v[56:57], -v[50:51], v[52:53], 1.0
	v_fmac_f64_e32 v[52:53], v[52:53], v[56:57]
	v_div_scale_f64 v[56:57], vcc, 1.0, v[48:49], 1.0
	v_mul_f64 v[58:59], v[56:57], v[52:53]
	v_fma_f64 v[50:51], -v[50:51], v[58:59], v[56:57]
	s_nop 1
	v_div_fmas_f64 v[50:51], v[50:51], v[52:53], v[58:59]
	v_div_fixup_f64 v[52:53], v[50:51], v[48:49], 1.0
	v_mul_f64 v[54:55], v[54:55], -v[52:53]
.LBB23_7:
	s_or_b64 exec, exec, s[4:5]
	ds_write2_b64 v123, v[52:53], v[54:55] offset1:1
.LBB23_8:
	s_or_b64 exec, exec, s[8:9]
	s_waitcnt lgkmcnt(0)
	s_barrier
	ds_read2_b64 v[48:51], v123 offset1:1
	s_and_saveexec_b64 s[4:5], s[2:3]
	s_cbranch_execz .LBB23_10
; %bb.9:
	ds_read2_b64 v[52:55], v124 offset0:2 offset1:3
	ds_read2_b64 v[56:59], v124 offset0:4 offset1:5
	s_waitcnt vmcnt(11) lgkmcnt(2)
	v_mul_f64 v[60:61], v[48:49], v[6:7]
	v_fmac_f64_e32 v[60:61], v[50:51], v[4:5]
	v_mul_f64 v[6:7], v[50:51], v[6:7]
	v_fma_f64 v[4:5], v[48:49], v[4:5], -v[6:7]
	s_waitcnt lgkmcnt(1)
	v_mul_f64 v[6:7], v[54:55], v[60:61]
	v_fma_f64 v[6:7], v[52:53], v[4:5], -v[6:7]
	v_mul_f64 v[52:53], v[52:53], v[60:61]
	v_fmac_f64_e32 v[52:53], v[54:55], v[4:5]
	s_waitcnt vmcnt(10)
	v_add_f64 v[2:3], v[2:3], -v[52:53]
	ds_read2_b64 v[52:55], v124 offset0:6 offset1:7
	v_add_f64 v[0:1], v[0:1], -v[6:7]
	s_waitcnt lgkmcnt(1)
	v_mul_f64 v[6:7], v[58:59], v[60:61]
	v_fma_f64 v[6:7], v[56:57], v[4:5], -v[6:7]
	v_mul_f64 v[56:57], v[56:57], v[60:61]
	v_fmac_f64_e32 v[56:57], v[58:59], v[4:5]
	s_waitcnt vmcnt(9)
	v_add_f64 v[12:13], v[12:13], -v[6:7]
	v_add_f64 v[14:15], v[14:15], -v[56:57]
	ds_read2_b64 v[56:59], v124 offset0:8 offset1:9
	s_waitcnt lgkmcnt(1)
	v_mul_f64 v[6:7], v[54:55], v[60:61]
	v_fma_f64 v[6:7], v[52:53], v[4:5], -v[6:7]
	v_mul_f64 v[52:53], v[52:53], v[60:61]
	v_fmac_f64_e32 v[52:53], v[54:55], v[4:5]
	s_waitcnt vmcnt(8)
	v_add_f64 v[10:11], v[10:11], -v[52:53]
	ds_read2_b64 v[52:55], v124 offset0:10 offset1:11
	v_add_f64 v[8:9], v[8:9], -v[6:7]
	s_waitcnt lgkmcnt(1)
	v_mul_f64 v[6:7], v[58:59], v[60:61]
	v_fma_f64 v[6:7], v[56:57], v[4:5], -v[6:7]
	v_mul_f64 v[56:57], v[56:57], v[60:61]
	v_fmac_f64_e32 v[56:57], v[58:59], v[4:5]
	s_waitcnt vmcnt(7)
	v_add_f64 v[20:21], v[20:21], -v[6:7]
	v_add_f64 v[22:23], v[22:23], -v[56:57]
	ds_read2_b64 v[56:59], v124 offset0:12 offset1:13
	;; [unrolled: 18-line block ×4, first 2 shown]
	s_waitcnt lgkmcnt(1)
	v_mul_f64 v[6:7], v[54:55], v[60:61]
	v_fma_f64 v[6:7], v[52:53], v[4:5], -v[6:7]
	v_mul_f64 v[52:53], v[52:53], v[60:61]
	v_fmac_f64_e32 v[52:53], v[54:55], v[4:5]
	s_waitcnt vmcnt(2)
	v_add_f64 v[30:31], v[30:31], -v[52:53]
	ds_read2_b64 v[52:55], v124 offset0:22 offset1:23
	v_add_f64 v[28:29], v[28:29], -v[6:7]
	s_waitcnt lgkmcnt(1)
	v_mul_f64 v[6:7], v[58:59], v[60:61]
	v_fma_f64 v[6:7], v[56:57], v[4:5], -v[6:7]
	s_waitcnt vmcnt(1)
	v_add_f64 v[24:25], v[24:25], -v[6:7]
	s_waitcnt lgkmcnt(0)
	v_mul_f64 v[6:7], v[54:55], v[60:61]
	v_mul_f64 v[56:57], v[56:57], v[60:61]
	v_fma_f64 v[6:7], v[52:53], v[4:5], -v[6:7]
	v_mul_f64 v[52:53], v[52:53], v[60:61]
	v_fmac_f64_e32 v[56:57], v[58:59], v[4:5]
	v_fmac_f64_e32 v[52:53], v[54:55], v[4:5]
	v_add_f64 v[26:27], v[26:27], -v[56:57]
	s_waitcnt vmcnt(0)
	v_add_f64 v[44:45], v[44:45], -v[6:7]
	v_add_f64 v[46:47], v[46:47], -v[52:53]
	v_mov_b64_e32 v[6:7], v[60:61]
.LBB23_10:
	s_or_b64 exec, exec, s[4:5]
	v_cmp_eq_u32_e32 vcc, 1, v122
	s_waitcnt lgkmcnt(0)
	s_barrier
	s_and_saveexec_b64 s[4:5], vcc
	s_cbranch_execz .LBB23_17
; %bb.11:
	s_waitcnt vmcnt(10)
	ds_write2_b64 v123, v[0:1], v[2:3] offset1:1
	s_waitcnt vmcnt(9)
	ds_write2_b64 v124, v[12:13], v[14:15] offset0:4 offset1:5
	s_waitcnt vmcnt(8)
	ds_write2_b64 v124, v[8:9], v[10:11] offset0:6 offset1:7
	s_waitcnt vmcnt(7)
	ds_write2_b64 v124, v[20:21], v[22:23] offset0:8 offset1:9
	s_waitcnt vmcnt(6)
	ds_write2_b64 v124, v[16:17], v[18:19] offset0:10 offset1:11
	s_waitcnt vmcnt(5)
	ds_write2_b64 v124, v[40:41], v[42:43] offset0:12 offset1:13
	s_waitcnt vmcnt(4)
	ds_write2_b64 v124, v[36:37], v[38:39] offset0:14 offset1:15
	s_waitcnt vmcnt(3)
	ds_write2_b64 v124, v[32:33], v[34:35] offset0:16 offset1:17
	s_waitcnt vmcnt(2)
	ds_write2_b64 v124, v[28:29], v[30:31] offset0:18 offset1:19
	s_waitcnt vmcnt(1)
	ds_write2_b64 v124, v[24:25], v[26:27] offset0:20 offset1:21
	s_waitcnt vmcnt(0)
	ds_write2_b64 v124, v[44:45], v[46:47] offset0:22 offset1:23
	ds_read2_b64 v[52:55], v123 offset1:1
	s_waitcnt lgkmcnt(0)
	v_cmp_neq_f64_e32 vcc, 0, v[52:53]
	v_cmp_neq_f64_e64 s[2:3], 0, v[54:55]
	s_or_b64 s[2:3], vcc, s[2:3]
	s_and_b64 exec, exec, s[2:3]
	s_cbranch_execz .LBB23_17
; %bb.12:
	v_cmp_ngt_f64_e64 s[2:3], |v[52:53]|, |v[54:55]|
                                        ; implicit-def: $vgpr56_vgpr57
	s_and_saveexec_b64 s[8:9], s[2:3]
	s_xor_b64 s[2:3], exec, s[8:9]
                                        ; implicit-def: $vgpr58_vgpr59
	s_cbranch_execz .LBB23_14
; %bb.13:
	v_div_scale_f64 v[56:57], s[8:9], v[54:55], v[54:55], v[52:53]
	v_rcp_f64_e32 v[58:59], v[56:57]
	v_div_scale_f64 v[60:61], vcc, v[52:53], v[54:55], v[52:53]
	v_fma_f64 v[62:63], -v[56:57], v[58:59], 1.0
	v_fmac_f64_e32 v[58:59], v[58:59], v[62:63]
	v_fma_f64 v[62:63], -v[56:57], v[58:59], 1.0
	v_fmac_f64_e32 v[58:59], v[58:59], v[62:63]
	v_mul_f64 v[62:63], v[60:61], v[58:59]
	v_fma_f64 v[56:57], -v[56:57], v[62:63], v[60:61]
	v_div_fmas_f64 v[56:57], v[56:57], v[58:59], v[62:63]
	v_div_fixup_f64 v[56:57], v[56:57], v[54:55], v[52:53]
	v_fmac_f64_e32 v[54:55], v[52:53], v[56:57]
	v_div_scale_f64 v[52:53], s[8:9], v[54:55], v[54:55], 1.0
	v_rcp_f64_e32 v[58:59], v[52:53]
	s_nop 0
	v_fma_f64 v[60:61], -v[52:53], v[58:59], 1.0
	v_fmac_f64_e32 v[58:59], v[58:59], v[60:61]
	v_fma_f64 v[60:61], -v[52:53], v[58:59], 1.0
	v_fmac_f64_e32 v[58:59], v[58:59], v[60:61]
	v_div_scale_f64 v[60:61], vcc, 1.0, v[54:55], 1.0
	v_mul_f64 v[62:63], v[60:61], v[58:59]
	v_fma_f64 v[52:53], -v[52:53], v[62:63], v[60:61]
	s_nop 1
	v_div_fmas_f64 v[52:53], v[52:53], v[58:59], v[62:63]
	v_div_fixup_f64 v[58:59], v[52:53], v[54:55], 1.0
	v_mul_f64 v[56:57], v[56:57], v[58:59]
	v_xor_b32_e32 v59, 0x80000000, v59
                                        ; implicit-def: $vgpr52_vgpr53
.LBB23_14:
	s_andn2_saveexec_b64 s[2:3], s[2:3]
	s_cbranch_execz .LBB23_16
; %bb.15:
	v_div_scale_f64 v[56:57], s[8:9], v[52:53], v[52:53], v[54:55]
	v_rcp_f64_e32 v[58:59], v[56:57]
	v_div_scale_f64 v[60:61], vcc, v[54:55], v[52:53], v[54:55]
	v_fma_f64 v[62:63], -v[56:57], v[58:59], 1.0
	v_fmac_f64_e32 v[58:59], v[58:59], v[62:63]
	v_fma_f64 v[62:63], -v[56:57], v[58:59], 1.0
	v_fmac_f64_e32 v[58:59], v[58:59], v[62:63]
	v_mul_f64 v[62:63], v[60:61], v[58:59]
	v_fma_f64 v[56:57], -v[56:57], v[62:63], v[60:61]
	v_div_fmas_f64 v[56:57], v[56:57], v[58:59], v[62:63]
	v_div_fixup_f64 v[58:59], v[56:57], v[52:53], v[54:55]
	v_fmac_f64_e32 v[52:53], v[54:55], v[58:59]
	v_div_scale_f64 v[54:55], s[8:9], v[52:53], v[52:53], 1.0
	v_rcp_f64_e32 v[56:57], v[54:55]
	s_nop 0
	v_fma_f64 v[60:61], -v[54:55], v[56:57], 1.0
	v_fmac_f64_e32 v[56:57], v[56:57], v[60:61]
	v_fma_f64 v[60:61], -v[54:55], v[56:57], 1.0
	v_fmac_f64_e32 v[56:57], v[56:57], v[60:61]
	v_div_scale_f64 v[60:61], vcc, 1.0, v[52:53], 1.0
	v_mul_f64 v[62:63], v[60:61], v[56:57]
	v_fma_f64 v[54:55], -v[54:55], v[62:63], v[60:61]
	s_nop 1
	v_div_fmas_f64 v[54:55], v[54:55], v[56:57], v[62:63]
	v_div_fixup_f64 v[56:57], v[54:55], v[52:53], 1.0
	v_mul_f64 v[58:59], v[58:59], -v[56:57]
.LBB23_16:
	s_or_b64 exec, exec, s[2:3]
	ds_write2_b64 v123, v[56:57], v[58:59] offset1:1
.LBB23_17:
	s_or_b64 exec, exec, s[4:5]
	s_waitcnt lgkmcnt(0)
	s_barrier
	ds_read2_b64 v[52:55], v123 offset1:1
	v_cmp_lt_u32_e32 vcc, 1, v122
	s_and_saveexec_b64 s[2:3], vcc
	s_cbranch_execz .LBB23_19
; %bb.18:
	ds_read2_b64 v[56:59], v124 offset0:4 offset1:5
	s_waitcnt vmcnt(10) lgkmcnt(1)
	v_mul_f64 v[60:61], v[52:53], v[2:3]
	v_fmac_f64_e32 v[60:61], v[54:55], v[0:1]
	v_mul_f64 v[2:3], v[54:55], v[2:3]
	v_fma_f64 v[0:1], v[52:53], v[0:1], -v[2:3]
	s_waitcnt lgkmcnt(0)
	v_mul_f64 v[2:3], v[58:59], v[60:61]
	v_fma_f64 v[2:3], v[56:57], v[0:1], -v[2:3]
	v_mul_f64 v[56:57], v[56:57], v[60:61]
	v_fmac_f64_e32 v[56:57], v[58:59], v[0:1]
	s_waitcnt vmcnt(9)
	v_add_f64 v[14:15], v[14:15], -v[56:57]
	ds_read2_b64 v[56:59], v124 offset0:6 offset1:7
	v_add_f64 v[12:13], v[12:13], -v[2:3]
	s_waitcnt lgkmcnt(0)
	v_mul_f64 v[2:3], v[58:59], v[60:61]
	v_fma_f64 v[2:3], v[56:57], v[0:1], -v[2:3]
	v_mul_f64 v[56:57], v[56:57], v[60:61]
	v_fmac_f64_e32 v[56:57], v[58:59], v[0:1]
	s_waitcnt vmcnt(8)
	v_add_f64 v[10:11], v[10:11], -v[56:57]
	ds_read2_b64 v[56:59], v124 offset0:8 offset1:9
	v_add_f64 v[8:9], v[8:9], -v[2:3]
	;; [unrolled: 9-line block ×9, first 2 shown]
	s_waitcnt lgkmcnt(0)
	v_mul_f64 v[2:3], v[58:59], v[60:61]
	v_fma_f64 v[2:3], v[56:57], v[0:1], -v[2:3]
	v_mul_f64 v[56:57], v[56:57], v[60:61]
	v_fmac_f64_e32 v[56:57], v[58:59], v[0:1]
	s_waitcnt vmcnt(0)
	v_add_f64 v[44:45], v[44:45], -v[2:3]
	v_add_f64 v[46:47], v[46:47], -v[56:57]
	v_mov_b64_e32 v[2:3], v[60:61]
.LBB23_19:
	s_or_b64 exec, exec, s[2:3]
	v_cmp_eq_u32_e32 vcc, 2, v122
	s_waitcnt lgkmcnt(0)
	s_barrier
	s_and_saveexec_b64 s[4:5], vcc
	s_cbranch_execz .LBB23_26
; %bb.20:
	s_waitcnt vmcnt(9)
	ds_write2_b64 v123, v[12:13], v[14:15] offset1:1
	s_waitcnt vmcnt(8)
	ds_write2_b64 v124, v[8:9], v[10:11] offset0:6 offset1:7
	s_waitcnt vmcnt(7)
	ds_write2_b64 v124, v[20:21], v[22:23] offset0:8 offset1:9
	;; [unrolled: 2-line block ×9, first 2 shown]
	ds_read2_b64 v[56:59], v123 offset1:1
	s_waitcnt lgkmcnt(0)
	v_cmp_neq_f64_e32 vcc, 0, v[56:57]
	v_cmp_neq_f64_e64 s[2:3], 0, v[58:59]
	s_or_b64 s[2:3], vcc, s[2:3]
	s_and_b64 exec, exec, s[2:3]
	s_cbranch_execz .LBB23_26
; %bb.21:
	v_cmp_ngt_f64_e64 s[2:3], |v[56:57]|, |v[58:59]|
                                        ; implicit-def: $vgpr60_vgpr61
	s_and_saveexec_b64 s[8:9], s[2:3]
	s_xor_b64 s[2:3], exec, s[8:9]
                                        ; implicit-def: $vgpr62_vgpr63
	s_cbranch_execz .LBB23_23
; %bb.22:
	v_div_scale_f64 v[60:61], s[8:9], v[58:59], v[58:59], v[56:57]
	v_rcp_f64_e32 v[62:63], v[60:61]
	v_div_scale_f64 v[64:65], vcc, v[56:57], v[58:59], v[56:57]
	v_fma_f64 v[66:67], -v[60:61], v[62:63], 1.0
	v_fmac_f64_e32 v[62:63], v[62:63], v[66:67]
	v_fma_f64 v[66:67], -v[60:61], v[62:63], 1.0
	v_fmac_f64_e32 v[62:63], v[62:63], v[66:67]
	v_mul_f64 v[66:67], v[64:65], v[62:63]
	v_fma_f64 v[60:61], -v[60:61], v[66:67], v[64:65]
	v_div_fmas_f64 v[60:61], v[60:61], v[62:63], v[66:67]
	v_div_fixup_f64 v[60:61], v[60:61], v[58:59], v[56:57]
	v_fmac_f64_e32 v[58:59], v[56:57], v[60:61]
	v_div_scale_f64 v[56:57], s[8:9], v[58:59], v[58:59], 1.0
	v_rcp_f64_e32 v[62:63], v[56:57]
	s_nop 0
	v_fma_f64 v[64:65], -v[56:57], v[62:63], 1.0
	v_fmac_f64_e32 v[62:63], v[62:63], v[64:65]
	v_fma_f64 v[64:65], -v[56:57], v[62:63], 1.0
	v_fmac_f64_e32 v[62:63], v[62:63], v[64:65]
	v_div_scale_f64 v[64:65], vcc, 1.0, v[58:59], 1.0
	v_mul_f64 v[66:67], v[64:65], v[62:63]
	v_fma_f64 v[56:57], -v[56:57], v[66:67], v[64:65]
	s_nop 1
	v_div_fmas_f64 v[56:57], v[56:57], v[62:63], v[66:67]
	v_div_fixup_f64 v[62:63], v[56:57], v[58:59], 1.0
	v_mul_f64 v[60:61], v[60:61], v[62:63]
	v_xor_b32_e32 v63, 0x80000000, v63
                                        ; implicit-def: $vgpr56_vgpr57
.LBB23_23:
	s_andn2_saveexec_b64 s[2:3], s[2:3]
	s_cbranch_execz .LBB23_25
; %bb.24:
	v_div_scale_f64 v[60:61], s[8:9], v[56:57], v[56:57], v[58:59]
	v_rcp_f64_e32 v[62:63], v[60:61]
	v_div_scale_f64 v[64:65], vcc, v[58:59], v[56:57], v[58:59]
	v_fma_f64 v[66:67], -v[60:61], v[62:63], 1.0
	v_fmac_f64_e32 v[62:63], v[62:63], v[66:67]
	v_fma_f64 v[66:67], -v[60:61], v[62:63], 1.0
	v_fmac_f64_e32 v[62:63], v[62:63], v[66:67]
	v_mul_f64 v[66:67], v[64:65], v[62:63]
	v_fma_f64 v[60:61], -v[60:61], v[66:67], v[64:65]
	v_div_fmas_f64 v[60:61], v[60:61], v[62:63], v[66:67]
	v_div_fixup_f64 v[62:63], v[60:61], v[56:57], v[58:59]
	v_fmac_f64_e32 v[56:57], v[58:59], v[62:63]
	v_div_scale_f64 v[58:59], s[8:9], v[56:57], v[56:57], 1.0
	v_rcp_f64_e32 v[60:61], v[58:59]
	s_nop 0
	v_fma_f64 v[64:65], -v[58:59], v[60:61], 1.0
	v_fmac_f64_e32 v[60:61], v[60:61], v[64:65]
	v_fma_f64 v[64:65], -v[58:59], v[60:61], 1.0
	v_fmac_f64_e32 v[60:61], v[60:61], v[64:65]
	v_div_scale_f64 v[64:65], vcc, 1.0, v[56:57], 1.0
	v_mul_f64 v[66:67], v[64:65], v[60:61]
	v_fma_f64 v[58:59], -v[58:59], v[66:67], v[64:65]
	s_nop 1
	v_div_fmas_f64 v[58:59], v[58:59], v[60:61], v[66:67]
	v_div_fixup_f64 v[60:61], v[58:59], v[56:57], 1.0
	v_mul_f64 v[62:63], v[62:63], -v[60:61]
.LBB23_25:
	s_or_b64 exec, exec, s[2:3]
	ds_write2_b64 v123, v[60:61], v[62:63] offset1:1
.LBB23_26:
	s_or_b64 exec, exec, s[4:5]
	s_waitcnt lgkmcnt(0)
	s_barrier
	ds_read2_b64 v[56:59], v123 offset1:1
	v_cmp_lt_u32_e32 vcc, 2, v122
	s_and_saveexec_b64 s[2:3], vcc
	s_cbranch_execz .LBB23_28
; %bb.27:
	ds_read2_b64 v[60:63], v124 offset0:6 offset1:7
	ds_read2_b64 v[64:67], v124 offset0:8 offset1:9
	s_waitcnt vmcnt(9) lgkmcnt(2)
	v_mul_f64 v[68:69], v[56:57], v[14:15]
	v_fmac_f64_e32 v[68:69], v[58:59], v[12:13]
	v_mul_f64 v[14:15], v[58:59], v[14:15]
	v_fma_f64 v[12:13], v[56:57], v[12:13], -v[14:15]
	s_waitcnt lgkmcnt(1)
	v_mul_f64 v[14:15], v[62:63], v[68:69]
	v_fma_f64 v[14:15], v[60:61], v[12:13], -v[14:15]
	v_mul_f64 v[60:61], v[60:61], v[68:69]
	v_fmac_f64_e32 v[60:61], v[62:63], v[12:13]
	s_waitcnt vmcnt(8)
	v_add_f64 v[10:11], v[10:11], -v[60:61]
	ds_read2_b64 v[60:63], v124 offset0:10 offset1:11
	v_add_f64 v[8:9], v[8:9], -v[14:15]
	s_waitcnt lgkmcnt(1)
	v_mul_f64 v[14:15], v[66:67], v[68:69]
	v_fma_f64 v[14:15], v[64:65], v[12:13], -v[14:15]
	v_mul_f64 v[64:65], v[64:65], v[68:69]
	v_fmac_f64_e32 v[64:65], v[66:67], v[12:13]
	s_waitcnt vmcnt(7)
	v_add_f64 v[20:21], v[20:21], -v[14:15]
	v_add_f64 v[22:23], v[22:23], -v[64:65]
	ds_read2_b64 v[64:67], v124 offset0:12 offset1:13
	s_waitcnt lgkmcnt(1)
	v_mul_f64 v[14:15], v[62:63], v[68:69]
	v_fma_f64 v[14:15], v[60:61], v[12:13], -v[14:15]
	v_mul_f64 v[60:61], v[60:61], v[68:69]
	v_fmac_f64_e32 v[60:61], v[62:63], v[12:13]
	s_waitcnt vmcnt(6)
	v_add_f64 v[18:19], v[18:19], -v[60:61]
	ds_read2_b64 v[60:63], v124 offset0:14 offset1:15
	v_add_f64 v[16:17], v[16:17], -v[14:15]
	s_waitcnt lgkmcnt(1)
	v_mul_f64 v[14:15], v[66:67], v[68:69]
	v_fma_f64 v[14:15], v[64:65], v[12:13], -v[14:15]
	v_mul_f64 v[64:65], v[64:65], v[68:69]
	v_fmac_f64_e32 v[64:65], v[66:67], v[12:13]
	s_waitcnt vmcnt(5)
	v_add_f64 v[40:41], v[40:41], -v[14:15]
	v_add_f64 v[42:43], v[42:43], -v[64:65]
	ds_read2_b64 v[64:67], v124 offset0:16 offset1:17
	;; [unrolled: 18-line block ×3, first 2 shown]
	s_waitcnt lgkmcnt(1)
	v_mul_f64 v[14:15], v[62:63], v[68:69]
	v_fma_f64 v[14:15], v[60:61], v[12:13], -v[14:15]
	v_mul_f64 v[60:61], v[60:61], v[68:69]
	v_fmac_f64_e32 v[60:61], v[62:63], v[12:13]
	s_waitcnt vmcnt(2)
	v_add_f64 v[30:31], v[30:31], -v[60:61]
	ds_read2_b64 v[60:63], v124 offset0:22 offset1:23
	v_add_f64 v[28:29], v[28:29], -v[14:15]
	s_waitcnt lgkmcnt(1)
	v_mul_f64 v[14:15], v[66:67], v[68:69]
	v_fma_f64 v[14:15], v[64:65], v[12:13], -v[14:15]
	s_waitcnt vmcnt(1)
	v_add_f64 v[24:25], v[24:25], -v[14:15]
	s_waitcnt lgkmcnt(0)
	v_mul_f64 v[14:15], v[62:63], v[68:69]
	v_mul_f64 v[64:65], v[64:65], v[68:69]
	v_fma_f64 v[14:15], v[60:61], v[12:13], -v[14:15]
	v_mul_f64 v[60:61], v[60:61], v[68:69]
	v_fmac_f64_e32 v[64:65], v[66:67], v[12:13]
	v_fmac_f64_e32 v[60:61], v[62:63], v[12:13]
	v_add_f64 v[26:27], v[26:27], -v[64:65]
	s_waitcnt vmcnt(0)
	v_add_f64 v[44:45], v[44:45], -v[14:15]
	v_add_f64 v[46:47], v[46:47], -v[60:61]
	v_mov_b64_e32 v[14:15], v[68:69]
.LBB23_28:
	s_or_b64 exec, exec, s[2:3]
	v_cmp_eq_u32_e32 vcc, 3, v122
	s_waitcnt lgkmcnt(0)
	s_barrier
	s_and_saveexec_b64 s[4:5], vcc
	s_cbranch_execz .LBB23_35
; %bb.29:
	s_waitcnt vmcnt(8)
	ds_write2_b64 v123, v[8:9], v[10:11] offset1:1
	s_waitcnt vmcnt(7)
	ds_write2_b64 v124, v[20:21], v[22:23] offset0:8 offset1:9
	s_waitcnt vmcnt(6)
	ds_write2_b64 v124, v[16:17], v[18:19] offset0:10 offset1:11
	;; [unrolled: 2-line block ×8, first 2 shown]
	ds_read2_b64 v[60:63], v123 offset1:1
	s_waitcnt lgkmcnt(0)
	v_cmp_neq_f64_e32 vcc, 0, v[60:61]
	v_cmp_neq_f64_e64 s[2:3], 0, v[62:63]
	s_or_b64 s[2:3], vcc, s[2:3]
	s_and_b64 exec, exec, s[2:3]
	s_cbranch_execz .LBB23_35
; %bb.30:
	v_cmp_ngt_f64_e64 s[2:3], |v[60:61]|, |v[62:63]|
                                        ; implicit-def: $vgpr64_vgpr65
	s_and_saveexec_b64 s[8:9], s[2:3]
	s_xor_b64 s[2:3], exec, s[8:9]
                                        ; implicit-def: $vgpr66_vgpr67
	s_cbranch_execz .LBB23_32
; %bb.31:
	v_div_scale_f64 v[64:65], s[8:9], v[62:63], v[62:63], v[60:61]
	v_rcp_f64_e32 v[66:67], v[64:65]
	v_div_scale_f64 v[68:69], vcc, v[60:61], v[62:63], v[60:61]
	v_fma_f64 v[70:71], -v[64:65], v[66:67], 1.0
	v_fmac_f64_e32 v[66:67], v[66:67], v[70:71]
	v_fma_f64 v[70:71], -v[64:65], v[66:67], 1.0
	v_fmac_f64_e32 v[66:67], v[66:67], v[70:71]
	v_mul_f64 v[70:71], v[68:69], v[66:67]
	v_fma_f64 v[64:65], -v[64:65], v[70:71], v[68:69]
	v_div_fmas_f64 v[64:65], v[64:65], v[66:67], v[70:71]
	v_div_fixup_f64 v[64:65], v[64:65], v[62:63], v[60:61]
	v_fmac_f64_e32 v[62:63], v[60:61], v[64:65]
	v_div_scale_f64 v[60:61], s[8:9], v[62:63], v[62:63], 1.0
	v_rcp_f64_e32 v[66:67], v[60:61]
	s_nop 0
	v_fma_f64 v[68:69], -v[60:61], v[66:67], 1.0
	v_fmac_f64_e32 v[66:67], v[66:67], v[68:69]
	v_fma_f64 v[68:69], -v[60:61], v[66:67], 1.0
	v_fmac_f64_e32 v[66:67], v[66:67], v[68:69]
	v_div_scale_f64 v[68:69], vcc, 1.0, v[62:63], 1.0
	v_mul_f64 v[70:71], v[68:69], v[66:67]
	v_fma_f64 v[60:61], -v[60:61], v[70:71], v[68:69]
	s_nop 1
	v_div_fmas_f64 v[60:61], v[60:61], v[66:67], v[70:71]
	v_div_fixup_f64 v[66:67], v[60:61], v[62:63], 1.0
	v_mul_f64 v[64:65], v[64:65], v[66:67]
	v_xor_b32_e32 v67, 0x80000000, v67
                                        ; implicit-def: $vgpr60_vgpr61
.LBB23_32:
	s_andn2_saveexec_b64 s[2:3], s[2:3]
	s_cbranch_execz .LBB23_34
; %bb.33:
	v_div_scale_f64 v[64:65], s[8:9], v[60:61], v[60:61], v[62:63]
	v_rcp_f64_e32 v[66:67], v[64:65]
	v_div_scale_f64 v[68:69], vcc, v[62:63], v[60:61], v[62:63]
	v_fma_f64 v[70:71], -v[64:65], v[66:67], 1.0
	v_fmac_f64_e32 v[66:67], v[66:67], v[70:71]
	v_fma_f64 v[70:71], -v[64:65], v[66:67], 1.0
	v_fmac_f64_e32 v[66:67], v[66:67], v[70:71]
	v_mul_f64 v[70:71], v[68:69], v[66:67]
	v_fma_f64 v[64:65], -v[64:65], v[70:71], v[68:69]
	v_div_fmas_f64 v[64:65], v[64:65], v[66:67], v[70:71]
	v_div_fixup_f64 v[66:67], v[64:65], v[60:61], v[62:63]
	v_fmac_f64_e32 v[60:61], v[62:63], v[66:67]
	v_div_scale_f64 v[62:63], s[8:9], v[60:61], v[60:61], 1.0
	v_rcp_f64_e32 v[64:65], v[62:63]
	s_nop 0
	v_fma_f64 v[68:69], -v[62:63], v[64:65], 1.0
	v_fmac_f64_e32 v[64:65], v[64:65], v[68:69]
	v_fma_f64 v[68:69], -v[62:63], v[64:65], 1.0
	v_fmac_f64_e32 v[64:65], v[64:65], v[68:69]
	v_div_scale_f64 v[68:69], vcc, 1.0, v[60:61], 1.0
	v_mul_f64 v[70:71], v[68:69], v[64:65]
	v_fma_f64 v[62:63], -v[62:63], v[70:71], v[68:69]
	s_nop 1
	v_div_fmas_f64 v[62:63], v[62:63], v[64:65], v[70:71]
	v_div_fixup_f64 v[64:65], v[62:63], v[60:61], 1.0
	v_mul_f64 v[66:67], v[66:67], -v[64:65]
.LBB23_34:
	s_or_b64 exec, exec, s[2:3]
	ds_write2_b64 v123, v[64:65], v[66:67] offset1:1
.LBB23_35:
	s_or_b64 exec, exec, s[4:5]
	s_waitcnt lgkmcnt(0)
	s_barrier
	ds_read2_b64 v[60:63], v123 offset1:1
	v_cmp_lt_u32_e32 vcc, 3, v122
	s_and_saveexec_b64 s[2:3], vcc
	s_cbranch_execz .LBB23_37
; %bb.36:
	ds_read2_b64 v[64:67], v124 offset0:8 offset1:9
	ds_read2_b64 v[68:71], v124 offset0:10 offset1:11
	s_waitcnt vmcnt(8) lgkmcnt(2)
	v_mul_f64 v[72:73], v[60:61], v[10:11]
	v_fmac_f64_e32 v[72:73], v[62:63], v[8:9]
	v_mul_f64 v[10:11], v[62:63], v[10:11]
	v_fma_f64 v[8:9], v[60:61], v[8:9], -v[10:11]
	s_waitcnt lgkmcnt(1)
	v_mul_f64 v[10:11], v[66:67], v[72:73]
	v_fma_f64 v[10:11], v[64:65], v[8:9], -v[10:11]
	v_mul_f64 v[64:65], v[64:65], v[72:73]
	v_fmac_f64_e32 v[64:65], v[66:67], v[8:9]
	s_waitcnt vmcnt(7)
	v_add_f64 v[20:21], v[20:21], -v[10:11]
	v_add_f64 v[22:23], v[22:23], -v[64:65]
	s_waitcnt lgkmcnt(0)
	v_mul_f64 v[10:11], v[70:71], v[72:73]
	ds_read2_b64 v[64:67], v124 offset0:12 offset1:13
	v_fma_f64 v[10:11], v[68:69], v[8:9], -v[10:11]
	v_mul_f64 v[68:69], v[68:69], v[72:73]
	v_fmac_f64_e32 v[68:69], v[70:71], v[8:9]
	s_waitcnt vmcnt(6)
	v_add_f64 v[18:19], v[18:19], -v[68:69]
	ds_read2_b64 v[68:71], v124 offset0:14 offset1:15
	v_add_f64 v[16:17], v[16:17], -v[10:11]
	s_waitcnt lgkmcnt(1)
	v_mul_f64 v[10:11], v[66:67], v[72:73]
	v_fma_f64 v[10:11], v[64:65], v[8:9], -v[10:11]
	v_mul_f64 v[64:65], v[64:65], v[72:73]
	v_fmac_f64_e32 v[64:65], v[66:67], v[8:9]
	s_waitcnt vmcnt(5)
	v_add_f64 v[40:41], v[40:41], -v[10:11]
	v_add_f64 v[42:43], v[42:43], -v[64:65]
	s_waitcnt lgkmcnt(0)
	v_mul_f64 v[10:11], v[70:71], v[72:73]
	ds_read2_b64 v[64:67], v124 offset0:16 offset1:17
	v_fma_f64 v[10:11], v[68:69], v[8:9], -v[10:11]
	v_mul_f64 v[68:69], v[68:69], v[72:73]
	v_fmac_f64_e32 v[68:69], v[70:71], v[8:9]
	s_waitcnt vmcnt(4)
	v_add_f64 v[38:39], v[38:39], -v[68:69]
	ds_read2_b64 v[68:71], v124 offset0:18 offset1:19
	v_add_f64 v[36:37], v[36:37], -v[10:11]
	;; [unrolled: 18-line block ×3, first 2 shown]
	s_waitcnt lgkmcnt(1)
	v_mul_f64 v[10:11], v[66:67], v[72:73]
	v_fma_f64 v[10:11], v[64:65], v[8:9], -v[10:11]
	v_mul_f64 v[64:65], v[64:65], v[72:73]
	v_fmac_f64_e32 v[64:65], v[66:67], v[8:9]
	s_waitcnt vmcnt(1)
	v_add_f64 v[24:25], v[24:25], -v[10:11]
	v_add_f64 v[26:27], v[26:27], -v[64:65]
	s_waitcnt lgkmcnt(0)
	v_mul_f64 v[10:11], v[70:71], v[72:73]
	v_mul_f64 v[64:65], v[68:69], v[72:73]
	v_fma_f64 v[10:11], v[68:69], v[8:9], -v[10:11]
	v_fmac_f64_e32 v[64:65], v[70:71], v[8:9]
	s_waitcnt vmcnt(0)
	v_add_f64 v[44:45], v[44:45], -v[10:11]
	v_add_f64 v[46:47], v[46:47], -v[64:65]
	v_mov_b64_e32 v[10:11], v[72:73]
.LBB23_37:
	s_or_b64 exec, exec, s[2:3]
	v_cmp_eq_u32_e32 vcc, 4, v122
	s_waitcnt lgkmcnt(0)
	s_barrier
	s_and_saveexec_b64 s[4:5], vcc
	s_cbranch_execz .LBB23_44
; %bb.38:
	s_waitcnt vmcnt(7)
	ds_write2_b64 v123, v[20:21], v[22:23] offset1:1
	s_waitcnt vmcnt(6)
	ds_write2_b64 v124, v[16:17], v[18:19] offset0:10 offset1:11
	s_waitcnt vmcnt(5)
	ds_write2_b64 v124, v[40:41], v[42:43] offset0:12 offset1:13
	;; [unrolled: 2-line block ×7, first 2 shown]
	ds_read2_b64 v[64:67], v123 offset1:1
	s_waitcnt lgkmcnt(0)
	v_cmp_neq_f64_e32 vcc, 0, v[64:65]
	v_cmp_neq_f64_e64 s[2:3], 0, v[66:67]
	s_or_b64 s[2:3], vcc, s[2:3]
	s_and_b64 exec, exec, s[2:3]
	s_cbranch_execz .LBB23_44
; %bb.39:
	v_cmp_ngt_f64_e64 s[2:3], |v[64:65]|, |v[66:67]|
                                        ; implicit-def: $vgpr68_vgpr69
	s_and_saveexec_b64 s[8:9], s[2:3]
	s_xor_b64 s[2:3], exec, s[8:9]
                                        ; implicit-def: $vgpr70_vgpr71
	s_cbranch_execz .LBB23_41
; %bb.40:
	v_div_scale_f64 v[68:69], s[8:9], v[66:67], v[66:67], v[64:65]
	v_rcp_f64_e32 v[70:71], v[68:69]
	v_div_scale_f64 v[72:73], vcc, v[64:65], v[66:67], v[64:65]
	v_fma_f64 v[74:75], -v[68:69], v[70:71], 1.0
	v_fmac_f64_e32 v[70:71], v[70:71], v[74:75]
	v_fma_f64 v[74:75], -v[68:69], v[70:71], 1.0
	v_fmac_f64_e32 v[70:71], v[70:71], v[74:75]
	v_mul_f64 v[74:75], v[72:73], v[70:71]
	v_fma_f64 v[68:69], -v[68:69], v[74:75], v[72:73]
	v_div_fmas_f64 v[68:69], v[68:69], v[70:71], v[74:75]
	v_div_fixup_f64 v[68:69], v[68:69], v[66:67], v[64:65]
	v_fmac_f64_e32 v[66:67], v[64:65], v[68:69]
	v_div_scale_f64 v[64:65], s[8:9], v[66:67], v[66:67], 1.0
	v_rcp_f64_e32 v[70:71], v[64:65]
	s_nop 0
	v_fma_f64 v[72:73], -v[64:65], v[70:71], 1.0
	v_fmac_f64_e32 v[70:71], v[70:71], v[72:73]
	v_fma_f64 v[72:73], -v[64:65], v[70:71], 1.0
	v_fmac_f64_e32 v[70:71], v[70:71], v[72:73]
	v_div_scale_f64 v[72:73], vcc, 1.0, v[66:67], 1.0
	v_mul_f64 v[74:75], v[72:73], v[70:71]
	v_fma_f64 v[64:65], -v[64:65], v[74:75], v[72:73]
	s_nop 1
	v_div_fmas_f64 v[64:65], v[64:65], v[70:71], v[74:75]
	v_div_fixup_f64 v[70:71], v[64:65], v[66:67], 1.0
	v_mul_f64 v[68:69], v[68:69], v[70:71]
	v_xor_b32_e32 v71, 0x80000000, v71
                                        ; implicit-def: $vgpr64_vgpr65
.LBB23_41:
	s_andn2_saveexec_b64 s[2:3], s[2:3]
	s_cbranch_execz .LBB23_43
; %bb.42:
	v_div_scale_f64 v[68:69], s[8:9], v[64:65], v[64:65], v[66:67]
	v_rcp_f64_e32 v[70:71], v[68:69]
	v_div_scale_f64 v[72:73], vcc, v[66:67], v[64:65], v[66:67]
	v_fma_f64 v[74:75], -v[68:69], v[70:71], 1.0
	v_fmac_f64_e32 v[70:71], v[70:71], v[74:75]
	v_fma_f64 v[74:75], -v[68:69], v[70:71], 1.0
	v_fmac_f64_e32 v[70:71], v[70:71], v[74:75]
	v_mul_f64 v[74:75], v[72:73], v[70:71]
	v_fma_f64 v[68:69], -v[68:69], v[74:75], v[72:73]
	v_div_fmas_f64 v[68:69], v[68:69], v[70:71], v[74:75]
	v_div_fixup_f64 v[70:71], v[68:69], v[64:65], v[66:67]
	v_fmac_f64_e32 v[64:65], v[66:67], v[70:71]
	v_div_scale_f64 v[66:67], s[8:9], v[64:65], v[64:65], 1.0
	v_rcp_f64_e32 v[68:69], v[66:67]
	s_nop 0
	v_fma_f64 v[72:73], -v[66:67], v[68:69], 1.0
	v_fmac_f64_e32 v[68:69], v[68:69], v[72:73]
	v_fma_f64 v[72:73], -v[66:67], v[68:69], 1.0
	v_fmac_f64_e32 v[68:69], v[68:69], v[72:73]
	v_div_scale_f64 v[72:73], vcc, 1.0, v[64:65], 1.0
	v_mul_f64 v[74:75], v[72:73], v[68:69]
	v_fma_f64 v[66:67], -v[66:67], v[74:75], v[72:73]
	s_nop 1
	v_div_fmas_f64 v[66:67], v[66:67], v[68:69], v[74:75]
	v_div_fixup_f64 v[68:69], v[66:67], v[64:65], 1.0
	v_mul_f64 v[70:71], v[70:71], -v[68:69]
.LBB23_43:
	s_or_b64 exec, exec, s[2:3]
	ds_write2_b64 v123, v[68:69], v[70:71] offset1:1
.LBB23_44:
	s_or_b64 exec, exec, s[4:5]
	s_waitcnt lgkmcnt(0)
	s_barrier
	ds_read2_b64 v[64:67], v123 offset1:1
	v_cmp_lt_u32_e32 vcc, 4, v122
	s_and_saveexec_b64 s[2:3], vcc
	s_cbranch_execz .LBB23_46
; %bb.45:
	ds_read2_b64 v[68:71], v124 offset0:10 offset1:11
	ds_read2_b64 v[72:75], v124 offset0:12 offset1:13
	s_waitcnt vmcnt(7) lgkmcnt(2)
	v_mul_f64 v[76:77], v[64:65], v[22:23]
	v_fmac_f64_e32 v[76:77], v[66:67], v[20:21]
	v_mul_f64 v[22:23], v[66:67], v[22:23]
	v_fma_f64 v[20:21], v[64:65], v[20:21], -v[22:23]
	s_waitcnt lgkmcnt(1)
	v_mul_f64 v[22:23], v[70:71], v[76:77]
	v_fma_f64 v[22:23], v[68:69], v[20:21], -v[22:23]
	v_mul_f64 v[68:69], v[68:69], v[76:77]
	v_fmac_f64_e32 v[68:69], v[70:71], v[20:21]
	s_waitcnt vmcnt(6)
	v_add_f64 v[18:19], v[18:19], -v[68:69]
	ds_read2_b64 v[68:71], v124 offset0:14 offset1:15
	v_add_f64 v[16:17], v[16:17], -v[22:23]
	s_waitcnt lgkmcnt(1)
	v_mul_f64 v[22:23], v[74:75], v[76:77]
	v_fma_f64 v[22:23], v[72:73], v[20:21], -v[22:23]
	v_mul_f64 v[72:73], v[72:73], v[76:77]
	v_fmac_f64_e32 v[72:73], v[74:75], v[20:21]
	s_waitcnt vmcnt(5)
	v_add_f64 v[40:41], v[40:41], -v[22:23]
	v_add_f64 v[42:43], v[42:43], -v[72:73]
	ds_read2_b64 v[72:75], v124 offset0:16 offset1:17
	s_waitcnt lgkmcnt(1)
	v_mul_f64 v[22:23], v[70:71], v[76:77]
	v_fma_f64 v[22:23], v[68:69], v[20:21], -v[22:23]
	v_mul_f64 v[68:69], v[68:69], v[76:77]
	v_fmac_f64_e32 v[68:69], v[70:71], v[20:21]
	s_waitcnt vmcnt(4)
	v_add_f64 v[38:39], v[38:39], -v[68:69]
	ds_read2_b64 v[68:71], v124 offset0:18 offset1:19
	v_add_f64 v[36:37], v[36:37], -v[22:23]
	s_waitcnt lgkmcnt(1)
	v_mul_f64 v[22:23], v[74:75], v[76:77]
	v_fma_f64 v[22:23], v[72:73], v[20:21], -v[22:23]
	v_mul_f64 v[72:73], v[72:73], v[76:77]
	v_fmac_f64_e32 v[72:73], v[74:75], v[20:21]
	s_waitcnt vmcnt(3)
	v_add_f64 v[32:33], v[32:33], -v[22:23]
	v_add_f64 v[34:35], v[34:35], -v[72:73]
	ds_read2_b64 v[72:75], v124 offset0:20 offset1:21
	s_waitcnt lgkmcnt(1)
	v_mul_f64 v[22:23], v[70:71], v[76:77]
	v_fma_f64 v[22:23], v[68:69], v[20:21], -v[22:23]
	v_mul_f64 v[68:69], v[68:69], v[76:77]
	v_fmac_f64_e32 v[68:69], v[70:71], v[20:21]
	s_waitcnt vmcnt(2)
	v_add_f64 v[30:31], v[30:31], -v[68:69]
	ds_read2_b64 v[68:71], v124 offset0:22 offset1:23
	v_add_f64 v[28:29], v[28:29], -v[22:23]
	s_waitcnt lgkmcnt(1)
	v_mul_f64 v[22:23], v[74:75], v[76:77]
	v_fma_f64 v[22:23], v[72:73], v[20:21], -v[22:23]
	s_waitcnt vmcnt(1)
	v_add_f64 v[24:25], v[24:25], -v[22:23]
	s_waitcnt lgkmcnt(0)
	v_mul_f64 v[22:23], v[70:71], v[76:77]
	v_mul_f64 v[72:73], v[72:73], v[76:77]
	v_fma_f64 v[22:23], v[68:69], v[20:21], -v[22:23]
	v_mul_f64 v[68:69], v[68:69], v[76:77]
	v_fmac_f64_e32 v[72:73], v[74:75], v[20:21]
	v_fmac_f64_e32 v[68:69], v[70:71], v[20:21]
	v_add_f64 v[26:27], v[26:27], -v[72:73]
	s_waitcnt vmcnt(0)
	v_add_f64 v[44:45], v[44:45], -v[22:23]
	v_add_f64 v[46:47], v[46:47], -v[68:69]
	v_mov_b64_e32 v[22:23], v[76:77]
.LBB23_46:
	s_or_b64 exec, exec, s[2:3]
	v_cmp_eq_u32_e32 vcc, 5, v122
	s_waitcnt lgkmcnt(0)
	s_barrier
	s_and_saveexec_b64 s[4:5], vcc
	s_cbranch_execz .LBB23_53
; %bb.47:
	s_waitcnt vmcnt(6)
	ds_write2_b64 v123, v[16:17], v[18:19] offset1:1
	s_waitcnt vmcnt(5)
	ds_write2_b64 v124, v[40:41], v[42:43] offset0:12 offset1:13
	s_waitcnt vmcnt(4)
	ds_write2_b64 v124, v[36:37], v[38:39] offset0:14 offset1:15
	;; [unrolled: 2-line block ×6, first 2 shown]
	ds_read2_b64 v[68:71], v123 offset1:1
	s_waitcnt lgkmcnt(0)
	v_cmp_neq_f64_e32 vcc, 0, v[68:69]
	v_cmp_neq_f64_e64 s[2:3], 0, v[70:71]
	s_or_b64 s[2:3], vcc, s[2:3]
	s_and_b64 exec, exec, s[2:3]
	s_cbranch_execz .LBB23_53
; %bb.48:
	v_cmp_ngt_f64_e64 s[2:3], |v[68:69]|, |v[70:71]|
                                        ; implicit-def: $vgpr72_vgpr73
	s_and_saveexec_b64 s[8:9], s[2:3]
	s_xor_b64 s[2:3], exec, s[8:9]
                                        ; implicit-def: $vgpr74_vgpr75
	s_cbranch_execz .LBB23_50
; %bb.49:
	v_div_scale_f64 v[72:73], s[8:9], v[70:71], v[70:71], v[68:69]
	v_rcp_f64_e32 v[74:75], v[72:73]
	v_div_scale_f64 v[76:77], vcc, v[68:69], v[70:71], v[68:69]
	v_fma_f64 v[78:79], -v[72:73], v[74:75], 1.0
	v_fmac_f64_e32 v[74:75], v[74:75], v[78:79]
	v_fma_f64 v[78:79], -v[72:73], v[74:75], 1.0
	v_fmac_f64_e32 v[74:75], v[74:75], v[78:79]
	v_mul_f64 v[78:79], v[76:77], v[74:75]
	v_fma_f64 v[72:73], -v[72:73], v[78:79], v[76:77]
	v_div_fmas_f64 v[72:73], v[72:73], v[74:75], v[78:79]
	v_div_fixup_f64 v[72:73], v[72:73], v[70:71], v[68:69]
	v_fmac_f64_e32 v[70:71], v[68:69], v[72:73]
	v_div_scale_f64 v[68:69], s[8:9], v[70:71], v[70:71], 1.0
	v_rcp_f64_e32 v[74:75], v[68:69]
	s_nop 0
	v_fma_f64 v[76:77], -v[68:69], v[74:75], 1.0
	v_fmac_f64_e32 v[74:75], v[74:75], v[76:77]
	v_fma_f64 v[76:77], -v[68:69], v[74:75], 1.0
	v_fmac_f64_e32 v[74:75], v[74:75], v[76:77]
	v_div_scale_f64 v[76:77], vcc, 1.0, v[70:71], 1.0
	v_mul_f64 v[78:79], v[76:77], v[74:75]
	v_fma_f64 v[68:69], -v[68:69], v[78:79], v[76:77]
	s_nop 1
	v_div_fmas_f64 v[68:69], v[68:69], v[74:75], v[78:79]
	v_div_fixup_f64 v[74:75], v[68:69], v[70:71], 1.0
	v_mul_f64 v[72:73], v[72:73], v[74:75]
	v_xor_b32_e32 v75, 0x80000000, v75
                                        ; implicit-def: $vgpr68_vgpr69
.LBB23_50:
	s_andn2_saveexec_b64 s[2:3], s[2:3]
	s_cbranch_execz .LBB23_52
; %bb.51:
	v_div_scale_f64 v[72:73], s[8:9], v[68:69], v[68:69], v[70:71]
	v_rcp_f64_e32 v[74:75], v[72:73]
	v_div_scale_f64 v[76:77], vcc, v[70:71], v[68:69], v[70:71]
	v_fma_f64 v[78:79], -v[72:73], v[74:75], 1.0
	v_fmac_f64_e32 v[74:75], v[74:75], v[78:79]
	v_fma_f64 v[78:79], -v[72:73], v[74:75], 1.0
	v_fmac_f64_e32 v[74:75], v[74:75], v[78:79]
	v_mul_f64 v[78:79], v[76:77], v[74:75]
	v_fma_f64 v[72:73], -v[72:73], v[78:79], v[76:77]
	v_div_fmas_f64 v[72:73], v[72:73], v[74:75], v[78:79]
	v_div_fixup_f64 v[74:75], v[72:73], v[68:69], v[70:71]
	v_fmac_f64_e32 v[68:69], v[70:71], v[74:75]
	v_div_scale_f64 v[70:71], s[8:9], v[68:69], v[68:69], 1.0
	v_rcp_f64_e32 v[72:73], v[70:71]
	s_nop 0
	v_fma_f64 v[76:77], -v[70:71], v[72:73], 1.0
	v_fmac_f64_e32 v[72:73], v[72:73], v[76:77]
	v_fma_f64 v[76:77], -v[70:71], v[72:73], 1.0
	v_fmac_f64_e32 v[72:73], v[72:73], v[76:77]
	v_div_scale_f64 v[76:77], vcc, 1.0, v[68:69], 1.0
	v_mul_f64 v[78:79], v[76:77], v[72:73]
	v_fma_f64 v[70:71], -v[70:71], v[78:79], v[76:77]
	s_nop 1
	v_div_fmas_f64 v[70:71], v[70:71], v[72:73], v[78:79]
	v_div_fixup_f64 v[72:73], v[70:71], v[68:69], 1.0
	v_mul_f64 v[74:75], v[74:75], -v[72:73]
.LBB23_52:
	s_or_b64 exec, exec, s[2:3]
	ds_write2_b64 v123, v[72:73], v[74:75] offset1:1
.LBB23_53:
	s_or_b64 exec, exec, s[4:5]
	s_waitcnt lgkmcnt(0)
	s_barrier
	ds_read2_b64 v[68:71], v123 offset1:1
	v_cmp_lt_u32_e32 vcc, 5, v122
	s_and_saveexec_b64 s[2:3], vcc
	s_cbranch_execz .LBB23_55
; %bb.54:
	ds_read2_b64 v[72:75], v124 offset0:12 offset1:13
	ds_read2_b64 v[76:79], v124 offset0:14 offset1:15
	s_waitcnt vmcnt(6) lgkmcnt(2)
	v_mul_f64 v[80:81], v[68:69], v[18:19]
	v_fmac_f64_e32 v[80:81], v[70:71], v[16:17]
	v_mul_f64 v[18:19], v[70:71], v[18:19]
	v_fma_f64 v[16:17], v[68:69], v[16:17], -v[18:19]
	s_waitcnt lgkmcnt(1)
	v_mul_f64 v[18:19], v[74:75], v[80:81]
	v_fma_f64 v[18:19], v[72:73], v[16:17], -v[18:19]
	v_mul_f64 v[72:73], v[72:73], v[80:81]
	v_fmac_f64_e32 v[72:73], v[74:75], v[16:17]
	s_waitcnt vmcnt(5)
	v_add_f64 v[40:41], v[40:41], -v[18:19]
	v_add_f64 v[42:43], v[42:43], -v[72:73]
	s_waitcnt lgkmcnt(0)
	v_mul_f64 v[18:19], v[78:79], v[80:81]
	ds_read2_b64 v[72:75], v124 offset0:16 offset1:17
	v_fma_f64 v[18:19], v[76:77], v[16:17], -v[18:19]
	v_mul_f64 v[76:77], v[76:77], v[80:81]
	v_fmac_f64_e32 v[76:77], v[78:79], v[16:17]
	s_waitcnt vmcnt(4)
	v_add_f64 v[38:39], v[38:39], -v[76:77]
	ds_read2_b64 v[76:79], v124 offset0:18 offset1:19
	v_add_f64 v[36:37], v[36:37], -v[18:19]
	s_waitcnt lgkmcnt(1)
	v_mul_f64 v[18:19], v[74:75], v[80:81]
	v_fma_f64 v[18:19], v[72:73], v[16:17], -v[18:19]
	v_mul_f64 v[72:73], v[72:73], v[80:81]
	v_fmac_f64_e32 v[72:73], v[74:75], v[16:17]
	s_waitcnt vmcnt(3)
	v_add_f64 v[32:33], v[32:33], -v[18:19]
	v_add_f64 v[34:35], v[34:35], -v[72:73]
	s_waitcnt lgkmcnt(0)
	v_mul_f64 v[18:19], v[78:79], v[80:81]
	ds_read2_b64 v[72:75], v124 offset0:20 offset1:21
	v_fma_f64 v[18:19], v[76:77], v[16:17], -v[18:19]
	v_mul_f64 v[76:77], v[76:77], v[80:81]
	v_fmac_f64_e32 v[76:77], v[78:79], v[16:17]
	s_waitcnt vmcnt(2)
	v_add_f64 v[30:31], v[30:31], -v[76:77]
	ds_read2_b64 v[76:79], v124 offset0:22 offset1:23
	v_add_f64 v[28:29], v[28:29], -v[18:19]
	s_waitcnt lgkmcnt(1)
	v_mul_f64 v[18:19], v[74:75], v[80:81]
	v_fma_f64 v[18:19], v[72:73], v[16:17], -v[18:19]
	v_mul_f64 v[72:73], v[72:73], v[80:81]
	v_fmac_f64_e32 v[72:73], v[74:75], v[16:17]
	s_waitcnt vmcnt(1)
	v_add_f64 v[24:25], v[24:25], -v[18:19]
	v_add_f64 v[26:27], v[26:27], -v[72:73]
	s_waitcnt lgkmcnt(0)
	v_mul_f64 v[18:19], v[78:79], v[80:81]
	v_mul_f64 v[72:73], v[76:77], v[80:81]
	v_fma_f64 v[18:19], v[76:77], v[16:17], -v[18:19]
	v_fmac_f64_e32 v[72:73], v[78:79], v[16:17]
	s_waitcnt vmcnt(0)
	v_add_f64 v[44:45], v[44:45], -v[18:19]
	v_add_f64 v[46:47], v[46:47], -v[72:73]
	v_mov_b64_e32 v[18:19], v[80:81]
.LBB23_55:
	s_or_b64 exec, exec, s[2:3]
	v_cmp_eq_u32_e32 vcc, 6, v122
	s_waitcnt lgkmcnt(0)
	s_barrier
	s_and_saveexec_b64 s[4:5], vcc
	s_cbranch_execz .LBB23_62
; %bb.56:
	s_waitcnt vmcnt(5)
	ds_write2_b64 v123, v[40:41], v[42:43] offset1:1
	s_waitcnt vmcnt(4)
	ds_write2_b64 v124, v[36:37], v[38:39] offset0:14 offset1:15
	s_waitcnt vmcnt(3)
	ds_write2_b64 v124, v[32:33], v[34:35] offset0:16 offset1:17
	;; [unrolled: 2-line block ×5, first 2 shown]
	ds_read2_b64 v[72:75], v123 offset1:1
	s_waitcnt lgkmcnt(0)
	v_cmp_neq_f64_e32 vcc, 0, v[72:73]
	v_cmp_neq_f64_e64 s[2:3], 0, v[74:75]
	s_or_b64 s[2:3], vcc, s[2:3]
	s_and_b64 exec, exec, s[2:3]
	s_cbranch_execz .LBB23_62
; %bb.57:
	v_cmp_ngt_f64_e64 s[2:3], |v[72:73]|, |v[74:75]|
                                        ; implicit-def: $vgpr76_vgpr77
	s_and_saveexec_b64 s[8:9], s[2:3]
	s_xor_b64 s[2:3], exec, s[8:9]
                                        ; implicit-def: $vgpr78_vgpr79
	s_cbranch_execz .LBB23_59
; %bb.58:
	v_div_scale_f64 v[76:77], s[8:9], v[74:75], v[74:75], v[72:73]
	v_rcp_f64_e32 v[78:79], v[76:77]
	v_div_scale_f64 v[80:81], vcc, v[72:73], v[74:75], v[72:73]
	v_fma_f64 v[82:83], -v[76:77], v[78:79], 1.0
	v_fmac_f64_e32 v[78:79], v[78:79], v[82:83]
	v_fma_f64 v[82:83], -v[76:77], v[78:79], 1.0
	v_fmac_f64_e32 v[78:79], v[78:79], v[82:83]
	v_mul_f64 v[82:83], v[80:81], v[78:79]
	v_fma_f64 v[76:77], -v[76:77], v[82:83], v[80:81]
	v_div_fmas_f64 v[76:77], v[76:77], v[78:79], v[82:83]
	v_div_fixup_f64 v[76:77], v[76:77], v[74:75], v[72:73]
	v_fmac_f64_e32 v[74:75], v[72:73], v[76:77]
	v_div_scale_f64 v[72:73], s[8:9], v[74:75], v[74:75], 1.0
	v_rcp_f64_e32 v[78:79], v[72:73]
	s_nop 0
	v_fma_f64 v[80:81], -v[72:73], v[78:79], 1.0
	v_fmac_f64_e32 v[78:79], v[78:79], v[80:81]
	v_fma_f64 v[80:81], -v[72:73], v[78:79], 1.0
	v_fmac_f64_e32 v[78:79], v[78:79], v[80:81]
	v_div_scale_f64 v[80:81], vcc, 1.0, v[74:75], 1.0
	v_mul_f64 v[82:83], v[80:81], v[78:79]
	v_fma_f64 v[72:73], -v[72:73], v[82:83], v[80:81]
	s_nop 1
	v_div_fmas_f64 v[72:73], v[72:73], v[78:79], v[82:83]
	v_div_fixup_f64 v[78:79], v[72:73], v[74:75], 1.0
	v_mul_f64 v[76:77], v[76:77], v[78:79]
	v_xor_b32_e32 v79, 0x80000000, v79
                                        ; implicit-def: $vgpr72_vgpr73
.LBB23_59:
	s_andn2_saveexec_b64 s[2:3], s[2:3]
	s_cbranch_execz .LBB23_61
; %bb.60:
	v_div_scale_f64 v[76:77], s[8:9], v[72:73], v[72:73], v[74:75]
	v_rcp_f64_e32 v[78:79], v[76:77]
	v_div_scale_f64 v[80:81], vcc, v[74:75], v[72:73], v[74:75]
	v_fma_f64 v[82:83], -v[76:77], v[78:79], 1.0
	v_fmac_f64_e32 v[78:79], v[78:79], v[82:83]
	v_fma_f64 v[82:83], -v[76:77], v[78:79], 1.0
	v_fmac_f64_e32 v[78:79], v[78:79], v[82:83]
	v_mul_f64 v[82:83], v[80:81], v[78:79]
	v_fma_f64 v[76:77], -v[76:77], v[82:83], v[80:81]
	v_div_fmas_f64 v[76:77], v[76:77], v[78:79], v[82:83]
	v_div_fixup_f64 v[78:79], v[76:77], v[72:73], v[74:75]
	v_fmac_f64_e32 v[72:73], v[74:75], v[78:79]
	v_div_scale_f64 v[74:75], s[8:9], v[72:73], v[72:73], 1.0
	v_rcp_f64_e32 v[76:77], v[74:75]
	s_nop 0
	v_fma_f64 v[80:81], -v[74:75], v[76:77], 1.0
	v_fmac_f64_e32 v[76:77], v[76:77], v[80:81]
	v_fma_f64 v[80:81], -v[74:75], v[76:77], 1.0
	v_fmac_f64_e32 v[76:77], v[76:77], v[80:81]
	v_div_scale_f64 v[80:81], vcc, 1.0, v[72:73], 1.0
	v_mul_f64 v[82:83], v[80:81], v[76:77]
	v_fma_f64 v[74:75], -v[74:75], v[82:83], v[80:81]
	s_nop 1
	v_div_fmas_f64 v[74:75], v[74:75], v[76:77], v[82:83]
	v_div_fixup_f64 v[76:77], v[74:75], v[72:73], 1.0
	v_mul_f64 v[78:79], v[78:79], -v[76:77]
.LBB23_61:
	s_or_b64 exec, exec, s[2:3]
	ds_write2_b64 v123, v[76:77], v[78:79] offset1:1
.LBB23_62:
	s_or_b64 exec, exec, s[4:5]
	s_waitcnt lgkmcnt(0)
	s_barrier
	ds_read2_b64 v[72:75], v123 offset1:1
	v_cmp_lt_u32_e32 vcc, 6, v122
	s_and_saveexec_b64 s[2:3], vcc
	s_cbranch_execz .LBB23_64
; %bb.63:
	ds_read2_b64 v[76:79], v124 offset0:14 offset1:15
	ds_read2_b64 v[80:83], v124 offset0:16 offset1:17
	s_waitcnt vmcnt(5) lgkmcnt(2)
	v_mul_f64 v[84:85], v[72:73], v[42:43]
	v_fmac_f64_e32 v[84:85], v[74:75], v[40:41]
	v_mul_f64 v[42:43], v[74:75], v[42:43]
	v_fma_f64 v[40:41], v[72:73], v[40:41], -v[42:43]
	s_waitcnt lgkmcnt(1)
	v_mul_f64 v[42:43], v[78:79], v[84:85]
	v_fma_f64 v[42:43], v[76:77], v[40:41], -v[42:43]
	v_mul_f64 v[76:77], v[76:77], v[84:85]
	v_fmac_f64_e32 v[76:77], v[78:79], v[40:41]
	s_waitcnt vmcnt(4)
	v_add_f64 v[38:39], v[38:39], -v[76:77]
	ds_read2_b64 v[76:79], v124 offset0:18 offset1:19
	v_add_f64 v[36:37], v[36:37], -v[42:43]
	s_waitcnt lgkmcnt(1)
	v_mul_f64 v[42:43], v[82:83], v[84:85]
	v_fma_f64 v[42:43], v[80:81], v[40:41], -v[42:43]
	v_mul_f64 v[80:81], v[80:81], v[84:85]
	v_fmac_f64_e32 v[80:81], v[82:83], v[40:41]
	s_waitcnt vmcnt(3)
	v_add_f64 v[32:33], v[32:33], -v[42:43]
	v_add_f64 v[34:35], v[34:35], -v[80:81]
	ds_read2_b64 v[80:83], v124 offset0:20 offset1:21
	s_waitcnt lgkmcnt(1)
	v_mul_f64 v[42:43], v[78:79], v[84:85]
	v_fma_f64 v[42:43], v[76:77], v[40:41], -v[42:43]
	v_mul_f64 v[76:77], v[76:77], v[84:85]
	v_fmac_f64_e32 v[76:77], v[78:79], v[40:41]
	s_waitcnt vmcnt(2)
	v_add_f64 v[30:31], v[30:31], -v[76:77]
	ds_read2_b64 v[76:79], v124 offset0:22 offset1:23
	v_add_f64 v[28:29], v[28:29], -v[42:43]
	s_waitcnt lgkmcnt(1)
	v_mul_f64 v[42:43], v[82:83], v[84:85]
	v_fma_f64 v[42:43], v[80:81], v[40:41], -v[42:43]
	s_waitcnt vmcnt(1)
	v_add_f64 v[24:25], v[24:25], -v[42:43]
	s_waitcnt lgkmcnt(0)
	v_mul_f64 v[42:43], v[78:79], v[84:85]
	v_mul_f64 v[80:81], v[80:81], v[84:85]
	v_fma_f64 v[42:43], v[76:77], v[40:41], -v[42:43]
	v_mul_f64 v[76:77], v[76:77], v[84:85]
	v_fmac_f64_e32 v[80:81], v[82:83], v[40:41]
	v_fmac_f64_e32 v[76:77], v[78:79], v[40:41]
	v_add_f64 v[26:27], v[26:27], -v[80:81]
	s_waitcnt vmcnt(0)
	v_add_f64 v[44:45], v[44:45], -v[42:43]
	v_add_f64 v[46:47], v[46:47], -v[76:77]
	v_mov_b64_e32 v[42:43], v[84:85]
.LBB23_64:
	s_or_b64 exec, exec, s[2:3]
	v_cmp_eq_u32_e32 vcc, 7, v122
	s_waitcnt lgkmcnt(0)
	s_barrier
	s_and_saveexec_b64 s[4:5], vcc
	s_cbranch_execz .LBB23_71
; %bb.65:
	s_waitcnt vmcnt(4)
	ds_write2_b64 v123, v[36:37], v[38:39] offset1:1
	s_waitcnt vmcnt(3)
	ds_write2_b64 v124, v[32:33], v[34:35] offset0:16 offset1:17
	s_waitcnt vmcnt(2)
	ds_write2_b64 v124, v[28:29], v[30:31] offset0:18 offset1:19
	;; [unrolled: 2-line block ×4, first 2 shown]
	ds_read2_b64 v[76:79], v123 offset1:1
	s_waitcnt lgkmcnt(0)
	v_cmp_neq_f64_e32 vcc, 0, v[76:77]
	v_cmp_neq_f64_e64 s[2:3], 0, v[78:79]
	s_or_b64 s[2:3], vcc, s[2:3]
	s_and_b64 exec, exec, s[2:3]
	s_cbranch_execz .LBB23_71
; %bb.66:
	v_cmp_ngt_f64_e64 s[2:3], |v[76:77]|, |v[78:79]|
                                        ; implicit-def: $vgpr80_vgpr81
	s_and_saveexec_b64 s[8:9], s[2:3]
	s_xor_b64 s[2:3], exec, s[8:9]
                                        ; implicit-def: $vgpr82_vgpr83
	s_cbranch_execz .LBB23_68
; %bb.67:
	v_div_scale_f64 v[80:81], s[8:9], v[78:79], v[78:79], v[76:77]
	v_rcp_f64_e32 v[82:83], v[80:81]
	v_div_scale_f64 v[84:85], vcc, v[76:77], v[78:79], v[76:77]
	v_fma_f64 v[86:87], -v[80:81], v[82:83], 1.0
	v_fmac_f64_e32 v[82:83], v[82:83], v[86:87]
	v_fma_f64 v[86:87], -v[80:81], v[82:83], 1.0
	v_fmac_f64_e32 v[82:83], v[82:83], v[86:87]
	v_mul_f64 v[86:87], v[84:85], v[82:83]
	v_fma_f64 v[80:81], -v[80:81], v[86:87], v[84:85]
	v_div_fmas_f64 v[80:81], v[80:81], v[82:83], v[86:87]
	v_div_fixup_f64 v[80:81], v[80:81], v[78:79], v[76:77]
	v_fmac_f64_e32 v[78:79], v[76:77], v[80:81]
	v_div_scale_f64 v[76:77], s[8:9], v[78:79], v[78:79], 1.0
	v_rcp_f64_e32 v[82:83], v[76:77]
	s_nop 0
	v_fma_f64 v[84:85], -v[76:77], v[82:83], 1.0
	v_fmac_f64_e32 v[82:83], v[82:83], v[84:85]
	v_fma_f64 v[84:85], -v[76:77], v[82:83], 1.0
	v_fmac_f64_e32 v[82:83], v[82:83], v[84:85]
	v_div_scale_f64 v[84:85], vcc, 1.0, v[78:79], 1.0
	v_mul_f64 v[86:87], v[84:85], v[82:83]
	v_fma_f64 v[76:77], -v[76:77], v[86:87], v[84:85]
	s_nop 1
	v_div_fmas_f64 v[76:77], v[76:77], v[82:83], v[86:87]
	v_div_fixup_f64 v[82:83], v[76:77], v[78:79], 1.0
	v_mul_f64 v[80:81], v[80:81], v[82:83]
	v_xor_b32_e32 v83, 0x80000000, v83
                                        ; implicit-def: $vgpr76_vgpr77
.LBB23_68:
	s_andn2_saveexec_b64 s[2:3], s[2:3]
	s_cbranch_execz .LBB23_70
; %bb.69:
	v_div_scale_f64 v[80:81], s[8:9], v[76:77], v[76:77], v[78:79]
	v_rcp_f64_e32 v[82:83], v[80:81]
	v_div_scale_f64 v[84:85], vcc, v[78:79], v[76:77], v[78:79]
	v_fma_f64 v[86:87], -v[80:81], v[82:83], 1.0
	v_fmac_f64_e32 v[82:83], v[82:83], v[86:87]
	v_fma_f64 v[86:87], -v[80:81], v[82:83], 1.0
	v_fmac_f64_e32 v[82:83], v[82:83], v[86:87]
	v_mul_f64 v[86:87], v[84:85], v[82:83]
	v_fma_f64 v[80:81], -v[80:81], v[86:87], v[84:85]
	v_div_fmas_f64 v[80:81], v[80:81], v[82:83], v[86:87]
	v_div_fixup_f64 v[82:83], v[80:81], v[76:77], v[78:79]
	v_fmac_f64_e32 v[76:77], v[78:79], v[82:83]
	v_div_scale_f64 v[78:79], s[8:9], v[76:77], v[76:77], 1.0
	v_rcp_f64_e32 v[80:81], v[78:79]
	s_nop 0
	v_fma_f64 v[84:85], -v[78:79], v[80:81], 1.0
	v_fmac_f64_e32 v[80:81], v[80:81], v[84:85]
	v_fma_f64 v[84:85], -v[78:79], v[80:81], 1.0
	v_fmac_f64_e32 v[80:81], v[80:81], v[84:85]
	v_div_scale_f64 v[84:85], vcc, 1.0, v[76:77], 1.0
	v_mul_f64 v[86:87], v[84:85], v[80:81]
	v_fma_f64 v[78:79], -v[78:79], v[86:87], v[84:85]
	s_nop 1
	v_div_fmas_f64 v[78:79], v[78:79], v[80:81], v[86:87]
	v_div_fixup_f64 v[80:81], v[78:79], v[76:77], 1.0
	v_mul_f64 v[82:83], v[82:83], -v[80:81]
.LBB23_70:
	s_or_b64 exec, exec, s[2:3]
	ds_write2_b64 v123, v[80:81], v[82:83] offset1:1
.LBB23_71:
	s_or_b64 exec, exec, s[4:5]
	s_waitcnt lgkmcnt(0)
	s_barrier
	ds_read2_b64 v[76:79], v123 offset1:1
	v_cmp_lt_u32_e32 vcc, 7, v122
	s_and_saveexec_b64 s[2:3], vcc
	s_cbranch_execz .LBB23_73
; %bb.72:
	ds_read2_b64 v[80:83], v124 offset0:16 offset1:17
	ds_read2_b64 v[84:87], v124 offset0:18 offset1:19
	s_waitcnt vmcnt(4) lgkmcnt(2)
	v_mul_f64 v[88:89], v[76:77], v[38:39]
	v_fmac_f64_e32 v[88:89], v[78:79], v[36:37]
	v_mul_f64 v[38:39], v[78:79], v[38:39]
	v_fma_f64 v[36:37], v[76:77], v[36:37], -v[38:39]
	s_waitcnt lgkmcnt(1)
	v_mul_f64 v[38:39], v[82:83], v[88:89]
	v_fma_f64 v[38:39], v[80:81], v[36:37], -v[38:39]
	v_mul_f64 v[80:81], v[80:81], v[88:89]
	v_fmac_f64_e32 v[80:81], v[82:83], v[36:37]
	s_waitcnt vmcnt(3)
	v_add_f64 v[32:33], v[32:33], -v[38:39]
	v_add_f64 v[34:35], v[34:35], -v[80:81]
	s_waitcnt lgkmcnt(0)
	v_mul_f64 v[38:39], v[86:87], v[88:89]
	ds_read2_b64 v[80:83], v124 offset0:20 offset1:21
	v_fma_f64 v[38:39], v[84:85], v[36:37], -v[38:39]
	v_mul_f64 v[84:85], v[84:85], v[88:89]
	v_fmac_f64_e32 v[84:85], v[86:87], v[36:37]
	s_waitcnt vmcnt(2)
	v_add_f64 v[30:31], v[30:31], -v[84:85]
	ds_read2_b64 v[84:87], v124 offset0:22 offset1:23
	v_add_f64 v[28:29], v[28:29], -v[38:39]
	s_waitcnt lgkmcnt(1)
	v_mul_f64 v[38:39], v[82:83], v[88:89]
	v_fma_f64 v[38:39], v[80:81], v[36:37], -v[38:39]
	v_mul_f64 v[80:81], v[80:81], v[88:89]
	v_fmac_f64_e32 v[80:81], v[82:83], v[36:37]
	s_waitcnt vmcnt(1)
	v_add_f64 v[24:25], v[24:25], -v[38:39]
	v_add_f64 v[26:27], v[26:27], -v[80:81]
	s_waitcnt lgkmcnt(0)
	v_mul_f64 v[38:39], v[86:87], v[88:89]
	v_mul_f64 v[80:81], v[84:85], v[88:89]
	v_fma_f64 v[38:39], v[84:85], v[36:37], -v[38:39]
	v_fmac_f64_e32 v[80:81], v[86:87], v[36:37]
	s_waitcnt vmcnt(0)
	v_add_f64 v[44:45], v[44:45], -v[38:39]
	v_add_f64 v[46:47], v[46:47], -v[80:81]
	v_mov_b64_e32 v[38:39], v[88:89]
.LBB23_73:
	s_or_b64 exec, exec, s[2:3]
	v_cmp_eq_u32_e32 vcc, 8, v122
	s_waitcnt lgkmcnt(0)
	s_barrier
	s_and_saveexec_b64 s[4:5], vcc
	s_cbranch_execz .LBB23_80
; %bb.74:
	s_waitcnt vmcnt(3)
	ds_write2_b64 v123, v[32:33], v[34:35] offset1:1
	s_waitcnt vmcnt(2)
	ds_write2_b64 v124, v[28:29], v[30:31] offset0:18 offset1:19
	s_waitcnt vmcnt(1)
	ds_write2_b64 v124, v[24:25], v[26:27] offset0:20 offset1:21
	;; [unrolled: 2-line block ×3, first 2 shown]
	ds_read2_b64 v[80:83], v123 offset1:1
	s_waitcnt lgkmcnt(0)
	v_cmp_neq_f64_e32 vcc, 0, v[80:81]
	v_cmp_neq_f64_e64 s[2:3], 0, v[82:83]
	s_or_b64 s[2:3], vcc, s[2:3]
	s_and_b64 exec, exec, s[2:3]
	s_cbranch_execz .LBB23_80
; %bb.75:
	v_cmp_ngt_f64_e64 s[2:3], |v[80:81]|, |v[82:83]|
                                        ; implicit-def: $vgpr84_vgpr85
	s_and_saveexec_b64 s[8:9], s[2:3]
	s_xor_b64 s[2:3], exec, s[8:9]
                                        ; implicit-def: $vgpr86_vgpr87
	s_cbranch_execz .LBB23_77
; %bb.76:
	v_div_scale_f64 v[84:85], s[8:9], v[82:83], v[82:83], v[80:81]
	v_rcp_f64_e32 v[86:87], v[84:85]
	v_div_scale_f64 v[88:89], vcc, v[80:81], v[82:83], v[80:81]
	v_fma_f64 v[90:91], -v[84:85], v[86:87], 1.0
	v_fmac_f64_e32 v[86:87], v[86:87], v[90:91]
	v_fma_f64 v[90:91], -v[84:85], v[86:87], 1.0
	v_fmac_f64_e32 v[86:87], v[86:87], v[90:91]
	v_mul_f64 v[90:91], v[88:89], v[86:87]
	v_fma_f64 v[84:85], -v[84:85], v[90:91], v[88:89]
	v_div_fmas_f64 v[84:85], v[84:85], v[86:87], v[90:91]
	v_div_fixup_f64 v[84:85], v[84:85], v[82:83], v[80:81]
	v_fmac_f64_e32 v[82:83], v[80:81], v[84:85]
	v_div_scale_f64 v[80:81], s[8:9], v[82:83], v[82:83], 1.0
	v_rcp_f64_e32 v[86:87], v[80:81]
	s_nop 0
	v_fma_f64 v[88:89], -v[80:81], v[86:87], 1.0
	v_fmac_f64_e32 v[86:87], v[86:87], v[88:89]
	v_fma_f64 v[88:89], -v[80:81], v[86:87], 1.0
	v_fmac_f64_e32 v[86:87], v[86:87], v[88:89]
	v_div_scale_f64 v[88:89], vcc, 1.0, v[82:83], 1.0
	v_mul_f64 v[90:91], v[88:89], v[86:87]
	v_fma_f64 v[80:81], -v[80:81], v[90:91], v[88:89]
	s_nop 1
	v_div_fmas_f64 v[80:81], v[80:81], v[86:87], v[90:91]
	v_div_fixup_f64 v[86:87], v[80:81], v[82:83], 1.0
	v_mul_f64 v[84:85], v[84:85], v[86:87]
	v_xor_b32_e32 v87, 0x80000000, v87
                                        ; implicit-def: $vgpr80_vgpr81
.LBB23_77:
	s_andn2_saveexec_b64 s[2:3], s[2:3]
	s_cbranch_execz .LBB23_79
; %bb.78:
	v_div_scale_f64 v[84:85], s[8:9], v[80:81], v[80:81], v[82:83]
	v_rcp_f64_e32 v[86:87], v[84:85]
	v_div_scale_f64 v[88:89], vcc, v[82:83], v[80:81], v[82:83]
	v_fma_f64 v[90:91], -v[84:85], v[86:87], 1.0
	v_fmac_f64_e32 v[86:87], v[86:87], v[90:91]
	v_fma_f64 v[90:91], -v[84:85], v[86:87], 1.0
	v_fmac_f64_e32 v[86:87], v[86:87], v[90:91]
	v_mul_f64 v[90:91], v[88:89], v[86:87]
	v_fma_f64 v[84:85], -v[84:85], v[90:91], v[88:89]
	v_div_fmas_f64 v[84:85], v[84:85], v[86:87], v[90:91]
	v_div_fixup_f64 v[86:87], v[84:85], v[80:81], v[82:83]
	v_fmac_f64_e32 v[80:81], v[82:83], v[86:87]
	v_div_scale_f64 v[82:83], s[8:9], v[80:81], v[80:81], 1.0
	v_rcp_f64_e32 v[84:85], v[82:83]
	s_nop 0
	v_fma_f64 v[88:89], -v[82:83], v[84:85], 1.0
	v_fmac_f64_e32 v[84:85], v[84:85], v[88:89]
	v_fma_f64 v[88:89], -v[82:83], v[84:85], 1.0
	v_fmac_f64_e32 v[84:85], v[84:85], v[88:89]
	v_div_scale_f64 v[88:89], vcc, 1.0, v[80:81], 1.0
	v_mul_f64 v[90:91], v[88:89], v[84:85]
	v_fma_f64 v[82:83], -v[82:83], v[90:91], v[88:89]
	s_nop 1
	v_div_fmas_f64 v[82:83], v[82:83], v[84:85], v[90:91]
	v_div_fixup_f64 v[84:85], v[82:83], v[80:81], 1.0
	v_mul_f64 v[86:87], v[86:87], -v[84:85]
.LBB23_79:
	s_or_b64 exec, exec, s[2:3]
	ds_write2_b64 v123, v[84:85], v[86:87] offset1:1
.LBB23_80:
	s_or_b64 exec, exec, s[4:5]
	s_waitcnt lgkmcnt(0)
	s_barrier
	ds_read2_b64 v[80:83], v123 offset1:1
	v_cmp_lt_u32_e32 vcc, 8, v122
	s_and_saveexec_b64 s[2:3], vcc
	s_cbranch_execz .LBB23_82
; %bb.81:
	ds_read2_b64 v[84:87], v124 offset0:18 offset1:19
	ds_read2_b64 v[88:91], v124 offset0:20 offset1:21
	s_waitcnt vmcnt(3) lgkmcnt(2)
	v_mul_f64 v[92:93], v[80:81], v[34:35]
	v_fmac_f64_e32 v[92:93], v[82:83], v[32:33]
	v_mul_f64 v[34:35], v[82:83], v[34:35]
	v_fma_f64 v[32:33], v[80:81], v[32:33], -v[34:35]
	s_waitcnt lgkmcnt(1)
	v_mul_f64 v[34:35], v[86:87], v[92:93]
	v_fma_f64 v[34:35], v[84:85], v[32:33], -v[34:35]
	v_mul_f64 v[84:85], v[84:85], v[92:93]
	v_fmac_f64_e32 v[84:85], v[86:87], v[32:33]
	s_waitcnt vmcnt(2)
	v_add_f64 v[30:31], v[30:31], -v[84:85]
	ds_read2_b64 v[84:87], v124 offset0:22 offset1:23
	v_add_f64 v[28:29], v[28:29], -v[34:35]
	s_waitcnt lgkmcnt(1)
	v_mul_f64 v[34:35], v[90:91], v[92:93]
	v_fma_f64 v[34:35], v[88:89], v[32:33], -v[34:35]
	s_waitcnt vmcnt(1)
	v_add_f64 v[24:25], v[24:25], -v[34:35]
	s_waitcnt lgkmcnt(0)
	v_mul_f64 v[34:35], v[86:87], v[92:93]
	v_mul_f64 v[88:89], v[88:89], v[92:93]
	v_fma_f64 v[34:35], v[84:85], v[32:33], -v[34:35]
	v_mul_f64 v[84:85], v[84:85], v[92:93]
	v_fmac_f64_e32 v[88:89], v[90:91], v[32:33]
	v_fmac_f64_e32 v[84:85], v[86:87], v[32:33]
	v_add_f64 v[26:27], v[26:27], -v[88:89]
	s_waitcnt vmcnt(0)
	v_add_f64 v[44:45], v[44:45], -v[34:35]
	v_add_f64 v[46:47], v[46:47], -v[84:85]
	v_mov_b64_e32 v[34:35], v[92:93]
.LBB23_82:
	s_or_b64 exec, exec, s[2:3]
	v_cmp_eq_u32_e32 vcc, 9, v122
	s_waitcnt lgkmcnt(0)
	s_barrier
	s_and_saveexec_b64 s[4:5], vcc
	s_cbranch_execz .LBB23_89
; %bb.83:
	s_waitcnt vmcnt(2)
	ds_write2_b64 v123, v[28:29], v[30:31] offset1:1
	s_waitcnt vmcnt(1)
	ds_write2_b64 v124, v[24:25], v[26:27] offset0:20 offset1:21
	s_waitcnt vmcnt(0)
	ds_write2_b64 v124, v[44:45], v[46:47] offset0:22 offset1:23
	ds_read2_b64 v[84:87], v123 offset1:1
	s_waitcnt lgkmcnt(0)
	v_cmp_neq_f64_e32 vcc, 0, v[84:85]
	v_cmp_neq_f64_e64 s[2:3], 0, v[86:87]
	s_or_b64 s[2:3], vcc, s[2:3]
	s_and_b64 exec, exec, s[2:3]
	s_cbranch_execz .LBB23_89
; %bb.84:
	v_cmp_ngt_f64_e64 s[2:3], |v[84:85]|, |v[86:87]|
                                        ; implicit-def: $vgpr88_vgpr89
	s_and_saveexec_b64 s[8:9], s[2:3]
	s_xor_b64 s[2:3], exec, s[8:9]
                                        ; implicit-def: $vgpr90_vgpr91
	s_cbranch_execz .LBB23_86
; %bb.85:
	v_div_scale_f64 v[88:89], s[8:9], v[86:87], v[86:87], v[84:85]
	v_rcp_f64_e32 v[90:91], v[88:89]
	v_div_scale_f64 v[92:93], vcc, v[84:85], v[86:87], v[84:85]
	v_fma_f64 v[94:95], -v[88:89], v[90:91], 1.0
	v_fmac_f64_e32 v[90:91], v[90:91], v[94:95]
	v_fma_f64 v[94:95], -v[88:89], v[90:91], 1.0
	v_fmac_f64_e32 v[90:91], v[90:91], v[94:95]
	v_mul_f64 v[94:95], v[92:93], v[90:91]
	v_fma_f64 v[88:89], -v[88:89], v[94:95], v[92:93]
	v_div_fmas_f64 v[88:89], v[88:89], v[90:91], v[94:95]
	v_div_fixup_f64 v[88:89], v[88:89], v[86:87], v[84:85]
	v_fmac_f64_e32 v[86:87], v[84:85], v[88:89]
	v_div_scale_f64 v[84:85], s[8:9], v[86:87], v[86:87], 1.0
	v_rcp_f64_e32 v[90:91], v[84:85]
	s_nop 0
	v_fma_f64 v[92:93], -v[84:85], v[90:91], 1.0
	v_fmac_f64_e32 v[90:91], v[90:91], v[92:93]
	v_fma_f64 v[92:93], -v[84:85], v[90:91], 1.0
	v_fmac_f64_e32 v[90:91], v[90:91], v[92:93]
	v_div_scale_f64 v[92:93], vcc, 1.0, v[86:87], 1.0
	v_mul_f64 v[94:95], v[92:93], v[90:91]
	v_fma_f64 v[84:85], -v[84:85], v[94:95], v[92:93]
	s_nop 1
	v_div_fmas_f64 v[84:85], v[84:85], v[90:91], v[94:95]
	v_div_fixup_f64 v[90:91], v[84:85], v[86:87], 1.0
	v_mul_f64 v[88:89], v[88:89], v[90:91]
	v_xor_b32_e32 v91, 0x80000000, v91
                                        ; implicit-def: $vgpr84_vgpr85
.LBB23_86:
	s_andn2_saveexec_b64 s[2:3], s[2:3]
	s_cbranch_execz .LBB23_88
; %bb.87:
	v_div_scale_f64 v[88:89], s[8:9], v[84:85], v[84:85], v[86:87]
	v_rcp_f64_e32 v[90:91], v[88:89]
	v_div_scale_f64 v[92:93], vcc, v[86:87], v[84:85], v[86:87]
	v_fma_f64 v[94:95], -v[88:89], v[90:91], 1.0
	v_fmac_f64_e32 v[90:91], v[90:91], v[94:95]
	v_fma_f64 v[94:95], -v[88:89], v[90:91], 1.0
	v_fmac_f64_e32 v[90:91], v[90:91], v[94:95]
	v_mul_f64 v[94:95], v[92:93], v[90:91]
	v_fma_f64 v[88:89], -v[88:89], v[94:95], v[92:93]
	v_div_fmas_f64 v[88:89], v[88:89], v[90:91], v[94:95]
	v_div_fixup_f64 v[90:91], v[88:89], v[84:85], v[86:87]
	v_fmac_f64_e32 v[84:85], v[86:87], v[90:91]
	v_div_scale_f64 v[86:87], s[8:9], v[84:85], v[84:85], 1.0
	v_rcp_f64_e32 v[88:89], v[86:87]
	s_nop 0
	v_fma_f64 v[92:93], -v[86:87], v[88:89], 1.0
	v_fmac_f64_e32 v[88:89], v[88:89], v[92:93]
	v_fma_f64 v[92:93], -v[86:87], v[88:89], 1.0
	v_fmac_f64_e32 v[88:89], v[88:89], v[92:93]
	v_div_scale_f64 v[92:93], vcc, 1.0, v[84:85], 1.0
	v_mul_f64 v[94:95], v[92:93], v[88:89]
	v_fma_f64 v[86:87], -v[86:87], v[94:95], v[92:93]
	s_nop 1
	v_div_fmas_f64 v[86:87], v[86:87], v[88:89], v[94:95]
	v_div_fixup_f64 v[88:89], v[86:87], v[84:85], 1.0
	v_mul_f64 v[90:91], v[90:91], -v[88:89]
.LBB23_88:
	s_or_b64 exec, exec, s[2:3]
	ds_write2_b64 v123, v[88:89], v[90:91] offset1:1
.LBB23_89:
	s_or_b64 exec, exec, s[4:5]
	s_waitcnt lgkmcnt(0)
	s_barrier
	ds_read2_b64 v[84:87], v123 offset1:1
	v_cmp_lt_u32_e32 vcc, 9, v122
	s_and_saveexec_b64 s[2:3], vcc
	s_cbranch_execz .LBB23_91
; %bb.90:
	ds_read2_b64 v[88:91], v124 offset0:20 offset1:21
	s_waitcnt vmcnt(2) lgkmcnt(1)
	v_mul_f64 v[92:93], v[84:85], v[30:31]
	v_fmac_f64_e32 v[92:93], v[86:87], v[28:29]
	v_mul_f64 v[30:31], v[86:87], v[30:31]
	v_fma_f64 v[28:29], v[84:85], v[28:29], -v[30:31]
	s_waitcnt lgkmcnt(0)
	v_mul_f64 v[30:31], v[90:91], v[92:93]
	v_fma_f64 v[30:31], v[88:89], v[28:29], -v[30:31]
	v_mul_f64 v[88:89], v[88:89], v[92:93]
	v_fmac_f64_e32 v[88:89], v[90:91], v[28:29]
	s_waitcnt vmcnt(1)
	v_add_f64 v[26:27], v[26:27], -v[88:89]
	ds_read2_b64 v[88:91], v124 offset0:22 offset1:23
	v_add_f64 v[24:25], v[24:25], -v[30:31]
	s_waitcnt lgkmcnt(0)
	v_mul_f64 v[30:31], v[90:91], v[92:93]
	v_fma_f64 v[30:31], v[88:89], v[28:29], -v[30:31]
	v_mul_f64 v[88:89], v[88:89], v[92:93]
	v_fmac_f64_e32 v[88:89], v[90:91], v[28:29]
	s_waitcnt vmcnt(0)
	v_add_f64 v[44:45], v[44:45], -v[30:31]
	v_add_f64 v[46:47], v[46:47], -v[88:89]
	v_mov_b64_e32 v[30:31], v[92:93]
.LBB23_91:
	s_or_b64 exec, exec, s[2:3]
	v_cmp_eq_u32_e32 vcc, 10, v122
	s_waitcnt lgkmcnt(0)
	s_barrier
	s_and_saveexec_b64 s[4:5], vcc
	s_cbranch_execz .LBB23_98
; %bb.92:
	s_waitcnt vmcnt(1)
	ds_write2_b64 v123, v[24:25], v[26:27] offset1:1
	s_waitcnt vmcnt(0)
	ds_write2_b64 v124, v[44:45], v[46:47] offset0:22 offset1:23
	ds_read2_b64 v[88:91], v123 offset1:1
	s_waitcnt lgkmcnt(0)
	v_cmp_neq_f64_e32 vcc, 0, v[88:89]
	v_cmp_neq_f64_e64 s[2:3], 0, v[90:91]
	s_or_b64 s[2:3], vcc, s[2:3]
	s_and_b64 exec, exec, s[2:3]
	s_cbranch_execz .LBB23_98
; %bb.93:
	v_cmp_ngt_f64_e64 s[2:3], |v[88:89]|, |v[90:91]|
                                        ; implicit-def: $vgpr92_vgpr93
	s_and_saveexec_b64 s[8:9], s[2:3]
	s_xor_b64 s[2:3], exec, s[8:9]
                                        ; implicit-def: $vgpr94_vgpr95
	s_cbranch_execz .LBB23_95
; %bb.94:
	v_div_scale_f64 v[92:93], s[8:9], v[90:91], v[90:91], v[88:89]
	v_rcp_f64_e32 v[94:95], v[92:93]
	v_div_scale_f64 v[126:127], vcc, v[88:89], v[90:91], v[88:89]
	v_fma_f64 v[128:129], -v[92:93], v[94:95], 1.0
	v_fmac_f64_e32 v[94:95], v[94:95], v[128:129]
	v_fma_f64 v[128:129], -v[92:93], v[94:95], 1.0
	v_fmac_f64_e32 v[94:95], v[94:95], v[128:129]
	v_mul_f64 v[128:129], v[126:127], v[94:95]
	v_fma_f64 v[92:93], -v[92:93], v[128:129], v[126:127]
	v_div_fmas_f64 v[92:93], v[92:93], v[94:95], v[128:129]
	v_div_fixup_f64 v[92:93], v[92:93], v[90:91], v[88:89]
	v_fmac_f64_e32 v[90:91], v[88:89], v[92:93]
	v_div_scale_f64 v[88:89], s[8:9], v[90:91], v[90:91], 1.0
	v_rcp_f64_e32 v[94:95], v[88:89]
	s_nop 0
	v_fma_f64 v[126:127], -v[88:89], v[94:95], 1.0
	v_fmac_f64_e32 v[94:95], v[94:95], v[126:127]
	v_fma_f64 v[126:127], -v[88:89], v[94:95], 1.0
	v_fmac_f64_e32 v[94:95], v[94:95], v[126:127]
	v_div_scale_f64 v[126:127], vcc, 1.0, v[90:91], 1.0
	v_mul_f64 v[128:129], v[126:127], v[94:95]
	v_fma_f64 v[88:89], -v[88:89], v[128:129], v[126:127]
	s_nop 1
	v_div_fmas_f64 v[88:89], v[88:89], v[94:95], v[128:129]
	v_div_fixup_f64 v[94:95], v[88:89], v[90:91], 1.0
	v_mul_f64 v[92:93], v[92:93], v[94:95]
	v_xor_b32_e32 v95, 0x80000000, v95
                                        ; implicit-def: $vgpr88_vgpr89
.LBB23_95:
	s_andn2_saveexec_b64 s[2:3], s[2:3]
	s_cbranch_execz .LBB23_97
; %bb.96:
	v_div_scale_f64 v[92:93], s[8:9], v[88:89], v[88:89], v[90:91]
	v_rcp_f64_e32 v[94:95], v[92:93]
	v_div_scale_f64 v[126:127], vcc, v[90:91], v[88:89], v[90:91]
	v_fma_f64 v[128:129], -v[92:93], v[94:95], 1.0
	v_fmac_f64_e32 v[94:95], v[94:95], v[128:129]
	v_fma_f64 v[128:129], -v[92:93], v[94:95], 1.0
	v_fmac_f64_e32 v[94:95], v[94:95], v[128:129]
	v_mul_f64 v[128:129], v[126:127], v[94:95]
	v_fma_f64 v[92:93], -v[92:93], v[128:129], v[126:127]
	v_div_fmas_f64 v[92:93], v[92:93], v[94:95], v[128:129]
	v_div_fixup_f64 v[94:95], v[92:93], v[88:89], v[90:91]
	v_fmac_f64_e32 v[88:89], v[90:91], v[94:95]
	v_div_scale_f64 v[90:91], s[8:9], v[88:89], v[88:89], 1.0
	v_rcp_f64_e32 v[92:93], v[90:91]
	s_nop 0
	v_fma_f64 v[126:127], -v[90:91], v[92:93], 1.0
	v_fmac_f64_e32 v[92:93], v[92:93], v[126:127]
	v_fma_f64 v[126:127], -v[90:91], v[92:93], 1.0
	v_fmac_f64_e32 v[92:93], v[92:93], v[126:127]
	v_div_scale_f64 v[126:127], vcc, 1.0, v[88:89], 1.0
	v_mul_f64 v[128:129], v[126:127], v[92:93]
	v_fma_f64 v[90:91], -v[90:91], v[128:129], v[126:127]
	s_nop 1
	v_div_fmas_f64 v[90:91], v[90:91], v[92:93], v[128:129]
	v_div_fixup_f64 v[92:93], v[90:91], v[88:89], 1.0
	v_mul_f64 v[94:95], v[94:95], -v[92:93]
.LBB23_97:
	s_or_b64 exec, exec, s[2:3]
	ds_write2_b64 v123, v[92:93], v[94:95] offset1:1
.LBB23_98:
	s_or_b64 exec, exec, s[4:5]
	s_waitcnt lgkmcnt(0)
	s_barrier
	ds_read2_b64 v[88:91], v123 offset1:1
	v_cmp_lt_u32_e32 vcc, 10, v122
	s_and_saveexec_b64 s[2:3], vcc
	s_cbranch_execz .LBB23_100
; %bb.99:
	ds_read2_b64 v[92:95], v124 offset0:22 offset1:23
	s_waitcnt vmcnt(1) lgkmcnt(1)
	v_mul_f64 v[124:125], v[88:89], v[26:27]
	v_mul_f64 v[26:27], v[90:91], v[26:27]
	v_fmac_f64_e32 v[124:125], v[90:91], v[24:25]
	v_fma_f64 v[24:25], v[88:89], v[24:25], -v[26:27]
	s_waitcnt lgkmcnt(0)
	v_mul_f64 v[26:27], v[94:95], v[124:125]
	v_fma_f64 v[26:27], v[92:93], v[24:25], -v[26:27]
	v_mul_f64 v[92:93], v[92:93], v[124:125]
	v_fmac_f64_e32 v[92:93], v[94:95], v[24:25]
	s_waitcnt vmcnt(0)
	v_add_f64 v[44:45], v[44:45], -v[26:27]
	v_add_f64 v[46:47], v[46:47], -v[92:93]
	v_mov_b64_e32 v[26:27], v[124:125]
.LBB23_100:
	s_or_b64 exec, exec, s[2:3]
	v_cmp_eq_u32_e32 vcc, 11, v122
	s_waitcnt lgkmcnt(0)
	s_barrier
	s_and_saveexec_b64 s[4:5], vcc
	s_cbranch_execz .LBB23_107
; %bb.101:
	s_waitcnt vmcnt(0)
	v_cmp_neq_f64_e32 vcc, 0, v[44:45]
	v_cmp_neq_f64_e64 s[2:3], 0, v[46:47]
	s_or_b64 s[2:3], vcc, s[2:3]
	ds_write2_b64 v123, v[44:45], v[46:47] offset1:1
	s_and_b64 exec, exec, s[2:3]
	s_cbranch_execz .LBB23_107
; %bb.102:
	v_cmp_ngt_f64_e64 s[2:3], |v[44:45]|, |v[46:47]|
                                        ; implicit-def: $vgpr92_vgpr93
	s_and_saveexec_b64 s[8:9], s[2:3]
	s_xor_b64 s[2:3], exec, s[8:9]
                                        ; implicit-def: $vgpr94_vgpr95
	s_cbranch_execz .LBB23_104
; %bb.103:
	v_div_scale_f64 v[92:93], s[8:9], v[46:47], v[46:47], v[44:45]
	v_rcp_f64_e32 v[94:95], v[92:93]
	v_div_scale_f64 v[124:125], vcc, v[44:45], v[46:47], v[44:45]
	v_fma_f64 v[126:127], -v[92:93], v[94:95], 1.0
	v_fmac_f64_e32 v[94:95], v[94:95], v[126:127]
	v_fma_f64 v[126:127], -v[92:93], v[94:95], 1.0
	v_fmac_f64_e32 v[94:95], v[94:95], v[126:127]
	v_mul_f64 v[126:127], v[124:125], v[94:95]
	v_fma_f64 v[92:93], -v[92:93], v[126:127], v[124:125]
	v_div_fmas_f64 v[92:93], v[92:93], v[94:95], v[126:127]
	v_div_fixup_f64 v[92:93], v[92:93], v[46:47], v[44:45]
	v_fma_f64 v[94:95], v[44:45], v[92:93], v[46:47]
	v_div_scale_f64 v[124:125], s[8:9], v[94:95], v[94:95], 1.0
	v_rcp_f64_e32 v[126:127], v[124:125]
	s_nop 0
	v_fma_f64 v[128:129], -v[124:125], v[126:127], 1.0
	v_fmac_f64_e32 v[126:127], v[126:127], v[128:129]
	v_fma_f64 v[128:129], -v[124:125], v[126:127], 1.0
	v_fmac_f64_e32 v[126:127], v[126:127], v[128:129]
	v_div_scale_f64 v[128:129], vcc, 1.0, v[94:95], 1.0
	v_mul_f64 v[130:131], v[128:129], v[126:127]
	v_fma_f64 v[124:125], -v[124:125], v[130:131], v[128:129]
	s_nop 1
	v_div_fmas_f64 v[124:125], v[124:125], v[126:127], v[130:131]
	v_div_fixup_f64 v[94:95], v[124:125], v[94:95], 1.0
	v_mul_f64 v[92:93], v[92:93], v[94:95]
	v_xor_b32_e32 v95, 0x80000000, v95
.LBB23_104:
	s_andn2_saveexec_b64 s[2:3], s[2:3]
	s_cbranch_execz .LBB23_106
; %bb.105:
	v_div_scale_f64 v[92:93], s[8:9], v[44:45], v[44:45], v[46:47]
	v_rcp_f64_e32 v[94:95], v[92:93]
	v_div_scale_f64 v[124:125], vcc, v[46:47], v[44:45], v[46:47]
	v_fma_f64 v[126:127], -v[92:93], v[94:95], 1.0
	v_fmac_f64_e32 v[94:95], v[94:95], v[126:127]
	v_fma_f64 v[126:127], -v[92:93], v[94:95], 1.0
	v_fmac_f64_e32 v[94:95], v[94:95], v[126:127]
	v_mul_f64 v[126:127], v[124:125], v[94:95]
	v_fma_f64 v[92:93], -v[92:93], v[126:127], v[124:125]
	v_div_fmas_f64 v[92:93], v[92:93], v[94:95], v[126:127]
	v_div_fixup_f64 v[94:95], v[92:93], v[44:45], v[46:47]
	v_fma_f64 v[92:93], v[46:47], v[94:95], v[44:45]
	v_div_scale_f64 v[124:125], s[8:9], v[92:93], v[92:93], 1.0
	v_rcp_f64_e32 v[126:127], v[124:125]
	s_nop 0
	v_fma_f64 v[128:129], -v[124:125], v[126:127], 1.0
	v_fmac_f64_e32 v[126:127], v[126:127], v[128:129]
	v_fma_f64 v[128:129], -v[124:125], v[126:127], 1.0
	v_fmac_f64_e32 v[126:127], v[126:127], v[128:129]
	v_div_scale_f64 v[128:129], vcc, 1.0, v[92:93], 1.0
	v_mul_f64 v[130:131], v[128:129], v[126:127]
	v_fma_f64 v[124:125], -v[124:125], v[130:131], v[128:129]
	s_nop 1
	v_div_fmas_f64 v[124:125], v[124:125], v[126:127], v[130:131]
	v_div_fixup_f64 v[92:93], v[124:125], v[92:93], 1.0
	v_mul_f64 v[94:95], v[94:95], -v[92:93]
.LBB23_106:
	s_or_b64 exec, exec, s[2:3]
	ds_write2_b64 v123, v[92:93], v[94:95] offset1:1
.LBB23_107:
	s_or_b64 exec, exec, s[4:5]
	s_waitcnt lgkmcnt(0)
	s_barrier
	ds_read2_b64 v[92:95], v123 offset1:1
	s_waitcnt lgkmcnt(0)
	s_barrier
	s_and_saveexec_b64 s[50:51], s[0:1]
	s_cbranch_execz .LBB23_110
; %bb.108:
	v_mov_b32_e32 v124, s6
	v_mov_b32_e32 v125, s7
	v_lshl_add_u64 v[114:115], v[114:115], 2, v[124:125]
	global_load_dword v123, v[114:115], off
	v_cmp_eq_f64_e32 vcc, 0, v[48:49]
	v_cmp_eq_f64_e64 s[0:1], 0, v[50:51]
	v_cmp_neq_f64_e64 s[2:3], 0, v[52:53]
	v_cmp_neq_f64_e64 s[4:5], 0, v[54:55]
	s_and_b64 s[0:1], vcc, s[0:1]
	s_or_b64 s[2:3], s[2:3], s[4:5]
	v_cndmask_b32_e64 v48, 0, 1, s[0:1]
	s_or_b64 vcc, s[2:3], s[0:1]
	v_cmp_eq_f64_e64 s[6:7], 0, v[56:57]
	v_cmp_eq_f64_e64 s[8:9], 0, v[58:59]
	v_cndmask_b32_e32 v48, 2, v48, vcc
	s_and_b64 s[4:5], s[6:7], s[8:9]
	v_cmp_eq_u32_e32 vcc, 0, v48
	s_and_b64 s[0:1], s[4:5], vcc
	v_cmp_eq_f64_e64 s[10:11], 0, v[60:61]
	v_cmp_eq_f64_e64 s[12:13], 0, v[62:63]
	v_cndmask_b32_e64 v48, v48, 3, s[0:1]
	s_and_b64 s[6:7], s[10:11], s[12:13]
	v_cmp_eq_u32_e32 vcc, 0, v48
	s_and_b64 s[0:1], s[6:7], vcc
	v_cmp_eq_f64_e64 s[14:15], 0, v[64:65]
	v_cmp_eq_f64_e64 s[16:17], 0, v[66:67]
	v_cndmask_b32_e64 v48, v48, 4, s[0:1]
	;; [unrolled: 6-line block ×9, first 2 shown]
	s_and_b64 s[22:23], s[44:45], s[46:47]
	v_cmp_eq_u32_e32 vcc, 0, v48
	s_and_b64 s[0:1], s[22:23], vcc
	v_cndmask_b32_e64 v48, v48, 12, s[0:1]
	v_cmp_ne_u32_e64 s[0:1], 0, v48
	s_waitcnt vmcnt(0)
	v_cmp_eq_u32_e32 vcc, 0, v123
	s_and_b64 s[0:1], vcc, s[0:1]
	s_and_b64 exec, exec, s[0:1]
	s_cbranch_execz .LBB23_110
; %bb.109:
	v_add_u32_e32 v48, s49, v48
	global_store_dword v[114:115], v48, off
.LBB23_110:
	s_or_b64 exec, exec, s[50:51]
	s_waitcnt vmcnt(0)
	v_mul_f64 v[48:49], v[94:95], v[46:47]
	v_mul_f64 v[50:51], v[92:93], v[46:47]
	v_fma_f64 v[48:49], v[92:93], v[44:45], -v[48:49]
	v_fmac_f64_e32 v[50:51], v[94:95], v[44:45]
	v_cmp_lt_u32_e32 vcc, 11, v122
	s_nop 1
	v_cndmask_b32_e32 v47, v47, v51, vcc
	v_cndmask_b32_e32 v46, v46, v50, vcc
	;; [unrolled: 1-line block ×4, first 2 shown]
	global_store_dwordx4 v[96:97], v[4:7], off
	global_store_dwordx4 v[98:99], v[0:3], off
	;; [unrolled: 1-line block ×12, first 2 shown]
.LBB23_111:
	s_endpgm
	.section	.rodata,"a",@progbits
	.p2align	6, 0x0
	.amdhsa_kernel _ZN9rocsolver6v33100L23getf2_npvt_small_kernelILi12E19rocblas_complex_numIdEiiPS3_EEvT1_T3_lS5_lPT2_S5_S5_
		.amdhsa_group_segment_fixed_size 0
		.amdhsa_private_segment_fixed_size 0
		.amdhsa_kernarg_size 312
		.amdhsa_user_sgpr_count 2
		.amdhsa_user_sgpr_dispatch_ptr 0
		.amdhsa_user_sgpr_queue_ptr 0
		.amdhsa_user_sgpr_kernarg_segment_ptr 1
		.amdhsa_user_sgpr_dispatch_id 0
		.amdhsa_user_sgpr_kernarg_preload_length 0
		.amdhsa_user_sgpr_kernarg_preload_offset 0
		.amdhsa_user_sgpr_private_segment_size 0
		.amdhsa_uses_dynamic_stack 0
		.amdhsa_enable_private_segment 0
		.amdhsa_system_sgpr_workgroup_id_x 1
		.amdhsa_system_sgpr_workgroup_id_y 1
		.amdhsa_system_sgpr_workgroup_id_z 0
		.amdhsa_system_sgpr_workgroup_info 0
		.amdhsa_system_vgpr_workitem_id 1
		.amdhsa_next_free_vgpr 132
		.amdhsa_next_free_sgpr 52
		.amdhsa_accum_offset 132
		.amdhsa_reserve_vcc 1
		.amdhsa_float_round_mode_32 0
		.amdhsa_float_round_mode_16_64 0
		.amdhsa_float_denorm_mode_32 3
		.amdhsa_float_denorm_mode_16_64 3
		.amdhsa_dx10_clamp 1
		.amdhsa_ieee_mode 1
		.amdhsa_fp16_overflow 0
		.amdhsa_tg_split 0
		.amdhsa_exception_fp_ieee_invalid_op 0
		.amdhsa_exception_fp_denorm_src 0
		.amdhsa_exception_fp_ieee_div_zero 0
		.amdhsa_exception_fp_ieee_overflow 0
		.amdhsa_exception_fp_ieee_underflow 0
		.amdhsa_exception_fp_ieee_inexact 0
		.amdhsa_exception_int_div_zero 0
	.end_amdhsa_kernel
	.section	.text._ZN9rocsolver6v33100L23getf2_npvt_small_kernelILi12E19rocblas_complex_numIdEiiPS3_EEvT1_T3_lS5_lPT2_S5_S5_,"axG",@progbits,_ZN9rocsolver6v33100L23getf2_npvt_small_kernelILi12E19rocblas_complex_numIdEiiPS3_EEvT1_T3_lS5_lPT2_S5_S5_,comdat
.Lfunc_end23:
	.size	_ZN9rocsolver6v33100L23getf2_npvt_small_kernelILi12E19rocblas_complex_numIdEiiPS3_EEvT1_T3_lS5_lPT2_S5_S5_, .Lfunc_end23-_ZN9rocsolver6v33100L23getf2_npvt_small_kernelILi12E19rocblas_complex_numIdEiiPS3_EEvT1_T3_lS5_lPT2_S5_S5_
                                        ; -- End function
	.set _ZN9rocsolver6v33100L23getf2_npvt_small_kernelILi12E19rocblas_complex_numIdEiiPS3_EEvT1_T3_lS5_lPT2_S5_S5_.num_vgpr, 132
	.set _ZN9rocsolver6v33100L23getf2_npvt_small_kernelILi12E19rocblas_complex_numIdEiiPS3_EEvT1_T3_lS5_lPT2_S5_S5_.num_agpr, 0
	.set _ZN9rocsolver6v33100L23getf2_npvt_small_kernelILi12E19rocblas_complex_numIdEiiPS3_EEvT1_T3_lS5_lPT2_S5_S5_.numbered_sgpr, 52
	.set _ZN9rocsolver6v33100L23getf2_npvt_small_kernelILi12E19rocblas_complex_numIdEiiPS3_EEvT1_T3_lS5_lPT2_S5_S5_.num_named_barrier, 0
	.set _ZN9rocsolver6v33100L23getf2_npvt_small_kernelILi12E19rocblas_complex_numIdEiiPS3_EEvT1_T3_lS5_lPT2_S5_S5_.private_seg_size, 0
	.set _ZN9rocsolver6v33100L23getf2_npvt_small_kernelILi12E19rocblas_complex_numIdEiiPS3_EEvT1_T3_lS5_lPT2_S5_S5_.uses_vcc, 1
	.set _ZN9rocsolver6v33100L23getf2_npvt_small_kernelILi12E19rocblas_complex_numIdEiiPS3_EEvT1_T3_lS5_lPT2_S5_S5_.uses_flat_scratch, 0
	.set _ZN9rocsolver6v33100L23getf2_npvt_small_kernelILi12E19rocblas_complex_numIdEiiPS3_EEvT1_T3_lS5_lPT2_S5_S5_.has_dyn_sized_stack, 0
	.set _ZN9rocsolver6v33100L23getf2_npvt_small_kernelILi12E19rocblas_complex_numIdEiiPS3_EEvT1_T3_lS5_lPT2_S5_S5_.has_recursion, 0
	.set _ZN9rocsolver6v33100L23getf2_npvt_small_kernelILi12E19rocblas_complex_numIdEiiPS3_EEvT1_T3_lS5_lPT2_S5_S5_.has_indirect_call, 0
	.section	.AMDGPU.csdata,"",@progbits
; Kernel info:
; codeLenInByte = 12196
; TotalNumSgprs: 58
; NumVgprs: 132
; NumAgprs: 0
; TotalNumVgprs: 132
; ScratchSize: 0
; MemoryBound: 0
; FloatMode: 240
; IeeeMode: 1
; LDSByteSize: 0 bytes/workgroup (compile time only)
; SGPRBlocks: 7
; VGPRBlocks: 16
; NumSGPRsForWavesPerEU: 58
; NumVGPRsForWavesPerEU: 132
; AccumOffset: 132
; Occupancy: 3
; WaveLimiterHint : 0
; COMPUTE_PGM_RSRC2:SCRATCH_EN: 0
; COMPUTE_PGM_RSRC2:USER_SGPR: 2
; COMPUTE_PGM_RSRC2:TRAP_HANDLER: 0
; COMPUTE_PGM_RSRC2:TGID_X_EN: 1
; COMPUTE_PGM_RSRC2:TGID_Y_EN: 1
; COMPUTE_PGM_RSRC2:TGID_Z_EN: 0
; COMPUTE_PGM_RSRC2:TIDIG_COMP_CNT: 1
; COMPUTE_PGM_RSRC3_GFX90A:ACCUM_OFFSET: 32
; COMPUTE_PGM_RSRC3_GFX90A:TG_SPLIT: 0
	.section	.text._ZN9rocsolver6v33100L18getf2_small_kernelILi13E19rocblas_complex_numIdEiiPS3_EEvT1_T3_lS5_lPS5_llPT2_S5_S5_S7_l,"axG",@progbits,_ZN9rocsolver6v33100L18getf2_small_kernelILi13E19rocblas_complex_numIdEiiPS3_EEvT1_T3_lS5_lPS5_llPT2_S5_S5_S7_l,comdat
	.globl	_ZN9rocsolver6v33100L18getf2_small_kernelILi13E19rocblas_complex_numIdEiiPS3_EEvT1_T3_lS5_lPS5_llPT2_S5_S5_S7_l ; -- Begin function _ZN9rocsolver6v33100L18getf2_small_kernelILi13E19rocblas_complex_numIdEiiPS3_EEvT1_T3_lS5_lPS5_llPT2_S5_S5_S7_l
	.p2align	8
	.type	_ZN9rocsolver6v33100L18getf2_small_kernelILi13E19rocblas_complex_numIdEiiPS3_EEvT1_T3_lS5_lPS5_llPT2_S5_S5_S7_l,@function
_ZN9rocsolver6v33100L18getf2_small_kernelILi13E19rocblas_complex_numIdEiiPS3_EEvT1_T3_lS5_lPS5_llPT2_S5_S5_S7_l: ; @_ZN9rocsolver6v33100L18getf2_small_kernelILi13E19rocblas_complex_numIdEiiPS3_EEvT1_T3_lS5_lPS5_llPT2_S5_S5_S7_l
; %bb.0:
	s_load_dword s2, s[0:1], 0x6c
	s_load_dwordx2 s[12:13], s[0:1], 0x48
	v_bfe_u32 v52, v0, 10, 10
	s_waitcnt lgkmcnt(0)
	s_lshr_b32 s2, s2, 16
	s_mul_i32 s3, s3, s2
	v_add_u32_e32 v58, s3, v52
	v_cmp_gt_i32_e32 vcc, s12, v58
	s_and_saveexec_b64 s[2:3], vcc
	s_cbranch_execz .LBB24_274
; %bb.1:
	s_load_dwordx4 s[4:7], s[0:1], 0x50
	v_ashrrev_i32_e32 v59, 31, v58
	v_mov_b64_e32 v[60:61], 0
	s_waitcnt lgkmcnt(0)
	s_cmp_eq_u64 s[4:5], 0
	s_cselect_b64 s[14:15], -1, 0
	s_and_b64 vcc, exec, s[14:15]
	s_cbranch_vccnz .LBB24_3
; %bb.2:
	v_mul_lo_u32 v1, s7, v58
	v_mul_lo_u32 v4, s6, v59
	v_mad_u64_u32 v[2:3], s[2:3], s6, v58, 0
	v_add3_u32 v3, v3, v4, v1
	v_lshl_add_u64 v[60:61], v[2:3], 2, s[4:5]
.LBB24_3:
	s_load_dwordx4 s[16:19], s[0:1], 0x8
	s_load_dwordx8 s[4:11], s[0:1], 0x20
	s_load_dword s2, s[0:1], 0x18
	s_load_dword s20, s[0:1], 0x0
	v_and_b32_e32 v66, 0x3ff, v0
	s_waitcnt lgkmcnt(0)
	v_mov_b32_e32 v2, s16
	v_mul_lo_u32 v1, s5, v58
	v_mul_lo_u32 v6, s4, v59
	v_mad_u64_u32 v[4:5], s[4:5], s4, v58, 0
	v_mov_b32_e32 v3, s17
	v_add3_u32 v5, v5, v6, v1
	v_lshl_add_u64 v[2:3], v[4:5], 4, v[2:3]
	s_add_i32 s12, s2, s2
	v_lshl_add_u64 v[56:57], s[18:19], 4, v[2:3]
	v_add_u32_e32 v2, s12, v66
	v_add_u32_e32 v4, s2, v2
	v_ashrrev_i32_e32 v3, 31, v2
	v_ashrrev_i32_e32 v5, 31, v4
	v_add_u32_e32 v6, s2, v4
	v_lshl_add_u64 v[2:3], v[2:3], 4, v[56:57]
	v_lshl_add_u64 v[4:5], v[4:5], 4, v[56:57]
	v_add_u32_e32 v8, s2, v6
	v_lshlrev_b32_e32 v62, 4, v66
	v_mov_b32_e32 v63, 0
	v_ashrrev_i32_e32 v7, 31, v6
	global_load_dwordx4 v[36:39], v[2:3], off
	global_load_dwordx4 v[28:31], v[4:5], off
	v_add_u32_e32 v4, s2, v8
	v_lshl_add_u64 v[0:1], v[56:57], 0, v[62:63]
	s_ashr_i32 s3, s2, 31
	v_lshl_add_u64 v[2:3], v[6:7], 4, v[56:57]
	v_ashrrev_i32_e32 v9, 31, v8
	v_add_u32_e32 v6, s2, v4
	v_lshl_add_u64 v[10:11], s[2:3], 4, v[0:1]
	global_load_dwordx4 v[44:47], v[0:1], off
	global_load_dwordx4 v[40:43], v[10:11], off
	v_lshl_add_u64 v[0:1], v[8:9], 4, v[56:57]
	v_ashrrev_i32_e32 v5, 31, v4
	global_load_dwordx4 v[32:35], v[2:3], off
	global_load_dwordx4 v[24:27], v[0:1], off
	v_ashrrev_i32_e32 v7, 31, v6
	v_add_u32_e32 v2, s2, v6
	v_lshl_add_u64 v[0:1], v[4:5], 4, v[56:57]
	v_lshl_add_u64 v[4:5], v[6:7], 4, v[56:57]
	v_ashrrev_i32_e32 v3, 31, v2
	v_add_u32_e32 v6, s2, v2
	global_load_dwordx4 v[20:23], v[0:1], off
	global_load_dwordx4 v[16:19], v[4:5], off
	v_lshl_add_u64 v[0:1], v[2:3], 4, v[56:57]
	v_ashrrev_i32_e32 v7, 31, v6
	v_add_u32_e32 v2, s2, v6
	v_lshl_add_u64 v[4:5], v[6:7], 4, v[56:57]
	v_add_u32_e32 v6, s2, v2
	v_ashrrev_i32_e32 v3, 31, v2
	v_add_u32_e32 v50, s2, v6
	v_lshl_add_u64 v[48:49], v[2:3], 4, v[56:57]
	v_ashrrev_i32_e32 v7, 31, v6
	v_ashrrev_i32_e32 v51, 31, v50
	global_load_dwordx4 v[12:15], v[0:1], off
	global_load_dwordx4 v[8:11], v[4:5], off
	v_lshl_add_u64 v[54:55], v[6:7], 4, v[56:57]
	global_load_dwordx4 v[4:7], v[48:49], off
	global_load_dwordx4 v[0:3], v[54:55], off
	v_lshl_add_u64 v[48:49], v[50:51], 4, v[56:57]
	global_load_dwordx4 v[48:51], v[48:49], off
	s_load_dwordx2 s[4:5], s[0:1], 0x40
	s_max_i32 s0, s20, 13
	v_mul_lo_u32 v65, s0, v52
	v_lshl_add_u32 v64, v65, 4, 0
	v_add_u32_e32 v52, v64, v62
	s_cmp_lt_i32 s20, 2
	v_lshlrev_b32_e32 v65, 4, v65
	s_waitcnt vmcnt(10)
	ds_write2_b64 v52, v[44:45], v[46:47] offset1:1
	s_waitcnt lgkmcnt(0)
	s_barrier
	ds_read2_b64 v[52:55], v64 offset1:1
	s_cbranch_scc1 .LBB24_6
; %bb.4:
	v_add3_u32 v62, v65, 0, 16
	s_mov_b32 s16, 1
	v_mov_b32_e32 v63, 0
.LBB24_5:                               ; =>This Inner Loop Header: Depth=1
	ds_read2_b64 v[68:71], v62 offset1:1
	s_waitcnt lgkmcnt(1)
	v_xor_b32_e32 v67, 0x80000000, v53
	v_xor_b32_e32 v75, 0x80000000, v55
	v_cmp_gt_f64_e32 vcc, 0, v[54:55]
	v_cmp_gt_f64_e64 s[0:1], 0, v[52:53]
	v_mov_b32_e32 v72, v52
	v_mov_b32_e32 v74, v54
	v_cndmask_b32_e64 v73, v53, v67, s[0:1]
	v_cndmask_b32_e32 v75, v55, v75, vcc
	s_waitcnt lgkmcnt(0)
	v_xor_b32_e32 v67, 0x80000000, v69
	v_xor_b32_e32 v77, 0x80000000, v71
	v_cmp_gt_f64_e32 vcc, 0, v[70:71]
	v_cmp_gt_f64_e64 s[0:1], 0, v[68:69]
	v_add_f64 v[72:73], v[72:73], v[74:75]
	v_mov_b32_e32 v74, v68
	v_mov_b32_e32 v76, v70
	v_cndmask_b32_e64 v75, v69, v67, s[0:1]
	v_cndmask_b32_e32 v77, v71, v77, vcc
	v_add_f64 v[74:75], v[74:75], v[76:77]
	v_mov_b32_e32 v78, s16
	s_add_i32 s16, s16, 1
	v_cmp_lt_f64_e32 vcc, v[72:73], v[74:75]
	v_add_u32_e32 v62, 16, v62
	s_cmp_eq_u32 s20, s16
	v_cndmask_b32_e32 v53, v53, v69, vcc
	v_cndmask_b32_e32 v52, v52, v68, vcc
	;; [unrolled: 1-line block ×5, first 2 shown]
	s_cbranch_scc0 .LBB24_5
.LBB24_6:
	s_waitcnt lgkmcnt(0)
	v_cmp_neq_f64_e32 vcc, 0, v[52:53]
	v_cmp_neq_f64_e64 s[0:1], 0, v[54:55]
	s_or_b64 s[16:17], vcc, s[0:1]
	v_mov_b32_e32 v67, 1
	v_mov_b32_e32 v68, 1
	s_and_saveexec_b64 s[0:1], s[16:17]
	s_cbranch_execz .LBB24_12
; %bb.7:
	v_cmp_ngt_f64_e64 s[16:17], |v[52:53]|, |v[54:55]|
	s_and_saveexec_b64 s[18:19], s[16:17]
	s_xor_b64 s[16:17], exec, s[18:19]
	s_cbranch_execz .LBB24_9
; %bb.8:
	v_div_scale_f64 v[68:69], s[18:19], v[54:55], v[54:55], v[52:53]
	v_rcp_f64_e32 v[70:71], v[68:69]
	v_div_scale_f64 v[72:73], vcc, v[52:53], v[54:55], v[52:53]
	v_fma_f64 v[74:75], -v[68:69], v[70:71], 1.0
	v_fmac_f64_e32 v[70:71], v[70:71], v[74:75]
	v_fma_f64 v[74:75], -v[68:69], v[70:71], 1.0
	v_fmac_f64_e32 v[70:71], v[70:71], v[74:75]
	v_mul_f64 v[74:75], v[72:73], v[70:71]
	v_fma_f64 v[68:69], -v[68:69], v[74:75], v[72:73]
	v_div_fmas_f64 v[68:69], v[68:69], v[70:71], v[74:75]
	v_div_fixup_f64 v[68:69], v[68:69], v[54:55], v[52:53]
	v_fmac_f64_e32 v[54:55], v[52:53], v[68:69]
	v_div_scale_f64 v[52:53], s[18:19], v[54:55], v[54:55], 1.0
	v_rcp_f64_e32 v[70:71], v[52:53]
	s_nop 0
	v_fma_f64 v[72:73], -v[52:53], v[70:71], 1.0
	v_fmac_f64_e32 v[70:71], v[70:71], v[72:73]
	v_fma_f64 v[72:73], -v[52:53], v[70:71], 1.0
	v_fmac_f64_e32 v[70:71], v[70:71], v[72:73]
	v_div_scale_f64 v[72:73], vcc, 1.0, v[54:55], 1.0
	v_mul_f64 v[74:75], v[72:73], v[70:71]
	v_fma_f64 v[52:53], -v[52:53], v[74:75], v[72:73]
	s_nop 1
	v_div_fmas_f64 v[52:53], v[52:53], v[70:71], v[74:75]
	v_div_fixup_f64 v[54:55], v[52:53], v[54:55], 1.0
	v_mul_f64 v[52:53], v[68:69], v[54:55]
	v_xor_b32_e32 v55, 0x80000000, v55
.LBB24_9:
	s_andn2_saveexec_b64 s[16:17], s[16:17]
	s_cbranch_execz .LBB24_11
; %bb.10:
	v_div_scale_f64 v[68:69], s[18:19], v[52:53], v[52:53], v[54:55]
	v_rcp_f64_e32 v[70:71], v[68:69]
	v_div_scale_f64 v[72:73], vcc, v[54:55], v[52:53], v[54:55]
	v_fma_f64 v[74:75], -v[68:69], v[70:71], 1.0
	v_fmac_f64_e32 v[70:71], v[70:71], v[74:75]
	v_fma_f64 v[74:75], -v[68:69], v[70:71], 1.0
	v_fmac_f64_e32 v[70:71], v[70:71], v[74:75]
	v_mul_f64 v[74:75], v[72:73], v[70:71]
	v_fma_f64 v[68:69], -v[68:69], v[74:75], v[72:73]
	v_div_fmas_f64 v[68:69], v[68:69], v[70:71], v[74:75]
	v_div_fixup_f64 v[68:69], v[68:69], v[52:53], v[54:55]
	v_fmac_f64_e32 v[52:53], v[54:55], v[68:69]
	v_div_scale_f64 v[54:55], s[18:19], v[52:53], v[52:53], 1.0
	v_rcp_f64_e32 v[70:71], v[54:55]
	s_nop 0
	v_fma_f64 v[72:73], -v[54:55], v[70:71], 1.0
	v_fmac_f64_e32 v[70:71], v[70:71], v[72:73]
	v_fma_f64 v[72:73], -v[54:55], v[70:71], 1.0
	v_fmac_f64_e32 v[70:71], v[70:71], v[72:73]
	v_div_scale_f64 v[72:73], vcc, 1.0, v[52:53], 1.0
	v_mul_f64 v[74:75], v[72:73], v[70:71]
	v_fma_f64 v[54:55], -v[54:55], v[74:75], v[72:73]
	s_nop 1
	v_div_fmas_f64 v[54:55], v[54:55], v[70:71], v[74:75]
	v_div_fixup_f64 v[52:53], v[54:55], v[52:53], 1.0
	v_mul_f64 v[54:55], v[68:69], -v[52:53]
.LBB24_11:
	s_or_b64 exec, exec, s[16:17]
	v_mov_b32_e32 v68, 0
	v_mov_b32_e32 v67, 2
.LBB24_12:
	s_or_b64 exec, exec, s[0:1]
	v_cmp_ne_u32_e32 vcc, v66, v63
	s_and_saveexec_b64 s[0:1], vcc
	s_xor_b64 s[0:1], exec, s[0:1]
	s_cbranch_execz .LBB24_18
; %bb.13:
	v_cmp_eq_u32_e32 vcc, 0, v66
	s_and_saveexec_b64 s[16:17], vcc
	s_cbranch_execz .LBB24_17
; %bb.14:
	v_cmp_ne_u32_e32 vcc, 0, v63
	s_xor_b64 s[18:19], s[14:15], -1
	s_and_b64 s[22:23], s[18:19], vcc
	s_and_saveexec_b64 s[18:19], s[22:23]
	s_cbranch_execz .LBB24_16
; %bb.15:
	v_ashrrev_i32_e32 v71, 31, v63
	v_mov_b32_e32 v70, v63
	v_lshl_add_u64 v[70:71], v[70:71], 2, v[60:61]
	global_load_dword v62, v[70:71], off
	global_load_dword v66, v[60:61], off
	s_waitcnt vmcnt(1)
	global_store_dword v[60:61], v62, off
	s_waitcnt vmcnt(1)
	global_store_dword v[70:71], v66, off
.LBB24_16:
	s_or_b64 exec, exec, s[18:19]
	v_mov_b32_e32 v66, v63
.LBB24_17:
	s_or_b64 exec, exec, s[16:17]
.LBB24_18:
	s_or_saveexec_b64 s[0:1], s[0:1]
	v_mov_b32_e32 v63, v66
	s_xor_b64 exec, exec, s[0:1]
	s_cbranch_execz .LBB24_20
; %bb.19:
	v_mov_b32_e32 v63, 0
	s_waitcnt vmcnt(9)
	ds_write2_b64 v64, v[40:41], v[42:43] offset0:2 offset1:3
	ds_write2_b64 v64, v[36:37], v[38:39] offset0:4 offset1:5
	;; [unrolled: 1-line block ×3, first 2 shown]
	s_waitcnt vmcnt(8)
	ds_write2_b64 v64, v[32:33], v[34:35] offset0:8 offset1:9
	s_waitcnt vmcnt(7)
	ds_write2_b64 v64, v[24:25], v[26:27] offset0:10 offset1:11
	;; [unrolled: 2-line block ×9, first 2 shown]
.LBB24_20:
	s_or_b64 exec, exec, s[0:1]
	v_cmp_lt_i32_e32 vcc, 0, v63
	s_waitcnt lgkmcnt(0)
	s_barrier
	s_and_saveexec_b64 s[0:1], vcc
	s_cbranch_execz .LBB24_22
; %bb.21:
	ds_read2_b64 v[70:73], v64 offset0:2 offset1:3
	v_mul_f64 v[74:75], v[52:53], v[46:47]
	v_mul_f64 v[46:47], v[54:55], v[46:47]
	v_fmac_f64_e32 v[74:75], v[54:55], v[44:45]
	v_fma_f64 v[44:45], v[52:53], v[44:45], -v[46:47]
	ds_read2_b64 v[52:55], v64 offset0:4 offset1:5
	s_waitcnt lgkmcnt(1)
	v_mul_f64 v[46:47], v[72:73], v[74:75]
	v_fma_f64 v[46:47], v[70:71], v[44:45], -v[46:47]
	v_mul_f64 v[70:71], v[70:71], v[74:75]
	v_fmac_f64_e32 v[70:71], v[72:73], v[44:45]
	s_waitcnt vmcnt(9)
	v_add_f64 v[40:41], v[40:41], -v[46:47]
	s_waitcnt lgkmcnt(0)
	v_mul_f64 v[46:47], v[54:55], v[74:75]
	v_add_f64 v[42:43], v[42:43], -v[70:71]
	v_fma_f64 v[46:47], v[52:53], v[44:45], -v[46:47]
	v_mul_f64 v[52:53], v[52:53], v[74:75]
	ds_read2_b64 v[70:73], v64 offset0:6 offset1:7
	v_fmac_f64_e32 v[52:53], v[54:55], v[44:45]
	v_add_f64 v[38:39], v[38:39], -v[52:53]
	ds_read2_b64 v[52:55], v64 offset0:8 offset1:9
	v_add_f64 v[36:37], v[36:37], -v[46:47]
	s_waitcnt lgkmcnt(1)
	v_mul_f64 v[46:47], v[72:73], v[74:75]
	v_fma_f64 v[46:47], v[70:71], v[44:45], -v[46:47]
	v_mul_f64 v[70:71], v[70:71], v[74:75]
	v_fmac_f64_e32 v[70:71], v[72:73], v[44:45]
	v_add_f64 v[28:29], v[28:29], -v[46:47]
	s_waitcnt lgkmcnt(0)
	v_mul_f64 v[46:47], v[54:55], v[74:75]
	v_add_f64 v[30:31], v[30:31], -v[70:71]
	v_fma_f64 v[46:47], v[52:53], v[44:45], -v[46:47]
	v_mul_f64 v[52:53], v[52:53], v[74:75]
	ds_read2_b64 v[70:73], v64 offset0:10 offset1:11
	v_fmac_f64_e32 v[52:53], v[54:55], v[44:45]
	s_waitcnt vmcnt(8)
	v_add_f64 v[34:35], v[34:35], -v[52:53]
	ds_read2_b64 v[52:55], v64 offset0:12 offset1:13
	v_add_f64 v[32:33], v[32:33], -v[46:47]
	s_waitcnt lgkmcnt(1)
	v_mul_f64 v[46:47], v[72:73], v[74:75]
	v_fma_f64 v[46:47], v[70:71], v[44:45], -v[46:47]
	v_mul_f64 v[70:71], v[70:71], v[74:75]
	v_fmac_f64_e32 v[70:71], v[72:73], v[44:45]
	s_waitcnt vmcnt(7)
	v_add_f64 v[24:25], v[24:25], -v[46:47]
	s_waitcnt lgkmcnt(0)
	v_mul_f64 v[46:47], v[54:55], v[74:75]
	v_add_f64 v[26:27], v[26:27], -v[70:71]
	v_fma_f64 v[46:47], v[52:53], v[44:45], -v[46:47]
	v_mul_f64 v[52:53], v[52:53], v[74:75]
	ds_read2_b64 v[70:73], v64 offset0:14 offset1:15
	v_fmac_f64_e32 v[52:53], v[54:55], v[44:45]
	s_waitcnt vmcnt(6)
	v_add_f64 v[22:23], v[22:23], -v[52:53]
	ds_read2_b64 v[52:55], v64 offset0:16 offset1:17
	v_add_f64 v[20:21], v[20:21], -v[46:47]
	s_waitcnt lgkmcnt(1)
	v_mul_f64 v[46:47], v[72:73], v[74:75]
	v_fma_f64 v[46:47], v[70:71], v[44:45], -v[46:47]
	v_mul_f64 v[70:71], v[70:71], v[74:75]
	v_fmac_f64_e32 v[70:71], v[72:73], v[44:45]
	s_waitcnt vmcnt(5)
	;; [unrolled: 18-line block ×3, first 2 shown]
	v_add_f64 v[8:9], v[8:9], -v[46:47]
	s_waitcnt lgkmcnt(0)
	v_mul_f64 v[46:47], v[54:55], v[74:75]
	v_add_f64 v[10:11], v[10:11], -v[70:71]
	v_fma_f64 v[46:47], v[52:53], v[44:45], -v[46:47]
	v_mul_f64 v[52:53], v[52:53], v[74:75]
	ds_read2_b64 v[70:73], v64 offset0:22 offset1:23
	v_fmac_f64_e32 v[52:53], v[54:55], v[44:45]
	s_waitcnt vmcnt(2)
	v_add_f64 v[6:7], v[6:7], -v[52:53]
	ds_read2_b64 v[52:55], v64 offset0:24 offset1:25
	v_add_f64 v[4:5], v[4:5], -v[46:47]
	s_waitcnt lgkmcnt(1)
	v_mul_f64 v[46:47], v[72:73], v[74:75]
	v_fma_f64 v[46:47], v[70:71], v[44:45], -v[46:47]
	s_waitcnt vmcnt(1)
	v_add_f64 v[0:1], v[0:1], -v[46:47]
	s_waitcnt lgkmcnt(0)
	v_mul_f64 v[46:47], v[54:55], v[74:75]
	v_mul_f64 v[70:71], v[70:71], v[74:75]
	v_fma_f64 v[46:47], v[52:53], v[44:45], -v[46:47]
	v_mul_f64 v[52:53], v[52:53], v[74:75]
	v_fmac_f64_e32 v[70:71], v[72:73], v[44:45]
	v_fmac_f64_e32 v[52:53], v[54:55], v[44:45]
	v_add_f64 v[2:3], v[2:3], -v[70:71]
	s_waitcnt vmcnt(0)
	v_add_f64 v[48:49], v[48:49], -v[46:47]
	v_add_f64 v[50:51], v[50:51], -v[52:53]
	v_mov_b64_e32 v[46:47], v[74:75]
.LBB24_22:
	s_or_b64 exec, exec, s[0:1]
	v_lshl_add_u32 v52, v63, 4, v64
	s_barrier
	s_waitcnt vmcnt(9)
	ds_write2_b64 v52, v[40:41], v[42:43] offset1:1
	s_waitcnt lgkmcnt(0)
	s_barrier
	ds_read2_b64 v[52:55], v64 offset0:2 offset1:3
	s_cmp_lt_i32 s20, 3
	v_mov_b32_e32 v62, 1
	s_cbranch_scc1 .LBB24_25
; %bb.23:
	v_add3_u32 v69, v65, 0, 32
	s_mov_b32 s16, 2
	v_mov_b32_e32 v62, 1
.LBB24_24:                              ; =>This Inner Loop Header: Depth=1
	ds_read2_b64 v[70:73], v69 offset1:1
	s_waitcnt lgkmcnt(1)
	v_xor_b32_e32 v75, 0x80000000, v53
	v_xor_b32_e32 v77, 0x80000000, v55
	v_cmp_gt_f64_e32 vcc, 0, v[54:55]
	v_cmp_gt_f64_e64 s[0:1], 0, v[52:53]
	v_mov_b32_e32 v74, v52
	v_mov_b32_e32 v76, v54
	v_cndmask_b32_e64 v75, v53, v75, s[0:1]
	v_cndmask_b32_e32 v77, v55, v77, vcc
	v_add_f64 v[74:75], v[74:75], v[76:77]
	s_waitcnt lgkmcnt(0)
	v_xor_b32_e32 v77, 0x80000000, v71
	v_xor_b32_e32 v79, 0x80000000, v73
	v_cmp_gt_f64_e32 vcc, 0, v[72:73]
	v_cmp_gt_f64_e64 s[0:1], 0, v[70:71]
	v_mov_b32_e32 v76, v70
	v_mov_b32_e32 v78, v72
	v_cndmask_b32_e64 v77, v71, v77, s[0:1]
	v_cndmask_b32_e32 v79, v73, v79, vcc
	v_add_f64 v[76:77], v[76:77], v[78:79]
	v_mov_b32_e32 v80, s16
	s_add_i32 s16, s16, 1
	v_cmp_lt_f64_e32 vcc, v[74:75], v[76:77]
	v_add_u32_e32 v69, 16, v69
	s_cmp_lg_u32 s20, s16
	v_cndmask_b32_e32 v53, v53, v71, vcc
	v_cndmask_b32_e32 v52, v52, v70, vcc
	;; [unrolled: 1-line block ×5, first 2 shown]
	s_cbranch_scc1 .LBB24_24
.LBB24_25:
	s_waitcnt lgkmcnt(0)
	v_cmp_neq_f64_e32 vcc, 0, v[52:53]
	v_cmp_neq_f64_e64 s[0:1], 0, v[54:55]
	s_or_b64 s[16:17], vcc, s[0:1]
	s_and_saveexec_b64 s[0:1], s[16:17]
	s_cbranch_execz .LBB24_31
; %bb.26:
	v_cmp_ngt_f64_e64 s[16:17], |v[52:53]|, |v[54:55]|
	s_and_saveexec_b64 s[18:19], s[16:17]
	s_xor_b64 s[16:17], exec, s[18:19]
	s_cbranch_execz .LBB24_28
; %bb.27:
	v_div_scale_f64 v[70:71], s[18:19], v[54:55], v[54:55], v[52:53]
	v_rcp_f64_e32 v[72:73], v[70:71]
	v_div_scale_f64 v[74:75], vcc, v[52:53], v[54:55], v[52:53]
	v_fma_f64 v[76:77], -v[70:71], v[72:73], 1.0
	v_fmac_f64_e32 v[72:73], v[72:73], v[76:77]
	v_fma_f64 v[76:77], -v[70:71], v[72:73], 1.0
	v_fmac_f64_e32 v[72:73], v[72:73], v[76:77]
	v_mul_f64 v[76:77], v[74:75], v[72:73]
	v_fma_f64 v[70:71], -v[70:71], v[76:77], v[74:75]
	v_div_fmas_f64 v[70:71], v[70:71], v[72:73], v[76:77]
	v_div_fixup_f64 v[70:71], v[70:71], v[54:55], v[52:53]
	v_fmac_f64_e32 v[54:55], v[52:53], v[70:71]
	v_div_scale_f64 v[52:53], s[18:19], v[54:55], v[54:55], 1.0
	v_rcp_f64_e32 v[72:73], v[52:53]
	s_nop 0
	v_fma_f64 v[74:75], -v[52:53], v[72:73], 1.0
	v_fmac_f64_e32 v[72:73], v[72:73], v[74:75]
	v_fma_f64 v[74:75], -v[52:53], v[72:73], 1.0
	v_fmac_f64_e32 v[72:73], v[72:73], v[74:75]
	v_div_scale_f64 v[74:75], vcc, 1.0, v[54:55], 1.0
	v_mul_f64 v[76:77], v[74:75], v[72:73]
	v_fma_f64 v[52:53], -v[52:53], v[76:77], v[74:75]
	s_nop 1
	v_div_fmas_f64 v[52:53], v[52:53], v[72:73], v[76:77]
	v_div_fixup_f64 v[54:55], v[52:53], v[54:55], 1.0
	v_mul_f64 v[52:53], v[70:71], v[54:55]
	v_xor_b32_e32 v55, 0x80000000, v55
.LBB24_28:
	s_andn2_saveexec_b64 s[16:17], s[16:17]
	s_cbranch_execz .LBB24_30
; %bb.29:
	v_div_scale_f64 v[70:71], s[18:19], v[52:53], v[52:53], v[54:55]
	v_rcp_f64_e32 v[72:73], v[70:71]
	v_div_scale_f64 v[74:75], vcc, v[54:55], v[52:53], v[54:55]
	v_fma_f64 v[76:77], -v[70:71], v[72:73], 1.0
	v_fmac_f64_e32 v[72:73], v[72:73], v[76:77]
	v_fma_f64 v[76:77], -v[70:71], v[72:73], 1.0
	v_fmac_f64_e32 v[72:73], v[72:73], v[76:77]
	v_mul_f64 v[76:77], v[74:75], v[72:73]
	v_fma_f64 v[70:71], -v[70:71], v[76:77], v[74:75]
	v_div_fmas_f64 v[70:71], v[70:71], v[72:73], v[76:77]
	v_div_fixup_f64 v[70:71], v[70:71], v[52:53], v[54:55]
	v_fmac_f64_e32 v[52:53], v[54:55], v[70:71]
	v_div_scale_f64 v[54:55], s[18:19], v[52:53], v[52:53], 1.0
	v_rcp_f64_e32 v[72:73], v[54:55]
	s_nop 0
	v_fma_f64 v[74:75], -v[54:55], v[72:73], 1.0
	v_fmac_f64_e32 v[72:73], v[72:73], v[74:75]
	v_fma_f64 v[74:75], -v[54:55], v[72:73], 1.0
	v_fmac_f64_e32 v[72:73], v[72:73], v[74:75]
	v_div_scale_f64 v[74:75], vcc, 1.0, v[52:53], 1.0
	v_mul_f64 v[76:77], v[74:75], v[72:73]
	v_fma_f64 v[54:55], -v[54:55], v[76:77], v[74:75]
	s_nop 1
	v_div_fmas_f64 v[54:55], v[54:55], v[72:73], v[76:77]
	v_div_fixup_f64 v[52:53], v[54:55], v[52:53], 1.0
	v_mul_f64 v[54:55], v[70:71], -v[52:53]
.LBB24_30:
	s_or_b64 exec, exec, s[16:17]
	v_mov_b32_e32 v67, v68
.LBB24_31:
	s_or_b64 exec, exec, s[0:1]
	v_cmp_ne_u32_e32 vcc, v63, v62
	s_and_saveexec_b64 s[0:1], vcc
	s_xor_b64 s[0:1], exec, s[0:1]
	s_cbranch_execz .LBB24_37
; %bb.32:
	v_cmp_eq_u32_e32 vcc, 1, v63
	s_and_saveexec_b64 s[16:17], vcc
	s_cbranch_execz .LBB24_36
; %bb.33:
	v_cmp_ne_u32_e32 vcc, 1, v62
	s_xor_b64 s[18:19], s[14:15], -1
	s_and_b64 s[22:23], s[18:19], vcc
	s_and_saveexec_b64 s[18:19], s[22:23]
	s_cbranch_execz .LBB24_35
; %bb.34:
	v_ashrrev_i32_e32 v63, 31, v62
	v_lshl_add_u64 v[68:69], v[62:63], 2, v[60:61]
	global_load_dword v63, v[68:69], off
	global_load_dword v66, v[60:61], off offset:4
	s_waitcnt vmcnt(1)
	global_store_dword v[60:61], v63, off offset:4
	s_waitcnt vmcnt(1)
	global_store_dword v[68:69], v66, off
.LBB24_35:
	s_or_b64 exec, exec, s[18:19]
	v_mov_b32_e32 v63, v62
	v_mov_b32_e32 v66, v62
.LBB24_36:
	s_or_b64 exec, exec, s[16:17]
.LBB24_37:
	s_andn2_saveexec_b64 s[0:1], s[0:1]
	s_cbranch_execz .LBB24_39
; %bb.38:
	v_mov_b32_e32 v63, 1
	ds_write2_b64 v64, v[36:37], v[38:39] offset0:4 offset1:5
	ds_write2_b64 v64, v[28:29], v[30:31] offset0:6 offset1:7
	s_waitcnt vmcnt(8)
	ds_write2_b64 v64, v[32:33], v[34:35] offset0:8 offset1:9
	s_waitcnt vmcnt(7)
	;; [unrolled: 2-line block ×9, first 2 shown]
	ds_write2_b64 v64, v[48:49], v[50:51] offset0:24 offset1:25
.LBB24_39:
	s_or_b64 exec, exec, s[0:1]
	v_cmp_lt_i32_e32 vcc, 1, v63
	s_waitcnt lgkmcnt(0)
	s_barrier
	s_and_saveexec_b64 s[0:1], vcc
	s_cbranch_execz .LBB24_41
; %bb.40:
	ds_read2_b64 v[68:71], v64 offset0:4 offset1:5
	v_mul_f64 v[72:73], v[52:53], v[42:43]
	v_fmac_f64_e32 v[72:73], v[54:55], v[40:41]
	v_mul_f64 v[42:43], v[54:55], v[42:43]
	v_fma_f64 v[40:41], v[52:53], v[40:41], -v[42:43]
	ds_read2_b64 v[52:55], v64 offset0:6 offset1:7
	s_waitcnt lgkmcnt(1)
	v_mul_f64 v[42:43], v[70:71], v[72:73]
	v_fma_f64 v[42:43], v[68:69], v[40:41], -v[42:43]
	v_mul_f64 v[68:69], v[68:69], v[72:73]
	v_fmac_f64_e32 v[68:69], v[70:71], v[40:41]
	v_add_f64 v[38:39], v[38:39], -v[68:69]
	ds_read2_b64 v[68:71], v64 offset0:8 offset1:9
	v_add_f64 v[36:37], v[36:37], -v[42:43]
	s_waitcnt lgkmcnt(1)
	v_mul_f64 v[42:43], v[54:55], v[72:73]
	v_fma_f64 v[42:43], v[52:53], v[40:41], -v[42:43]
	v_mul_f64 v[52:53], v[52:53], v[72:73]
	v_fmac_f64_e32 v[52:53], v[54:55], v[40:41]
	v_add_f64 v[28:29], v[28:29], -v[42:43]
	v_add_f64 v[30:31], v[30:31], -v[52:53]
	ds_read2_b64 v[52:55], v64 offset0:10 offset1:11
	s_waitcnt lgkmcnt(1)
	v_mul_f64 v[42:43], v[70:71], v[72:73]
	v_fma_f64 v[42:43], v[68:69], v[40:41], -v[42:43]
	v_mul_f64 v[68:69], v[68:69], v[72:73]
	v_fmac_f64_e32 v[68:69], v[70:71], v[40:41]
	s_waitcnt vmcnt(8)
	v_add_f64 v[34:35], v[34:35], -v[68:69]
	ds_read2_b64 v[68:71], v64 offset0:12 offset1:13
	v_add_f64 v[32:33], v[32:33], -v[42:43]
	s_waitcnt lgkmcnt(1)
	v_mul_f64 v[42:43], v[54:55], v[72:73]
	v_fma_f64 v[42:43], v[52:53], v[40:41], -v[42:43]
	v_mul_f64 v[52:53], v[52:53], v[72:73]
	v_fmac_f64_e32 v[52:53], v[54:55], v[40:41]
	s_waitcnt vmcnt(7)
	v_add_f64 v[24:25], v[24:25], -v[42:43]
	v_add_f64 v[26:27], v[26:27], -v[52:53]
	ds_read2_b64 v[52:55], v64 offset0:14 offset1:15
	s_waitcnt lgkmcnt(1)
	v_mul_f64 v[42:43], v[70:71], v[72:73]
	v_fma_f64 v[42:43], v[68:69], v[40:41], -v[42:43]
	v_mul_f64 v[68:69], v[68:69], v[72:73]
	v_fmac_f64_e32 v[68:69], v[70:71], v[40:41]
	s_waitcnt vmcnt(6)
	v_add_f64 v[22:23], v[22:23], -v[68:69]
	ds_read2_b64 v[68:71], v64 offset0:16 offset1:17
	v_add_f64 v[20:21], v[20:21], -v[42:43]
	s_waitcnt lgkmcnt(1)
	v_mul_f64 v[42:43], v[54:55], v[72:73]
	v_fma_f64 v[42:43], v[52:53], v[40:41], -v[42:43]
	v_mul_f64 v[52:53], v[52:53], v[72:73]
	v_fmac_f64_e32 v[52:53], v[54:55], v[40:41]
	s_waitcnt vmcnt(5)
	;; [unrolled: 18-line block ×4, first 2 shown]
	v_add_f64 v[0:1], v[0:1], -v[42:43]
	v_add_f64 v[2:3], v[2:3], -v[52:53]
	s_waitcnt lgkmcnt(0)
	v_mul_f64 v[42:43], v[70:71], v[72:73]
	v_mul_f64 v[52:53], v[68:69], v[72:73]
	v_fma_f64 v[42:43], v[68:69], v[40:41], -v[42:43]
	v_fmac_f64_e32 v[52:53], v[70:71], v[40:41]
	s_waitcnt vmcnt(0)
	v_add_f64 v[48:49], v[48:49], -v[42:43]
	v_add_f64 v[50:51], v[50:51], -v[52:53]
	v_mov_b64_e32 v[42:43], v[72:73]
.LBB24_41:
	s_or_b64 exec, exec, s[0:1]
	v_lshl_add_u32 v52, v63, 4, v64
	s_barrier
	ds_write2_b64 v52, v[36:37], v[38:39] offset1:1
	s_waitcnt lgkmcnt(0)
	s_barrier
	ds_read2_b64 v[52:55], v64 offset0:4 offset1:5
	s_cmp_lt_i32 s20, 4
	v_mov_b32_e32 v62, 2
	s_cbranch_scc1 .LBB24_44
; %bb.42:
	v_add3_u32 v68, v65, 0, 48
	s_mov_b32 s16, 3
	v_mov_b32_e32 v62, 2
.LBB24_43:                              ; =>This Inner Loop Header: Depth=1
	ds_read2_b64 v[70:73], v68 offset1:1
	s_waitcnt lgkmcnt(1)
	v_xor_b32_e32 v69, 0x80000000, v53
	v_xor_b32_e32 v77, 0x80000000, v55
	v_cmp_gt_f64_e32 vcc, 0, v[54:55]
	v_cmp_gt_f64_e64 s[0:1], 0, v[52:53]
	v_mov_b32_e32 v74, v52
	v_mov_b32_e32 v76, v54
	v_cndmask_b32_e64 v75, v53, v69, s[0:1]
	v_cndmask_b32_e32 v77, v55, v77, vcc
	s_waitcnt lgkmcnt(0)
	v_xor_b32_e32 v69, 0x80000000, v71
	v_xor_b32_e32 v79, 0x80000000, v73
	v_cmp_gt_f64_e32 vcc, 0, v[72:73]
	v_cmp_gt_f64_e64 s[0:1], 0, v[70:71]
	v_add_f64 v[74:75], v[74:75], v[76:77]
	v_mov_b32_e32 v76, v70
	v_mov_b32_e32 v78, v72
	v_cndmask_b32_e64 v77, v71, v69, s[0:1]
	v_cndmask_b32_e32 v79, v73, v79, vcc
	v_add_f64 v[76:77], v[76:77], v[78:79]
	v_mov_b32_e32 v80, s16
	s_add_i32 s16, s16, 1
	v_cmp_lt_f64_e32 vcc, v[74:75], v[76:77]
	v_add_u32_e32 v68, 16, v68
	s_cmp_lg_u32 s20, s16
	v_cndmask_b32_e32 v53, v53, v71, vcc
	v_cndmask_b32_e32 v52, v52, v70, vcc
	v_cndmask_b32_e32 v55, v55, v73, vcc
	v_cndmask_b32_e32 v54, v54, v72, vcc
	v_cndmask_b32_e32 v62, v62, v80, vcc
	s_cbranch_scc1 .LBB24_43
.LBB24_44:
	s_waitcnt lgkmcnt(0)
	v_cmp_eq_f64_e32 vcc, 0, v[52:53]
	v_cmp_eq_f64_e64 s[0:1], 0, v[54:55]
	s_and_b64 s[0:1], vcc, s[0:1]
	s_and_saveexec_b64 s[16:17], s[0:1]
	s_xor_b64 s[0:1], exec, s[16:17]
; %bb.45:
	v_cmp_ne_u32_e32 vcc, 0, v67
	s_nop 1
	v_cndmask_b32_e32 v67, 3, v67, vcc
; %bb.46:
	s_andn2_saveexec_b64 s[0:1], s[0:1]
	s_cbranch_execz .LBB24_52
; %bb.47:
	v_cmp_ngt_f64_e64 s[16:17], |v[52:53]|, |v[54:55]|
	s_and_saveexec_b64 s[18:19], s[16:17]
	s_xor_b64 s[16:17], exec, s[18:19]
	s_cbranch_execz .LBB24_49
; %bb.48:
	v_div_scale_f64 v[68:69], s[18:19], v[54:55], v[54:55], v[52:53]
	v_rcp_f64_e32 v[70:71], v[68:69]
	v_div_scale_f64 v[72:73], vcc, v[52:53], v[54:55], v[52:53]
	v_fma_f64 v[74:75], -v[68:69], v[70:71], 1.0
	v_fmac_f64_e32 v[70:71], v[70:71], v[74:75]
	v_fma_f64 v[74:75], -v[68:69], v[70:71], 1.0
	v_fmac_f64_e32 v[70:71], v[70:71], v[74:75]
	v_mul_f64 v[74:75], v[72:73], v[70:71]
	v_fma_f64 v[68:69], -v[68:69], v[74:75], v[72:73]
	v_div_fmas_f64 v[68:69], v[68:69], v[70:71], v[74:75]
	v_div_fixup_f64 v[68:69], v[68:69], v[54:55], v[52:53]
	v_fmac_f64_e32 v[54:55], v[52:53], v[68:69]
	v_div_scale_f64 v[52:53], s[18:19], v[54:55], v[54:55], 1.0
	v_rcp_f64_e32 v[70:71], v[52:53]
	s_nop 0
	v_fma_f64 v[72:73], -v[52:53], v[70:71], 1.0
	v_fmac_f64_e32 v[70:71], v[70:71], v[72:73]
	v_fma_f64 v[72:73], -v[52:53], v[70:71], 1.0
	v_fmac_f64_e32 v[70:71], v[70:71], v[72:73]
	v_div_scale_f64 v[72:73], vcc, 1.0, v[54:55], 1.0
	v_mul_f64 v[74:75], v[72:73], v[70:71]
	v_fma_f64 v[52:53], -v[52:53], v[74:75], v[72:73]
	s_nop 1
	v_div_fmas_f64 v[52:53], v[52:53], v[70:71], v[74:75]
	v_div_fixup_f64 v[54:55], v[52:53], v[54:55], 1.0
	v_mul_f64 v[52:53], v[68:69], v[54:55]
	v_xor_b32_e32 v55, 0x80000000, v55
.LBB24_49:
	s_andn2_saveexec_b64 s[16:17], s[16:17]
	s_cbranch_execz .LBB24_51
; %bb.50:
	v_div_scale_f64 v[68:69], s[18:19], v[52:53], v[52:53], v[54:55]
	v_rcp_f64_e32 v[70:71], v[68:69]
	v_div_scale_f64 v[72:73], vcc, v[54:55], v[52:53], v[54:55]
	v_fma_f64 v[74:75], -v[68:69], v[70:71], 1.0
	v_fmac_f64_e32 v[70:71], v[70:71], v[74:75]
	v_fma_f64 v[74:75], -v[68:69], v[70:71], 1.0
	v_fmac_f64_e32 v[70:71], v[70:71], v[74:75]
	v_mul_f64 v[74:75], v[72:73], v[70:71]
	v_fma_f64 v[68:69], -v[68:69], v[74:75], v[72:73]
	v_div_fmas_f64 v[68:69], v[68:69], v[70:71], v[74:75]
	v_div_fixup_f64 v[68:69], v[68:69], v[52:53], v[54:55]
	v_fmac_f64_e32 v[52:53], v[54:55], v[68:69]
	v_div_scale_f64 v[54:55], s[18:19], v[52:53], v[52:53], 1.0
	v_rcp_f64_e32 v[70:71], v[54:55]
	s_nop 0
	v_fma_f64 v[72:73], -v[54:55], v[70:71], 1.0
	v_fmac_f64_e32 v[70:71], v[70:71], v[72:73]
	v_fma_f64 v[72:73], -v[54:55], v[70:71], 1.0
	v_fmac_f64_e32 v[70:71], v[70:71], v[72:73]
	v_div_scale_f64 v[72:73], vcc, 1.0, v[52:53], 1.0
	v_mul_f64 v[74:75], v[72:73], v[70:71]
	v_fma_f64 v[54:55], -v[54:55], v[74:75], v[72:73]
	s_nop 1
	v_div_fmas_f64 v[54:55], v[54:55], v[70:71], v[74:75]
	v_div_fixup_f64 v[52:53], v[54:55], v[52:53], 1.0
	v_mul_f64 v[54:55], v[68:69], -v[52:53]
.LBB24_51:
	s_or_b64 exec, exec, s[16:17]
.LBB24_52:
	s_or_b64 exec, exec, s[0:1]
	v_cmp_ne_u32_e32 vcc, v63, v62
	s_and_saveexec_b64 s[0:1], vcc
	s_xor_b64 s[0:1], exec, s[0:1]
	s_cbranch_execz .LBB24_58
; %bb.53:
	v_cmp_eq_u32_e32 vcc, 2, v63
	s_and_saveexec_b64 s[16:17], vcc
	s_cbranch_execz .LBB24_57
; %bb.54:
	v_cmp_ne_u32_e32 vcc, 2, v62
	s_xor_b64 s[18:19], s[14:15], -1
	s_and_b64 s[22:23], s[18:19], vcc
	s_and_saveexec_b64 s[18:19], s[22:23]
	s_cbranch_execz .LBB24_56
; %bb.55:
	v_ashrrev_i32_e32 v63, 31, v62
	v_lshl_add_u64 v[68:69], v[62:63], 2, v[60:61]
	global_load_dword v63, v[68:69], off
	global_load_dword v66, v[60:61], off offset:8
	s_waitcnt vmcnt(1)
	global_store_dword v[60:61], v63, off offset:8
	s_waitcnt vmcnt(1)
	global_store_dword v[68:69], v66, off
.LBB24_56:
	s_or_b64 exec, exec, s[18:19]
	v_mov_b32_e32 v63, v62
	v_mov_b32_e32 v66, v62
.LBB24_57:
	s_or_b64 exec, exec, s[16:17]
.LBB24_58:
	s_andn2_saveexec_b64 s[0:1], s[0:1]
	s_cbranch_execz .LBB24_60
; %bb.59:
	v_mov_b32_e32 v63, 2
	ds_write2_b64 v64, v[28:29], v[30:31] offset0:6 offset1:7
	s_waitcnt vmcnt(8)
	ds_write2_b64 v64, v[32:33], v[34:35] offset0:8 offset1:9
	s_waitcnt vmcnt(7)
	;; [unrolled: 2-line block ×9, first 2 shown]
	ds_write2_b64 v64, v[48:49], v[50:51] offset0:24 offset1:25
.LBB24_60:
	s_or_b64 exec, exec, s[0:1]
	v_cmp_lt_i32_e32 vcc, 2, v63
	s_waitcnt lgkmcnt(0)
	s_barrier
	s_and_saveexec_b64 s[0:1], vcc
	s_cbranch_execz .LBB24_62
; %bb.61:
	ds_read2_b64 v[68:71], v64 offset0:6 offset1:7
	v_mul_f64 v[72:73], v[52:53], v[38:39]
	v_mul_f64 v[38:39], v[54:55], v[38:39]
	v_fmac_f64_e32 v[72:73], v[54:55], v[36:37]
	v_fma_f64 v[36:37], v[52:53], v[36:37], -v[38:39]
	ds_read2_b64 v[52:55], v64 offset0:8 offset1:9
	s_waitcnt lgkmcnt(1)
	v_mul_f64 v[38:39], v[70:71], v[72:73]
	v_fma_f64 v[38:39], v[68:69], v[36:37], -v[38:39]
	v_mul_f64 v[68:69], v[68:69], v[72:73]
	v_fmac_f64_e32 v[68:69], v[70:71], v[36:37]
	v_add_f64 v[28:29], v[28:29], -v[38:39]
	s_waitcnt lgkmcnt(0)
	v_mul_f64 v[38:39], v[54:55], v[72:73]
	v_add_f64 v[30:31], v[30:31], -v[68:69]
	v_fma_f64 v[38:39], v[52:53], v[36:37], -v[38:39]
	v_mul_f64 v[52:53], v[52:53], v[72:73]
	ds_read2_b64 v[68:71], v64 offset0:10 offset1:11
	v_fmac_f64_e32 v[52:53], v[54:55], v[36:37]
	s_waitcnt vmcnt(8)
	v_add_f64 v[34:35], v[34:35], -v[52:53]
	ds_read2_b64 v[52:55], v64 offset0:12 offset1:13
	v_add_f64 v[32:33], v[32:33], -v[38:39]
	s_waitcnt lgkmcnt(1)
	v_mul_f64 v[38:39], v[70:71], v[72:73]
	v_fma_f64 v[38:39], v[68:69], v[36:37], -v[38:39]
	v_mul_f64 v[68:69], v[68:69], v[72:73]
	v_fmac_f64_e32 v[68:69], v[70:71], v[36:37]
	s_waitcnt vmcnt(7)
	v_add_f64 v[24:25], v[24:25], -v[38:39]
	s_waitcnt lgkmcnt(0)
	v_mul_f64 v[38:39], v[54:55], v[72:73]
	v_add_f64 v[26:27], v[26:27], -v[68:69]
	v_fma_f64 v[38:39], v[52:53], v[36:37], -v[38:39]
	v_mul_f64 v[52:53], v[52:53], v[72:73]
	ds_read2_b64 v[68:71], v64 offset0:14 offset1:15
	v_fmac_f64_e32 v[52:53], v[54:55], v[36:37]
	s_waitcnt vmcnt(6)
	v_add_f64 v[22:23], v[22:23], -v[52:53]
	ds_read2_b64 v[52:55], v64 offset0:16 offset1:17
	v_add_f64 v[20:21], v[20:21], -v[38:39]
	s_waitcnt lgkmcnt(1)
	v_mul_f64 v[38:39], v[70:71], v[72:73]
	v_fma_f64 v[38:39], v[68:69], v[36:37], -v[38:39]
	v_mul_f64 v[68:69], v[68:69], v[72:73]
	v_fmac_f64_e32 v[68:69], v[70:71], v[36:37]
	s_waitcnt vmcnt(5)
	;; [unrolled: 18-line block ×3, first 2 shown]
	v_add_f64 v[8:9], v[8:9], -v[38:39]
	s_waitcnt lgkmcnt(0)
	v_mul_f64 v[38:39], v[54:55], v[72:73]
	v_add_f64 v[10:11], v[10:11], -v[68:69]
	v_fma_f64 v[38:39], v[52:53], v[36:37], -v[38:39]
	v_mul_f64 v[52:53], v[52:53], v[72:73]
	ds_read2_b64 v[68:71], v64 offset0:22 offset1:23
	v_fmac_f64_e32 v[52:53], v[54:55], v[36:37]
	s_waitcnt vmcnt(2)
	v_add_f64 v[6:7], v[6:7], -v[52:53]
	ds_read2_b64 v[52:55], v64 offset0:24 offset1:25
	v_add_f64 v[4:5], v[4:5], -v[38:39]
	s_waitcnt lgkmcnt(1)
	v_mul_f64 v[38:39], v[70:71], v[72:73]
	v_fma_f64 v[38:39], v[68:69], v[36:37], -v[38:39]
	s_waitcnt vmcnt(1)
	v_add_f64 v[0:1], v[0:1], -v[38:39]
	s_waitcnt lgkmcnt(0)
	v_mul_f64 v[38:39], v[54:55], v[72:73]
	v_mul_f64 v[68:69], v[68:69], v[72:73]
	v_fma_f64 v[38:39], v[52:53], v[36:37], -v[38:39]
	v_mul_f64 v[52:53], v[52:53], v[72:73]
	v_fmac_f64_e32 v[68:69], v[70:71], v[36:37]
	v_fmac_f64_e32 v[52:53], v[54:55], v[36:37]
	v_add_f64 v[2:3], v[2:3], -v[68:69]
	s_waitcnt vmcnt(0)
	v_add_f64 v[48:49], v[48:49], -v[38:39]
	v_add_f64 v[50:51], v[50:51], -v[52:53]
	v_mov_b64_e32 v[38:39], v[72:73]
.LBB24_62:
	s_or_b64 exec, exec, s[0:1]
	v_lshl_add_u32 v52, v63, 4, v64
	s_barrier
	ds_write2_b64 v52, v[28:29], v[30:31] offset1:1
	s_waitcnt lgkmcnt(0)
	s_barrier
	ds_read2_b64 v[52:55], v64 offset0:6 offset1:7
	s_mov_b32 s16, 4
	s_cmp_lt_i32 s20, 5
	v_mov_b32_e32 v62, 3
	s_cbranch_scc1 .LBB24_65
; %bb.63:
	v_add3_u32 v65, v65, 0, 64
	v_mov_b32_e32 v62, 3
.LBB24_64:                              ; =>This Inner Loop Header: Depth=1
	ds_read2_b64 v[68:71], v65 offset1:1
	s_waitcnt lgkmcnt(1)
	v_xor_b32_e32 v73, 0x80000000, v53
	v_xor_b32_e32 v75, 0x80000000, v55
	v_cmp_gt_f64_e32 vcc, 0, v[54:55]
	v_cmp_gt_f64_e64 s[0:1], 0, v[52:53]
	v_mov_b32_e32 v72, v52
	v_mov_b32_e32 v74, v54
	v_cndmask_b32_e64 v73, v53, v73, s[0:1]
	v_cndmask_b32_e32 v75, v55, v75, vcc
	v_add_f64 v[72:73], v[72:73], v[74:75]
	s_waitcnt lgkmcnt(0)
	v_xor_b32_e32 v75, 0x80000000, v69
	v_xor_b32_e32 v77, 0x80000000, v71
	v_cmp_gt_f64_e32 vcc, 0, v[70:71]
	v_cmp_gt_f64_e64 s[0:1], 0, v[68:69]
	v_mov_b32_e32 v74, v68
	v_mov_b32_e32 v76, v70
	v_cndmask_b32_e64 v75, v69, v75, s[0:1]
	v_cndmask_b32_e32 v77, v71, v77, vcc
	v_add_f64 v[74:75], v[74:75], v[76:77]
	v_mov_b32_e32 v78, s16
	s_add_i32 s16, s16, 1
	v_cmp_lt_f64_e32 vcc, v[72:73], v[74:75]
	v_add_u32_e32 v65, 16, v65
	s_cmp_lg_u32 s20, s16
	v_cndmask_b32_e32 v53, v53, v69, vcc
	v_cndmask_b32_e32 v52, v52, v68, vcc
	v_cndmask_b32_e32 v55, v55, v71, vcc
	v_cndmask_b32_e32 v54, v54, v70, vcc
	v_cndmask_b32_e32 v62, v62, v78, vcc
	s_cbranch_scc1 .LBB24_64
.LBB24_65:
	s_waitcnt lgkmcnt(0)
	v_cmp_eq_f64_e32 vcc, 0, v[52:53]
	v_cmp_eq_f64_e64 s[0:1], 0, v[54:55]
	s_and_b64 s[0:1], vcc, s[0:1]
	s_and_saveexec_b64 s[16:17], s[0:1]
	s_xor_b64 s[0:1], exec, s[16:17]
; %bb.66:
	v_cmp_ne_u32_e32 vcc, 0, v67
	s_nop 1
	v_cndmask_b32_e32 v67, 4, v67, vcc
; %bb.67:
	s_andn2_saveexec_b64 s[0:1], s[0:1]
	s_cbranch_execz .LBB24_73
; %bb.68:
	v_cmp_ngt_f64_e64 s[16:17], |v[52:53]|, |v[54:55]|
	s_and_saveexec_b64 s[18:19], s[16:17]
	s_xor_b64 s[16:17], exec, s[18:19]
	s_cbranch_execz .LBB24_70
; %bb.69:
	v_div_scale_f64 v[68:69], s[18:19], v[54:55], v[54:55], v[52:53]
	v_rcp_f64_e32 v[70:71], v[68:69]
	v_div_scale_f64 v[72:73], vcc, v[52:53], v[54:55], v[52:53]
	v_fma_f64 v[74:75], -v[68:69], v[70:71], 1.0
	v_fmac_f64_e32 v[70:71], v[70:71], v[74:75]
	v_fma_f64 v[74:75], -v[68:69], v[70:71], 1.0
	v_fmac_f64_e32 v[70:71], v[70:71], v[74:75]
	v_mul_f64 v[74:75], v[72:73], v[70:71]
	v_fma_f64 v[68:69], -v[68:69], v[74:75], v[72:73]
	v_div_fmas_f64 v[68:69], v[68:69], v[70:71], v[74:75]
	v_div_fixup_f64 v[68:69], v[68:69], v[54:55], v[52:53]
	v_fmac_f64_e32 v[54:55], v[52:53], v[68:69]
	v_div_scale_f64 v[52:53], s[18:19], v[54:55], v[54:55], 1.0
	v_rcp_f64_e32 v[70:71], v[52:53]
	s_nop 0
	v_fma_f64 v[72:73], -v[52:53], v[70:71], 1.0
	v_fmac_f64_e32 v[70:71], v[70:71], v[72:73]
	v_fma_f64 v[72:73], -v[52:53], v[70:71], 1.0
	v_fmac_f64_e32 v[70:71], v[70:71], v[72:73]
	v_div_scale_f64 v[72:73], vcc, 1.0, v[54:55], 1.0
	v_mul_f64 v[74:75], v[72:73], v[70:71]
	v_fma_f64 v[52:53], -v[52:53], v[74:75], v[72:73]
	s_nop 1
	v_div_fmas_f64 v[52:53], v[52:53], v[70:71], v[74:75]
	v_div_fixup_f64 v[54:55], v[52:53], v[54:55], 1.0
	v_mul_f64 v[52:53], v[68:69], v[54:55]
	v_xor_b32_e32 v55, 0x80000000, v55
.LBB24_70:
	s_andn2_saveexec_b64 s[16:17], s[16:17]
	s_cbranch_execz .LBB24_72
; %bb.71:
	v_div_scale_f64 v[68:69], s[18:19], v[52:53], v[52:53], v[54:55]
	v_rcp_f64_e32 v[70:71], v[68:69]
	v_div_scale_f64 v[72:73], vcc, v[54:55], v[52:53], v[54:55]
	v_fma_f64 v[74:75], -v[68:69], v[70:71], 1.0
	v_fmac_f64_e32 v[70:71], v[70:71], v[74:75]
	v_fma_f64 v[74:75], -v[68:69], v[70:71], 1.0
	v_fmac_f64_e32 v[70:71], v[70:71], v[74:75]
	v_mul_f64 v[74:75], v[72:73], v[70:71]
	v_fma_f64 v[68:69], -v[68:69], v[74:75], v[72:73]
	v_div_fmas_f64 v[68:69], v[68:69], v[70:71], v[74:75]
	v_div_fixup_f64 v[68:69], v[68:69], v[52:53], v[54:55]
	v_fmac_f64_e32 v[52:53], v[54:55], v[68:69]
	v_div_scale_f64 v[54:55], s[18:19], v[52:53], v[52:53], 1.0
	v_rcp_f64_e32 v[70:71], v[54:55]
	s_nop 0
	v_fma_f64 v[72:73], -v[54:55], v[70:71], 1.0
	v_fmac_f64_e32 v[70:71], v[70:71], v[72:73]
	v_fma_f64 v[72:73], -v[54:55], v[70:71], 1.0
	v_fmac_f64_e32 v[70:71], v[70:71], v[72:73]
	v_div_scale_f64 v[72:73], vcc, 1.0, v[52:53], 1.0
	v_mul_f64 v[74:75], v[72:73], v[70:71]
	v_fma_f64 v[54:55], -v[54:55], v[74:75], v[72:73]
	s_nop 1
	v_div_fmas_f64 v[54:55], v[54:55], v[70:71], v[74:75]
	v_div_fixup_f64 v[52:53], v[54:55], v[52:53], 1.0
	v_mul_f64 v[54:55], v[68:69], -v[52:53]
.LBB24_72:
	s_or_b64 exec, exec, s[16:17]
.LBB24_73:
	s_or_b64 exec, exec, s[0:1]
	v_cmp_ne_u32_e32 vcc, v63, v62
	s_and_saveexec_b64 s[0:1], vcc
	s_xor_b64 s[0:1], exec, s[0:1]
	s_cbranch_execz .LBB24_79
; %bb.74:
	v_cmp_eq_u32_e32 vcc, 3, v63
	s_and_saveexec_b64 s[16:17], vcc
	s_cbranch_execz .LBB24_78
; %bb.75:
	v_cmp_ne_u32_e32 vcc, 3, v62
	s_xor_b64 s[18:19], s[14:15], -1
	s_and_b64 s[22:23], s[18:19], vcc
	s_and_saveexec_b64 s[18:19], s[22:23]
	s_cbranch_execz .LBB24_77
; %bb.76:
	v_ashrrev_i32_e32 v63, 31, v62
	v_lshl_add_u64 v[68:69], v[62:63], 2, v[60:61]
	global_load_dword v63, v[68:69], off
	global_load_dword v65, v[60:61], off offset:12
	s_waitcnt vmcnt(1)
	global_store_dword v[60:61], v63, off offset:12
	s_waitcnt vmcnt(1)
	global_store_dword v[68:69], v65, off
.LBB24_77:
	s_or_b64 exec, exec, s[18:19]
	v_mov_b32_e32 v63, v62
	v_mov_b32_e32 v66, v62
.LBB24_78:
	s_or_b64 exec, exec, s[16:17]
.LBB24_79:
	s_andn2_saveexec_b64 s[0:1], s[0:1]
	s_cbranch_execz .LBB24_81
; %bb.80:
	v_mov_b32_e32 v63, 3
	s_waitcnt vmcnt(8)
	ds_write2_b64 v64, v[32:33], v[34:35] offset0:8 offset1:9
	s_waitcnt vmcnt(7)
	ds_write2_b64 v64, v[24:25], v[26:27] offset0:10 offset1:11
	s_waitcnt vmcnt(6)
	ds_write2_b64 v64, v[20:21], v[22:23] offset0:12 offset1:13
	s_waitcnt vmcnt(5)
	ds_write2_b64 v64, v[16:17], v[18:19] offset0:14 offset1:15
	s_waitcnt vmcnt(4)
	ds_write2_b64 v64, v[12:13], v[14:15] offset0:16 offset1:17
	s_waitcnt vmcnt(3)
	ds_write2_b64 v64, v[8:9], v[10:11] offset0:18 offset1:19
	s_waitcnt vmcnt(2)
	ds_write2_b64 v64, v[4:5], v[6:7] offset0:20 offset1:21
	s_waitcnt vmcnt(1)
	ds_write2_b64 v64, v[0:1], v[2:3] offset0:22 offset1:23
	s_waitcnt vmcnt(0)
	ds_write2_b64 v64, v[48:49], v[50:51] offset0:24 offset1:25
.LBB24_81:
	s_or_b64 exec, exec, s[0:1]
	v_cmp_lt_i32_e32 vcc, 3, v63
	s_waitcnt lgkmcnt(0)
	s_barrier
	s_and_saveexec_b64 s[0:1], vcc
	s_cbranch_execz .LBB24_83
; %bb.82:
	ds_read2_b64 v[68:71], v64 offset0:8 offset1:9
	v_mul_f64 v[72:73], v[52:53], v[30:31]
	v_fmac_f64_e32 v[72:73], v[54:55], v[28:29]
	v_mul_f64 v[30:31], v[54:55], v[30:31]
	v_fma_f64 v[28:29], v[52:53], v[28:29], -v[30:31]
	ds_read2_b64 v[52:55], v64 offset0:10 offset1:11
	s_waitcnt lgkmcnt(1)
	v_mul_f64 v[30:31], v[70:71], v[72:73]
	v_fma_f64 v[30:31], v[68:69], v[28:29], -v[30:31]
	v_mul_f64 v[68:69], v[68:69], v[72:73]
	v_fmac_f64_e32 v[68:69], v[70:71], v[28:29]
	s_waitcnt vmcnt(8)
	v_add_f64 v[34:35], v[34:35], -v[68:69]
	ds_read2_b64 v[68:71], v64 offset0:12 offset1:13
	v_add_f64 v[32:33], v[32:33], -v[30:31]
	s_waitcnt lgkmcnt(1)
	v_mul_f64 v[30:31], v[54:55], v[72:73]
	v_fma_f64 v[30:31], v[52:53], v[28:29], -v[30:31]
	v_mul_f64 v[52:53], v[52:53], v[72:73]
	v_fmac_f64_e32 v[52:53], v[54:55], v[28:29]
	s_waitcnt vmcnt(7)
	v_add_f64 v[24:25], v[24:25], -v[30:31]
	v_add_f64 v[26:27], v[26:27], -v[52:53]
	ds_read2_b64 v[52:55], v64 offset0:14 offset1:15
	s_waitcnt lgkmcnt(1)
	v_mul_f64 v[30:31], v[70:71], v[72:73]
	v_fma_f64 v[30:31], v[68:69], v[28:29], -v[30:31]
	v_mul_f64 v[68:69], v[68:69], v[72:73]
	v_fmac_f64_e32 v[68:69], v[70:71], v[28:29]
	s_waitcnt vmcnt(6)
	v_add_f64 v[22:23], v[22:23], -v[68:69]
	ds_read2_b64 v[68:71], v64 offset0:16 offset1:17
	v_add_f64 v[20:21], v[20:21], -v[30:31]
	s_waitcnt lgkmcnt(1)
	v_mul_f64 v[30:31], v[54:55], v[72:73]
	v_fma_f64 v[30:31], v[52:53], v[28:29], -v[30:31]
	v_mul_f64 v[52:53], v[52:53], v[72:73]
	v_fmac_f64_e32 v[52:53], v[54:55], v[28:29]
	s_waitcnt vmcnt(5)
	v_add_f64 v[16:17], v[16:17], -v[30:31]
	v_add_f64 v[18:19], v[18:19], -v[52:53]
	;; [unrolled: 18-line block ×4, first 2 shown]
	s_waitcnt lgkmcnt(0)
	v_mul_f64 v[30:31], v[70:71], v[72:73]
	v_mul_f64 v[52:53], v[68:69], v[72:73]
	v_fma_f64 v[30:31], v[68:69], v[28:29], -v[30:31]
	v_fmac_f64_e32 v[52:53], v[70:71], v[28:29]
	s_waitcnt vmcnt(0)
	v_add_f64 v[48:49], v[48:49], -v[30:31]
	v_add_f64 v[50:51], v[50:51], -v[52:53]
	v_mov_b64_e32 v[30:31], v[72:73]
.LBB24_83:
	s_or_b64 exec, exec, s[0:1]
	v_lshl_add_u32 v52, v63, 4, v64
	s_barrier
	s_waitcnt vmcnt(8)
	ds_write2_b64 v52, v[32:33], v[34:35] offset1:1
	s_waitcnt lgkmcnt(0)
	s_barrier
	ds_read2_b64 v[52:55], v64 offset0:8 offset1:9
	s_cmp_lt_i32 s20, 6
	v_mov_b32_e32 v62, 4
	s_cbranch_scc1 .LBB24_86
; %bb.84:
	v_mov_b32_e32 v62, 4
	v_add_u32_e32 v65, 0x50, v64
	s_mov_b32 s16, 5
.LBB24_85:                              ; =>This Inner Loop Header: Depth=1
	ds_read2_b64 v[68:71], v65 offset1:1
	s_waitcnt lgkmcnt(1)
	v_xor_b32_e32 v73, 0x80000000, v53
	v_xor_b32_e32 v75, 0x80000000, v55
	v_cmp_gt_f64_e32 vcc, 0, v[54:55]
	v_cmp_gt_f64_e64 s[0:1], 0, v[52:53]
	v_mov_b32_e32 v72, v52
	v_mov_b32_e32 v74, v54
	v_cndmask_b32_e64 v73, v53, v73, s[0:1]
	v_cndmask_b32_e32 v75, v55, v75, vcc
	v_add_f64 v[72:73], v[72:73], v[74:75]
	s_waitcnt lgkmcnt(0)
	v_xor_b32_e32 v75, 0x80000000, v69
	v_xor_b32_e32 v77, 0x80000000, v71
	v_cmp_gt_f64_e32 vcc, 0, v[70:71]
	v_cmp_gt_f64_e64 s[0:1], 0, v[68:69]
	v_mov_b32_e32 v74, v68
	v_mov_b32_e32 v76, v70
	v_cndmask_b32_e64 v75, v69, v75, s[0:1]
	v_cndmask_b32_e32 v77, v71, v77, vcc
	v_add_f64 v[74:75], v[74:75], v[76:77]
	v_mov_b32_e32 v78, s16
	s_add_i32 s16, s16, 1
	v_cmp_lt_f64_e32 vcc, v[72:73], v[74:75]
	v_add_u32_e32 v65, 16, v65
	s_cmp_lg_u32 s20, s16
	v_cndmask_b32_e32 v53, v53, v69, vcc
	v_cndmask_b32_e32 v52, v52, v68, vcc
	;; [unrolled: 1-line block ×5, first 2 shown]
	s_cbranch_scc1 .LBB24_85
.LBB24_86:
	s_waitcnt lgkmcnt(0)
	v_cmp_eq_f64_e32 vcc, 0, v[52:53]
	v_cmp_eq_f64_e64 s[0:1], 0, v[54:55]
	s_and_b64 s[0:1], vcc, s[0:1]
	s_and_saveexec_b64 s[16:17], s[0:1]
	s_xor_b64 s[0:1], exec, s[16:17]
; %bb.87:
	v_cmp_ne_u32_e32 vcc, 0, v67
	s_nop 1
	v_cndmask_b32_e32 v67, 5, v67, vcc
; %bb.88:
	s_andn2_saveexec_b64 s[0:1], s[0:1]
	s_cbranch_execz .LBB24_94
; %bb.89:
	v_cmp_ngt_f64_e64 s[16:17], |v[52:53]|, |v[54:55]|
	s_and_saveexec_b64 s[18:19], s[16:17]
	s_xor_b64 s[16:17], exec, s[18:19]
	s_cbranch_execz .LBB24_91
; %bb.90:
	v_div_scale_f64 v[68:69], s[18:19], v[54:55], v[54:55], v[52:53]
	v_rcp_f64_e32 v[70:71], v[68:69]
	v_div_scale_f64 v[72:73], vcc, v[52:53], v[54:55], v[52:53]
	v_fma_f64 v[74:75], -v[68:69], v[70:71], 1.0
	v_fmac_f64_e32 v[70:71], v[70:71], v[74:75]
	v_fma_f64 v[74:75], -v[68:69], v[70:71], 1.0
	v_fmac_f64_e32 v[70:71], v[70:71], v[74:75]
	v_mul_f64 v[74:75], v[72:73], v[70:71]
	v_fma_f64 v[68:69], -v[68:69], v[74:75], v[72:73]
	v_div_fmas_f64 v[68:69], v[68:69], v[70:71], v[74:75]
	v_div_fixup_f64 v[68:69], v[68:69], v[54:55], v[52:53]
	v_fmac_f64_e32 v[54:55], v[52:53], v[68:69]
	v_div_scale_f64 v[52:53], s[18:19], v[54:55], v[54:55], 1.0
	v_rcp_f64_e32 v[70:71], v[52:53]
	s_nop 0
	v_fma_f64 v[72:73], -v[52:53], v[70:71], 1.0
	v_fmac_f64_e32 v[70:71], v[70:71], v[72:73]
	v_fma_f64 v[72:73], -v[52:53], v[70:71], 1.0
	v_fmac_f64_e32 v[70:71], v[70:71], v[72:73]
	v_div_scale_f64 v[72:73], vcc, 1.0, v[54:55], 1.0
	v_mul_f64 v[74:75], v[72:73], v[70:71]
	v_fma_f64 v[52:53], -v[52:53], v[74:75], v[72:73]
	s_nop 1
	v_div_fmas_f64 v[52:53], v[52:53], v[70:71], v[74:75]
	v_div_fixup_f64 v[54:55], v[52:53], v[54:55], 1.0
	v_mul_f64 v[52:53], v[68:69], v[54:55]
	v_xor_b32_e32 v55, 0x80000000, v55
.LBB24_91:
	s_andn2_saveexec_b64 s[16:17], s[16:17]
	s_cbranch_execz .LBB24_93
; %bb.92:
	v_div_scale_f64 v[68:69], s[18:19], v[52:53], v[52:53], v[54:55]
	v_rcp_f64_e32 v[70:71], v[68:69]
	v_div_scale_f64 v[72:73], vcc, v[54:55], v[52:53], v[54:55]
	v_fma_f64 v[74:75], -v[68:69], v[70:71], 1.0
	v_fmac_f64_e32 v[70:71], v[70:71], v[74:75]
	v_fma_f64 v[74:75], -v[68:69], v[70:71], 1.0
	v_fmac_f64_e32 v[70:71], v[70:71], v[74:75]
	v_mul_f64 v[74:75], v[72:73], v[70:71]
	v_fma_f64 v[68:69], -v[68:69], v[74:75], v[72:73]
	v_div_fmas_f64 v[68:69], v[68:69], v[70:71], v[74:75]
	v_div_fixup_f64 v[68:69], v[68:69], v[52:53], v[54:55]
	v_fmac_f64_e32 v[52:53], v[54:55], v[68:69]
	v_div_scale_f64 v[54:55], s[18:19], v[52:53], v[52:53], 1.0
	v_rcp_f64_e32 v[70:71], v[54:55]
	s_nop 0
	v_fma_f64 v[72:73], -v[54:55], v[70:71], 1.0
	v_fmac_f64_e32 v[70:71], v[70:71], v[72:73]
	v_fma_f64 v[72:73], -v[54:55], v[70:71], 1.0
	v_fmac_f64_e32 v[70:71], v[70:71], v[72:73]
	v_div_scale_f64 v[72:73], vcc, 1.0, v[52:53], 1.0
	v_mul_f64 v[74:75], v[72:73], v[70:71]
	v_fma_f64 v[54:55], -v[54:55], v[74:75], v[72:73]
	s_nop 1
	v_div_fmas_f64 v[54:55], v[54:55], v[70:71], v[74:75]
	v_div_fixup_f64 v[52:53], v[54:55], v[52:53], 1.0
	v_mul_f64 v[54:55], v[68:69], -v[52:53]
.LBB24_93:
	s_or_b64 exec, exec, s[16:17]
.LBB24_94:
	s_or_b64 exec, exec, s[0:1]
	v_cmp_ne_u32_e32 vcc, v63, v62
	s_and_saveexec_b64 s[0:1], vcc
	s_xor_b64 s[0:1], exec, s[0:1]
	s_cbranch_execz .LBB24_100
; %bb.95:
	v_cmp_eq_u32_e32 vcc, 4, v63
	s_and_saveexec_b64 s[16:17], vcc
	s_cbranch_execz .LBB24_99
; %bb.96:
	v_cmp_ne_u32_e32 vcc, 4, v62
	s_xor_b64 s[18:19], s[14:15], -1
	s_and_b64 s[22:23], s[18:19], vcc
	s_and_saveexec_b64 s[18:19], s[22:23]
	s_cbranch_execz .LBB24_98
; %bb.97:
	v_ashrrev_i32_e32 v63, 31, v62
	v_lshl_add_u64 v[68:69], v[62:63], 2, v[60:61]
	global_load_dword v63, v[68:69], off
	global_load_dword v65, v[60:61], off offset:16
	s_waitcnt vmcnt(1)
	global_store_dword v[60:61], v63, off offset:16
	s_waitcnt vmcnt(1)
	global_store_dword v[68:69], v65, off
.LBB24_98:
	s_or_b64 exec, exec, s[18:19]
	v_mov_b32_e32 v63, v62
	v_mov_b32_e32 v66, v62
.LBB24_99:
	s_or_b64 exec, exec, s[16:17]
.LBB24_100:
	s_andn2_saveexec_b64 s[0:1], s[0:1]
	s_cbranch_execz .LBB24_102
; %bb.101:
	v_mov_b32_e32 v63, 4
	s_waitcnt vmcnt(7)
	ds_write2_b64 v64, v[24:25], v[26:27] offset0:10 offset1:11
	s_waitcnt vmcnt(6)
	ds_write2_b64 v64, v[20:21], v[22:23] offset0:12 offset1:13
	;; [unrolled: 2-line block ×8, first 2 shown]
.LBB24_102:
	s_or_b64 exec, exec, s[0:1]
	v_cmp_lt_i32_e32 vcc, 4, v63
	s_waitcnt lgkmcnt(0)
	s_barrier
	s_and_saveexec_b64 s[0:1], vcc
	s_cbranch_execz .LBB24_104
; %bb.103:
	ds_read2_b64 v[68:71], v64 offset0:10 offset1:11
	v_mul_f64 v[72:73], v[52:53], v[34:35]
	v_mul_f64 v[34:35], v[54:55], v[34:35]
	v_fmac_f64_e32 v[72:73], v[54:55], v[32:33]
	v_fma_f64 v[32:33], v[52:53], v[32:33], -v[34:35]
	ds_read2_b64 v[52:55], v64 offset0:12 offset1:13
	s_waitcnt lgkmcnt(1)
	v_mul_f64 v[34:35], v[70:71], v[72:73]
	v_fma_f64 v[34:35], v[68:69], v[32:33], -v[34:35]
	v_mul_f64 v[68:69], v[68:69], v[72:73]
	v_fmac_f64_e32 v[68:69], v[70:71], v[32:33]
	s_waitcnt vmcnt(7)
	v_add_f64 v[24:25], v[24:25], -v[34:35]
	s_waitcnt lgkmcnt(0)
	v_mul_f64 v[34:35], v[54:55], v[72:73]
	v_add_f64 v[26:27], v[26:27], -v[68:69]
	v_fma_f64 v[34:35], v[52:53], v[32:33], -v[34:35]
	v_mul_f64 v[52:53], v[52:53], v[72:73]
	ds_read2_b64 v[68:71], v64 offset0:14 offset1:15
	v_fmac_f64_e32 v[52:53], v[54:55], v[32:33]
	s_waitcnt vmcnt(6)
	v_add_f64 v[22:23], v[22:23], -v[52:53]
	ds_read2_b64 v[52:55], v64 offset0:16 offset1:17
	v_add_f64 v[20:21], v[20:21], -v[34:35]
	s_waitcnt lgkmcnt(1)
	v_mul_f64 v[34:35], v[70:71], v[72:73]
	v_fma_f64 v[34:35], v[68:69], v[32:33], -v[34:35]
	v_mul_f64 v[68:69], v[68:69], v[72:73]
	v_fmac_f64_e32 v[68:69], v[70:71], v[32:33]
	s_waitcnt vmcnt(5)
	v_add_f64 v[16:17], v[16:17], -v[34:35]
	s_waitcnt lgkmcnt(0)
	v_mul_f64 v[34:35], v[54:55], v[72:73]
	v_add_f64 v[18:19], v[18:19], -v[68:69]
	v_fma_f64 v[34:35], v[52:53], v[32:33], -v[34:35]
	v_mul_f64 v[52:53], v[52:53], v[72:73]
	ds_read2_b64 v[68:71], v64 offset0:18 offset1:19
	v_fmac_f64_e32 v[52:53], v[54:55], v[32:33]
	s_waitcnt vmcnt(4)
	v_add_f64 v[14:15], v[14:15], -v[52:53]
	ds_read2_b64 v[52:55], v64 offset0:20 offset1:21
	v_add_f64 v[12:13], v[12:13], -v[34:35]
	;; [unrolled: 18-line block ×3, first 2 shown]
	s_waitcnt lgkmcnt(1)
	v_mul_f64 v[34:35], v[70:71], v[72:73]
	v_fma_f64 v[34:35], v[68:69], v[32:33], -v[34:35]
	s_waitcnt vmcnt(1)
	v_add_f64 v[0:1], v[0:1], -v[34:35]
	s_waitcnt lgkmcnt(0)
	v_mul_f64 v[34:35], v[54:55], v[72:73]
	v_mul_f64 v[68:69], v[68:69], v[72:73]
	v_fma_f64 v[34:35], v[52:53], v[32:33], -v[34:35]
	v_mul_f64 v[52:53], v[52:53], v[72:73]
	v_fmac_f64_e32 v[68:69], v[70:71], v[32:33]
	v_fmac_f64_e32 v[52:53], v[54:55], v[32:33]
	v_add_f64 v[2:3], v[2:3], -v[68:69]
	s_waitcnt vmcnt(0)
	v_add_f64 v[48:49], v[48:49], -v[34:35]
	v_add_f64 v[50:51], v[50:51], -v[52:53]
	v_mov_b64_e32 v[34:35], v[72:73]
.LBB24_104:
	s_or_b64 exec, exec, s[0:1]
	v_lshl_add_u32 v52, v63, 4, v64
	s_barrier
	s_waitcnt vmcnt(7)
	ds_write2_b64 v52, v[24:25], v[26:27] offset1:1
	s_waitcnt lgkmcnt(0)
	s_barrier
	ds_read2_b64 v[52:55], v64 offset0:10 offset1:11
	s_cmp_lt_i32 s20, 7
	v_mov_b32_e32 v62, 5
	s_cbranch_scc1 .LBB24_107
; %bb.105:
	v_add_u32_e32 v65, 0x60, v64
	s_mov_b32 s16, 6
	v_mov_b32_e32 v62, 5
.LBB24_106:                             ; =>This Inner Loop Header: Depth=1
	ds_read2_b64 v[68:71], v65 offset1:1
	s_waitcnt lgkmcnt(1)
	v_xor_b32_e32 v73, 0x80000000, v53
	v_xor_b32_e32 v75, 0x80000000, v55
	v_cmp_gt_f64_e32 vcc, 0, v[54:55]
	v_cmp_gt_f64_e64 s[0:1], 0, v[52:53]
	v_mov_b32_e32 v72, v52
	v_mov_b32_e32 v74, v54
	v_cndmask_b32_e64 v73, v53, v73, s[0:1]
	v_cndmask_b32_e32 v75, v55, v75, vcc
	v_add_f64 v[72:73], v[72:73], v[74:75]
	s_waitcnt lgkmcnt(0)
	v_xor_b32_e32 v75, 0x80000000, v69
	v_xor_b32_e32 v77, 0x80000000, v71
	v_cmp_gt_f64_e32 vcc, 0, v[70:71]
	v_cmp_gt_f64_e64 s[0:1], 0, v[68:69]
	v_mov_b32_e32 v74, v68
	v_mov_b32_e32 v76, v70
	v_cndmask_b32_e64 v75, v69, v75, s[0:1]
	v_cndmask_b32_e32 v77, v71, v77, vcc
	v_add_f64 v[74:75], v[74:75], v[76:77]
	v_mov_b32_e32 v78, s16
	s_add_i32 s16, s16, 1
	v_cmp_lt_f64_e32 vcc, v[72:73], v[74:75]
	v_add_u32_e32 v65, 16, v65
	s_cmp_lg_u32 s20, s16
	v_cndmask_b32_e32 v53, v53, v69, vcc
	v_cndmask_b32_e32 v52, v52, v68, vcc
	;; [unrolled: 1-line block ×5, first 2 shown]
	s_cbranch_scc1 .LBB24_106
.LBB24_107:
	s_waitcnt lgkmcnt(0)
	v_cmp_eq_f64_e32 vcc, 0, v[52:53]
	v_cmp_eq_f64_e64 s[0:1], 0, v[54:55]
	s_and_b64 s[0:1], vcc, s[0:1]
	s_and_saveexec_b64 s[16:17], s[0:1]
	s_xor_b64 s[0:1], exec, s[16:17]
; %bb.108:
	v_cmp_ne_u32_e32 vcc, 0, v67
	s_nop 1
	v_cndmask_b32_e32 v67, 6, v67, vcc
; %bb.109:
	s_andn2_saveexec_b64 s[0:1], s[0:1]
	s_cbranch_execz .LBB24_115
; %bb.110:
	v_cmp_ngt_f64_e64 s[16:17], |v[52:53]|, |v[54:55]|
	s_and_saveexec_b64 s[18:19], s[16:17]
	s_xor_b64 s[16:17], exec, s[18:19]
	s_cbranch_execz .LBB24_112
; %bb.111:
	v_div_scale_f64 v[68:69], s[18:19], v[54:55], v[54:55], v[52:53]
	v_rcp_f64_e32 v[70:71], v[68:69]
	v_div_scale_f64 v[72:73], vcc, v[52:53], v[54:55], v[52:53]
	v_fma_f64 v[74:75], -v[68:69], v[70:71], 1.0
	v_fmac_f64_e32 v[70:71], v[70:71], v[74:75]
	v_fma_f64 v[74:75], -v[68:69], v[70:71], 1.0
	v_fmac_f64_e32 v[70:71], v[70:71], v[74:75]
	v_mul_f64 v[74:75], v[72:73], v[70:71]
	v_fma_f64 v[68:69], -v[68:69], v[74:75], v[72:73]
	v_div_fmas_f64 v[68:69], v[68:69], v[70:71], v[74:75]
	v_div_fixup_f64 v[68:69], v[68:69], v[54:55], v[52:53]
	v_fmac_f64_e32 v[54:55], v[52:53], v[68:69]
	v_div_scale_f64 v[52:53], s[18:19], v[54:55], v[54:55], 1.0
	v_rcp_f64_e32 v[70:71], v[52:53]
	s_nop 0
	v_fma_f64 v[72:73], -v[52:53], v[70:71], 1.0
	v_fmac_f64_e32 v[70:71], v[70:71], v[72:73]
	v_fma_f64 v[72:73], -v[52:53], v[70:71], 1.0
	v_fmac_f64_e32 v[70:71], v[70:71], v[72:73]
	v_div_scale_f64 v[72:73], vcc, 1.0, v[54:55], 1.0
	v_mul_f64 v[74:75], v[72:73], v[70:71]
	v_fma_f64 v[52:53], -v[52:53], v[74:75], v[72:73]
	s_nop 1
	v_div_fmas_f64 v[52:53], v[52:53], v[70:71], v[74:75]
	v_div_fixup_f64 v[54:55], v[52:53], v[54:55], 1.0
	v_mul_f64 v[52:53], v[68:69], v[54:55]
	v_xor_b32_e32 v55, 0x80000000, v55
.LBB24_112:
	s_andn2_saveexec_b64 s[16:17], s[16:17]
	s_cbranch_execz .LBB24_114
; %bb.113:
	v_div_scale_f64 v[68:69], s[18:19], v[52:53], v[52:53], v[54:55]
	v_rcp_f64_e32 v[70:71], v[68:69]
	v_div_scale_f64 v[72:73], vcc, v[54:55], v[52:53], v[54:55]
	v_fma_f64 v[74:75], -v[68:69], v[70:71], 1.0
	v_fmac_f64_e32 v[70:71], v[70:71], v[74:75]
	v_fma_f64 v[74:75], -v[68:69], v[70:71], 1.0
	v_fmac_f64_e32 v[70:71], v[70:71], v[74:75]
	v_mul_f64 v[74:75], v[72:73], v[70:71]
	v_fma_f64 v[68:69], -v[68:69], v[74:75], v[72:73]
	v_div_fmas_f64 v[68:69], v[68:69], v[70:71], v[74:75]
	v_div_fixup_f64 v[68:69], v[68:69], v[52:53], v[54:55]
	v_fmac_f64_e32 v[52:53], v[54:55], v[68:69]
	v_div_scale_f64 v[54:55], s[18:19], v[52:53], v[52:53], 1.0
	v_rcp_f64_e32 v[70:71], v[54:55]
	s_nop 0
	v_fma_f64 v[72:73], -v[54:55], v[70:71], 1.0
	v_fmac_f64_e32 v[70:71], v[70:71], v[72:73]
	v_fma_f64 v[72:73], -v[54:55], v[70:71], 1.0
	v_fmac_f64_e32 v[70:71], v[70:71], v[72:73]
	v_div_scale_f64 v[72:73], vcc, 1.0, v[52:53], 1.0
	v_mul_f64 v[74:75], v[72:73], v[70:71]
	v_fma_f64 v[54:55], -v[54:55], v[74:75], v[72:73]
	s_nop 1
	v_div_fmas_f64 v[54:55], v[54:55], v[70:71], v[74:75]
	v_div_fixup_f64 v[52:53], v[54:55], v[52:53], 1.0
	v_mul_f64 v[54:55], v[68:69], -v[52:53]
.LBB24_114:
	s_or_b64 exec, exec, s[16:17]
.LBB24_115:
	s_or_b64 exec, exec, s[0:1]
	v_cmp_ne_u32_e32 vcc, v63, v62
	s_and_saveexec_b64 s[0:1], vcc
	s_xor_b64 s[0:1], exec, s[0:1]
	s_cbranch_execz .LBB24_121
; %bb.116:
	v_cmp_eq_u32_e32 vcc, 5, v63
	s_and_saveexec_b64 s[16:17], vcc
	s_cbranch_execz .LBB24_120
; %bb.117:
	v_cmp_ne_u32_e32 vcc, 5, v62
	s_xor_b64 s[18:19], s[14:15], -1
	s_and_b64 s[22:23], s[18:19], vcc
	s_and_saveexec_b64 s[18:19], s[22:23]
	s_cbranch_execz .LBB24_119
; %bb.118:
	v_ashrrev_i32_e32 v63, 31, v62
	v_lshl_add_u64 v[68:69], v[62:63], 2, v[60:61]
	global_load_dword v63, v[68:69], off
	global_load_dword v65, v[60:61], off offset:20
	s_waitcnt vmcnt(1)
	global_store_dword v[60:61], v63, off offset:20
	s_waitcnt vmcnt(1)
	global_store_dword v[68:69], v65, off
.LBB24_119:
	s_or_b64 exec, exec, s[18:19]
	v_mov_b32_e32 v63, v62
	v_mov_b32_e32 v66, v62
.LBB24_120:
	s_or_b64 exec, exec, s[16:17]
.LBB24_121:
	s_andn2_saveexec_b64 s[0:1], s[0:1]
	s_cbranch_execz .LBB24_123
; %bb.122:
	v_mov_b32_e32 v63, 5
	s_waitcnt vmcnt(6)
	ds_write2_b64 v64, v[20:21], v[22:23] offset0:12 offset1:13
	s_waitcnt vmcnt(5)
	ds_write2_b64 v64, v[16:17], v[18:19] offset0:14 offset1:15
	;; [unrolled: 2-line block ×7, first 2 shown]
.LBB24_123:
	s_or_b64 exec, exec, s[0:1]
	v_cmp_lt_i32_e32 vcc, 5, v63
	s_waitcnt lgkmcnt(0)
	s_barrier
	s_and_saveexec_b64 s[0:1], vcc
	s_cbranch_execz .LBB24_125
; %bb.124:
	ds_read2_b64 v[68:71], v64 offset0:12 offset1:13
	v_mul_f64 v[72:73], v[52:53], v[26:27]
	v_fmac_f64_e32 v[72:73], v[54:55], v[24:25]
	v_mul_f64 v[26:27], v[54:55], v[26:27]
	v_fma_f64 v[24:25], v[52:53], v[24:25], -v[26:27]
	ds_read2_b64 v[52:55], v64 offset0:14 offset1:15
	s_waitcnt lgkmcnt(1)
	v_mul_f64 v[26:27], v[70:71], v[72:73]
	v_fma_f64 v[26:27], v[68:69], v[24:25], -v[26:27]
	v_mul_f64 v[68:69], v[68:69], v[72:73]
	v_fmac_f64_e32 v[68:69], v[70:71], v[24:25]
	s_waitcnt vmcnt(6)
	v_add_f64 v[22:23], v[22:23], -v[68:69]
	ds_read2_b64 v[68:71], v64 offset0:16 offset1:17
	v_add_f64 v[20:21], v[20:21], -v[26:27]
	s_waitcnt lgkmcnt(1)
	v_mul_f64 v[26:27], v[54:55], v[72:73]
	v_fma_f64 v[26:27], v[52:53], v[24:25], -v[26:27]
	v_mul_f64 v[52:53], v[52:53], v[72:73]
	v_fmac_f64_e32 v[52:53], v[54:55], v[24:25]
	s_waitcnt vmcnt(5)
	v_add_f64 v[16:17], v[16:17], -v[26:27]
	v_add_f64 v[18:19], v[18:19], -v[52:53]
	ds_read2_b64 v[52:55], v64 offset0:18 offset1:19
	s_waitcnt lgkmcnt(1)
	v_mul_f64 v[26:27], v[70:71], v[72:73]
	v_fma_f64 v[26:27], v[68:69], v[24:25], -v[26:27]
	v_mul_f64 v[68:69], v[68:69], v[72:73]
	v_fmac_f64_e32 v[68:69], v[70:71], v[24:25]
	s_waitcnt vmcnt(4)
	v_add_f64 v[14:15], v[14:15], -v[68:69]
	ds_read2_b64 v[68:71], v64 offset0:20 offset1:21
	v_add_f64 v[12:13], v[12:13], -v[26:27]
	s_waitcnt lgkmcnt(1)
	v_mul_f64 v[26:27], v[54:55], v[72:73]
	v_fma_f64 v[26:27], v[52:53], v[24:25], -v[26:27]
	v_mul_f64 v[52:53], v[52:53], v[72:73]
	v_fmac_f64_e32 v[52:53], v[54:55], v[24:25]
	s_waitcnt vmcnt(3)
	v_add_f64 v[8:9], v[8:9], -v[26:27]
	v_add_f64 v[10:11], v[10:11], -v[52:53]
	;; [unrolled: 18-line block ×3, first 2 shown]
	s_waitcnt lgkmcnt(0)
	v_mul_f64 v[26:27], v[70:71], v[72:73]
	v_mul_f64 v[52:53], v[68:69], v[72:73]
	v_fma_f64 v[26:27], v[68:69], v[24:25], -v[26:27]
	v_fmac_f64_e32 v[52:53], v[70:71], v[24:25]
	s_waitcnt vmcnt(0)
	v_add_f64 v[48:49], v[48:49], -v[26:27]
	v_add_f64 v[50:51], v[50:51], -v[52:53]
	v_mov_b64_e32 v[26:27], v[72:73]
.LBB24_125:
	s_or_b64 exec, exec, s[0:1]
	v_lshl_add_u32 v52, v63, 4, v64
	s_barrier
	s_waitcnt vmcnt(6)
	ds_write2_b64 v52, v[20:21], v[22:23] offset1:1
	s_waitcnt lgkmcnt(0)
	s_barrier
	ds_read2_b64 v[52:55], v64 offset0:12 offset1:13
	s_cmp_lt_i32 s20, 8
	v_mov_b32_e32 v62, 6
	s_cbranch_scc1 .LBB24_128
; %bb.126:
	v_add_u32_e32 v65, 0x70, v64
	s_mov_b32 s16, 7
	v_mov_b32_e32 v62, 6
.LBB24_127:                             ; =>This Inner Loop Header: Depth=1
	ds_read2_b64 v[68:71], v65 offset1:1
	s_waitcnt lgkmcnt(1)
	v_xor_b32_e32 v73, 0x80000000, v53
	v_xor_b32_e32 v75, 0x80000000, v55
	v_cmp_gt_f64_e32 vcc, 0, v[54:55]
	v_cmp_gt_f64_e64 s[0:1], 0, v[52:53]
	v_mov_b32_e32 v72, v52
	v_mov_b32_e32 v74, v54
	v_cndmask_b32_e64 v73, v53, v73, s[0:1]
	v_cndmask_b32_e32 v75, v55, v75, vcc
	v_add_f64 v[72:73], v[72:73], v[74:75]
	s_waitcnt lgkmcnt(0)
	v_xor_b32_e32 v75, 0x80000000, v69
	v_xor_b32_e32 v77, 0x80000000, v71
	v_cmp_gt_f64_e32 vcc, 0, v[70:71]
	v_cmp_gt_f64_e64 s[0:1], 0, v[68:69]
	v_mov_b32_e32 v74, v68
	v_mov_b32_e32 v76, v70
	v_cndmask_b32_e64 v75, v69, v75, s[0:1]
	v_cndmask_b32_e32 v77, v71, v77, vcc
	v_add_f64 v[74:75], v[74:75], v[76:77]
	v_mov_b32_e32 v78, s16
	s_add_i32 s16, s16, 1
	v_cmp_lt_f64_e32 vcc, v[72:73], v[74:75]
	v_add_u32_e32 v65, 16, v65
	s_cmp_lg_u32 s20, s16
	v_cndmask_b32_e32 v53, v53, v69, vcc
	v_cndmask_b32_e32 v52, v52, v68, vcc
	;; [unrolled: 1-line block ×5, first 2 shown]
	s_cbranch_scc1 .LBB24_127
.LBB24_128:
	s_waitcnt lgkmcnt(0)
	v_cmp_eq_f64_e32 vcc, 0, v[52:53]
	v_cmp_eq_f64_e64 s[0:1], 0, v[54:55]
	s_and_b64 s[0:1], vcc, s[0:1]
	s_and_saveexec_b64 s[16:17], s[0:1]
	s_xor_b64 s[0:1], exec, s[16:17]
; %bb.129:
	v_cmp_ne_u32_e32 vcc, 0, v67
	s_nop 1
	v_cndmask_b32_e32 v67, 7, v67, vcc
; %bb.130:
	s_andn2_saveexec_b64 s[0:1], s[0:1]
	s_cbranch_execz .LBB24_136
; %bb.131:
	v_cmp_ngt_f64_e64 s[16:17], |v[52:53]|, |v[54:55]|
	s_and_saveexec_b64 s[18:19], s[16:17]
	s_xor_b64 s[16:17], exec, s[18:19]
	s_cbranch_execz .LBB24_133
; %bb.132:
	v_div_scale_f64 v[68:69], s[18:19], v[54:55], v[54:55], v[52:53]
	v_rcp_f64_e32 v[70:71], v[68:69]
	v_div_scale_f64 v[72:73], vcc, v[52:53], v[54:55], v[52:53]
	v_fma_f64 v[74:75], -v[68:69], v[70:71], 1.0
	v_fmac_f64_e32 v[70:71], v[70:71], v[74:75]
	v_fma_f64 v[74:75], -v[68:69], v[70:71], 1.0
	v_fmac_f64_e32 v[70:71], v[70:71], v[74:75]
	v_mul_f64 v[74:75], v[72:73], v[70:71]
	v_fma_f64 v[68:69], -v[68:69], v[74:75], v[72:73]
	v_div_fmas_f64 v[68:69], v[68:69], v[70:71], v[74:75]
	v_div_fixup_f64 v[68:69], v[68:69], v[54:55], v[52:53]
	v_fmac_f64_e32 v[54:55], v[52:53], v[68:69]
	v_div_scale_f64 v[52:53], s[18:19], v[54:55], v[54:55], 1.0
	v_rcp_f64_e32 v[70:71], v[52:53]
	s_nop 0
	v_fma_f64 v[72:73], -v[52:53], v[70:71], 1.0
	v_fmac_f64_e32 v[70:71], v[70:71], v[72:73]
	v_fma_f64 v[72:73], -v[52:53], v[70:71], 1.0
	v_fmac_f64_e32 v[70:71], v[70:71], v[72:73]
	v_div_scale_f64 v[72:73], vcc, 1.0, v[54:55], 1.0
	v_mul_f64 v[74:75], v[72:73], v[70:71]
	v_fma_f64 v[52:53], -v[52:53], v[74:75], v[72:73]
	s_nop 1
	v_div_fmas_f64 v[52:53], v[52:53], v[70:71], v[74:75]
	v_div_fixup_f64 v[54:55], v[52:53], v[54:55], 1.0
	v_mul_f64 v[52:53], v[68:69], v[54:55]
	v_xor_b32_e32 v55, 0x80000000, v55
.LBB24_133:
	s_andn2_saveexec_b64 s[16:17], s[16:17]
	s_cbranch_execz .LBB24_135
; %bb.134:
	v_div_scale_f64 v[68:69], s[18:19], v[52:53], v[52:53], v[54:55]
	v_rcp_f64_e32 v[70:71], v[68:69]
	v_div_scale_f64 v[72:73], vcc, v[54:55], v[52:53], v[54:55]
	v_fma_f64 v[74:75], -v[68:69], v[70:71], 1.0
	v_fmac_f64_e32 v[70:71], v[70:71], v[74:75]
	v_fma_f64 v[74:75], -v[68:69], v[70:71], 1.0
	v_fmac_f64_e32 v[70:71], v[70:71], v[74:75]
	v_mul_f64 v[74:75], v[72:73], v[70:71]
	v_fma_f64 v[68:69], -v[68:69], v[74:75], v[72:73]
	v_div_fmas_f64 v[68:69], v[68:69], v[70:71], v[74:75]
	v_div_fixup_f64 v[68:69], v[68:69], v[52:53], v[54:55]
	v_fmac_f64_e32 v[52:53], v[54:55], v[68:69]
	v_div_scale_f64 v[54:55], s[18:19], v[52:53], v[52:53], 1.0
	v_rcp_f64_e32 v[70:71], v[54:55]
	s_nop 0
	v_fma_f64 v[72:73], -v[54:55], v[70:71], 1.0
	v_fmac_f64_e32 v[70:71], v[70:71], v[72:73]
	v_fma_f64 v[72:73], -v[54:55], v[70:71], 1.0
	v_fmac_f64_e32 v[70:71], v[70:71], v[72:73]
	v_div_scale_f64 v[72:73], vcc, 1.0, v[52:53], 1.0
	v_mul_f64 v[74:75], v[72:73], v[70:71]
	v_fma_f64 v[54:55], -v[54:55], v[74:75], v[72:73]
	s_nop 1
	v_div_fmas_f64 v[54:55], v[54:55], v[70:71], v[74:75]
	v_div_fixup_f64 v[52:53], v[54:55], v[52:53], 1.0
	v_mul_f64 v[54:55], v[68:69], -v[52:53]
.LBB24_135:
	s_or_b64 exec, exec, s[16:17]
.LBB24_136:
	s_or_b64 exec, exec, s[0:1]
	v_cmp_ne_u32_e32 vcc, v63, v62
	s_and_saveexec_b64 s[0:1], vcc
	s_xor_b64 s[0:1], exec, s[0:1]
	s_cbranch_execz .LBB24_142
; %bb.137:
	v_cmp_eq_u32_e32 vcc, 6, v63
	s_and_saveexec_b64 s[16:17], vcc
	s_cbranch_execz .LBB24_141
; %bb.138:
	v_cmp_ne_u32_e32 vcc, 6, v62
	s_xor_b64 s[18:19], s[14:15], -1
	s_and_b64 s[22:23], s[18:19], vcc
	s_and_saveexec_b64 s[18:19], s[22:23]
	s_cbranch_execz .LBB24_140
; %bb.139:
	v_ashrrev_i32_e32 v63, 31, v62
	v_lshl_add_u64 v[68:69], v[62:63], 2, v[60:61]
	global_load_dword v63, v[68:69], off
	global_load_dword v65, v[60:61], off offset:24
	s_waitcnt vmcnt(1)
	global_store_dword v[60:61], v63, off offset:24
	s_waitcnt vmcnt(1)
	global_store_dword v[68:69], v65, off
.LBB24_140:
	s_or_b64 exec, exec, s[18:19]
	v_mov_b32_e32 v63, v62
	v_mov_b32_e32 v66, v62
.LBB24_141:
	s_or_b64 exec, exec, s[16:17]
.LBB24_142:
	s_andn2_saveexec_b64 s[0:1], s[0:1]
	s_cbranch_execz .LBB24_144
; %bb.143:
	v_mov_b32_e32 v63, 6
	s_waitcnt vmcnt(5)
	ds_write2_b64 v64, v[16:17], v[18:19] offset0:14 offset1:15
	s_waitcnt vmcnt(4)
	ds_write2_b64 v64, v[12:13], v[14:15] offset0:16 offset1:17
	s_waitcnt vmcnt(3)
	ds_write2_b64 v64, v[8:9], v[10:11] offset0:18 offset1:19
	s_waitcnt vmcnt(2)
	ds_write2_b64 v64, v[4:5], v[6:7] offset0:20 offset1:21
	s_waitcnt vmcnt(1)
	ds_write2_b64 v64, v[0:1], v[2:3] offset0:22 offset1:23
	s_waitcnt vmcnt(0)
	ds_write2_b64 v64, v[48:49], v[50:51] offset0:24 offset1:25
.LBB24_144:
	s_or_b64 exec, exec, s[0:1]
	v_cmp_lt_i32_e32 vcc, 6, v63
	s_waitcnt lgkmcnt(0)
	s_barrier
	s_and_saveexec_b64 s[0:1], vcc
	s_cbranch_execz .LBB24_146
; %bb.145:
	ds_read2_b64 v[68:71], v64 offset0:14 offset1:15
	v_mul_f64 v[72:73], v[52:53], v[22:23]
	v_mul_f64 v[22:23], v[54:55], v[22:23]
	v_fmac_f64_e32 v[72:73], v[54:55], v[20:21]
	v_fma_f64 v[20:21], v[52:53], v[20:21], -v[22:23]
	ds_read2_b64 v[52:55], v64 offset0:16 offset1:17
	s_waitcnt lgkmcnt(1)
	v_mul_f64 v[22:23], v[70:71], v[72:73]
	v_fma_f64 v[22:23], v[68:69], v[20:21], -v[22:23]
	v_mul_f64 v[68:69], v[68:69], v[72:73]
	v_fmac_f64_e32 v[68:69], v[70:71], v[20:21]
	s_waitcnt vmcnt(5)
	v_add_f64 v[16:17], v[16:17], -v[22:23]
	s_waitcnt lgkmcnt(0)
	v_mul_f64 v[22:23], v[54:55], v[72:73]
	v_add_f64 v[18:19], v[18:19], -v[68:69]
	v_fma_f64 v[22:23], v[52:53], v[20:21], -v[22:23]
	v_mul_f64 v[52:53], v[52:53], v[72:73]
	ds_read2_b64 v[68:71], v64 offset0:18 offset1:19
	v_fmac_f64_e32 v[52:53], v[54:55], v[20:21]
	s_waitcnt vmcnt(4)
	v_add_f64 v[14:15], v[14:15], -v[52:53]
	ds_read2_b64 v[52:55], v64 offset0:20 offset1:21
	v_add_f64 v[12:13], v[12:13], -v[22:23]
	s_waitcnt lgkmcnt(1)
	v_mul_f64 v[22:23], v[70:71], v[72:73]
	v_fma_f64 v[22:23], v[68:69], v[20:21], -v[22:23]
	v_mul_f64 v[68:69], v[68:69], v[72:73]
	v_fmac_f64_e32 v[68:69], v[70:71], v[20:21]
	s_waitcnt vmcnt(3)
	v_add_f64 v[8:9], v[8:9], -v[22:23]
	s_waitcnt lgkmcnt(0)
	v_mul_f64 v[22:23], v[54:55], v[72:73]
	v_add_f64 v[10:11], v[10:11], -v[68:69]
	v_fma_f64 v[22:23], v[52:53], v[20:21], -v[22:23]
	v_mul_f64 v[52:53], v[52:53], v[72:73]
	ds_read2_b64 v[68:71], v64 offset0:22 offset1:23
	v_fmac_f64_e32 v[52:53], v[54:55], v[20:21]
	s_waitcnt vmcnt(2)
	v_add_f64 v[6:7], v[6:7], -v[52:53]
	ds_read2_b64 v[52:55], v64 offset0:24 offset1:25
	v_add_f64 v[4:5], v[4:5], -v[22:23]
	s_waitcnt lgkmcnt(1)
	v_mul_f64 v[22:23], v[70:71], v[72:73]
	v_fma_f64 v[22:23], v[68:69], v[20:21], -v[22:23]
	s_waitcnt vmcnt(1)
	v_add_f64 v[0:1], v[0:1], -v[22:23]
	s_waitcnt lgkmcnt(0)
	v_mul_f64 v[22:23], v[54:55], v[72:73]
	v_mul_f64 v[68:69], v[68:69], v[72:73]
	v_fma_f64 v[22:23], v[52:53], v[20:21], -v[22:23]
	v_mul_f64 v[52:53], v[52:53], v[72:73]
	v_fmac_f64_e32 v[68:69], v[70:71], v[20:21]
	v_fmac_f64_e32 v[52:53], v[54:55], v[20:21]
	v_add_f64 v[2:3], v[2:3], -v[68:69]
	s_waitcnt vmcnt(0)
	v_add_f64 v[48:49], v[48:49], -v[22:23]
	v_add_f64 v[50:51], v[50:51], -v[52:53]
	v_mov_b64_e32 v[22:23], v[72:73]
.LBB24_146:
	s_or_b64 exec, exec, s[0:1]
	v_lshl_add_u32 v52, v63, 4, v64
	s_barrier
	s_waitcnt vmcnt(5)
	ds_write2_b64 v52, v[16:17], v[18:19] offset1:1
	s_waitcnt lgkmcnt(0)
	s_barrier
	ds_read2_b64 v[52:55], v64 offset0:14 offset1:15
	s_cmp_lt_i32 s20, 9
	v_mov_b32_e32 v62, 7
	s_cbranch_scc1 .LBB24_149
; %bb.147:
	v_add_u32_e32 v65, 0x80, v64
	s_mov_b32 s16, 8
	v_mov_b32_e32 v62, 7
.LBB24_148:                             ; =>This Inner Loop Header: Depth=1
	ds_read2_b64 v[68:71], v65 offset1:1
	s_waitcnt lgkmcnt(1)
	v_xor_b32_e32 v73, 0x80000000, v53
	v_xor_b32_e32 v75, 0x80000000, v55
	v_cmp_gt_f64_e32 vcc, 0, v[54:55]
	v_cmp_gt_f64_e64 s[0:1], 0, v[52:53]
	v_mov_b32_e32 v72, v52
	v_mov_b32_e32 v74, v54
	v_cndmask_b32_e64 v73, v53, v73, s[0:1]
	v_cndmask_b32_e32 v75, v55, v75, vcc
	v_add_f64 v[72:73], v[72:73], v[74:75]
	s_waitcnt lgkmcnt(0)
	v_xor_b32_e32 v75, 0x80000000, v69
	v_xor_b32_e32 v77, 0x80000000, v71
	v_cmp_gt_f64_e32 vcc, 0, v[70:71]
	v_cmp_gt_f64_e64 s[0:1], 0, v[68:69]
	v_mov_b32_e32 v74, v68
	v_mov_b32_e32 v76, v70
	v_cndmask_b32_e64 v75, v69, v75, s[0:1]
	v_cndmask_b32_e32 v77, v71, v77, vcc
	v_add_f64 v[74:75], v[74:75], v[76:77]
	v_mov_b32_e32 v78, s16
	s_add_i32 s16, s16, 1
	v_cmp_lt_f64_e32 vcc, v[72:73], v[74:75]
	v_add_u32_e32 v65, 16, v65
	s_cmp_lg_u32 s20, s16
	v_cndmask_b32_e32 v53, v53, v69, vcc
	v_cndmask_b32_e32 v52, v52, v68, vcc
	;; [unrolled: 1-line block ×5, first 2 shown]
	s_cbranch_scc1 .LBB24_148
.LBB24_149:
	s_waitcnt lgkmcnt(0)
	v_cmp_eq_f64_e32 vcc, 0, v[52:53]
	v_cmp_eq_f64_e64 s[0:1], 0, v[54:55]
	s_and_b64 s[0:1], vcc, s[0:1]
	s_and_saveexec_b64 s[16:17], s[0:1]
	s_xor_b64 s[0:1], exec, s[16:17]
; %bb.150:
	v_cmp_ne_u32_e32 vcc, 0, v67
	s_nop 1
	v_cndmask_b32_e32 v67, 8, v67, vcc
; %bb.151:
	s_andn2_saveexec_b64 s[0:1], s[0:1]
	s_cbranch_execz .LBB24_157
; %bb.152:
	v_cmp_ngt_f64_e64 s[16:17], |v[52:53]|, |v[54:55]|
	s_and_saveexec_b64 s[18:19], s[16:17]
	s_xor_b64 s[16:17], exec, s[18:19]
	s_cbranch_execz .LBB24_154
; %bb.153:
	v_div_scale_f64 v[68:69], s[18:19], v[54:55], v[54:55], v[52:53]
	v_rcp_f64_e32 v[70:71], v[68:69]
	v_div_scale_f64 v[72:73], vcc, v[52:53], v[54:55], v[52:53]
	v_fma_f64 v[74:75], -v[68:69], v[70:71], 1.0
	v_fmac_f64_e32 v[70:71], v[70:71], v[74:75]
	v_fma_f64 v[74:75], -v[68:69], v[70:71], 1.0
	v_fmac_f64_e32 v[70:71], v[70:71], v[74:75]
	v_mul_f64 v[74:75], v[72:73], v[70:71]
	v_fma_f64 v[68:69], -v[68:69], v[74:75], v[72:73]
	v_div_fmas_f64 v[68:69], v[68:69], v[70:71], v[74:75]
	v_div_fixup_f64 v[68:69], v[68:69], v[54:55], v[52:53]
	v_fmac_f64_e32 v[54:55], v[52:53], v[68:69]
	v_div_scale_f64 v[52:53], s[18:19], v[54:55], v[54:55], 1.0
	v_rcp_f64_e32 v[70:71], v[52:53]
	s_nop 0
	v_fma_f64 v[72:73], -v[52:53], v[70:71], 1.0
	v_fmac_f64_e32 v[70:71], v[70:71], v[72:73]
	v_fma_f64 v[72:73], -v[52:53], v[70:71], 1.0
	v_fmac_f64_e32 v[70:71], v[70:71], v[72:73]
	v_div_scale_f64 v[72:73], vcc, 1.0, v[54:55], 1.0
	v_mul_f64 v[74:75], v[72:73], v[70:71]
	v_fma_f64 v[52:53], -v[52:53], v[74:75], v[72:73]
	s_nop 1
	v_div_fmas_f64 v[52:53], v[52:53], v[70:71], v[74:75]
	v_div_fixup_f64 v[54:55], v[52:53], v[54:55], 1.0
	v_mul_f64 v[52:53], v[68:69], v[54:55]
	v_xor_b32_e32 v55, 0x80000000, v55
.LBB24_154:
	s_andn2_saveexec_b64 s[16:17], s[16:17]
	s_cbranch_execz .LBB24_156
; %bb.155:
	v_div_scale_f64 v[68:69], s[18:19], v[52:53], v[52:53], v[54:55]
	v_rcp_f64_e32 v[70:71], v[68:69]
	v_div_scale_f64 v[72:73], vcc, v[54:55], v[52:53], v[54:55]
	v_fma_f64 v[74:75], -v[68:69], v[70:71], 1.0
	v_fmac_f64_e32 v[70:71], v[70:71], v[74:75]
	v_fma_f64 v[74:75], -v[68:69], v[70:71], 1.0
	v_fmac_f64_e32 v[70:71], v[70:71], v[74:75]
	v_mul_f64 v[74:75], v[72:73], v[70:71]
	v_fma_f64 v[68:69], -v[68:69], v[74:75], v[72:73]
	v_div_fmas_f64 v[68:69], v[68:69], v[70:71], v[74:75]
	v_div_fixup_f64 v[68:69], v[68:69], v[52:53], v[54:55]
	v_fmac_f64_e32 v[52:53], v[54:55], v[68:69]
	v_div_scale_f64 v[54:55], s[18:19], v[52:53], v[52:53], 1.0
	v_rcp_f64_e32 v[70:71], v[54:55]
	s_nop 0
	v_fma_f64 v[72:73], -v[54:55], v[70:71], 1.0
	v_fmac_f64_e32 v[70:71], v[70:71], v[72:73]
	v_fma_f64 v[72:73], -v[54:55], v[70:71], 1.0
	v_fmac_f64_e32 v[70:71], v[70:71], v[72:73]
	v_div_scale_f64 v[72:73], vcc, 1.0, v[52:53], 1.0
	v_mul_f64 v[74:75], v[72:73], v[70:71]
	v_fma_f64 v[54:55], -v[54:55], v[74:75], v[72:73]
	s_nop 1
	v_div_fmas_f64 v[54:55], v[54:55], v[70:71], v[74:75]
	v_div_fixup_f64 v[52:53], v[54:55], v[52:53], 1.0
	v_mul_f64 v[54:55], v[68:69], -v[52:53]
.LBB24_156:
	s_or_b64 exec, exec, s[16:17]
.LBB24_157:
	s_or_b64 exec, exec, s[0:1]
	v_cmp_ne_u32_e32 vcc, v63, v62
	s_and_saveexec_b64 s[0:1], vcc
	s_xor_b64 s[0:1], exec, s[0:1]
	s_cbranch_execz .LBB24_163
; %bb.158:
	v_cmp_eq_u32_e32 vcc, 7, v63
	s_and_saveexec_b64 s[16:17], vcc
	s_cbranch_execz .LBB24_162
; %bb.159:
	v_cmp_ne_u32_e32 vcc, 7, v62
	s_xor_b64 s[18:19], s[14:15], -1
	s_and_b64 s[22:23], s[18:19], vcc
	s_and_saveexec_b64 s[18:19], s[22:23]
	s_cbranch_execz .LBB24_161
; %bb.160:
	v_ashrrev_i32_e32 v63, 31, v62
	v_lshl_add_u64 v[68:69], v[62:63], 2, v[60:61]
	global_load_dword v63, v[68:69], off
	global_load_dword v65, v[60:61], off offset:28
	s_waitcnt vmcnt(1)
	global_store_dword v[60:61], v63, off offset:28
	s_waitcnt vmcnt(1)
	global_store_dword v[68:69], v65, off
.LBB24_161:
	s_or_b64 exec, exec, s[18:19]
	v_mov_b32_e32 v63, v62
	v_mov_b32_e32 v66, v62
.LBB24_162:
	s_or_b64 exec, exec, s[16:17]
.LBB24_163:
	s_andn2_saveexec_b64 s[0:1], s[0:1]
	s_cbranch_execz .LBB24_165
; %bb.164:
	v_mov_b32_e32 v63, 7
	s_waitcnt vmcnt(4)
	ds_write2_b64 v64, v[12:13], v[14:15] offset0:16 offset1:17
	s_waitcnt vmcnt(3)
	ds_write2_b64 v64, v[8:9], v[10:11] offset0:18 offset1:19
	;; [unrolled: 2-line block ×5, first 2 shown]
.LBB24_165:
	s_or_b64 exec, exec, s[0:1]
	v_cmp_lt_i32_e32 vcc, 7, v63
	s_waitcnt lgkmcnt(0)
	s_barrier
	s_and_saveexec_b64 s[0:1], vcc
	s_cbranch_execz .LBB24_167
; %bb.166:
	ds_read2_b64 v[68:71], v64 offset0:16 offset1:17
	v_mul_f64 v[72:73], v[52:53], v[18:19]
	v_fmac_f64_e32 v[72:73], v[54:55], v[16:17]
	v_mul_f64 v[18:19], v[54:55], v[18:19]
	v_fma_f64 v[16:17], v[52:53], v[16:17], -v[18:19]
	ds_read2_b64 v[52:55], v64 offset0:18 offset1:19
	s_waitcnt lgkmcnt(1)
	v_mul_f64 v[18:19], v[70:71], v[72:73]
	v_fma_f64 v[18:19], v[68:69], v[16:17], -v[18:19]
	v_mul_f64 v[68:69], v[68:69], v[72:73]
	v_fmac_f64_e32 v[68:69], v[70:71], v[16:17]
	s_waitcnt vmcnt(4)
	v_add_f64 v[14:15], v[14:15], -v[68:69]
	ds_read2_b64 v[68:71], v64 offset0:20 offset1:21
	v_add_f64 v[12:13], v[12:13], -v[18:19]
	s_waitcnt lgkmcnt(1)
	v_mul_f64 v[18:19], v[54:55], v[72:73]
	v_fma_f64 v[18:19], v[52:53], v[16:17], -v[18:19]
	v_mul_f64 v[52:53], v[52:53], v[72:73]
	v_fmac_f64_e32 v[52:53], v[54:55], v[16:17]
	s_waitcnt vmcnt(3)
	v_add_f64 v[8:9], v[8:9], -v[18:19]
	v_add_f64 v[10:11], v[10:11], -v[52:53]
	ds_read2_b64 v[52:55], v64 offset0:22 offset1:23
	s_waitcnt lgkmcnt(1)
	v_mul_f64 v[18:19], v[70:71], v[72:73]
	v_fma_f64 v[18:19], v[68:69], v[16:17], -v[18:19]
	v_mul_f64 v[68:69], v[68:69], v[72:73]
	v_fmac_f64_e32 v[68:69], v[70:71], v[16:17]
	s_waitcnt vmcnt(2)
	v_add_f64 v[6:7], v[6:7], -v[68:69]
	ds_read2_b64 v[68:71], v64 offset0:24 offset1:25
	v_add_f64 v[4:5], v[4:5], -v[18:19]
	s_waitcnt lgkmcnt(1)
	v_mul_f64 v[18:19], v[54:55], v[72:73]
	v_fma_f64 v[18:19], v[52:53], v[16:17], -v[18:19]
	v_mul_f64 v[52:53], v[52:53], v[72:73]
	v_fmac_f64_e32 v[52:53], v[54:55], v[16:17]
	s_waitcnt vmcnt(1)
	v_add_f64 v[0:1], v[0:1], -v[18:19]
	v_add_f64 v[2:3], v[2:3], -v[52:53]
	s_waitcnt lgkmcnt(0)
	v_mul_f64 v[18:19], v[70:71], v[72:73]
	v_mul_f64 v[52:53], v[68:69], v[72:73]
	v_fma_f64 v[18:19], v[68:69], v[16:17], -v[18:19]
	v_fmac_f64_e32 v[52:53], v[70:71], v[16:17]
	s_waitcnt vmcnt(0)
	v_add_f64 v[48:49], v[48:49], -v[18:19]
	v_add_f64 v[50:51], v[50:51], -v[52:53]
	v_mov_b64_e32 v[18:19], v[72:73]
.LBB24_167:
	s_or_b64 exec, exec, s[0:1]
	v_lshl_add_u32 v52, v63, 4, v64
	s_barrier
	s_waitcnt vmcnt(4)
	ds_write2_b64 v52, v[12:13], v[14:15] offset1:1
	s_waitcnt lgkmcnt(0)
	s_barrier
	ds_read2_b64 v[52:55], v64 offset0:16 offset1:17
	s_cmp_lt_i32 s20, 10
	v_mov_b32_e32 v62, 8
	s_cbranch_scc1 .LBB24_170
; %bb.168:
	v_add_u32_e32 v65, 0x90, v64
	s_mov_b32 s16, 9
	v_mov_b32_e32 v62, 8
.LBB24_169:                             ; =>This Inner Loop Header: Depth=1
	ds_read2_b64 v[68:71], v65 offset1:1
	s_waitcnt lgkmcnt(1)
	v_xor_b32_e32 v73, 0x80000000, v53
	v_xor_b32_e32 v75, 0x80000000, v55
	v_cmp_gt_f64_e32 vcc, 0, v[54:55]
	v_cmp_gt_f64_e64 s[0:1], 0, v[52:53]
	v_mov_b32_e32 v72, v52
	v_mov_b32_e32 v74, v54
	v_cndmask_b32_e64 v73, v53, v73, s[0:1]
	v_cndmask_b32_e32 v75, v55, v75, vcc
	v_add_f64 v[72:73], v[72:73], v[74:75]
	s_waitcnt lgkmcnt(0)
	v_xor_b32_e32 v75, 0x80000000, v69
	v_xor_b32_e32 v77, 0x80000000, v71
	v_cmp_gt_f64_e32 vcc, 0, v[70:71]
	v_cmp_gt_f64_e64 s[0:1], 0, v[68:69]
	v_mov_b32_e32 v74, v68
	v_mov_b32_e32 v76, v70
	v_cndmask_b32_e64 v75, v69, v75, s[0:1]
	v_cndmask_b32_e32 v77, v71, v77, vcc
	v_add_f64 v[74:75], v[74:75], v[76:77]
	v_mov_b32_e32 v78, s16
	s_add_i32 s16, s16, 1
	v_cmp_lt_f64_e32 vcc, v[72:73], v[74:75]
	v_add_u32_e32 v65, 16, v65
	s_cmp_lg_u32 s20, s16
	v_cndmask_b32_e32 v53, v53, v69, vcc
	v_cndmask_b32_e32 v52, v52, v68, vcc
	;; [unrolled: 1-line block ×5, first 2 shown]
	s_cbranch_scc1 .LBB24_169
.LBB24_170:
	s_waitcnt lgkmcnt(0)
	v_cmp_eq_f64_e32 vcc, 0, v[52:53]
	v_cmp_eq_f64_e64 s[0:1], 0, v[54:55]
	s_and_b64 s[0:1], vcc, s[0:1]
	s_and_saveexec_b64 s[16:17], s[0:1]
	s_xor_b64 s[0:1], exec, s[16:17]
; %bb.171:
	v_cmp_ne_u32_e32 vcc, 0, v67
	s_nop 1
	v_cndmask_b32_e32 v67, 9, v67, vcc
; %bb.172:
	s_andn2_saveexec_b64 s[0:1], s[0:1]
	s_cbranch_execz .LBB24_178
; %bb.173:
	v_cmp_ngt_f64_e64 s[16:17], |v[52:53]|, |v[54:55]|
	s_and_saveexec_b64 s[18:19], s[16:17]
	s_xor_b64 s[16:17], exec, s[18:19]
	s_cbranch_execz .LBB24_175
; %bb.174:
	v_div_scale_f64 v[68:69], s[18:19], v[54:55], v[54:55], v[52:53]
	v_rcp_f64_e32 v[70:71], v[68:69]
	v_div_scale_f64 v[72:73], vcc, v[52:53], v[54:55], v[52:53]
	v_fma_f64 v[74:75], -v[68:69], v[70:71], 1.0
	v_fmac_f64_e32 v[70:71], v[70:71], v[74:75]
	v_fma_f64 v[74:75], -v[68:69], v[70:71], 1.0
	v_fmac_f64_e32 v[70:71], v[70:71], v[74:75]
	v_mul_f64 v[74:75], v[72:73], v[70:71]
	v_fma_f64 v[68:69], -v[68:69], v[74:75], v[72:73]
	v_div_fmas_f64 v[68:69], v[68:69], v[70:71], v[74:75]
	v_div_fixup_f64 v[68:69], v[68:69], v[54:55], v[52:53]
	v_fmac_f64_e32 v[54:55], v[52:53], v[68:69]
	v_div_scale_f64 v[52:53], s[18:19], v[54:55], v[54:55], 1.0
	v_rcp_f64_e32 v[70:71], v[52:53]
	s_nop 0
	v_fma_f64 v[72:73], -v[52:53], v[70:71], 1.0
	v_fmac_f64_e32 v[70:71], v[70:71], v[72:73]
	v_fma_f64 v[72:73], -v[52:53], v[70:71], 1.0
	v_fmac_f64_e32 v[70:71], v[70:71], v[72:73]
	v_div_scale_f64 v[72:73], vcc, 1.0, v[54:55], 1.0
	v_mul_f64 v[74:75], v[72:73], v[70:71]
	v_fma_f64 v[52:53], -v[52:53], v[74:75], v[72:73]
	s_nop 1
	v_div_fmas_f64 v[52:53], v[52:53], v[70:71], v[74:75]
	v_div_fixup_f64 v[54:55], v[52:53], v[54:55], 1.0
	v_mul_f64 v[52:53], v[68:69], v[54:55]
	v_xor_b32_e32 v55, 0x80000000, v55
.LBB24_175:
	s_andn2_saveexec_b64 s[16:17], s[16:17]
	s_cbranch_execz .LBB24_177
; %bb.176:
	v_div_scale_f64 v[68:69], s[18:19], v[52:53], v[52:53], v[54:55]
	v_rcp_f64_e32 v[70:71], v[68:69]
	v_div_scale_f64 v[72:73], vcc, v[54:55], v[52:53], v[54:55]
	v_fma_f64 v[74:75], -v[68:69], v[70:71], 1.0
	v_fmac_f64_e32 v[70:71], v[70:71], v[74:75]
	v_fma_f64 v[74:75], -v[68:69], v[70:71], 1.0
	v_fmac_f64_e32 v[70:71], v[70:71], v[74:75]
	v_mul_f64 v[74:75], v[72:73], v[70:71]
	v_fma_f64 v[68:69], -v[68:69], v[74:75], v[72:73]
	v_div_fmas_f64 v[68:69], v[68:69], v[70:71], v[74:75]
	v_div_fixup_f64 v[68:69], v[68:69], v[52:53], v[54:55]
	v_fmac_f64_e32 v[52:53], v[54:55], v[68:69]
	v_div_scale_f64 v[54:55], s[18:19], v[52:53], v[52:53], 1.0
	v_rcp_f64_e32 v[70:71], v[54:55]
	s_nop 0
	v_fma_f64 v[72:73], -v[54:55], v[70:71], 1.0
	v_fmac_f64_e32 v[70:71], v[70:71], v[72:73]
	v_fma_f64 v[72:73], -v[54:55], v[70:71], 1.0
	v_fmac_f64_e32 v[70:71], v[70:71], v[72:73]
	v_div_scale_f64 v[72:73], vcc, 1.0, v[52:53], 1.0
	v_mul_f64 v[74:75], v[72:73], v[70:71]
	v_fma_f64 v[54:55], -v[54:55], v[74:75], v[72:73]
	s_nop 1
	v_div_fmas_f64 v[54:55], v[54:55], v[70:71], v[74:75]
	v_div_fixup_f64 v[52:53], v[54:55], v[52:53], 1.0
	v_mul_f64 v[54:55], v[68:69], -v[52:53]
.LBB24_177:
	s_or_b64 exec, exec, s[16:17]
.LBB24_178:
	s_or_b64 exec, exec, s[0:1]
	v_cmp_ne_u32_e32 vcc, v63, v62
	s_and_saveexec_b64 s[0:1], vcc
	s_xor_b64 s[0:1], exec, s[0:1]
	s_cbranch_execz .LBB24_184
; %bb.179:
	v_cmp_eq_u32_e32 vcc, 8, v63
	s_and_saveexec_b64 s[16:17], vcc
	s_cbranch_execz .LBB24_183
; %bb.180:
	v_cmp_ne_u32_e32 vcc, 8, v62
	s_xor_b64 s[18:19], s[14:15], -1
	s_and_b64 s[22:23], s[18:19], vcc
	s_and_saveexec_b64 s[18:19], s[22:23]
	s_cbranch_execz .LBB24_182
; %bb.181:
	v_ashrrev_i32_e32 v63, 31, v62
	v_lshl_add_u64 v[68:69], v[62:63], 2, v[60:61]
	global_load_dword v63, v[68:69], off
	global_load_dword v65, v[60:61], off offset:32
	s_waitcnt vmcnt(1)
	global_store_dword v[60:61], v63, off offset:32
	s_waitcnt vmcnt(1)
	global_store_dword v[68:69], v65, off
.LBB24_182:
	s_or_b64 exec, exec, s[18:19]
	v_mov_b32_e32 v63, v62
	v_mov_b32_e32 v66, v62
.LBB24_183:
	s_or_b64 exec, exec, s[16:17]
.LBB24_184:
	s_andn2_saveexec_b64 s[0:1], s[0:1]
	s_cbranch_execz .LBB24_186
; %bb.185:
	v_mov_b32_e32 v63, 8
	s_waitcnt vmcnt(3)
	ds_write2_b64 v64, v[8:9], v[10:11] offset0:18 offset1:19
	s_waitcnt vmcnt(2)
	ds_write2_b64 v64, v[4:5], v[6:7] offset0:20 offset1:21
	;; [unrolled: 2-line block ×4, first 2 shown]
.LBB24_186:
	s_or_b64 exec, exec, s[0:1]
	v_cmp_lt_i32_e32 vcc, 8, v63
	s_waitcnt lgkmcnt(0)
	s_barrier
	s_and_saveexec_b64 s[0:1], vcc
	s_cbranch_execz .LBB24_188
; %bb.187:
	ds_read2_b64 v[68:71], v64 offset0:18 offset1:19
	v_mul_f64 v[72:73], v[52:53], v[14:15]
	v_mul_f64 v[14:15], v[54:55], v[14:15]
	v_fmac_f64_e32 v[72:73], v[54:55], v[12:13]
	v_fma_f64 v[12:13], v[52:53], v[12:13], -v[14:15]
	ds_read2_b64 v[52:55], v64 offset0:20 offset1:21
	s_waitcnt lgkmcnt(1)
	v_mul_f64 v[14:15], v[70:71], v[72:73]
	v_fma_f64 v[14:15], v[68:69], v[12:13], -v[14:15]
	v_mul_f64 v[68:69], v[68:69], v[72:73]
	v_fmac_f64_e32 v[68:69], v[70:71], v[12:13]
	s_waitcnt vmcnt(3)
	v_add_f64 v[8:9], v[8:9], -v[14:15]
	s_waitcnt lgkmcnt(0)
	v_mul_f64 v[14:15], v[54:55], v[72:73]
	v_add_f64 v[10:11], v[10:11], -v[68:69]
	v_fma_f64 v[14:15], v[52:53], v[12:13], -v[14:15]
	v_mul_f64 v[52:53], v[52:53], v[72:73]
	ds_read2_b64 v[68:71], v64 offset0:22 offset1:23
	v_fmac_f64_e32 v[52:53], v[54:55], v[12:13]
	s_waitcnt vmcnt(2)
	v_add_f64 v[6:7], v[6:7], -v[52:53]
	ds_read2_b64 v[52:55], v64 offset0:24 offset1:25
	v_add_f64 v[4:5], v[4:5], -v[14:15]
	s_waitcnt lgkmcnt(1)
	v_mul_f64 v[14:15], v[70:71], v[72:73]
	v_fma_f64 v[14:15], v[68:69], v[12:13], -v[14:15]
	s_waitcnt vmcnt(1)
	v_add_f64 v[0:1], v[0:1], -v[14:15]
	s_waitcnt lgkmcnt(0)
	v_mul_f64 v[14:15], v[54:55], v[72:73]
	v_mul_f64 v[68:69], v[68:69], v[72:73]
	v_fma_f64 v[14:15], v[52:53], v[12:13], -v[14:15]
	v_mul_f64 v[52:53], v[52:53], v[72:73]
	v_fmac_f64_e32 v[68:69], v[70:71], v[12:13]
	v_fmac_f64_e32 v[52:53], v[54:55], v[12:13]
	v_add_f64 v[2:3], v[2:3], -v[68:69]
	s_waitcnt vmcnt(0)
	v_add_f64 v[48:49], v[48:49], -v[14:15]
	v_add_f64 v[50:51], v[50:51], -v[52:53]
	v_mov_b64_e32 v[14:15], v[72:73]
.LBB24_188:
	s_or_b64 exec, exec, s[0:1]
	v_lshl_add_u32 v52, v63, 4, v64
	s_barrier
	s_waitcnt vmcnt(3)
	ds_write2_b64 v52, v[8:9], v[10:11] offset1:1
	s_waitcnt lgkmcnt(0)
	s_barrier
	ds_read2_b64 v[52:55], v64 offset0:18 offset1:19
	s_cmp_lt_i32 s20, 11
	v_mov_b32_e32 v62, 9
	s_cbranch_scc1 .LBB24_191
; %bb.189:
	v_add_u32_e32 v65, 0xa0, v64
	s_mov_b32 s16, 10
	v_mov_b32_e32 v62, 9
.LBB24_190:                             ; =>This Inner Loop Header: Depth=1
	ds_read2_b64 v[68:71], v65 offset1:1
	s_waitcnt lgkmcnt(1)
	v_xor_b32_e32 v73, 0x80000000, v53
	v_xor_b32_e32 v75, 0x80000000, v55
	v_cmp_gt_f64_e32 vcc, 0, v[54:55]
	v_cmp_gt_f64_e64 s[0:1], 0, v[52:53]
	v_mov_b32_e32 v72, v52
	v_mov_b32_e32 v74, v54
	v_cndmask_b32_e64 v73, v53, v73, s[0:1]
	v_cndmask_b32_e32 v75, v55, v75, vcc
	v_add_f64 v[72:73], v[72:73], v[74:75]
	s_waitcnt lgkmcnt(0)
	v_xor_b32_e32 v75, 0x80000000, v69
	v_xor_b32_e32 v77, 0x80000000, v71
	v_cmp_gt_f64_e32 vcc, 0, v[70:71]
	v_cmp_gt_f64_e64 s[0:1], 0, v[68:69]
	v_mov_b32_e32 v74, v68
	v_mov_b32_e32 v76, v70
	v_cndmask_b32_e64 v75, v69, v75, s[0:1]
	v_cndmask_b32_e32 v77, v71, v77, vcc
	v_add_f64 v[74:75], v[74:75], v[76:77]
	v_mov_b32_e32 v78, s16
	s_add_i32 s16, s16, 1
	v_cmp_lt_f64_e32 vcc, v[72:73], v[74:75]
	v_add_u32_e32 v65, 16, v65
	s_cmp_lg_u32 s20, s16
	v_cndmask_b32_e32 v53, v53, v69, vcc
	v_cndmask_b32_e32 v52, v52, v68, vcc
	;; [unrolled: 1-line block ×5, first 2 shown]
	s_cbranch_scc1 .LBB24_190
.LBB24_191:
	s_waitcnt lgkmcnt(0)
	v_cmp_eq_f64_e32 vcc, 0, v[52:53]
	v_cmp_eq_f64_e64 s[0:1], 0, v[54:55]
	s_and_b64 s[0:1], vcc, s[0:1]
	s_and_saveexec_b64 s[16:17], s[0:1]
	s_xor_b64 s[0:1], exec, s[16:17]
; %bb.192:
	v_cmp_ne_u32_e32 vcc, 0, v67
	s_nop 1
	v_cndmask_b32_e32 v67, 10, v67, vcc
; %bb.193:
	s_andn2_saveexec_b64 s[0:1], s[0:1]
	s_cbranch_execz .LBB24_199
; %bb.194:
	v_cmp_ngt_f64_e64 s[16:17], |v[52:53]|, |v[54:55]|
	s_and_saveexec_b64 s[18:19], s[16:17]
	s_xor_b64 s[16:17], exec, s[18:19]
	s_cbranch_execz .LBB24_196
; %bb.195:
	v_div_scale_f64 v[68:69], s[18:19], v[54:55], v[54:55], v[52:53]
	v_rcp_f64_e32 v[70:71], v[68:69]
	v_div_scale_f64 v[72:73], vcc, v[52:53], v[54:55], v[52:53]
	v_fma_f64 v[74:75], -v[68:69], v[70:71], 1.0
	v_fmac_f64_e32 v[70:71], v[70:71], v[74:75]
	v_fma_f64 v[74:75], -v[68:69], v[70:71], 1.0
	v_fmac_f64_e32 v[70:71], v[70:71], v[74:75]
	v_mul_f64 v[74:75], v[72:73], v[70:71]
	v_fma_f64 v[68:69], -v[68:69], v[74:75], v[72:73]
	v_div_fmas_f64 v[68:69], v[68:69], v[70:71], v[74:75]
	v_div_fixup_f64 v[68:69], v[68:69], v[54:55], v[52:53]
	v_fmac_f64_e32 v[54:55], v[52:53], v[68:69]
	v_div_scale_f64 v[52:53], s[18:19], v[54:55], v[54:55], 1.0
	v_rcp_f64_e32 v[70:71], v[52:53]
	s_nop 0
	v_fma_f64 v[72:73], -v[52:53], v[70:71], 1.0
	v_fmac_f64_e32 v[70:71], v[70:71], v[72:73]
	v_fma_f64 v[72:73], -v[52:53], v[70:71], 1.0
	v_fmac_f64_e32 v[70:71], v[70:71], v[72:73]
	v_div_scale_f64 v[72:73], vcc, 1.0, v[54:55], 1.0
	v_mul_f64 v[74:75], v[72:73], v[70:71]
	v_fma_f64 v[52:53], -v[52:53], v[74:75], v[72:73]
	s_nop 1
	v_div_fmas_f64 v[52:53], v[52:53], v[70:71], v[74:75]
	v_div_fixup_f64 v[54:55], v[52:53], v[54:55], 1.0
	v_mul_f64 v[52:53], v[68:69], v[54:55]
	v_xor_b32_e32 v55, 0x80000000, v55
.LBB24_196:
	s_andn2_saveexec_b64 s[16:17], s[16:17]
	s_cbranch_execz .LBB24_198
; %bb.197:
	v_div_scale_f64 v[68:69], s[18:19], v[52:53], v[52:53], v[54:55]
	v_rcp_f64_e32 v[70:71], v[68:69]
	v_div_scale_f64 v[72:73], vcc, v[54:55], v[52:53], v[54:55]
	v_fma_f64 v[74:75], -v[68:69], v[70:71], 1.0
	v_fmac_f64_e32 v[70:71], v[70:71], v[74:75]
	v_fma_f64 v[74:75], -v[68:69], v[70:71], 1.0
	v_fmac_f64_e32 v[70:71], v[70:71], v[74:75]
	v_mul_f64 v[74:75], v[72:73], v[70:71]
	v_fma_f64 v[68:69], -v[68:69], v[74:75], v[72:73]
	v_div_fmas_f64 v[68:69], v[68:69], v[70:71], v[74:75]
	v_div_fixup_f64 v[68:69], v[68:69], v[52:53], v[54:55]
	v_fmac_f64_e32 v[52:53], v[54:55], v[68:69]
	v_div_scale_f64 v[54:55], s[18:19], v[52:53], v[52:53], 1.0
	v_rcp_f64_e32 v[70:71], v[54:55]
	s_nop 0
	v_fma_f64 v[72:73], -v[54:55], v[70:71], 1.0
	v_fmac_f64_e32 v[70:71], v[70:71], v[72:73]
	v_fma_f64 v[72:73], -v[54:55], v[70:71], 1.0
	v_fmac_f64_e32 v[70:71], v[70:71], v[72:73]
	v_div_scale_f64 v[72:73], vcc, 1.0, v[52:53], 1.0
	v_mul_f64 v[74:75], v[72:73], v[70:71]
	v_fma_f64 v[54:55], -v[54:55], v[74:75], v[72:73]
	s_nop 1
	v_div_fmas_f64 v[54:55], v[54:55], v[70:71], v[74:75]
	v_div_fixup_f64 v[52:53], v[54:55], v[52:53], 1.0
	v_mul_f64 v[54:55], v[68:69], -v[52:53]
.LBB24_198:
	s_or_b64 exec, exec, s[16:17]
.LBB24_199:
	s_or_b64 exec, exec, s[0:1]
	v_cmp_ne_u32_e32 vcc, v63, v62
	s_and_saveexec_b64 s[0:1], vcc
	s_xor_b64 s[0:1], exec, s[0:1]
	s_cbranch_execz .LBB24_205
; %bb.200:
	v_cmp_eq_u32_e32 vcc, 9, v63
	s_and_saveexec_b64 s[16:17], vcc
	s_cbranch_execz .LBB24_204
; %bb.201:
	v_cmp_ne_u32_e32 vcc, 9, v62
	s_xor_b64 s[18:19], s[14:15], -1
	s_and_b64 s[22:23], s[18:19], vcc
	s_and_saveexec_b64 s[18:19], s[22:23]
	s_cbranch_execz .LBB24_203
; %bb.202:
	v_ashrrev_i32_e32 v63, 31, v62
	v_lshl_add_u64 v[68:69], v[62:63], 2, v[60:61]
	global_load_dword v63, v[68:69], off
	global_load_dword v65, v[60:61], off offset:36
	s_waitcnt vmcnt(1)
	global_store_dword v[60:61], v63, off offset:36
	s_waitcnt vmcnt(1)
	global_store_dword v[68:69], v65, off
.LBB24_203:
	s_or_b64 exec, exec, s[18:19]
	v_mov_b32_e32 v63, v62
	v_mov_b32_e32 v66, v62
.LBB24_204:
	s_or_b64 exec, exec, s[16:17]
.LBB24_205:
	s_andn2_saveexec_b64 s[0:1], s[0:1]
	s_cbranch_execz .LBB24_207
; %bb.206:
	v_mov_b32_e32 v63, 9
	s_waitcnt vmcnt(2)
	ds_write2_b64 v64, v[4:5], v[6:7] offset0:20 offset1:21
	s_waitcnt vmcnt(1)
	ds_write2_b64 v64, v[0:1], v[2:3] offset0:22 offset1:23
	;; [unrolled: 2-line block ×3, first 2 shown]
.LBB24_207:
	s_or_b64 exec, exec, s[0:1]
	v_cmp_lt_i32_e32 vcc, 9, v63
	s_waitcnt lgkmcnt(0)
	s_barrier
	s_and_saveexec_b64 s[0:1], vcc
	s_cbranch_execz .LBB24_209
; %bb.208:
	ds_read2_b64 v[68:71], v64 offset0:20 offset1:21
	v_mul_f64 v[72:73], v[52:53], v[10:11]
	v_fmac_f64_e32 v[72:73], v[54:55], v[8:9]
	v_mul_f64 v[10:11], v[54:55], v[10:11]
	v_fma_f64 v[8:9], v[52:53], v[8:9], -v[10:11]
	ds_read2_b64 v[52:55], v64 offset0:22 offset1:23
	s_waitcnt lgkmcnt(1)
	v_mul_f64 v[10:11], v[70:71], v[72:73]
	v_fma_f64 v[10:11], v[68:69], v[8:9], -v[10:11]
	v_mul_f64 v[68:69], v[68:69], v[72:73]
	v_fmac_f64_e32 v[68:69], v[70:71], v[8:9]
	s_waitcnt vmcnt(2)
	v_add_f64 v[6:7], v[6:7], -v[68:69]
	ds_read2_b64 v[68:71], v64 offset0:24 offset1:25
	v_add_f64 v[4:5], v[4:5], -v[10:11]
	s_waitcnt lgkmcnt(1)
	v_mul_f64 v[10:11], v[54:55], v[72:73]
	v_fma_f64 v[10:11], v[52:53], v[8:9], -v[10:11]
	v_mul_f64 v[52:53], v[52:53], v[72:73]
	v_fmac_f64_e32 v[52:53], v[54:55], v[8:9]
	s_waitcnt vmcnt(1)
	v_add_f64 v[0:1], v[0:1], -v[10:11]
	v_add_f64 v[2:3], v[2:3], -v[52:53]
	s_waitcnt lgkmcnt(0)
	v_mul_f64 v[10:11], v[70:71], v[72:73]
	v_mul_f64 v[52:53], v[68:69], v[72:73]
	v_fma_f64 v[10:11], v[68:69], v[8:9], -v[10:11]
	v_fmac_f64_e32 v[52:53], v[70:71], v[8:9]
	s_waitcnt vmcnt(0)
	v_add_f64 v[48:49], v[48:49], -v[10:11]
	v_add_f64 v[50:51], v[50:51], -v[52:53]
	v_mov_b64_e32 v[10:11], v[72:73]
.LBB24_209:
	s_or_b64 exec, exec, s[0:1]
	v_lshl_add_u32 v52, v63, 4, v64
	s_barrier
	s_waitcnt vmcnt(2)
	ds_write2_b64 v52, v[4:5], v[6:7] offset1:1
	s_waitcnt lgkmcnt(0)
	s_barrier
	ds_read2_b64 v[52:55], v64 offset0:20 offset1:21
	s_cmp_lt_i32 s20, 12
	v_mov_b32_e32 v62, 10
	s_cbranch_scc1 .LBB24_212
; %bb.210:
	v_add_u32_e32 v65, 0xb0, v64
	s_mov_b32 s16, 11
	v_mov_b32_e32 v62, 10
.LBB24_211:                             ; =>This Inner Loop Header: Depth=1
	ds_read2_b64 v[68:71], v65 offset1:1
	s_waitcnt lgkmcnt(1)
	v_xor_b32_e32 v73, 0x80000000, v53
	v_xor_b32_e32 v75, 0x80000000, v55
	v_cmp_gt_f64_e32 vcc, 0, v[54:55]
	v_cmp_gt_f64_e64 s[0:1], 0, v[52:53]
	v_mov_b32_e32 v72, v52
	v_mov_b32_e32 v74, v54
	v_cndmask_b32_e64 v73, v53, v73, s[0:1]
	v_cndmask_b32_e32 v75, v55, v75, vcc
	v_add_f64 v[72:73], v[72:73], v[74:75]
	s_waitcnt lgkmcnt(0)
	v_xor_b32_e32 v75, 0x80000000, v69
	v_xor_b32_e32 v77, 0x80000000, v71
	v_cmp_gt_f64_e32 vcc, 0, v[70:71]
	v_cmp_gt_f64_e64 s[0:1], 0, v[68:69]
	v_mov_b32_e32 v74, v68
	v_mov_b32_e32 v76, v70
	v_cndmask_b32_e64 v75, v69, v75, s[0:1]
	v_cndmask_b32_e32 v77, v71, v77, vcc
	v_add_f64 v[74:75], v[74:75], v[76:77]
	v_mov_b32_e32 v78, s16
	s_add_i32 s16, s16, 1
	v_cmp_lt_f64_e32 vcc, v[72:73], v[74:75]
	v_add_u32_e32 v65, 16, v65
	s_cmp_lg_u32 s20, s16
	v_cndmask_b32_e32 v53, v53, v69, vcc
	v_cndmask_b32_e32 v52, v52, v68, vcc
	;; [unrolled: 1-line block ×5, first 2 shown]
	s_cbranch_scc1 .LBB24_211
.LBB24_212:
	s_waitcnt lgkmcnt(0)
	v_cmp_eq_f64_e32 vcc, 0, v[52:53]
	v_cmp_eq_f64_e64 s[0:1], 0, v[54:55]
	s_and_b64 s[0:1], vcc, s[0:1]
	s_and_saveexec_b64 s[16:17], s[0:1]
	s_xor_b64 s[0:1], exec, s[16:17]
; %bb.213:
	v_cmp_ne_u32_e32 vcc, 0, v67
	s_nop 1
	v_cndmask_b32_e32 v67, 11, v67, vcc
; %bb.214:
	s_andn2_saveexec_b64 s[0:1], s[0:1]
	s_cbranch_execz .LBB24_220
; %bb.215:
	v_cmp_ngt_f64_e64 s[16:17], |v[52:53]|, |v[54:55]|
	s_and_saveexec_b64 s[18:19], s[16:17]
	s_xor_b64 s[16:17], exec, s[18:19]
	s_cbranch_execz .LBB24_217
; %bb.216:
	v_div_scale_f64 v[68:69], s[18:19], v[54:55], v[54:55], v[52:53]
	v_rcp_f64_e32 v[70:71], v[68:69]
	v_div_scale_f64 v[72:73], vcc, v[52:53], v[54:55], v[52:53]
	v_fma_f64 v[74:75], -v[68:69], v[70:71], 1.0
	v_fmac_f64_e32 v[70:71], v[70:71], v[74:75]
	v_fma_f64 v[74:75], -v[68:69], v[70:71], 1.0
	v_fmac_f64_e32 v[70:71], v[70:71], v[74:75]
	v_mul_f64 v[74:75], v[72:73], v[70:71]
	v_fma_f64 v[68:69], -v[68:69], v[74:75], v[72:73]
	v_div_fmas_f64 v[68:69], v[68:69], v[70:71], v[74:75]
	v_div_fixup_f64 v[68:69], v[68:69], v[54:55], v[52:53]
	v_fmac_f64_e32 v[54:55], v[52:53], v[68:69]
	v_div_scale_f64 v[52:53], s[18:19], v[54:55], v[54:55], 1.0
	v_rcp_f64_e32 v[70:71], v[52:53]
	s_nop 0
	v_fma_f64 v[72:73], -v[52:53], v[70:71], 1.0
	v_fmac_f64_e32 v[70:71], v[70:71], v[72:73]
	v_fma_f64 v[72:73], -v[52:53], v[70:71], 1.0
	v_fmac_f64_e32 v[70:71], v[70:71], v[72:73]
	v_div_scale_f64 v[72:73], vcc, 1.0, v[54:55], 1.0
	v_mul_f64 v[74:75], v[72:73], v[70:71]
	v_fma_f64 v[52:53], -v[52:53], v[74:75], v[72:73]
	s_nop 1
	v_div_fmas_f64 v[52:53], v[52:53], v[70:71], v[74:75]
	v_div_fixup_f64 v[54:55], v[52:53], v[54:55], 1.0
	v_mul_f64 v[52:53], v[68:69], v[54:55]
	v_xor_b32_e32 v55, 0x80000000, v55
.LBB24_217:
	s_andn2_saveexec_b64 s[16:17], s[16:17]
	s_cbranch_execz .LBB24_219
; %bb.218:
	v_div_scale_f64 v[68:69], s[18:19], v[52:53], v[52:53], v[54:55]
	v_rcp_f64_e32 v[70:71], v[68:69]
	v_div_scale_f64 v[72:73], vcc, v[54:55], v[52:53], v[54:55]
	v_fma_f64 v[74:75], -v[68:69], v[70:71], 1.0
	v_fmac_f64_e32 v[70:71], v[70:71], v[74:75]
	v_fma_f64 v[74:75], -v[68:69], v[70:71], 1.0
	v_fmac_f64_e32 v[70:71], v[70:71], v[74:75]
	v_mul_f64 v[74:75], v[72:73], v[70:71]
	v_fma_f64 v[68:69], -v[68:69], v[74:75], v[72:73]
	v_div_fmas_f64 v[68:69], v[68:69], v[70:71], v[74:75]
	v_div_fixup_f64 v[68:69], v[68:69], v[52:53], v[54:55]
	v_fmac_f64_e32 v[52:53], v[54:55], v[68:69]
	v_div_scale_f64 v[54:55], s[18:19], v[52:53], v[52:53], 1.0
	v_rcp_f64_e32 v[70:71], v[54:55]
	s_nop 0
	v_fma_f64 v[72:73], -v[54:55], v[70:71], 1.0
	v_fmac_f64_e32 v[70:71], v[70:71], v[72:73]
	v_fma_f64 v[72:73], -v[54:55], v[70:71], 1.0
	v_fmac_f64_e32 v[70:71], v[70:71], v[72:73]
	v_div_scale_f64 v[72:73], vcc, 1.0, v[52:53], 1.0
	v_mul_f64 v[74:75], v[72:73], v[70:71]
	v_fma_f64 v[54:55], -v[54:55], v[74:75], v[72:73]
	s_nop 1
	v_div_fmas_f64 v[54:55], v[54:55], v[70:71], v[74:75]
	v_div_fixup_f64 v[52:53], v[54:55], v[52:53], 1.0
	v_mul_f64 v[54:55], v[68:69], -v[52:53]
.LBB24_219:
	s_or_b64 exec, exec, s[16:17]
.LBB24_220:
	s_or_b64 exec, exec, s[0:1]
	v_cmp_ne_u32_e32 vcc, v63, v62
	s_and_saveexec_b64 s[0:1], vcc
	s_xor_b64 s[0:1], exec, s[0:1]
	s_cbranch_execz .LBB24_226
; %bb.221:
	v_cmp_eq_u32_e32 vcc, 10, v63
	s_and_saveexec_b64 s[16:17], vcc
	s_cbranch_execz .LBB24_225
; %bb.222:
	v_cmp_ne_u32_e32 vcc, 10, v62
	s_xor_b64 s[18:19], s[14:15], -1
	s_and_b64 s[22:23], s[18:19], vcc
	s_and_saveexec_b64 s[18:19], s[22:23]
	s_cbranch_execz .LBB24_224
; %bb.223:
	v_ashrrev_i32_e32 v63, 31, v62
	v_lshl_add_u64 v[68:69], v[62:63], 2, v[60:61]
	global_load_dword v63, v[68:69], off
	global_load_dword v65, v[60:61], off offset:40
	s_waitcnt vmcnt(1)
	global_store_dword v[60:61], v63, off offset:40
	s_waitcnt vmcnt(1)
	global_store_dword v[68:69], v65, off
.LBB24_224:
	s_or_b64 exec, exec, s[18:19]
	v_mov_b32_e32 v63, v62
	v_mov_b32_e32 v66, v62
.LBB24_225:
	s_or_b64 exec, exec, s[16:17]
.LBB24_226:
	s_andn2_saveexec_b64 s[0:1], s[0:1]
	s_cbranch_execz .LBB24_228
; %bb.227:
	v_mov_b32_e32 v63, 10
	s_waitcnt vmcnt(1)
	ds_write2_b64 v64, v[0:1], v[2:3] offset0:22 offset1:23
	s_waitcnt vmcnt(0)
	ds_write2_b64 v64, v[48:49], v[50:51] offset0:24 offset1:25
.LBB24_228:
	s_or_b64 exec, exec, s[0:1]
	v_cmp_lt_i32_e32 vcc, 10, v63
	s_waitcnt lgkmcnt(0)
	s_barrier
	s_and_saveexec_b64 s[0:1], vcc
	s_cbranch_execz .LBB24_230
; %bb.229:
	ds_read2_b64 v[68:71], v64 offset0:22 offset1:23
	v_mul_f64 v[72:73], v[52:53], v[6:7]
	v_mul_f64 v[6:7], v[54:55], v[6:7]
	v_fmac_f64_e32 v[72:73], v[54:55], v[4:5]
	v_fma_f64 v[4:5], v[52:53], v[4:5], -v[6:7]
	ds_read2_b64 v[52:55], v64 offset0:24 offset1:25
	s_waitcnt lgkmcnt(1)
	v_mul_f64 v[6:7], v[70:71], v[72:73]
	v_fma_f64 v[6:7], v[68:69], v[4:5], -v[6:7]
	s_waitcnt vmcnt(1)
	v_add_f64 v[0:1], v[0:1], -v[6:7]
	v_mul_f64 v[68:69], v[68:69], v[72:73]
	s_waitcnt lgkmcnt(0)
	v_mul_f64 v[6:7], v[54:55], v[72:73]
	v_fma_f64 v[6:7], v[52:53], v[4:5], -v[6:7]
	v_mul_f64 v[52:53], v[52:53], v[72:73]
	v_fmac_f64_e32 v[68:69], v[70:71], v[4:5]
	v_fmac_f64_e32 v[52:53], v[54:55], v[4:5]
	v_add_f64 v[2:3], v[2:3], -v[68:69]
	s_waitcnt vmcnt(0)
	v_add_f64 v[48:49], v[48:49], -v[6:7]
	v_add_f64 v[50:51], v[50:51], -v[52:53]
	v_mov_b64_e32 v[6:7], v[72:73]
.LBB24_230:
	s_or_b64 exec, exec, s[0:1]
	v_lshl_add_u32 v52, v63, 4, v64
	s_barrier
	s_waitcnt vmcnt(1)
	ds_write2_b64 v52, v[0:1], v[2:3] offset1:1
	s_waitcnt lgkmcnt(0)
	s_barrier
	ds_read2_b64 v[52:55], v64 offset0:22 offset1:23
	s_cmp_lt_i32 s20, 13
	v_mov_b32_e32 v62, 11
	s_cbranch_scc1 .LBB24_233
; %bb.231:
	v_add_u32_e32 v65, 0xc0, v64
	s_mov_b32 s16, 12
	v_mov_b32_e32 v62, 11
.LBB24_232:                             ; =>This Inner Loop Header: Depth=1
	ds_read2_b64 v[68:71], v65 offset1:1
	s_waitcnt lgkmcnt(1)
	v_xor_b32_e32 v73, 0x80000000, v53
	v_xor_b32_e32 v75, 0x80000000, v55
	v_cmp_gt_f64_e32 vcc, 0, v[54:55]
	v_cmp_gt_f64_e64 s[0:1], 0, v[52:53]
	v_mov_b32_e32 v72, v52
	v_mov_b32_e32 v74, v54
	v_cndmask_b32_e64 v73, v53, v73, s[0:1]
	v_cndmask_b32_e32 v75, v55, v75, vcc
	v_add_f64 v[72:73], v[72:73], v[74:75]
	s_waitcnt lgkmcnt(0)
	v_xor_b32_e32 v75, 0x80000000, v69
	v_xor_b32_e32 v77, 0x80000000, v71
	v_cmp_gt_f64_e32 vcc, 0, v[70:71]
	v_cmp_gt_f64_e64 s[0:1], 0, v[68:69]
	v_mov_b32_e32 v74, v68
	v_mov_b32_e32 v76, v70
	v_cndmask_b32_e64 v75, v69, v75, s[0:1]
	v_cndmask_b32_e32 v77, v71, v77, vcc
	v_add_f64 v[74:75], v[74:75], v[76:77]
	v_mov_b32_e32 v78, s16
	s_add_i32 s16, s16, 1
	v_cmp_lt_f64_e32 vcc, v[72:73], v[74:75]
	v_add_u32_e32 v65, 16, v65
	s_cmp_lg_u32 s20, s16
	v_cndmask_b32_e32 v53, v53, v69, vcc
	v_cndmask_b32_e32 v52, v52, v68, vcc
	;; [unrolled: 1-line block ×5, first 2 shown]
	s_cbranch_scc1 .LBB24_232
.LBB24_233:
	s_waitcnt lgkmcnt(0)
	v_cmp_eq_f64_e32 vcc, 0, v[52:53]
	v_cmp_eq_f64_e64 s[0:1], 0, v[54:55]
	s_and_b64 s[0:1], vcc, s[0:1]
	s_and_saveexec_b64 s[16:17], s[0:1]
	s_xor_b64 s[0:1], exec, s[16:17]
; %bb.234:
	v_cmp_ne_u32_e32 vcc, 0, v67
	s_nop 1
	v_cndmask_b32_e32 v67, 12, v67, vcc
; %bb.235:
	s_andn2_saveexec_b64 s[0:1], s[0:1]
	s_cbranch_execz .LBB24_241
; %bb.236:
	v_cmp_ngt_f64_e64 s[16:17], |v[52:53]|, |v[54:55]|
	s_and_saveexec_b64 s[18:19], s[16:17]
	s_xor_b64 s[16:17], exec, s[18:19]
	s_cbranch_execz .LBB24_238
; %bb.237:
	v_div_scale_f64 v[68:69], s[18:19], v[54:55], v[54:55], v[52:53]
	v_rcp_f64_e32 v[70:71], v[68:69]
	v_div_scale_f64 v[72:73], vcc, v[52:53], v[54:55], v[52:53]
	v_fma_f64 v[74:75], -v[68:69], v[70:71], 1.0
	v_fmac_f64_e32 v[70:71], v[70:71], v[74:75]
	v_fma_f64 v[74:75], -v[68:69], v[70:71], 1.0
	v_fmac_f64_e32 v[70:71], v[70:71], v[74:75]
	v_mul_f64 v[74:75], v[72:73], v[70:71]
	v_fma_f64 v[68:69], -v[68:69], v[74:75], v[72:73]
	v_div_fmas_f64 v[68:69], v[68:69], v[70:71], v[74:75]
	v_div_fixup_f64 v[68:69], v[68:69], v[54:55], v[52:53]
	v_fmac_f64_e32 v[54:55], v[52:53], v[68:69]
	v_div_scale_f64 v[52:53], s[18:19], v[54:55], v[54:55], 1.0
	v_rcp_f64_e32 v[70:71], v[52:53]
	s_nop 0
	v_fma_f64 v[72:73], -v[52:53], v[70:71], 1.0
	v_fmac_f64_e32 v[70:71], v[70:71], v[72:73]
	v_fma_f64 v[72:73], -v[52:53], v[70:71], 1.0
	v_fmac_f64_e32 v[70:71], v[70:71], v[72:73]
	v_div_scale_f64 v[72:73], vcc, 1.0, v[54:55], 1.0
	v_mul_f64 v[74:75], v[72:73], v[70:71]
	v_fma_f64 v[52:53], -v[52:53], v[74:75], v[72:73]
	s_nop 1
	v_div_fmas_f64 v[52:53], v[52:53], v[70:71], v[74:75]
	v_div_fixup_f64 v[54:55], v[52:53], v[54:55], 1.0
	v_mul_f64 v[52:53], v[68:69], v[54:55]
	v_xor_b32_e32 v55, 0x80000000, v55
.LBB24_238:
	s_andn2_saveexec_b64 s[16:17], s[16:17]
	s_cbranch_execz .LBB24_240
; %bb.239:
	v_div_scale_f64 v[68:69], s[18:19], v[52:53], v[52:53], v[54:55]
	v_rcp_f64_e32 v[70:71], v[68:69]
	v_div_scale_f64 v[72:73], vcc, v[54:55], v[52:53], v[54:55]
	v_fma_f64 v[74:75], -v[68:69], v[70:71], 1.0
	v_fmac_f64_e32 v[70:71], v[70:71], v[74:75]
	v_fma_f64 v[74:75], -v[68:69], v[70:71], 1.0
	v_fmac_f64_e32 v[70:71], v[70:71], v[74:75]
	v_mul_f64 v[74:75], v[72:73], v[70:71]
	v_fma_f64 v[68:69], -v[68:69], v[74:75], v[72:73]
	v_div_fmas_f64 v[68:69], v[68:69], v[70:71], v[74:75]
	v_div_fixup_f64 v[68:69], v[68:69], v[52:53], v[54:55]
	v_fmac_f64_e32 v[52:53], v[54:55], v[68:69]
	v_div_scale_f64 v[54:55], s[18:19], v[52:53], v[52:53], 1.0
	v_rcp_f64_e32 v[70:71], v[54:55]
	s_nop 0
	v_fma_f64 v[72:73], -v[54:55], v[70:71], 1.0
	v_fmac_f64_e32 v[70:71], v[70:71], v[72:73]
	v_fma_f64 v[72:73], -v[54:55], v[70:71], 1.0
	v_fmac_f64_e32 v[70:71], v[70:71], v[72:73]
	v_div_scale_f64 v[72:73], vcc, 1.0, v[52:53], 1.0
	v_mul_f64 v[74:75], v[72:73], v[70:71]
	v_fma_f64 v[54:55], -v[54:55], v[74:75], v[72:73]
	s_nop 1
	v_div_fmas_f64 v[54:55], v[54:55], v[70:71], v[74:75]
	v_div_fixup_f64 v[52:53], v[54:55], v[52:53], 1.0
	v_mul_f64 v[54:55], v[68:69], -v[52:53]
.LBB24_240:
	s_or_b64 exec, exec, s[16:17]
.LBB24_241:
	s_or_b64 exec, exec, s[0:1]
	v_cmp_ne_u32_e32 vcc, v63, v62
	s_and_saveexec_b64 s[0:1], vcc
	s_xor_b64 s[0:1], exec, s[0:1]
	s_cbranch_execz .LBB24_247
; %bb.242:
	v_cmp_eq_u32_e32 vcc, 11, v63
	s_and_saveexec_b64 s[16:17], vcc
	s_cbranch_execz .LBB24_246
; %bb.243:
	v_cmp_ne_u32_e32 vcc, 11, v62
	s_xor_b64 s[18:19], s[14:15], -1
	s_and_b64 s[22:23], s[18:19], vcc
	s_and_saveexec_b64 s[18:19], s[22:23]
	s_cbranch_execz .LBB24_245
; %bb.244:
	v_ashrrev_i32_e32 v63, 31, v62
	v_lshl_add_u64 v[68:69], v[62:63], 2, v[60:61]
	global_load_dword v63, v[68:69], off
	global_load_dword v65, v[60:61], off offset:44
	s_waitcnt vmcnt(1)
	global_store_dword v[60:61], v63, off offset:44
	s_waitcnt vmcnt(1)
	global_store_dword v[68:69], v65, off
.LBB24_245:
	s_or_b64 exec, exec, s[18:19]
	v_mov_b32_e32 v63, v62
	v_mov_b32_e32 v66, v62
.LBB24_246:
	s_or_b64 exec, exec, s[16:17]
.LBB24_247:
	s_andn2_saveexec_b64 s[0:1], s[0:1]
	s_cbranch_execz .LBB24_249
; %bb.248:
	v_mov_b32_e32 v63, 11
	s_waitcnt vmcnt(0)
	ds_write2_b64 v64, v[48:49], v[50:51] offset0:24 offset1:25
.LBB24_249:
	s_or_b64 exec, exec, s[0:1]
	v_cmp_lt_i32_e32 vcc, 11, v63
	s_waitcnt lgkmcnt(0)
	s_barrier
	s_and_saveexec_b64 s[0:1], vcc
	s_cbranch_execz .LBB24_251
; %bb.250:
	ds_read2_b64 v[68:71], v64 offset0:24 offset1:25
	v_mul_f64 v[72:73], v[52:53], v[2:3]
	v_mul_f64 v[2:3], v[54:55], v[2:3]
	v_fmac_f64_e32 v[72:73], v[54:55], v[0:1]
	v_fma_f64 v[0:1], v[52:53], v[0:1], -v[2:3]
	s_waitcnt lgkmcnt(0)
	v_mul_f64 v[2:3], v[70:71], v[72:73]
	v_mul_f64 v[52:53], v[68:69], v[72:73]
	v_fma_f64 v[2:3], v[68:69], v[0:1], -v[2:3]
	v_fmac_f64_e32 v[52:53], v[70:71], v[0:1]
	s_waitcnt vmcnt(0)
	v_add_f64 v[48:49], v[48:49], -v[2:3]
	v_add_f64 v[50:51], v[50:51], -v[52:53]
	v_mov_b64_e32 v[2:3], v[72:73]
.LBB24_251:
	s_or_b64 exec, exec, s[0:1]
	v_lshl_add_u32 v52, v63, 4, v64
	s_barrier
	s_waitcnt vmcnt(0)
	ds_write2_b64 v52, v[48:49], v[50:51] offset1:1
	s_waitcnt lgkmcnt(0)
	s_barrier
	ds_read2_b64 v[52:55], v64 offset0:24 offset1:25
	s_cmp_lt_i32 s20, 14
	v_mov_b32_e32 v62, 12
	s_cbranch_scc1 .LBB24_254
; %bb.252:
	v_add_u32_e32 v64, 0xd0, v64
	s_mov_b32 s16, 13
	v_mov_b32_e32 v62, 12
.LBB24_253:                             ; =>This Inner Loop Header: Depth=1
	ds_read2_b64 v[68:71], v64 offset1:1
	s_waitcnt lgkmcnt(1)
	v_xor_b32_e32 v65, 0x80000000, v53
	v_xor_b32_e32 v75, 0x80000000, v55
	v_cmp_gt_f64_e32 vcc, 0, v[54:55]
	v_cmp_gt_f64_e64 s[0:1], 0, v[52:53]
	v_mov_b32_e32 v72, v52
	v_mov_b32_e32 v74, v54
	v_cndmask_b32_e64 v73, v53, v65, s[0:1]
	v_cndmask_b32_e32 v75, v55, v75, vcc
	s_waitcnt lgkmcnt(0)
	v_xor_b32_e32 v65, 0x80000000, v69
	v_xor_b32_e32 v77, 0x80000000, v71
	v_cmp_gt_f64_e32 vcc, 0, v[70:71]
	v_cmp_gt_f64_e64 s[0:1], 0, v[68:69]
	v_add_f64 v[72:73], v[72:73], v[74:75]
	v_mov_b32_e32 v74, v68
	v_mov_b32_e32 v76, v70
	v_cndmask_b32_e64 v75, v69, v65, s[0:1]
	v_cndmask_b32_e32 v77, v71, v77, vcc
	v_add_f64 v[74:75], v[74:75], v[76:77]
	v_mov_b32_e32 v78, s16
	s_add_i32 s16, s16, 1
	v_cmp_lt_f64_e32 vcc, v[72:73], v[74:75]
	v_add_u32_e32 v64, 16, v64
	s_cmp_lg_u32 s20, s16
	v_cndmask_b32_e32 v53, v53, v69, vcc
	v_cndmask_b32_e32 v52, v52, v68, vcc
	;; [unrolled: 1-line block ×5, first 2 shown]
	s_cbranch_scc1 .LBB24_253
.LBB24_254:
	s_waitcnt lgkmcnt(0)
	v_cmp_eq_f64_e32 vcc, 0, v[52:53]
	v_cmp_eq_f64_e64 s[0:1], 0, v[54:55]
	s_and_b64 s[0:1], vcc, s[0:1]
	s_and_saveexec_b64 s[16:17], s[0:1]
	s_xor_b64 s[0:1], exec, s[16:17]
; %bb.255:
	v_cmp_ne_u32_e32 vcc, 0, v67
	s_nop 1
	v_cndmask_b32_e32 v67, 13, v67, vcc
; %bb.256:
	s_andn2_saveexec_b64 s[0:1], s[0:1]
	s_cbranch_execz .LBB24_262
; %bb.257:
	v_cmp_ngt_f64_e64 s[16:17], |v[52:53]|, |v[54:55]|
	s_and_saveexec_b64 s[18:19], s[16:17]
	s_xor_b64 s[16:17], exec, s[18:19]
	s_cbranch_execz .LBB24_259
; %bb.258:
	v_div_scale_f64 v[64:65], s[18:19], v[54:55], v[54:55], v[52:53]
	v_rcp_f64_e32 v[68:69], v[64:65]
	v_div_scale_f64 v[70:71], vcc, v[52:53], v[54:55], v[52:53]
	v_fma_f64 v[72:73], -v[64:65], v[68:69], 1.0
	v_fmac_f64_e32 v[68:69], v[68:69], v[72:73]
	v_fma_f64 v[72:73], -v[64:65], v[68:69], 1.0
	v_fmac_f64_e32 v[68:69], v[68:69], v[72:73]
	v_mul_f64 v[72:73], v[70:71], v[68:69]
	v_fma_f64 v[64:65], -v[64:65], v[72:73], v[70:71]
	v_div_fmas_f64 v[64:65], v[64:65], v[68:69], v[72:73]
	v_div_fixup_f64 v[64:65], v[64:65], v[54:55], v[52:53]
	v_fmac_f64_e32 v[54:55], v[52:53], v[64:65]
	v_div_scale_f64 v[52:53], s[18:19], v[54:55], v[54:55], 1.0
	v_rcp_f64_e32 v[68:69], v[52:53]
	s_nop 0
	v_fma_f64 v[70:71], -v[52:53], v[68:69], 1.0
	v_fmac_f64_e32 v[68:69], v[68:69], v[70:71]
	v_fma_f64 v[70:71], -v[52:53], v[68:69], 1.0
	v_fmac_f64_e32 v[68:69], v[68:69], v[70:71]
	v_div_scale_f64 v[70:71], vcc, 1.0, v[54:55], 1.0
	v_mul_f64 v[72:73], v[70:71], v[68:69]
	v_fma_f64 v[52:53], -v[52:53], v[72:73], v[70:71]
	s_nop 1
	v_div_fmas_f64 v[52:53], v[52:53], v[68:69], v[72:73]
	v_div_fixup_f64 v[54:55], v[52:53], v[54:55], 1.0
	v_mul_f64 v[52:53], v[64:65], v[54:55]
	v_xor_b32_e32 v55, 0x80000000, v55
.LBB24_259:
	s_andn2_saveexec_b64 s[16:17], s[16:17]
	s_cbranch_execz .LBB24_261
; %bb.260:
	v_div_scale_f64 v[64:65], s[18:19], v[52:53], v[52:53], v[54:55]
	v_rcp_f64_e32 v[68:69], v[64:65]
	v_div_scale_f64 v[70:71], vcc, v[54:55], v[52:53], v[54:55]
	v_fma_f64 v[72:73], -v[64:65], v[68:69], 1.0
	v_fmac_f64_e32 v[68:69], v[68:69], v[72:73]
	v_fma_f64 v[72:73], -v[64:65], v[68:69], 1.0
	v_fmac_f64_e32 v[68:69], v[68:69], v[72:73]
	v_mul_f64 v[72:73], v[70:71], v[68:69]
	v_fma_f64 v[64:65], -v[64:65], v[72:73], v[70:71]
	v_div_fmas_f64 v[64:65], v[64:65], v[68:69], v[72:73]
	v_div_fixup_f64 v[64:65], v[64:65], v[52:53], v[54:55]
	v_fmac_f64_e32 v[52:53], v[54:55], v[64:65]
	v_div_scale_f64 v[54:55], s[18:19], v[52:53], v[52:53], 1.0
	v_rcp_f64_e32 v[68:69], v[54:55]
	s_nop 0
	v_fma_f64 v[70:71], -v[54:55], v[68:69], 1.0
	v_fmac_f64_e32 v[68:69], v[68:69], v[70:71]
	v_fma_f64 v[70:71], -v[54:55], v[68:69], 1.0
	v_fmac_f64_e32 v[68:69], v[68:69], v[70:71]
	v_div_scale_f64 v[70:71], vcc, 1.0, v[52:53], 1.0
	v_mul_f64 v[72:73], v[70:71], v[68:69]
	v_fma_f64 v[54:55], -v[54:55], v[72:73], v[70:71]
	s_nop 1
	v_div_fmas_f64 v[54:55], v[54:55], v[68:69], v[72:73]
	v_div_fixup_f64 v[52:53], v[54:55], v[52:53], 1.0
	v_mul_f64 v[54:55], v[64:65], -v[52:53]
.LBB24_261:
	s_or_b64 exec, exec, s[16:17]
.LBB24_262:
	s_or_b64 exec, exec, s[0:1]
	v_cmp_ne_u32_e32 vcc, v63, v62
	v_mov_b32_e32 v64, 12
	s_and_saveexec_b64 s[0:1], vcc
	s_cbranch_execz .LBB24_268
; %bb.263:
	v_cmp_eq_u32_e32 vcc, 12, v63
	s_and_saveexec_b64 s[16:17], vcc
	s_cbranch_execz .LBB24_267
; %bb.264:
	v_cmp_ne_u32_e32 vcc, 12, v62
	s_xor_b64 s[14:15], s[14:15], -1
	s_and_b64 s[18:19], s[14:15], vcc
	s_and_saveexec_b64 s[14:15], s[18:19]
	s_cbranch_execz .LBB24_266
; %bb.265:
	v_ashrrev_i32_e32 v63, 31, v62
	v_lshl_add_u64 v[64:65], v[62:63], 2, v[60:61]
	global_load_dword v63, v[64:65], off
	global_load_dword v66, v[60:61], off offset:48
	s_waitcnt vmcnt(1)
	global_store_dword v[60:61], v63, off offset:48
	s_waitcnt vmcnt(1)
	global_store_dword v[64:65], v66, off
.LBB24_266:
	s_or_b64 exec, exec, s[14:15]
	v_mov_b32_e32 v63, v62
	v_mov_b32_e32 v66, v62
.LBB24_267:
	s_or_b64 exec, exec, s[16:17]
	v_mov_b32_e32 v64, v63
.LBB24_268:
	s_or_b64 exec, exec, s[0:1]
	v_cmp_gt_i32_e32 vcc, 13, v64
	v_ashrrev_i32_e32 v65, 31, v64
	s_barrier
	s_barrier
	s_and_saveexec_b64 s[0:1], vcc
	s_cbranch_execz .LBB24_270
; %bb.269:
	v_mov_b32_e32 v60, s6
	v_mov_b32_e32 v61, s7
	v_mul_lo_u32 v68, s11, v58
	v_mul_lo_u32 v69, s10, v59
	v_mad_u64_u32 v[62:63], s[6:7], s10, v58, 0
	v_add3_u32 v63, v63, v69, v68
	v_lshl_add_u64 v[60:61], v[62:63], 2, v[60:61]
	v_lshl_add_u64 v[60:61], s[8:9], 2, v[60:61]
	;; [unrolled: 1-line block ×3, first 2 shown]
	v_add3_u32 v62, v66, s13, 1
	global_store_dword v[60:61], v62, off
.LBB24_270:
	s_or_b64 exec, exec, s[0:1]
	v_cmp_eq_u32_e32 vcc, 0, v64
	s_and_saveexec_b64 s[6:7], vcc
	s_cbranch_execz .LBB24_273
; %bb.271:
	v_mov_b32_e32 v60, s4
	v_mov_b32_e32 v61, s5
	v_lshl_add_u64 v[58:59], v[58:59], 2, v[60:61]
	global_load_dword v60, v[58:59], off
	v_cmp_ne_u32_e64 s[0:1], 0, v67
	s_waitcnt vmcnt(0)
	v_cmp_eq_u32_e32 vcc, 0, v60
	s_and_b64 s[0:1], vcc, s[0:1]
	s_and_b64 exec, exec, s[0:1]
	s_cbranch_execz .LBB24_273
; %bb.272:
	v_add_u32_e32 v60, s13, v67
	global_store_dword v[58:59], v60, off
.LBB24_273:
	s_or_b64 exec, exec, s[6:7]
	v_mul_f64 v[58:59], v[54:55], v[50:51]
	v_fma_f64 v[58:59], v[52:53], v[48:49], -v[58:59]
	v_mul_f64 v[52:53], v[52:53], v[50:51]
	v_fmac_f64_e32 v[52:53], v[54:55], v[48:49]
	v_cmp_lt_i32_e32 vcc, 12, v64
	s_nop 1
	v_cndmask_b32_e32 v51, v51, v53, vcc
	v_cndmask_b32_e32 v50, v50, v52, vcc
	v_lshl_add_u64 v[52:53], v[64:65], 4, v[56:57]
	global_store_dwordx4 v[52:53], v[44:47], off
	v_cndmask_b32_e32 v49, v49, v59, vcc
	v_cndmask_b32_e32 v48, v48, v58, vcc
	v_lshl_add_u64 v[44:45], s[2:3], 4, v[52:53]
	global_store_dwordx4 v[44:45], v[40:43], off
	s_nop 1
	v_add_u32_e32 v40, s12, v64
	v_ashrrev_i32_e32 v41, 31, v40
	v_lshl_add_u64 v[42:43], v[40:41], 4, v[56:57]
	global_store_dwordx4 v[42:43], v[36:39], off
	s_nop 1
	v_add_u32_e32 v36, s2, v40
	v_ashrrev_i32_e32 v37, 31, v36
	;; [unrolled: 5-line block ×3, first 2 shown]
	v_lshl_add_u64 v[30:31], v[28:29], 4, v[56:57]
	v_add_u32_e32 v28, s2, v28
	v_ashrrev_i32_e32 v29, 31, v28
	global_store_dwordx4 v[30:31], v[32:35], off
	v_lshl_add_u64 v[30:31], v[28:29], 4, v[56:57]
	global_store_dwordx4 v[30:31], v[24:27], off
	s_nop 1
	v_add_u32_e32 v24, s2, v28
	v_ashrrev_i32_e32 v25, 31, v24
	v_lshl_add_u64 v[26:27], v[24:25], 4, v[56:57]
	global_store_dwordx4 v[26:27], v[20:23], off
	s_nop 1
	v_add_u32_e32 v20, s2, v24
	v_ashrrev_i32_e32 v21, 31, v20
	;; [unrolled: 5-line block ×7, first 2 shown]
	v_lshl_add_u64 v[0:1], v[0:1], 4, v[56:57]
	global_store_dwordx4 v[0:1], v[48:51], off
.LBB24_274:
	s_endpgm
	.section	.rodata,"a",@progbits
	.p2align	6, 0x0
	.amdhsa_kernel _ZN9rocsolver6v33100L18getf2_small_kernelILi13E19rocblas_complex_numIdEiiPS3_EEvT1_T3_lS5_lPS5_llPT2_S5_S5_S7_l
		.amdhsa_group_segment_fixed_size 0
		.amdhsa_private_segment_fixed_size 0
		.amdhsa_kernarg_size 352
		.amdhsa_user_sgpr_count 2
		.amdhsa_user_sgpr_dispatch_ptr 0
		.amdhsa_user_sgpr_queue_ptr 0
		.amdhsa_user_sgpr_kernarg_segment_ptr 1
		.amdhsa_user_sgpr_dispatch_id 0
		.amdhsa_user_sgpr_kernarg_preload_length 0
		.amdhsa_user_sgpr_kernarg_preload_offset 0
		.amdhsa_user_sgpr_private_segment_size 0
		.amdhsa_uses_dynamic_stack 0
		.amdhsa_enable_private_segment 0
		.amdhsa_system_sgpr_workgroup_id_x 1
		.amdhsa_system_sgpr_workgroup_id_y 1
		.amdhsa_system_sgpr_workgroup_id_z 0
		.amdhsa_system_sgpr_workgroup_info 0
		.amdhsa_system_vgpr_workitem_id 1
		.amdhsa_next_free_vgpr 81
		.amdhsa_next_free_sgpr 24
		.amdhsa_accum_offset 84
		.amdhsa_reserve_vcc 1
		.amdhsa_float_round_mode_32 0
		.amdhsa_float_round_mode_16_64 0
		.amdhsa_float_denorm_mode_32 3
		.amdhsa_float_denorm_mode_16_64 3
		.amdhsa_dx10_clamp 1
		.amdhsa_ieee_mode 1
		.amdhsa_fp16_overflow 0
		.amdhsa_tg_split 0
		.amdhsa_exception_fp_ieee_invalid_op 0
		.amdhsa_exception_fp_denorm_src 0
		.amdhsa_exception_fp_ieee_div_zero 0
		.amdhsa_exception_fp_ieee_overflow 0
		.amdhsa_exception_fp_ieee_underflow 0
		.amdhsa_exception_fp_ieee_inexact 0
		.amdhsa_exception_int_div_zero 0
	.end_amdhsa_kernel
	.section	.text._ZN9rocsolver6v33100L18getf2_small_kernelILi13E19rocblas_complex_numIdEiiPS3_EEvT1_T3_lS5_lPS5_llPT2_S5_S5_S7_l,"axG",@progbits,_ZN9rocsolver6v33100L18getf2_small_kernelILi13E19rocblas_complex_numIdEiiPS3_EEvT1_T3_lS5_lPS5_llPT2_S5_S5_S7_l,comdat
.Lfunc_end24:
	.size	_ZN9rocsolver6v33100L18getf2_small_kernelILi13E19rocblas_complex_numIdEiiPS3_EEvT1_T3_lS5_lPS5_llPT2_S5_S5_S7_l, .Lfunc_end24-_ZN9rocsolver6v33100L18getf2_small_kernelILi13E19rocblas_complex_numIdEiiPS3_EEvT1_T3_lS5_lPS5_llPT2_S5_S5_S7_l
                                        ; -- End function
	.set _ZN9rocsolver6v33100L18getf2_small_kernelILi13E19rocblas_complex_numIdEiiPS3_EEvT1_T3_lS5_lPS5_llPT2_S5_S5_S7_l.num_vgpr, 81
	.set _ZN9rocsolver6v33100L18getf2_small_kernelILi13E19rocblas_complex_numIdEiiPS3_EEvT1_T3_lS5_lPS5_llPT2_S5_S5_S7_l.num_agpr, 0
	.set _ZN9rocsolver6v33100L18getf2_small_kernelILi13E19rocblas_complex_numIdEiiPS3_EEvT1_T3_lS5_lPS5_llPT2_S5_S5_S7_l.numbered_sgpr, 24
	.set _ZN9rocsolver6v33100L18getf2_small_kernelILi13E19rocblas_complex_numIdEiiPS3_EEvT1_T3_lS5_lPS5_llPT2_S5_S5_S7_l.num_named_barrier, 0
	.set _ZN9rocsolver6v33100L18getf2_small_kernelILi13E19rocblas_complex_numIdEiiPS3_EEvT1_T3_lS5_lPS5_llPT2_S5_S5_S7_l.private_seg_size, 0
	.set _ZN9rocsolver6v33100L18getf2_small_kernelILi13E19rocblas_complex_numIdEiiPS3_EEvT1_T3_lS5_lPS5_llPT2_S5_S5_S7_l.uses_vcc, 1
	.set _ZN9rocsolver6v33100L18getf2_small_kernelILi13E19rocblas_complex_numIdEiiPS3_EEvT1_T3_lS5_lPS5_llPT2_S5_S5_S7_l.uses_flat_scratch, 0
	.set _ZN9rocsolver6v33100L18getf2_small_kernelILi13E19rocblas_complex_numIdEiiPS3_EEvT1_T3_lS5_lPS5_llPT2_S5_S5_S7_l.has_dyn_sized_stack, 0
	.set _ZN9rocsolver6v33100L18getf2_small_kernelILi13E19rocblas_complex_numIdEiiPS3_EEvT1_T3_lS5_lPS5_llPT2_S5_S5_S7_l.has_recursion, 0
	.set _ZN9rocsolver6v33100L18getf2_small_kernelILi13E19rocblas_complex_numIdEiiPS3_EEvT1_T3_lS5_lPS5_llPT2_S5_S5_S7_l.has_indirect_call, 0
	.section	.AMDGPU.csdata,"",@progbits
; Kernel info:
; codeLenInByte = 17864
; TotalNumSgprs: 30
; NumVgprs: 81
; NumAgprs: 0
; TotalNumVgprs: 81
; ScratchSize: 0
; MemoryBound: 0
; FloatMode: 240
; IeeeMode: 1
; LDSByteSize: 0 bytes/workgroup (compile time only)
; SGPRBlocks: 3
; VGPRBlocks: 10
; NumSGPRsForWavesPerEU: 30
; NumVGPRsForWavesPerEU: 81
; AccumOffset: 84
; Occupancy: 5
; WaveLimiterHint : 0
; COMPUTE_PGM_RSRC2:SCRATCH_EN: 0
; COMPUTE_PGM_RSRC2:USER_SGPR: 2
; COMPUTE_PGM_RSRC2:TRAP_HANDLER: 0
; COMPUTE_PGM_RSRC2:TGID_X_EN: 1
; COMPUTE_PGM_RSRC2:TGID_Y_EN: 1
; COMPUTE_PGM_RSRC2:TGID_Z_EN: 0
; COMPUTE_PGM_RSRC2:TIDIG_COMP_CNT: 1
; COMPUTE_PGM_RSRC3_GFX90A:ACCUM_OFFSET: 20
; COMPUTE_PGM_RSRC3_GFX90A:TG_SPLIT: 0
	.section	.text._ZN9rocsolver6v33100L23getf2_npvt_small_kernelILi13E19rocblas_complex_numIdEiiPS3_EEvT1_T3_lS5_lPT2_S5_S5_,"axG",@progbits,_ZN9rocsolver6v33100L23getf2_npvt_small_kernelILi13E19rocblas_complex_numIdEiiPS3_EEvT1_T3_lS5_lPT2_S5_S5_,comdat
	.globl	_ZN9rocsolver6v33100L23getf2_npvt_small_kernelILi13E19rocblas_complex_numIdEiiPS3_EEvT1_T3_lS5_lPT2_S5_S5_ ; -- Begin function _ZN9rocsolver6v33100L23getf2_npvt_small_kernelILi13E19rocblas_complex_numIdEiiPS3_EEvT1_T3_lS5_lPT2_S5_S5_
	.p2align	8
	.type	_ZN9rocsolver6v33100L23getf2_npvt_small_kernelILi13E19rocblas_complex_numIdEiiPS3_EEvT1_T3_lS5_lPT2_S5_S5_,@function
_ZN9rocsolver6v33100L23getf2_npvt_small_kernelILi13E19rocblas_complex_numIdEiiPS3_EEvT1_T3_lS5_lPT2_S5_S5_: ; @_ZN9rocsolver6v33100L23getf2_npvt_small_kernelILi13E19rocblas_complex_numIdEiiPS3_EEvT1_T3_lS5_lPT2_S5_S5_
; %bb.0:
	s_load_dword s2, s[0:1], 0x44
	s_load_dwordx2 s[52:53], s[0:1], 0x30
	v_bfe_u32 v52, v0, 10, 10
	s_waitcnt lgkmcnt(0)
	s_lshr_b32 s8, s2, 16
	s_mul_i32 s3, s3, s8
	v_add_u32_e32 v124, s3, v52
	v_cmp_gt_i32_e32 vcc, s52, v124
	s_and_saveexec_b64 s[2:3], vcc
	s_cbranch_execz .LBB25_120
; %bb.1:
	s_load_dwordx4 s[12:15], s[0:1], 0x8
	s_load_dword s2, s[0:1], 0x18
	s_load_dwordx4 s[4:7], s[0:1], 0x20
	v_and_b32_e32 v132, 0x3ff, v0
	v_ashrrev_i32_e32 v125, 31, v124
	s_waitcnt lgkmcnt(0)
	v_mov_b32_e32 v2, s12
	v_mov_b32_e32 v3, s13
	v_mad_u64_u32 v[0:1], s[0:1], s4, v124, 0
	v_mul_lo_u32 v4, s5, v124
	v_mul_lo_u32 v5, s4, v125
	s_add_i32 s0, s2, s2
	v_add3_u32 v1, v1, v5, v4
	v_add_u32_e32 v8, s0, v132
	v_lshl_add_u64 v[0:1], v[0:1], 4, v[2:3]
	v_add_u32_e32 v16, s2, v8
	v_lshl_add_u64 v[24:25], s[14:15], 4, v[0:1]
	v_ashrrev_i32_e32 v17, 31, v16
	v_lshl_add_u64 v[110:111], v[16:17], 4, v[24:25]
	v_add_u32_e32 v16, s2, v16
	v_add_u32_e32 v26, s2, v16
	v_ashrrev_i32_e32 v27, 31, v26
	v_lshl_add_u64 v[114:115], v[26:27], 4, v[24:25]
	v_add_u32_e32 v26, s2, v26
	v_ashrrev_i32_e32 v27, 31, v26
	v_lshl_add_u64 v[116:117], v[26:27], 4, v[24:25]
	;; [unrolled: 3-line block ×6, first 2 shown]
	v_add_u32_e32 v26, s2, v26
	v_ashrrev_i32_e32 v27, 31, v26
	v_lshlrev_b32_e32 v0, 4, v132
	v_mov_b32_e32 v1, 0
	v_ashrrev_i32_e32 v9, 31, v8
	v_ashrrev_i32_e32 v17, 31, v16
	v_lshl_add_u64 v[128:129], v[26:27], 4, v[24:25]
	v_add_u32_e32 v26, s2, v26
	s_ashr_i32 s3, s2, 31
	v_lshl_add_u64 v[104:105], v[24:25], 0, v[0:1]
	v_lshl_add_u64 v[108:109], v[8:9], 4, v[24:25]
	v_lshl_add_u64 v[112:113], v[16:17], 4, v[24:25]
	v_ashrrev_i32_e32 v27, 31, v26
	v_lshl_add_u64 v[106:107], s[2:3], 4, v[104:105]
	global_load_dwordx4 v[4:7], v[104:105], off
	global_load_dwordx4 v[0:3], v[106:107], off
	;; [unrolled: 1-line block ×6, first 2 shown]
	v_lshl_add_u64 v[130:131], v[26:27], 4, v[24:25]
	global_load_dwordx4 v[44:47], v[116:117], off
	global_load_dwordx4 v[40:43], v[118:119], off
	;; [unrolled: 1-line block ×7, first 2 shown]
	s_mulk_i32 s8, 0xd0
	s_movk_i32 s0, 0xd0
	s_add_i32 s1, s8, 0
	v_mad_u32_u24 v134, v52, s0, 0
	v_lshl_add_u32 v133, v52, 4, s1
	v_cmp_ne_u32_e64 s[2:3], 0, v132
	v_cmp_eq_u32_e64 s[0:1], 0, v132
	s_and_saveexec_b64 s[8:9], s[0:1]
	s_cbranch_execz .LBB25_8
; %bb.2:
	s_waitcnt vmcnt(12)
	ds_write2_b64 v133, v[4:5], v[6:7] offset1:1
	s_waitcnt vmcnt(11)
	ds_write2_b64 v134, v[0:1], v[2:3] offset0:2 offset1:3
	s_waitcnt vmcnt(10)
	ds_write2_b64 v134, v[12:13], v[14:15] offset0:4 offset1:5
	;; [unrolled: 2-line block ×12, first 2 shown]
	ds_read2_b64 v[52:55], v133 offset1:1
	s_waitcnt lgkmcnt(0)
	v_cmp_neq_f64_e32 vcc, 0, v[52:53]
	v_cmp_neq_f64_e64 s[4:5], 0, v[54:55]
	s_or_b64 s[4:5], vcc, s[4:5]
	s_and_b64 exec, exec, s[4:5]
	s_cbranch_execz .LBB25_8
; %bb.3:
	v_cmp_ngt_f64_e64 s[4:5], |v[52:53]|, |v[54:55]|
                                        ; implicit-def: $vgpr56_vgpr57
	s_and_saveexec_b64 s[10:11], s[4:5]
	s_xor_b64 s[4:5], exec, s[10:11]
                                        ; implicit-def: $vgpr58_vgpr59
	s_cbranch_execz .LBB25_5
; %bb.4:
	v_div_scale_f64 v[56:57], s[10:11], v[54:55], v[54:55], v[52:53]
	v_rcp_f64_e32 v[58:59], v[56:57]
	v_div_scale_f64 v[60:61], vcc, v[52:53], v[54:55], v[52:53]
	v_fma_f64 v[62:63], -v[56:57], v[58:59], 1.0
	v_fmac_f64_e32 v[58:59], v[58:59], v[62:63]
	v_fma_f64 v[62:63], -v[56:57], v[58:59], 1.0
	v_fmac_f64_e32 v[58:59], v[58:59], v[62:63]
	v_mul_f64 v[62:63], v[60:61], v[58:59]
	v_fma_f64 v[56:57], -v[56:57], v[62:63], v[60:61]
	v_div_fmas_f64 v[56:57], v[56:57], v[58:59], v[62:63]
	v_div_fixup_f64 v[56:57], v[56:57], v[54:55], v[52:53]
	v_fmac_f64_e32 v[54:55], v[52:53], v[56:57]
	v_div_scale_f64 v[52:53], s[10:11], v[54:55], v[54:55], 1.0
	v_rcp_f64_e32 v[58:59], v[52:53]
	s_nop 0
	v_fma_f64 v[60:61], -v[52:53], v[58:59], 1.0
	v_fmac_f64_e32 v[58:59], v[58:59], v[60:61]
	v_fma_f64 v[60:61], -v[52:53], v[58:59], 1.0
	v_fmac_f64_e32 v[58:59], v[58:59], v[60:61]
	v_div_scale_f64 v[60:61], vcc, 1.0, v[54:55], 1.0
	v_mul_f64 v[62:63], v[60:61], v[58:59]
	v_fma_f64 v[52:53], -v[52:53], v[62:63], v[60:61]
	s_nop 1
	v_div_fmas_f64 v[52:53], v[52:53], v[58:59], v[62:63]
	v_div_fixup_f64 v[58:59], v[52:53], v[54:55], 1.0
	v_mul_f64 v[56:57], v[56:57], v[58:59]
	v_xor_b32_e32 v59, 0x80000000, v59
                                        ; implicit-def: $vgpr52_vgpr53
.LBB25_5:
	s_andn2_saveexec_b64 s[4:5], s[4:5]
	s_cbranch_execz .LBB25_7
; %bb.6:
	v_div_scale_f64 v[56:57], s[10:11], v[52:53], v[52:53], v[54:55]
	v_rcp_f64_e32 v[58:59], v[56:57]
	v_div_scale_f64 v[60:61], vcc, v[54:55], v[52:53], v[54:55]
	v_fma_f64 v[62:63], -v[56:57], v[58:59], 1.0
	v_fmac_f64_e32 v[58:59], v[58:59], v[62:63]
	v_fma_f64 v[62:63], -v[56:57], v[58:59], 1.0
	v_fmac_f64_e32 v[58:59], v[58:59], v[62:63]
	v_mul_f64 v[62:63], v[60:61], v[58:59]
	v_fma_f64 v[56:57], -v[56:57], v[62:63], v[60:61]
	v_div_fmas_f64 v[56:57], v[56:57], v[58:59], v[62:63]
	v_div_fixup_f64 v[58:59], v[56:57], v[52:53], v[54:55]
	v_fmac_f64_e32 v[52:53], v[54:55], v[58:59]
	v_div_scale_f64 v[54:55], s[10:11], v[52:53], v[52:53], 1.0
	v_rcp_f64_e32 v[56:57], v[54:55]
	s_nop 0
	v_fma_f64 v[60:61], -v[54:55], v[56:57], 1.0
	v_fmac_f64_e32 v[56:57], v[56:57], v[60:61]
	v_fma_f64 v[60:61], -v[54:55], v[56:57], 1.0
	v_fmac_f64_e32 v[56:57], v[56:57], v[60:61]
	v_div_scale_f64 v[60:61], vcc, 1.0, v[52:53], 1.0
	v_mul_f64 v[62:63], v[60:61], v[56:57]
	v_fma_f64 v[54:55], -v[54:55], v[62:63], v[60:61]
	s_nop 1
	v_div_fmas_f64 v[54:55], v[54:55], v[56:57], v[62:63]
	v_div_fixup_f64 v[56:57], v[54:55], v[52:53], 1.0
	v_mul_f64 v[58:59], v[58:59], -v[56:57]
.LBB25_7:
	s_or_b64 exec, exec, s[4:5]
	ds_write2_b64 v133, v[56:57], v[58:59] offset1:1
.LBB25_8:
	s_or_b64 exec, exec, s[8:9]
	s_waitcnt lgkmcnt(0)
	s_barrier
	ds_read2_b64 v[52:55], v133 offset1:1
	s_and_saveexec_b64 s[4:5], s[2:3]
	s_cbranch_execz .LBB25_10
; %bb.9:
	ds_read2_b64 v[56:59], v134 offset0:2 offset1:3
	ds_read2_b64 v[60:63], v134 offset0:4 offset1:5
	s_waitcnt vmcnt(12) lgkmcnt(2)
	v_mul_f64 v[64:65], v[52:53], v[6:7]
	v_fmac_f64_e32 v[64:65], v[54:55], v[4:5]
	v_mul_f64 v[6:7], v[54:55], v[6:7]
	v_fma_f64 v[4:5], v[52:53], v[4:5], -v[6:7]
	s_waitcnt lgkmcnt(1)
	v_mul_f64 v[6:7], v[58:59], v[64:65]
	v_fma_f64 v[6:7], v[56:57], v[4:5], -v[6:7]
	v_mul_f64 v[56:57], v[56:57], v[64:65]
	v_fmac_f64_e32 v[56:57], v[58:59], v[4:5]
	s_waitcnt vmcnt(11)
	v_add_f64 v[0:1], v[0:1], -v[6:7]
	v_add_f64 v[2:3], v[2:3], -v[56:57]
	s_waitcnt lgkmcnt(0)
	v_mul_f64 v[6:7], v[62:63], v[64:65]
	ds_read2_b64 v[56:59], v134 offset0:6 offset1:7
	v_fma_f64 v[6:7], v[60:61], v[4:5], -v[6:7]
	v_mul_f64 v[60:61], v[60:61], v[64:65]
	v_fmac_f64_e32 v[60:61], v[62:63], v[4:5]
	s_waitcnt vmcnt(10)
	v_add_f64 v[14:15], v[14:15], -v[60:61]
	ds_read2_b64 v[60:63], v134 offset0:8 offset1:9
	v_add_f64 v[12:13], v[12:13], -v[6:7]
	s_waitcnt lgkmcnt(1)
	v_mul_f64 v[6:7], v[58:59], v[64:65]
	v_fma_f64 v[6:7], v[56:57], v[4:5], -v[6:7]
	v_mul_f64 v[56:57], v[56:57], v[64:65]
	v_fmac_f64_e32 v[56:57], v[58:59], v[4:5]
	s_waitcnt vmcnt(9)
	v_add_f64 v[8:9], v[8:9], -v[6:7]
	v_add_f64 v[10:11], v[10:11], -v[56:57]
	s_waitcnt lgkmcnt(0)
	v_mul_f64 v[6:7], v[62:63], v[64:65]
	ds_read2_b64 v[56:59], v134 offset0:10 offset1:11
	v_fma_f64 v[6:7], v[60:61], v[4:5], -v[6:7]
	v_mul_f64 v[60:61], v[60:61], v[64:65]
	v_fmac_f64_e32 v[60:61], v[62:63], v[4:5]
	s_waitcnt vmcnt(8)
	v_add_f64 v[22:23], v[22:23], -v[60:61]
	ds_read2_b64 v[60:63], v134 offset0:12 offset1:13
	v_add_f64 v[20:21], v[20:21], -v[6:7]
	;; [unrolled: 18-line block ×5, first 2 shown]
	s_waitcnt lgkmcnt(1)
	v_mul_f64 v[6:7], v[58:59], v[64:65]
	v_fma_f64 v[6:7], v[56:57], v[4:5], -v[6:7]
	v_mul_f64 v[56:57], v[56:57], v[64:65]
	v_fmac_f64_e32 v[56:57], v[58:59], v[4:5]
	s_waitcnt vmcnt(1)
	v_add_f64 v[24:25], v[24:25], -v[6:7]
	v_add_f64 v[26:27], v[26:27], -v[56:57]
	s_waitcnt lgkmcnt(0)
	v_mul_f64 v[6:7], v[62:63], v[64:65]
	v_mul_f64 v[56:57], v[60:61], v[64:65]
	v_fma_f64 v[6:7], v[60:61], v[4:5], -v[6:7]
	v_fmac_f64_e32 v[56:57], v[62:63], v[4:5]
	s_waitcnt vmcnt(0)
	v_add_f64 v[48:49], v[48:49], -v[6:7]
	v_add_f64 v[50:51], v[50:51], -v[56:57]
	v_mov_b64_e32 v[6:7], v[64:65]
.LBB25_10:
	s_or_b64 exec, exec, s[4:5]
	v_cmp_eq_u32_e32 vcc, 1, v132
	s_waitcnt lgkmcnt(0)
	s_barrier
	s_and_saveexec_b64 s[4:5], vcc
	s_cbranch_execz .LBB25_17
; %bb.11:
	s_waitcnt vmcnt(11)
	ds_write2_b64 v133, v[0:1], v[2:3] offset1:1
	s_waitcnt vmcnt(10)
	ds_write2_b64 v134, v[12:13], v[14:15] offset0:4 offset1:5
	s_waitcnt vmcnt(9)
	ds_write2_b64 v134, v[8:9], v[10:11] offset0:6 offset1:7
	;; [unrolled: 2-line block ×11, first 2 shown]
	ds_read2_b64 v[56:59], v133 offset1:1
	s_waitcnt lgkmcnt(0)
	v_cmp_neq_f64_e32 vcc, 0, v[56:57]
	v_cmp_neq_f64_e64 s[2:3], 0, v[58:59]
	s_or_b64 s[2:3], vcc, s[2:3]
	s_and_b64 exec, exec, s[2:3]
	s_cbranch_execz .LBB25_17
; %bb.12:
	v_cmp_ngt_f64_e64 s[2:3], |v[56:57]|, |v[58:59]|
                                        ; implicit-def: $vgpr60_vgpr61
	s_and_saveexec_b64 s[8:9], s[2:3]
	s_xor_b64 s[2:3], exec, s[8:9]
                                        ; implicit-def: $vgpr62_vgpr63
	s_cbranch_execz .LBB25_14
; %bb.13:
	v_div_scale_f64 v[60:61], s[8:9], v[58:59], v[58:59], v[56:57]
	v_rcp_f64_e32 v[62:63], v[60:61]
	v_div_scale_f64 v[64:65], vcc, v[56:57], v[58:59], v[56:57]
	v_fma_f64 v[66:67], -v[60:61], v[62:63], 1.0
	v_fmac_f64_e32 v[62:63], v[62:63], v[66:67]
	v_fma_f64 v[66:67], -v[60:61], v[62:63], 1.0
	v_fmac_f64_e32 v[62:63], v[62:63], v[66:67]
	v_mul_f64 v[66:67], v[64:65], v[62:63]
	v_fma_f64 v[60:61], -v[60:61], v[66:67], v[64:65]
	v_div_fmas_f64 v[60:61], v[60:61], v[62:63], v[66:67]
	v_div_fixup_f64 v[60:61], v[60:61], v[58:59], v[56:57]
	v_fmac_f64_e32 v[58:59], v[56:57], v[60:61]
	v_div_scale_f64 v[56:57], s[8:9], v[58:59], v[58:59], 1.0
	v_rcp_f64_e32 v[62:63], v[56:57]
	s_nop 0
	v_fma_f64 v[64:65], -v[56:57], v[62:63], 1.0
	v_fmac_f64_e32 v[62:63], v[62:63], v[64:65]
	v_fma_f64 v[64:65], -v[56:57], v[62:63], 1.0
	v_fmac_f64_e32 v[62:63], v[62:63], v[64:65]
	v_div_scale_f64 v[64:65], vcc, 1.0, v[58:59], 1.0
	v_mul_f64 v[66:67], v[64:65], v[62:63]
	v_fma_f64 v[56:57], -v[56:57], v[66:67], v[64:65]
	s_nop 1
	v_div_fmas_f64 v[56:57], v[56:57], v[62:63], v[66:67]
	v_div_fixup_f64 v[62:63], v[56:57], v[58:59], 1.0
	v_mul_f64 v[60:61], v[60:61], v[62:63]
	v_xor_b32_e32 v63, 0x80000000, v63
                                        ; implicit-def: $vgpr56_vgpr57
.LBB25_14:
	s_andn2_saveexec_b64 s[2:3], s[2:3]
	s_cbranch_execz .LBB25_16
; %bb.15:
	v_div_scale_f64 v[60:61], s[8:9], v[56:57], v[56:57], v[58:59]
	v_rcp_f64_e32 v[62:63], v[60:61]
	v_div_scale_f64 v[64:65], vcc, v[58:59], v[56:57], v[58:59]
	v_fma_f64 v[66:67], -v[60:61], v[62:63], 1.0
	v_fmac_f64_e32 v[62:63], v[62:63], v[66:67]
	v_fma_f64 v[66:67], -v[60:61], v[62:63], 1.0
	v_fmac_f64_e32 v[62:63], v[62:63], v[66:67]
	v_mul_f64 v[66:67], v[64:65], v[62:63]
	v_fma_f64 v[60:61], -v[60:61], v[66:67], v[64:65]
	v_div_fmas_f64 v[60:61], v[60:61], v[62:63], v[66:67]
	v_div_fixup_f64 v[62:63], v[60:61], v[56:57], v[58:59]
	v_fmac_f64_e32 v[56:57], v[58:59], v[62:63]
	v_div_scale_f64 v[58:59], s[8:9], v[56:57], v[56:57], 1.0
	v_rcp_f64_e32 v[60:61], v[58:59]
	s_nop 0
	v_fma_f64 v[64:65], -v[58:59], v[60:61], 1.0
	v_fmac_f64_e32 v[60:61], v[60:61], v[64:65]
	v_fma_f64 v[64:65], -v[58:59], v[60:61], 1.0
	v_fmac_f64_e32 v[60:61], v[60:61], v[64:65]
	v_div_scale_f64 v[64:65], vcc, 1.0, v[56:57], 1.0
	v_mul_f64 v[66:67], v[64:65], v[60:61]
	v_fma_f64 v[58:59], -v[58:59], v[66:67], v[64:65]
	s_nop 1
	v_div_fmas_f64 v[58:59], v[58:59], v[60:61], v[66:67]
	v_div_fixup_f64 v[60:61], v[58:59], v[56:57], 1.0
	v_mul_f64 v[62:63], v[62:63], -v[60:61]
.LBB25_16:
	s_or_b64 exec, exec, s[2:3]
	ds_write2_b64 v133, v[60:61], v[62:63] offset1:1
.LBB25_17:
	s_or_b64 exec, exec, s[4:5]
	s_waitcnt lgkmcnt(0)
	s_barrier
	ds_read2_b64 v[56:59], v133 offset1:1
	v_cmp_lt_u32_e32 vcc, 1, v132
	s_and_saveexec_b64 s[2:3], vcc
	s_cbranch_execz .LBB25_19
; %bb.18:
	ds_read2_b64 v[60:63], v134 offset0:4 offset1:5
	ds_read2_b64 v[64:67], v134 offset0:6 offset1:7
	s_waitcnt vmcnt(11) lgkmcnt(2)
	v_mul_f64 v[68:69], v[56:57], v[2:3]
	v_fmac_f64_e32 v[68:69], v[58:59], v[0:1]
	v_mul_f64 v[2:3], v[58:59], v[2:3]
	v_fma_f64 v[0:1], v[56:57], v[0:1], -v[2:3]
	s_waitcnt lgkmcnt(1)
	v_mul_f64 v[2:3], v[62:63], v[68:69]
	v_fma_f64 v[2:3], v[60:61], v[0:1], -v[2:3]
	v_mul_f64 v[60:61], v[60:61], v[68:69]
	v_fmac_f64_e32 v[60:61], v[62:63], v[0:1]
	s_waitcnt vmcnt(10)
	v_add_f64 v[14:15], v[14:15], -v[60:61]
	ds_read2_b64 v[60:63], v134 offset0:8 offset1:9
	v_add_f64 v[12:13], v[12:13], -v[2:3]
	s_waitcnt lgkmcnt(1)
	v_mul_f64 v[2:3], v[66:67], v[68:69]
	v_fma_f64 v[2:3], v[64:65], v[0:1], -v[2:3]
	v_mul_f64 v[64:65], v[64:65], v[68:69]
	v_fmac_f64_e32 v[64:65], v[66:67], v[0:1]
	s_waitcnt vmcnt(9)
	v_add_f64 v[8:9], v[8:9], -v[2:3]
	v_add_f64 v[10:11], v[10:11], -v[64:65]
	ds_read2_b64 v[64:67], v134 offset0:10 offset1:11
	s_waitcnt lgkmcnt(1)
	v_mul_f64 v[2:3], v[62:63], v[68:69]
	v_fma_f64 v[2:3], v[60:61], v[0:1], -v[2:3]
	v_mul_f64 v[60:61], v[60:61], v[68:69]
	v_fmac_f64_e32 v[60:61], v[62:63], v[0:1]
	s_waitcnt vmcnt(8)
	v_add_f64 v[22:23], v[22:23], -v[60:61]
	ds_read2_b64 v[60:63], v134 offset0:12 offset1:13
	v_add_f64 v[20:21], v[20:21], -v[2:3]
	s_waitcnt lgkmcnt(1)
	v_mul_f64 v[2:3], v[66:67], v[68:69]
	v_fma_f64 v[2:3], v[64:65], v[0:1], -v[2:3]
	v_mul_f64 v[64:65], v[64:65], v[68:69]
	v_fmac_f64_e32 v[64:65], v[66:67], v[0:1]
	s_waitcnt vmcnt(7)
	v_add_f64 v[16:17], v[16:17], -v[2:3]
	v_add_f64 v[18:19], v[18:19], -v[64:65]
	ds_read2_b64 v[64:67], v134 offset0:14 offset1:15
	;; [unrolled: 18-line block ×4, first 2 shown]
	s_waitcnt lgkmcnt(1)
	v_mul_f64 v[2:3], v[62:63], v[68:69]
	v_fma_f64 v[2:3], v[60:61], v[0:1], -v[2:3]
	v_mul_f64 v[60:61], v[60:61], v[68:69]
	v_fmac_f64_e32 v[60:61], v[62:63], v[0:1]
	s_waitcnt vmcnt(2)
	v_add_f64 v[30:31], v[30:31], -v[60:61]
	ds_read2_b64 v[60:63], v134 offset0:24 offset1:25
	v_add_f64 v[28:29], v[28:29], -v[2:3]
	s_waitcnt lgkmcnt(1)
	v_mul_f64 v[2:3], v[66:67], v[68:69]
	v_fma_f64 v[2:3], v[64:65], v[0:1], -v[2:3]
	s_waitcnt vmcnt(1)
	v_add_f64 v[24:25], v[24:25], -v[2:3]
	s_waitcnt lgkmcnt(0)
	v_mul_f64 v[2:3], v[62:63], v[68:69]
	v_mul_f64 v[64:65], v[64:65], v[68:69]
	v_fma_f64 v[2:3], v[60:61], v[0:1], -v[2:3]
	v_mul_f64 v[60:61], v[60:61], v[68:69]
	v_fmac_f64_e32 v[64:65], v[66:67], v[0:1]
	v_fmac_f64_e32 v[60:61], v[62:63], v[0:1]
	v_add_f64 v[26:27], v[26:27], -v[64:65]
	s_waitcnt vmcnt(0)
	v_add_f64 v[48:49], v[48:49], -v[2:3]
	v_add_f64 v[50:51], v[50:51], -v[60:61]
	v_mov_b64_e32 v[2:3], v[68:69]
.LBB25_19:
	s_or_b64 exec, exec, s[2:3]
	v_cmp_eq_u32_e32 vcc, 2, v132
	s_waitcnt lgkmcnt(0)
	s_barrier
	s_and_saveexec_b64 s[4:5], vcc
	s_cbranch_execz .LBB25_26
; %bb.20:
	s_waitcnt vmcnt(10)
	ds_write2_b64 v133, v[12:13], v[14:15] offset1:1
	s_waitcnt vmcnt(9)
	ds_write2_b64 v134, v[8:9], v[10:11] offset0:6 offset1:7
	s_waitcnt vmcnt(8)
	ds_write2_b64 v134, v[20:21], v[22:23] offset0:8 offset1:9
	;; [unrolled: 2-line block ×10, first 2 shown]
	ds_read2_b64 v[60:63], v133 offset1:1
	s_waitcnt lgkmcnt(0)
	v_cmp_neq_f64_e32 vcc, 0, v[60:61]
	v_cmp_neq_f64_e64 s[2:3], 0, v[62:63]
	s_or_b64 s[2:3], vcc, s[2:3]
	s_and_b64 exec, exec, s[2:3]
	s_cbranch_execz .LBB25_26
; %bb.21:
	v_cmp_ngt_f64_e64 s[2:3], |v[60:61]|, |v[62:63]|
                                        ; implicit-def: $vgpr64_vgpr65
	s_and_saveexec_b64 s[8:9], s[2:3]
	s_xor_b64 s[2:3], exec, s[8:9]
                                        ; implicit-def: $vgpr66_vgpr67
	s_cbranch_execz .LBB25_23
; %bb.22:
	v_div_scale_f64 v[64:65], s[8:9], v[62:63], v[62:63], v[60:61]
	v_rcp_f64_e32 v[66:67], v[64:65]
	v_div_scale_f64 v[68:69], vcc, v[60:61], v[62:63], v[60:61]
	v_fma_f64 v[70:71], -v[64:65], v[66:67], 1.0
	v_fmac_f64_e32 v[66:67], v[66:67], v[70:71]
	v_fma_f64 v[70:71], -v[64:65], v[66:67], 1.0
	v_fmac_f64_e32 v[66:67], v[66:67], v[70:71]
	v_mul_f64 v[70:71], v[68:69], v[66:67]
	v_fma_f64 v[64:65], -v[64:65], v[70:71], v[68:69]
	v_div_fmas_f64 v[64:65], v[64:65], v[66:67], v[70:71]
	v_div_fixup_f64 v[64:65], v[64:65], v[62:63], v[60:61]
	v_fmac_f64_e32 v[62:63], v[60:61], v[64:65]
	v_div_scale_f64 v[60:61], s[8:9], v[62:63], v[62:63], 1.0
	v_rcp_f64_e32 v[66:67], v[60:61]
	s_nop 0
	v_fma_f64 v[68:69], -v[60:61], v[66:67], 1.0
	v_fmac_f64_e32 v[66:67], v[66:67], v[68:69]
	v_fma_f64 v[68:69], -v[60:61], v[66:67], 1.0
	v_fmac_f64_e32 v[66:67], v[66:67], v[68:69]
	v_div_scale_f64 v[68:69], vcc, 1.0, v[62:63], 1.0
	v_mul_f64 v[70:71], v[68:69], v[66:67]
	v_fma_f64 v[60:61], -v[60:61], v[70:71], v[68:69]
	s_nop 1
	v_div_fmas_f64 v[60:61], v[60:61], v[66:67], v[70:71]
	v_div_fixup_f64 v[66:67], v[60:61], v[62:63], 1.0
	v_mul_f64 v[64:65], v[64:65], v[66:67]
	v_xor_b32_e32 v67, 0x80000000, v67
                                        ; implicit-def: $vgpr60_vgpr61
.LBB25_23:
	s_andn2_saveexec_b64 s[2:3], s[2:3]
	s_cbranch_execz .LBB25_25
; %bb.24:
	v_div_scale_f64 v[64:65], s[8:9], v[60:61], v[60:61], v[62:63]
	v_rcp_f64_e32 v[66:67], v[64:65]
	v_div_scale_f64 v[68:69], vcc, v[62:63], v[60:61], v[62:63]
	v_fma_f64 v[70:71], -v[64:65], v[66:67], 1.0
	v_fmac_f64_e32 v[66:67], v[66:67], v[70:71]
	v_fma_f64 v[70:71], -v[64:65], v[66:67], 1.0
	v_fmac_f64_e32 v[66:67], v[66:67], v[70:71]
	v_mul_f64 v[70:71], v[68:69], v[66:67]
	v_fma_f64 v[64:65], -v[64:65], v[70:71], v[68:69]
	v_div_fmas_f64 v[64:65], v[64:65], v[66:67], v[70:71]
	v_div_fixup_f64 v[66:67], v[64:65], v[60:61], v[62:63]
	v_fmac_f64_e32 v[60:61], v[62:63], v[66:67]
	v_div_scale_f64 v[62:63], s[8:9], v[60:61], v[60:61], 1.0
	v_rcp_f64_e32 v[64:65], v[62:63]
	s_nop 0
	v_fma_f64 v[68:69], -v[62:63], v[64:65], 1.0
	v_fmac_f64_e32 v[64:65], v[64:65], v[68:69]
	v_fma_f64 v[68:69], -v[62:63], v[64:65], 1.0
	v_fmac_f64_e32 v[64:65], v[64:65], v[68:69]
	v_div_scale_f64 v[68:69], vcc, 1.0, v[60:61], 1.0
	v_mul_f64 v[70:71], v[68:69], v[64:65]
	v_fma_f64 v[62:63], -v[62:63], v[70:71], v[68:69]
	s_nop 1
	v_div_fmas_f64 v[62:63], v[62:63], v[64:65], v[70:71]
	v_div_fixup_f64 v[64:65], v[62:63], v[60:61], 1.0
	v_mul_f64 v[66:67], v[66:67], -v[64:65]
.LBB25_25:
	s_or_b64 exec, exec, s[2:3]
	ds_write2_b64 v133, v[64:65], v[66:67] offset1:1
.LBB25_26:
	s_or_b64 exec, exec, s[4:5]
	s_waitcnt lgkmcnt(0)
	s_barrier
	ds_read2_b64 v[60:63], v133 offset1:1
	v_cmp_lt_u32_e32 vcc, 2, v132
	s_and_saveexec_b64 s[2:3], vcc
	s_cbranch_execz .LBB25_28
; %bb.27:
	ds_read2_b64 v[64:67], v134 offset0:6 offset1:7
	ds_read2_b64 v[68:71], v134 offset0:8 offset1:9
	s_waitcnt vmcnt(10) lgkmcnt(2)
	v_mul_f64 v[72:73], v[60:61], v[14:15]
	v_fmac_f64_e32 v[72:73], v[62:63], v[12:13]
	v_mul_f64 v[14:15], v[62:63], v[14:15]
	v_fma_f64 v[12:13], v[60:61], v[12:13], -v[14:15]
	s_waitcnt lgkmcnt(1)
	v_mul_f64 v[14:15], v[66:67], v[72:73]
	v_fma_f64 v[14:15], v[64:65], v[12:13], -v[14:15]
	v_mul_f64 v[64:65], v[64:65], v[72:73]
	v_fmac_f64_e32 v[64:65], v[66:67], v[12:13]
	s_waitcnt vmcnt(9)
	v_add_f64 v[8:9], v[8:9], -v[14:15]
	v_add_f64 v[10:11], v[10:11], -v[64:65]
	s_waitcnt lgkmcnt(0)
	v_mul_f64 v[14:15], v[70:71], v[72:73]
	ds_read2_b64 v[64:67], v134 offset0:10 offset1:11
	v_fma_f64 v[14:15], v[68:69], v[12:13], -v[14:15]
	v_mul_f64 v[68:69], v[68:69], v[72:73]
	v_fmac_f64_e32 v[68:69], v[70:71], v[12:13]
	s_waitcnt vmcnt(8)
	v_add_f64 v[22:23], v[22:23], -v[68:69]
	ds_read2_b64 v[68:71], v134 offset0:12 offset1:13
	v_add_f64 v[20:21], v[20:21], -v[14:15]
	s_waitcnt lgkmcnt(1)
	v_mul_f64 v[14:15], v[66:67], v[72:73]
	v_fma_f64 v[14:15], v[64:65], v[12:13], -v[14:15]
	v_mul_f64 v[64:65], v[64:65], v[72:73]
	v_fmac_f64_e32 v[64:65], v[66:67], v[12:13]
	s_waitcnt vmcnt(7)
	v_add_f64 v[16:17], v[16:17], -v[14:15]
	v_add_f64 v[18:19], v[18:19], -v[64:65]
	s_waitcnt lgkmcnt(0)
	v_mul_f64 v[14:15], v[70:71], v[72:73]
	ds_read2_b64 v[64:67], v134 offset0:14 offset1:15
	v_fma_f64 v[14:15], v[68:69], v[12:13], -v[14:15]
	v_mul_f64 v[68:69], v[68:69], v[72:73]
	v_fmac_f64_e32 v[68:69], v[70:71], v[12:13]
	s_waitcnt vmcnt(6)
	v_add_f64 v[46:47], v[46:47], -v[68:69]
	ds_read2_b64 v[68:71], v134 offset0:16 offset1:17
	v_add_f64 v[44:45], v[44:45], -v[14:15]
	;; [unrolled: 18-line block ×4, first 2 shown]
	s_waitcnt lgkmcnt(1)
	v_mul_f64 v[14:15], v[66:67], v[72:73]
	v_fma_f64 v[14:15], v[64:65], v[12:13], -v[14:15]
	v_mul_f64 v[64:65], v[64:65], v[72:73]
	v_fmac_f64_e32 v[64:65], v[66:67], v[12:13]
	s_waitcnt vmcnt(1)
	v_add_f64 v[24:25], v[24:25], -v[14:15]
	v_add_f64 v[26:27], v[26:27], -v[64:65]
	s_waitcnt lgkmcnt(0)
	v_mul_f64 v[14:15], v[70:71], v[72:73]
	v_mul_f64 v[64:65], v[68:69], v[72:73]
	v_fma_f64 v[14:15], v[68:69], v[12:13], -v[14:15]
	v_fmac_f64_e32 v[64:65], v[70:71], v[12:13]
	s_waitcnt vmcnt(0)
	v_add_f64 v[48:49], v[48:49], -v[14:15]
	v_add_f64 v[50:51], v[50:51], -v[64:65]
	v_mov_b64_e32 v[14:15], v[72:73]
.LBB25_28:
	s_or_b64 exec, exec, s[2:3]
	v_cmp_eq_u32_e32 vcc, 3, v132
	s_waitcnt lgkmcnt(0)
	s_barrier
	s_and_saveexec_b64 s[4:5], vcc
	s_cbranch_execz .LBB25_35
; %bb.29:
	s_waitcnt vmcnt(9)
	ds_write2_b64 v133, v[8:9], v[10:11] offset1:1
	s_waitcnt vmcnt(8)
	ds_write2_b64 v134, v[20:21], v[22:23] offset0:8 offset1:9
	s_waitcnt vmcnt(7)
	ds_write2_b64 v134, v[16:17], v[18:19] offset0:10 offset1:11
	;; [unrolled: 2-line block ×9, first 2 shown]
	ds_read2_b64 v[64:67], v133 offset1:1
	s_waitcnt lgkmcnt(0)
	v_cmp_neq_f64_e32 vcc, 0, v[64:65]
	v_cmp_neq_f64_e64 s[2:3], 0, v[66:67]
	s_or_b64 s[2:3], vcc, s[2:3]
	s_and_b64 exec, exec, s[2:3]
	s_cbranch_execz .LBB25_35
; %bb.30:
	v_cmp_ngt_f64_e64 s[2:3], |v[64:65]|, |v[66:67]|
                                        ; implicit-def: $vgpr68_vgpr69
	s_and_saveexec_b64 s[8:9], s[2:3]
	s_xor_b64 s[2:3], exec, s[8:9]
                                        ; implicit-def: $vgpr70_vgpr71
	s_cbranch_execz .LBB25_32
; %bb.31:
	v_div_scale_f64 v[68:69], s[8:9], v[66:67], v[66:67], v[64:65]
	v_rcp_f64_e32 v[70:71], v[68:69]
	v_div_scale_f64 v[72:73], vcc, v[64:65], v[66:67], v[64:65]
	v_fma_f64 v[74:75], -v[68:69], v[70:71], 1.0
	v_fmac_f64_e32 v[70:71], v[70:71], v[74:75]
	v_fma_f64 v[74:75], -v[68:69], v[70:71], 1.0
	v_fmac_f64_e32 v[70:71], v[70:71], v[74:75]
	v_mul_f64 v[74:75], v[72:73], v[70:71]
	v_fma_f64 v[68:69], -v[68:69], v[74:75], v[72:73]
	v_div_fmas_f64 v[68:69], v[68:69], v[70:71], v[74:75]
	v_div_fixup_f64 v[68:69], v[68:69], v[66:67], v[64:65]
	v_fmac_f64_e32 v[66:67], v[64:65], v[68:69]
	v_div_scale_f64 v[64:65], s[8:9], v[66:67], v[66:67], 1.0
	v_rcp_f64_e32 v[70:71], v[64:65]
	s_nop 0
	v_fma_f64 v[72:73], -v[64:65], v[70:71], 1.0
	v_fmac_f64_e32 v[70:71], v[70:71], v[72:73]
	v_fma_f64 v[72:73], -v[64:65], v[70:71], 1.0
	v_fmac_f64_e32 v[70:71], v[70:71], v[72:73]
	v_div_scale_f64 v[72:73], vcc, 1.0, v[66:67], 1.0
	v_mul_f64 v[74:75], v[72:73], v[70:71]
	v_fma_f64 v[64:65], -v[64:65], v[74:75], v[72:73]
	s_nop 1
	v_div_fmas_f64 v[64:65], v[64:65], v[70:71], v[74:75]
	v_div_fixup_f64 v[70:71], v[64:65], v[66:67], 1.0
	v_mul_f64 v[68:69], v[68:69], v[70:71]
	v_xor_b32_e32 v71, 0x80000000, v71
                                        ; implicit-def: $vgpr64_vgpr65
.LBB25_32:
	s_andn2_saveexec_b64 s[2:3], s[2:3]
	s_cbranch_execz .LBB25_34
; %bb.33:
	v_div_scale_f64 v[68:69], s[8:9], v[64:65], v[64:65], v[66:67]
	v_rcp_f64_e32 v[70:71], v[68:69]
	v_div_scale_f64 v[72:73], vcc, v[66:67], v[64:65], v[66:67]
	v_fma_f64 v[74:75], -v[68:69], v[70:71], 1.0
	v_fmac_f64_e32 v[70:71], v[70:71], v[74:75]
	v_fma_f64 v[74:75], -v[68:69], v[70:71], 1.0
	v_fmac_f64_e32 v[70:71], v[70:71], v[74:75]
	v_mul_f64 v[74:75], v[72:73], v[70:71]
	v_fma_f64 v[68:69], -v[68:69], v[74:75], v[72:73]
	v_div_fmas_f64 v[68:69], v[68:69], v[70:71], v[74:75]
	v_div_fixup_f64 v[70:71], v[68:69], v[64:65], v[66:67]
	v_fmac_f64_e32 v[64:65], v[66:67], v[70:71]
	v_div_scale_f64 v[66:67], s[8:9], v[64:65], v[64:65], 1.0
	v_rcp_f64_e32 v[68:69], v[66:67]
	s_nop 0
	v_fma_f64 v[72:73], -v[66:67], v[68:69], 1.0
	v_fmac_f64_e32 v[68:69], v[68:69], v[72:73]
	v_fma_f64 v[72:73], -v[66:67], v[68:69], 1.0
	v_fmac_f64_e32 v[68:69], v[68:69], v[72:73]
	v_div_scale_f64 v[72:73], vcc, 1.0, v[64:65], 1.0
	v_mul_f64 v[74:75], v[72:73], v[68:69]
	v_fma_f64 v[66:67], -v[66:67], v[74:75], v[72:73]
	s_nop 1
	v_div_fmas_f64 v[66:67], v[66:67], v[68:69], v[74:75]
	v_div_fixup_f64 v[68:69], v[66:67], v[64:65], 1.0
	v_mul_f64 v[70:71], v[70:71], -v[68:69]
.LBB25_34:
	s_or_b64 exec, exec, s[2:3]
	ds_write2_b64 v133, v[68:69], v[70:71] offset1:1
.LBB25_35:
	s_or_b64 exec, exec, s[4:5]
	s_waitcnt lgkmcnt(0)
	s_barrier
	ds_read2_b64 v[64:67], v133 offset1:1
	v_cmp_lt_u32_e32 vcc, 3, v132
	s_and_saveexec_b64 s[2:3], vcc
	s_cbranch_execz .LBB25_37
; %bb.36:
	ds_read2_b64 v[68:71], v134 offset0:8 offset1:9
	ds_read2_b64 v[72:75], v134 offset0:10 offset1:11
	s_waitcnt vmcnt(9) lgkmcnt(2)
	v_mul_f64 v[76:77], v[64:65], v[10:11]
	v_fmac_f64_e32 v[76:77], v[66:67], v[8:9]
	v_mul_f64 v[10:11], v[66:67], v[10:11]
	v_fma_f64 v[8:9], v[64:65], v[8:9], -v[10:11]
	s_waitcnt lgkmcnt(1)
	v_mul_f64 v[10:11], v[70:71], v[76:77]
	v_fma_f64 v[10:11], v[68:69], v[8:9], -v[10:11]
	v_mul_f64 v[68:69], v[68:69], v[76:77]
	v_fmac_f64_e32 v[68:69], v[70:71], v[8:9]
	s_waitcnt vmcnt(8)
	v_add_f64 v[22:23], v[22:23], -v[68:69]
	ds_read2_b64 v[68:71], v134 offset0:12 offset1:13
	v_add_f64 v[20:21], v[20:21], -v[10:11]
	s_waitcnt lgkmcnt(1)
	v_mul_f64 v[10:11], v[74:75], v[76:77]
	v_fma_f64 v[10:11], v[72:73], v[8:9], -v[10:11]
	v_mul_f64 v[72:73], v[72:73], v[76:77]
	v_fmac_f64_e32 v[72:73], v[74:75], v[8:9]
	s_waitcnt vmcnt(7)
	v_add_f64 v[16:17], v[16:17], -v[10:11]
	v_add_f64 v[18:19], v[18:19], -v[72:73]
	ds_read2_b64 v[72:75], v134 offset0:14 offset1:15
	s_waitcnt lgkmcnt(1)
	v_mul_f64 v[10:11], v[70:71], v[76:77]
	v_fma_f64 v[10:11], v[68:69], v[8:9], -v[10:11]
	v_mul_f64 v[68:69], v[68:69], v[76:77]
	v_fmac_f64_e32 v[68:69], v[70:71], v[8:9]
	s_waitcnt vmcnt(6)
	v_add_f64 v[46:47], v[46:47], -v[68:69]
	ds_read2_b64 v[68:71], v134 offset0:16 offset1:17
	v_add_f64 v[44:45], v[44:45], -v[10:11]
	s_waitcnt lgkmcnt(1)
	v_mul_f64 v[10:11], v[74:75], v[76:77]
	v_fma_f64 v[10:11], v[72:73], v[8:9], -v[10:11]
	v_mul_f64 v[72:73], v[72:73], v[76:77]
	v_fmac_f64_e32 v[72:73], v[74:75], v[8:9]
	s_waitcnt vmcnt(5)
	v_add_f64 v[40:41], v[40:41], -v[10:11]
	v_add_f64 v[42:43], v[42:43], -v[72:73]
	ds_read2_b64 v[72:75], v134 offset0:18 offset1:19
	;; [unrolled: 18-line block ×3, first 2 shown]
	s_waitcnt lgkmcnt(1)
	v_mul_f64 v[10:11], v[70:71], v[76:77]
	v_fma_f64 v[10:11], v[68:69], v[8:9], -v[10:11]
	v_mul_f64 v[68:69], v[68:69], v[76:77]
	v_fmac_f64_e32 v[68:69], v[70:71], v[8:9]
	s_waitcnt vmcnt(2)
	v_add_f64 v[30:31], v[30:31], -v[68:69]
	ds_read2_b64 v[68:71], v134 offset0:24 offset1:25
	v_add_f64 v[28:29], v[28:29], -v[10:11]
	s_waitcnt lgkmcnt(1)
	v_mul_f64 v[10:11], v[74:75], v[76:77]
	v_fma_f64 v[10:11], v[72:73], v[8:9], -v[10:11]
	s_waitcnt vmcnt(1)
	v_add_f64 v[24:25], v[24:25], -v[10:11]
	s_waitcnt lgkmcnt(0)
	v_mul_f64 v[10:11], v[70:71], v[76:77]
	v_mul_f64 v[72:73], v[72:73], v[76:77]
	v_fma_f64 v[10:11], v[68:69], v[8:9], -v[10:11]
	v_mul_f64 v[68:69], v[68:69], v[76:77]
	v_fmac_f64_e32 v[72:73], v[74:75], v[8:9]
	v_fmac_f64_e32 v[68:69], v[70:71], v[8:9]
	v_add_f64 v[26:27], v[26:27], -v[72:73]
	s_waitcnt vmcnt(0)
	v_add_f64 v[48:49], v[48:49], -v[10:11]
	v_add_f64 v[50:51], v[50:51], -v[68:69]
	v_mov_b64_e32 v[10:11], v[76:77]
.LBB25_37:
	s_or_b64 exec, exec, s[2:3]
	v_cmp_eq_u32_e32 vcc, 4, v132
	s_waitcnt lgkmcnt(0)
	s_barrier
	s_and_saveexec_b64 s[4:5], vcc
	s_cbranch_execz .LBB25_44
; %bb.38:
	s_waitcnt vmcnt(8)
	ds_write2_b64 v133, v[20:21], v[22:23] offset1:1
	s_waitcnt vmcnt(7)
	ds_write2_b64 v134, v[16:17], v[18:19] offset0:10 offset1:11
	s_waitcnt vmcnt(6)
	ds_write2_b64 v134, v[44:45], v[46:47] offset0:12 offset1:13
	;; [unrolled: 2-line block ×8, first 2 shown]
	ds_read2_b64 v[68:71], v133 offset1:1
	s_waitcnt lgkmcnt(0)
	v_cmp_neq_f64_e32 vcc, 0, v[68:69]
	v_cmp_neq_f64_e64 s[2:3], 0, v[70:71]
	s_or_b64 s[2:3], vcc, s[2:3]
	s_and_b64 exec, exec, s[2:3]
	s_cbranch_execz .LBB25_44
; %bb.39:
	v_cmp_ngt_f64_e64 s[2:3], |v[68:69]|, |v[70:71]|
                                        ; implicit-def: $vgpr72_vgpr73
	s_and_saveexec_b64 s[8:9], s[2:3]
	s_xor_b64 s[2:3], exec, s[8:9]
                                        ; implicit-def: $vgpr74_vgpr75
	s_cbranch_execz .LBB25_41
; %bb.40:
	v_div_scale_f64 v[72:73], s[8:9], v[70:71], v[70:71], v[68:69]
	v_rcp_f64_e32 v[74:75], v[72:73]
	v_div_scale_f64 v[76:77], vcc, v[68:69], v[70:71], v[68:69]
	v_fma_f64 v[78:79], -v[72:73], v[74:75], 1.0
	v_fmac_f64_e32 v[74:75], v[74:75], v[78:79]
	v_fma_f64 v[78:79], -v[72:73], v[74:75], 1.0
	v_fmac_f64_e32 v[74:75], v[74:75], v[78:79]
	v_mul_f64 v[78:79], v[76:77], v[74:75]
	v_fma_f64 v[72:73], -v[72:73], v[78:79], v[76:77]
	v_div_fmas_f64 v[72:73], v[72:73], v[74:75], v[78:79]
	v_div_fixup_f64 v[72:73], v[72:73], v[70:71], v[68:69]
	v_fmac_f64_e32 v[70:71], v[68:69], v[72:73]
	v_div_scale_f64 v[68:69], s[8:9], v[70:71], v[70:71], 1.0
	v_rcp_f64_e32 v[74:75], v[68:69]
	s_nop 0
	v_fma_f64 v[76:77], -v[68:69], v[74:75], 1.0
	v_fmac_f64_e32 v[74:75], v[74:75], v[76:77]
	v_fma_f64 v[76:77], -v[68:69], v[74:75], 1.0
	v_fmac_f64_e32 v[74:75], v[74:75], v[76:77]
	v_div_scale_f64 v[76:77], vcc, 1.0, v[70:71], 1.0
	v_mul_f64 v[78:79], v[76:77], v[74:75]
	v_fma_f64 v[68:69], -v[68:69], v[78:79], v[76:77]
	s_nop 1
	v_div_fmas_f64 v[68:69], v[68:69], v[74:75], v[78:79]
	v_div_fixup_f64 v[74:75], v[68:69], v[70:71], 1.0
	v_mul_f64 v[72:73], v[72:73], v[74:75]
	v_xor_b32_e32 v75, 0x80000000, v75
                                        ; implicit-def: $vgpr68_vgpr69
.LBB25_41:
	s_andn2_saveexec_b64 s[2:3], s[2:3]
	s_cbranch_execz .LBB25_43
; %bb.42:
	v_div_scale_f64 v[72:73], s[8:9], v[68:69], v[68:69], v[70:71]
	v_rcp_f64_e32 v[74:75], v[72:73]
	v_div_scale_f64 v[76:77], vcc, v[70:71], v[68:69], v[70:71]
	v_fma_f64 v[78:79], -v[72:73], v[74:75], 1.0
	v_fmac_f64_e32 v[74:75], v[74:75], v[78:79]
	v_fma_f64 v[78:79], -v[72:73], v[74:75], 1.0
	v_fmac_f64_e32 v[74:75], v[74:75], v[78:79]
	v_mul_f64 v[78:79], v[76:77], v[74:75]
	v_fma_f64 v[72:73], -v[72:73], v[78:79], v[76:77]
	v_div_fmas_f64 v[72:73], v[72:73], v[74:75], v[78:79]
	v_div_fixup_f64 v[74:75], v[72:73], v[68:69], v[70:71]
	v_fmac_f64_e32 v[68:69], v[70:71], v[74:75]
	v_div_scale_f64 v[70:71], s[8:9], v[68:69], v[68:69], 1.0
	v_rcp_f64_e32 v[72:73], v[70:71]
	s_nop 0
	v_fma_f64 v[76:77], -v[70:71], v[72:73], 1.0
	v_fmac_f64_e32 v[72:73], v[72:73], v[76:77]
	v_fma_f64 v[76:77], -v[70:71], v[72:73], 1.0
	v_fmac_f64_e32 v[72:73], v[72:73], v[76:77]
	v_div_scale_f64 v[76:77], vcc, 1.0, v[68:69], 1.0
	v_mul_f64 v[78:79], v[76:77], v[72:73]
	v_fma_f64 v[70:71], -v[70:71], v[78:79], v[76:77]
	s_nop 1
	v_div_fmas_f64 v[70:71], v[70:71], v[72:73], v[78:79]
	v_div_fixup_f64 v[72:73], v[70:71], v[68:69], 1.0
	v_mul_f64 v[74:75], v[74:75], -v[72:73]
.LBB25_43:
	s_or_b64 exec, exec, s[2:3]
	ds_write2_b64 v133, v[72:73], v[74:75] offset1:1
.LBB25_44:
	s_or_b64 exec, exec, s[4:5]
	s_waitcnt lgkmcnt(0)
	s_barrier
	ds_read2_b64 v[68:71], v133 offset1:1
	v_cmp_lt_u32_e32 vcc, 4, v132
	s_and_saveexec_b64 s[2:3], vcc
	s_cbranch_execz .LBB25_46
; %bb.45:
	ds_read2_b64 v[72:75], v134 offset0:10 offset1:11
	ds_read2_b64 v[76:79], v134 offset0:12 offset1:13
	s_waitcnt vmcnt(8) lgkmcnt(2)
	v_mul_f64 v[80:81], v[68:69], v[22:23]
	v_fmac_f64_e32 v[80:81], v[70:71], v[20:21]
	v_mul_f64 v[22:23], v[70:71], v[22:23]
	v_fma_f64 v[20:21], v[68:69], v[20:21], -v[22:23]
	s_waitcnt lgkmcnt(1)
	v_mul_f64 v[22:23], v[74:75], v[80:81]
	v_fma_f64 v[22:23], v[72:73], v[20:21], -v[22:23]
	v_mul_f64 v[72:73], v[72:73], v[80:81]
	v_fmac_f64_e32 v[72:73], v[74:75], v[20:21]
	s_waitcnt vmcnt(7)
	v_add_f64 v[16:17], v[16:17], -v[22:23]
	v_add_f64 v[18:19], v[18:19], -v[72:73]
	s_waitcnt lgkmcnt(0)
	v_mul_f64 v[22:23], v[78:79], v[80:81]
	ds_read2_b64 v[72:75], v134 offset0:14 offset1:15
	v_fma_f64 v[22:23], v[76:77], v[20:21], -v[22:23]
	v_mul_f64 v[76:77], v[76:77], v[80:81]
	v_fmac_f64_e32 v[76:77], v[78:79], v[20:21]
	s_waitcnt vmcnt(6)
	v_add_f64 v[46:47], v[46:47], -v[76:77]
	ds_read2_b64 v[76:79], v134 offset0:16 offset1:17
	v_add_f64 v[44:45], v[44:45], -v[22:23]
	s_waitcnt lgkmcnt(1)
	v_mul_f64 v[22:23], v[74:75], v[80:81]
	v_fma_f64 v[22:23], v[72:73], v[20:21], -v[22:23]
	v_mul_f64 v[72:73], v[72:73], v[80:81]
	v_fmac_f64_e32 v[72:73], v[74:75], v[20:21]
	s_waitcnt vmcnt(5)
	v_add_f64 v[40:41], v[40:41], -v[22:23]
	v_add_f64 v[42:43], v[42:43], -v[72:73]
	s_waitcnt lgkmcnt(0)
	v_mul_f64 v[22:23], v[78:79], v[80:81]
	ds_read2_b64 v[72:75], v134 offset0:18 offset1:19
	v_fma_f64 v[22:23], v[76:77], v[20:21], -v[22:23]
	v_mul_f64 v[76:77], v[76:77], v[80:81]
	v_fmac_f64_e32 v[76:77], v[78:79], v[20:21]
	s_waitcnt vmcnt(4)
	v_add_f64 v[38:39], v[38:39], -v[76:77]
	ds_read2_b64 v[76:79], v134 offset0:20 offset1:21
	v_add_f64 v[36:37], v[36:37], -v[22:23]
	;; [unrolled: 18-line block ×3, first 2 shown]
	s_waitcnt lgkmcnt(1)
	v_mul_f64 v[22:23], v[74:75], v[80:81]
	v_fma_f64 v[22:23], v[72:73], v[20:21], -v[22:23]
	v_mul_f64 v[72:73], v[72:73], v[80:81]
	v_fmac_f64_e32 v[72:73], v[74:75], v[20:21]
	s_waitcnt vmcnt(1)
	v_add_f64 v[24:25], v[24:25], -v[22:23]
	v_add_f64 v[26:27], v[26:27], -v[72:73]
	s_waitcnt lgkmcnt(0)
	v_mul_f64 v[22:23], v[78:79], v[80:81]
	v_mul_f64 v[72:73], v[76:77], v[80:81]
	v_fma_f64 v[22:23], v[76:77], v[20:21], -v[22:23]
	v_fmac_f64_e32 v[72:73], v[78:79], v[20:21]
	s_waitcnt vmcnt(0)
	v_add_f64 v[48:49], v[48:49], -v[22:23]
	v_add_f64 v[50:51], v[50:51], -v[72:73]
	v_mov_b64_e32 v[22:23], v[80:81]
.LBB25_46:
	s_or_b64 exec, exec, s[2:3]
	v_cmp_eq_u32_e32 vcc, 5, v132
	s_waitcnt lgkmcnt(0)
	s_barrier
	s_and_saveexec_b64 s[4:5], vcc
	s_cbranch_execz .LBB25_53
; %bb.47:
	s_waitcnt vmcnt(7)
	ds_write2_b64 v133, v[16:17], v[18:19] offset1:1
	s_waitcnt vmcnt(6)
	ds_write2_b64 v134, v[44:45], v[46:47] offset0:12 offset1:13
	s_waitcnt vmcnt(5)
	ds_write2_b64 v134, v[40:41], v[42:43] offset0:14 offset1:15
	;; [unrolled: 2-line block ×7, first 2 shown]
	ds_read2_b64 v[72:75], v133 offset1:1
	s_waitcnt lgkmcnt(0)
	v_cmp_neq_f64_e32 vcc, 0, v[72:73]
	v_cmp_neq_f64_e64 s[2:3], 0, v[74:75]
	s_or_b64 s[2:3], vcc, s[2:3]
	s_and_b64 exec, exec, s[2:3]
	s_cbranch_execz .LBB25_53
; %bb.48:
	v_cmp_ngt_f64_e64 s[2:3], |v[72:73]|, |v[74:75]|
                                        ; implicit-def: $vgpr76_vgpr77
	s_and_saveexec_b64 s[8:9], s[2:3]
	s_xor_b64 s[2:3], exec, s[8:9]
                                        ; implicit-def: $vgpr78_vgpr79
	s_cbranch_execz .LBB25_50
; %bb.49:
	v_div_scale_f64 v[76:77], s[8:9], v[74:75], v[74:75], v[72:73]
	v_rcp_f64_e32 v[78:79], v[76:77]
	v_div_scale_f64 v[80:81], vcc, v[72:73], v[74:75], v[72:73]
	v_fma_f64 v[82:83], -v[76:77], v[78:79], 1.0
	v_fmac_f64_e32 v[78:79], v[78:79], v[82:83]
	v_fma_f64 v[82:83], -v[76:77], v[78:79], 1.0
	v_fmac_f64_e32 v[78:79], v[78:79], v[82:83]
	v_mul_f64 v[82:83], v[80:81], v[78:79]
	v_fma_f64 v[76:77], -v[76:77], v[82:83], v[80:81]
	v_div_fmas_f64 v[76:77], v[76:77], v[78:79], v[82:83]
	v_div_fixup_f64 v[76:77], v[76:77], v[74:75], v[72:73]
	v_fmac_f64_e32 v[74:75], v[72:73], v[76:77]
	v_div_scale_f64 v[72:73], s[8:9], v[74:75], v[74:75], 1.0
	v_rcp_f64_e32 v[78:79], v[72:73]
	s_nop 0
	v_fma_f64 v[80:81], -v[72:73], v[78:79], 1.0
	v_fmac_f64_e32 v[78:79], v[78:79], v[80:81]
	v_fma_f64 v[80:81], -v[72:73], v[78:79], 1.0
	v_fmac_f64_e32 v[78:79], v[78:79], v[80:81]
	v_div_scale_f64 v[80:81], vcc, 1.0, v[74:75], 1.0
	v_mul_f64 v[82:83], v[80:81], v[78:79]
	v_fma_f64 v[72:73], -v[72:73], v[82:83], v[80:81]
	s_nop 1
	v_div_fmas_f64 v[72:73], v[72:73], v[78:79], v[82:83]
	v_div_fixup_f64 v[78:79], v[72:73], v[74:75], 1.0
	v_mul_f64 v[76:77], v[76:77], v[78:79]
	v_xor_b32_e32 v79, 0x80000000, v79
                                        ; implicit-def: $vgpr72_vgpr73
.LBB25_50:
	s_andn2_saveexec_b64 s[2:3], s[2:3]
	s_cbranch_execz .LBB25_52
; %bb.51:
	v_div_scale_f64 v[76:77], s[8:9], v[72:73], v[72:73], v[74:75]
	v_rcp_f64_e32 v[78:79], v[76:77]
	v_div_scale_f64 v[80:81], vcc, v[74:75], v[72:73], v[74:75]
	v_fma_f64 v[82:83], -v[76:77], v[78:79], 1.0
	v_fmac_f64_e32 v[78:79], v[78:79], v[82:83]
	v_fma_f64 v[82:83], -v[76:77], v[78:79], 1.0
	v_fmac_f64_e32 v[78:79], v[78:79], v[82:83]
	v_mul_f64 v[82:83], v[80:81], v[78:79]
	v_fma_f64 v[76:77], -v[76:77], v[82:83], v[80:81]
	v_div_fmas_f64 v[76:77], v[76:77], v[78:79], v[82:83]
	v_div_fixup_f64 v[78:79], v[76:77], v[72:73], v[74:75]
	v_fmac_f64_e32 v[72:73], v[74:75], v[78:79]
	v_div_scale_f64 v[74:75], s[8:9], v[72:73], v[72:73], 1.0
	v_rcp_f64_e32 v[76:77], v[74:75]
	s_nop 0
	v_fma_f64 v[80:81], -v[74:75], v[76:77], 1.0
	v_fmac_f64_e32 v[76:77], v[76:77], v[80:81]
	v_fma_f64 v[80:81], -v[74:75], v[76:77], 1.0
	v_fmac_f64_e32 v[76:77], v[76:77], v[80:81]
	v_div_scale_f64 v[80:81], vcc, 1.0, v[72:73], 1.0
	v_mul_f64 v[82:83], v[80:81], v[76:77]
	v_fma_f64 v[74:75], -v[74:75], v[82:83], v[80:81]
	s_nop 1
	v_div_fmas_f64 v[74:75], v[74:75], v[76:77], v[82:83]
	v_div_fixup_f64 v[76:77], v[74:75], v[72:73], 1.0
	v_mul_f64 v[78:79], v[78:79], -v[76:77]
.LBB25_52:
	s_or_b64 exec, exec, s[2:3]
	ds_write2_b64 v133, v[76:77], v[78:79] offset1:1
.LBB25_53:
	s_or_b64 exec, exec, s[4:5]
	s_waitcnt lgkmcnt(0)
	s_barrier
	ds_read2_b64 v[72:75], v133 offset1:1
	v_cmp_lt_u32_e32 vcc, 5, v132
	s_and_saveexec_b64 s[2:3], vcc
	s_cbranch_execz .LBB25_55
; %bb.54:
	ds_read2_b64 v[76:79], v134 offset0:12 offset1:13
	ds_read2_b64 v[80:83], v134 offset0:14 offset1:15
	s_waitcnt vmcnt(7) lgkmcnt(2)
	v_mul_f64 v[84:85], v[72:73], v[18:19]
	v_fmac_f64_e32 v[84:85], v[74:75], v[16:17]
	v_mul_f64 v[18:19], v[74:75], v[18:19]
	v_fma_f64 v[16:17], v[72:73], v[16:17], -v[18:19]
	s_waitcnt lgkmcnt(1)
	v_mul_f64 v[18:19], v[78:79], v[84:85]
	v_fma_f64 v[18:19], v[76:77], v[16:17], -v[18:19]
	v_mul_f64 v[76:77], v[76:77], v[84:85]
	v_fmac_f64_e32 v[76:77], v[78:79], v[16:17]
	s_waitcnt vmcnt(6)
	v_add_f64 v[46:47], v[46:47], -v[76:77]
	ds_read2_b64 v[76:79], v134 offset0:16 offset1:17
	v_add_f64 v[44:45], v[44:45], -v[18:19]
	s_waitcnt lgkmcnt(1)
	v_mul_f64 v[18:19], v[82:83], v[84:85]
	v_fma_f64 v[18:19], v[80:81], v[16:17], -v[18:19]
	v_mul_f64 v[80:81], v[80:81], v[84:85]
	v_fmac_f64_e32 v[80:81], v[82:83], v[16:17]
	s_waitcnt vmcnt(5)
	v_add_f64 v[40:41], v[40:41], -v[18:19]
	v_add_f64 v[42:43], v[42:43], -v[80:81]
	ds_read2_b64 v[80:83], v134 offset0:18 offset1:19
	s_waitcnt lgkmcnt(1)
	v_mul_f64 v[18:19], v[78:79], v[84:85]
	v_fma_f64 v[18:19], v[76:77], v[16:17], -v[18:19]
	v_mul_f64 v[76:77], v[76:77], v[84:85]
	v_fmac_f64_e32 v[76:77], v[78:79], v[16:17]
	s_waitcnt vmcnt(4)
	v_add_f64 v[38:39], v[38:39], -v[76:77]
	ds_read2_b64 v[76:79], v134 offset0:20 offset1:21
	v_add_f64 v[36:37], v[36:37], -v[18:19]
	s_waitcnt lgkmcnt(1)
	v_mul_f64 v[18:19], v[82:83], v[84:85]
	v_fma_f64 v[18:19], v[80:81], v[16:17], -v[18:19]
	v_mul_f64 v[80:81], v[80:81], v[84:85]
	v_fmac_f64_e32 v[80:81], v[82:83], v[16:17]
	s_waitcnt vmcnt(3)
	v_add_f64 v[32:33], v[32:33], -v[18:19]
	v_add_f64 v[34:35], v[34:35], -v[80:81]
	ds_read2_b64 v[80:83], v134 offset0:22 offset1:23
	s_waitcnt lgkmcnt(1)
	v_mul_f64 v[18:19], v[78:79], v[84:85]
	v_fma_f64 v[18:19], v[76:77], v[16:17], -v[18:19]
	v_mul_f64 v[76:77], v[76:77], v[84:85]
	v_fmac_f64_e32 v[76:77], v[78:79], v[16:17]
	s_waitcnt vmcnt(2)
	v_add_f64 v[30:31], v[30:31], -v[76:77]
	ds_read2_b64 v[76:79], v134 offset0:24 offset1:25
	v_add_f64 v[28:29], v[28:29], -v[18:19]
	s_waitcnt lgkmcnt(1)
	v_mul_f64 v[18:19], v[82:83], v[84:85]
	v_fma_f64 v[18:19], v[80:81], v[16:17], -v[18:19]
	s_waitcnt vmcnt(1)
	v_add_f64 v[24:25], v[24:25], -v[18:19]
	s_waitcnt lgkmcnt(0)
	v_mul_f64 v[18:19], v[78:79], v[84:85]
	v_mul_f64 v[80:81], v[80:81], v[84:85]
	v_fma_f64 v[18:19], v[76:77], v[16:17], -v[18:19]
	v_mul_f64 v[76:77], v[76:77], v[84:85]
	v_fmac_f64_e32 v[80:81], v[82:83], v[16:17]
	v_fmac_f64_e32 v[76:77], v[78:79], v[16:17]
	v_add_f64 v[26:27], v[26:27], -v[80:81]
	s_waitcnt vmcnt(0)
	v_add_f64 v[48:49], v[48:49], -v[18:19]
	v_add_f64 v[50:51], v[50:51], -v[76:77]
	v_mov_b64_e32 v[18:19], v[84:85]
.LBB25_55:
	s_or_b64 exec, exec, s[2:3]
	v_cmp_eq_u32_e32 vcc, 6, v132
	s_waitcnt lgkmcnt(0)
	s_barrier
	s_and_saveexec_b64 s[4:5], vcc
	s_cbranch_execz .LBB25_62
; %bb.56:
	s_waitcnt vmcnt(6)
	ds_write2_b64 v133, v[44:45], v[46:47] offset1:1
	s_waitcnt vmcnt(5)
	ds_write2_b64 v134, v[40:41], v[42:43] offset0:14 offset1:15
	s_waitcnt vmcnt(4)
	ds_write2_b64 v134, v[36:37], v[38:39] offset0:16 offset1:17
	;; [unrolled: 2-line block ×6, first 2 shown]
	ds_read2_b64 v[76:79], v133 offset1:1
	s_waitcnt lgkmcnt(0)
	v_cmp_neq_f64_e32 vcc, 0, v[76:77]
	v_cmp_neq_f64_e64 s[2:3], 0, v[78:79]
	s_or_b64 s[2:3], vcc, s[2:3]
	s_and_b64 exec, exec, s[2:3]
	s_cbranch_execz .LBB25_62
; %bb.57:
	v_cmp_ngt_f64_e64 s[2:3], |v[76:77]|, |v[78:79]|
                                        ; implicit-def: $vgpr80_vgpr81
	s_and_saveexec_b64 s[8:9], s[2:3]
	s_xor_b64 s[2:3], exec, s[8:9]
                                        ; implicit-def: $vgpr82_vgpr83
	s_cbranch_execz .LBB25_59
; %bb.58:
	v_div_scale_f64 v[80:81], s[8:9], v[78:79], v[78:79], v[76:77]
	v_rcp_f64_e32 v[82:83], v[80:81]
	v_div_scale_f64 v[84:85], vcc, v[76:77], v[78:79], v[76:77]
	v_fma_f64 v[86:87], -v[80:81], v[82:83], 1.0
	v_fmac_f64_e32 v[82:83], v[82:83], v[86:87]
	v_fma_f64 v[86:87], -v[80:81], v[82:83], 1.0
	v_fmac_f64_e32 v[82:83], v[82:83], v[86:87]
	v_mul_f64 v[86:87], v[84:85], v[82:83]
	v_fma_f64 v[80:81], -v[80:81], v[86:87], v[84:85]
	v_div_fmas_f64 v[80:81], v[80:81], v[82:83], v[86:87]
	v_div_fixup_f64 v[80:81], v[80:81], v[78:79], v[76:77]
	v_fmac_f64_e32 v[78:79], v[76:77], v[80:81]
	v_div_scale_f64 v[76:77], s[8:9], v[78:79], v[78:79], 1.0
	v_rcp_f64_e32 v[82:83], v[76:77]
	s_nop 0
	v_fma_f64 v[84:85], -v[76:77], v[82:83], 1.0
	v_fmac_f64_e32 v[82:83], v[82:83], v[84:85]
	v_fma_f64 v[84:85], -v[76:77], v[82:83], 1.0
	v_fmac_f64_e32 v[82:83], v[82:83], v[84:85]
	v_div_scale_f64 v[84:85], vcc, 1.0, v[78:79], 1.0
	v_mul_f64 v[86:87], v[84:85], v[82:83]
	v_fma_f64 v[76:77], -v[76:77], v[86:87], v[84:85]
	s_nop 1
	v_div_fmas_f64 v[76:77], v[76:77], v[82:83], v[86:87]
	v_div_fixup_f64 v[82:83], v[76:77], v[78:79], 1.0
	v_mul_f64 v[80:81], v[80:81], v[82:83]
	v_xor_b32_e32 v83, 0x80000000, v83
                                        ; implicit-def: $vgpr76_vgpr77
.LBB25_59:
	s_andn2_saveexec_b64 s[2:3], s[2:3]
	s_cbranch_execz .LBB25_61
; %bb.60:
	v_div_scale_f64 v[80:81], s[8:9], v[76:77], v[76:77], v[78:79]
	v_rcp_f64_e32 v[82:83], v[80:81]
	v_div_scale_f64 v[84:85], vcc, v[78:79], v[76:77], v[78:79]
	v_fma_f64 v[86:87], -v[80:81], v[82:83], 1.0
	v_fmac_f64_e32 v[82:83], v[82:83], v[86:87]
	v_fma_f64 v[86:87], -v[80:81], v[82:83], 1.0
	v_fmac_f64_e32 v[82:83], v[82:83], v[86:87]
	v_mul_f64 v[86:87], v[84:85], v[82:83]
	v_fma_f64 v[80:81], -v[80:81], v[86:87], v[84:85]
	v_div_fmas_f64 v[80:81], v[80:81], v[82:83], v[86:87]
	v_div_fixup_f64 v[82:83], v[80:81], v[76:77], v[78:79]
	v_fmac_f64_e32 v[76:77], v[78:79], v[82:83]
	v_div_scale_f64 v[78:79], s[8:9], v[76:77], v[76:77], 1.0
	v_rcp_f64_e32 v[80:81], v[78:79]
	s_nop 0
	v_fma_f64 v[84:85], -v[78:79], v[80:81], 1.0
	v_fmac_f64_e32 v[80:81], v[80:81], v[84:85]
	v_fma_f64 v[84:85], -v[78:79], v[80:81], 1.0
	v_fmac_f64_e32 v[80:81], v[80:81], v[84:85]
	v_div_scale_f64 v[84:85], vcc, 1.0, v[76:77], 1.0
	v_mul_f64 v[86:87], v[84:85], v[80:81]
	v_fma_f64 v[78:79], -v[78:79], v[86:87], v[84:85]
	s_nop 1
	v_div_fmas_f64 v[78:79], v[78:79], v[80:81], v[86:87]
	v_div_fixup_f64 v[80:81], v[78:79], v[76:77], 1.0
	v_mul_f64 v[82:83], v[82:83], -v[80:81]
.LBB25_61:
	s_or_b64 exec, exec, s[2:3]
	ds_write2_b64 v133, v[80:81], v[82:83] offset1:1
.LBB25_62:
	s_or_b64 exec, exec, s[4:5]
	s_waitcnt lgkmcnt(0)
	s_barrier
	ds_read2_b64 v[76:79], v133 offset1:1
	v_cmp_lt_u32_e32 vcc, 6, v132
	s_and_saveexec_b64 s[2:3], vcc
	s_cbranch_execz .LBB25_64
; %bb.63:
	ds_read2_b64 v[80:83], v134 offset0:14 offset1:15
	ds_read2_b64 v[84:87], v134 offset0:16 offset1:17
	s_waitcnt vmcnt(6) lgkmcnt(2)
	v_mul_f64 v[88:89], v[76:77], v[46:47]
	v_fmac_f64_e32 v[88:89], v[78:79], v[44:45]
	v_mul_f64 v[46:47], v[78:79], v[46:47]
	v_fma_f64 v[44:45], v[76:77], v[44:45], -v[46:47]
	s_waitcnt lgkmcnt(1)
	v_mul_f64 v[46:47], v[82:83], v[88:89]
	v_fma_f64 v[46:47], v[80:81], v[44:45], -v[46:47]
	v_mul_f64 v[80:81], v[80:81], v[88:89]
	v_fmac_f64_e32 v[80:81], v[82:83], v[44:45]
	s_waitcnt vmcnt(5)
	v_add_f64 v[40:41], v[40:41], -v[46:47]
	v_add_f64 v[42:43], v[42:43], -v[80:81]
	s_waitcnt lgkmcnt(0)
	v_mul_f64 v[46:47], v[86:87], v[88:89]
	ds_read2_b64 v[80:83], v134 offset0:18 offset1:19
	v_fma_f64 v[46:47], v[84:85], v[44:45], -v[46:47]
	v_mul_f64 v[84:85], v[84:85], v[88:89]
	v_fmac_f64_e32 v[84:85], v[86:87], v[44:45]
	s_waitcnt vmcnt(4)
	v_add_f64 v[38:39], v[38:39], -v[84:85]
	ds_read2_b64 v[84:87], v134 offset0:20 offset1:21
	v_add_f64 v[36:37], v[36:37], -v[46:47]
	s_waitcnt lgkmcnt(1)
	v_mul_f64 v[46:47], v[82:83], v[88:89]
	v_fma_f64 v[46:47], v[80:81], v[44:45], -v[46:47]
	v_mul_f64 v[80:81], v[80:81], v[88:89]
	v_fmac_f64_e32 v[80:81], v[82:83], v[44:45]
	s_waitcnt vmcnt(3)
	v_add_f64 v[32:33], v[32:33], -v[46:47]
	v_add_f64 v[34:35], v[34:35], -v[80:81]
	s_waitcnt lgkmcnt(0)
	v_mul_f64 v[46:47], v[86:87], v[88:89]
	ds_read2_b64 v[80:83], v134 offset0:22 offset1:23
	v_fma_f64 v[46:47], v[84:85], v[44:45], -v[46:47]
	v_mul_f64 v[84:85], v[84:85], v[88:89]
	v_fmac_f64_e32 v[84:85], v[86:87], v[44:45]
	s_waitcnt vmcnt(2)
	v_add_f64 v[30:31], v[30:31], -v[84:85]
	ds_read2_b64 v[84:87], v134 offset0:24 offset1:25
	v_add_f64 v[28:29], v[28:29], -v[46:47]
	s_waitcnt lgkmcnt(1)
	v_mul_f64 v[46:47], v[82:83], v[88:89]
	v_fma_f64 v[46:47], v[80:81], v[44:45], -v[46:47]
	v_mul_f64 v[80:81], v[80:81], v[88:89]
	v_fmac_f64_e32 v[80:81], v[82:83], v[44:45]
	s_waitcnt vmcnt(1)
	v_add_f64 v[24:25], v[24:25], -v[46:47]
	v_add_f64 v[26:27], v[26:27], -v[80:81]
	s_waitcnt lgkmcnt(0)
	v_mul_f64 v[46:47], v[86:87], v[88:89]
	v_mul_f64 v[80:81], v[84:85], v[88:89]
	v_fma_f64 v[46:47], v[84:85], v[44:45], -v[46:47]
	v_fmac_f64_e32 v[80:81], v[86:87], v[44:45]
	s_waitcnt vmcnt(0)
	v_add_f64 v[48:49], v[48:49], -v[46:47]
	v_add_f64 v[50:51], v[50:51], -v[80:81]
	v_mov_b64_e32 v[46:47], v[88:89]
.LBB25_64:
	s_or_b64 exec, exec, s[2:3]
	v_cmp_eq_u32_e32 vcc, 7, v132
	s_waitcnt lgkmcnt(0)
	s_barrier
	s_and_saveexec_b64 s[4:5], vcc
	s_cbranch_execz .LBB25_71
; %bb.65:
	s_waitcnt vmcnt(5)
	ds_write2_b64 v133, v[40:41], v[42:43] offset1:1
	s_waitcnt vmcnt(4)
	ds_write2_b64 v134, v[36:37], v[38:39] offset0:16 offset1:17
	s_waitcnt vmcnt(3)
	ds_write2_b64 v134, v[32:33], v[34:35] offset0:18 offset1:19
	;; [unrolled: 2-line block ×5, first 2 shown]
	ds_read2_b64 v[80:83], v133 offset1:1
	s_waitcnt lgkmcnt(0)
	v_cmp_neq_f64_e32 vcc, 0, v[80:81]
	v_cmp_neq_f64_e64 s[2:3], 0, v[82:83]
	s_or_b64 s[2:3], vcc, s[2:3]
	s_and_b64 exec, exec, s[2:3]
	s_cbranch_execz .LBB25_71
; %bb.66:
	v_cmp_ngt_f64_e64 s[2:3], |v[80:81]|, |v[82:83]|
                                        ; implicit-def: $vgpr84_vgpr85
	s_and_saveexec_b64 s[8:9], s[2:3]
	s_xor_b64 s[2:3], exec, s[8:9]
                                        ; implicit-def: $vgpr86_vgpr87
	s_cbranch_execz .LBB25_68
; %bb.67:
	v_div_scale_f64 v[84:85], s[8:9], v[82:83], v[82:83], v[80:81]
	v_rcp_f64_e32 v[86:87], v[84:85]
	v_div_scale_f64 v[88:89], vcc, v[80:81], v[82:83], v[80:81]
	v_fma_f64 v[90:91], -v[84:85], v[86:87], 1.0
	v_fmac_f64_e32 v[86:87], v[86:87], v[90:91]
	v_fma_f64 v[90:91], -v[84:85], v[86:87], 1.0
	v_fmac_f64_e32 v[86:87], v[86:87], v[90:91]
	v_mul_f64 v[90:91], v[88:89], v[86:87]
	v_fma_f64 v[84:85], -v[84:85], v[90:91], v[88:89]
	v_div_fmas_f64 v[84:85], v[84:85], v[86:87], v[90:91]
	v_div_fixup_f64 v[84:85], v[84:85], v[82:83], v[80:81]
	v_fmac_f64_e32 v[82:83], v[80:81], v[84:85]
	v_div_scale_f64 v[80:81], s[8:9], v[82:83], v[82:83], 1.0
	v_rcp_f64_e32 v[86:87], v[80:81]
	s_nop 0
	v_fma_f64 v[88:89], -v[80:81], v[86:87], 1.0
	v_fmac_f64_e32 v[86:87], v[86:87], v[88:89]
	v_fma_f64 v[88:89], -v[80:81], v[86:87], 1.0
	v_fmac_f64_e32 v[86:87], v[86:87], v[88:89]
	v_div_scale_f64 v[88:89], vcc, 1.0, v[82:83], 1.0
	v_mul_f64 v[90:91], v[88:89], v[86:87]
	v_fma_f64 v[80:81], -v[80:81], v[90:91], v[88:89]
	s_nop 1
	v_div_fmas_f64 v[80:81], v[80:81], v[86:87], v[90:91]
	v_div_fixup_f64 v[86:87], v[80:81], v[82:83], 1.0
	v_mul_f64 v[84:85], v[84:85], v[86:87]
	v_xor_b32_e32 v87, 0x80000000, v87
                                        ; implicit-def: $vgpr80_vgpr81
.LBB25_68:
	s_andn2_saveexec_b64 s[2:3], s[2:3]
	s_cbranch_execz .LBB25_70
; %bb.69:
	v_div_scale_f64 v[84:85], s[8:9], v[80:81], v[80:81], v[82:83]
	v_rcp_f64_e32 v[86:87], v[84:85]
	v_div_scale_f64 v[88:89], vcc, v[82:83], v[80:81], v[82:83]
	v_fma_f64 v[90:91], -v[84:85], v[86:87], 1.0
	v_fmac_f64_e32 v[86:87], v[86:87], v[90:91]
	v_fma_f64 v[90:91], -v[84:85], v[86:87], 1.0
	v_fmac_f64_e32 v[86:87], v[86:87], v[90:91]
	v_mul_f64 v[90:91], v[88:89], v[86:87]
	v_fma_f64 v[84:85], -v[84:85], v[90:91], v[88:89]
	v_div_fmas_f64 v[84:85], v[84:85], v[86:87], v[90:91]
	v_div_fixup_f64 v[86:87], v[84:85], v[80:81], v[82:83]
	v_fmac_f64_e32 v[80:81], v[82:83], v[86:87]
	v_div_scale_f64 v[82:83], s[8:9], v[80:81], v[80:81], 1.0
	v_rcp_f64_e32 v[84:85], v[82:83]
	s_nop 0
	v_fma_f64 v[88:89], -v[82:83], v[84:85], 1.0
	v_fmac_f64_e32 v[84:85], v[84:85], v[88:89]
	v_fma_f64 v[88:89], -v[82:83], v[84:85], 1.0
	v_fmac_f64_e32 v[84:85], v[84:85], v[88:89]
	v_div_scale_f64 v[88:89], vcc, 1.0, v[80:81], 1.0
	v_mul_f64 v[90:91], v[88:89], v[84:85]
	v_fma_f64 v[82:83], -v[82:83], v[90:91], v[88:89]
	s_nop 1
	v_div_fmas_f64 v[82:83], v[82:83], v[84:85], v[90:91]
	v_div_fixup_f64 v[84:85], v[82:83], v[80:81], 1.0
	v_mul_f64 v[86:87], v[86:87], -v[84:85]
.LBB25_70:
	s_or_b64 exec, exec, s[2:3]
	ds_write2_b64 v133, v[84:85], v[86:87] offset1:1
.LBB25_71:
	s_or_b64 exec, exec, s[4:5]
	s_waitcnt lgkmcnt(0)
	s_barrier
	ds_read2_b64 v[80:83], v133 offset1:1
	v_cmp_lt_u32_e32 vcc, 7, v132
	s_and_saveexec_b64 s[2:3], vcc
	s_cbranch_execz .LBB25_73
; %bb.72:
	ds_read2_b64 v[84:87], v134 offset0:16 offset1:17
	ds_read2_b64 v[88:91], v134 offset0:18 offset1:19
	s_waitcnt vmcnt(5) lgkmcnt(2)
	v_mul_f64 v[92:93], v[80:81], v[42:43]
	v_fmac_f64_e32 v[92:93], v[82:83], v[40:41]
	v_mul_f64 v[42:43], v[82:83], v[42:43]
	v_fma_f64 v[40:41], v[80:81], v[40:41], -v[42:43]
	s_waitcnt lgkmcnt(1)
	v_mul_f64 v[42:43], v[86:87], v[92:93]
	v_fma_f64 v[42:43], v[84:85], v[40:41], -v[42:43]
	v_mul_f64 v[84:85], v[84:85], v[92:93]
	v_fmac_f64_e32 v[84:85], v[86:87], v[40:41]
	s_waitcnt vmcnt(4)
	v_add_f64 v[38:39], v[38:39], -v[84:85]
	ds_read2_b64 v[84:87], v134 offset0:20 offset1:21
	v_add_f64 v[36:37], v[36:37], -v[42:43]
	s_waitcnt lgkmcnt(1)
	v_mul_f64 v[42:43], v[90:91], v[92:93]
	v_fma_f64 v[42:43], v[88:89], v[40:41], -v[42:43]
	v_mul_f64 v[88:89], v[88:89], v[92:93]
	v_fmac_f64_e32 v[88:89], v[90:91], v[40:41]
	s_waitcnt vmcnt(3)
	v_add_f64 v[32:33], v[32:33], -v[42:43]
	v_add_f64 v[34:35], v[34:35], -v[88:89]
	ds_read2_b64 v[88:91], v134 offset0:22 offset1:23
	s_waitcnt lgkmcnt(1)
	v_mul_f64 v[42:43], v[86:87], v[92:93]
	v_fma_f64 v[42:43], v[84:85], v[40:41], -v[42:43]
	v_mul_f64 v[84:85], v[84:85], v[92:93]
	v_fmac_f64_e32 v[84:85], v[86:87], v[40:41]
	s_waitcnt vmcnt(2)
	v_add_f64 v[30:31], v[30:31], -v[84:85]
	ds_read2_b64 v[84:87], v134 offset0:24 offset1:25
	v_add_f64 v[28:29], v[28:29], -v[42:43]
	s_waitcnt lgkmcnt(1)
	v_mul_f64 v[42:43], v[90:91], v[92:93]
	v_fma_f64 v[42:43], v[88:89], v[40:41], -v[42:43]
	s_waitcnt vmcnt(1)
	v_add_f64 v[24:25], v[24:25], -v[42:43]
	s_waitcnt lgkmcnt(0)
	v_mul_f64 v[42:43], v[86:87], v[92:93]
	v_mul_f64 v[88:89], v[88:89], v[92:93]
	v_fma_f64 v[42:43], v[84:85], v[40:41], -v[42:43]
	v_mul_f64 v[84:85], v[84:85], v[92:93]
	v_fmac_f64_e32 v[88:89], v[90:91], v[40:41]
	v_fmac_f64_e32 v[84:85], v[86:87], v[40:41]
	v_add_f64 v[26:27], v[26:27], -v[88:89]
	s_waitcnt vmcnt(0)
	v_add_f64 v[48:49], v[48:49], -v[42:43]
	v_add_f64 v[50:51], v[50:51], -v[84:85]
	v_mov_b64_e32 v[42:43], v[92:93]
.LBB25_73:
	s_or_b64 exec, exec, s[2:3]
	v_cmp_eq_u32_e32 vcc, 8, v132
	s_waitcnt lgkmcnt(0)
	s_barrier
	s_and_saveexec_b64 s[4:5], vcc
	s_cbranch_execz .LBB25_80
; %bb.74:
	s_waitcnt vmcnt(4)
	ds_write2_b64 v133, v[36:37], v[38:39] offset1:1
	s_waitcnt vmcnt(3)
	ds_write2_b64 v134, v[32:33], v[34:35] offset0:18 offset1:19
	s_waitcnt vmcnt(2)
	ds_write2_b64 v134, v[28:29], v[30:31] offset0:20 offset1:21
	;; [unrolled: 2-line block ×4, first 2 shown]
	ds_read2_b64 v[84:87], v133 offset1:1
	s_waitcnt lgkmcnt(0)
	v_cmp_neq_f64_e32 vcc, 0, v[84:85]
	v_cmp_neq_f64_e64 s[2:3], 0, v[86:87]
	s_or_b64 s[2:3], vcc, s[2:3]
	s_and_b64 exec, exec, s[2:3]
	s_cbranch_execz .LBB25_80
; %bb.75:
	v_cmp_ngt_f64_e64 s[2:3], |v[84:85]|, |v[86:87]|
                                        ; implicit-def: $vgpr88_vgpr89
	s_and_saveexec_b64 s[8:9], s[2:3]
	s_xor_b64 s[2:3], exec, s[8:9]
                                        ; implicit-def: $vgpr90_vgpr91
	s_cbranch_execz .LBB25_77
; %bb.76:
	v_div_scale_f64 v[88:89], s[8:9], v[86:87], v[86:87], v[84:85]
	v_rcp_f64_e32 v[90:91], v[88:89]
	v_div_scale_f64 v[92:93], vcc, v[84:85], v[86:87], v[84:85]
	v_fma_f64 v[94:95], -v[88:89], v[90:91], 1.0
	v_fmac_f64_e32 v[90:91], v[90:91], v[94:95]
	v_fma_f64 v[94:95], -v[88:89], v[90:91], 1.0
	v_fmac_f64_e32 v[90:91], v[90:91], v[94:95]
	v_mul_f64 v[94:95], v[92:93], v[90:91]
	v_fma_f64 v[88:89], -v[88:89], v[94:95], v[92:93]
	v_div_fmas_f64 v[88:89], v[88:89], v[90:91], v[94:95]
	v_div_fixup_f64 v[88:89], v[88:89], v[86:87], v[84:85]
	v_fmac_f64_e32 v[86:87], v[84:85], v[88:89]
	v_div_scale_f64 v[84:85], s[8:9], v[86:87], v[86:87], 1.0
	v_rcp_f64_e32 v[90:91], v[84:85]
	s_nop 0
	v_fma_f64 v[92:93], -v[84:85], v[90:91], 1.0
	v_fmac_f64_e32 v[90:91], v[90:91], v[92:93]
	v_fma_f64 v[92:93], -v[84:85], v[90:91], 1.0
	v_fmac_f64_e32 v[90:91], v[90:91], v[92:93]
	v_div_scale_f64 v[92:93], vcc, 1.0, v[86:87], 1.0
	v_mul_f64 v[94:95], v[92:93], v[90:91]
	v_fma_f64 v[84:85], -v[84:85], v[94:95], v[92:93]
	s_nop 1
	v_div_fmas_f64 v[84:85], v[84:85], v[90:91], v[94:95]
	v_div_fixup_f64 v[90:91], v[84:85], v[86:87], 1.0
	v_mul_f64 v[88:89], v[88:89], v[90:91]
	v_xor_b32_e32 v91, 0x80000000, v91
                                        ; implicit-def: $vgpr84_vgpr85
.LBB25_77:
	s_andn2_saveexec_b64 s[2:3], s[2:3]
	s_cbranch_execz .LBB25_79
; %bb.78:
	v_div_scale_f64 v[88:89], s[8:9], v[84:85], v[84:85], v[86:87]
	v_rcp_f64_e32 v[90:91], v[88:89]
	v_div_scale_f64 v[92:93], vcc, v[86:87], v[84:85], v[86:87]
	v_fma_f64 v[94:95], -v[88:89], v[90:91], 1.0
	v_fmac_f64_e32 v[90:91], v[90:91], v[94:95]
	v_fma_f64 v[94:95], -v[88:89], v[90:91], 1.0
	v_fmac_f64_e32 v[90:91], v[90:91], v[94:95]
	v_mul_f64 v[94:95], v[92:93], v[90:91]
	v_fma_f64 v[88:89], -v[88:89], v[94:95], v[92:93]
	v_div_fmas_f64 v[88:89], v[88:89], v[90:91], v[94:95]
	v_div_fixup_f64 v[90:91], v[88:89], v[84:85], v[86:87]
	v_fmac_f64_e32 v[84:85], v[86:87], v[90:91]
	v_div_scale_f64 v[86:87], s[8:9], v[84:85], v[84:85], 1.0
	v_rcp_f64_e32 v[88:89], v[86:87]
	s_nop 0
	v_fma_f64 v[92:93], -v[86:87], v[88:89], 1.0
	v_fmac_f64_e32 v[88:89], v[88:89], v[92:93]
	v_fma_f64 v[92:93], -v[86:87], v[88:89], 1.0
	v_fmac_f64_e32 v[88:89], v[88:89], v[92:93]
	v_div_scale_f64 v[92:93], vcc, 1.0, v[84:85], 1.0
	v_mul_f64 v[94:95], v[92:93], v[88:89]
	v_fma_f64 v[86:87], -v[86:87], v[94:95], v[92:93]
	s_nop 1
	v_div_fmas_f64 v[86:87], v[86:87], v[88:89], v[94:95]
	v_div_fixup_f64 v[88:89], v[86:87], v[84:85], 1.0
	v_mul_f64 v[90:91], v[90:91], -v[88:89]
.LBB25_79:
	s_or_b64 exec, exec, s[2:3]
	ds_write2_b64 v133, v[88:89], v[90:91] offset1:1
.LBB25_80:
	s_or_b64 exec, exec, s[4:5]
	s_waitcnt lgkmcnt(0)
	s_barrier
	ds_read2_b64 v[84:87], v133 offset1:1
	v_cmp_lt_u32_e32 vcc, 8, v132
	s_and_saveexec_b64 s[2:3], vcc
	s_cbranch_execz .LBB25_82
; %bb.81:
	ds_read2_b64 v[88:91], v134 offset0:18 offset1:19
	ds_read2_b64 v[92:95], v134 offset0:20 offset1:21
	s_waitcnt vmcnt(4) lgkmcnt(2)
	v_mul_f64 v[96:97], v[84:85], v[38:39]
	v_fmac_f64_e32 v[96:97], v[86:87], v[36:37]
	v_mul_f64 v[38:39], v[86:87], v[38:39]
	v_fma_f64 v[36:37], v[84:85], v[36:37], -v[38:39]
	s_waitcnt lgkmcnt(1)
	v_mul_f64 v[38:39], v[90:91], v[96:97]
	v_fma_f64 v[38:39], v[88:89], v[36:37], -v[38:39]
	v_mul_f64 v[88:89], v[88:89], v[96:97]
	v_fmac_f64_e32 v[88:89], v[90:91], v[36:37]
	s_waitcnt vmcnt(3)
	v_add_f64 v[32:33], v[32:33], -v[38:39]
	v_add_f64 v[34:35], v[34:35], -v[88:89]
	s_waitcnt lgkmcnt(0)
	v_mul_f64 v[38:39], v[94:95], v[96:97]
	ds_read2_b64 v[88:91], v134 offset0:22 offset1:23
	v_fma_f64 v[38:39], v[92:93], v[36:37], -v[38:39]
	v_mul_f64 v[92:93], v[92:93], v[96:97]
	v_fmac_f64_e32 v[92:93], v[94:95], v[36:37]
	s_waitcnt vmcnt(2)
	v_add_f64 v[30:31], v[30:31], -v[92:93]
	ds_read2_b64 v[92:95], v134 offset0:24 offset1:25
	v_add_f64 v[28:29], v[28:29], -v[38:39]
	s_waitcnt lgkmcnt(1)
	v_mul_f64 v[38:39], v[90:91], v[96:97]
	v_fma_f64 v[38:39], v[88:89], v[36:37], -v[38:39]
	v_mul_f64 v[88:89], v[88:89], v[96:97]
	v_fmac_f64_e32 v[88:89], v[90:91], v[36:37]
	s_waitcnt vmcnt(1)
	v_add_f64 v[24:25], v[24:25], -v[38:39]
	v_add_f64 v[26:27], v[26:27], -v[88:89]
	s_waitcnt lgkmcnt(0)
	v_mul_f64 v[38:39], v[94:95], v[96:97]
	v_mul_f64 v[88:89], v[92:93], v[96:97]
	v_fma_f64 v[38:39], v[92:93], v[36:37], -v[38:39]
	v_fmac_f64_e32 v[88:89], v[94:95], v[36:37]
	s_waitcnt vmcnt(0)
	v_add_f64 v[48:49], v[48:49], -v[38:39]
	v_add_f64 v[50:51], v[50:51], -v[88:89]
	v_mov_b64_e32 v[38:39], v[96:97]
.LBB25_82:
	s_or_b64 exec, exec, s[2:3]
	v_cmp_eq_u32_e32 vcc, 9, v132
	s_waitcnt lgkmcnt(0)
	s_barrier
	s_and_saveexec_b64 s[4:5], vcc
	s_cbranch_execz .LBB25_89
; %bb.83:
	s_waitcnt vmcnt(3)
	ds_write2_b64 v133, v[32:33], v[34:35] offset1:1
	s_waitcnt vmcnt(2)
	ds_write2_b64 v134, v[28:29], v[30:31] offset0:20 offset1:21
	s_waitcnt vmcnt(1)
	ds_write2_b64 v134, v[24:25], v[26:27] offset0:22 offset1:23
	;; [unrolled: 2-line block ×3, first 2 shown]
	ds_read2_b64 v[88:91], v133 offset1:1
	s_waitcnt lgkmcnt(0)
	v_cmp_neq_f64_e32 vcc, 0, v[88:89]
	v_cmp_neq_f64_e64 s[2:3], 0, v[90:91]
	s_or_b64 s[2:3], vcc, s[2:3]
	s_and_b64 exec, exec, s[2:3]
	s_cbranch_execz .LBB25_89
; %bb.84:
	v_cmp_ngt_f64_e64 s[2:3], |v[88:89]|, |v[90:91]|
                                        ; implicit-def: $vgpr92_vgpr93
	s_and_saveexec_b64 s[8:9], s[2:3]
	s_xor_b64 s[2:3], exec, s[8:9]
                                        ; implicit-def: $vgpr94_vgpr95
	s_cbranch_execz .LBB25_86
; %bb.85:
	v_div_scale_f64 v[92:93], s[8:9], v[90:91], v[90:91], v[88:89]
	v_rcp_f64_e32 v[94:95], v[92:93]
	v_div_scale_f64 v[96:97], vcc, v[88:89], v[90:91], v[88:89]
	v_fma_f64 v[98:99], -v[92:93], v[94:95], 1.0
	v_fmac_f64_e32 v[94:95], v[94:95], v[98:99]
	v_fma_f64 v[98:99], -v[92:93], v[94:95], 1.0
	v_fmac_f64_e32 v[94:95], v[94:95], v[98:99]
	v_mul_f64 v[98:99], v[96:97], v[94:95]
	v_fma_f64 v[92:93], -v[92:93], v[98:99], v[96:97]
	v_div_fmas_f64 v[92:93], v[92:93], v[94:95], v[98:99]
	v_div_fixup_f64 v[92:93], v[92:93], v[90:91], v[88:89]
	v_fmac_f64_e32 v[90:91], v[88:89], v[92:93]
	v_div_scale_f64 v[88:89], s[8:9], v[90:91], v[90:91], 1.0
	v_rcp_f64_e32 v[94:95], v[88:89]
	s_nop 0
	v_fma_f64 v[96:97], -v[88:89], v[94:95], 1.0
	v_fmac_f64_e32 v[94:95], v[94:95], v[96:97]
	v_fma_f64 v[96:97], -v[88:89], v[94:95], 1.0
	v_fmac_f64_e32 v[94:95], v[94:95], v[96:97]
	v_div_scale_f64 v[96:97], vcc, 1.0, v[90:91], 1.0
	v_mul_f64 v[98:99], v[96:97], v[94:95]
	v_fma_f64 v[88:89], -v[88:89], v[98:99], v[96:97]
	s_nop 1
	v_div_fmas_f64 v[88:89], v[88:89], v[94:95], v[98:99]
	v_div_fixup_f64 v[94:95], v[88:89], v[90:91], 1.0
	v_mul_f64 v[92:93], v[92:93], v[94:95]
	v_xor_b32_e32 v95, 0x80000000, v95
                                        ; implicit-def: $vgpr88_vgpr89
.LBB25_86:
	s_andn2_saveexec_b64 s[2:3], s[2:3]
	s_cbranch_execz .LBB25_88
; %bb.87:
	v_div_scale_f64 v[92:93], s[8:9], v[88:89], v[88:89], v[90:91]
	v_rcp_f64_e32 v[94:95], v[92:93]
	v_div_scale_f64 v[96:97], vcc, v[90:91], v[88:89], v[90:91]
	v_fma_f64 v[98:99], -v[92:93], v[94:95], 1.0
	v_fmac_f64_e32 v[94:95], v[94:95], v[98:99]
	v_fma_f64 v[98:99], -v[92:93], v[94:95], 1.0
	v_fmac_f64_e32 v[94:95], v[94:95], v[98:99]
	v_mul_f64 v[98:99], v[96:97], v[94:95]
	v_fma_f64 v[92:93], -v[92:93], v[98:99], v[96:97]
	v_div_fmas_f64 v[92:93], v[92:93], v[94:95], v[98:99]
	v_div_fixup_f64 v[94:95], v[92:93], v[88:89], v[90:91]
	v_fmac_f64_e32 v[88:89], v[90:91], v[94:95]
	v_div_scale_f64 v[90:91], s[8:9], v[88:89], v[88:89], 1.0
	v_rcp_f64_e32 v[92:93], v[90:91]
	s_nop 0
	v_fma_f64 v[96:97], -v[90:91], v[92:93], 1.0
	v_fmac_f64_e32 v[92:93], v[92:93], v[96:97]
	v_fma_f64 v[96:97], -v[90:91], v[92:93], 1.0
	v_fmac_f64_e32 v[92:93], v[92:93], v[96:97]
	v_div_scale_f64 v[96:97], vcc, 1.0, v[88:89], 1.0
	v_mul_f64 v[98:99], v[96:97], v[92:93]
	v_fma_f64 v[90:91], -v[90:91], v[98:99], v[96:97]
	s_nop 1
	v_div_fmas_f64 v[90:91], v[90:91], v[92:93], v[98:99]
	v_div_fixup_f64 v[92:93], v[90:91], v[88:89], 1.0
	v_mul_f64 v[94:95], v[94:95], -v[92:93]
.LBB25_88:
	s_or_b64 exec, exec, s[2:3]
	ds_write2_b64 v133, v[92:93], v[94:95] offset1:1
.LBB25_89:
	s_or_b64 exec, exec, s[4:5]
	s_waitcnt lgkmcnt(0)
	s_barrier
	ds_read2_b64 v[88:91], v133 offset1:1
	v_cmp_lt_u32_e32 vcc, 9, v132
	s_and_saveexec_b64 s[2:3], vcc
	s_cbranch_execz .LBB25_91
; %bb.90:
	ds_read2_b64 v[92:95], v134 offset0:20 offset1:21
	ds_read2_b64 v[96:99], v134 offset0:22 offset1:23
	s_waitcnt vmcnt(3) lgkmcnt(2)
	v_mul_f64 v[100:101], v[88:89], v[34:35]
	v_fmac_f64_e32 v[100:101], v[90:91], v[32:33]
	v_mul_f64 v[34:35], v[90:91], v[34:35]
	v_fma_f64 v[32:33], v[88:89], v[32:33], -v[34:35]
	s_waitcnt lgkmcnt(1)
	v_mul_f64 v[34:35], v[94:95], v[100:101]
	v_fma_f64 v[34:35], v[92:93], v[32:33], -v[34:35]
	v_mul_f64 v[92:93], v[92:93], v[100:101]
	v_fmac_f64_e32 v[92:93], v[94:95], v[32:33]
	s_waitcnt vmcnt(2)
	v_add_f64 v[30:31], v[30:31], -v[92:93]
	ds_read2_b64 v[92:95], v134 offset0:24 offset1:25
	v_add_f64 v[28:29], v[28:29], -v[34:35]
	s_waitcnt lgkmcnt(1)
	v_mul_f64 v[34:35], v[98:99], v[100:101]
	v_fma_f64 v[34:35], v[96:97], v[32:33], -v[34:35]
	s_waitcnt vmcnt(1)
	v_add_f64 v[24:25], v[24:25], -v[34:35]
	s_waitcnt lgkmcnt(0)
	v_mul_f64 v[34:35], v[94:95], v[100:101]
	v_mul_f64 v[96:97], v[96:97], v[100:101]
	v_fma_f64 v[34:35], v[92:93], v[32:33], -v[34:35]
	v_mul_f64 v[92:93], v[92:93], v[100:101]
	v_fmac_f64_e32 v[96:97], v[98:99], v[32:33]
	v_fmac_f64_e32 v[92:93], v[94:95], v[32:33]
	v_add_f64 v[26:27], v[26:27], -v[96:97]
	s_waitcnt vmcnt(0)
	v_add_f64 v[48:49], v[48:49], -v[34:35]
	v_add_f64 v[50:51], v[50:51], -v[92:93]
	v_mov_b64_e32 v[34:35], v[100:101]
.LBB25_91:
	s_or_b64 exec, exec, s[2:3]
	v_cmp_eq_u32_e32 vcc, 10, v132
	s_waitcnt lgkmcnt(0)
	s_barrier
	s_and_saveexec_b64 s[4:5], vcc
	s_cbranch_execz .LBB25_98
; %bb.92:
	s_waitcnt vmcnt(2)
	ds_write2_b64 v133, v[28:29], v[30:31] offset1:1
	s_waitcnt vmcnt(1)
	ds_write2_b64 v134, v[24:25], v[26:27] offset0:22 offset1:23
	s_waitcnt vmcnt(0)
	ds_write2_b64 v134, v[48:49], v[50:51] offset0:24 offset1:25
	ds_read2_b64 v[92:95], v133 offset1:1
	s_waitcnt lgkmcnt(0)
	v_cmp_neq_f64_e32 vcc, 0, v[92:93]
	v_cmp_neq_f64_e64 s[2:3], 0, v[94:95]
	s_or_b64 s[2:3], vcc, s[2:3]
	s_and_b64 exec, exec, s[2:3]
	s_cbranch_execz .LBB25_98
; %bb.93:
	v_cmp_ngt_f64_e64 s[2:3], |v[92:93]|, |v[94:95]|
                                        ; implicit-def: $vgpr96_vgpr97
	s_and_saveexec_b64 s[8:9], s[2:3]
	s_xor_b64 s[2:3], exec, s[8:9]
                                        ; implicit-def: $vgpr98_vgpr99
	s_cbranch_execz .LBB25_95
; %bb.94:
	v_div_scale_f64 v[96:97], s[8:9], v[94:95], v[94:95], v[92:93]
	v_rcp_f64_e32 v[98:99], v[96:97]
	v_div_scale_f64 v[100:101], vcc, v[92:93], v[94:95], v[92:93]
	v_fma_f64 v[102:103], -v[96:97], v[98:99], 1.0
	v_fmac_f64_e32 v[98:99], v[98:99], v[102:103]
	v_fma_f64 v[102:103], -v[96:97], v[98:99], 1.0
	v_fmac_f64_e32 v[98:99], v[98:99], v[102:103]
	v_mul_f64 v[102:103], v[100:101], v[98:99]
	v_fma_f64 v[96:97], -v[96:97], v[102:103], v[100:101]
	v_div_fmas_f64 v[96:97], v[96:97], v[98:99], v[102:103]
	v_div_fixup_f64 v[96:97], v[96:97], v[94:95], v[92:93]
	v_fmac_f64_e32 v[94:95], v[92:93], v[96:97]
	v_div_scale_f64 v[92:93], s[8:9], v[94:95], v[94:95], 1.0
	v_rcp_f64_e32 v[98:99], v[92:93]
	s_nop 0
	v_fma_f64 v[100:101], -v[92:93], v[98:99], 1.0
	v_fmac_f64_e32 v[98:99], v[98:99], v[100:101]
	v_fma_f64 v[100:101], -v[92:93], v[98:99], 1.0
	v_fmac_f64_e32 v[98:99], v[98:99], v[100:101]
	v_div_scale_f64 v[100:101], vcc, 1.0, v[94:95], 1.0
	v_mul_f64 v[102:103], v[100:101], v[98:99]
	v_fma_f64 v[92:93], -v[92:93], v[102:103], v[100:101]
	s_nop 1
	v_div_fmas_f64 v[92:93], v[92:93], v[98:99], v[102:103]
	v_div_fixup_f64 v[98:99], v[92:93], v[94:95], 1.0
	v_mul_f64 v[96:97], v[96:97], v[98:99]
	v_xor_b32_e32 v99, 0x80000000, v99
                                        ; implicit-def: $vgpr92_vgpr93
.LBB25_95:
	s_andn2_saveexec_b64 s[2:3], s[2:3]
	s_cbranch_execz .LBB25_97
; %bb.96:
	v_div_scale_f64 v[96:97], s[8:9], v[92:93], v[92:93], v[94:95]
	v_rcp_f64_e32 v[98:99], v[96:97]
	v_div_scale_f64 v[100:101], vcc, v[94:95], v[92:93], v[94:95]
	v_fma_f64 v[102:103], -v[96:97], v[98:99], 1.0
	v_fmac_f64_e32 v[98:99], v[98:99], v[102:103]
	v_fma_f64 v[102:103], -v[96:97], v[98:99], 1.0
	v_fmac_f64_e32 v[98:99], v[98:99], v[102:103]
	v_mul_f64 v[102:103], v[100:101], v[98:99]
	v_fma_f64 v[96:97], -v[96:97], v[102:103], v[100:101]
	v_div_fmas_f64 v[96:97], v[96:97], v[98:99], v[102:103]
	v_div_fixup_f64 v[98:99], v[96:97], v[92:93], v[94:95]
	v_fmac_f64_e32 v[92:93], v[94:95], v[98:99]
	v_div_scale_f64 v[94:95], s[8:9], v[92:93], v[92:93], 1.0
	v_rcp_f64_e32 v[96:97], v[94:95]
	s_nop 0
	v_fma_f64 v[100:101], -v[94:95], v[96:97], 1.0
	v_fmac_f64_e32 v[96:97], v[96:97], v[100:101]
	v_fma_f64 v[100:101], -v[94:95], v[96:97], 1.0
	v_fmac_f64_e32 v[96:97], v[96:97], v[100:101]
	v_div_scale_f64 v[100:101], vcc, 1.0, v[92:93], 1.0
	v_mul_f64 v[102:103], v[100:101], v[96:97]
	v_fma_f64 v[94:95], -v[94:95], v[102:103], v[100:101]
	s_nop 1
	v_div_fmas_f64 v[94:95], v[94:95], v[96:97], v[102:103]
	v_div_fixup_f64 v[96:97], v[94:95], v[92:93], 1.0
	v_mul_f64 v[98:99], v[98:99], -v[96:97]
.LBB25_97:
	s_or_b64 exec, exec, s[2:3]
	ds_write2_b64 v133, v[96:97], v[98:99] offset1:1
.LBB25_98:
	s_or_b64 exec, exec, s[4:5]
	s_waitcnt lgkmcnt(0)
	s_barrier
	ds_read2_b64 v[92:95], v133 offset1:1
	v_cmp_lt_u32_e32 vcc, 10, v132
	s_and_saveexec_b64 s[2:3], vcc
	s_cbranch_execz .LBB25_100
; %bb.99:
	ds_read2_b64 v[96:99], v134 offset0:22 offset1:23
	ds_read2_b64 v[100:103], v134 offset0:24 offset1:25
	s_waitcnt vmcnt(2) lgkmcnt(2)
	v_mul_f64 v[136:137], v[92:93], v[30:31]
	v_fmac_f64_e32 v[136:137], v[94:95], v[28:29]
	v_mul_f64 v[30:31], v[94:95], v[30:31]
	v_fma_f64 v[28:29], v[92:93], v[28:29], -v[30:31]
	s_waitcnt lgkmcnt(1)
	v_mul_f64 v[30:31], v[98:99], v[136:137]
	v_fma_f64 v[30:31], v[96:97], v[28:29], -v[30:31]
	v_mul_f64 v[96:97], v[96:97], v[136:137]
	v_fmac_f64_e32 v[96:97], v[98:99], v[28:29]
	s_waitcnt vmcnt(1)
	v_add_f64 v[24:25], v[24:25], -v[30:31]
	v_add_f64 v[26:27], v[26:27], -v[96:97]
	s_waitcnt lgkmcnt(0)
	v_mul_f64 v[30:31], v[102:103], v[136:137]
	v_mul_f64 v[96:97], v[100:101], v[136:137]
	v_fma_f64 v[30:31], v[100:101], v[28:29], -v[30:31]
	v_fmac_f64_e32 v[96:97], v[102:103], v[28:29]
	s_waitcnt vmcnt(0)
	v_add_f64 v[48:49], v[48:49], -v[30:31]
	v_add_f64 v[50:51], v[50:51], -v[96:97]
	v_mov_b64_e32 v[30:31], v[136:137]
.LBB25_100:
	s_or_b64 exec, exec, s[2:3]
	v_cmp_eq_u32_e32 vcc, 11, v132
	s_waitcnt lgkmcnt(0)
	s_barrier
	s_and_saveexec_b64 s[4:5], vcc
	s_cbranch_execz .LBB25_107
; %bb.101:
	s_waitcnt vmcnt(1)
	ds_write2_b64 v133, v[24:25], v[26:27] offset1:1
	s_waitcnt vmcnt(0)
	ds_write2_b64 v134, v[48:49], v[50:51] offset0:24 offset1:25
	ds_read2_b64 v[96:99], v133 offset1:1
	s_waitcnt lgkmcnt(0)
	v_cmp_neq_f64_e32 vcc, 0, v[96:97]
	v_cmp_neq_f64_e64 s[2:3], 0, v[98:99]
	s_or_b64 s[2:3], vcc, s[2:3]
	s_and_b64 exec, exec, s[2:3]
	s_cbranch_execz .LBB25_107
; %bb.102:
	v_cmp_ngt_f64_e64 s[2:3], |v[96:97]|, |v[98:99]|
                                        ; implicit-def: $vgpr100_vgpr101
	s_and_saveexec_b64 s[8:9], s[2:3]
	s_xor_b64 s[2:3], exec, s[8:9]
                                        ; implicit-def: $vgpr102_vgpr103
	s_cbranch_execz .LBB25_104
; %bb.103:
	v_div_scale_f64 v[100:101], s[8:9], v[98:99], v[98:99], v[96:97]
	v_rcp_f64_e32 v[102:103], v[100:101]
	v_div_scale_f64 v[136:137], vcc, v[96:97], v[98:99], v[96:97]
	v_fma_f64 v[138:139], -v[100:101], v[102:103], 1.0
	v_fmac_f64_e32 v[102:103], v[102:103], v[138:139]
	v_fma_f64 v[138:139], -v[100:101], v[102:103], 1.0
	v_fmac_f64_e32 v[102:103], v[102:103], v[138:139]
	v_mul_f64 v[138:139], v[136:137], v[102:103]
	v_fma_f64 v[100:101], -v[100:101], v[138:139], v[136:137]
	v_div_fmas_f64 v[100:101], v[100:101], v[102:103], v[138:139]
	v_div_fixup_f64 v[100:101], v[100:101], v[98:99], v[96:97]
	v_fmac_f64_e32 v[98:99], v[96:97], v[100:101]
	v_div_scale_f64 v[96:97], s[8:9], v[98:99], v[98:99], 1.0
	v_rcp_f64_e32 v[102:103], v[96:97]
	s_nop 0
	v_fma_f64 v[136:137], -v[96:97], v[102:103], 1.0
	v_fmac_f64_e32 v[102:103], v[102:103], v[136:137]
	v_fma_f64 v[136:137], -v[96:97], v[102:103], 1.0
	v_fmac_f64_e32 v[102:103], v[102:103], v[136:137]
	v_div_scale_f64 v[136:137], vcc, 1.0, v[98:99], 1.0
	v_mul_f64 v[138:139], v[136:137], v[102:103]
	v_fma_f64 v[96:97], -v[96:97], v[138:139], v[136:137]
	s_nop 1
	v_div_fmas_f64 v[96:97], v[96:97], v[102:103], v[138:139]
	v_div_fixup_f64 v[102:103], v[96:97], v[98:99], 1.0
	v_mul_f64 v[100:101], v[100:101], v[102:103]
	v_xor_b32_e32 v103, 0x80000000, v103
                                        ; implicit-def: $vgpr96_vgpr97
.LBB25_104:
	s_andn2_saveexec_b64 s[2:3], s[2:3]
	s_cbranch_execz .LBB25_106
; %bb.105:
	v_div_scale_f64 v[100:101], s[8:9], v[96:97], v[96:97], v[98:99]
	v_rcp_f64_e32 v[102:103], v[100:101]
	v_div_scale_f64 v[136:137], vcc, v[98:99], v[96:97], v[98:99]
	v_fma_f64 v[138:139], -v[100:101], v[102:103], 1.0
	v_fmac_f64_e32 v[102:103], v[102:103], v[138:139]
	v_fma_f64 v[138:139], -v[100:101], v[102:103], 1.0
	v_fmac_f64_e32 v[102:103], v[102:103], v[138:139]
	v_mul_f64 v[138:139], v[136:137], v[102:103]
	v_fma_f64 v[100:101], -v[100:101], v[138:139], v[136:137]
	v_div_fmas_f64 v[100:101], v[100:101], v[102:103], v[138:139]
	v_div_fixup_f64 v[102:103], v[100:101], v[96:97], v[98:99]
	v_fmac_f64_e32 v[96:97], v[98:99], v[102:103]
	v_div_scale_f64 v[98:99], s[8:9], v[96:97], v[96:97], 1.0
	v_rcp_f64_e32 v[100:101], v[98:99]
	s_nop 0
	v_fma_f64 v[136:137], -v[98:99], v[100:101], 1.0
	v_fmac_f64_e32 v[100:101], v[100:101], v[136:137]
	v_fma_f64 v[136:137], -v[98:99], v[100:101], 1.0
	v_fmac_f64_e32 v[100:101], v[100:101], v[136:137]
	v_div_scale_f64 v[136:137], vcc, 1.0, v[96:97], 1.0
	v_mul_f64 v[138:139], v[136:137], v[100:101]
	v_fma_f64 v[98:99], -v[98:99], v[138:139], v[136:137]
	s_nop 1
	v_div_fmas_f64 v[98:99], v[98:99], v[100:101], v[138:139]
	v_div_fixup_f64 v[100:101], v[98:99], v[96:97], 1.0
	v_mul_f64 v[102:103], v[102:103], -v[100:101]
.LBB25_106:
	s_or_b64 exec, exec, s[2:3]
	ds_write2_b64 v133, v[100:101], v[102:103] offset1:1
.LBB25_107:
	s_or_b64 exec, exec, s[4:5]
	s_waitcnt lgkmcnt(0)
	s_barrier
	ds_read2_b64 v[96:99], v133 offset1:1
	v_cmp_lt_u32_e32 vcc, 11, v132
	s_and_saveexec_b64 s[2:3], vcc
	s_cbranch_execz .LBB25_109
; %bb.108:
	ds_read2_b64 v[100:103], v134 offset0:24 offset1:25
	s_waitcnt vmcnt(1) lgkmcnt(1)
	v_mul_f64 v[134:135], v[96:97], v[26:27]
	v_mul_f64 v[26:27], v[98:99], v[26:27]
	v_fmac_f64_e32 v[134:135], v[98:99], v[24:25]
	v_fma_f64 v[24:25], v[96:97], v[24:25], -v[26:27]
	s_waitcnt lgkmcnt(0)
	v_mul_f64 v[26:27], v[102:103], v[134:135]
	v_fma_f64 v[26:27], v[100:101], v[24:25], -v[26:27]
	v_mul_f64 v[100:101], v[100:101], v[134:135]
	v_fmac_f64_e32 v[100:101], v[102:103], v[24:25]
	s_waitcnt vmcnt(0)
	v_add_f64 v[48:49], v[48:49], -v[26:27]
	v_add_f64 v[50:51], v[50:51], -v[100:101]
	v_mov_b64_e32 v[26:27], v[134:135]
.LBB25_109:
	s_or_b64 exec, exec, s[2:3]
	v_cmp_eq_u32_e32 vcc, 12, v132
	s_waitcnt lgkmcnt(0)
	s_barrier
	s_and_saveexec_b64 s[4:5], vcc
	s_cbranch_execz .LBB25_116
; %bb.110:
	s_waitcnt vmcnt(0)
	v_cmp_neq_f64_e32 vcc, 0, v[48:49]
	v_cmp_neq_f64_e64 s[2:3], 0, v[50:51]
	s_or_b64 s[2:3], vcc, s[2:3]
	ds_write2_b64 v133, v[48:49], v[50:51] offset1:1
	s_and_b64 exec, exec, s[2:3]
	s_cbranch_execz .LBB25_116
; %bb.111:
	v_cmp_ngt_f64_e64 s[2:3], |v[48:49]|, |v[50:51]|
                                        ; implicit-def: $vgpr100_vgpr101
	s_and_saveexec_b64 s[8:9], s[2:3]
	s_xor_b64 s[2:3], exec, s[8:9]
                                        ; implicit-def: $vgpr102_vgpr103
	s_cbranch_execz .LBB25_113
; %bb.112:
	v_div_scale_f64 v[100:101], s[8:9], v[50:51], v[50:51], v[48:49]
	v_rcp_f64_e32 v[102:103], v[100:101]
	v_div_scale_f64 v[134:135], vcc, v[48:49], v[50:51], v[48:49]
	v_fma_f64 v[136:137], -v[100:101], v[102:103], 1.0
	v_fmac_f64_e32 v[102:103], v[102:103], v[136:137]
	v_fma_f64 v[136:137], -v[100:101], v[102:103], 1.0
	v_fmac_f64_e32 v[102:103], v[102:103], v[136:137]
	v_mul_f64 v[136:137], v[134:135], v[102:103]
	v_fma_f64 v[100:101], -v[100:101], v[136:137], v[134:135]
	v_div_fmas_f64 v[100:101], v[100:101], v[102:103], v[136:137]
	v_div_fixup_f64 v[100:101], v[100:101], v[50:51], v[48:49]
	v_fma_f64 v[102:103], v[48:49], v[100:101], v[50:51]
	v_div_scale_f64 v[134:135], s[8:9], v[102:103], v[102:103], 1.0
	v_rcp_f64_e32 v[136:137], v[134:135]
	s_nop 0
	v_fma_f64 v[138:139], -v[134:135], v[136:137], 1.0
	v_fmac_f64_e32 v[136:137], v[136:137], v[138:139]
	v_fma_f64 v[138:139], -v[134:135], v[136:137], 1.0
	v_fmac_f64_e32 v[136:137], v[136:137], v[138:139]
	v_div_scale_f64 v[138:139], vcc, 1.0, v[102:103], 1.0
	v_mul_f64 v[140:141], v[138:139], v[136:137]
	v_fma_f64 v[134:135], -v[134:135], v[140:141], v[138:139]
	s_nop 1
	v_div_fmas_f64 v[134:135], v[134:135], v[136:137], v[140:141]
	v_div_fixup_f64 v[102:103], v[134:135], v[102:103], 1.0
	v_mul_f64 v[100:101], v[100:101], v[102:103]
	v_xor_b32_e32 v103, 0x80000000, v103
.LBB25_113:
	s_andn2_saveexec_b64 s[2:3], s[2:3]
	s_cbranch_execz .LBB25_115
; %bb.114:
	v_div_scale_f64 v[100:101], s[8:9], v[48:49], v[48:49], v[50:51]
	v_rcp_f64_e32 v[102:103], v[100:101]
	v_div_scale_f64 v[134:135], vcc, v[50:51], v[48:49], v[50:51]
	v_fma_f64 v[136:137], -v[100:101], v[102:103], 1.0
	v_fmac_f64_e32 v[102:103], v[102:103], v[136:137]
	v_fma_f64 v[136:137], -v[100:101], v[102:103], 1.0
	v_fmac_f64_e32 v[102:103], v[102:103], v[136:137]
	v_mul_f64 v[136:137], v[134:135], v[102:103]
	v_fma_f64 v[100:101], -v[100:101], v[136:137], v[134:135]
	v_div_fmas_f64 v[100:101], v[100:101], v[102:103], v[136:137]
	v_div_fixup_f64 v[102:103], v[100:101], v[48:49], v[50:51]
	v_fma_f64 v[100:101], v[50:51], v[102:103], v[48:49]
	v_div_scale_f64 v[134:135], s[8:9], v[100:101], v[100:101], 1.0
	v_rcp_f64_e32 v[136:137], v[134:135]
	s_nop 0
	v_fma_f64 v[138:139], -v[134:135], v[136:137], 1.0
	v_fmac_f64_e32 v[136:137], v[136:137], v[138:139]
	v_fma_f64 v[138:139], -v[134:135], v[136:137], 1.0
	v_fmac_f64_e32 v[136:137], v[136:137], v[138:139]
	v_div_scale_f64 v[138:139], vcc, 1.0, v[100:101], 1.0
	v_mul_f64 v[140:141], v[138:139], v[136:137]
	v_fma_f64 v[134:135], -v[134:135], v[140:141], v[138:139]
	s_nop 1
	v_div_fmas_f64 v[134:135], v[134:135], v[136:137], v[140:141]
	v_div_fixup_f64 v[100:101], v[134:135], v[100:101], 1.0
	v_mul_f64 v[102:103], v[102:103], -v[100:101]
.LBB25_115:
	s_or_b64 exec, exec, s[2:3]
	ds_write2_b64 v133, v[100:101], v[102:103] offset1:1
.LBB25_116:
	s_or_b64 exec, exec, s[4:5]
	s_waitcnt lgkmcnt(0)
	s_barrier
	ds_read2_b64 v[100:103], v133 offset1:1
	s_waitcnt lgkmcnt(0)
	s_barrier
	s_and_saveexec_b64 s[54:55], s[0:1]
	s_cbranch_execz .LBB25_119
; %bb.117:
	v_mov_b32_e32 v134, s6
	v_mov_b32_e32 v135, s7
	v_lshl_add_u64 v[124:125], v[124:125], 2, v[134:135]
	global_load_dword v133, v[124:125], off
	v_cmp_eq_f64_e32 vcc, 0, v[52:53]
	v_cmp_eq_f64_e64 s[0:1], 0, v[54:55]
	v_cmp_neq_f64_e64 s[2:3], 0, v[56:57]
	v_cmp_neq_f64_e64 s[4:5], 0, v[58:59]
	s_and_b64 s[0:1], vcc, s[0:1]
	s_or_b64 s[2:3], s[2:3], s[4:5]
	v_cndmask_b32_e64 v52, 0, 1, s[0:1]
	s_or_b64 vcc, s[2:3], s[0:1]
	v_cmp_eq_f64_e64 s[6:7], 0, v[60:61]
	v_cmp_eq_f64_e64 s[8:9], 0, v[62:63]
	v_cndmask_b32_e32 v52, 2, v52, vcc
	s_and_b64 s[4:5], s[6:7], s[8:9]
	v_cmp_eq_u32_e32 vcc, 0, v52
	s_and_b64 s[0:1], s[4:5], vcc
	v_cmp_eq_f64_e64 s[10:11], 0, v[64:65]
	v_cmp_eq_f64_e64 s[12:13], 0, v[66:67]
	v_cndmask_b32_e64 v52, v52, 3, s[0:1]
	s_and_b64 s[6:7], s[10:11], s[12:13]
	v_cmp_eq_u32_e32 vcc, 0, v52
	s_and_b64 s[0:1], s[6:7], vcc
	v_cmp_eq_f64_e64 s[14:15], 0, v[68:69]
	v_cmp_eq_f64_e64 s[16:17], 0, v[70:71]
	v_cndmask_b32_e64 v52, v52, 4, s[0:1]
	;; [unrolled: 6-line block ×10, first 2 shown]
	s_and_b64 s[24:25], s[48:49], s[50:51]
	v_cmp_eq_u32_e32 vcc, 0, v52
	s_and_b64 s[0:1], s[24:25], vcc
	v_cndmask_b32_e64 v52, v52, 13, s[0:1]
	v_cmp_ne_u32_e64 s[0:1], 0, v52
	s_waitcnt vmcnt(0)
	v_cmp_eq_u32_e32 vcc, 0, v133
	s_and_b64 s[0:1], vcc, s[0:1]
	s_and_b64 exec, exec, s[0:1]
	s_cbranch_execz .LBB25_119
; %bb.118:
	v_add_u32_e32 v52, s53, v52
	global_store_dword v[124:125], v52, off
.LBB25_119:
	s_or_b64 exec, exec, s[54:55]
	s_waitcnt vmcnt(0)
	v_mul_f64 v[52:53], v[102:103], v[50:51]
	v_mul_f64 v[54:55], v[100:101], v[50:51]
	v_fma_f64 v[52:53], v[100:101], v[48:49], -v[52:53]
	v_fmac_f64_e32 v[54:55], v[102:103], v[48:49]
	v_cmp_lt_u32_e32 vcc, 12, v132
	s_nop 1
	v_cndmask_b32_e32 v51, v51, v55, vcc
	v_cndmask_b32_e32 v50, v50, v54, vcc
	;; [unrolled: 1-line block ×4, first 2 shown]
	global_store_dwordx4 v[104:105], v[4:7], off
	global_store_dwordx4 v[106:107], v[0:3], off
	;; [unrolled: 1-line block ×13, first 2 shown]
.LBB25_120:
	s_endpgm
	.section	.rodata,"a",@progbits
	.p2align	6, 0x0
	.amdhsa_kernel _ZN9rocsolver6v33100L23getf2_npvt_small_kernelILi13E19rocblas_complex_numIdEiiPS3_EEvT1_T3_lS5_lPT2_S5_S5_
		.amdhsa_group_segment_fixed_size 0
		.amdhsa_private_segment_fixed_size 0
		.amdhsa_kernarg_size 312
		.amdhsa_user_sgpr_count 2
		.amdhsa_user_sgpr_dispatch_ptr 0
		.amdhsa_user_sgpr_queue_ptr 0
		.amdhsa_user_sgpr_kernarg_segment_ptr 1
		.amdhsa_user_sgpr_dispatch_id 0
		.amdhsa_user_sgpr_kernarg_preload_length 0
		.amdhsa_user_sgpr_kernarg_preload_offset 0
		.amdhsa_user_sgpr_private_segment_size 0
		.amdhsa_uses_dynamic_stack 0
		.amdhsa_enable_private_segment 0
		.amdhsa_system_sgpr_workgroup_id_x 1
		.amdhsa_system_sgpr_workgroup_id_y 1
		.amdhsa_system_sgpr_workgroup_id_z 0
		.amdhsa_system_sgpr_workgroup_info 0
		.amdhsa_system_vgpr_workitem_id 1
		.amdhsa_next_free_vgpr 142
		.amdhsa_next_free_sgpr 56
		.amdhsa_accum_offset 144
		.amdhsa_reserve_vcc 1
		.amdhsa_float_round_mode_32 0
		.amdhsa_float_round_mode_16_64 0
		.amdhsa_float_denorm_mode_32 3
		.amdhsa_float_denorm_mode_16_64 3
		.amdhsa_dx10_clamp 1
		.amdhsa_ieee_mode 1
		.amdhsa_fp16_overflow 0
		.amdhsa_tg_split 0
		.amdhsa_exception_fp_ieee_invalid_op 0
		.amdhsa_exception_fp_denorm_src 0
		.amdhsa_exception_fp_ieee_div_zero 0
		.amdhsa_exception_fp_ieee_overflow 0
		.amdhsa_exception_fp_ieee_underflow 0
		.amdhsa_exception_fp_ieee_inexact 0
		.amdhsa_exception_int_div_zero 0
	.end_amdhsa_kernel
	.section	.text._ZN9rocsolver6v33100L23getf2_npvt_small_kernelILi13E19rocblas_complex_numIdEiiPS3_EEvT1_T3_lS5_lPT2_S5_S5_,"axG",@progbits,_ZN9rocsolver6v33100L23getf2_npvt_small_kernelILi13E19rocblas_complex_numIdEiiPS3_EEvT1_T3_lS5_lPT2_S5_S5_,comdat
.Lfunc_end25:
	.size	_ZN9rocsolver6v33100L23getf2_npvt_small_kernelILi13E19rocblas_complex_numIdEiiPS3_EEvT1_T3_lS5_lPT2_S5_S5_, .Lfunc_end25-_ZN9rocsolver6v33100L23getf2_npvt_small_kernelILi13E19rocblas_complex_numIdEiiPS3_EEvT1_T3_lS5_lPT2_S5_S5_
                                        ; -- End function
	.set _ZN9rocsolver6v33100L23getf2_npvt_small_kernelILi13E19rocblas_complex_numIdEiiPS3_EEvT1_T3_lS5_lPT2_S5_S5_.num_vgpr, 142
	.set _ZN9rocsolver6v33100L23getf2_npvt_small_kernelILi13E19rocblas_complex_numIdEiiPS3_EEvT1_T3_lS5_lPT2_S5_S5_.num_agpr, 0
	.set _ZN9rocsolver6v33100L23getf2_npvt_small_kernelILi13E19rocblas_complex_numIdEiiPS3_EEvT1_T3_lS5_lPT2_S5_S5_.numbered_sgpr, 56
	.set _ZN9rocsolver6v33100L23getf2_npvt_small_kernelILi13E19rocblas_complex_numIdEiiPS3_EEvT1_T3_lS5_lPT2_S5_S5_.num_named_barrier, 0
	.set _ZN9rocsolver6v33100L23getf2_npvt_small_kernelILi13E19rocblas_complex_numIdEiiPS3_EEvT1_T3_lS5_lPT2_S5_S5_.private_seg_size, 0
	.set _ZN9rocsolver6v33100L23getf2_npvt_small_kernelILi13E19rocblas_complex_numIdEiiPS3_EEvT1_T3_lS5_lPT2_S5_S5_.uses_vcc, 1
	.set _ZN9rocsolver6v33100L23getf2_npvt_small_kernelILi13E19rocblas_complex_numIdEiiPS3_EEvT1_T3_lS5_lPT2_S5_S5_.uses_flat_scratch, 0
	.set _ZN9rocsolver6v33100L23getf2_npvt_small_kernelILi13E19rocblas_complex_numIdEiiPS3_EEvT1_T3_lS5_lPT2_S5_S5_.has_dyn_sized_stack, 0
	.set _ZN9rocsolver6v33100L23getf2_npvt_small_kernelILi13E19rocblas_complex_numIdEiiPS3_EEvT1_T3_lS5_lPT2_S5_S5_.has_recursion, 0
	.set _ZN9rocsolver6v33100L23getf2_npvt_small_kernelILi13E19rocblas_complex_numIdEiiPS3_EEvT1_T3_lS5_lPT2_S5_S5_.has_indirect_call, 0
	.section	.AMDGPU.csdata,"",@progbits
; Kernel info:
; codeLenInByte = 13660
; TotalNumSgprs: 62
; NumVgprs: 142
; NumAgprs: 0
; TotalNumVgprs: 142
; ScratchSize: 0
; MemoryBound: 0
; FloatMode: 240
; IeeeMode: 1
; LDSByteSize: 0 bytes/workgroup (compile time only)
; SGPRBlocks: 7
; VGPRBlocks: 17
; NumSGPRsForWavesPerEU: 62
; NumVGPRsForWavesPerEU: 142
; AccumOffset: 144
; Occupancy: 3
; WaveLimiterHint : 0
; COMPUTE_PGM_RSRC2:SCRATCH_EN: 0
; COMPUTE_PGM_RSRC2:USER_SGPR: 2
; COMPUTE_PGM_RSRC2:TRAP_HANDLER: 0
; COMPUTE_PGM_RSRC2:TGID_X_EN: 1
; COMPUTE_PGM_RSRC2:TGID_Y_EN: 1
; COMPUTE_PGM_RSRC2:TGID_Z_EN: 0
; COMPUTE_PGM_RSRC2:TIDIG_COMP_CNT: 1
; COMPUTE_PGM_RSRC3_GFX90A:ACCUM_OFFSET: 35
; COMPUTE_PGM_RSRC3_GFX90A:TG_SPLIT: 0
	.section	.text._ZN9rocsolver6v33100L18getf2_small_kernelILi14E19rocblas_complex_numIdEiiPS3_EEvT1_T3_lS5_lPS5_llPT2_S5_S5_S7_l,"axG",@progbits,_ZN9rocsolver6v33100L18getf2_small_kernelILi14E19rocblas_complex_numIdEiiPS3_EEvT1_T3_lS5_lPS5_llPT2_S5_S5_S7_l,comdat
	.globl	_ZN9rocsolver6v33100L18getf2_small_kernelILi14E19rocblas_complex_numIdEiiPS3_EEvT1_T3_lS5_lPS5_llPT2_S5_S5_S7_l ; -- Begin function _ZN9rocsolver6v33100L18getf2_small_kernelILi14E19rocblas_complex_numIdEiiPS3_EEvT1_T3_lS5_lPS5_llPT2_S5_S5_S7_l
	.p2align	8
	.type	_ZN9rocsolver6v33100L18getf2_small_kernelILi14E19rocblas_complex_numIdEiiPS3_EEvT1_T3_lS5_lPS5_llPT2_S5_S5_S7_l,@function
_ZN9rocsolver6v33100L18getf2_small_kernelILi14E19rocblas_complex_numIdEiiPS3_EEvT1_T3_lS5_lPS5_llPT2_S5_S5_S7_l: ; @_ZN9rocsolver6v33100L18getf2_small_kernelILi14E19rocblas_complex_numIdEiiPS3_EEvT1_T3_lS5_lPS5_llPT2_S5_S5_S7_l
; %bb.0:
	s_load_dword s2, s[0:1], 0x6c
	s_load_dwordx2 s[12:13], s[0:1], 0x48
	v_bfe_u32 v56, v0, 10, 10
	s_waitcnt lgkmcnt(0)
	s_lshr_b32 s2, s2, 16
	s_mul_i32 s3, s3, s2
	v_add_u32_e32 v62, s3, v56
	v_cmp_gt_i32_e32 vcc, s12, v62
	s_and_saveexec_b64 s[2:3], vcc
	s_cbranch_execz .LBB26_295
; %bb.1:
	s_load_dwordx4 s[4:7], s[0:1], 0x50
	v_ashrrev_i32_e32 v63, 31, v62
	v_mov_b64_e32 v[64:65], 0
	s_waitcnt lgkmcnt(0)
	s_cmp_eq_u64 s[4:5], 0
	s_cselect_b64 s[14:15], -1, 0
	s_and_b64 vcc, exec, s[14:15]
	s_cbranch_vccnz .LBB26_3
; %bb.2:
	v_mul_lo_u32 v1, s7, v62
	v_mul_lo_u32 v4, s6, v63
	v_mad_u64_u32 v[2:3], s[2:3], s6, v62, 0
	v_add3_u32 v3, v3, v4, v1
	v_lshl_add_u64 v[64:65], v[2:3], 2, s[4:5]
.LBB26_3:
	s_load_dwordx4 s[16:19], s[0:1], 0x8
	s_load_dwordx8 s[4:11], s[0:1], 0x20
	s_load_dword s2, s[0:1], 0x18
	s_load_dword s20, s[0:1], 0x0
	v_and_b32_e32 v70, 0x3ff, v0
	s_waitcnt lgkmcnt(0)
	v_mov_b32_e32 v2, s16
	v_mul_lo_u32 v1, s5, v62
	v_mul_lo_u32 v6, s4, v63
	v_mad_u64_u32 v[4:5], s[4:5], s4, v62, 0
	v_mov_b32_e32 v3, s17
	v_add3_u32 v5, v5, v6, v1
	v_lshl_add_u64 v[2:3], v[4:5], 4, v[2:3]
	s_add_i32 s12, s2, s2
	v_lshl_add_u64 v[60:61], s[18:19], 4, v[2:3]
	v_add_u32_e32 v2, s12, v70
	v_add_u32_e32 v4, s2, v2
	v_ashrrev_i32_e32 v3, 31, v2
	v_ashrrev_i32_e32 v5, 31, v4
	v_add_u32_e32 v6, s2, v4
	v_lshl_add_u64 v[2:3], v[2:3], 4, v[60:61]
	v_lshl_add_u64 v[4:5], v[4:5], 4, v[60:61]
	v_add_u32_e32 v8, s2, v6
	v_lshlrev_b32_e32 v66, 4, v70
	v_mov_b32_e32 v67, 0
	v_ashrrev_i32_e32 v7, 31, v6
	global_load_dwordx4 v[40:43], v[2:3], off
	global_load_dwordx4 v[32:35], v[4:5], off
	v_add_u32_e32 v4, s2, v8
	v_lshl_add_u64 v[0:1], v[60:61], 0, v[66:67]
	s_ashr_i32 s3, s2, 31
	v_lshl_add_u64 v[2:3], v[6:7], 4, v[60:61]
	v_ashrrev_i32_e32 v9, 31, v8
	v_add_u32_e32 v6, s2, v4
	v_lshl_add_u64 v[10:11], s[2:3], 4, v[0:1]
	global_load_dwordx4 v[48:51], v[0:1], off
	global_load_dwordx4 v[44:47], v[10:11], off
	v_lshl_add_u64 v[0:1], v[8:9], 4, v[60:61]
	v_ashrrev_i32_e32 v5, 31, v4
	global_load_dwordx4 v[36:39], v[2:3], off
	global_load_dwordx4 v[28:31], v[0:1], off
	v_ashrrev_i32_e32 v7, 31, v6
	v_add_u32_e32 v2, s2, v6
	v_lshl_add_u64 v[0:1], v[4:5], 4, v[60:61]
	v_lshl_add_u64 v[4:5], v[6:7], 4, v[60:61]
	v_ashrrev_i32_e32 v3, 31, v2
	v_add_u32_e32 v6, s2, v2
	global_load_dwordx4 v[24:27], v[0:1], off
	global_load_dwordx4 v[20:23], v[4:5], off
	v_lshl_add_u64 v[0:1], v[2:3], 4, v[60:61]
	v_ashrrev_i32_e32 v7, 31, v6
	v_add_u32_e32 v2, s2, v6
	v_lshl_add_u64 v[4:5], v[6:7], 4, v[60:61]
	v_add_u32_e32 v6, s2, v2
	v_ashrrev_i32_e32 v3, 31, v2
	global_load_dwordx4 v[16:19], v[0:1], off
	global_load_dwordx4 v[8:11], v[4:5], off
	v_add_u32_e32 v0, s2, v6
	v_lshl_add_u64 v[58:59], v[2:3], 4, v[60:61]
	v_add_u32_e32 v2, s2, v0
	v_ashrrev_i32_e32 v7, 31, v6
	v_ashrrev_i32_e32 v1, 31, v0
	;; [unrolled: 1-line block ×3, first 2 shown]
	v_lshl_add_u64 v[68:69], v[6:7], 4, v[60:61]
	v_lshl_add_u64 v[72:73], v[0:1], 4, v[60:61]
	;; [unrolled: 1-line block ×3, first 2 shown]
	global_load_dwordx4 v[12:15], v[58:59], off
	global_load_dwordx4 v[4:7], v[68:69], off
	;; [unrolled: 1-line block ×4, first 2 shown]
	s_load_dwordx2 s[4:5], s[0:1], 0x40
	s_max_i32 s0, s20, 14
	v_mul_lo_u32 v69, s0, v56
	v_lshl_add_u32 v68, v69, 4, 0
	v_add_u32_e32 v56, v68, v66
	s_cmp_lt_i32 s20, 2
	v_lshlrev_b32_e32 v69, 4, v69
	s_waitcnt vmcnt(11)
	ds_write2_b64 v56, v[48:49], v[50:51] offset1:1
	s_waitcnt lgkmcnt(0)
	s_barrier
	ds_read2_b64 v[56:59], v68 offset1:1
	s_cbranch_scc1 .LBB26_6
; %bb.4:
	v_add3_u32 v66, v69, 0, 16
	s_mov_b32 s16, 1
	v_mov_b32_e32 v67, 0
.LBB26_5:                               ; =>This Inner Loop Header: Depth=1
	ds_read2_b64 v[72:75], v66 offset1:1
	s_waitcnt lgkmcnt(1)
	v_xor_b32_e32 v71, 0x80000000, v57
	v_xor_b32_e32 v79, 0x80000000, v59
	v_cmp_gt_f64_e32 vcc, 0, v[58:59]
	v_cmp_gt_f64_e64 s[0:1], 0, v[56:57]
	v_mov_b32_e32 v76, v56
	v_mov_b32_e32 v78, v58
	v_cndmask_b32_e64 v77, v57, v71, s[0:1]
	v_cndmask_b32_e32 v79, v59, v79, vcc
	s_waitcnt lgkmcnt(0)
	v_xor_b32_e32 v71, 0x80000000, v73
	v_xor_b32_e32 v81, 0x80000000, v75
	v_cmp_gt_f64_e32 vcc, 0, v[74:75]
	v_cmp_gt_f64_e64 s[0:1], 0, v[72:73]
	v_add_f64 v[76:77], v[76:77], v[78:79]
	v_mov_b32_e32 v78, v72
	v_mov_b32_e32 v80, v74
	v_cndmask_b32_e64 v79, v73, v71, s[0:1]
	v_cndmask_b32_e32 v81, v75, v81, vcc
	v_add_f64 v[78:79], v[78:79], v[80:81]
	v_mov_b32_e32 v82, s16
	s_add_i32 s16, s16, 1
	v_cmp_lt_f64_e32 vcc, v[76:77], v[78:79]
	v_add_u32_e32 v66, 16, v66
	s_cmp_eq_u32 s20, s16
	v_cndmask_b32_e32 v57, v57, v73, vcc
	v_cndmask_b32_e32 v56, v56, v72, vcc
	;; [unrolled: 1-line block ×5, first 2 shown]
	s_cbranch_scc0 .LBB26_5
.LBB26_6:
	s_waitcnt lgkmcnt(0)
	v_cmp_neq_f64_e32 vcc, 0, v[56:57]
	v_cmp_neq_f64_e64 s[0:1], 0, v[58:59]
	s_or_b64 s[16:17], vcc, s[0:1]
	v_mov_b32_e32 v71, 1
	v_mov_b32_e32 v72, 1
	s_and_saveexec_b64 s[0:1], s[16:17]
	s_cbranch_execz .LBB26_12
; %bb.7:
	v_cmp_ngt_f64_e64 s[16:17], |v[56:57]|, |v[58:59]|
	s_and_saveexec_b64 s[18:19], s[16:17]
	s_xor_b64 s[16:17], exec, s[18:19]
	s_cbranch_execz .LBB26_9
; %bb.8:
	v_div_scale_f64 v[72:73], s[18:19], v[58:59], v[58:59], v[56:57]
	v_rcp_f64_e32 v[74:75], v[72:73]
	v_div_scale_f64 v[76:77], vcc, v[56:57], v[58:59], v[56:57]
	v_fma_f64 v[78:79], -v[72:73], v[74:75], 1.0
	v_fmac_f64_e32 v[74:75], v[74:75], v[78:79]
	v_fma_f64 v[78:79], -v[72:73], v[74:75], 1.0
	v_fmac_f64_e32 v[74:75], v[74:75], v[78:79]
	v_mul_f64 v[78:79], v[76:77], v[74:75]
	v_fma_f64 v[72:73], -v[72:73], v[78:79], v[76:77]
	v_div_fmas_f64 v[72:73], v[72:73], v[74:75], v[78:79]
	v_div_fixup_f64 v[72:73], v[72:73], v[58:59], v[56:57]
	v_fmac_f64_e32 v[58:59], v[56:57], v[72:73]
	v_div_scale_f64 v[56:57], s[18:19], v[58:59], v[58:59], 1.0
	v_rcp_f64_e32 v[74:75], v[56:57]
	s_nop 0
	v_fma_f64 v[76:77], -v[56:57], v[74:75], 1.0
	v_fmac_f64_e32 v[74:75], v[74:75], v[76:77]
	v_fma_f64 v[76:77], -v[56:57], v[74:75], 1.0
	v_fmac_f64_e32 v[74:75], v[74:75], v[76:77]
	v_div_scale_f64 v[76:77], vcc, 1.0, v[58:59], 1.0
	v_mul_f64 v[78:79], v[76:77], v[74:75]
	v_fma_f64 v[56:57], -v[56:57], v[78:79], v[76:77]
	s_nop 1
	v_div_fmas_f64 v[56:57], v[56:57], v[74:75], v[78:79]
	v_div_fixup_f64 v[58:59], v[56:57], v[58:59], 1.0
	v_mul_f64 v[56:57], v[72:73], v[58:59]
	v_xor_b32_e32 v59, 0x80000000, v59
.LBB26_9:
	s_andn2_saveexec_b64 s[16:17], s[16:17]
	s_cbranch_execz .LBB26_11
; %bb.10:
	v_div_scale_f64 v[72:73], s[18:19], v[56:57], v[56:57], v[58:59]
	v_rcp_f64_e32 v[74:75], v[72:73]
	v_div_scale_f64 v[76:77], vcc, v[58:59], v[56:57], v[58:59]
	v_fma_f64 v[78:79], -v[72:73], v[74:75], 1.0
	v_fmac_f64_e32 v[74:75], v[74:75], v[78:79]
	v_fma_f64 v[78:79], -v[72:73], v[74:75], 1.0
	v_fmac_f64_e32 v[74:75], v[74:75], v[78:79]
	v_mul_f64 v[78:79], v[76:77], v[74:75]
	v_fma_f64 v[72:73], -v[72:73], v[78:79], v[76:77]
	v_div_fmas_f64 v[72:73], v[72:73], v[74:75], v[78:79]
	v_div_fixup_f64 v[72:73], v[72:73], v[56:57], v[58:59]
	v_fmac_f64_e32 v[56:57], v[58:59], v[72:73]
	v_div_scale_f64 v[58:59], s[18:19], v[56:57], v[56:57], 1.0
	v_rcp_f64_e32 v[74:75], v[58:59]
	s_nop 0
	v_fma_f64 v[76:77], -v[58:59], v[74:75], 1.0
	v_fmac_f64_e32 v[74:75], v[74:75], v[76:77]
	v_fma_f64 v[76:77], -v[58:59], v[74:75], 1.0
	v_fmac_f64_e32 v[74:75], v[74:75], v[76:77]
	v_div_scale_f64 v[76:77], vcc, 1.0, v[56:57], 1.0
	v_mul_f64 v[78:79], v[76:77], v[74:75]
	v_fma_f64 v[58:59], -v[58:59], v[78:79], v[76:77]
	s_nop 1
	v_div_fmas_f64 v[58:59], v[58:59], v[74:75], v[78:79]
	v_div_fixup_f64 v[56:57], v[58:59], v[56:57], 1.0
	v_mul_f64 v[58:59], v[72:73], -v[56:57]
.LBB26_11:
	s_or_b64 exec, exec, s[16:17]
	v_mov_b32_e32 v72, 0
	v_mov_b32_e32 v71, 2
.LBB26_12:
	s_or_b64 exec, exec, s[0:1]
	v_cmp_ne_u32_e32 vcc, v70, v67
	s_and_saveexec_b64 s[0:1], vcc
	s_xor_b64 s[0:1], exec, s[0:1]
	s_cbranch_execz .LBB26_18
; %bb.13:
	v_cmp_eq_u32_e32 vcc, 0, v70
	s_and_saveexec_b64 s[16:17], vcc
	s_cbranch_execz .LBB26_17
; %bb.14:
	v_cmp_ne_u32_e32 vcc, 0, v67
	s_xor_b64 s[18:19], s[14:15], -1
	s_and_b64 s[22:23], s[18:19], vcc
	s_and_saveexec_b64 s[18:19], s[22:23]
	s_cbranch_execz .LBB26_16
; %bb.15:
	v_ashrrev_i32_e32 v75, 31, v67
	v_mov_b32_e32 v74, v67
	v_lshl_add_u64 v[74:75], v[74:75], 2, v[64:65]
	global_load_dword v66, v[74:75], off
	global_load_dword v70, v[64:65], off
	s_waitcnt vmcnt(1)
	global_store_dword v[64:65], v66, off
	s_waitcnt vmcnt(1)
	global_store_dword v[74:75], v70, off
.LBB26_16:
	s_or_b64 exec, exec, s[18:19]
	v_mov_b32_e32 v70, v67
.LBB26_17:
	s_or_b64 exec, exec, s[16:17]
.LBB26_18:
	s_or_saveexec_b64 s[0:1], s[0:1]
	v_mov_b32_e32 v67, v70
	s_xor_b64 exec, exec, s[0:1]
	s_cbranch_execz .LBB26_20
; %bb.19:
	v_mov_b32_e32 v67, 0
	s_waitcnt vmcnt(10)
	ds_write2_b64 v68, v[44:45], v[46:47] offset0:2 offset1:3
	ds_write2_b64 v68, v[40:41], v[42:43] offset0:4 offset1:5
	;; [unrolled: 1-line block ×3, first 2 shown]
	s_waitcnt vmcnt(9)
	ds_write2_b64 v68, v[36:37], v[38:39] offset0:8 offset1:9
	s_waitcnt vmcnt(8)
	ds_write2_b64 v68, v[28:29], v[30:31] offset0:10 offset1:11
	s_waitcnt vmcnt(7)
	ds_write2_b64 v68, v[24:25], v[26:27] offset0:12 offset1:13
	s_waitcnt vmcnt(6)
	ds_write2_b64 v68, v[20:21], v[22:23] offset0:14 offset1:15
	s_waitcnt vmcnt(5)
	ds_write2_b64 v68, v[16:17], v[18:19] offset0:16 offset1:17
	s_waitcnt vmcnt(4)
	ds_write2_b64 v68, v[8:9], v[10:11] offset0:18 offset1:19
	s_waitcnt vmcnt(3)
	ds_write2_b64 v68, v[12:13], v[14:15] offset0:20 offset1:21
	s_waitcnt vmcnt(2)
	ds_write2_b64 v68, v[4:5], v[6:7] offset0:22 offset1:23
	s_waitcnt vmcnt(1)
	ds_write2_b64 v68, v[0:1], v[2:3] offset0:24 offset1:25
	s_waitcnt vmcnt(0)
	ds_write2_b64 v68, v[52:53], v[54:55] offset0:26 offset1:27
.LBB26_20:
	s_or_b64 exec, exec, s[0:1]
	v_cmp_lt_i32_e32 vcc, 0, v67
	s_waitcnt lgkmcnt(0)
	s_barrier
	s_and_saveexec_b64 s[0:1], vcc
	s_cbranch_execz .LBB26_22
; %bb.21:
	ds_read2_b64 v[74:77], v68 offset0:2 offset1:3
	v_mul_f64 v[78:79], v[56:57], v[50:51]
	v_fmac_f64_e32 v[78:79], v[58:59], v[48:49]
	v_mul_f64 v[50:51], v[58:59], v[50:51]
	v_fma_f64 v[48:49], v[56:57], v[48:49], -v[50:51]
	ds_read2_b64 v[56:59], v68 offset0:4 offset1:5
	s_waitcnt lgkmcnt(1)
	v_mul_f64 v[50:51], v[76:77], v[78:79]
	v_fma_f64 v[50:51], v[74:75], v[48:49], -v[50:51]
	v_mul_f64 v[74:75], v[74:75], v[78:79]
	v_fmac_f64_e32 v[74:75], v[76:77], v[48:49]
	s_waitcnt vmcnt(10)
	v_add_f64 v[46:47], v[46:47], -v[74:75]
	ds_read2_b64 v[74:77], v68 offset0:6 offset1:7
	v_add_f64 v[44:45], v[44:45], -v[50:51]
	s_waitcnt lgkmcnt(1)
	v_mul_f64 v[50:51], v[58:59], v[78:79]
	v_fma_f64 v[50:51], v[56:57], v[48:49], -v[50:51]
	v_mul_f64 v[56:57], v[56:57], v[78:79]
	v_fmac_f64_e32 v[56:57], v[58:59], v[48:49]
	v_add_f64 v[40:41], v[40:41], -v[50:51]
	v_add_f64 v[42:43], v[42:43], -v[56:57]
	ds_read2_b64 v[56:59], v68 offset0:8 offset1:9
	s_waitcnt lgkmcnt(1)
	v_mul_f64 v[50:51], v[76:77], v[78:79]
	v_fma_f64 v[50:51], v[74:75], v[48:49], -v[50:51]
	v_mul_f64 v[74:75], v[74:75], v[78:79]
	v_fmac_f64_e32 v[74:75], v[76:77], v[48:49]
	v_add_f64 v[34:35], v[34:35], -v[74:75]
	ds_read2_b64 v[74:77], v68 offset0:10 offset1:11
	v_add_f64 v[32:33], v[32:33], -v[50:51]
	s_waitcnt lgkmcnt(1)
	v_mul_f64 v[50:51], v[58:59], v[78:79]
	v_fma_f64 v[50:51], v[56:57], v[48:49], -v[50:51]
	v_mul_f64 v[56:57], v[56:57], v[78:79]
	v_fmac_f64_e32 v[56:57], v[58:59], v[48:49]
	s_waitcnt vmcnt(9)
	v_add_f64 v[36:37], v[36:37], -v[50:51]
	v_add_f64 v[38:39], v[38:39], -v[56:57]
	ds_read2_b64 v[56:59], v68 offset0:12 offset1:13
	s_waitcnt lgkmcnt(1)
	v_mul_f64 v[50:51], v[76:77], v[78:79]
	v_fma_f64 v[50:51], v[74:75], v[48:49], -v[50:51]
	v_mul_f64 v[74:75], v[74:75], v[78:79]
	v_fmac_f64_e32 v[74:75], v[76:77], v[48:49]
	s_waitcnt vmcnt(8)
	v_add_f64 v[30:31], v[30:31], -v[74:75]
	ds_read2_b64 v[74:77], v68 offset0:14 offset1:15
	v_add_f64 v[28:29], v[28:29], -v[50:51]
	s_waitcnt lgkmcnt(1)
	v_mul_f64 v[50:51], v[58:59], v[78:79]
	v_fma_f64 v[50:51], v[56:57], v[48:49], -v[50:51]
	v_mul_f64 v[56:57], v[56:57], v[78:79]
	v_fmac_f64_e32 v[56:57], v[58:59], v[48:49]
	s_waitcnt vmcnt(7)
	v_add_f64 v[24:25], v[24:25], -v[50:51]
	v_add_f64 v[26:27], v[26:27], -v[56:57]
	ds_read2_b64 v[56:59], v68 offset0:16 offset1:17
	s_waitcnt lgkmcnt(1)
	v_mul_f64 v[50:51], v[76:77], v[78:79]
	v_fma_f64 v[50:51], v[74:75], v[48:49], -v[50:51]
	v_mul_f64 v[74:75], v[74:75], v[78:79]
	v_fmac_f64_e32 v[74:75], v[76:77], v[48:49]
	s_waitcnt vmcnt(6)
	;; [unrolled: 18-line block ×4, first 2 shown]
	v_add_f64 v[6:7], v[6:7], -v[74:75]
	ds_read2_b64 v[74:77], v68 offset0:26 offset1:27
	v_add_f64 v[4:5], v[4:5], -v[50:51]
	s_waitcnt lgkmcnt(1)
	v_mul_f64 v[50:51], v[58:59], v[78:79]
	v_fma_f64 v[50:51], v[56:57], v[48:49], -v[50:51]
	v_mul_f64 v[56:57], v[56:57], v[78:79]
	v_fmac_f64_e32 v[56:57], v[58:59], v[48:49]
	s_waitcnt vmcnt(1)
	v_add_f64 v[0:1], v[0:1], -v[50:51]
	v_add_f64 v[2:3], v[2:3], -v[56:57]
	s_waitcnt lgkmcnt(0)
	v_mul_f64 v[50:51], v[76:77], v[78:79]
	v_mul_f64 v[56:57], v[74:75], v[78:79]
	v_fma_f64 v[50:51], v[74:75], v[48:49], -v[50:51]
	v_fmac_f64_e32 v[56:57], v[76:77], v[48:49]
	s_waitcnt vmcnt(0)
	v_add_f64 v[52:53], v[52:53], -v[50:51]
	v_add_f64 v[54:55], v[54:55], -v[56:57]
	v_mov_b64_e32 v[50:51], v[78:79]
.LBB26_22:
	s_or_b64 exec, exec, s[0:1]
	v_lshl_add_u32 v56, v67, 4, v68
	s_barrier
	s_waitcnt vmcnt(10)
	ds_write2_b64 v56, v[44:45], v[46:47] offset1:1
	s_waitcnt lgkmcnt(0)
	s_barrier
	ds_read2_b64 v[56:59], v68 offset0:2 offset1:3
	s_cmp_lt_i32 s20, 3
	v_mov_b32_e32 v66, 1
	s_cbranch_scc1 .LBB26_25
; %bb.23:
	v_add3_u32 v73, v69, 0, 32
	s_mov_b32 s16, 2
	v_mov_b32_e32 v66, 1
.LBB26_24:                              ; =>This Inner Loop Header: Depth=1
	ds_read2_b64 v[74:77], v73 offset1:1
	s_waitcnt lgkmcnt(1)
	v_xor_b32_e32 v79, 0x80000000, v57
	v_xor_b32_e32 v81, 0x80000000, v59
	v_cmp_gt_f64_e32 vcc, 0, v[58:59]
	v_cmp_gt_f64_e64 s[0:1], 0, v[56:57]
	v_mov_b32_e32 v78, v56
	v_mov_b32_e32 v80, v58
	v_cndmask_b32_e64 v79, v57, v79, s[0:1]
	v_cndmask_b32_e32 v81, v59, v81, vcc
	v_add_f64 v[78:79], v[78:79], v[80:81]
	s_waitcnt lgkmcnt(0)
	v_xor_b32_e32 v81, 0x80000000, v75
	v_xor_b32_e32 v83, 0x80000000, v77
	v_cmp_gt_f64_e32 vcc, 0, v[76:77]
	v_cmp_gt_f64_e64 s[0:1], 0, v[74:75]
	v_mov_b32_e32 v80, v74
	v_mov_b32_e32 v82, v76
	v_cndmask_b32_e64 v81, v75, v81, s[0:1]
	v_cndmask_b32_e32 v83, v77, v83, vcc
	v_add_f64 v[80:81], v[80:81], v[82:83]
	v_mov_b32_e32 v84, s16
	s_add_i32 s16, s16, 1
	v_cmp_lt_f64_e32 vcc, v[78:79], v[80:81]
	v_add_u32_e32 v73, 16, v73
	s_cmp_lg_u32 s20, s16
	v_cndmask_b32_e32 v57, v57, v75, vcc
	v_cndmask_b32_e32 v56, v56, v74, vcc
	;; [unrolled: 1-line block ×5, first 2 shown]
	s_cbranch_scc1 .LBB26_24
.LBB26_25:
	s_waitcnt lgkmcnt(0)
	v_cmp_neq_f64_e32 vcc, 0, v[56:57]
	v_cmp_neq_f64_e64 s[0:1], 0, v[58:59]
	s_or_b64 s[16:17], vcc, s[0:1]
	s_and_saveexec_b64 s[0:1], s[16:17]
	s_cbranch_execz .LBB26_31
; %bb.26:
	v_cmp_ngt_f64_e64 s[16:17], |v[56:57]|, |v[58:59]|
	s_and_saveexec_b64 s[18:19], s[16:17]
	s_xor_b64 s[16:17], exec, s[18:19]
	s_cbranch_execz .LBB26_28
; %bb.27:
	v_div_scale_f64 v[74:75], s[18:19], v[58:59], v[58:59], v[56:57]
	v_rcp_f64_e32 v[76:77], v[74:75]
	v_div_scale_f64 v[78:79], vcc, v[56:57], v[58:59], v[56:57]
	v_fma_f64 v[80:81], -v[74:75], v[76:77], 1.0
	v_fmac_f64_e32 v[76:77], v[76:77], v[80:81]
	v_fma_f64 v[80:81], -v[74:75], v[76:77], 1.0
	v_fmac_f64_e32 v[76:77], v[76:77], v[80:81]
	v_mul_f64 v[80:81], v[78:79], v[76:77]
	v_fma_f64 v[74:75], -v[74:75], v[80:81], v[78:79]
	v_div_fmas_f64 v[74:75], v[74:75], v[76:77], v[80:81]
	v_div_fixup_f64 v[74:75], v[74:75], v[58:59], v[56:57]
	v_fmac_f64_e32 v[58:59], v[56:57], v[74:75]
	v_div_scale_f64 v[56:57], s[18:19], v[58:59], v[58:59], 1.0
	v_rcp_f64_e32 v[76:77], v[56:57]
	s_nop 0
	v_fma_f64 v[78:79], -v[56:57], v[76:77], 1.0
	v_fmac_f64_e32 v[76:77], v[76:77], v[78:79]
	v_fma_f64 v[78:79], -v[56:57], v[76:77], 1.0
	v_fmac_f64_e32 v[76:77], v[76:77], v[78:79]
	v_div_scale_f64 v[78:79], vcc, 1.0, v[58:59], 1.0
	v_mul_f64 v[80:81], v[78:79], v[76:77]
	v_fma_f64 v[56:57], -v[56:57], v[80:81], v[78:79]
	s_nop 1
	v_div_fmas_f64 v[56:57], v[56:57], v[76:77], v[80:81]
	v_div_fixup_f64 v[58:59], v[56:57], v[58:59], 1.0
	v_mul_f64 v[56:57], v[74:75], v[58:59]
	v_xor_b32_e32 v59, 0x80000000, v59
.LBB26_28:
	s_andn2_saveexec_b64 s[16:17], s[16:17]
	s_cbranch_execz .LBB26_30
; %bb.29:
	v_div_scale_f64 v[74:75], s[18:19], v[56:57], v[56:57], v[58:59]
	v_rcp_f64_e32 v[76:77], v[74:75]
	v_div_scale_f64 v[78:79], vcc, v[58:59], v[56:57], v[58:59]
	v_fma_f64 v[80:81], -v[74:75], v[76:77], 1.0
	v_fmac_f64_e32 v[76:77], v[76:77], v[80:81]
	v_fma_f64 v[80:81], -v[74:75], v[76:77], 1.0
	v_fmac_f64_e32 v[76:77], v[76:77], v[80:81]
	v_mul_f64 v[80:81], v[78:79], v[76:77]
	v_fma_f64 v[74:75], -v[74:75], v[80:81], v[78:79]
	v_div_fmas_f64 v[74:75], v[74:75], v[76:77], v[80:81]
	v_div_fixup_f64 v[74:75], v[74:75], v[56:57], v[58:59]
	v_fmac_f64_e32 v[56:57], v[58:59], v[74:75]
	v_div_scale_f64 v[58:59], s[18:19], v[56:57], v[56:57], 1.0
	v_rcp_f64_e32 v[76:77], v[58:59]
	s_nop 0
	v_fma_f64 v[78:79], -v[58:59], v[76:77], 1.0
	v_fmac_f64_e32 v[76:77], v[76:77], v[78:79]
	v_fma_f64 v[78:79], -v[58:59], v[76:77], 1.0
	v_fmac_f64_e32 v[76:77], v[76:77], v[78:79]
	v_div_scale_f64 v[78:79], vcc, 1.0, v[56:57], 1.0
	v_mul_f64 v[80:81], v[78:79], v[76:77]
	v_fma_f64 v[58:59], -v[58:59], v[80:81], v[78:79]
	s_nop 1
	v_div_fmas_f64 v[58:59], v[58:59], v[76:77], v[80:81]
	v_div_fixup_f64 v[56:57], v[58:59], v[56:57], 1.0
	v_mul_f64 v[58:59], v[74:75], -v[56:57]
.LBB26_30:
	s_or_b64 exec, exec, s[16:17]
	v_mov_b32_e32 v71, v72
.LBB26_31:
	s_or_b64 exec, exec, s[0:1]
	v_cmp_ne_u32_e32 vcc, v67, v66
	s_and_saveexec_b64 s[0:1], vcc
	s_xor_b64 s[0:1], exec, s[0:1]
	s_cbranch_execz .LBB26_37
; %bb.32:
	v_cmp_eq_u32_e32 vcc, 1, v67
	s_and_saveexec_b64 s[16:17], vcc
	s_cbranch_execz .LBB26_36
; %bb.33:
	v_cmp_ne_u32_e32 vcc, 1, v66
	s_xor_b64 s[18:19], s[14:15], -1
	s_and_b64 s[22:23], s[18:19], vcc
	s_and_saveexec_b64 s[18:19], s[22:23]
	s_cbranch_execz .LBB26_35
; %bb.34:
	v_ashrrev_i32_e32 v67, 31, v66
	v_lshl_add_u64 v[72:73], v[66:67], 2, v[64:65]
	global_load_dword v67, v[72:73], off
	global_load_dword v70, v[64:65], off offset:4
	s_waitcnt vmcnt(1)
	global_store_dword v[64:65], v67, off offset:4
	s_waitcnt vmcnt(1)
	global_store_dword v[72:73], v70, off
.LBB26_35:
	s_or_b64 exec, exec, s[18:19]
	v_mov_b32_e32 v67, v66
	v_mov_b32_e32 v70, v66
.LBB26_36:
	s_or_b64 exec, exec, s[16:17]
.LBB26_37:
	s_andn2_saveexec_b64 s[0:1], s[0:1]
	s_cbranch_execz .LBB26_39
; %bb.38:
	v_mov_b32_e32 v67, 1
	ds_write2_b64 v68, v[40:41], v[42:43] offset0:4 offset1:5
	ds_write2_b64 v68, v[32:33], v[34:35] offset0:6 offset1:7
	s_waitcnt vmcnt(9)
	ds_write2_b64 v68, v[36:37], v[38:39] offset0:8 offset1:9
	s_waitcnt vmcnt(8)
	;; [unrolled: 2-line block ×10, first 2 shown]
	ds_write2_b64 v68, v[52:53], v[54:55] offset0:26 offset1:27
.LBB26_39:
	s_or_b64 exec, exec, s[0:1]
	v_cmp_lt_i32_e32 vcc, 1, v67
	s_waitcnt lgkmcnt(0)
	s_barrier
	s_and_saveexec_b64 s[0:1], vcc
	s_cbranch_execz .LBB26_41
; %bb.40:
	ds_read2_b64 v[72:75], v68 offset0:4 offset1:5
	v_mul_f64 v[76:77], v[56:57], v[46:47]
	v_mul_f64 v[46:47], v[58:59], v[46:47]
	v_fmac_f64_e32 v[76:77], v[58:59], v[44:45]
	v_fma_f64 v[44:45], v[56:57], v[44:45], -v[46:47]
	ds_read2_b64 v[56:59], v68 offset0:6 offset1:7
	s_waitcnt lgkmcnt(1)
	v_mul_f64 v[46:47], v[74:75], v[76:77]
	v_fma_f64 v[46:47], v[72:73], v[44:45], -v[46:47]
	v_mul_f64 v[72:73], v[72:73], v[76:77]
	v_fmac_f64_e32 v[72:73], v[74:75], v[44:45]
	v_add_f64 v[40:41], v[40:41], -v[46:47]
	s_waitcnt lgkmcnt(0)
	v_mul_f64 v[46:47], v[58:59], v[76:77]
	v_add_f64 v[42:43], v[42:43], -v[72:73]
	v_fma_f64 v[46:47], v[56:57], v[44:45], -v[46:47]
	v_mul_f64 v[56:57], v[56:57], v[76:77]
	ds_read2_b64 v[72:75], v68 offset0:8 offset1:9
	v_fmac_f64_e32 v[56:57], v[58:59], v[44:45]
	v_add_f64 v[34:35], v[34:35], -v[56:57]
	ds_read2_b64 v[56:59], v68 offset0:10 offset1:11
	v_add_f64 v[32:33], v[32:33], -v[46:47]
	s_waitcnt lgkmcnt(1)
	v_mul_f64 v[46:47], v[74:75], v[76:77]
	v_fma_f64 v[46:47], v[72:73], v[44:45], -v[46:47]
	v_mul_f64 v[72:73], v[72:73], v[76:77]
	v_fmac_f64_e32 v[72:73], v[74:75], v[44:45]
	s_waitcnt vmcnt(9)
	v_add_f64 v[36:37], v[36:37], -v[46:47]
	s_waitcnt lgkmcnt(0)
	v_mul_f64 v[46:47], v[58:59], v[76:77]
	v_add_f64 v[38:39], v[38:39], -v[72:73]
	v_fma_f64 v[46:47], v[56:57], v[44:45], -v[46:47]
	v_mul_f64 v[56:57], v[56:57], v[76:77]
	ds_read2_b64 v[72:75], v68 offset0:12 offset1:13
	v_fmac_f64_e32 v[56:57], v[58:59], v[44:45]
	s_waitcnt vmcnt(8)
	v_add_f64 v[30:31], v[30:31], -v[56:57]
	ds_read2_b64 v[56:59], v68 offset0:14 offset1:15
	v_add_f64 v[28:29], v[28:29], -v[46:47]
	s_waitcnt lgkmcnt(1)
	v_mul_f64 v[46:47], v[74:75], v[76:77]
	v_fma_f64 v[46:47], v[72:73], v[44:45], -v[46:47]
	v_mul_f64 v[72:73], v[72:73], v[76:77]
	v_fmac_f64_e32 v[72:73], v[74:75], v[44:45]
	s_waitcnt vmcnt(7)
	v_add_f64 v[24:25], v[24:25], -v[46:47]
	s_waitcnt lgkmcnt(0)
	v_mul_f64 v[46:47], v[58:59], v[76:77]
	v_add_f64 v[26:27], v[26:27], -v[72:73]
	v_fma_f64 v[46:47], v[56:57], v[44:45], -v[46:47]
	v_mul_f64 v[56:57], v[56:57], v[76:77]
	ds_read2_b64 v[72:75], v68 offset0:16 offset1:17
	v_fmac_f64_e32 v[56:57], v[58:59], v[44:45]
	s_waitcnt vmcnt(6)
	;; [unrolled: 18-line block ×4, first 2 shown]
	v_add_f64 v[6:7], v[6:7], -v[56:57]
	ds_read2_b64 v[56:59], v68 offset0:26 offset1:27
	v_add_f64 v[4:5], v[4:5], -v[46:47]
	s_waitcnt lgkmcnt(1)
	v_mul_f64 v[46:47], v[74:75], v[76:77]
	v_fma_f64 v[46:47], v[72:73], v[44:45], -v[46:47]
	s_waitcnt vmcnt(1)
	v_add_f64 v[0:1], v[0:1], -v[46:47]
	s_waitcnt lgkmcnt(0)
	v_mul_f64 v[46:47], v[58:59], v[76:77]
	v_mul_f64 v[72:73], v[72:73], v[76:77]
	v_fma_f64 v[46:47], v[56:57], v[44:45], -v[46:47]
	v_mul_f64 v[56:57], v[56:57], v[76:77]
	v_fmac_f64_e32 v[72:73], v[74:75], v[44:45]
	v_fmac_f64_e32 v[56:57], v[58:59], v[44:45]
	v_add_f64 v[2:3], v[2:3], -v[72:73]
	s_waitcnt vmcnt(0)
	v_add_f64 v[52:53], v[52:53], -v[46:47]
	v_add_f64 v[54:55], v[54:55], -v[56:57]
	v_mov_b64_e32 v[46:47], v[76:77]
.LBB26_41:
	s_or_b64 exec, exec, s[0:1]
	v_lshl_add_u32 v56, v67, 4, v68
	s_barrier
	ds_write2_b64 v56, v[40:41], v[42:43] offset1:1
	s_waitcnt lgkmcnt(0)
	s_barrier
	ds_read2_b64 v[56:59], v68 offset0:4 offset1:5
	s_cmp_lt_i32 s20, 4
	v_mov_b32_e32 v66, 2
	s_cbranch_scc1 .LBB26_44
; %bb.42:
	v_add3_u32 v72, v69, 0, 48
	s_mov_b32 s16, 3
	v_mov_b32_e32 v66, 2
.LBB26_43:                              ; =>This Inner Loop Header: Depth=1
	ds_read2_b64 v[74:77], v72 offset1:1
	s_waitcnt lgkmcnt(1)
	v_xor_b32_e32 v73, 0x80000000, v57
	v_xor_b32_e32 v81, 0x80000000, v59
	v_cmp_gt_f64_e32 vcc, 0, v[58:59]
	v_cmp_gt_f64_e64 s[0:1], 0, v[56:57]
	v_mov_b32_e32 v78, v56
	v_mov_b32_e32 v80, v58
	v_cndmask_b32_e64 v79, v57, v73, s[0:1]
	v_cndmask_b32_e32 v81, v59, v81, vcc
	s_waitcnt lgkmcnt(0)
	v_xor_b32_e32 v73, 0x80000000, v75
	v_xor_b32_e32 v83, 0x80000000, v77
	v_cmp_gt_f64_e32 vcc, 0, v[76:77]
	v_cmp_gt_f64_e64 s[0:1], 0, v[74:75]
	v_add_f64 v[78:79], v[78:79], v[80:81]
	v_mov_b32_e32 v80, v74
	v_mov_b32_e32 v82, v76
	v_cndmask_b32_e64 v81, v75, v73, s[0:1]
	v_cndmask_b32_e32 v83, v77, v83, vcc
	v_add_f64 v[80:81], v[80:81], v[82:83]
	v_mov_b32_e32 v84, s16
	s_add_i32 s16, s16, 1
	v_cmp_lt_f64_e32 vcc, v[78:79], v[80:81]
	v_add_u32_e32 v72, 16, v72
	s_cmp_lg_u32 s20, s16
	v_cndmask_b32_e32 v57, v57, v75, vcc
	v_cndmask_b32_e32 v56, v56, v74, vcc
	v_cndmask_b32_e32 v59, v59, v77, vcc
	v_cndmask_b32_e32 v58, v58, v76, vcc
	v_cndmask_b32_e32 v66, v66, v84, vcc
	s_cbranch_scc1 .LBB26_43
.LBB26_44:
	s_waitcnt lgkmcnt(0)
	v_cmp_eq_f64_e32 vcc, 0, v[56:57]
	v_cmp_eq_f64_e64 s[0:1], 0, v[58:59]
	s_and_b64 s[0:1], vcc, s[0:1]
	s_and_saveexec_b64 s[16:17], s[0:1]
	s_xor_b64 s[0:1], exec, s[16:17]
; %bb.45:
	v_cmp_ne_u32_e32 vcc, 0, v71
	s_nop 1
	v_cndmask_b32_e32 v71, 3, v71, vcc
; %bb.46:
	s_andn2_saveexec_b64 s[0:1], s[0:1]
	s_cbranch_execz .LBB26_52
; %bb.47:
	v_cmp_ngt_f64_e64 s[16:17], |v[56:57]|, |v[58:59]|
	s_and_saveexec_b64 s[18:19], s[16:17]
	s_xor_b64 s[16:17], exec, s[18:19]
	s_cbranch_execz .LBB26_49
; %bb.48:
	v_div_scale_f64 v[72:73], s[18:19], v[58:59], v[58:59], v[56:57]
	v_rcp_f64_e32 v[74:75], v[72:73]
	v_div_scale_f64 v[76:77], vcc, v[56:57], v[58:59], v[56:57]
	v_fma_f64 v[78:79], -v[72:73], v[74:75], 1.0
	v_fmac_f64_e32 v[74:75], v[74:75], v[78:79]
	v_fma_f64 v[78:79], -v[72:73], v[74:75], 1.0
	v_fmac_f64_e32 v[74:75], v[74:75], v[78:79]
	v_mul_f64 v[78:79], v[76:77], v[74:75]
	v_fma_f64 v[72:73], -v[72:73], v[78:79], v[76:77]
	v_div_fmas_f64 v[72:73], v[72:73], v[74:75], v[78:79]
	v_div_fixup_f64 v[72:73], v[72:73], v[58:59], v[56:57]
	v_fmac_f64_e32 v[58:59], v[56:57], v[72:73]
	v_div_scale_f64 v[56:57], s[18:19], v[58:59], v[58:59], 1.0
	v_rcp_f64_e32 v[74:75], v[56:57]
	s_nop 0
	v_fma_f64 v[76:77], -v[56:57], v[74:75], 1.0
	v_fmac_f64_e32 v[74:75], v[74:75], v[76:77]
	v_fma_f64 v[76:77], -v[56:57], v[74:75], 1.0
	v_fmac_f64_e32 v[74:75], v[74:75], v[76:77]
	v_div_scale_f64 v[76:77], vcc, 1.0, v[58:59], 1.0
	v_mul_f64 v[78:79], v[76:77], v[74:75]
	v_fma_f64 v[56:57], -v[56:57], v[78:79], v[76:77]
	s_nop 1
	v_div_fmas_f64 v[56:57], v[56:57], v[74:75], v[78:79]
	v_div_fixup_f64 v[58:59], v[56:57], v[58:59], 1.0
	v_mul_f64 v[56:57], v[72:73], v[58:59]
	v_xor_b32_e32 v59, 0x80000000, v59
.LBB26_49:
	s_andn2_saveexec_b64 s[16:17], s[16:17]
	s_cbranch_execz .LBB26_51
; %bb.50:
	v_div_scale_f64 v[72:73], s[18:19], v[56:57], v[56:57], v[58:59]
	v_rcp_f64_e32 v[74:75], v[72:73]
	v_div_scale_f64 v[76:77], vcc, v[58:59], v[56:57], v[58:59]
	v_fma_f64 v[78:79], -v[72:73], v[74:75], 1.0
	v_fmac_f64_e32 v[74:75], v[74:75], v[78:79]
	v_fma_f64 v[78:79], -v[72:73], v[74:75], 1.0
	v_fmac_f64_e32 v[74:75], v[74:75], v[78:79]
	v_mul_f64 v[78:79], v[76:77], v[74:75]
	v_fma_f64 v[72:73], -v[72:73], v[78:79], v[76:77]
	v_div_fmas_f64 v[72:73], v[72:73], v[74:75], v[78:79]
	v_div_fixup_f64 v[72:73], v[72:73], v[56:57], v[58:59]
	v_fmac_f64_e32 v[56:57], v[58:59], v[72:73]
	v_div_scale_f64 v[58:59], s[18:19], v[56:57], v[56:57], 1.0
	v_rcp_f64_e32 v[74:75], v[58:59]
	s_nop 0
	v_fma_f64 v[76:77], -v[58:59], v[74:75], 1.0
	v_fmac_f64_e32 v[74:75], v[74:75], v[76:77]
	v_fma_f64 v[76:77], -v[58:59], v[74:75], 1.0
	v_fmac_f64_e32 v[74:75], v[74:75], v[76:77]
	v_div_scale_f64 v[76:77], vcc, 1.0, v[56:57], 1.0
	v_mul_f64 v[78:79], v[76:77], v[74:75]
	v_fma_f64 v[58:59], -v[58:59], v[78:79], v[76:77]
	s_nop 1
	v_div_fmas_f64 v[58:59], v[58:59], v[74:75], v[78:79]
	v_div_fixup_f64 v[56:57], v[58:59], v[56:57], 1.0
	v_mul_f64 v[58:59], v[72:73], -v[56:57]
.LBB26_51:
	s_or_b64 exec, exec, s[16:17]
.LBB26_52:
	s_or_b64 exec, exec, s[0:1]
	v_cmp_ne_u32_e32 vcc, v67, v66
	s_and_saveexec_b64 s[0:1], vcc
	s_xor_b64 s[0:1], exec, s[0:1]
	s_cbranch_execz .LBB26_58
; %bb.53:
	v_cmp_eq_u32_e32 vcc, 2, v67
	s_and_saveexec_b64 s[16:17], vcc
	s_cbranch_execz .LBB26_57
; %bb.54:
	v_cmp_ne_u32_e32 vcc, 2, v66
	s_xor_b64 s[18:19], s[14:15], -1
	s_and_b64 s[22:23], s[18:19], vcc
	s_and_saveexec_b64 s[18:19], s[22:23]
	s_cbranch_execz .LBB26_56
; %bb.55:
	v_ashrrev_i32_e32 v67, 31, v66
	v_lshl_add_u64 v[72:73], v[66:67], 2, v[64:65]
	global_load_dword v67, v[72:73], off
	global_load_dword v70, v[64:65], off offset:8
	s_waitcnt vmcnt(1)
	global_store_dword v[64:65], v67, off offset:8
	s_waitcnt vmcnt(1)
	global_store_dword v[72:73], v70, off
.LBB26_56:
	s_or_b64 exec, exec, s[18:19]
	v_mov_b32_e32 v67, v66
	v_mov_b32_e32 v70, v66
.LBB26_57:
	s_or_b64 exec, exec, s[16:17]
.LBB26_58:
	s_andn2_saveexec_b64 s[0:1], s[0:1]
	s_cbranch_execz .LBB26_60
; %bb.59:
	v_mov_b32_e32 v67, 2
	ds_write2_b64 v68, v[32:33], v[34:35] offset0:6 offset1:7
	s_waitcnt vmcnt(9)
	ds_write2_b64 v68, v[36:37], v[38:39] offset0:8 offset1:9
	s_waitcnt vmcnt(8)
	;; [unrolled: 2-line block ×10, first 2 shown]
	ds_write2_b64 v68, v[52:53], v[54:55] offset0:26 offset1:27
.LBB26_60:
	s_or_b64 exec, exec, s[0:1]
	v_cmp_lt_i32_e32 vcc, 2, v67
	s_waitcnt lgkmcnt(0)
	s_barrier
	s_and_saveexec_b64 s[0:1], vcc
	s_cbranch_execz .LBB26_62
; %bb.61:
	ds_read2_b64 v[72:75], v68 offset0:6 offset1:7
	v_mul_f64 v[76:77], v[56:57], v[42:43]
	v_fmac_f64_e32 v[76:77], v[58:59], v[40:41]
	v_mul_f64 v[42:43], v[58:59], v[42:43]
	v_fma_f64 v[40:41], v[56:57], v[40:41], -v[42:43]
	ds_read2_b64 v[56:59], v68 offset0:8 offset1:9
	s_waitcnt lgkmcnt(1)
	v_mul_f64 v[42:43], v[74:75], v[76:77]
	v_fma_f64 v[42:43], v[72:73], v[40:41], -v[42:43]
	v_mul_f64 v[72:73], v[72:73], v[76:77]
	v_fmac_f64_e32 v[72:73], v[74:75], v[40:41]
	v_add_f64 v[34:35], v[34:35], -v[72:73]
	ds_read2_b64 v[72:75], v68 offset0:10 offset1:11
	v_add_f64 v[32:33], v[32:33], -v[42:43]
	s_waitcnt lgkmcnt(1)
	v_mul_f64 v[42:43], v[58:59], v[76:77]
	v_fma_f64 v[42:43], v[56:57], v[40:41], -v[42:43]
	v_mul_f64 v[56:57], v[56:57], v[76:77]
	v_fmac_f64_e32 v[56:57], v[58:59], v[40:41]
	s_waitcnt vmcnt(9)
	v_add_f64 v[36:37], v[36:37], -v[42:43]
	v_add_f64 v[38:39], v[38:39], -v[56:57]
	ds_read2_b64 v[56:59], v68 offset0:12 offset1:13
	s_waitcnt lgkmcnt(1)
	v_mul_f64 v[42:43], v[74:75], v[76:77]
	v_fma_f64 v[42:43], v[72:73], v[40:41], -v[42:43]
	v_mul_f64 v[72:73], v[72:73], v[76:77]
	v_fmac_f64_e32 v[72:73], v[74:75], v[40:41]
	s_waitcnt vmcnt(8)
	v_add_f64 v[30:31], v[30:31], -v[72:73]
	ds_read2_b64 v[72:75], v68 offset0:14 offset1:15
	v_add_f64 v[28:29], v[28:29], -v[42:43]
	s_waitcnt lgkmcnt(1)
	v_mul_f64 v[42:43], v[58:59], v[76:77]
	v_fma_f64 v[42:43], v[56:57], v[40:41], -v[42:43]
	v_mul_f64 v[56:57], v[56:57], v[76:77]
	v_fmac_f64_e32 v[56:57], v[58:59], v[40:41]
	s_waitcnt vmcnt(7)
	v_add_f64 v[24:25], v[24:25], -v[42:43]
	v_add_f64 v[26:27], v[26:27], -v[56:57]
	ds_read2_b64 v[56:59], v68 offset0:16 offset1:17
	s_waitcnt lgkmcnt(1)
	v_mul_f64 v[42:43], v[74:75], v[76:77]
	v_fma_f64 v[42:43], v[72:73], v[40:41], -v[42:43]
	v_mul_f64 v[72:73], v[72:73], v[76:77]
	v_fmac_f64_e32 v[72:73], v[74:75], v[40:41]
	s_waitcnt vmcnt(6)
	v_add_f64 v[22:23], v[22:23], -v[72:73]
	ds_read2_b64 v[72:75], v68 offset0:18 offset1:19
	v_add_f64 v[20:21], v[20:21], -v[42:43]
	s_waitcnt lgkmcnt(1)
	v_mul_f64 v[42:43], v[58:59], v[76:77]
	v_fma_f64 v[42:43], v[56:57], v[40:41], -v[42:43]
	v_mul_f64 v[56:57], v[56:57], v[76:77]
	v_fmac_f64_e32 v[56:57], v[58:59], v[40:41]
	s_waitcnt vmcnt(5)
	v_add_f64 v[16:17], v[16:17], -v[42:43]
	v_add_f64 v[18:19], v[18:19], -v[56:57]
	ds_read2_b64 v[56:59], v68 offset0:20 offset1:21
	s_waitcnt lgkmcnt(1)
	v_mul_f64 v[42:43], v[74:75], v[76:77]
	v_fma_f64 v[42:43], v[72:73], v[40:41], -v[42:43]
	v_mul_f64 v[72:73], v[72:73], v[76:77]
	v_fmac_f64_e32 v[72:73], v[74:75], v[40:41]
	s_waitcnt vmcnt(4)
	v_add_f64 v[10:11], v[10:11], -v[72:73]
	ds_read2_b64 v[72:75], v68 offset0:22 offset1:23
	v_add_f64 v[8:9], v[8:9], -v[42:43]
	s_waitcnt lgkmcnt(1)
	v_mul_f64 v[42:43], v[58:59], v[76:77]
	v_fma_f64 v[42:43], v[56:57], v[40:41], -v[42:43]
	v_mul_f64 v[56:57], v[56:57], v[76:77]
	v_fmac_f64_e32 v[56:57], v[58:59], v[40:41]
	s_waitcnt vmcnt(3)
	v_add_f64 v[12:13], v[12:13], -v[42:43]
	v_add_f64 v[14:15], v[14:15], -v[56:57]
	ds_read2_b64 v[56:59], v68 offset0:24 offset1:25
	s_waitcnt lgkmcnt(1)
	v_mul_f64 v[42:43], v[74:75], v[76:77]
	v_fma_f64 v[42:43], v[72:73], v[40:41], -v[42:43]
	v_mul_f64 v[72:73], v[72:73], v[76:77]
	v_fmac_f64_e32 v[72:73], v[74:75], v[40:41]
	s_waitcnt vmcnt(2)
	v_add_f64 v[6:7], v[6:7], -v[72:73]
	ds_read2_b64 v[72:75], v68 offset0:26 offset1:27
	v_add_f64 v[4:5], v[4:5], -v[42:43]
	s_waitcnt lgkmcnt(1)
	v_mul_f64 v[42:43], v[58:59], v[76:77]
	v_fma_f64 v[42:43], v[56:57], v[40:41], -v[42:43]
	v_mul_f64 v[56:57], v[56:57], v[76:77]
	v_fmac_f64_e32 v[56:57], v[58:59], v[40:41]
	s_waitcnt vmcnt(1)
	v_add_f64 v[0:1], v[0:1], -v[42:43]
	v_add_f64 v[2:3], v[2:3], -v[56:57]
	s_waitcnt lgkmcnt(0)
	v_mul_f64 v[42:43], v[74:75], v[76:77]
	v_mul_f64 v[56:57], v[72:73], v[76:77]
	v_fma_f64 v[42:43], v[72:73], v[40:41], -v[42:43]
	v_fmac_f64_e32 v[56:57], v[74:75], v[40:41]
	s_waitcnt vmcnt(0)
	v_add_f64 v[52:53], v[52:53], -v[42:43]
	v_add_f64 v[54:55], v[54:55], -v[56:57]
	v_mov_b64_e32 v[42:43], v[76:77]
.LBB26_62:
	s_or_b64 exec, exec, s[0:1]
	v_lshl_add_u32 v56, v67, 4, v68
	s_barrier
	ds_write2_b64 v56, v[32:33], v[34:35] offset1:1
	s_waitcnt lgkmcnt(0)
	s_barrier
	ds_read2_b64 v[56:59], v68 offset0:6 offset1:7
	s_mov_b32 s16, 4
	s_cmp_lt_i32 s20, 5
	v_mov_b32_e32 v66, 3
	s_cbranch_scc1 .LBB26_65
; %bb.63:
	v_add3_u32 v69, v69, 0, 64
	v_mov_b32_e32 v66, 3
.LBB26_64:                              ; =>This Inner Loop Header: Depth=1
	ds_read2_b64 v[72:75], v69 offset1:1
	s_waitcnt lgkmcnt(1)
	v_xor_b32_e32 v77, 0x80000000, v57
	v_xor_b32_e32 v79, 0x80000000, v59
	v_cmp_gt_f64_e32 vcc, 0, v[58:59]
	v_cmp_gt_f64_e64 s[0:1], 0, v[56:57]
	v_mov_b32_e32 v76, v56
	v_mov_b32_e32 v78, v58
	v_cndmask_b32_e64 v77, v57, v77, s[0:1]
	v_cndmask_b32_e32 v79, v59, v79, vcc
	v_add_f64 v[76:77], v[76:77], v[78:79]
	s_waitcnt lgkmcnt(0)
	v_xor_b32_e32 v79, 0x80000000, v73
	v_xor_b32_e32 v81, 0x80000000, v75
	v_cmp_gt_f64_e32 vcc, 0, v[74:75]
	v_cmp_gt_f64_e64 s[0:1], 0, v[72:73]
	v_mov_b32_e32 v78, v72
	v_mov_b32_e32 v80, v74
	v_cndmask_b32_e64 v79, v73, v79, s[0:1]
	v_cndmask_b32_e32 v81, v75, v81, vcc
	v_add_f64 v[78:79], v[78:79], v[80:81]
	v_mov_b32_e32 v82, s16
	s_add_i32 s16, s16, 1
	v_cmp_lt_f64_e32 vcc, v[76:77], v[78:79]
	v_add_u32_e32 v69, 16, v69
	s_cmp_lg_u32 s20, s16
	v_cndmask_b32_e32 v57, v57, v73, vcc
	v_cndmask_b32_e32 v56, v56, v72, vcc
	;; [unrolled: 1-line block ×5, first 2 shown]
	s_cbranch_scc1 .LBB26_64
.LBB26_65:
	s_waitcnt lgkmcnt(0)
	v_cmp_eq_f64_e32 vcc, 0, v[56:57]
	v_cmp_eq_f64_e64 s[0:1], 0, v[58:59]
	s_and_b64 s[0:1], vcc, s[0:1]
	s_and_saveexec_b64 s[16:17], s[0:1]
	s_xor_b64 s[0:1], exec, s[16:17]
; %bb.66:
	v_cmp_ne_u32_e32 vcc, 0, v71
	s_nop 1
	v_cndmask_b32_e32 v71, 4, v71, vcc
; %bb.67:
	s_andn2_saveexec_b64 s[0:1], s[0:1]
	s_cbranch_execz .LBB26_73
; %bb.68:
	v_cmp_ngt_f64_e64 s[16:17], |v[56:57]|, |v[58:59]|
	s_and_saveexec_b64 s[18:19], s[16:17]
	s_xor_b64 s[16:17], exec, s[18:19]
	s_cbranch_execz .LBB26_70
; %bb.69:
	v_div_scale_f64 v[72:73], s[18:19], v[58:59], v[58:59], v[56:57]
	v_rcp_f64_e32 v[74:75], v[72:73]
	v_div_scale_f64 v[76:77], vcc, v[56:57], v[58:59], v[56:57]
	v_fma_f64 v[78:79], -v[72:73], v[74:75], 1.0
	v_fmac_f64_e32 v[74:75], v[74:75], v[78:79]
	v_fma_f64 v[78:79], -v[72:73], v[74:75], 1.0
	v_fmac_f64_e32 v[74:75], v[74:75], v[78:79]
	v_mul_f64 v[78:79], v[76:77], v[74:75]
	v_fma_f64 v[72:73], -v[72:73], v[78:79], v[76:77]
	v_div_fmas_f64 v[72:73], v[72:73], v[74:75], v[78:79]
	v_div_fixup_f64 v[72:73], v[72:73], v[58:59], v[56:57]
	v_fmac_f64_e32 v[58:59], v[56:57], v[72:73]
	v_div_scale_f64 v[56:57], s[18:19], v[58:59], v[58:59], 1.0
	v_rcp_f64_e32 v[74:75], v[56:57]
	s_nop 0
	v_fma_f64 v[76:77], -v[56:57], v[74:75], 1.0
	v_fmac_f64_e32 v[74:75], v[74:75], v[76:77]
	v_fma_f64 v[76:77], -v[56:57], v[74:75], 1.0
	v_fmac_f64_e32 v[74:75], v[74:75], v[76:77]
	v_div_scale_f64 v[76:77], vcc, 1.0, v[58:59], 1.0
	v_mul_f64 v[78:79], v[76:77], v[74:75]
	v_fma_f64 v[56:57], -v[56:57], v[78:79], v[76:77]
	s_nop 1
	v_div_fmas_f64 v[56:57], v[56:57], v[74:75], v[78:79]
	v_div_fixup_f64 v[58:59], v[56:57], v[58:59], 1.0
	v_mul_f64 v[56:57], v[72:73], v[58:59]
	v_xor_b32_e32 v59, 0x80000000, v59
.LBB26_70:
	s_andn2_saveexec_b64 s[16:17], s[16:17]
	s_cbranch_execz .LBB26_72
; %bb.71:
	v_div_scale_f64 v[72:73], s[18:19], v[56:57], v[56:57], v[58:59]
	v_rcp_f64_e32 v[74:75], v[72:73]
	v_div_scale_f64 v[76:77], vcc, v[58:59], v[56:57], v[58:59]
	v_fma_f64 v[78:79], -v[72:73], v[74:75], 1.0
	v_fmac_f64_e32 v[74:75], v[74:75], v[78:79]
	v_fma_f64 v[78:79], -v[72:73], v[74:75], 1.0
	v_fmac_f64_e32 v[74:75], v[74:75], v[78:79]
	v_mul_f64 v[78:79], v[76:77], v[74:75]
	v_fma_f64 v[72:73], -v[72:73], v[78:79], v[76:77]
	v_div_fmas_f64 v[72:73], v[72:73], v[74:75], v[78:79]
	v_div_fixup_f64 v[72:73], v[72:73], v[56:57], v[58:59]
	v_fmac_f64_e32 v[56:57], v[58:59], v[72:73]
	v_div_scale_f64 v[58:59], s[18:19], v[56:57], v[56:57], 1.0
	v_rcp_f64_e32 v[74:75], v[58:59]
	s_nop 0
	v_fma_f64 v[76:77], -v[58:59], v[74:75], 1.0
	v_fmac_f64_e32 v[74:75], v[74:75], v[76:77]
	v_fma_f64 v[76:77], -v[58:59], v[74:75], 1.0
	v_fmac_f64_e32 v[74:75], v[74:75], v[76:77]
	v_div_scale_f64 v[76:77], vcc, 1.0, v[56:57], 1.0
	v_mul_f64 v[78:79], v[76:77], v[74:75]
	v_fma_f64 v[58:59], -v[58:59], v[78:79], v[76:77]
	s_nop 1
	v_div_fmas_f64 v[58:59], v[58:59], v[74:75], v[78:79]
	v_div_fixup_f64 v[56:57], v[58:59], v[56:57], 1.0
	v_mul_f64 v[58:59], v[72:73], -v[56:57]
.LBB26_72:
	s_or_b64 exec, exec, s[16:17]
.LBB26_73:
	s_or_b64 exec, exec, s[0:1]
	v_cmp_ne_u32_e32 vcc, v67, v66
	s_and_saveexec_b64 s[0:1], vcc
	s_xor_b64 s[0:1], exec, s[0:1]
	s_cbranch_execz .LBB26_79
; %bb.74:
	v_cmp_eq_u32_e32 vcc, 3, v67
	s_and_saveexec_b64 s[16:17], vcc
	s_cbranch_execz .LBB26_78
; %bb.75:
	v_cmp_ne_u32_e32 vcc, 3, v66
	s_xor_b64 s[18:19], s[14:15], -1
	s_and_b64 s[22:23], s[18:19], vcc
	s_and_saveexec_b64 s[18:19], s[22:23]
	s_cbranch_execz .LBB26_77
; %bb.76:
	v_ashrrev_i32_e32 v67, 31, v66
	v_lshl_add_u64 v[72:73], v[66:67], 2, v[64:65]
	global_load_dword v67, v[72:73], off
	global_load_dword v69, v[64:65], off offset:12
	s_waitcnt vmcnt(1)
	global_store_dword v[64:65], v67, off offset:12
	s_waitcnt vmcnt(1)
	global_store_dword v[72:73], v69, off
.LBB26_77:
	s_or_b64 exec, exec, s[18:19]
	v_mov_b32_e32 v67, v66
	v_mov_b32_e32 v70, v66
.LBB26_78:
	s_or_b64 exec, exec, s[16:17]
.LBB26_79:
	s_andn2_saveexec_b64 s[0:1], s[0:1]
	s_cbranch_execz .LBB26_81
; %bb.80:
	v_mov_b32_e32 v67, 3
	s_waitcnt vmcnt(9)
	ds_write2_b64 v68, v[36:37], v[38:39] offset0:8 offset1:9
	s_waitcnt vmcnt(8)
	ds_write2_b64 v68, v[28:29], v[30:31] offset0:10 offset1:11
	;; [unrolled: 2-line block ×10, first 2 shown]
.LBB26_81:
	s_or_b64 exec, exec, s[0:1]
	v_cmp_lt_i32_e32 vcc, 3, v67
	s_waitcnt lgkmcnt(0)
	s_barrier
	s_and_saveexec_b64 s[0:1], vcc
	s_cbranch_execz .LBB26_83
; %bb.82:
	ds_read2_b64 v[72:75], v68 offset0:8 offset1:9
	v_mul_f64 v[76:77], v[56:57], v[34:35]
	v_mul_f64 v[34:35], v[58:59], v[34:35]
	v_fmac_f64_e32 v[76:77], v[58:59], v[32:33]
	v_fma_f64 v[32:33], v[56:57], v[32:33], -v[34:35]
	ds_read2_b64 v[56:59], v68 offset0:10 offset1:11
	s_waitcnt lgkmcnt(1)
	v_mul_f64 v[34:35], v[74:75], v[76:77]
	v_fma_f64 v[34:35], v[72:73], v[32:33], -v[34:35]
	v_mul_f64 v[72:73], v[72:73], v[76:77]
	v_fmac_f64_e32 v[72:73], v[74:75], v[32:33]
	s_waitcnt vmcnt(9)
	v_add_f64 v[36:37], v[36:37], -v[34:35]
	s_waitcnt lgkmcnt(0)
	v_mul_f64 v[34:35], v[58:59], v[76:77]
	v_add_f64 v[38:39], v[38:39], -v[72:73]
	v_fma_f64 v[34:35], v[56:57], v[32:33], -v[34:35]
	v_mul_f64 v[56:57], v[56:57], v[76:77]
	ds_read2_b64 v[72:75], v68 offset0:12 offset1:13
	v_fmac_f64_e32 v[56:57], v[58:59], v[32:33]
	s_waitcnt vmcnt(8)
	v_add_f64 v[30:31], v[30:31], -v[56:57]
	ds_read2_b64 v[56:59], v68 offset0:14 offset1:15
	v_add_f64 v[28:29], v[28:29], -v[34:35]
	s_waitcnt lgkmcnt(1)
	v_mul_f64 v[34:35], v[74:75], v[76:77]
	v_fma_f64 v[34:35], v[72:73], v[32:33], -v[34:35]
	v_mul_f64 v[72:73], v[72:73], v[76:77]
	v_fmac_f64_e32 v[72:73], v[74:75], v[32:33]
	s_waitcnt vmcnt(7)
	v_add_f64 v[24:25], v[24:25], -v[34:35]
	s_waitcnt lgkmcnt(0)
	v_mul_f64 v[34:35], v[58:59], v[76:77]
	v_add_f64 v[26:27], v[26:27], -v[72:73]
	v_fma_f64 v[34:35], v[56:57], v[32:33], -v[34:35]
	v_mul_f64 v[56:57], v[56:57], v[76:77]
	ds_read2_b64 v[72:75], v68 offset0:16 offset1:17
	v_fmac_f64_e32 v[56:57], v[58:59], v[32:33]
	s_waitcnt vmcnt(6)
	v_add_f64 v[22:23], v[22:23], -v[56:57]
	ds_read2_b64 v[56:59], v68 offset0:18 offset1:19
	v_add_f64 v[20:21], v[20:21], -v[34:35]
	;; [unrolled: 18-line block ×4, first 2 shown]
	s_waitcnt lgkmcnt(1)
	v_mul_f64 v[34:35], v[74:75], v[76:77]
	v_fma_f64 v[34:35], v[72:73], v[32:33], -v[34:35]
	s_waitcnt vmcnt(1)
	v_add_f64 v[0:1], v[0:1], -v[34:35]
	s_waitcnt lgkmcnt(0)
	v_mul_f64 v[34:35], v[58:59], v[76:77]
	v_mul_f64 v[72:73], v[72:73], v[76:77]
	v_fma_f64 v[34:35], v[56:57], v[32:33], -v[34:35]
	v_mul_f64 v[56:57], v[56:57], v[76:77]
	v_fmac_f64_e32 v[72:73], v[74:75], v[32:33]
	v_fmac_f64_e32 v[56:57], v[58:59], v[32:33]
	v_add_f64 v[2:3], v[2:3], -v[72:73]
	s_waitcnt vmcnt(0)
	v_add_f64 v[52:53], v[52:53], -v[34:35]
	v_add_f64 v[54:55], v[54:55], -v[56:57]
	v_mov_b64_e32 v[34:35], v[76:77]
.LBB26_83:
	s_or_b64 exec, exec, s[0:1]
	v_lshl_add_u32 v56, v67, 4, v68
	s_barrier
	s_waitcnt vmcnt(9)
	ds_write2_b64 v56, v[36:37], v[38:39] offset1:1
	s_waitcnt lgkmcnt(0)
	s_barrier
	ds_read2_b64 v[56:59], v68 offset0:8 offset1:9
	s_cmp_lt_i32 s20, 6
	v_mov_b32_e32 v66, 4
	s_cbranch_scc1 .LBB26_86
; %bb.84:
	v_mov_b32_e32 v66, 4
	v_add_u32_e32 v69, 0x50, v68
	s_mov_b32 s16, 5
.LBB26_85:                              ; =>This Inner Loop Header: Depth=1
	ds_read2_b64 v[72:75], v69 offset1:1
	s_waitcnt lgkmcnt(1)
	v_xor_b32_e32 v77, 0x80000000, v57
	v_xor_b32_e32 v79, 0x80000000, v59
	v_cmp_gt_f64_e32 vcc, 0, v[58:59]
	v_cmp_gt_f64_e64 s[0:1], 0, v[56:57]
	v_mov_b32_e32 v76, v56
	v_mov_b32_e32 v78, v58
	v_cndmask_b32_e64 v77, v57, v77, s[0:1]
	v_cndmask_b32_e32 v79, v59, v79, vcc
	v_add_f64 v[76:77], v[76:77], v[78:79]
	s_waitcnt lgkmcnt(0)
	v_xor_b32_e32 v79, 0x80000000, v73
	v_xor_b32_e32 v81, 0x80000000, v75
	v_cmp_gt_f64_e32 vcc, 0, v[74:75]
	v_cmp_gt_f64_e64 s[0:1], 0, v[72:73]
	v_mov_b32_e32 v78, v72
	v_mov_b32_e32 v80, v74
	v_cndmask_b32_e64 v79, v73, v79, s[0:1]
	v_cndmask_b32_e32 v81, v75, v81, vcc
	v_add_f64 v[78:79], v[78:79], v[80:81]
	v_mov_b32_e32 v82, s16
	s_add_i32 s16, s16, 1
	v_cmp_lt_f64_e32 vcc, v[76:77], v[78:79]
	v_add_u32_e32 v69, 16, v69
	s_cmp_lg_u32 s20, s16
	v_cndmask_b32_e32 v57, v57, v73, vcc
	v_cndmask_b32_e32 v56, v56, v72, vcc
	;; [unrolled: 1-line block ×5, first 2 shown]
	s_cbranch_scc1 .LBB26_85
.LBB26_86:
	s_waitcnt lgkmcnt(0)
	v_cmp_eq_f64_e32 vcc, 0, v[56:57]
	v_cmp_eq_f64_e64 s[0:1], 0, v[58:59]
	s_and_b64 s[0:1], vcc, s[0:1]
	s_and_saveexec_b64 s[16:17], s[0:1]
	s_xor_b64 s[0:1], exec, s[16:17]
; %bb.87:
	v_cmp_ne_u32_e32 vcc, 0, v71
	s_nop 1
	v_cndmask_b32_e32 v71, 5, v71, vcc
; %bb.88:
	s_andn2_saveexec_b64 s[0:1], s[0:1]
	s_cbranch_execz .LBB26_94
; %bb.89:
	v_cmp_ngt_f64_e64 s[16:17], |v[56:57]|, |v[58:59]|
	s_and_saveexec_b64 s[18:19], s[16:17]
	s_xor_b64 s[16:17], exec, s[18:19]
	s_cbranch_execz .LBB26_91
; %bb.90:
	v_div_scale_f64 v[72:73], s[18:19], v[58:59], v[58:59], v[56:57]
	v_rcp_f64_e32 v[74:75], v[72:73]
	v_div_scale_f64 v[76:77], vcc, v[56:57], v[58:59], v[56:57]
	v_fma_f64 v[78:79], -v[72:73], v[74:75], 1.0
	v_fmac_f64_e32 v[74:75], v[74:75], v[78:79]
	v_fma_f64 v[78:79], -v[72:73], v[74:75], 1.0
	v_fmac_f64_e32 v[74:75], v[74:75], v[78:79]
	v_mul_f64 v[78:79], v[76:77], v[74:75]
	v_fma_f64 v[72:73], -v[72:73], v[78:79], v[76:77]
	v_div_fmas_f64 v[72:73], v[72:73], v[74:75], v[78:79]
	v_div_fixup_f64 v[72:73], v[72:73], v[58:59], v[56:57]
	v_fmac_f64_e32 v[58:59], v[56:57], v[72:73]
	v_div_scale_f64 v[56:57], s[18:19], v[58:59], v[58:59], 1.0
	v_rcp_f64_e32 v[74:75], v[56:57]
	s_nop 0
	v_fma_f64 v[76:77], -v[56:57], v[74:75], 1.0
	v_fmac_f64_e32 v[74:75], v[74:75], v[76:77]
	v_fma_f64 v[76:77], -v[56:57], v[74:75], 1.0
	v_fmac_f64_e32 v[74:75], v[74:75], v[76:77]
	v_div_scale_f64 v[76:77], vcc, 1.0, v[58:59], 1.0
	v_mul_f64 v[78:79], v[76:77], v[74:75]
	v_fma_f64 v[56:57], -v[56:57], v[78:79], v[76:77]
	s_nop 1
	v_div_fmas_f64 v[56:57], v[56:57], v[74:75], v[78:79]
	v_div_fixup_f64 v[58:59], v[56:57], v[58:59], 1.0
	v_mul_f64 v[56:57], v[72:73], v[58:59]
	v_xor_b32_e32 v59, 0x80000000, v59
.LBB26_91:
	s_andn2_saveexec_b64 s[16:17], s[16:17]
	s_cbranch_execz .LBB26_93
; %bb.92:
	v_div_scale_f64 v[72:73], s[18:19], v[56:57], v[56:57], v[58:59]
	v_rcp_f64_e32 v[74:75], v[72:73]
	v_div_scale_f64 v[76:77], vcc, v[58:59], v[56:57], v[58:59]
	v_fma_f64 v[78:79], -v[72:73], v[74:75], 1.0
	v_fmac_f64_e32 v[74:75], v[74:75], v[78:79]
	v_fma_f64 v[78:79], -v[72:73], v[74:75], 1.0
	v_fmac_f64_e32 v[74:75], v[74:75], v[78:79]
	v_mul_f64 v[78:79], v[76:77], v[74:75]
	v_fma_f64 v[72:73], -v[72:73], v[78:79], v[76:77]
	v_div_fmas_f64 v[72:73], v[72:73], v[74:75], v[78:79]
	v_div_fixup_f64 v[72:73], v[72:73], v[56:57], v[58:59]
	v_fmac_f64_e32 v[56:57], v[58:59], v[72:73]
	v_div_scale_f64 v[58:59], s[18:19], v[56:57], v[56:57], 1.0
	v_rcp_f64_e32 v[74:75], v[58:59]
	s_nop 0
	v_fma_f64 v[76:77], -v[58:59], v[74:75], 1.0
	v_fmac_f64_e32 v[74:75], v[74:75], v[76:77]
	v_fma_f64 v[76:77], -v[58:59], v[74:75], 1.0
	v_fmac_f64_e32 v[74:75], v[74:75], v[76:77]
	v_div_scale_f64 v[76:77], vcc, 1.0, v[56:57], 1.0
	v_mul_f64 v[78:79], v[76:77], v[74:75]
	v_fma_f64 v[58:59], -v[58:59], v[78:79], v[76:77]
	s_nop 1
	v_div_fmas_f64 v[58:59], v[58:59], v[74:75], v[78:79]
	v_div_fixup_f64 v[56:57], v[58:59], v[56:57], 1.0
	v_mul_f64 v[58:59], v[72:73], -v[56:57]
.LBB26_93:
	s_or_b64 exec, exec, s[16:17]
.LBB26_94:
	s_or_b64 exec, exec, s[0:1]
	v_cmp_ne_u32_e32 vcc, v67, v66
	s_and_saveexec_b64 s[0:1], vcc
	s_xor_b64 s[0:1], exec, s[0:1]
	s_cbranch_execz .LBB26_100
; %bb.95:
	v_cmp_eq_u32_e32 vcc, 4, v67
	s_and_saveexec_b64 s[16:17], vcc
	s_cbranch_execz .LBB26_99
; %bb.96:
	v_cmp_ne_u32_e32 vcc, 4, v66
	s_xor_b64 s[18:19], s[14:15], -1
	s_and_b64 s[22:23], s[18:19], vcc
	s_and_saveexec_b64 s[18:19], s[22:23]
	s_cbranch_execz .LBB26_98
; %bb.97:
	v_ashrrev_i32_e32 v67, 31, v66
	v_lshl_add_u64 v[72:73], v[66:67], 2, v[64:65]
	global_load_dword v67, v[72:73], off
	global_load_dword v69, v[64:65], off offset:16
	s_waitcnt vmcnt(1)
	global_store_dword v[64:65], v67, off offset:16
	s_waitcnt vmcnt(1)
	global_store_dword v[72:73], v69, off
.LBB26_98:
	s_or_b64 exec, exec, s[18:19]
	v_mov_b32_e32 v67, v66
	v_mov_b32_e32 v70, v66
.LBB26_99:
	s_or_b64 exec, exec, s[16:17]
.LBB26_100:
	s_andn2_saveexec_b64 s[0:1], s[0:1]
	s_cbranch_execz .LBB26_102
; %bb.101:
	v_mov_b32_e32 v67, 4
	s_waitcnt vmcnt(8)
	ds_write2_b64 v68, v[28:29], v[30:31] offset0:10 offset1:11
	s_waitcnt vmcnt(7)
	ds_write2_b64 v68, v[24:25], v[26:27] offset0:12 offset1:13
	s_waitcnt vmcnt(6)
	ds_write2_b64 v68, v[20:21], v[22:23] offset0:14 offset1:15
	s_waitcnt vmcnt(5)
	ds_write2_b64 v68, v[16:17], v[18:19] offset0:16 offset1:17
	s_waitcnt vmcnt(4)
	ds_write2_b64 v68, v[8:9], v[10:11] offset0:18 offset1:19
	s_waitcnt vmcnt(3)
	ds_write2_b64 v68, v[12:13], v[14:15] offset0:20 offset1:21
	s_waitcnt vmcnt(2)
	ds_write2_b64 v68, v[4:5], v[6:7] offset0:22 offset1:23
	s_waitcnt vmcnt(1)
	ds_write2_b64 v68, v[0:1], v[2:3] offset0:24 offset1:25
	s_waitcnt vmcnt(0)
	ds_write2_b64 v68, v[52:53], v[54:55] offset0:26 offset1:27
.LBB26_102:
	s_or_b64 exec, exec, s[0:1]
	v_cmp_lt_i32_e32 vcc, 4, v67
	s_waitcnt lgkmcnt(0)
	s_barrier
	s_and_saveexec_b64 s[0:1], vcc
	s_cbranch_execz .LBB26_104
; %bb.103:
	ds_read2_b64 v[72:75], v68 offset0:10 offset1:11
	v_mul_f64 v[76:77], v[56:57], v[38:39]
	v_fmac_f64_e32 v[76:77], v[58:59], v[36:37]
	v_mul_f64 v[38:39], v[58:59], v[38:39]
	v_fma_f64 v[36:37], v[56:57], v[36:37], -v[38:39]
	ds_read2_b64 v[56:59], v68 offset0:12 offset1:13
	s_waitcnt lgkmcnt(1)
	v_mul_f64 v[38:39], v[74:75], v[76:77]
	v_fma_f64 v[38:39], v[72:73], v[36:37], -v[38:39]
	v_mul_f64 v[72:73], v[72:73], v[76:77]
	v_fmac_f64_e32 v[72:73], v[74:75], v[36:37]
	s_waitcnt vmcnt(8)
	v_add_f64 v[30:31], v[30:31], -v[72:73]
	ds_read2_b64 v[72:75], v68 offset0:14 offset1:15
	v_add_f64 v[28:29], v[28:29], -v[38:39]
	s_waitcnt lgkmcnt(1)
	v_mul_f64 v[38:39], v[58:59], v[76:77]
	v_fma_f64 v[38:39], v[56:57], v[36:37], -v[38:39]
	v_mul_f64 v[56:57], v[56:57], v[76:77]
	v_fmac_f64_e32 v[56:57], v[58:59], v[36:37]
	s_waitcnt vmcnt(7)
	v_add_f64 v[24:25], v[24:25], -v[38:39]
	v_add_f64 v[26:27], v[26:27], -v[56:57]
	ds_read2_b64 v[56:59], v68 offset0:16 offset1:17
	s_waitcnt lgkmcnt(1)
	v_mul_f64 v[38:39], v[74:75], v[76:77]
	v_fma_f64 v[38:39], v[72:73], v[36:37], -v[38:39]
	v_mul_f64 v[72:73], v[72:73], v[76:77]
	v_fmac_f64_e32 v[72:73], v[74:75], v[36:37]
	s_waitcnt vmcnt(6)
	v_add_f64 v[22:23], v[22:23], -v[72:73]
	ds_read2_b64 v[72:75], v68 offset0:18 offset1:19
	v_add_f64 v[20:21], v[20:21], -v[38:39]
	s_waitcnt lgkmcnt(1)
	v_mul_f64 v[38:39], v[58:59], v[76:77]
	v_fma_f64 v[38:39], v[56:57], v[36:37], -v[38:39]
	v_mul_f64 v[56:57], v[56:57], v[76:77]
	v_fmac_f64_e32 v[56:57], v[58:59], v[36:37]
	s_waitcnt vmcnt(5)
	v_add_f64 v[16:17], v[16:17], -v[38:39]
	v_add_f64 v[18:19], v[18:19], -v[56:57]
	;; [unrolled: 18-line block ×4, first 2 shown]
	s_waitcnt lgkmcnt(0)
	v_mul_f64 v[38:39], v[74:75], v[76:77]
	v_mul_f64 v[56:57], v[72:73], v[76:77]
	v_fma_f64 v[38:39], v[72:73], v[36:37], -v[38:39]
	v_fmac_f64_e32 v[56:57], v[74:75], v[36:37]
	s_waitcnt vmcnt(0)
	v_add_f64 v[52:53], v[52:53], -v[38:39]
	v_add_f64 v[54:55], v[54:55], -v[56:57]
	v_mov_b64_e32 v[38:39], v[76:77]
.LBB26_104:
	s_or_b64 exec, exec, s[0:1]
	v_lshl_add_u32 v56, v67, 4, v68
	s_barrier
	s_waitcnt vmcnt(8)
	ds_write2_b64 v56, v[28:29], v[30:31] offset1:1
	s_waitcnt lgkmcnt(0)
	s_barrier
	ds_read2_b64 v[56:59], v68 offset0:10 offset1:11
	s_cmp_lt_i32 s20, 7
	v_mov_b32_e32 v66, 5
	s_cbranch_scc1 .LBB26_107
; %bb.105:
	v_add_u32_e32 v69, 0x60, v68
	s_mov_b32 s16, 6
	v_mov_b32_e32 v66, 5
.LBB26_106:                             ; =>This Inner Loop Header: Depth=1
	ds_read2_b64 v[72:75], v69 offset1:1
	s_waitcnt lgkmcnt(1)
	v_xor_b32_e32 v77, 0x80000000, v57
	v_xor_b32_e32 v79, 0x80000000, v59
	v_cmp_gt_f64_e32 vcc, 0, v[58:59]
	v_cmp_gt_f64_e64 s[0:1], 0, v[56:57]
	v_mov_b32_e32 v76, v56
	v_mov_b32_e32 v78, v58
	v_cndmask_b32_e64 v77, v57, v77, s[0:1]
	v_cndmask_b32_e32 v79, v59, v79, vcc
	v_add_f64 v[76:77], v[76:77], v[78:79]
	s_waitcnt lgkmcnt(0)
	v_xor_b32_e32 v79, 0x80000000, v73
	v_xor_b32_e32 v81, 0x80000000, v75
	v_cmp_gt_f64_e32 vcc, 0, v[74:75]
	v_cmp_gt_f64_e64 s[0:1], 0, v[72:73]
	v_mov_b32_e32 v78, v72
	v_mov_b32_e32 v80, v74
	v_cndmask_b32_e64 v79, v73, v79, s[0:1]
	v_cndmask_b32_e32 v81, v75, v81, vcc
	v_add_f64 v[78:79], v[78:79], v[80:81]
	v_mov_b32_e32 v82, s16
	s_add_i32 s16, s16, 1
	v_cmp_lt_f64_e32 vcc, v[76:77], v[78:79]
	v_add_u32_e32 v69, 16, v69
	s_cmp_lg_u32 s20, s16
	v_cndmask_b32_e32 v57, v57, v73, vcc
	v_cndmask_b32_e32 v56, v56, v72, vcc
	v_cndmask_b32_e32 v59, v59, v75, vcc
	v_cndmask_b32_e32 v58, v58, v74, vcc
	v_cndmask_b32_e32 v66, v66, v82, vcc
	s_cbranch_scc1 .LBB26_106
.LBB26_107:
	s_waitcnt lgkmcnt(0)
	v_cmp_eq_f64_e32 vcc, 0, v[56:57]
	v_cmp_eq_f64_e64 s[0:1], 0, v[58:59]
	s_and_b64 s[0:1], vcc, s[0:1]
	s_and_saveexec_b64 s[16:17], s[0:1]
	s_xor_b64 s[0:1], exec, s[16:17]
; %bb.108:
	v_cmp_ne_u32_e32 vcc, 0, v71
	s_nop 1
	v_cndmask_b32_e32 v71, 6, v71, vcc
; %bb.109:
	s_andn2_saveexec_b64 s[0:1], s[0:1]
	s_cbranch_execz .LBB26_115
; %bb.110:
	v_cmp_ngt_f64_e64 s[16:17], |v[56:57]|, |v[58:59]|
	s_and_saveexec_b64 s[18:19], s[16:17]
	s_xor_b64 s[16:17], exec, s[18:19]
	s_cbranch_execz .LBB26_112
; %bb.111:
	v_div_scale_f64 v[72:73], s[18:19], v[58:59], v[58:59], v[56:57]
	v_rcp_f64_e32 v[74:75], v[72:73]
	v_div_scale_f64 v[76:77], vcc, v[56:57], v[58:59], v[56:57]
	v_fma_f64 v[78:79], -v[72:73], v[74:75], 1.0
	v_fmac_f64_e32 v[74:75], v[74:75], v[78:79]
	v_fma_f64 v[78:79], -v[72:73], v[74:75], 1.0
	v_fmac_f64_e32 v[74:75], v[74:75], v[78:79]
	v_mul_f64 v[78:79], v[76:77], v[74:75]
	v_fma_f64 v[72:73], -v[72:73], v[78:79], v[76:77]
	v_div_fmas_f64 v[72:73], v[72:73], v[74:75], v[78:79]
	v_div_fixup_f64 v[72:73], v[72:73], v[58:59], v[56:57]
	v_fmac_f64_e32 v[58:59], v[56:57], v[72:73]
	v_div_scale_f64 v[56:57], s[18:19], v[58:59], v[58:59], 1.0
	v_rcp_f64_e32 v[74:75], v[56:57]
	s_nop 0
	v_fma_f64 v[76:77], -v[56:57], v[74:75], 1.0
	v_fmac_f64_e32 v[74:75], v[74:75], v[76:77]
	v_fma_f64 v[76:77], -v[56:57], v[74:75], 1.0
	v_fmac_f64_e32 v[74:75], v[74:75], v[76:77]
	v_div_scale_f64 v[76:77], vcc, 1.0, v[58:59], 1.0
	v_mul_f64 v[78:79], v[76:77], v[74:75]
	v_fma_f64 v[56:57], -v[56:57], v[78:79], v[76:77]
	s_nop 1
	v_div_fmas_f64 v[56:57], v[56:57], v[74:75], v[78:79]
	v_div_fixup_f64 v[58:59], v[56:57], v[58:59], 1.0
	v_mul_f64 v[56:57], v[72:73], v[58:59]
	v_xor_b32_e32 v59, 0x80000000, v59
.LBB26_112:
	s_andn2_saveexec_b64 s[16:17], s[16:17]
	s_cbranch_execz .LBB26_114
; %bb.113:
	v_div_scale_f64 v[72:73], s[18:19], v[56:57], v[56:57], v[58:59]
	v_rcp_f64_e32 v[74:75], v[72:73]
	v_div_scale_f64 v[76:77], vcc, v[58:59], v[56:57], v[58:59]
	v_fma_f64 v[78:79], -v[72:73], v[74:75], 1.0
	v_fmac_f64_e32 v[74:75], v[74:75], v[78:79]
	v_fma_f64 v[78:79], -v[72:73], v[74:75], 1.0
	v_fmac_f64_e32 v[74:75], v[74:75], v[78:79]
	v_mul_f64 v[78:79], v[76:77], v[74:75]
	v_fma_f64 v[72:73], -v[72:73], v[78:79], v[76:77]
	v_div_fmas_f64 v[72:73], v[72:73], v[74:75], v[78:79]
	v_div_fixup_f64 v[72:73], v[72:73], v[56:57], v[58:59]
	v_fmac_f64_e32 v[56:57], v[58:59], v[72:73]
	v_div_scale_f64 v[58:59], s[18:19], v[56:57], v[56:57], 1.0
	v_rcp_f64_e32 v[74:75], v[58:59]
	s_nop 0
	v_fma_f64 v[76:77], -v[58:59], v[74:75], 1.0
	v_fmac_f64_e32 v[74:75], v[74:75], v[76:77]
	v_fma_f64 v[76:77], -v[58:59], v[74:75], 1.0
	v_fmac_f64_e32 v[74:75], v[74:75], v[76:77]
	v_div_scale_f64 v[76:77], vcc, 1.0, v[56:57], 1.0
	v_mul_f64 v[78:79], v[76:77], v[74:75]
	v_fma_f64 v[58:59], -v[58:59], v[78:79], v[76:77]
	s_nop 1
	v_div_fmas_f64 v[58:59], v[58:59], v[74:75], v[78:79]
	v_div_fixup_f64 v[56:57], v[58:59], v[56:57], 1.0
	v_mul_f64 v[58:59], v[72:73], -v[56:57]
.LBB26_114:
	s_or_b64 exec, exec, s[16:17]
.LBB26_115:
	s_or_b64 exec, exec, s[0:1]
	v_cmp_ne_u32_e32 vcc, v67, v66
	s_and_saveexec_b64 s[0:1], vcc
	s_xor_b64 s[0:1], exec, s[0:1]
	s_cbranch_execz .LBB26_121
; %bb.116:
	v_cmp_eq_u32_e32 vcc, 5, v67
	s_and_saveexec_b64 s[16:17], vcc
	s_cbranch_execz .LBB26_120
; %bb.117:
	v_cmp_ne_u32_e32 vcc, 5, v66
	s_xor_b64 s[18:19], s[14:15], -1
	s_and_b64 s[22:23], s[18:19], vcc
	s_and_saveexec_b64 s[18:19], s[22:23]
	s_cbranch_execz .LBB26_119
; %bb.118:
	v_ashrrev_i32_e32 v67, 31, v66
	v_lshl_add_u64 v[72:73], v[66:67], 2, v[64:65]
	global_load_dword v67, v[72:73], off
	global_load_dword v69, v[64:65], off offset:20
	s_waitcnt vmcnt(1)
	global_store_dword v[64:65], v67, off offset:20
	s_waitcnt vmcnt(1)
	global_store_dword v[72:73], v69, off
.LBB26_119:
	s_or_b64 exec, exec, s[18:19]
	v_mov_b32_e32 v67, v66
	v_mov_b32_e32 v70, v66
.LBB26_120:
	s_or_b64 exec, exec, s[16:17]
.LBB26_121:
	s_andn2_saveexec_b64 s[0:1], s[0:1]
	s_cbranch_execz .LBB26_123
; %bb.122:
	v_mov_b32_e32 v67, 5
	s_waitcnt vmcnt(7)
	ds_write2_b64 v68, v[24:25], v[26:27] offset0:12 offset1:13
	s_waitcnt vmcnt(6)
	ds_write2_b64 v68, v[20:21], v[22:23] offset0:14 offset1:15
	;; [unrolled: 2-line block ×8, first 2 shown]
.LBB26_123:
	s_or_b64 exec, exec, s[0:1]
	v_cmp_lt_i32_e32 vcc, 5, v67
	s_waitcnt lgkmcnt(0)
	s_barrier
	s_and_saveexec_b64 s[0:1], vcc
	s_cbranch_execz .LBB26_125
; %bb.124:
	ds_read2_b64 v[72:75], v68 offset0:12 offset1:13
	v_mul_f64 v[76:77], v[56:57], v[30:31]
	v_mul_f64 v[30:31], v[58:59], v[30:31]
	v_fmac_f64_e32 v[76:77], v[58:59], v[28:29]
	v_fma_f64 v[28:29], v[56:57], v[28:29], -v[30:31]
	ds_read2_b64 v[56:59], v68 offset0:14 offset1:15
	s_waitcnt lgkmcnt(1)
	v_mul_f64 v[30:31], v[74:75], v[76:77]
	v_fma_f64 v[30:31], v[72:73], v[28:29], -v[30:31]
	v_mul_f64 v[72:73], v[72:73], v[76:77]
	v_fmac_f64_e32 v[72:73], v[74:75], v[28:29]
	s_waitcnt vmcnt(7)
	v_add_f64 v[24:25], v[24:25], -v[30:31]
	s_waitcnt lgkmcnt(0)
	v_mul_f64 v[30:31], v[58:59], v[76:77]
	v_add_f64 v[26:27], v[26:27], -v[72:73]
	v_fma_f64 v[30:31], v[56:57], v[28:29], -v[30:31]
	v_mul_f64 v[56:57], v[56:57], v[76:77]
	ds_read2_b64 v[72:75], v68 offset0:16 offset1:17
	v_fmac_f64_e32 v[56:57], v[58:59], v[28:29]
	s_waitcnt vmcnt(6)
	v_add_f64 v[22:23], v[22:23], -v[56:57]
	ds_read2_b64 v[56:59], v68 offset0:18 offset1:19
	v_add_f64 v[20:21], v[20:21], -v[30:31]
	s_waitcnt lgkmcnt(1)
	v_mul_f64 v[30:31], v[74:75], v[76:77]
	v_fma_f64 v[30:31], v[72:73], v[28:29], -v[30:31]
	v_mul_f64 v[72:73], v[72:73], v[76:77]
	v_fmac_f64_e32 v[72:73], v[74:75], v[28:29]
	s_waitcnt vmcnt(5)
	v_add_f64 v[16:17], v[16:17], -v[30:31]
	s_waitcnt lgkmcnt(0)
	v_mul_f64 v[30:31], v[58:59], v[76:77]
	v_add_f64 v[18:19], v[18:19], -v[72:73]
	v_fma_f64 v[30:31], v[56:57], v[28:29], -v[30:31]
	v_mul_f64 v[56:57], v[56:57], v[76:77]
	ds_read2_b64 v[72:75], v68 offset0:20 offset1:21
	v_fmac_f64_e32 v[56:57], v[58:59], v[28:29]
	s_waitcnt vmcnt(4)
	v_add_f64 v[10:11], v[10:11], -v[56:57]
	ds_read2_b64 v[56:59], v68 offset0:22 offset1:23
	v_add_f64 v[8:9], v[8:9], -v[30:31]
	;; [unrolled: 18-line block ×3, first 2 shown]
	s_waitcnt lgkmcnt(1)
	v_mul_f64 v[30:31], v[74:75], v[76:77]
	v_fma_f64 v[30:31], v[72:73], v[28:29], -v[30:31]
	s_waitcnt vmcnt(1)
	v_add_f64 v[0:1], v[0:1], -v[30:31]
	s_waitcnt lgkmcnt(0)
	v_mul_f64 v[30:31], v[58:59], v[76:77]
	v_mul_f64 v[72:73], v[72:73], v[76:77]
	v_fma_f64 v[30:31], v[56:57], v[28:29], -v[30:31]
	v_mul_f64 v[56:57], v[56:57], v[76:77]
	v_fmac_f64_e32 v[72:73], v[74:75], v[28:29]
	v_fmac_f64_e32 v[56:57], v[58:59], v[28:29]
	v_add_f64 v[2:3], v[2:3], -v[72:73]
	s_waitcnt vmcnt(0)
	v_add_f64 v[52:53], v[52:53], -v[30:31]
	v_add_f64 v[54:55], v[54:55], -v[56:57]
	v_mov_b64_e32 v[30:31], v[76:77]
.LBB26_125:
	s_or_b64 exec, exec, s[0:1]
	v_lshl_add_u32 v56, v67, 4, v68
	s_barrier
	s_waitcnt vmcnt(7)
	ds_write2_b64 v56, v[24:25], v[26:27] offset1:1
	s_waitcnt lgkmcnt(0)
	s_barrier
	ds_read2_b64 v[56:59], v68 offset0:12 offset1:13
	s_cmp_lt_i32 s20, 8
	v_mov_b32_e32 v66, 6
	s_cbranch_scc1 .LBB26_128
; %bb.126:
	v_add_u32_e32 v69, 0x70, v68
	s_mov_b32 s16, 7
	v_mov_b32_e32 v66, 6
.LBB26_127:                             ; =>This Inner Loop Header: Depth=1
	ds_read2_b64 v[72:75], v69 offset1:1
	s_waitcnt lgkmcnt(1)
	v_xor_b32_e32 v77, 0x80000000, v57
	v_xor_b32_e32 v79, 0x80000000, v59
	v_cmp_gt_f64_e32 vcc, 0, v[58:59]
	v_cmp_gt_f64_e64 s[0:1], 0, v[56:57]
	v_mov_b32_e32 v76, v56
	v_mov_b32_e32 v78, v58
	v_cndmask_b32_e64 v77, v57, v77, s[0:1]
	v_cndmask_b32_e32 v79, v59, v79, vcc
	v_add_f64 v[76:77], v[76:77], v[78:79]
	s_waitcnt lgkmcnt(0)
	v_xor_b32_e32 v79, 0x80000000, v73
	v_xor_b32_e32 v81, 0x80000000, v75
	v_cmp_gt_f64_e32 vcc, 0, v[74:75]
	v_cmp_gt_f64_e64 s[0:1], 0, v[72:73]
	v_mov_b32_e32 v78, v72
	v_mov_b32_e32 v80, v74
	v_cndmask_b32_e64 v79, v73, v79, s[0:1]
	v_cndmask_b32_e32 v81, v75, v81, vcc
	v_add_f64 v[78:79], v[78:79], v[80:81]
	v_mov_b32_e32 v82, s16
	s_add_i32 s16, s16, 1
	v_cmp_lt_f64_e32 vcc, v[76:77], v[78:79]
	v_add_u32_e32 v69, 16, v69
	s_cmp_lg_u32 s20, s16
	v_cndmask_b32_e32 v57, v57, v73, vcc
	v_cndmask_b32_e32 v56, v56, v72, vcc
	;; [unrolled: 1-line block ×5, first 2 shown]
	s_cbranch_scc1 .LBB26_127
.LBB26_128:
	s_waitcnt lgkmcnt(0)
	v_cmp_eq_f64_e32 vcc, 0, v[56:57]
	v_cmp_eq_f64_e64 s[0:1], 0, v[58:59]
	s_and_b64 s[0:1], vcc, s[0:1]
	s_and_saveexec_b64 s[16:17], s[0:1]
	s_xor_b64 s[0:1], exec, s[16:17]
; %bb.129:
	v_cmp_ne_u32_e32 vcc, 0, v71
	s_nop 1
	v_cndmask_b32_e32 v71, 7, v71, vcc
; %bb.130:
	s_andn2_saveexec_b64 s[0:1], s[0:1]
	s_cbranch_execz .LBB26_136
; %bb.131:
	v_cmp_ngt_f64_e64 s[16:17], |v[56:57]|, |v[58:59]|
	s_and_saveexec_b64 s[18:19], s[16:17]
	s_xor_b64 s[16:17], exec, s[18:19]
	s_cbranch_execz .LBB26_133
; %bb.132:
	v_div_scale_f64 v[72:73], s[18:19], v[58:59], v[58:59], v[56:57]
	v_rcp_f64_e32 v[74:75], v[72:73]
	v_div_scale_f64 v[76:77], vcc, v[56:57], v[58:59], v[56:57]
	v_fma_f64 v[78:79], -v[72:73], v[74:75], 1.0
	v_fmac_f64_e32 v[74:75], v[74:75], v[78:79]
	v_fma_f64 v[78:79], -v[72:73], v[74:75], 1.0
	v_fmac_f64_e32 v[74:75], v[74:75], v[78:79]
	v_mul_f64 v[78:79], v[76:77], v[74:75]
	v_fma_f64 v[72:73], -v[72:73], v[78:79], v[76:77]
	v_div_fmas_f64 v[72:73], v[72:73], v[74:75], v[78:79]
	v_div_fixup_f64 v[72:73], v[72:73], v[58:59], v[56:57]
	v_fmac_f64_e32 v[58:59], v[56:57], v[72:73]
	v_div_scale_f64 v[56:57], s[18:19], v[58:59], v[58:59], 1.0
	v_rcp_f64_e32 v[74:75], v[56:57]
	s_nop 0
	v_fma_f64 v[76:77], -v[56:57], v[74:75], 1.0
	v_fmac_f64_e32 v[74:75], v[74:75], v[76:77]
	v_fma_f64 v[76:77], -v[56:57], v[74:75], 1.0
	v_fmac_f64_e32 v[74:75], v[74:75], v[76:77]
	v_div_scale_f64 v[76:77], vcc, 1.0, v[58:59], 1.0
	v_mul_f64 v[78:79], v[76:77], v[74:75]
	v_fma_f64 v[56:57], -v[56:57], v[78:79], v[76:77]
	s_nop 1
	v_div_fmas_f64 v[56:57], v[56:57], v[74:75], v[78:79]
	v_div_fixup_f64 v[58:59], v[56:57], v[58:59], 1.0
	v_mul_f64 v[56:57], v[72:73], v[58:59]
	v_xor_b32_e32 v59, 0x80000000, v59
.LBB26_133:
	s_andn2_saveexec_b64 s[16:17], s[16:17]
	s_cbranch_execz .LBB26_135
; %bb.134:
	v_div_scale_f64 v[72:73], s[18:19], v[56:57], v[56:57], v[58:59]
	v_rcp_f64_e32 v[74:75], v[72:73]
	v_div_scale_f64 v[76:77], vcc, v[58:59], v[56:57], v[58:59]
	v_fma_f64 v[78:79], -v[72:73], v[74:75], 1.0
	v_fmac_f64_e32 v[74:75], v[74:75], v[78:79]
	v_fma_f64 v[78:79], -v[72:73], v[74:75], 1.0
	v_fmac_f64_e32 v[74:75], v[74:75], v[78:79]
	v_mul_f64 v[78:79], v[76:77], v[74:75]
	v_fma_f64 v[72:73], -v[72:73], v[78:79], v[76:77]
	v_div_fmas_f64 v[72:73], v[72:73], v[74:75], v[78:79]
	v_div_fixup_f64 v[72:73], v[72:73], v[56:57], v[58:59]
	v_fmac_f64_e32 v[56:57], v[58:59], v[72:73]
	v_div_scale_f64 v[58:59], s[18:19], v[56:57], v[56:57], 1.0
	v_rcp_f64_e32 v[74:75], v[58:59]
	s_nop 0
	v_fma_f64 v[76:77], -v[58:59], v[74:75], 1.0
	v_fmac_f64_e32 v[74:75], v[74:75], v[76:77]
	v_fma_f64 v[76:77], -v[58:59], v[74:75], 1.0
	v_fmac_f64_e32 v[74:75], v[74:75], v[76:77]
	v_div_scale_f64 v[76:77], vcc, 1.0, v[56:57], 1.0
	v_mul_f64 v[78:79], v[76:77], v[74:75]
	v_fma_f64 v[58:59], -v[58:59], v[78:79], v[76:77]
	s_nop 1
	v_div_fmas_f64 v[58:59], v[58:59], v[74:75], v[78:79]
	v_div_fixup_f64 v[56:57], v[58:59], v[56:57], 1.0
	v_mul_f64 v[58:59], v[72:73], -v[56:57]
.LBB26_135:
	s_or_b64 exec, exec, s[16:17]
.LBB26_136:
	s_or_b64 exec, exec, s[0:1]
	v_cmp_ne_u32_e32 vcc, v67, v66
	s_and_saveexec_b64 s[0:1], vcc
	s_xor_b64 s[0:1], exec, s[0:1]
	s_cbranch_execz .LBB26_142
; %bb.137:
	v_cmp_eq_u32_e32 vcc, 6, v67
	s_and_saveexec_b64 s[16:17], vcc
	s_cbranch_execz .LBB26_141
; %bb.138:
	v_cmp_ne_u32_e32 vcc, 6, v66
	s_xor_b64 s[18:19], s[14:15], -1
	s_and_b64 s[22:23], s[18:19], vcc
	s_and_saveexec_b64 s[18:19], s[22:23]
	s_cbranch_execz .LBB26_140
; %bb.139:
	v_ashrrev_i32_e32 v67, 31, v66
	v_lshl_add_u64 v[72:73], v[66:67], 2, v[64:65]
	global_load_dword v67, v[72:73], off
	global_load_dword v69, v[64:65], off offset:24
	s_waitcnt vmcnt(1)
	global_store_dword v[64:65], v67, off offset:24
	s_waitcnt vmcnt(1)
	global_store_dword v[72:73], v69, off
.LBB26_140:
	s_or_b64 exec, exec, s[18:19]
	v_mov_b32_e32 v67, v66
	v_mov_b32_e32 v70, v66
.LBB26_141:
	s_or_b64 exec, exec, s[16:17]
.LBB26_142:
	s_andn2_saveexec_b64 s[0:1], s[0:1]
	s_cbranch_execz .LBB26_144
; %bb.143:
	v_mov_b32_e32 v67, 6
	s_waitcnt vmcnt(6)
	ds_write2_b64 v68, v[20:21], v[22:23] offset0:14 offset1:15
	s_waitcnt vmcnt(5)
	ds_write2_b64 v68, v[16:17], v[18:19] offset0:16 offset1:17
	;; [unrolled: 2-line block ×7, first 2 shown]
.LBB26_144:
	s_or_b64 exec, exec, s[0:1]
	v_cmp_lt_i32_e32 vcc, 6, v67
	s_waitcnt lgkmcnt(0)
	s_barrier
	s_and_saveexec_b64 s[0:1], vcc
	s_cbranch_execz .LBB26_146
; %bb.145:
	ds_read2_b64 v[72:75], v68 offset0:14 offset1:15
	v_mul_f64 v[76:77], v[56:57], v[26:27]
	v_fmac_f64_e32 v[76:77], v[58:59], v[24:25]
	v_mul_f64 v[26:27], v[58:59], v[26:27]
	v_fma_f64 v[24:25], v[56:57], v[24:25], -v[26:27]
	ds_read2_b64 v[56:59], v68 offset0:16 offset1:17
	s_waitcnt lgkmcnt(1)
	v_mul_f64 v[26:27], v[74:75], v[76:77]
	v_fma_f64 v[26:27], v[72:73], v[24:25], -v[26:27]
	v_mul_f64 v[72:73], v[72:73], v[76:77]
	v_fmac_f64_e32 v[72:73], v[74:75], v[24:25]
	s_waitcnt vmcnt(6)
	v_add_f64 v[22:23], v[22:23], -v[72:73]
	ds_read2_b64 v[72:75], v68 offset0:18 offset1:19
	v_add_f64 v[20:21], v[20:21], -v[26:27]
	s_waitcnt lgkmcnt(1)
	v_mul_f64 v[26:27], v[58:59], v[76:77]
	v_fma_f64 v[26:27], v[56:57], v[24:25], -v[26:27]
	v_mul_f64 v[56:57], v[56:57], v[76:77]
	v_fmac_f64_e32 v[56:57], v[58:59], v[24:25]
	s_waitcnt vmcnt(5)
	v_add_f64 v[16:17], v[16:17], -v[26:27]
	v_add_f64 v[18:19], v[18:19], -v[56:57]
	ds_read2_b64 v[56:59], v68 offset0:20 offset1:21
	s_waitcnt lgkmcnt(1)
	v_mul_f64 v[26:27], v[74:75], v[76:77]
	v_fma_f64 v[26:27], v[72:73], v[24:25], -v[26:27]
	v_mul_f64 v[72:73], v[72:73], v[76:77]
	v_fmac_f64_e32 v[72:73], v[74:75], v[24:25]
	s_waitcnt vmcnt(4)
	v_add_f64 v[10:11], v[10:11], -v[72:73]
	ds_read2_b64 v[72:75], v68 offset0:22 offset1:23
	v_add_f64 v[8:9], v[8:9], -v[26:27]
	s_waitcnt lgkmcnt(1)
	v_mul_f64 v[26:27], v[58:59], v[76:77]
	v_fma_f64 v[26:27], v[56:57], v[24:25], -v[26:27]
	v_mul_f64 v[56:57], v[56:57], v[76:77]
	v_fmac_f64_e32 v[56:57], v[58:59], v[24:25]
	s_waitcnt vmcnt(3)
	v_add_f64 v[12:13], v[12:13], -v[26:27]
	v_add_f64 v[14:15], v[14:15], -v[56:57]
	ds_read2_b64 v[56:59], v68 offset0:24 offset1:25
	s_waitcnt lgkmcnt(1)
	v_mul_f64 v[26:27], v[74:75], v[76:77]
	v_fma_f64 v[26:27], v[72:73], v[24:25], -v[26:27]
	v_mul_f64 v[72:73], v[72:73], v[76:77]
	v_fmac_f64_e32 v[72:73], v[74:75], v[24:25]
	s_waitcnt vmcnt(2)
	v_add_f64 v[6:7], v[6:7], -v[72:73]
	ds_read2_b64 v[72:75], v68 offset0:26 offset1:27
	v_add_f64 v[4:5], v[4:5], -v[26:27]
	s_waitcnt lgkmcnt(1)
	v_mul_f64 v[26:27], v[58:59], v[76:77]
	v_fma_f64 v[26:27], v[56:57], v[24:25], -v[26:27]
	v_mul_f64 v[56:57], v[56:57], v[76:77]
	v_fmac_f64_e32 v[56:57], v[58:59], v[24:25]
	s_waitcnt vmcnt(1)
	v_add_f64 v[0:1], v[0:1], -v[26:27]
	v_add_f64 v[2:3], v[2:3], -v[56:57]
	s_waitcnt lgkmcnt(0)
	v_mul_f64 v[26:27], v[74:75], v[76:77]
	v_mul_f64 v[56:57], v[72:73], v[76:77]
	v_fma_f64 v[26:27], v[72:73], v[24:25], -v[26:27]
	v_fmac_f64_e32 v[56:57], v[74:75], v[24:25]
	s_waitcnt vmcnt(0)
	v_add_f64 v[52:53], v[52:53], -v[26:27]
	v_add_f64 v[54:55], v[54:55], -v[56:57]
	v_mov_b64_e32 v[26:27], v[76:77]
.LBB26_146:
	s_or_b64 exec, exec, s[0:1]
	v_lshl_add_u32 v56, v67, 4, v68
	s_barrier
	s_waitcnt vmcnt(6)
	ds_write2_b64 v56, v[20:21], v[22:23] offset1:1
	s_waitcnt lgkmcnt(0)
	s_barrier
	ds_read2_b64 v[56:59], v68 offset0:14 offset1:15
	s_cmp_lt_i32 s20, 9
	v_mov_b32_e32 v66, 7
	s_cbranch_scc1 .LBB26_149
; %bb.147:
	v_add_u32_e32 v69, 0x80, v68
	s_mov_b32 s16, 8
	v_mov_b32_e32 v66, 7
.LBB26_148:                             ; =>This Inner Loop Header: Depth=1
	ds_read2_b64 v[72:75], v69 offset1:1
	s_waitcnt lgkmcnt(1)
	v_xor_b32_e32 v77, 0x80000000, v57
	v_xor_b32_e32 v79, 0x80000000, v59
	v_cmp_gt_f64_e32 vcc, 0, v[58:59]
	v_cmp_gt_f64_e64 s[0:1], 0, v[56:57]
	v_mov_b32_e32 v76, v56
	v_mov_b32_e32 v78, v58
	v_cndmask_b32_e64 v77, v57, v77, s[0:1]
	v_cndmask_b32_e32 v79, v59, v79, vcc
	v_add_f64 v[76:77], v[76:77], v[78:79]
	s_waitcnt lgkmcnt(0)
	v_xor_b32_e32 v79, 0x80000000, v73
	v_xor_b32_e32 v81, 0x80000000, v75
	v_cmp_gt_f64_e32 vcc, 0, v[74:75]
	v_cmp_gt_f64_e64 s[0:1], 0, v[72:73]
	v_mov_b32_e32 v78, v72
	v_mov_b32_e32 v80, v74
	v_cndmask_b32_e64 v79, v73, v79, s[0:1]
	v_cndmask_b32_e32 v81, v75, v81, vcc
	v_add_f64 v[78:79], v[78:79], v[80:81]
	v_mov_b32_e32 v82, s16
	s_add_i32 s16, s16, 1
	v_cmp_lt_f64_e32 vcc, v[76:77], v[78:79]
	v_add_u32_e32 v69, 16, v69
	s_cmp_lg_u32 s20, s16
	v_cndmask_b32_e32 v57, v57, v73, vcc
	v_cndmask_b32_e32 v56, v56, v72, vcc
	;; [unrolled: 1-line block ×5, first 2 shown]
	s_cbranch_scc1 .LBB26_148
.LBB26_149:
	s_waitcnt lgkmcnt(0)
	v_cmp_eq_f64_e32 vcc, 0, v[56:57]
	v_cmp_eq_f64_e64 s[0:1], 0, v[58:59]
	s_and_b64 s[0:1], vcc, s[0:1]
	s_and_saveexec_b64 s[16:17], s[0:1]
	s_xor_b64 s[0:1], exec, s[16:17]
; %bb.150:
	v_cmp_ne_u32_e32 vcc, 0, v71
	s_nop 1
	v_cndmask_b32_e32 v71, 8, v71, vcc
; %bb.151:
	s_andn2_saveexec_b64 s[0:1], s[0:1]
	s_cbranch_execz .LBB26_157
; %bb.152:
	v_cmp_ngt_f64_e64 s[16:17], |v[56:57]|, |v[58:59]|
	s_and_saveexec_b64 s[18:19], s[16:17]
	s_xor_b64 s[16:17], exec, s[18:19]
	s_cbranch_execz .LBB26_154
; %bb.153:
	v_div_scale_f64 v[72:73], s[18:19], v[58:59], v[58:59], v[56:57]
	v_rcp_f64_e32 v[74:75], v[72:73]
	v_div_scale_f64 v[76:77], vcc, v[56:57], v[58:59], v[56:57]
	v_fma_f64 v[78:79], -v[72:73], v[74:75], 1.0
	v_fmac_f64_e32 v[74:75], v[74:75], v[78:79]
	v_fma_f64 v[78:79], -v[72:73], v[74:75], 1.0
	v_fmac_f64_e32 v[74:75], v[74:75], v[78:79]
	v_mul_f64 v[78:79], v[76:77], v[74:75]
	v_fma_f64 v[72:73], -v[72:73], v[78:79], v[76:77]
	v_div_fmas_f64 v[72:73], v[72:73], v[74:75], v[78:79]
	v_div_fixup_f64 v[72:73], v[72:73], v[58:59], v[56:57]
	v_fmac_f64_e32 v[58:59], v[56:57], v[72:73]
	v_div_scale_f64 v[56:57], s[18:19], v[58:59], v[58:59], 1.0
	v_rcp_f64_e32 v[74:75], v[56:57]
	s_nop 0
	v_fma_f64 v[76:77], -v[56:57], v[74:75], 1.0
	v_fmac_f64_e32 v[74:75], v[74:75], v[76:77]
	v_fma_f64 v[76:77], -v[56:57], v[74:75], 1.0
	v_fmac_f64_e32 v[74:75], v[74:75], v[76:77]
	v_div_scale_f64 v[76:77], vcc, 1.0, v[58:59], 1.0
	v_mul_f64 v[78:79], v[76:77], v[74:75]
	v_fma_f64 v[56:57], -v[56:57], v[78:79], v[76:77]
	s_nop 1
	v_div_fmas_f64 v[56:57], v[56:57], v[74:75], v[78:79]
	v_div_fixup_f64 v[58:59], v[56:57], v[58:59], 1.0
	v_mul_f64 v[56:57], v[72:73], v[58:59]
	v_xor_b32_e32 v59, 0x80000000, v59
.LBB26_154:
	s_andn2_saveexec_b64 s[16:17], s[16:17]
	s_cbranch_execz .LBB26_156
; %bb.155:
	v_div_scale_f64 v[72:73], s[18:19], v[56:57], v[56:57], v[58:59]
	v_rcp_f64_e32 v[74:75], v[72:73]
	v_div_scale_f64 v[76:77], vcc, v[58:59], v[56:57], v[58:59]
	v_fma_f64 v[78:79], -v[72:73], v[74:75], 1.0
	v_fmac_f64_e32 v[74:75], v[74:75], v[78:79]
	v_fma_f64 v[78:79], -v[72:73], v[74:75], 1.0
	v_fmac_f64_e32 v[74:75], v[74:75], v[78:79]
	v_mul_f64 v[78:79], v[76:77], v[74:75]
	v_fma_f64 v[72:73], -v[72:73], v[78:79], v[76:77]
	v_div_fmas_f64 v[72:73], v[72:73], v[74:75], v[78:79]
	v_div_fixup_f64 v[72:73], v[72:73], v[56:57], v[58:59]
	v_fmac_f64_e32 v[56:57], v[58:59], v[72:73]
	v_div_scale_f64 v[58:59], s[18:19], v[56:57], v[56:57], 1.0
	v_rcp_f64_e32 v[74:75], v[58:59]
	s_nop 0
	v_fma_f64 v[76:77], -v[58:59], v[74:75], 1.0
	v_fmac_f64_e32 v[74:75], v[74:75], v[76:77]
	v_fma_f64 v[76:77], -v[58:59], v[74:75], 1.0
	v_fmac_f64_e32 v[74:75], v[74:75], v[76:77]
	v_div_scale_f64 v[76:77], vcc, 1.0, v[56:57], 1.0
	v_mul_f64 v[78:79], v[76:77], v[74:75]
	v_fma_f64 v[58:59], -v[58:59], v[78:79], v[76:77]
	s_nop 1
	v_div_fmas_f64 v[58:59], v[58:59], v[74:75], v[78:79]
	v_div_fixup_f64 v[56:57], v[58:59], v[56:57], 1.0
	v_mul_f64 v[58:59], v[72:73], -v[56:57]
.LBB26_156:
	s_or_b64 exec, exec, s[16:17]
.LBB26_157:
	s_or_b64 exec, exec, s[0:1]
	v_cmp_ne_u32_e32 vcc, v67, v66
	s_and_saveexec_b64 s[0:1], vcc
	s_xor_b64 s[0:1], exec, s[0:1]
	s_cbranch_execz .LBB26_163
; %bb.158:
	v_cmp_eq_u32_e32 vcc, 7, v67
	s_and_saveexec_b64 s[16:17], vcc
	s_cbranch_execz .LBB26_162
; %bb.159:
	v_cmp_ne_u32_e32 vcc, 7, v66
	s_xor_b64 s[18:19], s[14:15], -1
	s_and_b64 s[22:23], s[18:19], vcc
	s_and_saveexec_b64 s[18:19], s[22:23]
	s_cbranch_execz .LBB26_161
; %bb.160:
	v_ashrrev_i32_e32 v67, 31, v66
	v_lshl_add_u64 v[72:73], v[66:67], 2, v[64:65]
	global_load_dword v67, v[72:73], off
	global_load_dword v69, v[64:65], off offset:28
	s_waitcnt vmcnt(1)
	global_store_dword v[64:65], v67, off offset:28
	s_waitcnt vmcnt(1)
	global_store_dword v[72:73], v69, off
.LBB26_161:
	s_or_b64 exec, exec, s[18:19]
	v_mov_b32_e32 v67, v66
	v_mov_b32_e32 v70, v66
.LBB26_162:
	s_or_b64 exec, exec, s[16:17]
.LBB26_163:
	s_andn2_saveexec_b64 s[0:1], s[0:1]
	s_cbranch_execz .LBB26_165
; %bb.164:
	v_mov_b32_e32 v67, 7
	s_waitcnt vmcnt(5)
	ds_write2_b64 v68, v[16:17], v[18:19] offset0:16 offset1:17
	s_waitcnt vmcnt(4)
	ds_write2_b64 v68, v[8:9], v[10:11] offset0:18 offset1:19
	;; [unrolled: 2-line block ×6, first 2 shown]
.LBB26_165:
	s_or_b64 exec, exec, s[0:1]
	v_cmp_lt_i32_e32 vcc, 7, v67
	s_waitcnt lgkmcnt(0)
	s_barrier
	s_and_saveexec_b64 s[0:1], vcc
	s_cbranch_execz .LBB26_167
; %bb.166:
	ds_read2_b64 v[72:75], v68 offset0:16 offset1:17
	v_mul_f64 v[76:77], v[56:57], v[22:23]
	v_mul_f64 v[22:23], v[58:59], v[22:23]
	v_fmac_f64_e32 v[76:77], v[58:59], v[20:21]
	v_fma_f64 v[20:21], v[56:57], v[20:21], -v[22:23]
	ds_read2_b64 v[56:59], v68 offset0:18 offset1:19
	s_waitcnt lgkmcnt(1)
	v_mul_f64 v[22:23], v[74:75], v[76:77]
	v_fma_f64 v[22:23], v[72:73], v[20:21], -v[22:23]
	v_mul_f64 v[72:73], v[72:73], v[76:77]
	v_fmac_f64_e32 v[72:73], v[74:75], v[20:21]
	s_waitcnt vmcnt(5)
	v_add_f64 v[16:17], v[16:17], -v[22:23]
	s_waitcnt lgkmcnt(0)
	v_mul_f64 v[22:23], v[58:59], v[76:77]
	v_add_f64 v[18:19], v[18:19], -v[72:73]
	v_fma_f64 v[22:23], v[56:57], v[20:21], -v[22:23]
	v_mul_f64 v[56:57], v[56:57], v[76:77]
	ds_read2_b64 v[72:75], v68 offset0:20 offset1:21
	v_fmac_f64_e32 v[56:57], v[58:59], v[20:21]
	s_waitcnt vmcnt(4)
	v_add_f64 v[10:11], v[10:11], -v[56:57]
	ds_read2_b64 v[56:59], v68 offset0:22 offset1:23
	v_add_f64 v[8:9], v[8:9], -v[22:23]
	s_waitcnt lgkmcnt(1)
	v_mul_f64 v[22:23], v[74:75], v[76:77]
	v_fma_f64 v[22:23], v[72:73], v[20:21], -v[22:23]
	v_mul_f64 v[72:73], v[72:73], v[76:77]
	v_fmac_f64_e32 v[72:73], v[74:75], v[20:21]
	s_waitcnt vmcnt(3)
	v_add_f64 v[12:13], v[12:13], -v[22:23]
	s_waitcnt lgkmcnt(0)
	v_mul_f64 v[22:23], v[58:59], v[76:77]
	v_add_f64 v[14:15], v[14:15], -v[72:73]
	v_fma_f64 v[22:23], v[56:57], v[20:21], -v[22:23]
	v_mul_f64 v[56:57], v[56:57], v[76:77]
	ds_read2_b64 v[72:75], v68 offset0:24 offset1:25
	v_fmac_f64_e32 v[56:57], v[58:59], v[20:21]
	s_waitcnt vmcnt(2)
	v_add_f64 v[6:7], v[6:7], -v[56:57]
	ds_read2_b64 v[56:59], v68 offset0:26 offset1:27
	v_add_f64 v[4:5], v[4:5], -v[22:23]
	s_waitcnt lgkmcnt(1)
	v_mul_f64 v[22:23], v[74:75], v[76:77]
	v_fma_f64 v[22:23], v[72:73], v[20:21], -v[22:23]
	s_waitcnt vmcnt(1)
	v_add_f64 v[0:1], v[0:1], -v[22:23]
	s_waitcnt lgkmcnt(0)
	v_mul_f64 v[22:23], v[58:59], v[76:77]
	v_mul_f64 v[72:73], v[72:73], v[76:77]
	v_fma_f64 v[22:23], v[56:57], v[20:21], -v[22:23]
	v_mul_f64 v[56:57], v[56:57], v[76:77]
	v_fmac_f64_e32 v[72:73], v[74:75], v[20:21]
	v_fmac_f64_e32 v[56:57], v[58:59], v[20:21]
	v_add_f64 v[2:3], v[2:3], -v[72:73]
	s_waitcnt vmcnt(0)
	v_add_f64 v[52:53], v[52:53], -v[22:23]
	v_add_f64 v[54:55], v[54:55], -v[56:57]
	v_mov_b64_e32 v[22:23], v[76:77]
.LBB26_167:
	s_or_b64 exec, exec, s[0:1]
	v_lshl_add_u32 v56, v67, 4, v68
	s_barrier
	s_waitcnt vmcnt(5)
	ds_write2_b64 v56, v[16:17], v[18:19] offset1:1
	s_waitcnt lgkmcnt(0)
	s_barrier
	ds_read2_b64 v[56:59], v68 offset0:16 offset1:17
	s_cmp_lt_i32 s20, 10
	v_mov_b32_e32 v66, 8
	s_cbranch_scc1 .LBB26_170
; %bb.168:
	v_add_u32_e32 v69, 0x90, v68
	s_mov_b32 s16, 9
	v_mov_b32_e32 v66, 8
.LBB26_169:                             ; =>This Inner Loop Header: Depth=1
	ds_read2_b64 v[72:75], v69 offset1:1
	s_waitcnt lgkmcnt(1)
	v_xor_b32_e32 v77, 0x80000000, v57
	v_xor_b32_e32 v79, 0x80000000, v59
	v_cmp_gt_f64_e32 vcc, 0, v[58:59]
	v_cmp_gt_f64_e64 s[0:1], 0, v[56:57]
	v_mov_b32_e32 v76, v56
	v_mov_b32_e32 v78, v58
	v_cndmask_b32_e64 v77, v57, v77, s[0:1]
	v_cndmask_b32_e32 v79, v59, v79, vcc
	v_add_f64 v[76:77], v[76:77], v[78:79]
	s_waitcnt lgkmcnt(0)
	v_xor_b32_e32 v79, 0x80000000, v73
	v_xor_b32_e32 v81, 0x80000000, v75
	v_cmp_gt_f64_e32 vcc, 0, v[74:75]
	v_cmp_gt_f64_e64 s[0:1], 0, v[72:73]
	v_mov_b32_e32 v78, v72
	v_mov_b32_e32 v80, v74
	v_cndmask_b32_e64 v79, v73, v79, s[0:1]
	v_cndmask_b32_e32 v81, v75, v81, vcc
	v_add_f64 v[78:79], v[78:79], v[80:81]
	v_mov_b32_e32 v82, s16
	s_add_i32 s16, s16, 1
	v_cmp_lt_f64_e32 vcc, v[76:77], v[78:79]
	v_add_u32_e32 v69, 16, v69
	s_cmp_lg_u32 s20, s16
	v_cndmask_b32_e32 v57, v57, v73, vcc
	v_cndmask_b32_e32 v56, v56, v72, vcc
	;; [unrolled: 1-line block ×5, first 2 shown]
	s_cbranch_scc1 .LBB26_169
.LBB26_170:
	s_waitcnt lgkmcnt(0)
	v_cmp_eq_f64_e32 vcc, 0, v[56:57]
	v_cmp_eq_f64_e64 s[0:1], 0, v[58:59]
	s_and_b64 s[0:1], vcc, s[0:1]
	s_and_saveexec_b64 s[16:17], s[0:1]
	s_xor_b64 s[0:1], exec, s[16:17]
; %bb.171:
	v_cmp_ne_u32_e32 vcc, 0, v71
	s_nop 1
	v_cndmask_b32_e32 v71, 9, v71, vcc
; %bb.172:
	s_andn2_saveexec_b64 s[0:1], s[0:1]
	s_cbranch_execz .LBB26_178
; %bb.173:
	v_cmp_ngt_f64_e64 s[16:17], |v[56:57]|, |v[58:59]|
	s_and_saveexec_b64 s[18:19], s[16:17]
	s_xor_b64 s[16:17], exec, s[18:19]
	s_cbranch_execz .LBB26_175
; %bb.174:
	v_div_scale_f64 v[72:73], s[18:19], v[58:59], v[58:59], v[56:57]
	v_rcp_f64_e32 v[74:75], v[72:73]
	v_div_scale_f64 v[76:77], vcc, v[56:57], v[58:59], v[56:57]
	v_fma_f64 v[78:79], -v[72:73], v[74:75], 1.0
	v_fmac_f64_e32 v[74:75], v[74:75], v[78:79]
	v_fma_f64 v[78:79], -v[72:73], v[74:75], 1.0
	v_fmac_f64_e32 v[74:75], v[74:75], v[78:79]
	v_mul_f64 v[78:79], v[76:77], v[74:75]
	v_fma_f64 v[72:73], -v[72:73], v[78:79], v[76:77]
	v_div_fmas_f64 v[72:73], v[72:73], v[74:75], v[78:79]
	v_div_fixup_f64 v[72:73], v[72:73], v[58:59], v[56:57]
	v_fmac_f64_e32 v[58:59], v[56:57], v[72:73]
	v_div_scale_f64 v[56:57], s[18:19], v[58:59], v[58:59], 1.0
	v_rcp_f64_e32 v[74:75], v[56:57]
	s_nop 0
	v_fma_f64 v[76:77], -v[56:57], v[74:75], 1.0
	v_fmac_f64_e32 v[74:75], v[74:75], v[76:77]
	v_fma_f64 v[76:77], -v[56:57], v[74:75], 1.0
	v_fmac_f64_e32 v[74:75], v[74:75], v[76:77]
	v_div_scale_f64 v[76:77], vcc, 1.0, v[58:59], 1.0
	v_mul_f64 v[78:79], v[76:77], v[74:75]
	v_fma_f64 v[56:57], -v[56:57], v[78:79], v[76:77]
	s_nop 1
	v_div_fmas_f64 v[56:57], v[56:57], v[74:75], v[78:79]
	v_div_fixup_f64 v[58:59], v[56:57], v[58:59], 1.0
	v_mul_f64 v[56:57], v[72:73], v[58:59]
	v_xor_b32_e32 v59, 0x80000000, v59
.LBB26_175:
	s_andn2_saveexec_b64 s[16:17], s[16:17]
	s_cbranch_execz .LBB26_177
; %bb.176:
	v_div_scale_f64 v[72:73], s[18:19], v[56:57], v[56:57], v[58:59]
	v_rcp_f64_e32 v[74:75], v[72:73]
	v_div_scale_f64 v[76:77], vcc, v[58:59], v[56:57], v[58:59]
	v_fma_f64 v[78:79], -v[72:73], v[74:75], 1.0
	v_fmac_f64_e32 v[74:75], v[74:75], v[78:79]
	v_fma_f64 v[78:79], -v[72:73], v[74:75], 1.0
	v_fmac_f64_e32 v[74:75], v[74:75], v[78:79]
	v_mul_f64 v[78:79], v[76:77], v[74:75]
	v_fma_f64 v[72:73], -v[72:73], v[78:79], v[76:77]
	v_div_fmas_f64 v[72:73], v[72:73], v[74:75], v[78:79]
	v_div_fixup_f64 v[72:73], v[72:73], v[56:57], v[58:59]
	v_fmac_f64_e32 v[56:57], v[58:59], v[72:73]
	v_div_scale_f64 v[58:59], s[18:19], v[56:57], v[56:57], 1.0
	v_rcp_f64_e32 v[74:75], v[58:59]
	s_nop 0
	v_fma_f64 v[76:77], -v[58:59], v[74:75], 1.0
	v_fmac_f64_e32 v[74:75], v[74:75], v[76:77]
	v_fma_f64 v[76:77], -v[58:59], v[74:75], 1.0
	v_fmac_f64_e32 v[74:75], v[74:75], v[76:77]
	v_div_scale_f64 v[76:77], vcc, 1.0, v[56:57], 1.0
	v_mul_f64 v[78:79], v[76:77], v[74:75]
	v_fma_f64 v[58:59], -v[58:59], v[78:79], v[76:77]
	s_nop 1
	v_div_fmas_f64 v[58:59], v[58:59], v[74:75], v[78:79]
	v_div_fixup_f64 v[56:57], v[58:59], v[56:57], 1.0
	v_mul_f64 v[58:59], v[72:73], -v[56:57]
.LBB26_177:
	s_or_b64 exec, exec, s[16:17]
.LBB26_178:
	s_or_b64 exec, exec, s[0:1]
	v_cmp_ne_u32_e32 vcc, v67, v66
	s_and_saveexec_b64 s[0:1], vcc
	s_xor_b64 s[0:1], exec, s[0:1]
	s_cbranch_execz .LBB26_184
; %bb.179:
	v_cmp_eq_u32_e32 vcc, 8, v67
	s_and_saveexec_b64 s[16:17], vcc
	s_cbranch_execz .LBB26_183
; %bb.180:
	v_cmp_ne_u32_e32 vcc, 8, v66
	s_xor_b64 s[18:19], s[14:15], -1
	s_and_b64 s[22:23], s[18:19], vcc
	s_and_saveexec_b64 s[18:19], s[22:23]
	s_cbranch_execz .LBB26_182
; %bb.181:
	v_ashrrev_i32_e32 v67, 31, v66
	v_lshl_add_u64 v[72:73], v[66:67], 2, v[64:65]
	global_load_dword v67, v[72:73], off
	global_load_dword v69, v[64:65], off offset:32
	s_waitcnt vmcnt(1)
	global_store_dword v[64:65], v67, off offset:32
	s_waitcnt vmcnt(1)
	global_store_dword v[72:73], v69, off
.LBB26_182:
	s_or_b64 exec, exec, s[18:19]
	v_mov_b32_e32 v67, v66
	v_mov_b32_e32 v70, v66
.LBB26_183:
	s_or_b64 exec, exec, s[16:17]
.LBB26_184:
	s_andn2_saveexec_b64 s[0:1], s[0:1]
	s_cbranch_execz .LBB26_186
; %bb.185:
	v_mov_b32_e32 v67, 8
	s_waitcnt vmcnt(4)
	ds_write2_b64 v68, v[8:9], v[10:11] offset0:18 offset1:19
	s_waitcnt vmcnt(3)
	ds_write2_b64 v68, v[12:13], v[14:15] offset0:20 offset1:21
	;; [unrolled: 2-line block ×5, first 2 shown]
.LBB26_186:
	s_or_b64 exec, exec, s[0:1]
	v_cmp_lt_i32_e32 vcc, 8, v67
	s_waitcnt lgkmcnt(0)
	s_barrier
	s_and_saveexec_b64 s[0:1], vcc
	s_cbranch_execz .LBB26_188
; %bb.187:
	ds_read2_b64 v[72:75], v68 offset0:18 offset1:19
	v_mul_f64 v[76:77], v[56:57], v[18:19]
	v_fmac_f64_e32 v[76:77], v[58:59], v[16:17]
	v_mul_f64 v[18:19], v[58:59], v[18:19]
	v_fma_f64 v[16:17], v[56:57], v[16:17], -v[18:19]
	ds_read2_b64 v[56:59], v68 offset0:20 offset1:21
	s_waitcnt lgkmcnt(1)
	v_mul_f64 v[18:19], v[74:75], v[76:77]
	v_fma_f64 v[18:19], v[72:73], v[16:17], -v[18:19]
	v_mul_f64 v[72:73], v[72:73], v[76:77]
	v_fmac_f64_e32 v[72:73], v[74:75], v[16:17]
	s_waitcnt vmcnt(4)
	v_add_f64 v[10:11], v[10:11], -v[72:73]
	ds_read2_b64 v[72:75], v68 offset0:22 offset1:23
	v_add_f64 v[8:9], v[8:9], -v[18:19]
	s_waitcnt lgkmcnt(1)
	v_mul_f64 v[18:19], v[58:59], v[76:77]
	v_fma_f64 v[18:19], v[56:57], v[16:17], -v[18:19]
	v_mul_f64 v[56:57], v[56:57], v[76:77]
	v_fmac_f64_e32 v[56:57], v[58:59], v[16:17]
	s_waitcnt vmcnt(3)
	v_add_f64 v[12:13], v[12:13], -v[18:19]
	v_add_f64 v[14:15], v[14:15], -v[56:57]
	ds_read2_b64 v[56:59], v68 offset0:24 offset1:25
	s_waitcnt lgkmcnt(1)
	v_mul_f64 v[18:19], v[74:75], v[76:77]
	v_fma_f64 v[18:19], v[72:73], v[16:17], -v[18:19]
	v_mul_f64 v[72:73], v[72:73], v[76:77]
	v_fmac_f64_e32 v[72:73], v[74:75], v[16:17]
	s_waitcnt vmcnt(2)
	v_add_f64 v[6:7], v[6:7], -v[72:73]
	ds_read2_b64 v[72:75], v68 offset0:26 offset1:27
	v_add_f64 v[4:5], v[4:5], -v[18:19]
	s_waitcnt lgkmcnt(1)
	v_mul_f64 v[18:19], v[58:59], v[76:77]
	v_fma_f64 v[18:19], v[56:57], v[16:17], -v[18:19]
	v_mul_f64 v[56:57], v[56:57], v[76:77]
	v_fmac_f64_e32 v[56:57], v[58:59], v[16:17]
	s_waitcnt vmcnt(1)
	v_add_f64 v[0:1], v[0:1], -v[18:19]
	v_add_f64 v[2:3], v[2:3], -v[56:57]
	s_waitcnt lgkmcnt(0)
	v_mul_f64 v[18:19], v[74:75], v[76:77]
	v_mul_f64 v[56:57], v[72:73], v[76:77]
	v_fma_f64 v[18:19], v[72:73], v[16:17], -v[18:19]
	v_fmac_f64_e32 v[56:57], v[74:75], v[16:17]
	s_waitcnt vmcnt(0)
	v_add_f64 v[52:53], v[52:53], -v[18:19]
	v_add_f64 v[54:55], v[54:55], -v[56:57]
	v_mov_b64_e32 v[18:19], v[76:77]
.LBB26_188:
	s_or_b64 exec, exec, s[0:1]
	v_lshl_add_u32 v56, v67, 4, v68
	s_barrier
	s_waitcnt vmcnt(4)
	ds_write2_b64 v56, v[8:9], v[10:11] offset1:1
	s_waitcnt lgkmcnt(0)
	s_barrier
	ds_read2_b64 v[56:59], v68 offset0:18 offset1:19
	s_cmp_lt_i32 s20, 11
	v_mov_b32_e32 v66, 9
	s_cbranch_scc1 .LBB26_191
; %bb.189:
	v_add_u32_e32 v69, 0xa0, v68
	s_mov_b32 s16, 10
	v_mov_b32_e32 v66, 9
.LBB26_190:                             ; =>This Inner Loop Header: Depth=1
	ds_read2_b64 v[72:75], v69 offset1:1
	s_waitcnt lgkmcnt(1)
	v_xor_b32_e32 v77, 0x80000000, v57
	v_xor_b32_e32 v79, 0x80000000, v59
	v_cmp_gt_f64_e32 vcc, 0, v[58:59]
	v_cmp_gt_f64_e64 s[0:1], 0, v[56:57]
	v_mov_b32_e32 v76, v56
	v_mov_b32_e32 v78, v58
	v_cndmask_b32_e64 v77, v57, v77, s[0:1]
	v_cndmask_b32_e32 v79, v59, v79, vcc
	v_add_f64 v[76:77], v[76:77], v[78:79]
	s_waitcnt lgkmcnt(0)
	v_xor_b32_e32 v79, 0x80000000, v73
	v_xor_b32_e32 v81, 0x80000000, v75
	v_cmp_gt_f64_e32 vcc, 0, v[74:75]
	v_cmp_gt_f64_e64 s[0:1], 0, v[72:73]
	v_mov_b32_e32 v78, v72
	v_mov_b32_e32 v80, v74
	v_cndmask_b32_e64 v79, v73, v79, s[0:1]
	v_cndmask_b32_e32 v81, v75, v81, vcc
	v_add_f64 v[78:79], v[78:79], v[80:81]
	v_mov_b32_e32 v82, s16
	s_add_i32 s16, s16, 1
	v_cmp_lt_f64_e32 vcc, v[76:77], v[78:79]
	v_add_u32_e32 v69, 16, v69
	s_cmp_lg_u32 s20, s16
	v_cndmask_b32_e32 v57, v57, v73, vcc
	v_cndmask_b32_e32 v56, v56, v72, vcc
	;; [unrolled: 1-line block ×5, first 2 shown]
	s_cbranch_scc1 .LBB26_190
.LBB26_191:
	s_waitcnt lgkmcnt(0)
	v_cmp_eq_f64_e32 vcc, 0, v[56:57]
	v_cmp_eq_f64_e64 s[0:1], 0, v[58:59]
	s_and_b64 s[0:1], vcc, s[0:1]
	s_and_saveexec_b64 s[16:17], s[0:1]
	s_xor_b64 s[0:1], exec, s[16:17]
; %bb.192:
	v_cmp_ne_u32_e32 vcc, 0, v71
	s_nop 1
	v_cndmask_b32_e32 v71, 10, v71, vcc
; %bb.193:
	s_andn2_saveexec_b64 s[0:1], s[0:1]
	s_cbranch_execz .LBB26_199
; %bb.194:
	v_cmp_ngt_f64_e64 s[16:17], |v[56:57]|, |v[58:59]|
	s_and_saveexec_b64 s[18:19], s[16:17]
	s_xor_b64 s[16:17], exec, s[18:19]
	s_cbranch_execz .LBB26_196
; %bb.195:
	v_div_scale_f64 v[72:73], s[18:19], v[58:59], v[58:59], v[56:57]
	v_rcp_f64_e32 v[74:75], v[72:73]
	v_div_scale_f64 v[76:77], vcc, v[56:57], v[58:59], v[56:57]
	v_fma_f64 v[78:79], -v[72:73], v[74:75], 1.0
	v_fmac_f64_e32 v[74:75], v[74:75], v[78:79]
	v_fma_f64 v[78:79], -v[72:73], v[74:75], 1.0
	v_fmac_f64_e32 v[74:75], v[74:75], v[78:79]
	v_mul_f64 v[78:79], v[76:77], v[74:75]
	v_fma_f64 v[72:73], -v[72:73], v[78:79], v[76:77]
	v_div_fmas_f64 v[72:73], v[72:73], v[74:75], v[78:79]
	v_div_fixup_f64 v[72:73], v[72:73], v[58:59], v[56:57]
	v_fmac_f64_e32 v[58:59], v[56:57], v[72:73]
	v_div_scale_f64 v[56:57], s[18:19], v[58:59], v[58:59], 1.0
	v_rcp_f64_e32 v[74:75], v[56:57]
	s_nop 0
	v_fma_f64 v[76:77], -v[56:57], v[74:75], 1.0
	v_fmac_f64_e32 v[74:75], v[74:75], v[76:77]
	v_fma_f64 v[76:77], -v[56:57], v[74:75], 1.0
	v_fmac_f64_e32 v[74:75], v[74:75], v[76:77]
	v_div_scale_f64 v[76:77], vcc, 1.0, v[58:59], 1.0
	v_mul_f64 v[78:79], v[76:77], v[74:75]
	v_fma_f64 v[56:57], -v[56:57], v[78:79], v[76:77]
	s_nop 1
	v_div_fmas_f64 v[56:57], v[56:57], v[74:75], v[78:79]
	v_div_fixup_f64 v[58:59], v[56:57], v[58:59], 1.0
	v_mul_f64 v[56:57], v[72:73], v[58:59]
	v_xor_b32_e32 v59, 0x80000000, v59
.LBB26_196:
	s_andn2_saveexec_b64 s[16:17], s[16:17]
	s_cbranch_execz .LBB26_198
; %bb.197:
	v_div_scale_f64 v[72:73], s[18:19], v[56:57], v[56:57], v[58:59]
	v_rcp_f64_e32 v[74:75], v[72:73]
	v_div_scale_f64 v[76:77], vcc, v[58:59], v[56:57], v[58:59]
	v_fma_f64 v[78:79], -v[72:73], v[74:75], 1.0
	v_fmac_f64_e32 v[74:75], v[74:75], v[78:79]
	v_fma_f64 v[78:79], -v[72:73], v[74:75], 1.0
	v_fmac_f64_e32 v[74:75], v[74:75], v[78:79]
	v_mul_f64 v[78:79], v[76:77], v[74:75]
	v_fma_f64 v[72:73], -v[72:73], v[78:79], v[76:77]
	v_div_fmas_f64 v[72:73], v[72:73], v[74:75], v[78:79]
	v_div_fixup_f64 v[72:73], v[72:73], v[56:57], v[58:59]
	v_fmac_f64_e32 v[56:57], v[58:59], v[72:73]
	v_div_scale_f64 v[58:59], s[18:19], v[56:57], v[56:57], 1.0
	v_rcp_f64_e32 v[74:75], v[58:59]
	s_nop 0
	v_fma_f64 v[76:77], -v[58:59], v[74:75], 1.0
	v_fmac_f64_e32 v[74:75], v[74:75], v[76:77]
	v_fma_f64 v[76:77], -v[58:59], v[74:75], 1.0
	v_fmac_f64_e32 v[74:75], v[74:75], v[76:77]
	v_div_scale_f64 v[76:77], vcc, 1.0, v[56:57], 1.0
	v_mul_f64 v[78:79], v[76:77], v[74:75]
	v_fma_f64 v[58:59], -v[58:59], v[78:79], v[76:77]
	s_nop 1
	v_div_fmas_f64 v[58:59], v[58:59], v[74:75], v[78:79]
	v_div_fixup_f64 v[56:57], v[58:59], v[56:57], 1.0
	v_mul_f64 v[58:59], v[72:73], -v[56:57]
.LBB26_198:
	s_or_b64 exec, exec, s[16:17]
.LBB26_199:
	s_or_b64 exec, exec, s[0:1]
	v_cmp_ne_u32_e32 vcc, v67, v66
	s_and_saveexec_b64 s[0:1], vcc
	s_xor_b64 s[0:1], exec, s[0:1]
	s_cbranch_execz .LBB26_205
; %bb.200:
	v_cmp_eq_u32_e32 vcc, 9, v67
	s_and_saveexec_b64 s[16:17], vcc
	s_cbranch_execz .LBB26_204
; %bb.201:
	v_cmp_ne_u32_e32 vcc, 9, v66
	s_xor_b64 s[18:19], s[14:15], -1
	s_and_b64 s[22:23], s[18:19], vcc
	s_and_saveexec_b64 s[18:19], s[22:23]
	s_cbranch_execz .LBB26_203
; %bb.202:
	v_ashrrev_i32_e32 v67, 31, v66
	v_lshl_add_u64 v[72:73], v[66:67], 2, v[64:65]
	global_load_dword v67, v[72:73], off
	global_load_dword v69, v[64:65], off offset:36
	s_waitcnt vmcnt(1)
	global_store_dword v[64:65], v67, off offset:36
	s_waitcnt vmcnt(1)
	global_store_dword v[72:73], v69, off
.LBB26_203:
	s_or_b64 exec, exec, s[18:19]
	v_mov_b32_e32 v67, v66
	v_mov_b32_e32 v70, v66
.LBB26_204:
	s_or_b64 exec, exec, s[16:17]
.LBB26_205:
	s_andn2_saveexec_b64 s[0:1], s[0:1]
	s_cbranch_execz .LBB26_207
; %bb.206:
	v_mov_b32_e32 v67, 9
	s_waitcnt vmcnt(3)
	ds_write2_b64 v68, v[12:13], v[14:15] offset0:20 offset1:21
	s_waitcnt vmcnt(2)
	ds_write2_b64 v68, v[4:5], v[6:7] offset0:22 offset1:23
	;; [unrolled: 2-line block ×4, first 2 shown]
.LBB26_207:
	s_or_b64 exec, exec, s[0:1]
	v_cmp_lt_i32_e32 vcc, 9, v67
	s_waitcnt lgkmcnt(0)
	s_barrier
	s_and_saveexec_b64 s[0:1], vcc
	s_cbranch_execz .LBB26_209
; %bb.208:
	ds_read2_b64 v[72:75], v68 offset0:20 offset1:21
	v_mul_f64 v[76:77], v[56:57], v[10:11]
	v_mul_f64 v[10:11], v[58:59], v[10:11]
	v_fmac_f64_e32 v[76:77], v[58:59], v[8:9]
	v_fma_f64 v[8:9], v[56:57], v[8:9], -v[10:11]
	ds_read2_b64 v[56:59], v68 offset0:22 offset1:23
	s_waitcnt lgkmcnt(1)
	v_mul_f64 v[10:11], v[74:75], v[76:77]
	v_fma_f64 v[10:11], v[72:73], v[8:9], -v[10:11]
	v_mul_f64 v[72:73], v[72:73], v[76:77]
	v_fmac_f64_e32 v[72:73], v[74:75], v[8:9]
	s_waitcnt vmcnt(3)
	v_add_f64 v[12:13], v[12:13], -v[10:11]
	s_waitcnt lgkmcnt(0)
	v_mul_f64 v[10:11], v[58:59], v[76:77]
	v_add_f64 v[14:15], v[14:15], -v[72:73]
	v_fma_f64 v[10:11], v[56:57], v[8:9], -v[10:11]
	v_mul_f64 v[56:57], v[56:57], v[76:77]
	ds_read2_b64 v[72:75], v68 offset0:24 offset1:25
	v_fmac_f64_e32 v[56:57], v[58:59], v[8:9]
	s_waitcnt vmcnt(2)
	v_add_f64 v[6:7], v[6:7], -v[56:57]
	ds_read2_b64 v[56:59], v68 offset0:26 offset1:27
	v_add_f64 v[4:5], v[4:5], -v[10:11]
	s_waitcnt lgkmcnt(1)
	v_mul_f64 v[10:11], v[74:75], v[76:77]
	v_fma_f64 v[10:11], v[72:73], v[8:9], -v[10:11]
	s_waitcnt vmcnt(1)
	v_add_f64 v[0:1], v[0:1], -v[10:11]
	s_waitcnt lgkmcnt(0)
	v_mul_f64 v[10:11], v[58:59], v[76:77]
	v_mul_f64 v[72:73], v[72:73], v[76:77]
	v_fma_f64 v[10:11], v[56:57], v[8:9], -v[10:11]
	v_mul_f64 v[56:57], v[56:57], v[76:77]
	v_fmac_f64_e32 v[72:73], v[74:75], v[8:9]
	v_fmac_f64_e32 v[56:57], v[58:59], v[8:9]
	v_add_f64 v[2:3], v[2:3], -v[72:73]
	s_waitcnt vmcnt(0)
	v_add_f64 v[52:53], v[52:53], -v[10:11]
	v_add_f64 v[54:55], v[54:55], -v[56:57]
	v_mov_b64_e32 v[10:11], v[76:77]
.LBB26_209:
	s_or_b64 exec, exec, s[0:1]
	v_lshl_add_u32 v56, v67, 4, v68
	s_barrier
	s_waitcnt vmcnt(3)
	ds_write2_b64 v56, v[12:13], v[14:15] offset1:1
	s_waitcnt lgkmcnt(0)
	s_barrier
	ds_read2_b64 v[56:59], v68 offset0:20 offset1:21
	s_cmp_lt_i32 s20, 12
	v_mov_b32_e32 v66, 10
	s_cbranch_scc1 .LBB26_212
; %bb.210:
	v_add_u32_e32 v69, 0xb0, v68
	s_mov_b32 s16, 11
	v_mov_b32_e32 v66, 10
.LBB26_211:                             ; =>This Inner Loop Header: Depth=1
	ds_read2_b64 v[72:75], v69 offset1:1
	s_waitcnt lgkmcnt(1)
	v_xor_b32_e32 v77, 0x80000000, v57
	v_xor_b32_e32 v79, 0x80000000, v59
	v_cmp_gt_f64_e32 vcc, 0, v[58:59]
	v_cmp_gt_f64_e64 s[0:1], 0, v[56:57]
	v_mov_b32_e32 v76, v56
	v_mov_b32_e32 v78, v58
	v_cndmask_b32_e64 v77, v57, v77, s[0:1]
	v_cndmask_b32_e32 v79, v59, v79, vcc
	v_add_f64 v[76:77], v[76:77], v[78:79]
	s_waitcnt lgkmcnt(0)
	v_xor_b32_e32 v79, 0x80000000, v73
	v_xor_b32_e32 v81, 0x80000000, v75
	v_cmp_gt_f64_e32 vcc, 0, v[74:75]
	v_cmp_gt_f64_e64 s[0:1], 0, v[72:73]
	v_mov_b32_e32 v78, v72
	v_mov_b32_e32 v80, v74
	v_cndmask_b32_e64 v79, v73, v79, s[0:1]
	v_cndmask_b32_e32 v81, v75, v81, vcc
	v_add_f64 v[78:79], v[78:79], v[80:81]
	v_mov_b32_e32 v82, s16
	s_add_i32 s16, s16, 1
	v_cmp_lt_f64_e32 vcc, v[76:77], v[78:79]
	v_add_u32_e32 v69, 16, v69
	s_cmp_lg_u32 s20, s16
	v_cndmask_b32_e32 v57, v57, v73, vcc
	v_cndmask_b32_e32 v56, v56, v72, vcc
	v_cndmask_b32_e32 v59, v59, v75, vcc
	v_cndmask_b32_e32 v58, v58, v74, vcc
	v_cndmask_b32_e32 v66, v66, v82, vcc
	s_cbranch_scc1 .LBB26_211
.LBB26_212:
	s_waitcnt lgkmcnt(0)
	v_cmp_eq_f64_e32 vcc, 0, v[56:57]
	v_cmp_eq_f64_e64 s[0:1], 0, v[58:59]
	s_and_b64 s[0:1], vcc, s[0:1]
	s_and_saveexec_b64 s[16:17], s[0:1]
	s_xor_b64 s[0:1], exec, s[16:17]
; %bb.213:
	v_cmp_ne_u32_e32 vcc, 0, v71
	s_nop 1
	v_cndmask_b32_e32 v71, 11, v71, vcc
; %bb.214:
	s_andn2_saveexec_b64 s[0:1], s[0:1]
	s_cbranch_execz .LBB26_220
; %bb.215:
	v_cmp_ngt_f64_e64 s[16:17], |v[56:57]|, |v[58:59]|
	s_and_saveexec_b64 s[18:19], s[16:17]
	s_xor_b64 s[16:17], exec, s[18:19]
	s_cbranch_execz .LBB26_217
; %bb.216:
	v_div_scale_f64 v[72:73], s[18:19], v[58:59], v[58:59], v[56:57]
	v_rcp_f64_e32 v[74:75], v[72:73]
	v_div_scale_f64 v[76:77], vcc, v[56:57], v[58:59], v[56:57]
	v_fma_f64 v[78:79], -v[72:73], v[74:75], 1.0
	v_fmac_f64_e32 v[74:75], v[74:75], v[78:79]
	v_fma_f64 v[78:79], -v[72:73], v[74:75], 1.0
	v_fmac_f64_e32 v[74:75], v[74:75], v[78:79]
	v_mul_f64 v[78:79], v[76:77], v[74:75]
	v_fma_f64 v[72:73], -v[72:73], v[78:79], v[76:77]
	v_div_fmas_f64 v[72:73], v[72:73], v[74:75], v[78:79]
	v_div_fixup_f64 v[72:73], v[72:73], v[58:59], v[56:57]
	v_fmac_f64_e32 v[58:59], v[56:57], v[72:73]
	v_div_scale_f64 v[56:57], s[18:19], v[58:59], v[58:59], 1.0
	v_rcp_f64_e32 v[74:75], v[56:57]
	s_nop 0
	v_fma_f64 v[76:77], -v[56:57], v[74:75], 1.0
	v_fmac_f64_e32 v[74:75], v[74:75], v[76:77]
	v_fma_f64 v[76:77], -v[56:57], v[74:75], 1.0
	v_fmac_f64_e32 v[74:75], v[74:75], v[76:77]
	v_div_scale_f64 v[76:77], vcc, 1.0, v[58:59], 1.0
	v_mul_f64 v[78:79], v[76:77], v[74:75]
	v_fma_f64 v[56:57], -v[56:57], v[78:79], v[76:77]
	s_nop 1
	v_div_fmas_f64 v[56:57], v[56:57], v[74:75], v[78:79]
	v_div_fixup_f64 v[58:59], v[56:57], v[58:59], 1.0
	v_mul_f64 v[56:57], v[72:73], v[58:59]
	v_xor_b32_e32 v59, 0x80000000, v59
.LBB26_217:
	s_andn2_saveexec_b64 s[16:17], s[16:17]
	s_cbranch_execz .LBB26_219
; %bb.218:
	v_div_scale_f64 v[72:73], s[18:19], v[56:57], v[56:57], v[58:59]
	v_rcp_f64_e32 v[74:75], v[72:73]
	v_div_scale_f64 v[76:77], vcc, v[58:59], v[56:57], v[58:59]
	v_fma_f64 v[78:79], -v[72:73], v[74:75], 1.0
	v_fmac_f64_e32 v[74:75], v[74:75], v[78:79]
	v_fma_f64 v[78:79], -v[72:73], v[74:75], 1.0
	v_fmac_f64_e32 v[74:75], v[74:75], v[78:79]
	v_mul_f64 v[78:79], v[76:77], v[74:75]
	v_fma_f64 v[72:73], -v[72:73], v[78:79], v[76:77]
	v_div_fmas_f64 v[72:73], v[72:73], v[74:75], v[78:79]
	v_div_fixup_f64 v[72:73], v[72:73], v[56:57], v[58:59]
	v_fmac_f64_e32 v[56:57], v[58:59], v[72:73]
	v_div_scale_f64 v[58:59], s[18:19], v[56:57], v[56:57], 1.0
	v_rcp_f64_e32 v[74:75], v[58:59]
	s_nop 0
	v_fma_f64 v[76:77], -v[58:59], v[74:75], 1.0
	v_fmac_f64_e32 v[74:75], v[74:75], v[76:77]
	v_fma_f64 v[76:77], -v[58:59], v[74:75], 1.0
	v_fmac_f64_e32 v[74:75], v[74:75], v[76:77]
	v_div_scale_f64 v[76:77], vcc, 1.0, v[56:57], 1.0
	v_mul_f64 v[78:79], v[76:77], v[74:75]
	v_fma_f64 v[58:59], -v[58:59], v[78:79], v[76:77]
	s_nop 1
	v_div_fmas_f64 v[58:59], v[58:59], v[74:75], v[78:79]
	v_div_fixup_f64 v[56:57], v[58:59], v[56:57], 1.0
	v_mul_f64 v[58:59], v[72:73], -v[56:57]
.LBB26_219:
	s_or_b64 exec, exec, s[16:17]
.LBB26_220:
	s_or_b64 exec, exec, s[0:1]
	v_cmp_ne_u32_e32 vcc, v67, v66
	s_and_saveexec_b64 s[0:1], vcc
	s_xor_b64 s[0:1], exec, s[0:1]
	s_cbranch_execz .LBB26_226
; %bb.221:
	v_cmp_eq_u32_e32 vcc, 10, v67
	s_and_saveexec_b64 s[16:17], vcc
	s_cbranch_execz .LBB26_225
; %bb.222:
	v_cmp_ne_u32_e32 vcc, 10, v66
	s_xor_b64 s[18:19], s[14:15], -1
	s_and_b64 s[22:23], s[18:19], vcc
	s_and_saveexec_b64 s[18:19], s[22:23]
	s_cbranch_execz .LBB26_224
; %bb.223:
	v_ashrrev_i32_e32 v67, 31, v66
	v_lshl_add_u64 v[72:73], v[66:67], 2, v[64:65]
	global_load_dword v67, v[72:73], off
	global_load_dword v69, v[64:65], off offset:40
	s_waitcnt vmcnt(1)
	global_store_dword v[64:65], v67, off offset:40
	s_waitcnt vmcnt(1)
	global_store_dword v[72:73], v69, off
.LBB26_224:
	s_or_b64 exec, exec, s[18:19]
	v_mov_b32_e32 v67, v66
	v_mov_b32_e32 v70, v66
.LBB26_225:
	s_or_b64 exec, exec, s[16:17]
.LBB26_226:
	s_andn2_saveexec_b64 s[0:1], s[0:1]
	s_cbranch_execz .LBB26_228
; %bb.227:
	v_mov_b32_e32 v67, 10
	s_waitcnt vmcnt(2)
	ds_write2_b64 v68, v[4:5], v[6:7] offset0:22 offset1:23
	s_waitcnt vmcnt(1)
	ds_write2_b64 v68, v[0:1], v[2:3] offset0:24 offset1:25
	;; [unrolled: 2-line block ×3, first 2 shown]
.LBB26_228:
	s_or_b64 exec, exec, s[0:1]
	v_cmp_lt_i32_e32 vcc, 10, v67
	s_waitcnt lgkmcnt(0)
	s_barrier
	s_and_saveexec_b64 s[0:1], vcc
	s_cbranch_execz .LBB26_230
; %bb.229:
	ds_read2_b64 v[72:75], v68 offset0:22 offset1:23
	v_mul_f64 v[76:77], v[56:57], v[14:15]
	v_fmac_f64_e32 v[76:77], v[58:59], v[12:13]
	v_mul_f64 v[14:15], v[58:59], v[14:15]
	v_fma_f64 v[12:13], v[56:57], v[12:13], -v[14:15]
	ds_read2_b64 v[56:59], v68 offset0:24 offset1:25
	s_waitcnt lgkmcnt(1)
	v_mul_f64 v[14:15], v[74:75], v[76:77]
	v_fma_f64 v[14:15], v[72:73], v[12:13], -v[14:15]
	v_mul_f64 v[72:73], v[72:73], v[76:77]
	v_fmac_f64_e32 v[72:73], v[74:75], v[12:13]
	s_waitcnt vmcnt(2)
	v_add_f64 v[6:7], v[6:7], -v[72:73]
	ds_read2_b64 v[72:75], v68 offset0:26 offset1:27
	v_add_f64 v[4:5], v[4:5], -v[14:15]
	s_waitcnt lgkmcnt(1)
	v_mul_f64 v[14:15], v[58:59], v[76:77]
	v_fma_f64 v[14:15], v[56:57], v[12:13], -v[14:15]
	v_mul_f64 v[56:57], v[56:57], v[76:77]
	v_fmac_f64_e32 v[56:57], v[58:59], v[12:13]
	s_waitcnt vmcnt(1)
	v_add_f64 v[0:1], v[0:1], -v[14:15]
	v_add_f64 v[2:3], v[2:3], -v[56:57]
	s_waitcnt lgkmcnt(0)
	v_mul_f64 v[14:15], v[74:75], v[76:77]
	v_mul_f64 v[56:57], v[72:73], v[76:77]
	v_fma_f64 v[14:15], v[72:73], v[12:13], -v[14:15]
	v_fmac_f64_e32 v[56:57], v[74:75], v[12:13]
	s_waitcnt vmcnt(0)
	v_add_f64 v[52:53], v[52:53], -v[14:15]
	v_add_f64 v[54:55], v[54:55], -v[56:57]
	v_mov_b64_e32 v[14:15], v[76:77]
.LBB26_230:
	s_or_b64 exec, exec, s[0:1]
	v_lshl_add_u32 v56, v67, 4, v68
	s_barrier
	s_waitcnt vmcnt(2)
	ds_write2_b64 v56, v[4:5], v[6:7] offset1:1
	s_waitcnt lgkmcnt(0)
	s_barrier
	ds_read2_b64 v[56:59], v68 offset0:22 offset1:23
	s_cmp_lt_i32 s20, 13
	v_mov_b32_e32 v66, 11
	s_cbranch_scc1 .LBB26_233
; %bb.231:
	v_add_u32_e32 v69, 0xc0, v68
	s_mov_b32 s16, 12
	v_mov_b32_e32 v66, 11
.LBB26_232:                             ; =>This Inner Loop Header: Depth=1
	ds_read2_b64 v[72:75], v69 offset1:1
	s_waitcnt lgkmcnt(1)
	v_xor_b32_e32 v77, 0x80000000, v57
	v_xor_b32_e32 v79, 0x80000000, v59
	v_cmp_gt_f64_e32 vcc, 0, v[58:59]
	v_cmp_gt_f64_e64 s[0:1], 0, v[56:57]
	v_mov_b32_e32 v76, v56
	v_mov_b32_e32 v78, v58
	v_cndmask_b32_e64 v77, v57, v77, s[0:1]
	v_cndmask_b32_e32 v79, v59, v79, vcc
	v_add_f64 v[76:77], v[76:77], v[78:79]
	s_waitcnt lgkmcnt(0)
	v_xor_b32_e32 v79, 0x80000000, v73
	v_xor_b32_e32 v81, 0x80000000, v75
	v_cmp_gt_f64_e32 vcc, 0, v[74:75]
	v_cmp_gt_f64_e64 s[0:1], 0, v[72:73]
	v_mov_b32_e32 v78, v72
	v_mov_b32_e32 v80, v74
	v_cndmask_b32_e64 v79, v73, v79, s[0:1]
	v_cndmask_b32_e32 v81, v75, v81, vcc
	v_add_f64 v[78:79], v[78:79], v[80:81]
	v_mov_b32_e32 v82, s16
	s_add_i32 s16, s16, 1
	v_cmp_lt_f64_e32 vcc, v[76:77], v[78:79]
	v_add_u32_e32 v69, 16, v69
	s_cmp_lg_u32 s20, s16
	v_cndmask_b32_e32 v57, v57, v73, vcc
	v_cndmask_b32_e32 v56, v56, v72, vcc
	;; [unrolled: 1-line block ×5, first 2 shown]
	s_cbranch_scc1 .LBB26_232
.LBB26_233:
	s_waitcnt lgkmcnt(0)
	v_cmp_eq_f64_e32 vcc, 0, v[56:57]
	v_cmp_eq_f64_e64 s[0:1], 0, v[58:59]
	s_and_b64 s[0:1], vcc, s[0:1]
	s_and_saveexec_b64 s[16:17], s[0:1]
	s_xor_b64 s[0:1], exec, s[16:17]
; %bb.234:
	v_cmp_ne_u32_e32 vcc, 0, v71
	s_nop 1
	v_cndmask_b32_e32 v71, 12, v71, vcc
; %bb.235:
	s_andn2_saveexec_b64 s[0:1], s[0:1]
	s_cbranch_execz .LBB26_241
; %bb.236:
	v_cmp_ngt_f64_e64 s[16:17], |v[56:57]|, |v[58:59]|
	s_and_saveexec_b64 s[18:19], s[16:17]
	s_xor_b64 s[16:17], exec, s[18:19]
	s_cbranch_execz .LBB26_238
; %bb.237:
	v_div_scale_f64 v[72:73], s[18:19], v[58:59], v[58:59], v[56:57]
	v_rcp_f64_e32 v[74:75], v[72:73]
	v_div_scale_f64 v[76:77], vcc, v[56:57], v[58:59], v[56:57]
	v_fma_f64 v[78:79], -v[72:73], v[74:75], 1.0
	v_fmac_f64_e32 v[74:75], v[74:75], v[78:79]
	v_fma_f64 v[78:79], -v[72:73], v[74:75], 1.0
	v_fmac_f64_e32 v[74:75], v[74:75], v[78:79]
	v_mul_f64 v[78:79], v[76:77], v[74:75]
	v_fma_f64 v[72:73], -v[72:73], v[78:79], v[76:77]
	v_div_fmas_f64 v[72:73], v[72:73], v[74:75], v[78:79]
	v_div_fixup_f64 v[72:73], v[72:73], v[58:59], v[56:57]
	v_fmac_f64_e32 v[58:59], v[56:57], v[72:73]
	v_div_scale_f64 v[56:57], s[18:19], v[58:59], v[58:59], 1.0
	v_rcp_f64_e32 v[74:75], v[56:57]
	s_nop 0
	v_fma_f64 v[76:77], -v[56:57], v[74:75], 1.0
	v_fmac_f64_e32 v[74:75], v[74:75], v[76:77]
	v_fma_f64 v[76:77], -v[56:57], v[74:75], 1.0
	v_fmac_f64_e32 v[74:75], v[74:75], v[76:77]
	v_div_scale_f64 v[76:77], vcc, 1.0, v[58:59], 1.0
	v_mul_f64 v[78:79], v[76:77], v[74:75]
	v_fma_f64 v[56:57], -v[56:57], v[78:79], v[76:77]
	s_nop 1
	v_div_fmas_f64 v[56:57], v[56:57], v[74:75], v[78:79]
	v_div_fixup_f64 v[58:59], v[56:57], v[58:59], 1.0
	v_mul_f64 v[56:57], v[72:73], v[58:59]
	v_xor_b32_e32 v59, 0x80000000, v59
.LBB26_238:
	s_andn2_saveexec_b64 s[16:17], s[16:17]
	s_cbranch_execz .LBB26_240
; %bb.239:
	v_div_scale_f64 v[72:73], s[18:19], v[56:57], v[56:57], v[58:59]
	v_rcp_f64_e32 v[74:75], v[72:73]
	v_div_scale_f64 v[76:77], vcc, v[58:59], v[56:57], v[58:59]
	v_fma_f64 v[78:79], -v[72:73], v[74:75], 1.0
	v_fmac_f64_e32 v[74:75], v[74:75], v[78:79]
	v_fma_f64 v[78:79], -v[72:73], v[74:75], 1.0
	v_fmac_f64_e32 v[74:75], v[74:75], v[78:79]
	v_mul_f64 v[78:79], v[76:77], v[74:75]
	v_fma_f64 v[72:73], -v[72:73], v[78:79], v[76:77]
	v_div_fmas_f64 v[72:73], v[72:73], v[74:75], v[78:79]
	v_div_fixup_f64 v[72:73], v[72:73], v[56:57], v[58:59]
	v_fmac_f64_e32 v[56:57], v[58:59], v[72:73]
	v_div_scale_f64 v[58:59], s[18:19], v[56:57], v[56:57], 1.0
	v_rcp_f64_e32 v[74:75], v[58:59]
	s_nop 0
	v_fma_f64 v[76:77], -v[58:59], v[74:75], 1.0
	v_fmac_f64_e32 v[74:75], v[74:75], v[76:77]
	v_fma_f64 v[76:77], -v[58:59], v[74:75], 1.0
	v_fmac_f64_e32 v[74:75], v[74:75], v[76:77]
	v_div_scale_f64 v[76:77], vcc, 1.0, v[56:57], 1.0
	v_mul_f64 v[78:79], v[76:77], v[74:75]
	v_fma_f64 v[58:59], -v[58:59], v[78:79], v[76:77]
	s_nop 1
	v_div_fmas_f64 v[58:59], v[58:59], v[74:75], v[78:79]
	v_div_fixup_f64 v[56:57], v[58:59], v[56:57], 1.0
	v_mul_f64 v[58:59], v[72:73], -v[56:57]
.LBB26_240:
	s_or_b64 exec, exec, s[16:17]
.LBB26_241:
	s_or_b64 exec, exec, s[0:1]
	v_cmp_ne_u32_e32 vcc, v67, v66
	s_and_saveexec_b64 s[0:1], vcc
	s_xor_b64 s[0:1], exec, s[0:1]
	s_cbranch_execz .LBB26_247
; %bb.242:
	v_cmp_eq_u32_e32 vcc, 11, v67
	s_and_saveexec_b64 s[16:17], vcc
	s_cbranch_execz .LBB26_246
; %bb.243:
	v_cmp_ne_u32_e32 vcc, 11, v66
	s_xor_b64 s[18:19], s[14:15], -1
	s_and_b64 s[22:23], s[18:19], vcc
	s_and_saveexec_b64 s[18:19], s[22:23]
	s_cbranch_execz .LBB26_245
; %bb.244:
	v_ashrrev_i32_e32 v67, 31, v66
	v_lshl_add_u64 v[72:73], v[66:67], 2, v[64:65]
	global_load_dword v67, v[72:73], off
	global_load_dword v69, v[64:65], off offset:44
	s_waitcnt vmcnt(1)
	global_store_dword v[64:65], v67, off offset:44
	s_waitcnt vmcnt(1)
	global_store_dword v[72:73], v69, off
.LBB26_245:
	s_or_b64 exec, exec, s[18:19]
	v_mov_b32_e32 v67, v66
	v_mov_b32_e32 v70, v66
.LBB26_246:
	s_or_b64 exec, exec, s[16:17]
.LBB26_247:
	s_andn2_saveexec_b64 s[0:1], s[0:1]
	s_cbranch_execz .LBB26_249
; %bb.248:
	v_mov_b32_e32 v67, 11
	s_waitcnt vmcnt(1)
	ds_write2_b64 v68, v[0:1], v[2:3] offset0:24 offset1:25
	s_waitcnt vmcnt(0)
	ds_write2_b64 v68, v[52:53], v[54:55] offset0:26 offset1:27
.LBB26_249:
	s_or_b64 exec, exec, s[0:1]
	v_cmp_lt_i32_e32 vcc, 11, v67
	s_waitcnt lgkmcnt(0)
	s_barrier
	s_and_saveexec_b64 s[0:1], vcc
	s_cbranch_execz .LBB26_251
; %bb.250:
	ds_read2_b64 v[72:75], v68 offset0:24 offset1:25
	v_mul_f64 v[76:77], v[56:57], v[6:7]
	v_mul_f64 v[6:7], v[58:59], v[6:7]
	v_fmac_f64_e32 v[76:77], v[58:59], v[4:5]
	v_fma_f64 v[4:5], v[56:57], v[4:5], -v[6:7]
	ds_read2_b64 v[56:59], v68 offset0:26 offset1:27
	s_waitcnt lgkmcnt(1)
	v_mul_f64 v[6:7], v[74:75], v[76:77]
	v_fma_f64 v[6:7], v[72:73], v[4:5], -v[6:7]
	s_waitcnt vmcnt(1)
	v_add_f64 v[0:1], v[0:1], -v[6:7]
	v_mul_f64 v[72:73], v[72:73], v[76:77]
	s_waitcnt lgkmcnt(0)
	v_mul_f64 v[6:7], v[58:59], v[76:77]
	v_fma_f64 v[6:7], v[56:57], v[4:5], -v[6:7]
	v_mul_f64 v[56:57], v[56:57], v[76:77]
	v_fmac_f64_e32 v[72:73], v[74:75], v[4:5]
	v_fmac_f64_e32 v[56:57], v[58:59], v[4:5]
	v_add_f64 v[2:3], v[2:3], -v[72:73]
	s_waitcnt vmcnt(0)
	v_add_f64 v[52:53], v[52:53], -v[6:7]
	v_add_f64 v[54:55], v[54:55], -v[56:57]
	v_mov_b64_e32 v[6:7], v[76:77]
.LBB26_251:
	s_or_b64 exec, exec, s[0:1]
	v_lshl_add_u32 v56, v67, 4, v68
	s_barrier
	s_waitcnt vmcnt(1)
	ds_write2_b64 v56, v[0:1], v[2:3] offset1:1
	s_waitcnt lgkmcnt(0)
	s_barrier
	ds_read2_b64 v[56:59], v68 offset0:24 offset1:25
	s_cmp_lt_i32 s20, 14
	v_mov_b32_e32 v66, 12
	s_cbranch_scc1 .LBB26_254
; %bb.252:
	v_add_u32_e32 v69, 0xd0, v68
	s_mov_b32 s16, 13
	v_mov_b32_e32 v66, 12
.LBB26_253:                             ; =>This Inner Loop Header: Depth=1
	ds_read2_b64 v[72:75], v69 offset1:1
	s_waitcnt lgkmcnt(1)
	v_xor_b32_e32 v77, 0x80000000, v57
	v_xor_b32_e32 v79, 0x80000000, v59
	v_cmp_gt_f64_e32 vcc, 0, v[58:59]
	v_cmp_gt_f64_e64 s[0:1], 0, v[56:57]
	v_mov_b32_e32 v76, v56
	v_mov_b32_e32 v78, v58
	v_cndmask_b32_e64 v77, v57, v77, s[0:1]
	v_cndmask_b32_e32 v79, v59, v79, vcc
	v_add_f64 v[76:77], v[76:77], v[78:79]
	s_waitcnt lgkmcnt(0)
	v_xor_b32_e32 v79, 0x80000000, v73
	v_xor_b32_e32 v81, 0x80000000, v75
	v_cmp_gt_f64_e32 vcc, 0, v[74:75]
	v_cmp_gt_f64_e64 s[0:1], 0, v[72:73]
	v_mov_b32_e32 v78, v72
	v_mov_b32_e32 v80, v74
	v_cndmask_b32_e64 v79, v73, v79, s[0:1]
	v_cndmask_b32_e32 v81, v75, v81, vcc
	v_add_f64 v[78:79], v[78:79], v[80:81]
	v_mov_b32_e32 v82, s16
	s_add_i32 s16, s16, 1
	v_cmp_lt_f64_e32 vcc, v[76:77], v[78:79]
	v_add_u32_e32 v69, 16, v69
	s_cmp_lg_u32 s20, s16
	v_cndmask_b32_e32 v57, v57, v73, vcc
	v_cndmask_b32_e32 v56, v56, v72, vcc
	;; [unrolled: 1-line block ×5, first 2 shown]
	s_cbranch_scc1 .LBB26_253
.LBB26_254:
	s_waitcnt lgkmcnt(0)
	v_cmp_eq_f64_e32 vcc, 0, v[56:57]
	v_cmp_eq_f64_e64 s[0:1], 0, v[58:59]
	s_and_b64 s[0:1], vcc, s[0:1]
	s_and_saveexec_b64 s[16:17], s[0:1]
	s_xor_b64 s[0:1], exec, s[16:17]
; %bb.255:
	v_cmp_ne_u32_e32 vcc, 0, v71
	s_nop 1
	v_cndmask_b32_e32 v71, 13, v71, vcc
; %bb.256:
	s_andn2_saveexec_b64 s[0:1], s[0:1]
	s_cbranch_execz .LBB26_262
; %bb.257:
	v_cmp_ngt_f64_e64 s[16:17], |v[56:57]|, |v[58:59]|
	s_and_saveexec_b64 s[18:19], s[16:17]
	s_xor_b64 s[16:17], exec, s[18:19]
	s_cbranch_execz .LBB26_259
; %bb.258:
	v_div_scale_f64 v[72:73], s[18:19], v[58:59], v[58:59], v[56:57]
	v_rcp_f64_e32 v[74:75], v[72:73]
	v_div_scale_f64 v[76:77], vcc, v[56:57], v[58:59], v[56:57]
	v_fma_f64 v[78:79], -v[72:73], v[74:75], 1.0
	v_fmac_f64_e32 v[74:75], v[74:75], v[78:79]
	v_fma_f64 v[78:79], -v[72:73], v[74:75], 1.0
	v_fmac_f64_e32 v[74:75], v[74:75], v[78:79]
	v_mul_f64 v[78:79], v[76:77], v[74:75]
	v_fma_f64 v[72:73], -v[72:73], v[78:79], v[76:77]
	v_div_fmas_f64 v[72:73], v[72:73], v[74:75], v[78:79]
	v_div_fixup_f64 v[72:73], v[72:73], v[58:59], v[56:57]
	v_fmac_f64_e32 v[58:59], v[56:57], v[72:73]
	v_div_scale_f64 v[56:57], s[18:19], v[58:59], v[58:59], 1.0
	v_rcp_f64_e32 v[74:75], v[56:57]
	s_nop 0
	v_fma_f64 v[76:77], -v[56:57], v[74:75], 1.0
	v_fmac_f64_e32 v[74:75], v[74:75], v[76:77]
	v_fma_f64 v[76:77], -v[56:57], v[74:75], 1.0
	v_fmac_f64_e32 v[74:75], v[74:75], v[76:77]
	v_div_scale_f64 v[76:77], vcc, 1.0, v[58:59], 1.0
	v_mul_f64 v[78:79], v[76:77], v[74:75]
	v_fma_f64 v[56:57], -v[56:57], v[78:79], v[76:77]
	s_nop 1
	v_div_fmas_f64 v[56:57], v[56:57], v[74:75], v[78:79]
	v_div_fixup_f64 v[58:59], v[56:57], v[58:59], 1.0
	v_mul_f64 v[56:57], v[72:73], v[58:59]
	v_xor_b32_e32 v59, 0x80000000, v59
.LBB26_259:
	s_andn2_saveexec_b64 s[16:17], s[16:17]
	s_cbranch_execz .LBB26_261
; %bb.260:
	v_div_scale_f64 v[72:73], s[18:19], v[56:57], v[56:57], v[58:59]
	v_rcp_f64_e32 v[74:75], v[72:73]
	v_div_scale_f64 v[76:77], vcc, v[58:59], v[56:57], v[58:59]
	v_fma_f64 v[78:79], -v[72:73], v[74:75], 1.0
	v_fmac_f64_e32 v[74:75], v[74:75], v[78:79]
	v_fma_f64 v[78:79], -v[72:73], v[74:75], 1.0
	v_fmac_f64_e32 v[74:75], v[74:75], v[78:79]
	v_mul_f64 v[78:79], v[76:77], v[74:75]
	v_fma_f64 v[72:73], -v[72:73], v[78:79], v[76:77]
	v_div_fmas_f64 v[72:73], v[72:73], v[74:75], v[78:79]
	v_div_fixup_f64 v[72:73], v[72:73], v[56:57], v[58:59]
	v_fmac_f64_e32 v[56:57], v[58:59], v[72:73]
	v_div_scale_f64 v[58:59], s[18:19], v[56:57], v[56:57], 1.0
	v_rcp_f64_e32 v[74:75], v[58:59]
	s_nop 0
	v_fma_f64 v[76:77], -v[58:59], v[74:75], 1.0
	v_fmac_f64_e32 v[74:75], v[74:75], v[76:77]
	v_fma_f64 v[76:77], -v[58:59], v[74:75], 1.0
	v_fmac_f64_e32 v[74:75], v[74:75], v[76:77]
	v_div_scale_f64 v[76:77], vcc, 1.0, v[56:57], 1.0
	v_mul_f64 v[78:79], v[76:77], v[74:75]
	v_fma_f64 v[58:59], -v[58:59], v[78:79], v[76:77]
	s_nop 1
	v_div_fmas_f64 v[58:59], v[58:59], v[74:75], v[78:79]
	v_div_fixup_f64 v[56:57], v[58:59], v[56:57], 1.0
	v_mul_f64 v[58:59], v[72:73], -v[56:57]
.LBB26_261:
	s_or_b64 exec, exec, s[16:17]
.LBB26_262:
	s_or_b64 exec, exec, s[0:1]
	v_cmp_ne_u32_e32 vcc, v67, v66
	s_and_saveexec_b64 s[0:1], vcc
	s_xor_b64 s[0:1], exec, s[0:1]
	s_cbranch_execz .LBB26_268
; %bb.263:
	v_cmp_eq_u32_e32 vcc, 12, v67
	s_and_saveexec_b64 s[16:17], vcc
	s_cbranch_execz .LBB26_267
; %bb.264:
	v_cmp_ne_u32_e32 vcc, 12, v66
	s_xor_b64 s[18:19], s[14:15], -1
	s_and_b64 s[22:23], s[18:19], vcc
	s_and_saveexec_b64 s[18:19], s[22:23]
	s_cbranch_execz .LBB26_266
; %bb.265:
	v_ashrrev_i32_e32 v67, 31, v66
	v_lshl_add_u64 v[72:73], v[66:67], 2, v[64:65]
	global_load_dword v67, v[72:73], off
	global_load_dword v69, v[64:65], off offset:48
	s_waitcnt vmcnt(1)
	global_store_dword v[64:65], v67, off offset:48
	s_waitcnt vmcnt(1)
	global_store_dword v[72:73], v69, off
.LBB26_266:
	s_or_b64 exec, exec, s[18:19]
	v_mov_b32_e32 v67, v66
	v_mov_b32_e32 v70, v66
.LBB26_267:
	s_or_b64 exec, exec, s[16:17]
.LBB26_268:
	s_andn2_saveexec_b64 s[0:1], s[0:1]
	s_cbranch_execz .LBB26_270
; %bb.269:
	v_mov_b32_e32 v67, 12
	s_waitcnt vmcnt(0)
	ds_write2_b64 v68, v[52:53], v[54:55] offset0:26 offset1:27
.LBB26_270:
	s_or_b64 exec, exec, s[0:1]
	v_cmp_lt_i32_e32 vcc, 12, v67
	s_waitcnt lgkmcnt(0)
	s_barrier
	s_and_saveexec_b64 s[0:1], vcc
	s_cbranch_execz .LBB26_272
; %bb.271:
	ds_read2_b64 v[72:75], v68 offset0:26 offset1:27
	v_mul_f64 v[76:77], v[56:57], v[2:3]
	v_mul_f64 v[2:3], v[58:59], v[2:3]
	v_fmac_f64_e32 v[76:77], v[58:59], v[0:1]
	v_fma_f64 v[0:1], v[56:57], v[0:1], -v[2:3]
	s_waitcnt lgkmcnt(0)
	v_mul_f64 v[2:3], v[74:75], v[76:77]
	v_mul_f64 v[56:57], v[72:73], v[76:77]
	v_fma_f64 v[2:3], v[72:73], v[0:1], -v[2:3]
	v_fmac_f64_e32 v[56:57], v[74:75], v[0:1]
	s_waitcnt vmcnt(0)
	v_add_f64 v[52:53], v[52:53], -v[2:3]
	v_add_f64 v[54:55], v[54:55], -v[56:57]
	v_mov_b64_e32 v[2:3], v[76:77]
.LBB26_272:
	s_or_b64 exec, exec, s[0:1]
	v_lshl_add_u32 v56, v67, 4, v68
	s_barrier
	s_waitcnt vmcnt(0)
	ds_write2_b64 v56, v[52:53], v[54:55] offset1:1
	s_waitcnt lgkmcnt(0)
	s_barrier
	ds_read2_b64 v[56:59], v68 offset0:26 offset1:27
	s_cmp_lt_i32 s20, 15
	v_mov_b32_e32 v66, 13
	s_cbranch_scc1 .LBB26_275
; %bb.273:
	v_add_u32_e32 v68, 0xe0, v68
	s_mov_b32 s16, 14
	v_mov_b32_e32 v66, 13
.LBB26_274:                             ; =>This Inner Loop Header: Depth=1
	ds_read2_b64 v[72:75], v68 offset1:1
	s_waitcnt lgkmcnt(1)
	v_xor_b32_e32 v69, 0x80000000, v57
	v_xor_b32_e32 v79, 0x80000000, v59
	v_cmp_gt_f64_e32 vcc, 0, v[58:59]
	v_cmp_gt_f64_e64 s[0:1], 0, v[56:57]
	v_mov_b32_e32 v76, v56
	v_mov_b32_e32 v78, v58
	v_cndmask_b32_e64 v77, v57, v69, s[0:1]
	v_cndmask_b32_e32 v79, v59, v79, vcc
	s_waitcnt lgkmcnt(0)
	v_xor_b32_e32 v69, 0x80000000, v73
	v_xor_b32_e32 v81, 0x80000000, v75
	v_cmp_gt_f64_e32 vcc, 0, v[74:75]
	v_cmp_gt_f64_e64 s[0:1], 0, v[72:73]
	v_add_f64 v[76:77], v[76:77], v[78:79]
	v_mov_b32_e32 v78, v72
	v_mov_b32_e32 v80, v74
	v_cndmask_b32_e64 v79, v73, v69, s[0:1]
	v_cndmask_b32_e32 v81, v75, v81, vcc
	v_add_f64 v[78:79], v[78:79], v[80:81]
	v_mov_b32_e32 v82, s16
	s_add_i32 s16, s16, 1
	v_cmp_lt_f64_e32 vcc, v[76:77], v[78:79]
	v_add_u32_e32 v68, 16, v68
	s_cmp_lg_u32 s20, s16
	v_cndmask_b32_e32 v57, v57, v73, vcc
	v_cndmask_b32_e32 v56, v56, v72, vcc
	;; [unrolled: 1-line block ×5, first 2 shown]
	s_cbranch_scc1 .LBB26_274
.LBB26_275:
	s_waitcnt lgkmcnt(0)
	v_cmp_eq_f64_e32 vcc, 0, v[56:57]
	v_cmp_eq_f64_e64 s[0:1], 0, v[58:59]
	s_and_b64 s[0:1], vcc, s[0:1]
	s_and_saveexec_b64 s[16:17], s[0:1]
	s_xor_b64 s[0:1], exec, s[16:17]
; %bb.276:
	v_cmp_ne_u32_e32 vcc, 0, v71
	s_nop 1
	v_cndmask_b32_e32 v71, 14, v71, vcc
; %bb.277:
	s_andn2_saveexec_b64 s[0:1], s[0:1]
	s_cbranch_execz .LBB26_283
; %bb.278:
	v_cmp_ngt_f64_e64 s[16:17], |v[56:57]|, |v[58:59]|
	s_and_saveexec_b64 s[18:19], s[16:17]
	s_xor_b64 s[16:17], exec, s[18:19]
	s_cbranch_execz .LBB26_280
; %bb.279:
	v_div_scale_f64 v[68:69], s[18:19], v[58:59], v[58:59], v[56:57]
	v_rcp_f64_e32 v[72:73], v[68:69]
	v_div_scale_f64 v[74:75], vcc, v[56:57], v[58:59], v[56:57]
	v_fma_f64 v[76:77], -v[68:69], v[72:73], 1.0
	v_fmac_f64_e32 v[72:73], v[72:73], v[76:77]
	v_fma_f64 v[76:77], -v[68:69], v[72:73], 1.0
	v_fmac_f64_e32 v[72:73], v[72:73], v[76:77]
	v_mul_f64 v[76:77], v[74:75], v[72:73]
	v_fma_f64 v[68:69], -v[68:69], v[76:77], v[74:75]
	v_div_fmas_f64 v[68:69], v[68:69], v[72:73], v[76:77]
	v_div_fixup_f64 v[68:69], v[68:69], v[58:59], v[56:57]
	v_fmac_f64_e32 v[58:59], v[56:57], v[68:69]
	v_div_scale_f64 v[56:57], s[18:19], v[58:59], v[58:59], 1.0
	v_rcp_f64_e32 v[72:73], v[56:57]
	s_nop 0
	v_fma_f64 v[74:75], -v[56:57], v[72:73], 1.0
	v_fmac_f64_e32 v[72:73], v[72:73], v[74:75]
	v_fma_f64 v[74:75], -v[56:57], v[72:73], 1.0
	v_fmac_f64_e32 v[72:73], v[72:73], v[74:75]
	v_div_scale_f64 v[74:75], vcc, 1.0, v[58:59], 1.0
	v_mul_f64 v[76:77], v[74:75], v[72:73]
	v_fma_f64 v[56:57], -v[56:57], v[76:77], v[74:75]
	s_nop 1
	v_div_fmas_f64 v[56:57], v[56:57], v[72:73], v[76:77]
	v_div_fixup_f64 v[58:59], v[56:57], v[58:59], 1.0
	v_mul_f64 v[56:57], v[68:69], v[58:59]
	v_xor_b32_e32 v59, 0x80000000, v59
.LBB26_280:
	s_andn2_saveexec_b64 s[16:17], s[16:17]
	s_cbranch_execz .LBB26_282
; %bb.281:
	v_div_scale_f64 v[68:69], s[18:19], v[56:57], v[56:57], v[58:59]
	v_rcp_f64_e32 v[72:73], v[68:69]
	v_div_scale_f64 v[74:75], vcc, v[58:59], v[56:57], v[58:59]
	v_fma_f64 v[76:77], -v[68:69], v[72:73], 1.0
	v_fmac_f64_e32 v[72:73], v[72:73], v[76:77]
	v_fma_f64 v[76:77], -v[68:69], v[72:73], 1.0
	v_fmac_f64_e32 v[72:73], v[72:73], v[76:77]
	v_mul_f64 v[76:77], v[74:75], v[72:73]
	v_fma_f64 v[68:69], -v[68:69], v[76:77], v[74:75]
	v_div_fmas_f64 v[68:69], v[68:69], v[72:73], v[76:77]
	v_div_fixup_f64 v[68:69], v[68:69], v[56:57], v[58:59]
	v_fmac_f64_e32 v[56:57], v[58:59], v[68:69]
	v_div_scale_f64 v[58:59], s[18:19], v[56:57], v[56:57], 1.0
	v_rcp_f64_e32 v[72:73], v[58:59]
	s_nop 0
	v_fma_f64 v[74:75], -v[58:59], v[72:73], 1.0
	v_fmac_f64_e32 v[72:73], v[72:73], v[74:75]
	v_fma_f64 v[74:75], -v[58:59], v[72:73], 1.0
	v_fmac_f64_e32 v[72:73], v[72:73], v[74:75]
	v_div_scale_f64 v[74:75], vcc, 1.0, v[56:57], 1.0
	v_mul_f64 v[76:77], v[74:75], v[72:73]
	v_fma_f64 v[58:59], -v[58:59], v[76:77], v[74:75]
	s_nop 1
	v_div_fmas_f64 v[58:59], v[58:59], v[72:73], v[76:77]
	v_div_fixup_f64 v[56:57], v[58:59], v[56:57], 1.0
	v_mul_f64 v[58:59], v[68:69], -v[56:57]
.LBB26_282:
	s_or_b64 exec, exec, s[16:17]
.LBB26_283:
	s_or_b64 exec, exec, s[0:1]
	v_cmp_ne_u32_e32 vcc, v67, v66
	v_mov_b32_e32 v68, 13
	s_and_saveexec_b64 s[0:1], vcc
	s_cbranch_execz .LBB26_289
; %bb.284:
	v_cmp_eq_u32_e32 vcc, 13, v67
	s_and_saveexec_b64 s[16:17], vcc
	s_cbranch_execz .LBB26_288
; %bb.285:
	v_cmp_ne_u32_e32 vcc, 13, v66
	s_xor_b64 s[14:15], s[14:15], -1
	s_and_b64 s[18:19], s[14:15], vcc
	s_and_saveexec_b64 s[14:15], s[18:19]
	s_cbranch_execz .LBB26_287
; %bb.286:
	v_ashrrev_i32_e32 v67, 31, v66
	v_lshl_add_u64 v[68:69], v[66:67], 2, v[64:65]
	global_load_dword v67, v[68:69], off
	global_load_dword v70, v[64:65], off offset:52
	s_waitcnt vmcnt(1)
	global_store_dword v[64:65], v67, off offset:52
	s_waitcnt vmcnt(1)
	global_store_dword v[68:69], v70, off
.LBB26_287:
	s_or_b64 exec, exec, s[14:15]
	v_mov_b32_e32 v67, v66
	v_mov_b32_e32 v70, v66
.LBB26_288:
	s_or_b64 exec, exec, s[16:17]
	v_mov_b32_e32 v68, v67
.LBB26_289:
	s_or_b64 exec, exec, s[0:1]
	v_cmp_gt_i32_e32 vcc, 14, v68
	v_ashrrev_i32_e32 v69, 31, v68
	s_barrier
	s_barrier
	s_and_saveexec_b64 s[0:1], vcc
	s_cbranch_execz .LBB26_291
; %bb.290:
	v_mov_b32_e32 v64, s6
	v_mov_b32_e32 v65, s7
	v_mul_lo_u32 v72, s11, v62
	v_mul_lo_u32 v73, s10, v63
	v_mad_u64_u32 v[66:67], s[6:7], s10, v62, 0
	v_add3_u32 v67, v67, v73, v72
	v_lshl_add_u64 v[64:65], v[66:67], 2, v[64:65]
	v_lshl_add_u64 v[64:65], s[8:9], 2, v[64:65]
	;; [unrolled: 1-line block ×3, first 2 shown]
	v_add3_u32 v66, v70, s13, 1
	global_store_dword v[64:65], v66, off
.LBB26_291:
	s_or_b64 exec, exec, s[0:1]
	v_cmp_eq_u32_e32 vcc, 0, v68
	s_and_saveexec_b64 s[6:7], vcc
	s_cbranch_execz .LBB26_294
; %bb.292:
	v_mov_b32_e32 v64, s4
	v_mov_b32_e32 v65, s5
	v_lshl_add_u64 v[62:63], v[62:63], 2, v[64:65]
	global_load_dword v64, v[62:63], off
	v_cmp_ne_u32_e64 s[0:1], 0, v71
	s_waitcnt vmcnt(0)
	v_cmp_eq_u32_e32 vcc, 0, v64
	s_and_b64 s[0:1], vcc, s[0:1]
	s_and_b64 exec, exec, s[0:1]
	s_cbranch_execz .LBB26_294
; %bb.293:
	v_add_u32_e32 v64, s13, v71
	global_store_dword v[62:63], v64, off
.LBB26_294:
	s_or_b64 exec, exec, s[6:7]
	v_mul_f64 v[62:63], v[58:59], v[54:55]
	v_fma_f64 v[62:63], v[56:57], v[52:53], -v[62:63]
	v_mul_f64 v[56:57], v[56:57], v[54:55]
	v_fmac_f64_e32 v[56:57], v[58:59], v[52:53]
	v_cmp_lt_i32_e32 vcc, 13, v68
	s_nop 1
	v_cndmask_b32_e32 v55, v55, v57, vcc
	v_cndmask_b32_e32 v54, v54, v56, vcc
	v_lshl_add_u64 v[56:57], v[68:69], 4, v[60:61]
	global_store_dwordx4 v[56:57], v[48:51], off
	v_cndmask_b32_e32 v53, v53, v63, vcc
	v_cndmask_b32_e32 v52, v52, v62, vcc
	v_lshl_add_u64 v[48:49], s[2:3], 4, v[56:57]
	global_store_dwordx4 v[48:49], v[44:47], off
	s_nop 1
	v_add_u32_e32 v44, s12, v68
	v_ashrrev_i32_e32 v45, 31, v44
	v_lshl_add_u64 v[46:47], v[44:45], 4, v[60:61]
	global_store_dwordx4 v[46:47], v[40:43], off
	s_nop 1
	v_add_u32_e32 v40, s2, v44
	v_ashrrev_i32_e32 v41, 31, v40
	;; [unrolled: 5-line block ×3, first 2 shown]
	v_lshl_add_u64 v[34:35], v[32:33], 4, v[60:61]
	v_add_u32_e32 v32, s2, v32
	v_ashrrev_i32_e32 v33, 31, v32
	global_store_dwordx4 v[34:35], v[36:39], off
	v_lshl_add_u64 v[34:35], v[32:33], 4, v[60:61]
	global_store_dwordx4 v[34:35], v[28:31], off
	s_nop 1
	v_add_u32_e32 v28, s2, v32
	v_ashrrev_i32_e32 v29, 31, v28
	v_lshl_add_u64 v[30:31], v[28:29], 4, v[60:61]
	global_store_dwordx4 v[30:31], v[24:27], off
	s_nop 1
	v_add_u32_e32 v24, s2, v28
	v_ashrrev_i32_e32 v25, 31, v24
	;; [unrolled: 5-line block ×5, first 2 shown]
	v_lshl_add_u64 v[10:11], v[8:9], 4, v[60:61]
	v_add_u32_e32 v8, s2, v8
	v_ashrrev_i32_e32 v9, 31, v8
	global_store_dwordx4 v[10:11], v[12:15], off
	v_lshl_add_u64 v[10:11], v[8:9], 4, v[60:61]
	global_store_dwordx4 v[10:11], v[4:7], off
	s_nop 1
	v_add_u32_e32 v4, s2, v8
	v_ashrrev_i32_e32 v5, 31, v4
	v_lshl_add_u64 v[6:7], v[4:5], 4, v[60:61]
	global_store_dwordx4 v[6:7], v[0:3], off
	s_nop 1
	v_add_u32_e32 v0, s2, v4
	v_ashrrev_i32_e32 v1, 31, v0
	v_lshl_add_u64 v[0:1], v[0:1], 4, v[60:61]
	global_store_dwordx4 v[0:1], v[52:55], off
.LBB26_295:
	s_endpgm
	.section	.rodata,"a",@progbits
	.p2align	6, 0x0
	.amdhsa_kernel _ZN9rocsolver6v33100L18getf2_small_kernelILi14E19rocblas_complex_numIdEiiPS3_EEvT1_T3_lS5_lPS5_llPT2_S5_S5_S7_l
		.amdhsa_group_segment_fixed_size 0
		.amdhsa_private_segment_fixed_size 0
		.amdhsa_kernarg_size 352
		.amdhsa_user_sgpr_count 2
		.amdhsa_user_sgpr_dispatch_ptr 0
		.amdhsa_user_sgpr_queue_ptr 0
		.amdhsa_user_sgpr_kernarg_segment_ptr 1
		.amdhsa_user_sgpr_dispatch_id 0
		.amdhsa_user_sgpr_kernarg_preload_length 0
		.amdhsa_user_sgpr_kernarg_preload_offset 0
		.amdhsa_user_sgpr_private_segment_size 0
		.amdhsa_uses_dynamic_stack 0
		.amdhsa_enable_private_segment 0
		.amdhsa_system_sgpr_workgroup_id_x 1
		.amdhsa_system_sgpr_workgroup_id_y 1
		.amdhsa_system_sgpr_workgroup_id_z 0
		.amdhsa_system_sgpr_workgroup_info 0
		.amdhsa_system_vgpr_workitem_id 1
		.amdhsa_next_free_vgpr 85
		.amdhsa_next_free_sgpr 24
		.amdhsa_accum_offset 88
		.amdhsa_reserve_vcc 1
		.amdhsa_float_round_mode_32 0
		.amdhsa_float_round_mode_16_64 0
		.amdhsa_float_denorm_mode_32 3
		.amdhsa_float_denorm_mode_16_64 3
		.amdhsa_dx10_clamp 1
		.amdhsa_ieee_mode 1
		.amdhsa_fp16_overflow 0
		.amdhsa_tg_split 0
		.amdhsa_exception_fp_ieee_invalid_op 0
		.amdhsa_exception_fp_denorm_src 0
		.amdhsa_exception_fp_ieee_div_zero 0
		.amdhsa_exception_fp_ieee_overflow 0
		.amdhsa_exception_fp_ieee_underflow 0
		.amdhsa_exception_fp_ieee_inexact 0
		.amdhsa_exception_int_div_zero 0
	.end_amdhsa_kernel
	.section	.text._ZN9rocsolver6v33100L18getf2_small_kernelILi14E19rocblas_complex_numIdEiiPS3_EEvT1_T3_lS5_lPS5_llPT2_S5_S5_S7_l,"axG",@progbits,_ZN9rocsolver6v33100L18getf2_small_kernelILi14E19rocblas_complex_numIdEiiPS3_EEvT1_T3_lS5_lPS5_llPT2_S5_S5_S7_l,comdat
.Lfunc_end26:
	.size	_ZN9rocsolver6v33100L18getf2_small_kernelILi14E19rocblas_complex_numIdEiiPS3_EEvT1_T3_lS5_lPS5_llPT2_S5_S5_S7_l, .Lfunc_end26-_ZN9rocsolver6v33100L18getf2_small_kernelILi14E19rocblas_complex_numIdEiiPS3_EEvT1_T3_lS5_lPS5_llPT2_S5_S5_S7_l
                                        ; -- End function
	.set _ZN9rocsolver6v33100L18getf2_small_kernelILi14E19rocblas_complex_numIdEiiPS3_EEvT1_T3_lS5_lPS5_llPT2_S5_S5_S7_l.num_vgpr, 85
	.set _ZN9rocsolver6v33100L18getf2_small_kernelILi14E19rocblas_complex_numIdEiiPS3_EEvT1_T3_lS5_lPS5_llPT2_S5_S5_S7_l.num_agpr, 0
	.set _ZN9rocsolver6v33100L18getf2_small_kernelILi14E19rocblas_complex_numIdEiiPS3_EEvT1_T3_lS5_lPS5_llPT2_S5_S5_S7_l.numbered_sgpr, 24
	.set _ZN9rocsolver6v33100L18getf2_small_kernelILi14E19rocblas_complex_numIdEiiPS3_EEvT1_T3_lS5_lPS5_llPT2_S5_S5_S7_l.num_named_barrier, 0
	.set _ZN9rocsolver6v33100L18getf2_small_kernelILi14E19rocblas_complex_numIdEiiPS3_EEvT1_T3_lS5_lPS5_llPT2_S5_S5_S7_l.private_seg_size, 0
	.set _ZN9rocsolver6v33100L18getf2_small_kernelILi14E19rocblas_complex_numIdEiiPS3_EEvT1_T3_lS5_lPS5_llPT2_S5_S5_S7_l.uses_vcc, 1
	.set _ZN9rocsolver6v33100L18getf2_small_kernelILi14E19rocblas_complex_numIdEiiPS3_EEvT1_T3_lS5_lPS5_llPT2_S5_S5_S7_l.uses_flat_scratch, 0
	.set _ZN9rocsolver6v33100L18getf2_small_kernelILi14E19rocblas_complex_numIdEiiPS3_EEvT1_T3_lS5_lPS5_llPT2_S5_S5_S7_l.has_dyn_sized_stack, 0
	.set _ZN9rocsolver6v33100L18getf2_small_kernelILi14E19rocblas_complex_numIdEiiPS3_EEvT1_T3_lS5_lPS5_llPT2_S5_S5_S7_l.has_recursion, 0
	.set _ZN9rocsolver6v33100L18getf2_small_kernelILi14E19rocblas_complex_numIdEiiPS3_EEvT1_T3_lS5_lPS5_llPT2_S5_S5_S7_l.has_indirect_call, 0
	.section	.AMDGPU.csdata,"",@progbits
; Kernel info:
; codeLenInByte = 19712
; TotalNumSgprs: 30
; NumVgprs: 85
; NumAgprs: 0
; TotalNumVgprs: 85
; ScratchSize: 0
; MemoryBound: 0
; FloatMode: 240
; IeeeMode: 1
; LDSByteSize: 0 bytes/workgroup (compile time only)
; SGPRBlocks: 3
; VGPRBlocks: 10
; NumSGPRsForWavesPerEU: 30
; NumVGPRsForWavesPerEU: 85
; AccumOffset: 88
; Occupancy: 5
; WaveLimiterHint : 0
; COMPUTE_PGM_RSRC2:SCRATCH_EN: 0
; COMPUTE_PGM_RSRC2:USER_SGPR: 2
; COMPUTE_PGM_RSRC2:TRAP_HANDLER: 0
; COMPUTE_PGM_RSRC2:TGID_X_EN: 1
; COMPUTE_PGM_RSRC2:TGID_Y_EN: 1
; COMPUTE_PGM_RSRC2:TGID_Z_EN: 0
; COMPUTE_PGM_RSRC2:TIDIG_COMP_CNT: 1
; COMPUTE_PGM_RSRC3_GFX90A:ACCUM_OFFSET: 21
; COMPUTE_PGM_RSRC3_GFX90A:TG_SPLIT: 0
	.section	.text._ZN9rocsolver6v33100L23getf2_npvt_small_kernelILi14E19rocblas_complex_numIdEiiPS3_EEvT1_T3_lS5_lPT2_S5_S5_,"axG",@progbits,_ZN9rocsolver6v33100L23getf2_npvt_small_kernelILi14E19rocblas_complex_numIdEiiPS3_EEvT1_T3_lS5_lPT2_S5_S5_,comdat
	.globl	_ZN9rocsolver6v33100L23getf2_npvt_small_kernelILi14E19rocblas_complex_numIdEiiPS3_EEvT1_T3_lS5_lPT2_S5_S5_ ; -- Begin function _ZN9rocsolver6v33100L23getf2_npvt_small_kernelILi14E19rocblas_complex_numIdEiiPS3_EEvT1_T3_lS5_lPT2_S5_S5_
	.p2align	8
	.type	_ZN9rocsolver6v33100L23getf2_npvt_small_kernelILi14E19rocblas_complex_numIdEiiPS3_EEvT1_T3_lS5_lPT2_S5_S5_,@function
_ZN9rocsolver6v33100L23getf2_npvt_small_kernelILi14E19rocblas_complex_numIdEiiPS3_EEvT1_T3_lS5_lPT2_S5_S5_: ; @_ZN9rocsolver6v33100L23getf2_npvt_small_kernelILi14E19rocblas_complex_numIdEiiPS3_EEvT1_T3_lS5_lPT2_S5_S5_
; %bb.0:
	s_load_dword s2, s[0:1], 0x44
	s_load_dwordx2 s[8:9], s[0:1], 0x30
	v_bfe_u32 v56, v0, 10, 10
	s_waitcnt lgkmcnt(0)
	s_lshr_b32 s10, s2, 16
	s_mul_i32 s3, s3, s10
	v_add_u32_e32 v134, s3, v56
	v_cmp_gt_i32_e32 vcc, s8, v134
	s_and_saveexec_b64 s[2:3], vcc
	s_cbranch_execz .LBB27_129
; %bb.1:
	s_load_dwordx4 s[12:15], s[0:1], 0x8
	s_load_dword s2, s[0:1], 0x18
	s_load_dwordx4 s[4:7], s[0:1], 0x20
	v_and_b32_e32 v142, 0x3ff, v0
	v_ashrrev_i32_e32 v135, 31, v134
	s_waitcnt lgkmcnt(0)
	v_mov_b32_e32 v2, s12
	v_mov_b32_e32 v3, s13
	v_mad_u64_u32 v[0:1], s[0:1], s4, v134, 0
	v_mul_lo_u32 v4, s5, v134
	v_mul_lo_u32 v5, s4, v135
	s_add_i32 s0, s2, s2
	v_add3_u32 v1, v1, v5, v4
	v_add_u32_e32 v8, s0, v142
	v_lshl_add_u64 v[0:1], v[0:1], 4, v[2:3]
	v_add_u32_e32 v16, s2, v8
	v_lshl_add_u64 v[24:25], s[14:15], 4, v[0:1]
	v_ashrrev_i32_e32 v17, 31, v16
	v_lshl_add_u64 v[118:119], v[16:17], 4, v[24:25]
	v_add_u32_e32 v16, s2, v16
	v_add_u32_e32 v26, s2, v16
	v_ashrrev_i32_e32 v27, 31, v26
	v_lshl_add_u64 v[122:123], v[26:27], 4, v[24:25]
	v_add_u32_e32 v26, s2, v26
	v_ashrrev_i32_e32 v27, 31, v26
	v_lshl_add_u64 v[124:125], v[26:27], 4, v[24:25]
	;; [unrolled: 3-line block ×7, first 2 shown]
	v_add_u32_e32 v26, s2, v26
	v_ashrrev_i32_e32 v27, 31, v26
	v_lshlrev_b32_e32 v0, 4, v142
	v_mov_b32_e32 v1, 0
	v_ashrrev_i32_e32 v9, 31, v8
	v_ashrrev_i32_e32 v17, 31, v16
	v_lshl_add_u64 v[138:139], v[26:27], 4, v[24:25]
	v_add_u32_e32 v26, s2, v26
	s_ashr_i32 s3, s2, 31
	v_lshl_add_u64 v[112:113], v[24:25], 0, v[0:1]
	v_lshl_add_u64 v[116:117], v[8:9], 4, v[24:25]
	;; [unrolled: 1-line block ×3, first 2 shown]
	v_ashrrev_i32_e32 v27, 31, v26
	v_lshl_add_u64 v[114:115], s[2:3], 4, v[112:113]
	global_load_dwordx4 v[4:7], v[112:113], off
	global_load_dwordx4 v[0:3], v[114:115], off
	;; [unrolled: 1-line block ×6, first 2 shown]
	v_lshl_add_u64 v[140:141], v[26:27], 4, v[24:25]
	global_load_dwordx4 v[48:51], v[124:125], off
	global_load_dwordx4 v[44:47], v[126:127], off
	;; [unrolled: 1-line block ×8, first 2 shown]
	s_mulk_i32 s10, 0xe0
	s_movk_i32 s0, 0xe0
	s_add_i32 s1, s10, 0
	v_mad_u32_u24 v144, v56, s0, 0
	v_lshl_add_u32 v143, v56, 4, s1
	v_cmp_ne_u32_e64 s[2:3], 0, v142
	v_cmp_eq_u32_e64 s[0:1], 0, v142
	s_and_saveexec_b64 s[10:11], s[0:1]
	s_cbranch_execz .LBB27_8
; %bb.2:
	s_waitcnt vmcnt(13)
	ds_write2_b64 v143, v[4:5], v[6:7] offset1:1
	s_waitcnt vmcnt(12)
	ds_write2_b64 v144, v[0:1], v[2:3] offset0:2 offset1:3
	s_waitcnt vmcnt(11)
	ds_write2_b64 v144, v[12:13], v[14:15] offset0:4 offset1:5
	;; [unrolled: 2-line block ×13, first 2 shown]
	ds_read2_b64 v[56:59], v143 offset1:1
	s_waitcnt lgkmcnt(0)
	v_cmp_neq_f64_e32 vcc, 0, v[56:57]
	v_cmp_neq_f64_e64 s[4:5], 0, v[58:59]
	s_or_b64 s[4:5], vcc, s[4:5]
	s_and_b64 exec, exec, s[4:5]
	s_cbranch_execz .LBB27_8
; %bb.3:
	v_cmp_ngt_f64_e64 s[4:5], |v[56:57]|, |v[58:59]|
                                        ; implicit-def: $vgpr60_vgpr61
	s_and_saveexec_b64 s[12:13], s[4:5]
	s_xor_b64 s[4:5], exec, s[12:13]
                                        ; implicit-def: $vgpr62_vgpr63
	s_cbranch_execz .LBB27_5
; %bb.4:
	v_div_scale_f64 v[60:61], s[12:13], v[58:59], v[58:59], v[56:57]
	v_rcp_f64_e32 v[62:63], v[60:61]
	v_div_scale_f64 v[64:65], vcc, v[56:57], v[58:59], v[56:57]
	v_fma_f64 v[66:67], -v[60:61], v[62:63], 1.0
	v_fmac_f64_e32 v[62:63], v[62:63], v[66:67]
	v_fma_f64 v[66:67], -v[60:61], v[62:63], 1.0
	v_fmac_f64_e32 v[62:63], v[62:63], v[66:67]
	v_mul_f64 v[66:67], v[64:65], v[62:63]
	v_fma_f64 v[60:61], -v[60:61], v[66:67], v[64:65]
	v_div_fmas_f64 v[60:61], v[60:61], v[62:63], v[66:67]
	v_div_fixup_f64 v[60:61], v[60:61], v[58:59], v[56:57]
	v_fmac_f64_e32 v[58:59], v[56:57], v[60:61]
	v_div_scale_f64 v[56:57], s[12:13], v[58:59], v[58:59], 1.0
	v_rcp_f64_e32 v[62:63], v[56:57]
	s_nop 0
	v_fma_f64 v[64:65], -v[56:57], v[62:63], 1.0
	v_fmac_f64_e32 v[62:63], v[62:63], v[64:65]
	v_fma_f64 v[64:65], -v[56:57], v[62:63], 1.0
	v_fmac_f64_e32 v[62:63], v[62:63], v[64:65]
	v_div_scale_f64 v[64:65], vcc, 1.0, v[58:59], 1.0
	v_mul_f64 v[66:67], v[64:65], v[62:63]
	v_fma_f64 v[56:57], -v[56:57], v[66:67], v[64:65]
	s_nop 1
	v_div_fmas_f64 v[56:57], v[56:57], v[62:63], v[66:67]
	v_div_fixup_f64 v[62:63], v[56:57], v[58:59], 1.0
	v_mul_f64 v[60:61], v[60:61], v[62:63]
	v_xor_b32_e32 v63, 0x80000000, v63
                                        ; implicit-def: $vgpr56_vgpr57
.LBB27_5:
	s_andn2_saveexec_b64 s[4:5], s[4:5]
	s_cbranch_execz .LBB27_7
; %bb.6:
	v_div_scale_f64 v[60:61], s[12:13], v[56:57], v[56:57], v[58:59]
	v_rcp_f64_e32 v[62:63], v[60:61]
	v_div_scale_f64 v[64:65], vcc, v[58:59], v[56:57], v[58:59]
	v_fma_f64 v[66:67], -v[60:61], v[62:63], 1.0
	v_fmac_f64_e32 v[62:63], v[62:63], v[66:67]
	v_fma_f64 v[66:67], -v[60:61], v[62:63], 1.0
	v_fmac_f64_e32 v[62:63], v[62:63], v[66:67]
	v_mul_f64 v[66:67], v[64:65], v[62:63]
	v_fma_f64 v[60:61], -v[60:61], v[66:67], v[64:65]
	v_div_fmas_f64 v[60:61], v[60:61], v[62:63], v[66:67]
	v_div_fixup_f64 v[62:63], v[60:61], v[56:57], v[58:59]
	v_fmac_f64_e32 v[56:57], v[58:59], v[62:63]
	v_div_scale_f64 v[58:59], s[12:13], v[56:57], v[56:57], 1.0
	v_rcp_f64_e32 v[60:61], v[58:59]
	s_nop 0
	v_fma_f64 v[64:65], -v[58:59], v[60:61], 1.0
	v_fmac_f64_e32 v[60:61], v[60:61], v[64:65]
	v_fma_f64 v[64:65], -v[58:59], v[60:61], 1.0
	v_fmac_f64_e32 v[60:61], v[60:61], v[64:65]
	v_div_scale_f64 v[64:65], vcc, 1.0, v[56:57], 1.0
	v_mul_f64 v[66:67], v[64:65], v[60:61]
	v_fma_f64 v[58:59], -v[58:59], v[66:67], v[64:65]
	s_nop 1
	v_div_fmas_f64 v[58:59], v[58:59], v[60:61], v[66:67]
	v_div_fixup_f64 v[60:61], v[58:59], v[56:57], 1.0
	v_mul_f64 v[62:63], v[62:63], -v[60:61]
.LBB27_7:
	s_or_b64 exec, exec, s[4:5]
	ds_write2_b64 v143, v[60:61], v[62:63] offset1:1
.LBB27_8:
	s_or_b64 exec, exec, s[10:11]
	s_waitcnt lgkmcnt(0)
	s_barrier
	ds_read2_b64 v[56:59], v143 offset1:1
	s_and_saveexec_b64 s[4:5], s[2:3]
	s_cbranch_execz .LBB27_10
; %bb.9:
	ds_read2_b64 v[60:63], v144 offset0:2 offset1:3
	ds_read2_b64 v[64:67], v144 offset0:4 offset1:5
	s_waitcnt vmcnt(13) lgkmcnt(2)
	v_mul_f64 v[68:69], v[56:57], v[6:7]
	v_fmac_f64_e32 v[68:69], v[58:59], v[4:5]
	v_mul_f64 v[6:7], v[58:59], v[6:7]
	v_fma_f64 v[4:5], v[56:57], v[4:5], -v[6:7]
	s_waitcnt lgkmcnt(1)
	v_mul_f64 v[6:7], v[62:63], v[68:69]
	v_fma_f64 v[6:7], v[60:61], v[4:5], -v[6:7]
	v_mul_f64 v[60:61], v[60:61], v[68:69]
	v_fmac_f64_e32 v[60:61], v[62:63], v[4:5]
	s_waitcnt vmcnt(12)
	v_add_f64 v[2:3], v[2:3], -v[60:61]
	ds_read2_b64 v[60:63], v144 offset0:6 offset1:7
	v_add_f64 v[0:1], v[0:1], -v[6:7]
	s_waitcnt lgkmcnt(1)
	v_mul_f64 v[6:7], v[66:67], v[68:69]
	v_fma_f64 v[6:7], v[64:65], v[4:5], -v[6:7]
	v_mul_f64 v[64:65], v[64:65], v[68:69]
	v_fmac_f64_e32 v[64:65], v[66:67], v[4:5]
	s_waitcnt vmcnt(11)
	v_add_f64 v[12:13], v[12:13], -v[6:7]
	v_add_f64 v[14:15], v[14:15], -v[64:65]
	ds_read2_b64 v[64:67], v144 offset0:8 offset1:9
	s_waitcnt lgkmcnt(1)
	v_mul_f64 v[6:7], v[62:63], v[68:69]
	v_fma_f64 v[6:7], v[60:61], v[4:5], -v[6:7]
	v_mul_f64 v[60:61], v[60:61], v[68:69]
	v_fmac_f64_e32 v[60:61], v[62:63], v[4:5]
	s_waitcnt vmcnt(10)
	v_add_f64 v[10:11], v[10:11], -v[60:61]
	ds_read2_b64 v[60:63], v144 offset0:10 offset1:11
	v_add_f64 v[8:9], v[8:9], -v[6:7]
	s_waitcnt lgkmcnt(1)
	v_mul_f64 v[6:7], v[66:67], v[68:69]
	v_fma_f64 v[6:7], v[64:65], v[4:5], -v[6:7]
	v_mul_f64 v[64:65], v[64:65], v[68:69]
	v_fmac_f64_e32 v[64:65], v[66:67], v[4:5]
	s_waitcnt vmcnt(9)
	v_add_f64 v[20:21], v[20:21], -v[6:7]
	v_add_f64 v[22:23], v[22:23], -v[64:65]
	ds_read2_b64 v[64:67], v144 offset0:12 offset1:13
	s_waitcnt lgkmcnt(1)
	v_mul_f64 v[6:7], v[62:63], v[68:69]
	v_fma_f64 v[6:7], v[60:61], v[4:5], -v[6:7]
	v_mul_f64 v[60:61], v[60:61], v[68:69]
	v_fmac_f64_e32 v[60:61], v[62:63], v[4:5]
	s_waitcnt vmcnt(8)
	v_add_f64 v[18:19], v[18:19], -v[60:61]
	ds_read2_b64 v[60:63], v144 offset0:14 offset1:15
	v_add_f64 v[16:17], v[16:17], -v[6:7]
	s_waitcnt lgkmcnt(1)
	v_mul_f64 v[6:7], v[66:67], v[68:69]
	v_fma_f64 v[6:7], v[64:65], v[4:5], -v[6:7]
	v_mul_f64 v[64:65], v[64:65], v[68:69]
	v_fmac_f64_e32 v[64:65], v[66:67], v[4:5]
	s_waitcnt vmcnt(7)
	v_add_f64 v[48:49], v[48:49], -v[6:7]
	v_add_f64 v[50:51], v[50:51], -v[64:65]
	ds_read2_b64 v[64:67], v144 offset0:16 offset1:17
	s_waitcnt lgkmcnt(1)
	v_mul_f64 v[6:7], v[62:63], v[68:69]
	v_fma_f64 v[6:7], v[60:61], v[4:5], -v[6:7]
	v_mul_f64 v[60:61], v[60:61], v[68:69]
	v_fmac_f64_e32 v[60:61], v[62:63], v[4:5]
	s_waitcnt vmcnt(6)
	v_add_f64 v[46:47], v[46:47], -v[60:61]
	ds_read2_b64 v[60:63], v144 offset0:18 offset1:19
	v_add_f64 v[44:45], v[44:45], -v[6:7]
	s_waitcnt lgkmcnt(1)
	v_mul_f64 v[6:7], v[66:67], v[68:69]
	v_fma_f64 v[6:7], v[64:65], v[4:5], -v[6:7]
	v_mul_f64 v[64:65], v[64:65], v[68:69]
	v_fmac_f64_e32 v[64:65], v[66:67], v[4:5]
	s_waitcnt vmcnt(5)
	v_add_f64 v[40:41], v[40:41], -v[6:7]
	v_add_f64 v[42:43], v[42:43], -v[64:65]
	ds_read2_b64 v[64:67], v144 offset0:20 offset1:21
	s_waitcnt lgkmcnt(1)
	v_mul_f64 v[6:7], v[62:63], v[68:69]
	v_fma_f64 v[6:7], v[60:61], v[4:5], -v[6:7]
	v_mul_f64 v[60:61], v[60:61], v[68:69]
	v_fmac_f64_e32 v[60:61], v[62:63], v[4:5]
	s_waitcnt vmcnt(4)
	v_add_f64 v[38:39], v[38:39], -v[60:61]
	ds_read2_b64 v[60:63], v144 offset0:22 offset1:23
	v_add_f64 v[36:37], v[36:37], -v[6:7]
	s_waitcnt lgkmcnt(1)
	v_mul_f64 v[6:7], v[66:67], v[68:69]
	v_fma_f64 v[6:7], v[64:65], v[4:5], -v[6:7]
	v_mul_f64 v[64:65], v[64:65], v[68:69]
	v_fmac_f64_e32 v[64:65], v[66:67], v[4:5]
	s_waitcnt vmcnt(3)
	v_add_f64 v[32:33], v[32:33], -v[6:7]
	v_add_f64 v[34:35], v[34:35], -v[64:65]
	ds_read2_b64 v[64:67], v144 offset0:24 offset1:25
	s_waitcnt lgkmcnt(1)
	v_mul_f64 v[6:7], v[62:63], v[68:69]
	v_fma_f64 v[6:7], v[60:61], v[4:5], -v[6:7]
	v_mul_f64 v[60:61], v[60:61], v[68:69]
	v_fmac_f64_e32 v[60:61], v[62:63], v[4:5]
	s_waitcnt vmcnt(2)
	v_add_f64 v[30:31], v[30:31], -v[60:61]
	ds_read2_b64 v[60:63], v144 offset0:26 offset1:27
	v_add_f64 v[28:29], v[28:29], -v[6:7]
	s_waitcnt lgkmcnt(1)
	v_mul_f64 v[6:7], v[66:67], v[68:69]
	v_fma_f64 v[6:7], v[64:65], v[4:5], -v[6:7]
	s_waitcnt vmcnt(1)
	v_add_f64 v[24:25], v[24:25], -v[6:7]
	s_waitcnt lgkmcnt(0)
	v_mul_f64 v[6:7], v[62:63], v[68:69]
	v_mul_f64 v[64:65], v[64:65], v[68:69]
	v_fma_f64 v[6:7], v[60:61], v[4:5], -v[6:7]
	v_mul_f64 v[60:61], v[60:61], v[68:69]
	v_fmac_f64_e32 v[64:65], v[66:67], v[4:5]
	v_fmac_f64_e32 v[60:61], v[62:63], v[4:5]
	v_add_f64 v[26:27], v[26:27], -v[64:65]
	s_waitcnt vmcnt(0)
	v_add_f64 v[52:53], v[52:53], -v[6:7]
	v_add_f64 v[54:55], v[54:55], -v[60:61]
	v_mov_b64_e32 v[6:7], v[68:69]
.LBB27_10:
	s_or_b64 exec, exec, s[4:5]
	v_cmp_eq_u32_e32 vcc, 1, v142
	s_waitcnt lgkmcnt(0)
	s_barrier
	s_and_saveexec_b64 s[4:5], vcc
	s_cbranch_execz .LBB27_17
; %bb.11:
	s_waitcnt vmcnt(12)
	ds_write2_b64 v143, v[0:1], v[2:3] offset1:1
	s_waitcnt vmcnt(11)
	ds_write2_b64 v144, v[12:13], v[14:15] offset0:4 offset1:5
	s_waitcnt vmcnt(10)
	ds_write2_b64 v144, v[8:9], v[10:11] offset0:6 offset1:7
	;; [unrolled: 2-line block ×12, first 2 shown]
	ds_read2_b64 v[60:63], v143 offset1:1
	s_waitcnt lgkmcnt(0)
	v_cmp_neq_f64_e32 vcc, 0, v[60:61]
	v_cmp_neq_f64_e64 s[2:3], 0, v[62:63]
	s_or_b64 s[2:3], vcc, s[2:3]
	s_and_b64 exec, exec, s[2:3]
	s_cbranch_execz .LBB27_17
; %bb.12:
	v_cmp_ngt_f64_e64 s[2:3], |v[60:61]|, |v[62:63]|
                                        ; implicit-def: $vgpr64_vgpr65
	s_and_saveexec_b64 s[10:11], s[2:3]
	s_xor_b64 s[2:3], exec, s[10:11]
                                        ; implicit-def: $vgpr66_vgpr67
	s_cbranch_execz .LBB27_14
; %bb.13:
	v_div_scale_f64 v[64:65], s[10:11], v[62:63], v[62:63], v[60:61]
	v_rcp_f64_e32 v[66:67], v[64:65]
	v_div_scale_f64 v[68:69], vcc, v[60:61], v[62:63], v[60:61]
	v_fma_f64 v[70:71], -v[64:65], v[66:67], 1.0
	v_fmac_f64_e32 v[66:67], v[66:67], v[70:71]
	v_fma_f64 v[70:71], -v[64:65], v[66:67], 1.0
	v_fmac_f64_e32 v[66:67], v[66:67], v[70:71]
	v_mul_f64 v[70:71], v[68:69], v[66:67]
	v_fma_f64 v[64:65], -v[64:65], v[70:71], v[68:69]
	v_div_fmas_f64 v[64:65], v[64:65], v[66:67], v[70:71]
	v_div_fixup_f64 v[64:65], v[64:65], v[62:63], v[60:61]
	v_fmac_f64_e32 v[62:63], v[60:61], v[64:65]
	v_div_scale_f64 v[60:61], s[10:11], v[62:63], v[62:63], 1.0
	v_rcp_f64_e32 v[66:67], v[60:61]
	s_nop 0
	v_fma_f64 v[68:69], -v[60:61], v[66:67], 1.0
	v_fmac_f64_e32 v[66:67], v[66:67], v[68:69]
	v_fma_f64 v[68:69], -v[60:61], v[66:67], 1.0
	v_fmac_f64_e32 v[66:67], v[66:67], v[68:69]
	v_div_scale_f64 v[68:69], vcc, 1.0, v[62:63], 1.0
	v_mul_f64 v[70:71], v[68:69], v[66:67]
	v_fma_f64 v[60:61], -v[60:61], v[70:71], v[68:69]
	s_nop 1
	v_div_fmas_f64 v[60:61], v[60:61], v[66:67], v[70:71]
	v_div_fixup_f64 v[66:67], v[60:61], v[62:63], 1.0
	v_mul_f64 v[64:65], v[64:65], v[66:67]
	v_xor_b32_e32 v67, 0x80000000, v67
                                        ; implicit-def: $vgpr60_vgpr61
.LBB27_14:
	s_andn2_saveexec_b64 s[2:3], s[2:3]
	s_cbranch_execz .LBB27_16
; %bb.15:
	v_div_scale_f64 v[64:65], s[10:11], v[60:61], v[60:61], v[62:63]
	v_rcp_f64_e32 v[66:67], v[64:65]
	v_div_scale_f64 v[68:69], vcc, v[62:63], v[60:61], v[62:63]
	v_fma_f64 v[70:71], -v[64:65], v[66:67], 1.0
	v_fmac_f64_e32 v[66:67], v[66:67], v[70:71]
	v_fma_f64 v[70:71], -v[64:65], v[66:67], 1.0
	v_fmac_f64_e32 v[66:67], v[66:67], v[70:71]
	v_mul_f64 v[70:71], v[68:69], v[66:67]
	v_fma_f64 v[64:65], -v[64:65], v[70:71], v[68:69]
	v_div_fmas_f64 v[64:65], v[64:65], v[66:67], v[70:71]
	v_div_fixup_f64 v[66:67], v[64:65], v[60:61], v[62:63]
	v_fmac_f64_e32 v[60:61], v[62:63], v[66:67]
	v_div_scale_f64 v[62:63], s[10:11], v[60:61], v[60:61], 1.0
	v_rcp_f64_e32 v[64:65], v[62:63]
	s_nop 0
	v_fma_f64 v[68:69], -v[62:63], v[64:65], 1.0
	v_fmac_f64_e32 v[64:65], v[64:65], v[68:69]
	v_fma_f64 v[68:69], -v[62:63], v[64:65], 1.0
	v_fmac_f64_e32 v[64:65], v[64:65], v[68:69]
	v_div_scale_f64 v[68:69], vcc, 1.0, v[60:61], 1.0
	v_mul_f64 v[70:71], v[68:69], v[64:65]
	v_fma_f64 v[62:63], -v[62:63], v[70:71], v[68:69]
	s_nop 1
	v_div_fmas_f64 v[62:63], v[62:63], v[64:65], v[70:71]
	v_div_fixup_f64 v[64:65], v[62:63], v[60:61], 1.0
	v_mul_f64 v[66:67], v[66:67], -v[64:65]
.LBB27_16:
	s_or_b64 exec, exec, s[2:3]
	ds_write2_b64 v143, v[64:65], v[66:67] offset1:1
.LBB27_17:
	s_or_b64 exec, exec, s[4:5]
	s_waitcnt lgkmcnt(0)
	s_barrier
	ds_read2_b64 v[60:63], v143 offset1:1
	v_cmp_lt_u32_e32 vcc, 1, v142
	s_and_saveexec_b64 s[2:3], vcc
	s_cbranch_execz .LBB27_19
; %bb.18:
	ds_read2_b64 v[64:67], v144 offset0:4 offset1:5
	ds_read2_b64 v[68:71], v144 offset0:6 offset1:7
	s_waitcnt vmcnt(12) lgkmcnt(2)
	v_mul_f64 v[72:73], v[60:61], v[2:3]
	v_fmac_f64_e32 v[72:73], v[62:63], v[0:1]
	v_mul_f64 v[2:3], v[62:63], v[2:3]
	v_fma_f64 v[0:1], v[60:61], v[0:1], -v[2:3]
	s_waitcnt lgkmcnt(1)
	v_mul_f64 v[2:3], v[66:67], v[72:73]
	v_fma_f64 v[2:3], v[64:65], v[0:1], -v[2:3]
	v_mul_f64 v[64:65], v[64:65], v[72:73]
	v_fmac_f64_e32 v[64:65], v[66:67], v[0:1]
	s_waitcnt vmcnt(11)
	v_add_f64 v[12:13], v[12:13], -v[2:3]
	v_add_f64 v[14:15], v[14:15], -v[64:65]
	s_waitcnt lgkmcnt(0)
	v_mul_f64 v[2:3], v[70:71], v[72:73]
	ds_read2_b64 v[64:67], v144 offset0:8 offset1:9
	v_fma_f64 v[2:3], v[68:69], v[0:1], -v[2:3]
	v_mul_f64 v[68:69], v[68:69], v[72:73]
	v_fmac_f64_e32 v[68:69], v[70:71], v[0:1]
	s_waitcnt vmcnt(10)
	v_add_f64 v[10:11], v[10:11], -v[68:69]
	ds_read2_b64 v[68:71], v144 offset0:10 offset1:11
	v_add_f64 v[8:9], v[8:9], -v[2:3]
	s_waitcnt lgkmcnt(1)
	v_mul_f64 v[2:3], v[66:67], v[72:73]
	v_fma_f64 v[2:3], v[64:65], v[0:1], -v[2:3]
	v_mul_f64 v[64:65], v[64:65], v[72:73]
	v_fmac_f64_e32 v[64:65], v[66:67], v[0:1]
	s_waitcnt vmcnt(9)
	v_add_f64 v[20:21], v[20:21], -v[2:3]
	v_add_f64 v[22:23], v[22:23], -v[64:65]
	s_waitcnt lgkmcnt(0)
	v_mul_f64 v[2:3], v[70:71], v[72:73]
	ds_read2_b64 v[64:67], v144 offset0:12 offset1:13
	v_fma_f64 v[2:3], v[68:69], v[0:1], -v[2:3]
	v_mul_f64 v[68:69], v[68:69], v[72:73]
	v_fmac_f64_e32 v[68:69], v[70:71], v[0:1]
	s_waitcnt vmcnt(8)
	v_add_f64 v[18:19], v[18:19], -v[68:69]
	ds_read2_b64 v[68:71], v144 offset0:14 offset1:15
	v_add_f64 v[16:17], v[16:17], -v[2:3]
	;; [unrolled: 18-line block ×5, first 2 shown]
	s_waitcnt lgkmcnt(1)
	v_mul_f64 v[2:3], v[66:67], v[72:73]
	v_fma_f64 v[2:3], v[64:65], v[0:1], -v[2:3]
	v_mul_f64 v[64:65], v[64:65], v[72:73]
	v_fmac_f64_e32 v[64:65], v[66:67], v[0:1]
	s_waitcnt vmcnt(1)
	v_add_f64 v[24:25], v[24:25], -v[2:3]
	v_add_f64 v[26:27], v[26:27], -v[64:65]
	s_waitcnt lgkmcnt(0)
	v_mul_f64 v[2:3], v[70:71], v[72:73]
	v_mul_f64 v[64:65], v[68:69], v[72:73]
	v_fma_f64 v[2:3], v[68:69], v[0:1], -v[2:3]
	v_fmac_f64_e32 v[64:65], v[70:71], v[0:1]
	s_waitcnt vmcnt(0)
	v_add_f64 v[52:53], v[52:53], -v[2:3]
	v_add_f64 v[54:55], v[54:55], -v[64:65]
	v_mov_b64_e32 v[2:3], v[72:73]
.LBB27_19:
	s_or_b64 exec, exec, s[2:3]
	v_cmp_eq_u32_e32 vcc, 2, v142
	s_waitcnt lgkmcnt(0)
	s_barrier
	s_and_saveexec_b64 s[4:5], vcc
	s_cbranch_execz .LBB27_26
; %bb.20:
	s_waitcnt vmcnt(11)
	ds_write2_b64 v143, v[12:13], v[14:15] offset1:1
	s_waitcnt vmcnt(10)
	ds_write2_b64 v144, v[8:9], v[10:11] offset0:6 offset1:7
	s_waitcnt vmcnt(9)
	ds_write2_b64 v144, v[20:21], v[22:23] offset0:8 offset1:9
	;; [unrolled: 2-line block ×11, first 2 shown]
	ds_read2_b64 v[64:67], v143 offset1:1
	s_waitcnt lgkmcnt(0)
	v_cmp_neq_f64_e32 vcc, 0, v[64:65]
	v_cmp_neq_f64_e64 s[2:3], 0, v[66:67]
	s_or_b64 s[2:3], vcc, s[2:3]
	s_and_b64 exec, exec, s[2:3]
	s_cbranch_execz .LBB27_26
; %bb.21:
	v_cmp_ngt_f64_e64 s[2:3], |v[64:65]|, |v[66:67]|
                                        ; implicit-def: $vgpr68_vgpr69
	s_and_saveexec_b64 s[10:11], s[2:3]
	s_xor_b64 s[2:3], exec, s[10:11]
                                        ; implicit-def: $vgpr70_vgpr71
	s_cbranch_execz .LBB27_23
; %bb.22:
	v_div_scale_f64 v[68:69], s[10:11], v[66:67], v[66:67], v[64:65]
	v_rcp_f64_e32 v[70:71], v[68:69]
	v_div_scale_f64 v[72:73], vcc, v[64:65], v[66:67], v[64:65]
	v_fma_f64 v[74:75], -v[68:69], v[70:71], 1.0
	v_fmac_f64_e32 v[70:71], v[70:71], v[74:75]
	v_fma_f64 v[74:75], -v[68:69], v[70:71], 1.0
	v_fmac_f64_e32 v[70:71], v[70:71], v[74:75]
	v_mul_f64 v[74:75], v[72:73], v[70:71]
	v_fma_f64 v[68:69], -v[68:69], v[74:75], v[72:73]
	v_div_fmas_f64 v[68:69], v[68:69], v[70:71], v[74:75]
	v_div_fixup_f64 v[68:69], v[68:69], v[66:67], v[64:65]
	v_fmac_f64_e32 v[66:67], v[64:65], v[68:69]
	v_div_scale_f64 v[64:65], s[10:11], v[66:67], v[66:67], 1.0
	v_rcp_f64_e32 v[70:71], v[64:65]
	s_nop 0
	v_fma_f64 v[72:73], -v[64:65], v[70:71], 1.0
	v_fmac_f64_e32 v[70:71], v[70:71], v[72:73]
	v_fma_f64 v[72:73], -v[64:65], v[70:71], 1.0
	v_fmac_f64_e32 v[70:71], v[70:71], v[72:73]
	v_div_scale_f64 v[72:73], vcc, 1.0, v[66:67], 1.0
	v_mul_f64 v[74:75], v[72:73], v[70:71]
	v_fma_f64 v[64:65], -v[64:65], v[74:75], v[72:73]
	s_nop 1
	v_div_fmas_f64 v[64:65], v[64:65], v[70:71], v[74:75]
	v_div_fixup_f64 v[70:71], v[64:65], v[66:67], 1.0
	v_mul_f64 v[68:69], v[68:69], v[70:71]
	v_xor_b32_e32 v71, 0x80000000, v71
                                        ; implicit-def: $vgpr64_vgpr65
.LBB27_23:
	s_andn2_saveexec_b64 s[2:3], s[2:3]
	s_cbranch_execz .LBB27_25
; %bb.24:
	v_div_scale_f64 v[68:69], s[10:11], v[64:65], v[64:65], v[66:67]
	v_rcp_f64_e32 v[70:71], v[68:69]
	v_div_scale_f64 v[72:73], vcc, v[66:67], v[64:65], v[66:67]
	v_fma_f64 v[74:75], -v[68:69], v[70:71], 1.0
	v_fmac_f64_e32 v[70:71], v[70:71], v[74:75]
	v_fma_f64 v[74:75], -v[68:69], v[70:71], 1.0
	v_fmac_f64_e32 v[70:71], v[70:71], v[74:75]
	v_mul_f64 v[74:75], v[72:73], v[70:71]
	v_fma_f64 v[68:69], -v[68:69], v[74:75], v[72:73]
	v_div_fmas_f64 v[68:69], v[68:69], v[70:71], v[74:75]
	v_div_fixup_f64 v[70:71], v[68:69], v[64:65], v[66:67]
	v_fmac_f64_e32 v[64:65], v[66:67], v[70:71]
	v_div_scale_f64 v[66:67], s[10:11], v[64:65], v[64:65], 1.0
	v_rcp_f64_e32 v[68:69], v[66:67]
	s_nop 0
	v_fma_f64 v[72:73], -v[66:67], v[68:69], 1.0
	v_fmac_f64_e32 v[68:69], v[68:69], v[72:73]
	v_fma_f64 v[72:73], -v[66:67], v[68:69], 1.0
	v_fmac_f64_e32 v[68:69], v[68:69], v[72:73]
	v_div_scale_f64 v[72:73], vcc, 1.0, v[64:65], 1.0
	v_mul_f64 v[74:75], v[72:73], v[68:69]
	v_fma_f64 v[66:67], -v[66:67], v[74:75], v[72:73]
	s_nop 1
	v_div_fmas_f64 v[66:67], v[66:67], v[68:69], v[74:75]
	v_div_fixup_f64 v[68:69], v[66:67], v[64:65], 1.0
	v_mul_f64 v[70:71], v[70:71], -v[68:69]
.LBB27_25:
	s_or_b64 exec, exec, s[2:3]
	ds_write2_b64 v143, v[68:69], v[70:71] offset1:1
.LBB27_26:
	s_or_b64 exec, exec, s[4:5]
	s_waitcnt lgkmcnt(0)
	s_barrier
	ds_read2_b64 v[64:67], v143 offset1:1
	v_cmp_lt_u32_e32 vcc, 2, v142
	s_and_saveexec_b64 s[2:3], vcc
	s_cbranch_execz .LBB27_28
; %bb.27:
	ds_read2_b64 v[68:71], v144 offset0:6 offset1:7
	ds_read2_b64 v[72:75], v144 offset0:8 offset1:9
	s_waitcnt vmcnt(11) lgkmcnt(2)
	v_mul_f64 v[76:77], v[64:65], v[14:15]
	v_fmac_f64_e32 v[76:77], v[66:67], v[12:13]
	v_mul_f64 v[14:15], v[66:67], v[14:15]
	v_fma_f64 v[12:13], v[64:65], v[12:13], -v[14:15]
	s_waitcnt lgkmcnt(1)
	v_mul_f64 v[14:15], v[70:71], v[76:77]
	v_fma_f64 v[14:15], v[68:69], v[12:13], -v[14:15]
	v_mul_f64 v[68:69], v[68:69], v[76:77]
	v_fmac_f64_e32 v[68:69], v[70:71], v[12:13]
	s_waitcnt vmcnt(10)
	v_add_f64 v[10:11], v[10:11], -v[68:69]
	ds_read2_b64 v[68:71], v144 offset0:10 offset1:11
	v_add_f64 v[8:9], v[8:9], -v[14:15]
	s_waitcnt lgkmcnt(1)
	v_mul_f64 v[14:15], v[74:75], v[76:77]
	v_fma_f64 v[14:15], v[72:73], v[12:13], -v[14:15]
	v_mul_f64 v[72:73], v[72:73], v[76:77]
	v_fmac_f64_e32 v[72:73], v[74:75], v[12:13]
	s_waitcnt vmcnt(9)
	v_add_f64 v[20:21], v[20:21], -v[14:15]
	v_add_f64 v[22:23], v[22:23], -v[72:73]
	ds_read2_b64 v[72:75], v144 offset0:12 offset1:13
	s_waitcnt lgkmcnt(1)
	v_mul_f64 v[14:15], v[70:71], v[76:77]
	v_fma_f64 v[14:15], v[68:69], v[12:13], -v[14:15]
	v_mul_f64 v[68:69], v[68:69], v[76:77]
	v_fmac_f64_e32 v[68:69], v[70:71], v[12:13]
	s_waitcnt vmcnt(8)
	v_add_f64 v[18:19], v[18:19], -v[68:69]
	ds_read2_b64 v[68:71], v144 offset0:14 offset1:15
	v_add_f64 v[16:17], v[16:17], -v[14:15]
	s_waitcnt lgkmcnt(1)
	v_mul_f64 v[14:15], v[74:75], v[76:77]
	v_fma_f64 v[14:15], v[72:73], v[12:13], -v[14:15]
	v_mul_f64 v[72:73], v[72:73], v[76:77]
	v_fmac_f64_e32 v[72:73], v[74:75], v[12:13]
	s_waitcnt vmcnt(7)
	v_add_f64 v[48:49], v[48:49], -v[14:15]
	v_add_f64 v[50:51], v[50:51], -v[72:73]
	ds_read2_b64 v[72:75], v144 offset0:16 offset1:17
	;; [unrolled: 18-line block ×4, first 2 shown]
	s_waitcnt lgkmcnt(1)
	v_mul_f64 v[14:15], v[70:71], v[76:77]
	v_fma_f64 v[14:15], v[68:69], v[12:13], -v[14:15]
	v_mul_f64 v[68:69], v[68:69], v[76:77]
	v_fmac_f64_e32 v[68:69], v[70:71], v[12:13]
	s_waitcnt vmcnt(2)
	v_add_f64 v[30:31], v[30:31], -v[68:69]
	ds_read2_b64 v[68:71], v144 offset0:26 offset1:27
	v_add_f64 v[28:29], v[28:29], -v[14:15]
	s_waitcnt lgkmcnt(1)
	v_mul_f64 v[14:15], v[74:75], v[76:77]
	v_fma_f64 v[14:15], v[72:73], v[12:13], -v[14:15]
	s_waitcnt vmcnt(1)
	v_add_f64 v[24:25], v[24:25], -v[14:15]
	s_waitcnt lgkmcnt(0)
	v_mul_f64 v[14:15], v[70:71], v[76:77]
	v_mul_f64 v[72:73], v[72:73], v[76:77]
	v_fma_f64 v[14:15], v[68:69], v[12:13], -v[14:15]
	v_mul_f64 v[68:69], v[68:69], v[76:77]
	v_fmac_f64_e32 v[72:73], v[74:75], v[12:13]
	v_fmac_f64_e32 v[68:69], v[70:71], v[12:13]
	v_add_f64 v[26:27], v[26:27], -v[72:73]
	s_waitcnt vmcnt(0)
	v_add_f64 v[52:53], v[52:53], -v[14:15]
	v_add_f64 v[54:55], v[54:55], -v[68:69]
	v_mov_b64_e32 v[14:15], v[76:77]
.LBB27_28:
	s_or_b64 exec, exec, s[2:3]
	v_cmp_eq_u32_e32 vcc, 3, v142
	s_waitcnt lgkmcnt(0)
	s_barrier
	s_and_saveexec_b64 s[4:5], vcc
	s_cbranch_execz .LBB27_35
; %bb.29:
	s_waitcnt vmcnt(10)
	ds_write2_b64 v143, v[8:9], v[10:11] offset1:1
	s_waitcnt vmcnt(9)
	ds_write2_b64 v144, v[20:21], v[22:23] offset0:8 offset1:9
	s_waitcnt vmcnt(8)
	ds_write2_b64 v144, v[16:17], v[18:19] offset0:10 offset1:11
	s_waitcnt vmcnt(7)
	ds_write2_b64 v144, v[48:49], v[50:51] offset0:12 offset1:13
	s_waitcnt vmcnt(6)
	ds_write2_b64 v144, v[44:45], v[46:47] offset0:14 offset1:15
	s_waitcnt vmcnt(5)
	ds_write2_b64 v144, v[40:41], v[42:43] offset0:16 offset1:17
	s_waitcnt vmcnt(4)
	ds_write2_b64 v144, v[36:37], v[38:39] offset0:18 offset1:19
	s_waitcnt vmcnt(3)
	ds_write2_b64 v144, v[32:33], v[34:35] offset0:20 offset1:21
	s_waitcnt vmcnt(2)
	ds_write2_b64 v144, v[28:29], v[30:31] offset0:22 offset1:23
	s_waitcnt vmcnt(1)
	ds_write2_b64 v144, v[24:25], v[26:27] offset0:24 offset1:25
	s_waitcnt vmcnt(0)
	ds_write2_b64 v144, v[52:53], v[54:55] offset0:26 offset1:27
	ds_read2_b64 v[68:71], v143 offset1:1
	s_waitcnt lgkmcnt(0)
	v_cmp_neq_f64_e32 vcc, 0, v[68:69]
	v_cmp_neq_f64_e64 s[2:3], 0, v[70:71]
	s_or_b64 s[2:3], vcc, s[2:3]
	s_and_b64 exec, exec, s[2:3]
	s_cbranch_execz .LBB27_35
; %bb.30:
	v_cmp_ngt_f64_e64 s[2:3], |v[68:69]|, |v[70:71]|
                                        ; implicit-def: $vgpr72_vgpr73
	s_and_saveexec_b64 s[10:11], s[2:3]
	s_xor_b64 s[2:3], exec, s[10:11]
                                        ; implicit-def: $vgpr74_vgpr75
	s_cbranch_execz .LBB27_32
; %bb.31:
	v_div_scale_f64 v[72:73], s[10:11], v[70:71], v[70:71], v[68:69]
	v_rcp_f64_e32 v[74:75], v[72:73]
	v_div_scale_f64 v[76:77], vcc, v[68:69], v[70:71], v[68:69]
	v_fma_f64 v[78:79], -v[72:73], v[74:75], 1.0
	v_fmac_f64_e32 v[74:75], v[74:75], v[78:79]
	v_fma_f64 v[78:79], -v[72:73], v[74:75], 1.0
	v_fmac_f64_e32 v[74:75], v[74:75], v[78:79]
	v_mul_f64 v[78:79], v[76:77], v[74:75]
	v_fma_f64 v[72:73], -v[72:73], v[78:79], v[76:77]
	v_div_fmas_f64 v[72:73], v[72:73], v[74:75], v[78:79]
	v_div_fixup_f64 v[72:73], v[72:73], v[70:71], v[68:69]
	v_fmac_f64_e32 v[70:71], v[68:69], v[72:73]
	v_div_scale_f64 v[68:69], s[10:11], v[70:71], v[70:71], 1.0
	v_rcp_f64_e32 v[74:75], v[68:69]
	s_nop 0
	v_fma_f64 v[76:77], -v[68:69], v[74:75], 1.0
	v_fmac_f64_e32 v[74:75], v[74:75], v[76:77]
	v_fma_f64 v[76:77], -v[68:69], v[74:75], 1.0
	v_fmac_f64_e32 v[74:75], v[74:75], v[76:77]
	v_div_scale_f64 v[76:77], vcc, 1.0, v[70:71], 1.0
	v_mul_f64 v[78:79], v[76:77], v[74:75]
	v_fma_f64 v[68:69], -v[68:69], v[78:79], v[76:77]
	s_nop 1
	v_div_fmas_f64 v[68:69], v[68:69], v[74:75], v[78:79]
	v_div_fixup_f64 v[74:75], v[68:69], v[70:71], 1.0
	v_mul_f64 v[72:73], v[72:73], v[74:75]
	v_xor_b32_e32 v75, 0x80000000, v75
                                        ; implicit-def: $vgpr68_vgpr69
.LBB27_32:
	s_andn2_saveexec_b64 s[2:3], s[2:3]
	s_cbranch_execz .LBB27_34
; %bb.33:
	v_div_scale_f64 v[72:73], s[10:11], v[68:69], v[68:69], v[70:71]
	v_rcp_f64_e32 v[74:75], v[72:73]
	v_div_scale_f64 v[76:77], vcc, v[70:71], v[68:69], v[70:71]
	v_fma_f64 v[78:79], -v[72:73], v[74:75], 1.0
	v_fmac_f64_e32 v[74:75], v[74:75], v[78:79]
	v_fma_f64 v[78:79], -v[72:73], v[74:75], 1.0
	v_fmac_f64_e32 v[74:75], v[74:75], v[78:79]
	v_mul_f64 v[78:79], v[76:77], v[74:75]
	v_fma_f64 v[72:73], -v[72:73], v[78:79], v[76:77]
	v_div_fmas_f64 v[72:73], v[72:73], v[74:75], v[78:79]
	v_div_fixup_f64 v[74:75], v[72:73], v[68:69], v[70:71]
	v_fmac_f64_e32 v[68:69], v[70:71], v[74:75]
	v_div_scale_f64 v[70:71], s[10:11], v[68:69], v[68:69], 1.0
	v_rcp_f64_e32 v[72:73], v[70:71]
	s_nop 0
	v_fma_f64 v[76:77], -v[70:71], v[72:73], 1.0
	v_fmac_f64_e32 v[72:73], v[72:73], v[76:77]
	v_fma_f64 v[76:77], -v[70:71], v[72:73], 1.0
	v_fmac_f64_e32 v[72:73], v[72:73], v[76:77]
	v_div_scale_f64 v[76:77], vcc, 1.0, v[68:69], 1.0
	v_mul_f64 v[78:79], v[76:77], v[72:73]
	v_fma_f64 v[70:71], -v[70:71], v[78:79], v[76:77]
	s_nop 1
	v_div_fmas_f64 v[70:71], v[70:71], v[72:73], v[78:79]
	v_div_fixup_f64 v[72:73], v[70:71], v[68:69], 1.0
	v_mul_f64 v[74:75], v[74:75], -v[72:73]
.LBB27_34:
	s_or_b64 exec, exec, s[2:3]
	ds_write2_b64 v143, v[72:73], v[74:75] offset1:1
.LBB27_35:
	s_or_b64 exec, exec, s[4:5]
	s_waitcnt lgkmcnt(0)
	s_barrier
	ds_read2_b64 v[68:71], v143 offset1:1
	v_cmp_lt_u32_e32 vcc, 3, v142
	s_and_saveexec_b64 s[2:3], vcc
	s_cbranch_execz .LBB27_37
; %bb.36:
	ds_read2_b64 v[72:75], v144 offset0:8 offset1:9
	ds_read2_b64 v[76:79], v144 offset0:10 offset1:11
	s_waitcnt vmcnt(10) lgkmcnt(2)
	v_mul_f64 v[80:81], v[68:69], v[10:11]
	v_fmac_f64_e32 v[80:81], v[70:71], v[8:9]
	v_mul_f64 v[10:11], v[70:71], v[10:11]
	v_fma_f64 v[8:9], v[68:69], v[8:9], -v[10:11]
	s_waitcnt lgkmcnt(1)
	v_mul_f64 v[10:11], v[74:75], v[80:81]
	v_fma_f64 v[10:11], v[72:73], v[8:9], -v[10:11]
	v_mul_f64 v[72:73], v[72:73], v[80:81]
	v_fmac_f64_e32 v[72:73], v[74:75], v[8:9]
	s_waitcnt vmcnt(9)
	v_add_f64 v[20:21], v[20:21], -v[10:11]
	v_add_f64 v[22:23], v[22:23], -v[72:73]
	s_waitcnt lgkmcnt(0)
	v_mul_f64 v[10:11], v[78:79], v[80:81]
	ds_read2_b64 v[72:75], v144 offset0:12 offset1:13
	v_fma_f64 v[10:11], v[76:77], v[8:9], -v[10:11]
	v_mul_f64 v[76:77], v[76:77], v[80:81]
	v_fmac_f64_e32 v[76:77], v[78:79], v[8:9]
	s_waitcnt vmcnt(8)
	v_add_f64 v[18:19], v[18:19], -v[76:77]
	ds_read2_b64 v[76:79], v144 offset0:14 offset1:15
	v_add_f64 v[16:17], v[16:17], -v[10:11]
	s_waitcnt lgkmcnt(1)
	v_mul_f64 v[10:11], v[74:75], v[80:81]
	v_fma_f64 v[10:11], v[72:73], v[8:9], -v[10:11]
	v_mul_f64 v[72:73], v[72:73], v[80:81]
	v_fmac_f64_e32 v[72:73], v[74:75], v[8:9]
	s_waitcnt vmcnt(7)
	v_add_f64 v[48:49], v[48:49], -v[10:11]
	v_add_f64 v[50:51], v[50:51], -v[72:73]
	s_waitcnt lgkmcnt(0)
	v_mul_f64 v[10:11], v[78:79], v[80:81]
	ds_read2_b64 v[72:75], v144 offset0:16 offset1:17
	v_fma_f64 v[10:11], v[76:77], v[8:9], -v[10:11]
	v_mul_f64 v[76:77], v[76:77], v[80:81]
	v_fmac_f64_e32 v[76:77], v[78:79], v[8:9]
	s_waitcnt vmcnt(6)
	v_add_f64 v[46:47], v[46:47], -v[76:77]
	ds_read2_b64 v[76:79], v144 offset0:18 offset1:19
	v_add_f64 v[44:45], v[44:45], -v[10:11]
	;; [unrolled: 18-line block ×4, first 2 shown]
	s_waitcnt lgkmcnt(1)
	v_mul_f64 v[10:11], v[74:75], v[80:81]
	v_fma_f64 v[10:11], v[72:73], v[8:9], -v[10:11]
	v_mul_f64 v[72:73], v[72:73], v[80:81]
	v_fmac_f64_e32 v[72:73], v[74:75], v[8:9]
	s_waitcnt vmcnt(1)
	v_add_f64 v[24:25], v[24:25], -v[10:11]
	v_add_f64 v[26:27], v[26:27], -v[72:73]
	s_waitcnt lgkmcnt(0)
	v_mul_f64 v[10:11], v[78:79], v[80:81]
	v_mul_f64 v[72:73], v[76:77], v[80:81]
	v_fma_f64 v[10:11], v[76:77], v[8:9], -v[10:11]
	v_fmac_f64_e32 v[72:73], v[78:79], v[8:9]
	s_waitcnt vmcnt(0)
	v_add_f64 v[52:53], v[52:53], -v[10:11]
	v_add_f64 v[54:55], v[54:55], -v[72:73]
	v_mov_b64_e32 v[10:11], v[80:81]
.LBB27_37:
	s_or_b64 exec, exec, s[2:3]
	v_cmp_eq_u32_e32 vcc, 4, v142
	s_waitcnt lgkmcnt(0)
	s_barrier
	s_and_saveexec_b64 s[4:5], vcc
	s_cbranch_execz .LBB27_44
; %bb.38:
	s_waitcnt vmcnt(9)
	ds_write2_b64 v143, v[20:21], v[22:23] offset1:1
	s_waitcnt vmcnt(8)
	ds_write2_b64 v144, v[16:17], v[18:19] offset0:10 offset1:11
	s_waitcnt vmcnt(7)
	ds_write2_b64 v144, v[48:49], v[50:51] offset0:12 offset1:13
	;; [unrolled: 2-line block ×9, first 2 shown]
	ds_read2_b64 v[72:75], v143 offset1:1
	s_waitcnt lgkmcnt(0)
	v_cmp_neq_f64_e32 vcc, 0, v[72:73]
	v_cmp_neq_f64_e64 s[2:3], 0, v[74:75]
	s_or_b64 s[2:3], vcc, s[2:3]
	s_and_b64 exec, exec, s[2:3]
	s_cbranch_execz .LBB27_44
; %bb.39:
	v_cmp_ngt_f64_e64 s[2:3], |v[72:73]|, |v[74:75]|
                                        ; implicit-def: $vgpr76_vgpr77
	s_and_saveexec_b64 s[10:11], s[2:3]
	s_xor_b64 s[2:3], exec, s[10:11]
                                        ; implicit-def: $vgpr78_vgpr79
	s_cbranch_execz .LBB27_41
; %bb.40:
	v_div_scale_f64 v[76:77], s[10:11], v[74:75], v[74:75], v[72:73]
	v_rcp_f64_e32 v[78:79], v[76:77]
	v_div_scale_f64 v[80:81], vcc, v[72:73], v[74:75], v[72:73]
	v_fma_f64 v[82:83], -v[76:77], v[78:79], 1.0
	v_fmac_f64_e32 v[78:79], v[78:79], v[82:83]
	v_fma_f64 v[82:83], -v[76:77], v[78:79], 1.0
	v_fmac_f64_e32 v[78:79], v[78:79], v[82:83]
	v_mul_f64 v[82:83], v[80:81], v[78:79]
	v_fma_f64 v[76:77], -v[76:77], v[82:83], v[80:81]
	v_div_fmas_f64 v[76:77], v[76:77], v[78:79], v[82:83]
	v_div_fixup_f64 v[76:77], v[76:77], v[74:75], v[72:73]
	v_fmac_f64_e32 v[74:75], v[72:73], v[76:77]
	v_div_scale_f64 v[72:73], s[10:11], v[74:75], v[74:75], 1.0
	v_rcp_f64_e32 v[78:79], v[72:73]
	s_nop 0
	v_fma_f64 v[80:81], -v[72:73], v[78:79], 1.0
	v_fmac_f64_e32 v[78:79], v[78:79], v[80:81]
	v_fma_f64 v[80:81], -v[72:73], v[78:79], 1.0
	v_fmac_f64_e32 v[78:79], v[78:79], v[80:81]
	v_div_scale_f64 v[80:81], vcc, 1.0, v[74:75], 1.0
	v_mul_f64 v[82:83], v[80:81], v[78:79]
	v_fma_f64 v[72:73], -v[72:73], v[82:83], v[80:81]
	s_nop 1
	v_div_fmas_f64 v[72:73], v[72:73], v[78:79], v[82:83]
	v_div_fixup_f64 v[78:79], v[72:73], v[74:75], 1.0
	v_mul_f64 v[76:77], v[76:77], v[78:79]
	v_xor_b32_e32 v79, 0x80000000, v79
                                        ; implicit-def: $vgpr72_vgpr73
.LBB27_41:
	s_andn2_saveexec_b64 s[2:3], s[2:3]
	s_cbranch_execz .LBB27_43
; %bb.42:
	v_div_scale_f64 v[76:77], s[10:11], v[72:73], v[72:73], v[74:75]
	v_rcp_f64_e32 v[78:79], v[76:77]
	v_div_scale_f64 v[80:81], vcc, v[74:75], v[72:73], v[74:75]
	v_fma_f64 v[82:83], -v[76:77], v[78:79], 1.0
	v_fmac_f64_e32 v[78:79], v[78:79], v[82:83]
	v_fma_f64 v[82:83], -v[76:77], v[78:79], 1.0
	v_fmac_f64_e32 v[78:79], v[78:79], v[82:83]
	v_mul_f64 v[82:83], v[80:81], v[78:79]
	v_fma_f64 v[76:77], -v[76:77], v[82:83], v[80:81]
	v_div_fmas_f64 v[76:77], v[76:77], v[78:79], v[82:83]
	v_div_fixup_f64 v[78:79], v[76:77], v[72:73], v[74:75]
	v_fmac_f64_e32 v[72:73], v[74:75], v[78:79]
	v_div_scale_f64 v[74:75], s[10:11], v[72:73], v[72:73], 1.0
	v_rcp_f64_e32 v[76:77], v[74:75]
	s_nop 0
	v_fma_f64 v[80:81], -v[74:75], v[76:77], 1.0
	v_fmac_f64_e32 v[76:77], v[76:77], v[80:81]
	v_fma_f64 v[80:81], -v[74:75], v[76:77], 1.0
	v_fmac_f64_e32 v[76:77], v[76:77], v[80:81]
	v_div_scale_f64 v[80:81], vcc, 1.0, v[72:73], 1.0
	v_mul_f64 v[82:83], v[80:81], v[76:77]
	v_fma_f64 v[74:75], -v[74:75], v[82:83], v[80:81]
	s_nop 1
	v_div_fmas_f64 v[74:75], v[74:75], v[76:77], v[82:83]
	v_div_fixup_f64 v[76:77], v[74:75], v[72:73], 1.0
	v_mul_f64 v[78:79], v[78:79], -v[76:77]
.LBB27_43:
	s_or_b64 exec, exec, s[2:3]
	ds_write2_b64 v143, v[76:77], v[78:79] offset1:1
.LBB27_44:
	s_or_b64 exec, exec, s[4:5]
	s_waitcnt lgkmcnt(0)
	s_barrier
	ds_read2_b64 v[72:75], v143 offset1:1
	v_cmp_lt_u32_e32 vcc, 4, v142
	s_and_saveexec_b64 s[2:3], vcc
	s_cbranch_execz .LBB27_46
; %bb.45:
	ds_read2_b64 v[76:79], v144 offset0:10 offset1:11
	ds_read2_b64 v[80:83], v144 offset0:12 offset1:13
	s_waitcnt vmcnt(9) lgkmcnt(2)
	v_mul_f64 v[84:85], v[72:73], v[22:23]
	v_fmac_f64_e32 v[84:85], v[74:75], v[20:21]
	v_mul_f64 v[22:23], v[74:75], v[22:23]
	v_fma_f64 v[20:21], v[72:73], v[20:21], -v[22:23]
	s_waitcnt lgkmcnt(1)
	v_mul_f64 v[22:23], v[78:79], v[84:85]
	v_fma_f64 v[22:23], v[76:77], v[20:21], -v[22:23]
	v_mul_f64 v[76:77], v[76:77], v[84:85]
	v_fmac_f64_e32 v[76:77], v[78:79], v[20:21]
	s_waitcnt vmcnt(8)
	v_add_f64 v[18:19], v[18:19], -v[76:77]
	ds_read2_b64 v[76:79], v144 offset0:14 offset1:15
	v_add_f64 v[16:17], v[16:17], -v[22:23]
	s_waitcnt lgkmcnt(1)
	v_mul_f64 v[22:23], v[82:83], v[84:85]
	v_fma_f64 v[22:23], v[80:81], v[20:21], -v[22:23]
	v_mul_f64 v[80:81], v[80:81], v[84:85]
	v_fmac_f64_e32 v[80:81], v[82:83], v[20:21]
	s_waitcnt vmcnt(7)
	v_add_f64 v[48:49], v[48:49], -v[22:23]
	v_add_f64 v[50:51], v[50:51], -v[80:81]
	ds_read2_b64 v[80:83], v144 offset0:16 offset1:17
	s_waitcnt lgkmcnt(1)
	v_mul_f64 v[22:23], v[78:79], v[84:85]
	v_fma_f64 v[22:23], v[76:77], v[20:21], -v[22:23]
	v_mul_f64 v[76:77], v[76:77], v[84:85]
	v_fmac_f64_e32 v[76:77], v[78:79], v[20:21]
	s_waitcnt vmcnt(6)
	v_add_f64 v[46:47], v[46:47], -v[76:77]
	ds_read2_b64 v[76:79], v144 offset0:18 offset1:19
	v_add_f64 v[44:45], v[44:45], -v[22:23]
	s_waitcnt lgkmcnt(1)
	v_mul_f64 v[22:23], v[82:83], v[84:85]
	v_fma_f64 v[22:23], v[80:81], v[20:21], -v[22:23]
	v_mul_f64 v[80:81], v[80:81], v[84:85]
	v_fmac_f64_e32 v[80:81], v[82:83], v[20:21]
	s_waitcnt vmcnt(5)
	v_add_f64 v[40:41], v[40:41], -v[22:23]
	v_add_f64 v[42:43], v[42:43], -v[80:81]
	ds_read2_b64 v[80:83], v144 offset0:20 offset1:21
	;; [unrolled: 18-line block ×3, first 2 shown]
	s_waitcnt lgkmcnt(1)
	v_mul_f64 v[22:23], v[78:79], v[84:85]
	v_fma_f64 v[22:23], v[76:77], v[20:21], -v[22:23]
	v_mul_f64 v[76:77], v[76:77], v[84:85]
	v_fmac_f64_e32 v[76:77], v[78:79], v[20:21]
	s_waitcnt vmcnt(2)
	v_add_f64 v[30:31], v[30:31], -v[76:77]
	ds_read2_b64 v[76:79], v144 offset0:26 offset1:27
	v_add_f64 v[28:29], v[28:29], -v[22:23]
	s_waitcnt lgkmcnt(1)
	v_mul_f64 v[22:23], v[82:83], v[84:85]
	v_fma_f64 v[22:23], v[80:81], v[20:21], -v[22:23]
	s_waitcnt vmcnt(1)
	v_add_f64 v[24:25], v[24:25], -v[22:23]
	s_waitcnt lgkmcnt(0)
	v_mul_f64 v[22:23], v[78:79], v[84:85]
	v_mul_f64 v[80:81], v[80:81], v[84:85]
	v_fma_f64 v[22:23], v[76:77], v[20:21], -v[22:23]
	v_mul_f64 v[76:77], v[76:77], v[84:85]
	v_fmac_f64_e32 v[80:81], v[82:83], v[20:21]
	v_fmac_f64_e32 v[76:77], v[78:79], v[20:21]
	v_add_f64 v[26:27], v[26:27], -v[80:81]
	s_waitcnt vmcnt(0)
	v_add_f64 v[52:53], v[52:53], -v[22:23]
	v_add_f64 v[54:55], v[54:55], -v[76:77]
	v_mov_b64_e32 v[22:23], v[84:85]
.LBB27_46:
	s_or_b64 exec, exec, s[2:3]
	v_cmp_eq_u32_e32 vcc, 5, v142
	s_waitcnt lgkmcnt(0)
	s_barrier
	s_and_saveexec_b64 s[4:5], vcc
	s_cbranch_execz .LBB27_53
; %bb.47:
	s_waitcnt vmcnt(8)
	ds_write2_b64 v143, v[16:17], v[18:19] offset1:1
	s_waitcnt vmcnt(7)
	ds_write2_b64 v144, v[48:49], v[50:51] offset0:12 offset1:13
	s_waitcnt vmcnt(6)
	ds_write2_b64 v144, v[44:45], v[46:47] offset0:14 offset1:15
	;; [unrolled: 2-line block ×8, first 2 shown]
	ds_read2_b64 v[76:79], v143 offset1:1
	s_waitcnt lgkmcnt(0)
	v_cmp_neq_f64_e32 vcc, 0, v[76:77]
	v_cmp_neq_f64_e64 s[2:3], 0, v[78:79]
	s_or_b64 s[2:3], vcc, s[2:3]
	s_and_b64 exec, exec, s[2:3]
	s_cbranch_execz .LBB27_53
; %bb.48:
	v_cmp_ngt_f64_e64 s[2:3], |v[76:77]|, |v[78:79]|
                                        ; implicit-def: $vgpr80_vgpr81
	s_and_saveexec_b64 s[10:11], s[2:3]
	s_xor_b64 s[2:3], exec, s[10:11]
                                        ; implicit-def: $vgpr82_vgpr83
	s_cbranch_execz .LBB27_50
; %bb.49:
	v_div_scale_f64 v[80:81], s[10:11], v[78:79], v[78:79], v[76:77]
	v_rcp_f64_e32 v[82:83], v[80:81]
	v_div_scale_f64 v[84:85], vcc, v[76:77], v[78:79], v[76:77]
	v_fma_f64 v[86:87], -v[80:81], v[82:83], 1.0
	v_fmac_f64_e32 v[82:83], v[82:83], v[86:87]
	v_fma_f64 v[86:87], -v[80:81], v[82:83], 1.0
	v_fmac_f64_e32 v[82:83], v[82:83], v[86:87]
	v_mul_f64 v[86:87], v[84:85], v[82:83]
	v_fma_f64 v[80:81], -v[80:81], v[86:87], v[84:85]
	v_div_fmas_f64 v[80:81], v[80:81], v[82:83], v[86:87]
	v_div_fixup_f64 v[80:81], v[80:81], v[78:79], v[76:77]
	v_fmac_f64_e32 v[78:79], v[76:77], v[80:81]
	v_div_scale_f64 v[76:77], s[10:11], v[78:79], v[78:79], 1.0
	v_rcp_f64_e32 v[82:83], v[76:77]
	s_nop 0
	v_fma_f64 v[84:85], -v[76:77], v[82:83], 1.0
	v_fmac_f64_e32 v[82:83], v[82:83], v[84:85]
	v_fma_f64 v[84:85], -v[76:77], v[82:83], 1.0
	v_fmac_f64_e32 v[82:83], v[82:83], v[84:85]
	v_div_scale_f64 v[84:85], vcc, 1.0, v[78:79], 1.0
	v_mul_f64 v[86:87], v[84:85], v[82:83]
	v_fma_f64 v[76:77], -v[76:77], v[86:87], v[84:85]
	s_nop 1
	v_div_fmas_f64 v[76:77], v[76:77], v[82:83], v[86:87]
	v_div_fixup_f64 v[82:83], v[76:77], v[78:79], 1.0
	v_mul_f64 v[80:81], v[80:81], v[82:83]
	v_xor_b32_e32 v83, 0x80000000, v83
                                        ; implicit-def: $vgpr76_vgpr77
.LBB27_50:
	s_andn2_saveexec_b64 s[2:3], s[2:3]
	s_cbranch_execz .LBB27_52
; %bb.51:
	v_div_scale_f64 v[80:81], s[10:11], v[76:77], v[76:77], v[78:79]
	v_rcp_f64_e32 v[82:83], v[80:81]
	v_div_scale_f64 v[84:85], vcc, v[78:79], v[76:77], v[78:79]
	v_fma_f64 v[86:87], -v[80:81], v[82:83], 1.0
	v_fmac_f64_e32 v[82:83], v[82:83], v[86:87]
	v_fma_f64 v[86:87], -v[80:81], v[82:83], 1.0
	v_fmac_f64_e32 v[82:83], v[82:83], v[86:87]
	v_mul_f64 v[86:87], v[84:85], v[82:83]
	v_fma_f64 v[80:81], -v[80:81], v[86:87], v[84:85]
	v_div_fmas_f64 v[80:81], v[80:81], v[82:83], v[86:87]
	v_div_fixup_f64 v[82:83], v[80:81], v[76:77], v[78:79]
	v_fmac_f64_e32 v[76:77], v[78:79], v[82:83]
	v_div_scale_f64 v[78:79], s[10:11], v[76:77], v[76:77], 1.0
	v_rcp_f64_e32 v[80:81], v[78:79]
	s_nop 0
	v_fma_f64 v[84:85], -v[78:79], v[80:81], 1.0
	v_fmac_f64_e32 v[80:81], v[80:81], v[84:85]
	v_fma_f64 v[84:85], -v[78:79], v[80:81], 1.0
	v_fmac_f64_e32 v[80:81], v[80:81], v[84:85]
	v_div_scale_f64 v[84:85], vcc, 1.0, v[76:77], 1.0
	v_mul_f64 v[86:87], v[84:85], v[80:81]
	v_fma_f64 v[78:79], -v[78:79], v[86:87], v[84:85]
	s_nop 1
	v_div_fmas_f64 v[78:79], v[78:79], v[80:81], v[86:87]
	v_div_fixup_f64 v[80:81], v[78:79], v[76:77], 1.0
	v_mul_f64 v[82:83], v[82:83], -v[80:81]
.LBB27_52:
	s_or_b64 exec, exec, s[2:3]
	ds_write2_b64 v143, v[80:81], v[82:83] offset1:1
.LBB27_53:
	s_or_b64 exec, exec, s[4:5]
	s_waitcnt lgkmcnt(0)
	s_barrier
	ds_read2_b64 v[76:79], v143 offset1:1
	v_cmp_lt_u32_e32 vcc, 5, v142
	s_and_saveexec_b64 s[2:3], vcc
	s_cbranch_execz .LBB27_55
; %bb.54:
	ds_read2_b64 v[80:83], v144 offset0:12 offset1:13
	ds_read2_b64 v[84:87], v144 offset0:14 offset1:15
	s_waitcnt vmcnt(8) lgkmcnt(2)
	v_mul_f64 v[88:89], v[76:77], v[18:19]
	v_fmac_f64_e32 v[88:89], v[78:79], v[16:17]
	v_mul_f64 v[18:19], v[78:79], v[18:19]
	v_fma_f64 v[16:17], v[76:77], v[16:17], -v[18:19]
	s_waitcnt lgkmcnt(1)
	v_mul_f64 v[18:19], v[82:83], v[88:89]
	v_fma_f64 v[18:19], v[80:81], v[16:17], -v[18:19]
	v_mul_f64 v[80:81], v[80:81], v[88:89]
	v_fmac_f64_e32 v[80:81], v[82:83], v[16:17]
	s_waitcnt vmcnt(7)
	v_add_f64 v[48:49], v[48:49], -v[18:19]
	v_add_f64 v[50:51], v[50:51], -v[80:81]
	s_waitcnt lgkmcnt(0)
	v_mul_f64 v[18:19], v[86:87], v[88:89]
	ds_read2_b64 v[80:83], v144 offset0:16 offset1:17
	v_fma_f64 v[18:19], v[84:85], v[16:17], -v[18:19]
	v_mul_f64 v[84:85], v[84:85], v[88:89]
	v_fmac_f64_e32 v[84:85], v[86:87], v[16:17]
	s_waitcnt vmcnt(6)
	v_add_f64 v[46:47], v[46:47], -v[84:85]
	ds_read2_b64 v[84:87], v144 offset0:18 offset1:19
	v_add_f64 v[44:45], v[44:45], -v[18:19]
	s_waitcnt lgkmcnt(1)
	v_mul_f64 v[18:19], v[82:83], v[88:89]
	v_fma_f64 v[18:19], v[80:81], v[16:17], -v[18:19]
	v_mul_f64 v[80:81], v[80:81], v[88:89]
	v_fmac_f64_e32 v[80:81], v[82:83], v[16:17]
	s_waitcnt vmcnt(5)
	v_add_f64 v[40:41], v[40:41], -v[18:19]
	v_add_f64 v[42:43], v[42:43], -v[80:81]
	s_waitcnt lgkmcnt(0)
	v_mul_f64 v[18:19], v[86:87], v[88:89]
	ds_read2_b64 v[80:83], v144 offset0:20 offset1:21
	v_fma_f64 v[18:19], v[84:85], v[16:17], -v[18:19]
	v_mul_f64 v[84:85], v[84:85], v[88:89]
	v_fmac_f64_e32 v[84:85], v[86:87], v[16:17]
	s_waitcnt vmcnt(4)
	v_add_f64 v[38:39], v[38:39], -v[84:85]
	ds_read2_b64 v[84:87], v144 offset0:22 offset1:23
	v_add_f64 v[36:37], v[36:37], -v[18:19]
	;; [unrolled: 18-line block ×3, first 2 shown]
	s_waitcnt lgkmcnt(1)
	v_mul_f64 v[18:19], v[82:83], v[88:89]
	v_fma_f64 v[18:19], v[80:81], v[16:17], -v[18:19]
	v_mul_f64 v[80:81], v[80:81], v[88:89]
	v_fmac_f64_e32 v[80:81], v[82:83], v[16:17]
	s_waitcnt vmcnt(1)
	v_add_f64 v[24:25], v[24:25], -v[18:19]
	v_add_f64 v[26:27], v[26:27], -v[80:81]
	s_waitcnt lgkmcnt(0)
	v_mul_f64 v[18:19], v[86:87], v[88:89]
	v_mul_f64 v[80:81], v[84:85], v[88:89]
	v_fma_f64 v[18:19], v[84:85], v[16:17], -v[18:19]
	v_fmac_f64_e32 v[80:81], v[86:87], v[16:17]
	s_waitcnt vmcnt(0)
	v_add_f64 v[52:53], v[52:53], -v[18:19]
	v_add_f64 v[54:55], v[54:55], -v[80:81]
	v_mov_b64_e32 v[18:19], v[88:89]
.LBB27_55:
	s_or_b64 exec, exec, s[2:3]
	v_cmp_eq_u32_e32 vcc, 6, v142
	s_waitcnt lgkmcnt(0)
	s_barrier
	s_and_saveexec_b64 s[4:5], vcc
	s_cbranch_execz .LBB27_62
; %bb.56:
	s_waitcnt vmcnt(7)
	ds_write2_b64 v143, v[48:49], v[50:51] offset1:1
	s_waitcnt vmcnt(6)
	ds_write2_b64 v144, v[44:45], v[46:47] offset0:14 offset1:15
	s_waitcnt vmcnt(5)
	ds_write2_b64 v144, v[40:41], v[42:43] offset0:16 offset1:17
	;; [unrolled: 2-line block ×7, first 2 shown]
	ds_read2_b64 v[80:83], v143 offset1:1
	s_waitcnt lgkmcnt(0)
	v_cmp_neq_f64_e32 vcc, 0, v[80:81]
	v_cmp_neq_f64_e64 s[2:3], 0, v[82:83]
	s_or_b64 s[2:3], vcc, s[2:3]
	s_and_b64 exec, exec, s[2:3]
	s_cbranch_execz .LBB27_62
; %bb.57:
	v_cmp_ngt_f64_e64 s[2:3], |v[80:81]|, |v[82:83]|
                                        ; implicit-def: $vgpr84_vgpr85
	s_and_saveexec_b64 s[10:11], s[2:3]
	s_xor_b64 s[2:3], exec, s[10:11]
                                        ; implicit-def: $vgpr86_vgpr87
	s_cbranch_execz .LBB27_59
; %bb.58:
	v_div_scale_f64 v[84:85], s[10:11], v[82:83], v[82:83], v[80:81]
	v_rcp_f64_e32 v[86:87], v[84:85]
	v_div_scale_f64 v[88:89], vcc, v[80:81], v[82:83], v[80:81]
	v_fma_f64 v[90:91], -v[84:85], v[86:87], 1.0
	v_fmac_f64_e32 v[86:87], v[86:87], v[90:91]
	v_fma_f64 v[90:91], -v[84:85], v[86:87], 1.0
	v_fmac_f64_e32 v[86:87], v[86:87], v[90:91]
	v_mul_f64 v[90:91], v[88:89], v[86:87]
	v_fma_f64 v[84:85], -v[84:85], v[90:91], v[88:89]
	v_div_fmas_f64 v[84:85], v[84:85], v[86:87], v[90:91]
	v_div_fixup_f64 v[84:85], v[84:85], v[82:83], v[80:81]
	v_fmac_f64_e32 v[82:83], v[80:81], v[84:85]
	v_div_scale_f64 v[80:81], s[10:11], v[82:83], v[82:83], 1.0
	v_rcp_f64_e32 v[86:87], v[80:81]
	s_nop 0
	v_fma_f64 v[88:89], -v[80:81], v[86:87], 1.0
	v_fmac_f64_e32 v[86:87], v[86:87], v[88:89]
	v_fma_f64 v[88:89], -v[80:81], v[86:87], 1.0
	v_fmac_f64_e32 v[86:87], v[86:87], v[88:89]
	v_div_scale_f64 v[88:89], vcc, 1.0, v[82:83], 1.0
	v_mul_f64 v[90:91], v[88:89], v[86:87]
	v_fma_f64 v[80:81], -v[80:81], v[90:91], v[88:89]
	s_nop 1
	v_div_fmas_f64 v[80:81], v[80:81], v[86:87], v[90:91]
	v_div_fixup_f64 v[86:87], v[80:81], v[82:83], 1.0
	v_mul_f64 v[84:85], v[84:85], v[86:87]
	v_xor_b32_e32 v87, 0x80000000, v87
                                        ; implicit-def: $vgpr80_vgpr81
.LBB27_59:
	s_andn2_saveexec_b64 s[2:3], s[2:3]
	s_cbranch_execz .LBB27_61
; %bb.60:
	v_div_scale_f64 v[84:85], s[10:11], v[80:81], v[80:81], v[82:83]
	v_rcp_f64_e32 v[86:87], v[84:85]
	v_div_scale_f64 v[88:89], vcc, v[82:83], v[80:81], v[82:83]
	v_fma_f64 v[90:91], -v[84:85], v[86:87], 1.0
	v_fmac_f64_e32 v[86:87], v[86:87], v[90:91]
	v_fma_f64 v[90:91], -v[84:85], v[86:87], 1.0
	v_fmac_f64_e32 v[86:87], v[86:87], v[90:91]
	v_mul_f64 v[90:91], v[88:89], v[86:87]
	v_fma_f64 v[84:85], -v[84:85], v[90:91], v[88:89]
	v_div_fmas_f64 v[84:85], v[84:85], v[86:87], v[90:91]
	v_div_fixup_f64 v[86:87], v[84:85], v[80:81], v[82:83]
	v_fmac_f64_e32 v[80:81], v[82:83], v[86:87]
	v_div_scale_f64 v[82:83], s[10:11], v[80:81], v[80:81], 1.0
	v_rcp_f64_e32 v[84:85], v[82:83]
	s_nop 0
	v_fma_f64 v[88:89], -v[82:83], v[84:85], 1.0
	v_fmac_f64_e32 v[84:85], v[84:85], v[88:89]
	v_fma_f64 v[88:89], -v[82:83], v[84:85], 1.0
	v_fmac_f64_e32 v[84:85], v[84:85], v[88:89]
	v_div_scale_f64 v[88:89], vcc, 1.0, v[80:81], 1.0
	v_mul_f64 v[90:91], v[88:89], v[84:85]
	v_fma_f64 v[82:83], -v[82:83], v[90:91], v[88:89]
	s_nop 1
	v_div_fmas_f64 v[82:83], v[82:83], v[84:85], v[90:91]
	v_div_fixup_f64 v[84:85], v[82:83], v[80:81], 1.0
	v_mul_f64 v[86:87], v[86:87], -v[84:85]
.LBB27_61:
	s_or_b64 exec, exec, s[2:3]
	ds_write2_b64 v143, v[84:85], v[86:87] offset1:1
.LBB27_62:
	s_or_b64 exec, exec, s[4:5]
	s_waitcnt lgkmcnt(0)
	s_barrier
	ds_read2_b64 v[80:83], v143 offset1:1
	v_cmp_lt_u32_e32 vcc, 6, v142
	s_and_saveexec_b64 s[2:3], vcc
	s_cbranch_execz .LBB27_64
; %bb.63:
	ds_read2_b64 v[84:87], v144 offset0:14 offset1:15
	s_waitcnt vmcnt(7) lgkmcnt(1)
	v_mul_f64 v[88:89], v[80:81], v[50:51]
	v_fmac_f64_e32 v[88:89], v[82:83], v[48:49]
	v_mul_f64 v[50:51], v[82:83], v[50:51]
	v_fma_f64 v[48:49], v[80:81], v[48:49], -v[50:51]
	s_waitcnt lgkmcnt(0)
	v_mul_f64 v[50:51], v[86:87], v[88:89]
	v_fma_f64 v[50:51], v[84:85], v[48:49], -v[50:51]
	v_mul_f64 v[84:85], v[84:85], v[88:89]
	v_fmac_f64_e32 v[84:85], v[86:87], v[48:49]
	s_waitcnt vmcnt(6)
	v_add_f64 v[46:47], v[46:47], -v[84:85]
	ds_read2_b64 v[84:87], v144 offset0:16 offset1:17
	v_add_f64 v[44:45], v[44:45], -v[50:51]
	s_waitcnt lgkmcnt(0)
	v_mul_f64 v[50:51], v[86:87], v[88:89]
	v_fma_f64 v[50:51], v[84:85], v[48:49], -v[50:51]
	v_mul_f64 v[84:85], v[84:85], v[88:89]
	v_fmac_f64_e32 v[84:85], v[86:87], v[48:49]
	s_waitcnt vmcnt(5)
	v_add_f64 v[42:43], v[42:43], -v[84:85]
	ds_read2_b64 v[84:87], v144 offset0:18 offset1:19
	v_add_f64 v[40:41], v[40:41], -v[50:51]
	;; [unrolled: 9-line block ×6, first 2 shown]
	s_waitcnt lgkmcnt(0)
	v_mul_f64 v[50:51], v[86:87], v[88:89]
	v_fma_f64 v[50:51], v[84:85], v[48:49], -v[50:51]
	v_mul_f64 v[84:85], v[84:85], v[88:89]
	v_fmac_f64_e32 v[84:85], v[86:87], v[48:49]
	s_waitcnt vmcnt(0)
	v_add_f64 v[52:53], v[52:53], -v[50:51]
	v_add_f64 v[54:55], v[54:55], -v[84:85]
	v_mov_b64_e32 v[50:51], v[88:89]
.LBB27_64:
	s_or_b64 exec, exec, s[2:3]
	v_cmp_eq_u32_e32 vcc, 7, v142
	s_waitcnt lgkmcnt(0)
	s_barrier
	s_and_saveexec_b64 s[4:5], vcc
	s_cbranch_execz .LBB27_71
; %bb.65:
	s_waitcnt vmcnt(6)
	ds_write2_b64 v143, v[44:45], v[46:47] offset1:1
	s_waitcnt vmcnt(5)
	ds_write2_b64 v144, v[40:41], v[42:43] offset0:16 offset1:17
	s_waitcnt vmcnt(4)
	ds_write2_b64 v144, v[36:37], v[38:39] offset0:18 offset1:19
	;; [unrolled: 2-line block ×6, first 2 shown]
	ds_read2_b64 v[84:87], v143 offset1:1
	s_waitcnt lgkmcnt(0)
	v_cmp_neq_f64_e32 vcc, 0, v[84:85]
	v_cmp_neq_f64_e64 s[2:3], 0, v[86:87]
	s_or_b64 s[2:3], vcc, s[2:3]
	s_and_b64 exec, exec, s[2:3]
	s_cbranch_execz .LBB27_71
; %bb.66:
	v_cmp_ngt_f64_e64 s[2:3], |v[84:85]|, |v[86:87]|
                                        ; implicit-def: $vgpr88_vgpr89
	s_and_saveexec_b64 s[10:11], s[2:3]
	s_xor_b64 s[2:3], exec, s[10:11]
                                        ; implicit-def: $vgpr90_vgpr91
	s_cbranch_execz .LBB27_68
; %bb.67:
	v_div_scale_f64 v[88:89], s[10:11], v[86:87], v[86:87], v[84:85]
	v_rcp_f64_e32 v[90:91], v[88:89]
	v_div_scale_f64 v[92:93], vcc, v[84:85], v[86:87], v[84:85]
	v_fma_f64 v[94:95], -v[88:89], v[90:91], 1.0
	v_fmac_f64_e32 v[90:91], v[90:91], v[94:95]
	v_fma_f64 v[94:95], -v[88:89], v[90:91], 1.0
	v_fmac_f64_e32 v[90:91], v[90:91], v[94:95]
	v_mul_f64 v[94:95], v[92:93], v[90:91]
	v_fma_f64 v[88:89], -v[88:89], v[94:95], v[92:93]
	v_div_fmas_f64 v[88:89], v[88:89], v[90:91], v[94:95]
	v_div_fixup_f64 v[88:89], v[88:89], v[86:87], v[84:85]
	v_fmac_f64_e32 v[86:87], v[84:85], v[88:89]
	v_div_scale_f64 v[84:85], s[10:11], v[86:87], v[86:87], 1.0
	v_rcp_f64_e32 v[90:91], v[84:85]
	s_nop 0
	v_fma_f64 v[92:93], -v[84:85], v[90:91], 1.0
	v_fmac_f64_e32 v[90:91], v[90:91], v[92:93]
	v_fma_f64 v[92:93], -v[84:85], v[90:91], 1.0
	v_fmac_f64_e32 v[90:91], v[90:91], v[92:93]
	v_div_scale_f64 v[92:93], vcc, 1.0, v[86:87], 1.0
	v_mul_f64 v[94:95], v[92:93], v[90:91]
	v_fma_f64 v[84:85], -v[84:85], v[94:95], v[92:93]
	s_nop 1
	v_div_fmas_f64 v[84:85], v[84:85], v[90:91], v[94:95]
	v_div_fixup_f64 v[90:91], v[84:85], v[86:87], 1.0
	v_mul_f64 v[88:89], v[88:89], v[90:91]
	v_xor_b32_e32 v91, 0x80000000, v91
                                        ; implicit-def: $vgpr84_vgpr85
.LBB27_68:
	s_andn2_saveexec_b64 s[2:3], s[2:3]
	s_cbranch_execz .LBB27_70
; %bb.69:
	v_div_scale_f64 v[88:89], s[10:11], v[84:85], v[84:85], v[86:87]
	v_rcp_f64_e32 v[90:91], v[88:89]
	v_div_scale_f64 v[92:93], vcc, v[86:87], v[84:85], v[86:87]
	v_fma_f64 v[94:95], -v[88:89], v[90:91], 1.0
	v_fmac_f64_e32 v[90:91], v[90:91], v[94:95]
	v_fma_f64 v[94:95], -v[88:89], v[90:91], 1.0
	v_fmac_f64_e32 v[90:91], v[90:91], v[94:95]
	v_mul_f64 v[94:95], v[92:93], v[90:91]
	v_fma_f64 v[88:89], -v[88:89], v[94:95], v[92:93]
	v_div_fmas_f64 v[88:89], v[88:89], v[90:91], v[94:95]
	v_div_fixup_f64 v[90:91], v[88:89], v[84:85], v[86:87]
	v_fmac_f64_e32 v[84:85], v[86:87], v[90:91]
	v_div_scale_f64 v[86:87], s[10:11], v[84:85], v[84:85], 1.0
	v_rcp_f64_e32 v[88:89], v[86:87]
	s_nop 0
	v_fma_f64 v[92:93], -v[86:87], v[88:89], 1.0
	v_fmac_f64_e32 v[88:89], v[88:89], v[92:93]
	v_fma_f64 v[92:93], -v[86:87], v[88:89], 1.0
	v_fmac_f64_e32 v[88:89], v[88:89], v[92:93]
	v_div_scale_f64 v[92:93], vcc, 1.0, v[84:85], 1.0
	v_mul_f64 v[94:95], v[92:93], v[88:89]
	v_fma_f64 v[86:87], -v[86:87], v[94:95], v[92:93]
	s_nop 1
	v_div_fmas_f64 v[86:87], v[86:87], v[88:89], v[94:95]
	v_div_fixup_f64 v[88:89], v[86:87], v[84:85], 1.0
	v_mul_f64 v[90:91], v[90:91], -v[88:89]
.LBB27_70:
	s_or_b64 exec, exec, s[2:3]
	ds_write2_b64 v143, v[88:89], v[90:91] offset1:1
.LBB27_71:
	s_or_b64 exec, exec, s[4:5]
	s_waitcnt lgkmcnt(0)
	s_barrier
	ds_read2_b64 v[84:87], v143 offset1:1
	v_cmp_lt_u32_e32 vcc, 7, v142
	s_and_saveexec_b64 s[2:3], vcc
	s_cbranch_execz .LBB27_73
; %bb.72:
	ds_read2_b64 v[88:91], v144 offset0:16 offset1:17
	ds_read2_b64 v[92:95], v144 offset0:18 offset1:19
	s_waitcnt vmcnt(6) lgkmcnt(2)
	v_mul_f64 v[96:97], v[84:85], v[46:47]
	v_fmac_f64_e32 v[96:97], v[86:87], v[44:45]
	v_mul_f64 v[46:47], v[86:87], v[46:47]
	v_fma_f64 v[44:45], v[84:85], v[44:45], -v[46:47]
	s_waitcnt lgkmcnt(1)
	v_mul_f64 v[46:47], v[90:91], v[96:97]
	v_fma_f64 v[46:47], v[88:89], v[44:45], -v[46:47]
	v_mul_f64 v[88:89], v[88:89], v[96:97]
	v_fmac_f64_e32 v[88:89], v[90:91], v[44:45]
	s_waitcnt vmcnt(5)
	v_add_f64 v[40:41], v[40:41], -v[46:47]
	v_add_f64 v[42:43], v[42:43], -v[88:89]
	s_waitcnt lgkmcnt(0)
	v_mul_f64 v[46:47], v[94:95], v[96:97]
	ds_read2_b64 v[88:91], v144 offset0:20 offset1:21
	v_fma_f64 v[46:47], v[92:93], v[44:45], -v[46:47]
	v_mul_f64 v[92:93], v[92:93], v[96:97]
	v_fmac_f64_e32 v[92:93], v[94:95], v[44:45]
	s_waitcnt vmcnt(4)
	v_add_f64 v[38:39], v[38:39], -v[92:93]
	ds_read2_b64 v[92:95], v144 offset0:22 offset1:23
	v_add_f64 v[36:37], v[36:37], -v[46:47]
	s_waitcnt lgkmcnt(1)
	v_mul_f64 v[46:47], v[90:91], v[96:97]
	v_fma_f64 v[46:47], v[88:89], v[44:45], -v[46:47]
	v_mul_f64 v[88:89], v[88:89], v[96:97]
	v_fmac_f64_e32 v[88:89], v[90:91], v[44:45]
	s_waitcnt vmcnt(3)
	v_add_f64 v[32:33], v[32:33], -v[46:47]
	v_add_f64 v[34:35], v[34:35], -v[88:89]
	s_waitcnt lgkmcnt(0)
	v_mul_f64 v[46:47], v[94:95], v[96:97]
	ds_read2_b64 v[88:91], v144 offset0:24 offset1:25
	v_fma_f64 v[46:47], v[92:93], v[44:45], -v[46:47]
	v_mul_f64 v[92:93], v[92:93], v[96:97]
	v_fmac_f64_e32 v[92:93], v[94:95], v[44:45]
	s_waitcnt vmcnt(2)
	v_add_f64 v[30:31], v[30:31], -v[92:93]
	ds_read2_b64 v[92:95], v144 offset0:26 offset1:27
	v_add_f64 v[28:29], v[28:29], -v[46:47]
	s_waitcnt lgkmcnt(1)
	v_mul_f64 v[46:47], v[90:91], v[96:97]
	v_fma_f64 v[46:47], v[88:89], v[44:45], -v[46:47]
	v_mul_f64 v[88:89], v[88:89], v[96:97]
	v_fmac_f64_e32 v[88:89], v[90:91], v[44:45]
	s_waitcnt vmcnt(1)
	v_add_f64 v[24:25], v[24:25], -v[46:47]
	v_add_f64 v[26:27], v[26:27], -v[88:89]
	s_waitcnt lgkmcnt(0)
	v_mul_f64 v[46:47], v[94:95], v[96:97]
	v_mul_f64 v[88:89], v[92:93], v[96:97]
	v_fma_f64 v[46:47], v[92:93], v[44:45], -v[46:47]
	v_fmac_f64_e32 v[88:89], v[94:95], v[44:45]
	s_waitcnt vmcnt(0)
	v_add_f64 v[52:53], v[52:53], -v[46:47]
	v_add_f64 v[54:55], v[54:55], -v[88:89]
	v_mov_b64_e32 v[46:47], v[96:97]
.LBB27_73:
	s_or_b64 exec, exec, s[2:3]
	v_cmp_eq_u32_e32 vcc, 8, v142
	s_waitcnt lgkmcnt(0)
	s_barrier
	s_and_saveexec_b64 s[4:5], vcc
	s_cbranch_execz .LBB27_80
; %bb.74:
	s_waitcnt vmcnt(5)
	ds_write2_b64 v143, v[40:41], v[42:43] offset1:1
	s_waitcnt vmcnt(4)
	ds_write2_b64 v144, v[36:37], v[38:39] offset0:18 offset1:19
	s_waitcnt vmcnt(3)
	ds_write2_b64 v144, v[32:33], v[34:35] offset0:20 offset1:21
	;; [unrolled: 2-line block ×5, first 2 shown]
	ds_read2_b64 v[88:91], v143 offset1:1
	s_waitcnt lgkmcnt(0)
	v_cmp_neq_f64_e32 vcc, 0, v[88:89]
	v_cmp_neq_f64_e64 s[2:3], 0, v[90:91]
	s_or_b64 s[2:3], vcc, s[2:3]
	s_and_b64 exec, exec, s[2:3]
	s_cbranch_execz .LBB27_80
; %bb.75:
	v_cmp_ngt_f64_e64 s[2:3], |v[88:89]|, |v[90:91]|
                                        ; implicit-def: $vgpr92_vgpr93
	s_and_saveexec_b64 s[10:11], s[2:3]
	s_xor_b64 s[2:3], exec, s[10:11]
                                        ; implicit-def: $vgpr94_vgpr95
	s_cbranch_execz .LBB27_77
; %bb.76:
	v_div_scale_f64 v[92:93], s[10:11], v[90:91], v[90:91], v[88:89]
	v_rcp_f64_e32 v[94:95], v[92:93]
	v_div_scale_f64 v[96:97], vcc, v[88:89], v[90:91], v[88:89]
	v_fma_f64 v[98:99], -v[92:93], v[94:95], 1.0
	v_fmac_f64_e32 v[94:95], v[94:95], v[98:99]
	v_fma_f64 v[98:99], -v[92:93], v[94:95], 1.0
	v_fmac_f64_e32 v[94:95], v[94:95], v[98:99]
	v_mul_f64 v[98:99], v[96:97], v[94:95]
	v_fma_f64 v[92:93], -v[92:93], v[98:99], v[96:97]
	v_div_fmas_f64 v[92:93], v[92:93], v[94:95], v[98:99]
	v_div_fixup_f64 v[92:93], v[92:93], v[90:91], v[88:89]
	v_fmac_f64_e32 v[90:91], v[88:89], v[92:93]
	v_div_scale_f64 v[88:89], s[10:11], v[90:91], v[90:91], 1.0
	v_rcp_f64_e32 v[94:95], v[88:89]
	s_nop 0
	v_fma_f64 v[96:97], -v[88:89], v[94:95], 1.0
	v_fmac_f64_e32 v[94:95], v[94:95], v[96:97]
	v_fma_f64 v[96:97], -v[88:89], v[94:95], 1.0
	v_fmac_f64_e32 v[94:95], v[94:95], v[96:97]
	v_div_scale_f64 v[96:97], vcc, 1.0, v[90:91], 1.0
	v_mul_f64 v[98:99], v[96:97], v[94:95]
	v_fma_f64 v[88:89], -v[88:89], v[98:99], v[96:97]
	s_nop 1
	v_div_fmas_f64 v[88:89], v[88:89], v[94:95], v[98:99]
	v_div_fixup_f64 v[94:95], v[88:89], v[90:91], 1.0
	v_mul_f64 v[92:93], v[92:93], v[94:95]
	v_xor_b32_e32 v95, 0x80000000, v95
                                        ; implicit-def: $vgpr88_vgpr89
.LBB27_77:
	s_andn2_saveexec_b64 s[2:3], s[2:3]
	s_cbranch_execz .LBB27_79
; %bb.78:
	v_div_scale_f64 v[92:93], s[10:11], v[88:89], v[88:89], v[90:91]
	v_rcp_f64_e32 v[94:95], v[92:93]
	v_div_scale_f64 v[96:97], vcc, v[90:91], v[88:89], v[90:91]
	v_fma_f64 v[98:99], -v[92:93], v[94:95], 1.0
	v_fmac_f64_e32 v[94:95], v[94:95], v[98:99]
	v_fma_f64 v[98:99], -v[92:93], v[94:95], 1.0
	v_fmac_f64_e32 v[94:95], v[94:95], v[98:99]
	v_mul_f64 v[98:99], v[96:97], v[94:95]
	v_fma_f64 v[92:93], -v[92:93], v[98:99], v[96:97]
	v_div_fmas_f64 v[92:93], v[92:93], v[94:95], v[98:99]
	v_div_fixup_f64 v[94:95], v[92:93], v[88:89], v[90:91]
	v_fmac_f64_e32 v[88:89], v[90:91], v[94:95]
	v_div_scale_f64 v[90:91], s[10:11], v[88:89], v[88:89], 1.0
	v_rcp_f64_e32 v[92:93], v[90:91]
	s_nop 0
	v_fma_f64 v[96:97], -v[90:91], v[92:93], 1.0
	v_fmac_f64_e32 v[92:93], v[92:93], v[96:97]
	v_fma_f64 v[96:97], -v[90:91], v[92:93], 1.0
	v_fmac_f64_e32 v[92:93], v[92:93], v[96:97]
	v_div_scale_f64 v[96:97], vcc, 1.0, v[88:89], 1.0
	v_mul_f64 v[98:99], v[96:97], v[92:93]
	v_fma_f64 v[90:91], -v[90:91], v[98:99], v[96:97]
	s_nop 1
	v_div_fmas_f64 v[90:91], v[90:91], v[92:93], v[98:99]
	v_div_fixup_f64 v[92:93], v[90:91], v[88:89], 1.0
	v_mul_f64 v[94:95], v[94:95], -v[92:93]
.LBB27_79:
	s_or_b64 exec, exec, s[2:3]
	ds_write2_b64 v143, v[92:93], v[94:95] offset1:1
.LBB27_80:
	s_or_b64 exec, exec, s[4:5]
	s_waitcnt lgkmcnt(0)
	s_barrier
	ds_read2_b64 v[88:91], v143 offset1:1
	v_cmp_lt_u32_e32 vcc, 8, v142
	s_and_saveexec_b64 s[2:3], vcc
	s_cbranch_execz .LBB27_82
; %bb.81:
	ds_read2_b64 v[92:95], v144 offset0:18 offset1:19
	ds_read2_b64 v[96:99], v144 offset0:20 offset1:21
	s_waitcnt vmcnt(5) lgkmcnt(2)
	v_mul_f64 v[100:101], v[88:89], v[42:43]
	v_fmac_f64_e32 v[100:101], v[90:91], v[40:41]
	v_mul_f64 v[42:43], v[90:91], v[42:43]
	v_fma_f64 v[40:41], v[88:89], v[40:41], -v[42:43]
	s_waitcnt lgkmcnt(1)
	v_mul_f64 v[42:43], v[94:95], v[100:101]
	v_fma_f64 v[42:43], v[92:93], v[40:41], -v[42:43]
	v_mul_f64 v[92:93], v[92:93], v[100:101]
	v_fmac_f64_e32 v[92:93], v[94:95], v[40:41]
	s_waitcnt vmcnt(4)
	v_add_f64 v[38:39], v[38:39], -v[92:93]
	ds_read2_b64 v[92:95], v144 offset0:22 offset1:23
	v_add_f64 v[36:37], v[36:37], -v[42:43]
	s_waitcnt lgkmcnt(1)
	v_mul_f64 v[42:43], v[98:99], v[100:101]
	v_fma_f64 v[42:43], v[96:97], v[40:41], -v[42:43]
	v_mul_f64 v[96:97], v[96:97], v[100:101]
	v_fmac_f64_e32 v[96:97], v[98:99], v[40:41]
	s_waitcnt vmcnt(3)
	v_add_f64 v[32:33], v[32:33], -v[42:43]
	v_add_f64 v[34:35], v[34:35], -v[96:97]
	ds_read2_b64 v[96:99], v144 offset0:24 offset1:25
	s_waitcnt lgkmcnt(1)
	v_mul_f64 v[42:43], v[94:95], v[100:101]
	v_fma_f64 v[42:43], v[92:93], v[40:41], -v[42:43]
	v_mul_f64 v[92:93], v[92:93], v[100:101]
	v_fmac_f64_e32 v[92:93], v[94:95], v[40:41]
	s_waitcnt vmcnt(2)
	v_add_f64 v[30:31], v[30:31], -v[92:93]
	ds_read2_b64 v[92:95], v144 offset0:26 offset1:27
	v_add_f64 v[28:29], v[28:29], -v[42:43]
	s_waitcnt lgkmcnt(1)
	v_mul_f64 v[42:43], v[98:99], v[100:101]
	v_fma_f64 v[42:43], v[96:97], v[40:41], -v[42:43]
	s_waitcnt vmcnt(1)
	v_add_f64 v[24:25], v[24:25], -v[42:43]
	s_waitcnt lgkmcnt(0)
	v_mul_f64 v[42:43], v[94:95], v[100:101]
	v_mul_f64 v[96:97], v[96:97], v[100:101]
	v_fma_f64 v[42:43], v[92:93], v[40:41], -v[42:43]
	v_mul_f64 v[92:93], v[92:93], v[100:101]
	v_fmac_f64_e32 v[96:97], v[98:99], v[40:41]
	v_fmac_f64_e32 v[92:93], v[94:95], v[40:41]
	v_add_f64 v[26:27], v[26:27], -v[96:97]
	s_waitcnt vmcnt(0)
	v_add_f64 v[52:53], v[52:53], -v[42:43]
	v_add_f64 v[54:55], v[54:55], -v[92:93]
	v_mov_b64_e32 v[42:43], v[100:101]
.LBB27_82:
	s_or_b64 exec, exec, s[2:3]
	v_cmp_eq_u32_e32 vcc, 9, v142
	s_waitcnt lgkmcnt(0)
	s_barrier
	s_and_saveexec_b64 s[4:5], vcc
	s_cbranch_execz .LBB27_89
; %bb.83:
	s_waitcnt vmcnt(4)
	ds_write2_b64 v143, v[36:37], v[38:39] offset1:1
	s_waitcnt vmcnt(3)
	ds_write2_b64 v144, v[32:33], v[34:35] offset0:20 offset1:21
	s_waitcnt vmcnt(2)
	ds_write2_b64 v144, v[28:29], v[30:31] offset0:22 offset1:23
	;; [unrolled: 2-line block ×4, first 2 shown]
	ds_read2_b64 v[92:95], v143 offset1:1
	s_waitcnt lgkmcnt(0)
	v_cmp_neq_f64_e32 vcc, 0, v[92:93]
	v_cmp_neq_f64_e64 s[2:3], 0, v[94:95]
	s_or_b64 s[2:3], vcc, s[2:3]
	s_and_b64 exec, exec, s[2:3]
	s_cbranch_execz .LBB27_89
; %bb.84:
	v_cmp_ngt_f64_e64 s[2:3], |v[92:93]|, |v[94:95]|
                                        ; implicit-def: $vgpr96_vgpr97
	s_and_saveexec_b64 s[10:11], s[2:3]
	s_xor_b64 s[2:3], exec, s[10:11]
                                        ; implicit-def: $vgpr98_vgpr99
	s_cbranch_execz .LBB27_86
; %bb.85:
	v_div_scale_f64 v[96:97], s[10:11], v[94:95], v[94:95], v[92:93]
	v_rcp_f64_e32 v[98:99], v[96:97]
	v_div_scale_f64 v[100:101], vcc, v[92:93], v[94:95], v[92:93]
	v_fma_f64 v[102:103], -v[96:97], v[98:99], 1.0
	v_fmac_f64_e32 v[98:99], v[98:99], v[102:103]
	v_fma_f64 v[102:103], -v[96:97], v[98:99], 1.0
	v_fmac_f64_e32 v[98:99], v[98:99], v[102:103]
	v_mul_f64 v[102:103], v[100:101], v[98:99]
	v_fma_f64 v[96:97], -v[96:97], v[102:103], v[100:101]
	v_div_fmas_f64 v[96:97], v[96:97], v[98:99], v[102:103]
	v_div_fixup_f64 v[96:97], v[96:97], v[94:95], v[92:93]
	v_fmac_f64_e32 v[94:95], v[92:93], v[96:97]
	v_div_scale_f64 v[92:93], s[10:11], v[94:95], v[94:95], 1.0
	v_rcp_f64_e32 v[98:99], v[92:93]
	s_nop 0
	v_fma_f64 v[100:101], -v[92:93], v[98:99], 1.0
	v_fmac_f64_e32 v[98:99], v[98:99], v[100:101]
	v_fma_f64 v[100:101], -v[92:93], v[98:99], 1.0
	v_fmac_f64_e32 v[98:99], v[98:99], v[100:101]
	v_div_scale_f64 v[100:101], vcc, 1.0, v[94:95], 1.0
	v_mul_f64 v[102:103], v[100:101], v[98:99]
	v_fma_f64 v[92:93], -v[92:93], v[102:103], v[100:101]
	s_nop 1
	v_div_fmas_f64 v[92:93], v[92:93], v[98:99], v[102:103]
	v_div_fixup_f64 v[98:99], v[92:93], v[94:95], 1.0
	v_mul_f64 v[96:97], v[96:97], v[98:99]
	v_xor_b32_e32 v99, 0x80000000, v99
                                        ; implicit-def: $vgpr92_vgpr93
.LBB27_86:
	s_andn2_saveexec_b64 s[2:3], s[2:3]
	s_cbranch_execz .LBB27_88
; %bb.87:
	v_div_scale_f64 v[96:97], s[10:11], v[92:93], v[92:93], v[94:95]
	v_rcp_f64_e32 v[98:99], v[96:97]
	v_div_scale_f64 v[100:101], vcc, v[94:95], v[92:93], v[94:95]
	v_fma_f64 v[102:103], -v[96:97], v[98:99], 1.0
	v_fmac_f64_e32 v[98:99], v[98:99], v[102:103]
	v_fma_f64 v[102:103], -v[96:97], v[98:99], 1.0
	v_fmac_f64_e32 v[98:99], v[98:99], v[102:103]
	v_mul_f64 v[102:103], v[100:101], v[98:99]
	v_fma_f64 v[96:97], -v[96:97], v[102:103], v[100:101]
	v_div_fmas_f64 v[96:97], v[96:97], v[98:99], v[102:103]
	v_div_fixup_f64 v[98:99], v[96:97], v[92:93], v[94:95]
	v_fmac_f64_e32 v[92:93], v[94:95], v[98:99]
	v_div_scale_f64 v[94:95], s[10:11], v[92:93], v[92:93], 1.0
	v_rcp_f64_e32 v[96:97], v[94:95]
	s_nop 0
	v_fma_f64 v[100:101], -v[94:95], v[96:97], 1.0
	v_fmac_f64_e32 v[96:97], v[96:97], v[100:101]
	v_fma_f64 v[100:101], -v[94:95], v[96:97], 1.0
	v_fmac_f64_e32 v[96:97], v[96:97], v[100:101]
	v_div_scale_f64 v[100:101], vcc, 1.0, v[92:93], 1.0
	v_mul_f64 v[102:103], v[100:101], v[96:97]
	v_fma_f64 v[94:95], -v[94:95], v[102:103], v[100:101]
	s_nop 1
	v_div_fmas_f64 v[94:95], v[94:95], v[96:97], v[102:103]
	v_div_fixup_f64 v[96:97], v[94:95], v[92:93], 1.0
	v_mul_f64 v[98:99], v[98:99], -v[96:97]
.LBB27_88:
	s_or_b64 exec, exec, s[2:3]
	ds_write2_b64 v143, v[96:97], v[98:99] offset1:1
.LBB27_89:
	s_or_b64 exec, exec, s[4:5]
	s_waitcnt lgkmcnt(0)
	s_barrier
	ds_read2_b64 v[92:95], v143 offset1:1
	v_cmp_lt_u32_e32 vcc, 9, v142
	s_and_saveexec_b64 s[2:3], vcc
	s_cbranch_execz .LBB27_91
; %bb.90:
	ds_read2_b64 v[96:99], v144 offset0:20 offset1:21
	ds_read2_b64 v[100:103], v144 offset0:22 offset1:23
	s_waitcnt vmcnt(4) lgkmcnt(2)
	v_mul_f64 v[104:105], v[92:93], v[38:39]
	v_fmac_f64_e32 v[104:105], v[94:95], v[36:37]
	v_mul_f64 v[38:39], v[94:95], v[38:39]
	v_fma_f64 v[36:37], v[92:93], v[36:37], -v[38:39]
	s_waitcnt lgkmcnt(1)
	v_mul_f64 v[38:39], v[98:99], v[104:105]
	v_fma_f64 v[38:39], v[96:97], v[36:37], -v[38:39]
	v_mul_f64 v[96:97], v[96:97], v[104:105]
	v_fmac_f64_e32 v[96:97], v[98:99], v[36:37]
	s_waitcnt vmcnt(3)
	v_add_f64 v[32:33], v[32:33], -v[38:39]
	v_add_f64 v[34:35], v[34:35], -v[96:97]
	s_waitcnt lgkmcnt(0)
	v_mul_f64 v[38:39], v[102:103], v[104:105]
	ds_read2_b64 v[96:99], v144 offset0:24 offset1:25
	v_fma_f64 v[38:39], v[100:101], v[36:37], -v[38:39]
	v_mul_f64 v[100:101], v[100:101], v[104:105]
	v_fmac_f64_e32 v[100:101], v[102:103], v[36:37]
	s_waitcnt vmcnt(2)
	v_add_f64 v[30:31], v[30:31], -v[100:101]
	ds_read2_b64 v[100:103], v144 offset0:26 offset1:27
	v_add_f64 v[28:29], v[28:29], -v[38:39]
	s_waitcnt lgkmcnt(1)
	v_mul_f64 v[38:39], v[98:99], v[104:105]
	v_fma_f64 v[38:39], v[96:97], v[36:37], -v[38:39]
	v_mul_f64 v[96:97], v[96:97], v[104:105]
	v_fmac_f64_e32 v[96:97], v[98:99], v[36:37]
	s_waitcnt vmcnt(1)
	v_add_f64 v[24:25], v[24:25], -v[38:39]
	v_add_f64 v[26:27], v[26:27], -v[96:97]
	s_waitcnt lgkmcnt(0)
	v_mul_f64 v[38:39], v[102:103], v[104:105]
	v_mul_f64 v[96:97], v[100:101], v[104:105]
	v_fma_f64 v[38:39], v[100:101], v[36:37], -v[38:39]
	v_fmac_f64_e32 v[96:97], v[102:103], v[36:37]
	s_waitcnt vmcnt(0)
	v_add_f64 v[52:53], v[52:53], -v[38:39]
	v_add_f64 v[54:55], v[54:55], -v[96:97]
	v_mov_b64_e32 v[38:39], v[104:105]
.LBB27_91:
	s_or_b64 exec, exec, s[2:3]
	v_cmp_eq_u32_e32 vcc, 10, v142
	s_waitcnt lgkmcnt(0)
	s_barrier
	s_and_saveexec_b64 s[4:5], vcc
	s_cbranch_execz .LBB27_98
; %bb.92:
	s_waitcnt vmcnt(3)
	ds_write2_b64 v143, v[32:33], v[34:35] offset1:1
	s_waitcnt vmcnt(2)
	ds_write2_b64 v144, v[28:29], v[30:31] offset0:22 offset1:23
	s_waitcnt vmcnt(1)
	ds_write2_b64 v144, v[24:25], v[26:27] offset0:24 offset1:25
	;; [unrolled: 2-line block ×3, first 2 shown]
	ds_read2_b64 v[96:99], v143 offset1:1
	s_waitcnt lgkmcnt(0)
	v_cmp_neq_f64_e32 vcc, 0, v[96:97]
	v_cmp_neq_f64_e64 s[2:3], 0, v[98:99]
	s_or_b64 s[2:3], vcc, s[2:3]
	s_and_b64 exec, exec, s[2:3]
	s_cbranch_execz .LBB27_98
; %bb.93:
	v_cmp_ngt_f64_e64 s[2:3], |v[96:97]|, |v[98:99]|
                                        ; implicit-def: $vgpr100_vgpr101
	s_and_saveexec_b64 s[10:11], s[2:3]
	s_xor_b64 s[2:3], exec, s[10:11]
                                        ; implicit-def: $vgpr102_vgpr103
	s_cbranch_execz .LBB27_95
; %bb.94:
	v_div_scale_f64 v[100:101], s[10:11], v[98:99], v[98:99], v[96:97]
	v_rcp_f64_e32 v[102:103], v[100:101]
	v_div_scale_f64 v[104:105], vcc, v[96:97], v[98:99], v[96:97]
	v_fma_f64 v[106:107], -v[100:101], v[102:103], 1.0
	v_fmac_f64_e32 v[102:103], v[102:103], v[106:107]
	v_fma_f64 v[106:107], -v[100:101], v[102:103], 1.0
	v_fmac_f64_e32 v[102:103], v[102:103], v[106:107]
	v_mul_f64 v[106:107], v[104:105], v[102:103]
	v_fma_f64 v[100:101], -v[100:101], v[106:107], v[104:105]
	v_div_fmas_f64 v[100:101], v[100:101], v[102:103], v[106:107]
	v_div_fixup_f64 v[100:101], v[100:101], v[98:99], v[96:97]
	v_fmac_f64_e32 v[98:99], v[96:97], v[100:101]
	v_div_scale_f64 v[96:97], s[10:11], v[98:99], v[98:99], 1.0
	v_rcp_f64_e32 v[102:103], v[96:97]
	s_nop 0
	v_fma_f64 v[104:105], -v[96:97], v[102:103], 1.0
	v_fmac_f64_e32 v[102:103], v[102:103], v[104:105]
	v_fma_f64 v[104:105], -v[96:97], v[102:103], 1.0
	v_fmac_f64_e32 v[102:103], v[102:103], v[104:105]
	v_div_scale_f64 v[104:105], vcc, 1.0, v[98:99], 1.0
	v_mul_f64 v[106:107], v[104:105], v[102:103]
	v_fma_f64 v[96:97], -v[96:97], v[106:107], v[104:105]
	s_nop 1
	v_div_fmas_f64 v[96:97], v[96:97], v[102:103], v[106:107]
	v_div_fixup_f64 v[102:103], v[96:97], v[98:99], 1.0
	v_mul_f64 v[100:101], v[100:101], v[102:103]
	v_xor_b32_e32 v103, 0x80000000, v103
                                        ; implicit-def: $vgpr96_vgpr97
.LBB27_95:
	s_andn2_saveexec_b64 s[2:3], s[2:3]
	s_cbranch_execz .LBB27_97
; %bb.96:
	v_div_scale_f64 v[100:101], s[10:11], v[96:97], v[96:97], v[98:99]
	v_rcp_f64_e32 v[102:103], v[100:101]
	v_div_scale_f64 v[104:105], vcc, v[98:99], v[96:97], v[98:99]
	v_fma_f64 v[106:107], -v[100:101], v[102:103], 1.0
	v_fmac_f64_e32 v[102:103], v[102:103], v[106:107]
	v_fma_f64 v[106:107], -v[100:101], v[102:103], 1.0
	v_fmac_f64_e32 v[102:103], v[102:103], v[106:107]
	v_mul_f64 v[106:107], v[104:105], v[102:103]
	v_fma_f64 v[100:101], -v[100:101], v[106:107], v[104:105]
	v_div_fmas_f64 v[100:101], v[100:101], v[102:103], v[106:107]
	v_div_fixup_f64 v[102:103], v[100:101], v[96:97], v[98:99]
	v_fmac_f64_e32 v[96:97], v[98:99], v[102:103]
	v_div_scale_f64 v[98:99], s[10:11], v[96:97], v[96:97], 1.0
	v_rcp_f64_e32 v[100:101], v[98:99]
	s_nop 0
	v_fma_f64 v[104:105], -v[98:99], v[100:101], 1.0
	v_fmac_f64_e32 v[100:101], v[100:101], v[104:105]
	v_fma_f64 v[104:105], -v[98:99], v[100:101], 1.0
	v_fmac_f64_e32 v[100:101], v[100:101], v[104:105]
	v_div_scale_f64 v[104:105], vcc, 1.0, v[96:97], 1.0
	v_mul_f64 v[106:107], v[104:105], v[100:101]
	v_fma_f64 v[98:99], -v[98:99], v[106:107], v[104:105]
	s_nop 1
	v_div_fmas_f64 v[98:99], v[98:99], v[100:101], v[106:107]
	v_div_fixup_f64 v[100:101], v[98:99], v[96:97], 1.0
	v_mul_f64 v[102:103], v[102:103], -v[100:101]
.LBB27_97:
	s_or_b64 exec, exec, s[2:3]
	ds_write2_b64 v143, v[100:101], v[102:103] offset1:1
.LBB27_98:
	s_or_b64 exec, exec, s[4:5]
	s_waitcnt lgkmcnt(0)
	s_barrier
	ds_read2_b64 v[96:99], v143 offset1:1
	v_cmp_lt_u32_e32 vcc, 10, v142
	s_and_saveexec_b64 s[2:3], vcc
	s_cbranch_execz .LBB27_100
; %bb.99:
	ds_read2_b64 v[100:103], v144 offset0:22 offset1:23
	ds_read2_b64 v[104:107], v144 offset0:24 offset1:25
	s_waitcnt vmcnt(3) lgkmcnt(2)
	v_mul_f64 v[108:109], v[96:97], v[34:35]
	v_fmac_f64_e32 v[108:109], v[98:99], v[32:33]
	v_mul_f64 v[34:35], v[98:99], v[34:35]
	v_fma_f64 v[32:33], v[96:97], v[32:33], -v[34:35]
	s_waitcnt lgkmcnt(1)
	v_mul_f64 v[34:35], v[102:103], v[108:109]
	v_fma_f64 v[34:35], v[100:101], v[32:33], -v[34:35]
	v_mul_f64 v[100:101], v[100:101], v[108:109]
	v_fmac_f64_e32 v[100:101], v[102:103], v[32:33]
	s_waitcnt vmcnt(2)
	v_add_f64 v[30:31], v[30:31], -v[100:101]
	ds_read2_b64 v[100:103], v144 offset0:26 offset1:27
	v_add_f64 v[28:29], v[28:29], -v[34:35]
	s_waitcnt lgkmcnt(1)
	v_mul_f64 v[34:35], v[106:107], v[108:109]
	v_fma_f64 v[34:35], v[104:105], v[32:33], -v[34:35]
	s_waitcnt vmcnt(1)
	v_add_f64 v[24:25], v[24:25], -v[34:35]
	s_waitcnt lgkmcnt(0)
	v_mul_f64 v[34:35], v[102:103], v[108:109]
	v_mul_f64 v[104:105], v[104:105], v[108:109]
	v_fma_f64 v[34:35], v[100:101], v[32:33], -v[34:35]
	v_mul_f64 v[100:101], v[100:101], v[108:109]
	v_fmac_f64_e32 v[104:105], v[106:107], v[32:33]
	v_fmac_f64_e32 v[100:101], v[102:103], v[32:33]
	v_add_f64 v[26:27], v[26:27], -v[104:105]
	s_waitcnt vmcnt(0)
	v_add_f64 v[52:53], v[52:53], -v[34:35]
	v_add_f64 v[54:55], v[54:55], -v[100:101]
	v_mov_b64_e32 v[34:35], v[108:109]
.LBB27_100:
	s_or_b64 exec, exec, s[2:3]
	v_cmp_eq_u32_e32 vcc, 11, v142
	s_waitcnt lgkmcnt(0)
	s_barrier
	s_and_saveexec_b64 s[4:5], vcc
	s_cbranch_execz .LBB27_107
; %bb.101:
	s_waitcnt vmcnt(2)
	ds_write2_b64 v143, v[28:29], v[30:31] offset1:1
	s_waitcnt vmcnt(1)
	ds_write2_b64 v144, v[24:25], v[26:27] offset0:24 offset1:25
	s_waitcnt vmcnt(0)
	ds_write2_b64 v144, v[52:53], v[54:55] offset0:26 offset1:27
	ds_read2_b64 v[100:103], v143 offset1:1
	s_waitcnt lgkmcnt(0)
	v_cmp_neq_f64_e32 vcc, 0, v[100:101]
	v_cmp_neq_f64_e64 s[2:3], 0, v[102:103]
	s_or_b64 s[2:3], vcc, s[2:3]
	s_and_b64 exec, exec, s[2:3]
	s_cbranch_execz .LBB27_107
; %bb.102:
	v_cmp_ngt_f64_e64 s[2:3], |v[100:101]|, |v[102:103]|
                                        ; implicit-def: $vgpr104_vgpr105
	s_and_saveexec_b64 s[10:11], s[2:3]
	s_xor_b64 s[2:3], exec, s[10:11]
                                        ; implicit-def: $vgpr106_vgpr107
	s_cbranch_execz .LBB27_104
; %bb.103:
	v_div_scale_f64 v[104:105], s[10:11], v[102:103], v[102:103], v[100:101]
	v_rcp_f64_e32 v[106:107], v[104:105]
	v_div_scale_f64 v[108:109], vcc, v[100:101], v[102:103], v[100:101]
	v_fma_f64 v[110:111], -v[104:105], v[106:107], 1.0
	v_fmac_f64_e32 v[106:107], v[106:107], v[110:111]
	v_fma_f64 v[110:111], -v[104:105], v[106:107], 1.0
	v_fmac_f64_e32 v[106:107], v[106:107], v[110:111]
	v_mul_f64 v[110:111], v[108:109], v[106:107]
	v_fma_f64 v[104:105], -v[104:105], v[110:111], v[108:109]
	v_div_fmas_f64 v[104:105], v[104:105], v[106:107], v[110:111]
	v_div_fixup_f64 v[104:105], v[104:105], v[102:103], v[100:101]
	v_fmac_f64_e32 v[102:103], v[100:101], v[104:105]
	v_div_scale_f64 v[100:101], s[10:11], v[102:103], v[102:103], 1.0
	v_rcp_f64_e32 v[106:107], v[100:101]
	s_nop 0
	v_fma_f64 v[108:109], -v[100:101], v[106:107], 1.0
	v_fmac_f64_e32 v[106:107], v[106:107], v[108:109]
	v_fma_f64 v[108:109], -v[100:101], v[106:107], 1.0
	v_fmac_f64_e32 v[106:107], v[106:107], v[108:109]
	v_div_scale_f64 v[108:109], vcc, 1.0, v[102:103], 1.0
	v_mul_f64 v[110:111], v[108:109], v[106:107]
	v_fma_f64 v[100:101], -v[100:101], v[110:111], v[108:109]
	s_nop 1
	v_div_fmas_f64 v[100:101], v[100:101], v[106:107], v[110:111]
	v_div_fixup_f64 v[106:107], v[100:101], v[102:103], 1.0
	v_mul_f64 v[104:105], v[104:105], v[106:107]
	v_xor_b32_e32 v107, 0x80000000, v107
                                        ; implicit-def: $vgpr100_vgpr101
.LBB27_104:
	s_andn2_saveexec_b64 s[2:3], s[2:3]
	s_cbranch_execz .LBB27_106
; %bb.105:
	v_div_scale_f64 v[104:105], s[10:11], v[100:101], v[100:101], v[102:103]
	v_rcp_f64_e32 v[106:107], v[104:105]
	v_div_scale_f64 v[108:109], vcc, v[102:103], v[100:101], v[102:103]
	v_fma_f64 v[110:111], -v[104:105], v[106:107], 1.0
	v_fmac_f64_e32 v[106:107], v[106:107], v[110:111]
	v_fma_f64 v[110:111], -v[104:105], v[106:107], 1.0
	v_fmac_f64_e32 v[106:107], v[106:107], v[110:111]
	v_mul_f64 v[110:111], v[108:109], v[106:107]
	v_fma_f64 v[104:105], -v[104:105], v[110:111], v[108:109]
	v_div_fmas_f64 v[104:105], v[104:105], v[106:107], v[110:111]
	v_div_fixup_f64 v[106:107], v[104:105], v[100:101], v[102:103]
	v_fmac_f64_e32 v[100:101], v[102:103], v[106:107]
	v_div_scale_f64 v[102:103], s[10:11], v[100:101], v[100:101], 1.0
	v_rcp_f64_e32 v[104:105], v[102:103]
	s_nop 0
	v_fma_f64 v[108:109], -v[102:103], v[104:105], 1.0
	v_fmac_f64_e32 v[104:105], v[104:105], v[108:109]
	v_fma_f64 v[108:109], -v[102:103], v[104:105], 1.0
	v_fmac_f64_e32 v[104:105], v[104:105], v[108:109]
	v_div_scale_f64 v[108:109], vcc, 1.0, v[100:101], 1.0
	v_mul_f64 v[110:111], v[108:109], v[104:105]
	v_fma_f64 v[102:103], -v[102:103], v[110:111], v[108:109]
	s_nop 1
	v_div_fmas_f64 v[102:103], v[102:103], v[104:105], v[110:111]
	v_div_fixup_f64 v[104:105], v[102:103], v[100:101], 1.0
	v_mul_f64 v[106:107], v[106:107], -v[104:105]
.LBB27_106:
	s_or_b64 exec, exec, s[2:3]
	ds_write2_b64 v143, v[104:105], v[106:107] offset1:1
.LBB27_107:
	s_or_b64 exec, exec, s[4:5]
	s_waitcnt lgkmcnt(0)
	s_barrier
	ds_read2_b64 v[100:103], v143 offset1:1
	v_cmp_lt_u32_e32 vcc, 11, v142
	s_and_saveexec_b64 s[2:3], vcc
	s_cbranch_execz .LBB27_109
; %bb.108:
	ds_read2_b64 v[104:107], v144 offset0:24 offset1:25
	ds_read2_b64 v[108:111], v144 offset0:26 offset1:27
	s_waitcnt vmcnt(2) lgkmcnt(2)
	v_mul_f64 v[146:147], v[100:101], v[30:31]
	v_fmac_f64_e32 v[146:147], v[102:103], v[28:29]
	v_mul_f64 v[30:31], v[102:103], v[30:31]
	v_fma_f64 v[28:29], v[100:101], v[28:29], -v[30:31]
	s_waitcnt lgkmcnt(1)
	v_mul_f64 v[30:31], v[106:107], v[146:147]
	v_fma_f64 v[30:31], v[104:105], v[28:29], -v[30:31]
	v_mul_f64 v[104:105], v[104:105], v[146:147]
	v_fmac_f64_e32 v[104:105], v[106:107], v[28:29]
	s_waitcnt vmcnt(1)
	v_add_f64 v[24:25], v[24:25], -v[30:31]
	v_add_f64 v[26:27], v[26:27], -v[104:105]
	s_waitcnt lgkmcnt(0)
	v_mul_f64 v[30:31], v[110:111], v[146:147]
	v_mul_f64 v[104:105], v[108:109], v[146:147]
	v_fma_f64 v[30:31], v[108:109], v[28:29], -v[30:31]
	v_fmac_f64_e32 v[104:105], v[110:111], v[28:29]
	s_waitcnt vmcnt(0)
	v_add_f64 v[52:53], v[52:53], -v[30:31]
	v_add_f64 v[54:55], v[54:55], -v[104:105]
	v_mov_b64_e32 v[30:31], v[146:147]
.LBB27_109:
	s_or_b64 exec, exec, s[2:3]
	v_cmp_eq_u32_e32 vcc, 12, v142
	s_waitcnt lgkmcnt(0)
	s_barrier
	s_and_saveexec_b64 s[4:5], vcc
	s_cbranch_execz .LBB27_116
; %bb.110:
	s_waitcnt vmcnt(1)
	ds_write2_b64 v143, v[24:25], v[26:27] offset1:1
	s_waitcnt vmcnt(0)
	ds_write2_b64 v144, v[52:53], v[54:55] offset0:26 offset1:27
	ds_read2_b64 v[104:107], v143 offset1:1
	s_waitcnt lgkmcnt(0)
	v_cmp_neq_f64_e32 vcc, 0, v[104:105]
	v_cmp_neq_f64_e64 s[2:3], 0, v[106:107]
	s_or_b64 s[2:3], vcc, s[2:3]
	s_and_b64 exec, exec, s[2:3]
	s_cbranch_execz .LBB27_116
; %bb.111:
	v_cmp_ngt_f64_e64 s[2:3], |v[104:105]|, |v[106:107]|
                                        ; implicit-def: $vgpr108_vgpr109
	s_and_saveexec_b64 s[10:11], s[2:3]
	s_xor_b64 s[2:3], exec, s[10:11]
                                        ; implicit-def: $vgpr110_vgpr111
	s_cbranch_execz .LBB27_113
; %bb.112:
	v_div_scale_f64 v[108:109], s[10:11], v[106:107], v[106:107], v[104:105]
	v_rcp_f64_e32 v[110:111], v[108:109]
	v_div_scale_f64 v[146:147], vcc, v[104:105], v[106:107], v[104:105]
	v_fma_f64 v[148:149], -v[108:109], v[110:111], 1.0
	v_fmac_f64_e32 v[110:111], v[110:111], v[148:149]
	v_fma_f64 v[148:149], -v[108:109], v[110:111], 1.0
	v_fmac_f64_e32 v[110:111], v[110:111], v[148:149]
	v_mul_f64 v[148:149], v[146:147], v[110:111]
	v_fma_f64 v[108:109], -v[108:109], v[148:149], v[146:147]
	v_div_fmas_f64 v[108:109], v[108:109], v[110:111], v[148:149]
	v_div_fixup_f64 v[108:109], v[108:109], v[106:107], v[104:105]
	v_fmac_f64_e32 v[106:107], v[104:105], v[108:109]
	v_div_scale_f64 v[104:105], s[10:11], v[106:107], v[106:107], 1.0
	v_rcp_f64_e32 v[110:111], v[104:105]
	s_nop 0
	v_fma_f64 v[146:147], -v[104:105], v[110:111], 1.0
	v_fmac_f64_e32 v[110:111], v[110:111], v[146:147]
	v_fma_f64 v[146:147], -v[104:105], v[110:111], 1.0
	v_fmac_f64_e32 v[110:111], v[110:111], v[146:147]
	v_div_scale_f64 v[146:147], vcc, 1.0, v[106:107], 1.0
	v_mul_f64 v[148:149], v[146:147], v[110:111]
	v_fma_f64 v[104:105], -v[104:105], v[148:149], v[146:147]
	s_nop 1
	v_div_fmas_f64 v[104:105], v[104:105], v[110:111], v[148:149]
	v_div_fixup_f64 v[110:111], v[104:105], v[106:107], 1.0
	v_mul_f64 v[108:109], v[108:109], v[110:111]
	v_xor_b32_e32 v111, 0x80000000, v111
                                        ; implicit-def: $vgpr104_vgpr105
.LBB27_113:
	s_andn2_saveexec_b64 s[2:3], s[2:3]
	s_cbranch_execz .LBB27_115
; %bb.114:
	v_div_scale_f64 v[108:109], s[10:11], v[104:105], v[104:105], v[106:107]
	v_rcp_f64_e32 v[110:111], v[108:109]
	v_div_scale_f64 v[146:147], vcc, v[106:107], v[104:105], v[106:107]
	v_fma_f64 v[148:149], -v[108:109], v[110:111], 1.0
	v_fmac_f64_e32 v[110:111], v[110:111], v[148:149]
	v_fma_f64 v[148:149], -v[108:109], v[110:111], 1.0
	v_fmac_f64_e32 v[110:111], v[110:111], v[148:149]
	v_mul_f64 v[148:149], v[146:147], v[110:111]
	v_fma_f64 v[108:109], -v[108:109], v[148:149], v[146:147]
	v_div_fmas_f64 v[108:109], v[108:109], v[110:111], v[148:149]
	v_div_fixup_f64 v[110:111], v[108:109], v[104:105], v[106:107]
	v_fmac_f64_e32 v[104:105], v[106:107], v[110:111]
	v_div_scale_f64 v[106:107], s[10:11], v[104:105], v[104:105], 1.0
	v_rcp_f64_e32 v[108:109], v[106:107]
	s_nop 0
	v_fma_f64 v[146:147], -v[106:107], v[108:109], 1.0
	v_fmac_f64_e32 v[108:109], v[108:109], v[146:147]
	v_fma_f64 v[146:147], -v[106:107], v[108:109], 1.0
	v_fmac_f64_e32 v[108:109], v[108:109], v[146:147]
	v_div_scale_f64 v[146:147], vcc, 1.0, v[104:105], 1.0
	v_mul_f64 v[148:149], v[146:147], v[108:109]
	v_fma_f64 v[106:107], -v[106:107], v[148:149], v[146:147]
	s_nop 1
	v_div_fmas_f64 v[106:107], v[106:107], v[108:109], v[148:149]
	v_div_fixup_f64 v[108:109], v[106:107], v[104:105], 1.0
	v_mul_f64 v[110:111], v[110:111], -v[108:109]
.LBB27_115:
	s_or_b64 exec, exec, s[2:3]
	ds_write2_b64 v143, v[108:109], v[110:111] offset1:1
.LBB27_116:
	s_or_b64 exec, exec, s[4:5]
	s_waitcnt lgkmcnt(0)
	s_barrier
	ds_read2_b64 v[104:107], v143 offset1:1
	v_cmp_lt_u32_e32 vcc, 12, v142
	s_and_saveexec_b64 s[2:3], vcc
	s_cbranch_execz .LBB27_118
; %bb.117:
	ds_read2_b64 v[108:111], v144 offset0:26 offset1:27
	s_waitcnt vmcnt(1) lgkmcnt(1)
	v_mul_f64 v[144:145], v[104:105], v[26:27]
	v_mul_f64 v[26:27], v[106:107], v[26:27]
	v_fmac_f64_e32 v[144:145], v[106:107], v[24:25]
	v_fma_f64 v[24:25], v[104:105], v[24:25], -v[26:27]
	s_waitcnt lgkmcnt(0)
	v_mul_f64 v[26:27], v[110:111], v[144:145]
	v_fma_f64 v[26:27], v[108:109], v[24:25], -v[26:27]
	v_mul_f64 v[108:109], v[108:109], v[144:145]
	v_fmac_f64_e32 v[108:109], v[110:111], v[24:25]
	s_waitcnt vmcnt(0)
	v_add_f64 v[52:53], v[52:53], -v[26:27]
	v_add_f64 v[54:55], v[54:55], -v[108:109]
	v_mov_b64_e32 v[26:27], v[144:145]
.LBB27_118:
	s_or_b64 exec, exec, s[2:3]
	v_cmp_eq_u32_e32 vcc, 13, v142
	s_waitcnt lgkmcnt(0)
	s_barrier
	s_and_saveexec_b64 s[4:5], vcc
	s_cbranch_execz .LBB27_125
; %bb.119:
	s_waitcnt vmcnt(0)
	v_cmp_neq_f64_e32 vcc, 0, v[52:53]
	v_cmp_neq_f64_e64 s[2:3], 0, v[54:55]
	s_or_b64 s[2:3], vcc, s[2:3]
	ds_write2_b64 v143, v[52:53], v[54:55] offset1:1
	s_and_b64 exec, exec, s[2:3]
	s_cbranch_execz .LBB27_125
; %bb.120:
	v_cmp_ngt_f64_e64 s[2:3], |v[52:53]|, |v[54:55]|
                                        ; implicit-def: $vgpr108_vgpr109
	s_and_saveexec_b64 s[10:11], s[2:3]
	s_xor_b64 s[2:3], exec, s[10:11]
                                        ; implicit-def: $vgpr110_vgpr111
	s_cbranch_execz .LBB27_122
; %bb.121:
	v_div_scale_f64 v[108:109], s[10:11], v[54:55], v[54:55], v[52:53]
	v_rcp_f64_e32 v[110:111], v[108:109]
	v_div_scale_f64 v[144:145], vcc, v[52:53], v[54:55], v[52:53]
	v_fma_f64 v[146:147], -v[108:109], v[110:111], 1.0
	v_fmac_f64_e32 v[110:111], v[110:111], v[146:147]
	v_fma_f64 v[146:147], -v[108:109], v[110:111], 1.0
	v_fmac_f64_e32 v[110:111], v[110:111], v[146:147]
	v_mul_f64 v[146:147], v[144:145], v[110:111]
	v_fma_f64 v[108:109], -v[108:109], v[146:147], v[144:145]
	v_div_fmas_f64 v[108:109], v[108:109], v[110:111], v[146:147]
	v_div_fixup_f64 v[108:109], v[108:109], v[54:55], v[52:53]
	v_fma_f64 v[110:111], v[52:53], v[108:109], v[54:55]
	v_div_scale_f64 v[144:145], s[10:11], v[110:111], v[110:111], 1.0
	v_rcp_f64_e32 v[146:147], v[144:145]
	s_nop 0
	v_fma_f64 v[148:149], -v[144:145], v[146:147], 1.0
	v_fmac_f64_e32 v[146:147], v[146:147], v[148:149]
	v_fma_f64 v[148:149], -v[144:145], v[146:147], 1.0
	v_fmac_f64_e32 v[146:147], v[146:147], v[148:149]
	v_div_scale_f64 v[148:149], vcc, 1.0, v[110:111], 1.0
	v_mul_f64 v[150:151], v[148:149], v[146:147]
	v_fma_f64 v[144:145], -v[144:145], v[150:151], v[148:149]
	s_nop 1
	v_div_fmas_f64 v[144:145], v[144:145], v[146:147], v[150:151]
	v_div_fixup_f64 v[110:111], v[144:145], v[110:111], 1.0
	v_mul_f64 v[108:109], v[108:109], v[110:111]
	v_xor_b32_e32 v111, 0x80000000, v111
.LBB27_122:
	s_andn2_saveexec_b64 s[2:3], s[2:3]
	s_cbranch_execz .LBB27_124
; %bb.123:
	v_div_scale_f64 v[108:109], s[10:11], v[52:53], v[52:53], v[54:55]
	v_rcp_f64_e32 v[110:111], v[108:109]
	v_div_scale_f64 v[144:145], vcc, v[54:55], v[52:53], v[54:55]
	v_fma_f64 v[146:147], -v[108:109], v[110:111], 1.0
	v_fmac_f64_e32 v[110:111], v[110:111], v[146:147]
	v_fma_f64 v[146:147], -v[108:109], v[110:111], 1.0
	v_fmac_f64_e32 v[110:111], v[110:111], v[146:147]
	v_mul_f64 v[146:147], v[144:145], v[110:111]
	v_fma_f64 v[108:109], -v[108:109], v[146:147], v[144:145]
	v_div_fmas_f64 v[108:109], v[108:109], v[110:111], v[146:147]
	v_div_fixup_f64 v[110:111], v[108:109], v[52:53], v[54:55]
	v_fma_f64 v[108:109], v[54:55], v[110:111], v[52:53]
	v_div_scale_f64 v[144:145], s[10:11], v[108:109], v[108:109], 1.0
	v_rcp_f64_e32 v[146:147], v[144:145]
	s_nop 0
	v_fma_f64 v[148:149], -v[144:145], v[146:147], 1.0
	v_fmac_f64_e32 v[146:147], v[146:147], v[148:149]
	v_fma_f64 v[148:149], -v[144:145], v[146:147], 1.0
	v_fmac_f64_e32 v[146:147], v[146:147], v[148:149]
	v_div_scale_f64 v[148:149], vcc, 1.0, v[108:109], 1.0
	v_mul_f64 v[150:151], v[148:149], v[146:147]
	v_fma_f64 v[144:145], -v[144:145], v[150:151], v[148:149]
	s_nop 1
	v_div_fmas_f64 v[144:145], v[144:145], v[146:147], v[150:151]
	v_div_fixup_f64 v[108:109], v[144:145], v[108:109], 1.0
	v_mul_f64 v[110:111], v[110:111], -v[108:109]
.LBB27_124:
	s_or_b64 exec, exec, s[2:3]
	ds_write2_b64 v143, v[108:109], v[110:111] offset1:1
.LBB27_125:
	s_or_b64 exec, exec, s[4:5]
	s_waitcnt lgkmcnt(0)
	s_barrier
	ds_read2_b64 v[108:111], v143 offset1:1
	s_waitcnt lgkmcnt(0)
	s_barrier
	s_and_saveexec_b64 s[2:3], s[0:1]
	s_cbranch_execz .LBB27_128
; %bb.126:
	v_cmp_eq_f64_e32 vcc, 0, v[56:57]
	v_mov_b32_e32 v56, s6
	v_mov_b32_e32 v57, s7
	v_lshl_add_u64 v[56:57], v[134:135], 2, v[56:57]
	v_cmp_eq_f64_e64 s[0:1], 0, v[58:59]
	global_load_dword v59, v[56:57], off
	s_and_b64 s[4:5], vcc, s[0:1]
	v_cmp_neq_f64_e32 vcc, 0, v[60:61]
	v_cmp_neq_f64_e64 s[0:1], 0, v[62:63]
	s_or_b64 s[0:1], vcc, s[0:1]
	v_cndmask_b32_e64 v58, 0, 1, s[4:5]
	s_or_b64 vcc, s[0:1], s[4:5]
	v_cndmask_b32_e32 v58, 2, v58, vcc
	v_cmp_eq_f64_e32 vcc, 0, v[64:65]
	v_cmp_eq_f64_e64 s[0:1], 0, v[66:67]
	s_and_b64 s[0:1], vcc, s[0:1]
	v_cmp_eq_u32_e32 vcc, 0, v58
	s_and_b64 s[0:1], s[0:1], vcc
	v_cndmask_b32_e64 v58, v58, 3, s[0:1]
	v_cmp_eq_f64_e32 vcc, 0, v[68:69]
	v_cmp_eq_f64_e64 s[0:1], 0, v[70:71]
	s_and_b64 s[0:1], vcc, s[0:1]
	v_cmp_eq_u32_e32 vcc, 0, v58
	s_and_b64 s[0:1], s[0:1], vcc
	v_cndmask_b32_e64 v58, v58, 4, s[0:1]
	;; [unrolled: 6-line block ×12, first 2 shown]
	s_waitcnt vmcnt(0)
	v_cmp_eq_u32_e32 vcc, 0, v59
	v_cmp_ne_u32_e64 s[0:1], 0, v58
	s_and_b64 s[0:1], vcc, s[0:1]
	s_and_b64 exec, exec, s[0:1]
	s_cbranch_execz .LBB27_128
; %bb.127:
	v_add_u32_e32 v58, s9, v58
	global_store_dword v[56:57], v58, off
.LBB27_128:
	s_or_b64 exec, exec, s[2:3]
	s_waitcnt vmcnt(0)
	v_mul_f64 v[56:57], v[110:111], v[54:55]
	v_mul_f64 v[58:59], v[108:109], v[54:55]
	v_fma_f64 v[56:57], v[108:109], v[52:53], -v[56:57]
	v_fmac_f64_e32 v[58:59], v[110:111], v[52:53]
	v_cmp_lt_u32_e32 vcc, 13, v142
	s_nop 1
	v_cndmask_b32_e32 v55, v55, v59, vcc
	v_cndmask_b32_e32 v54, v54, v58, vcc
	;; [unrolled: 1-line block ×4, first 2 shown]
	global_store_dwordx4 v[112:113], v[4:7], off
	global_store_dwordx4 v[114:115], v[0:3], off
	;; [unrolled: 1-line block ×14, first 2 shown]
.LBB27_129:
	s_endpgm
	.section	.rodata,"a",@progbits
	.p2align	6, 0x0
	.amdhsa_kernel _ZN9rocsolver6v33100L23getf2_npvt_small_kernelILi14E19rocblas_complex_numIdEiiPS3_EEvT1_T3_lS5_lPT2_S5_S5_
		.amdhsa_group_segment_fixed_size 0
		.amdhsa_private_segment_fixed_size 0
		.amdhsa_kernarg_size 312
		.amdhsa_user_sgpr_count 2
		.amdhsa_user_sgpr_dispatch_ptr 0
		.amdhsa_user_sgpr_queue_ptr 0
		.amdhsa_user_sgpr_kernarg_segment_ptr 1
		.amdhsa_user_sgpr_dispatch_id 0
		.amdhsa_user_sgpr_kernarg_preload_length 0
		.amdhsa_user_sgpr_kernarg_preload_offset 0
		.amdhsa_user_sgpr_private_segment_size 0
		.amdhsa_uses_dynamic_stack 0
		.amdhsa_enable_private_segment 0
		.amdhsa_system_sgpr_workgroup_id_x 1
		.amdhsa_system_sgpr_workgroup_id_y 1
		.amdhsa_system_sgpr_workgroup_id_z 0
		.amdhsa_system_sgpr_workgroup_info 0
		.amdhsa_system_vgpr_workitem_id 1
		.amdhsa_next_free_vgpr 152
		.amdhsa_next_free_sgpr 16
		.amdhsa_accum_offset 152
		.amdhsa_reserve_vcc 1
		.amdhsa_float_round_mode_32 0
		.amdhsa_float_round_mode_16_64 0
		.amdhsa_float_denorm_mode_32 3
		.amdhsa_float_denorm_mode_16_64 3
		.amdhsa_dx10_clamp 1
		.amdhsa_ieee_mode 1
		.amdhsa_fp16_overflow 0
		.amdhsa_tg_split 0
		.amdhsa_exception_fp_ieee_invalid_op 0
		.amdhsa_exception_fp_denorm_src 0
		.amdhsa_exception_fp_ieee_div_zero 0
		.amdhsa_exception_fp_ieee_overflow 0
		.amdhsa_exception_fp_ieee_underflow 0
		.amdhsa_exception_fp_ieee_inexact 0
		.amdhsa_exception_int_div_zero 0
	.end_amdhsa_kernel
	.section	.text._ZN9rocsolver6v33100L23getf2_npvt_small_kernelILi14E19rocblas_complex_numIdEiiPS3_EEvT1_T3_lS5_lPT2_S5_S5_,"axG",@progbits,_ZN9rocsolver6v33100L23getf2_npvt_small_kernelILi14E19rocblas_complex_numIdEiiPS3_EEvT1_T3_lS5_lPT2_S5_S5_,comdat
.Lfunc_end27:
	.size	_ZN9rocsolver6v33100L23getf2_npvt_small_kernelILi14E19rocblas_complex_numIdEiiPS3_EEvT1_T3_lS5_lPT2_S5_S5_, .Lfunc_end27-_ZN9rocsolver6v33100L23getf2_npvt_small_kernelILi14E19rocblas_complex_numIdEiiPS3_EEvT1_T3_lS5_lPT2_S5_S5_
                                        ; -- End function
	.set _ZN9rocsolver6v33100L23getf2_npvt_small_kernelILi14E19rocblas_complex_numIdEiiPS3_EEvT1_T3_lS5_lPT2_S5_S5_.num_vgpr, 152
	.set _ZN9rocsolver6v33100L23getf2_npvt_small_kernelILi14E19rocblas_complex_numIdEiiPS3_EEvT1_T3_lS5_lPT2_S5_S5_.num_agpr, 0
	.set _ZN9rocsolver6v33100L23getf2_npvt_small_kernelILi14E19rocblas_complex_numIdEiiPS3_EEvT1_T3_lS5_lPT2_S5_S5_.numbered_sgpr, 16
	.set _ZN9rocsolver6v33100L23getf2_npvt_small_kernelILi14E19rocblas_complex_numIdEiiPS3_EEvT1_T3_lS5_lPT2_S5_S5_.num_named_barrier, 0
	.set _ZN9rocsolver6v33100L23getf2_npvt_small_kernelILi14E19rocblas_complex_numIdEiiPS3_EEvT1_T3_lS5_lPT2_S5_S5_.private_seg_size, 0
	.set _ZN9rocsolver6v33100L23getf2_npvt_small_kernelILi14E19rocblas_complex_numIdEiiPS3_EEvT1_T3_lS5_lPT2_S5_S5_.uses_vcc, 1
	.set _ZN9rocsolver6v33100L23getf2_npvt_small_kernelILi14E19rocblas_complex_numIdEiiPS3_EEvT1_T3_lS5_lPT2_S5_S5_.uses_flat_scratch, 0
	.set _ZN9rocsolver6v33100L23getf2_npvt_small_kernelILi14E19rocblas_complex_numIdEiiPS3_EEvT1_T3_lS5_lPT2_S5_S5_.has_dyn_sized_stack, 0
	.set _ZN9rocsolver6v33100L23getf2_npvt_small_kernelILi14E19rocblas_complex_numIdEiiPS3_EEvT1_T3_lS5_lPT2_S5_S5_.has_recursion, 0
	.set _ZN9rocsolver6v33100L23getf2_npvt_small_kernelILi14E19rocblas_complex_numIdEiiPS3_EEvT1_T3_lS5_lPT2_S5_S5_.has_indirect_call, 0
	.section	.AMDGPU.csdata,"",@progbits
; Kernel info:
; codeLenInByte = 15144
; TotalNumSgprs: 22
; NumVgprs: 152
; NumAgprs: 0
; TotalNumVgprs: 152
; ScratchSize: 0
; MemoryBound: 1
; FloatMode: 240
; IeeeMode: 1
; LDSByteSize: 0 bytes/workgroup (compile time only)
; SGPRBlocks: 2
; VGPRBlocks: 18
; NumSGPRsForWavesPerEU: 22
; NumVGPRsForWavesPerEU: 152
; AccumOffset: 152
; Occupancy: 3
; WaveLimiterHint : 0
; COMPUTE_PGM_RSRC2:SCRATCH_EN: 0
; COMPUTE_PGM_RSRC2:USER_SGPR: 2
; COMPUTE_PGM_RSRC2:TRAP_HANDLER: 0
; COMPUTE_PGM_RSRC2:TGID_X_EN: 1
; COMPUTE_PGM_RSRC2:TGID_Y_EN: 1
; COMPUTE_PGM_RSRC2:TGID_Z_EN: 0
; COMPUTE_PGM_RSRC2:TIDIG_COMP_CNT: 1
; COMPUTE_PGM_RSRC3_GFX90A:ACCUM_OFFSET: 37
; COMPUTE_PGM_RSRC3_GFX90A:TG_SPLIT: 0
	.section	.text._ZN9rocsolver6v33100L18getf2_small_kernelILi15E19rocblas_complex_numIdEiiPS3_EEvT1_T3_lS5_lPS5_llPT2_S5_S5_S7_l,"axG",@progbits,_ZN9rocsolver6v33100L18getf2_small_kernelILi15E19rocblas_complex_numIdEiiPS3_EEvT1_T3_lS5_lPS5_llPT2_S5_S5_S7_l,comdat
	.globl	_ZN9rocsolver6v33100L18getf2_small_kernelILi15E19rocblas_complex_numIdEiiPS3_EEvT1_T3_lS5_lPS5_llPT2_S5_S5_S7_l ; -- Begin function _ZN9rocsolver6v33100L18getf2_small_kernelILi15E19rocblas_complex_numIdEiiPS3_EEvT1_T3_lS5_lPS5_llPT2_S5_S5_S7_l
	.p2align	8
	.type	_ZN9rocsolver6v33100L18getf2_small_kernelILi15E19rocblas_complex_numIdEiiPS3_EEvT1_T3_lS5_lPS5_llPT2_S5_S5_S7_l,@function
_ZN9rocsolver6v33100L18getf2_small_kernelILi15E19rocblas_complex_numIdEiiPS3_EEvT1_T3_lS5_lPS5_llPT2_S5_S5_S7_l: ; @_ZN9rocsolver6v33100L18getf2_small_kernelILi15E19rocblas_complex_numIdEiiPS3_EEvT1_T3_lS5_lPS5_llPT2_S5_S5_S7_l
; %bb.0:
	s_load_dword s2, s[0:1], 0x6c
	s_load_dwordx2 s[12:13], s[0:1], 0x48
	v_bfe_u32 v60, v0, 10, 10
	s_waitcnt lgkmcnt(0)
	s_lshr_b32 s2, s2, 16
	s_mul_i32 s3, s3, s2
	v_add_u32_e32 v66, s3, v60
	v_cmp_gt_i32_e32 vcc, s12, v66
	s_and_saveexec_b64 s[2:3], vcc
	s_cbranch_execz .LBB28_316
; %bb.1:
	s_load_dwordx4 s[4:7], s[0:1], 0x50
	v_ashrrev_i32_e32 v67, 31, v66
	v_mov_b64_e32 v[68:69], 0
	s_waitcnt lgkmcnt(0)
	s_cmp_eq_u64 s[4:5], 0
	s_cselect_b64 s[14:15], -1, 0
	s_and_b64 vcc, exec, s[14:15]
	s_cbranch_vccnz .LBB28_3
; %bb.2:
	v_mul_lo_u32 v1, s7, v66
	v_mul_lo_u32 v4, s6, v67
	v_mad_u64_u32 v[2:3], s[2:3], s6, v66, 0
	v_add3_u32 v3, v3, v4, v1
	v_lshl_add_u64 v[68:69], v[2:3], 2, s[4:5]
.LBB28_3:
	s_load_dwordx4 s[16:19], s[0:1], 0x8
	s_load_dwordx8 s[4:11], s[0:1], 0x20
	s_load_dword s2, s[0:1], 0x18
	s_load_dword s20, s[0:1], 0x0
	v_and_b32_e32 v74, 0x3ff, v0
	s_waitcnt lgkmcnt(0)
	v_mov_b32_e32 v2, s16
	v_mul_lo_u32 v1, s5, v66
	v_mul_lo_u32 v6, s4, v67
	v_mad_u64_u32 v[4:5], s[4:5], s4, v66, 0
	v_mov_b32_e32 v3, s17
	v_add3_u32 v5, v5, v6, v1
	v_lshl_add_u64 v[2:3], v[4:5], 4, v[2:3]
	s_add_i32 s12, s2, s2
	v_lshl_add_u64 v[64:65], s[18:19], 4, v[2:3]
	v_add_u32_e32 v2, s12, v74
	v_add_u32_e32 v4, s2, v2
	v_ashrrev_i32_e32 v3, 31, v2
	v_ashrrev_i32_e32 v5, 31, v4
	v_add_u32_e32 v6, s2, v4
	v_lshl_add_u64 v[2:3], v[2:3], 4, v[64:65]
	v_lshl_add_u64 v[4:5], v[4:5], 4, v[64:65]
	v_add_u32_e32 v8, s2, v6
	v_lshlrev_b32_e32 v70, 4, v74
	v_mov_b32_e32 v71, 0
	v_ashrrev_i32_e32 v7, 31, v6
	global_load_dwordx4 v[44:47], v[2:3], off
	global_load_dwordx4 v[36:39], v[4:5], off
	v_add_u32_e32 v4, s2, v8
	v_lshl_add_u64 v[0:1], v[64:65], 0, v[70:71]
	s_ashr_i32 s3, s2, 31
	v_lshl_add_u64 v[2:3], v[6:7], 4, v[64:65]
	v_ashrrev_i32_e32 v9, 31, v8
	v_add_u32_e32 v6, s2, v4
	v_lshl_add_u64 v[10:11], s[2:3], 4, v[0:1]
	global_load_dwordx4 v[52:55], v[0:1], off
	global_load_dwordx4 v[48:51], v[10:11], off
	v_lshl_add_u64 v[0:1], v[8:9], 4, v[64:65]
	v_ashrrev_i32_e32 v5, 31, v4
	global_load_dwordx4 v[40:43], v[2:3], off
	global_load_dwordx4 v[32:35], v[0:1], off
	v_ashrrev_i32_e32 v7, 31, v6
	v_add_u32_e32 v2, s2, v6
	v_lshl_add_u64 v[0:1], v[4:5], 4, v[64:65]
	v_lshl_add_u64 v[4:5], v[6:7], 4, v[64:65]
	v_ashrrev_i32_e32 v3, 31, v2
	v_add_u32_e32 v6, s2, v2
	global_load_dwordx4 v[28:31], v[0:1], off
	global_load_dwordx4 v[24:27], v[4:5], off
	v_lshl_add_u64 v[0:1], v[2:3], 4, v[64:65]
	v_ashrrev_i32_e32 v7, 31, v6
	v_add_u32_e32 v2, s2, v6
	v_lshl_add_u64 v[4:5], v[6:7], 4, v[64:65]
	v_add_u32_e32 v6, s2, v2
	v_ashrrev_i32_e32 v3, 31, v2
	global_load_dwordx4 v[20:23], v[0:1], off
	global_load_dwordx4 v[12:15], v[4:5], off
	v_add_u32_e32 v0, s2, v6
	v_lshl_add_u64 v[62:63], v[2:3], 4, v[64:65]
	v_ashrrev_i32_e32 v1, 31, v0
	v_add_u32_e32 v2, s2, v0
	v_lshl_add_u64 v[76:77], v[0:1], 4, v[64:65]
	v_add_u32_e32 v0, s2, v2
	v_ashrrev_i32_e32 v7, 31, v6
	v_ashrrev_i32_e32 v3, 31, v2
	;; [unrolled: 1-line block ×3, first 2 shown]
	v_lshl_add_u64 v[72:73], v[6:7], 4, v[64:65]
	v_lshl_add_u64 v[78:79], v[2:3], 4, v[64:65]
	;; [unrolled: 1-line block ×3, first 2 shown]
	global_load_dwordx4 v[16:19], v[62:63], off
	global_load_dwordx4 v[8:11], v[72:73], off
	;; [unrolled: 1-line block ×5, first 2 shown]
	s_load_dwordx2 s[4:5], s[0:1], 0x40
	s_max_i32 s0, s20, 15
	v_mul_lo_u32 v73, s0, v60
	v_lshl_add_u32 v72, v73, 4, 0
	v_add_u32_e32 v60, v72, v70
	s_cmp_lt_i32 s20, 2
	v_lshlrev_b32_e32 v76, 4, v73
	s_waitcnt vmcnt(12)
	ds_write2_b64 v60, v[52:53], v[54:55] offset1:1
	s_waitcnt lgkmcnt(0)
	s_barrier
	ds_read2_b64 v[60:63], v72 offset1:1
	s_cbranch_scc1 .LBB28_6
; %bb.4:
	v_add3_u32 v70, v76, 0, 16
	s_mov_b32 s16, 1
	v_mov_b32_e32 v71, 0
.LBB28_5:                               ; =>This Inner Loop Header: Depth=1
	ds_read2_b64 v[78:81], v70 offset1:1
	s_waitcnt lgkmcnt(1)
	v_xor_b32_e32 v73, 0x80000000, v61
	v_xor_b32_e32 v75, 0x80000000, v63
	v_cmp_gt_f64_e32 vcc, 0, v[62:63]
	v_cmp_gt_f64_e64 s[0:1], 0, v[60:61]
	v_mov_b32_e32 v82, v60
	v_mov_b32_e32 v84, v62
	v_cndmask_b32_e64 v83, v61, v73, s[0:1]
	v_cndmask_b32_e32 v85, v63, v75, vcc
	s_waitcnt lgkmcnt(0)
	v_xor_b32_e32 v73, 0x80000000, v79
	v_xor_b32_e32 v75, 0x80000000, v81
	v_cmp_gt_f64_e32 vcc, 0, v[80:81]
	v_cmp_gt_f64_e64 s[0:1], 0, v[78:79]
	v_add_f64 v[82:83], v[82:83], v[84:85]
	v_mov_b32_e32 v84, v78
	v_mov_b32_e32 v86, v80
	v_cndmask_b32_e64 v85, v79, v73, s[0:1]
	v_cndmask_b32_e32 v87, v81, v75, vcc
	v_add_f64 v[84:85], v[84:85], v[86:87]
	v_mov_b32_e32 v77, s16
	s_add_i32 s16, s16, 1
	v_cmp_lt_f64_e32 vcc, v[82:83], v[84:85]
	v_add_u32_e32 v70, 16, v70
	s_cmp_eq_u32 s20, s16
	v_cndmask_b32_e32 v61, v61, v79, vcc
	v_cndmask_b32_e32 v60, v60, v78, vcc
	;; [unrolled: 1-line block ×5, first 2 shown]
	s_cbranch_scc0 .LBB28_5
.LBB28_6:
	s_waitcnt lgkmcnt(0)
	v_cmp_neq_f64_e32 vcc, 0, v[60:61]
	v_cmp_neq_f64_e64 s[0:1], 0, v[62:63]
	s_or_b64 s[16:17], vcc, s[0:1]
	v_mov_b32_e32 v75, 1
	v_mov_b32_e32 v77, 1
	s_and_saveexec_b64 s[0:1], s[16:17]
	s_cbranch_execz .LBB28_12
; %bb.7:
	v_cmp_ngt_f64_e64 s[16:17], |v[60:61]|, |v[62:63]|
	s_and_saveexec_b64 s[18:19], s[16:17]
	s_xor_b64 s[16:17], exec, s[18:19]
	s_cbranch_execz .LBB28_9
; %bb.8:
	v_div_scale_f64 v[78:79], s[18:19], v[62:63], v[62:63], v[60:61]
	v_rcp_f64_e32 v[80:81], v[78:79]
	v_div_scale_f64 v[82:83], vcc, v[60:61], v[62:63], v[60:61]
	v_fma_f64 v[84:85], -v[78:79], v[80:81], 1.0
	v_fmac_f64_e32 v[80:81], v[80:81], v[84:85]
	v_fma_f64 v[84:85], -v[78:79], v[80:81], 1.0
	v_fmac_f64_e32 v[80:81], v[80:81], v[84:85]
	v_mul_f64 v[84:85], v[82:83], v[80:81]
	v_fma_f64 v[78:79], -v[78:79], v[84:85], v[82:83]
	v_div_fmas_f64 v[78:79], v[78:79], v[80:81], v[84:85]
	v_div_fixup_f64 v[78:79], v[78:79], v[62:63], v[60:61]
	v_fmac_f64_e32 v[62:63], v[60:61], v[78:79]
	v_div_scale_f64 v[60:61], s[18:19], v[62:63], v[62:63], 1.0
	v_rcp_f64_e32 v[80:81], v[60:61]
	s_nop 0
	v_fma_f64 v[82:83], -v[60:61], v[80:81], 1.0
	v_fmac_f64_e32 v[80:81], v[80:81], v[82:83]
	v_fma_f64 v[82:83], -v[60:61], v[80:81], 1.0
	v_fmac_f64_e32 v[80:81], v[80:81], v[82:83]
	v_div_scale_f64 v[82:83], vcc, 1.0, v[62:63], 1.0
	v_mul_f64 v[84:85], v[82:83], v[80:81]
	v_fma_f64 v[60:61], -v[60:61], v[84:85], v[82:83]
	s_nop 1
	v_div_fmas_f64 v[60:61], v[60:61], v[80:81], v[84:85]
	v_div_fixup_f64 v[62:63], v[60:61], v[62:63], 1.0
	v_mul_f64 v[60:61], v[78:79], v[62:63]
	v_xor_b32_e32 v63, 0x80000000, v63
.LBB28_9:
	s_andn2_saveexec_b64 s[16:17], s[16:17]
	s_cbranch_execz .LBB28_11
; %bb.10:
	v_div_scale_f64 v[78:79], s[18:19], v[60:61], v[60:61], v[62:63]
	v_rcp_f64_e32 v[80:81], v[78:79]
	v_div_scale_f64 v[82:83], vcc, v[62:63], v[60:61], v[62:63]
	v_fma_f64 v[84:85], -v[78:79], v[80:81], 1.0
	v_fmac_f64_e32 v[80:81], v[80:81], v[84:85]
	v_fma_f64 v[84:85], -v[78:79], v[80:81], 1.0
	v_fmac_f64_e32 v[80:81], v[80:81], v[84:85]
	v_mul_f64 v[84:85], v[82:83], v[80:81]
	v_fma_f64 v[78:79], -v[78:79], v[84:85], v[82:83]
	v_div_fmas_f64 v[78:79], v[78:79], v[80:81], v[84:85]
	v_div_fixup_f64 v[78:79], v[78:79], v[60:61], v[62:63]
	v_fmac_f64_e32 v[60:61], v[62:63], v[78:79]
	v_div_scale_f64 v[62:63], s[18:19], v[60:61], v[60:61], 1.0
	v_rcp_f64_e32 v[80:81], v[62:63]
	s_nop 0
	v_fma_f64 v[82:83], -v[62:63], v[80:81], 1.0
	v_fmac_f64_e32 v[80:81], v[80:81], v[82:83]
	v_fma_f64 v[82:83], -v[62:63], v[80:81], 1.0
	v_fmac_f64_e32 v[80:81], v[80:81], v[82:83]
	v_div_scale_f64 v[82:83], vcc, 1.0, v[60:61], 1.0
	v_mul_f64 v[84:85], v[82:83], v[80:81]
	v_fma_f64 v[62:63], -v[62:63], v[84:85], v[82:83]
	s_nop 1
	v_div_fmas_f64 v[62:63], v[62:63], v[80:81], v[84:85]
	v_div_fixup_f64 v[60:61], v[62:63], v[60:61], 1.0
	v_mul_f64 v[62:63], v[78:79], -v[60:61]
.LBB28_11:
	s_or_b64 exec, exec, s[16:17]
	v_mov_b32_e32 v77, 0
	v_mov_b32_e32 v75, 2
.LBB28_12:
	s_or_b64 exec, exec, s[0:1]
	v_cmp_ne_u32_e32 vcc, v74, v71
	s_and_saveexec_b64 s[0:1], vcc
	s_xor_b64 s[0:1], exec, s[0:1]
	s_cbranch_execz .LBB28_18
; %bb.13:
	v_cmp_eq_u32_e32 vcc, 0, v74
	s_and_saveexec_b64 s[16:17], vcc
	s_cbranch_execz .LBB28_17
; %bb.14:
	v_cmp_ne_u32_e32 vcc, 0, v71
	s_xor_b64 s[18:19], s[14:15], -1
	s_and_b64 s[22:23], s[18:19], vcc
	s_and_saveexec_b64 s[18:19], s[22:23]
	s_cbranch_execz .LBB28_16
; %bb.15:
	v_ashrrev_i32_e32 v79, 31, v71
	v_mov_b32_e32 v78, v71
	v_lshl_add_u64 v[78:79], v[78:79], 2, v[68:69]
	global_load_dword v70, v[78:79], off
	global_load_dword v73, v[68:69], off
	s_waitcnt vmcnt(1)
	global_store_dword v[68:69], v70, off
	s_waitcnt vmcnt(1)
	global_store_dword v[78:79], v73, off
.LBB28_16:
	s_or_b64 exec, exec, s[18:19]
	v_mov_b32_e32 v74, v71
.LBB28_17:
	s_or_b64 exec, exec, s[16:17]
.LBB28_18:
	s_or_saveexec_b64 s[0:1], s[0:1]
	v_mov_b32_e32 v73, v74
	s_xor_b64 exec, exec, s[0:1]
	s_cbranch_execz .LBB28_20
; %bb.19:
	v_mov_b32_e32 v73, 0
	s_waitcnt vmcnt(11)
	ds_write2_b64 v72, v[48:49], v[50:51] offset0:2 offset1:3
	ds_write2_b64 v72, v[44:45], v[46:47] offset0:4 offset1:5
	;; [unrolled: 1-line block ×3, first 2 shown]
	s_waitcnt vmcnt(10)
	ds_write2_b64 v72, v[40:41], v[42:43] offset0:8 offset1:9
	s_waitcnt vmcnt(9)
	ds_write2_b64 v72, v[32:33], v[34:35] offset0:10 offset1:11
	;; [unrolled: 2-line block ×11, first 2 shown]
.LBB28_20:
	s_or_b64 exec, exec, s[0:1]
	v_cmp_lt_i32_e32 vcc, 0, v73
	s_waitcnt lgkmcnt(0)
	s_barrier
	s_and_saveexec_b64 s[0:1], vcc
	s_cbranch_execz .LBB28_22
; %bb.21:
	ds_read2_b64 v[78:81], v72 offset0:2 offset1:3
	v_mul_f64 v[70:71], v[60:61], v[54:55]
	v_mul_f64 v[54:55], v[62:63], v[54:55]
	v_fmac_f64_e32 v[70:71], v[62:63], v[52:53]
	v_fma_f64 v[52:53], v[60:61], v[52:53], -v[54:55]
	ds_read2_b64 v[60:63], v72 offset0:4 offset1:5
	s_waitcnt lgkmcnt(1)
	v_mul_f64 v[54:55], v[80:81], v[70:71]
	v_fma_f64 v[54:55], v[78:79], v[52:53], -v[54:55]
	v_mul_f64 v[78:79], v[78:79], v[70:71]
	v_fmac_f64_e32 v[78:79], v[80:81], v[52:53]
	s_waitcnt vmcnt(11)
	v_add_f64 v[48:49], v[48:49], -v[54:55]
	s_waitcnt lgkmcnt(0)
	v_mul_f64 v[54:55], v[62:63], v[70:71]
	v_add_f64 v[50:51], v[50:51], -v[78:79]
	v_fma_f64 v[54:55], v[60:61], v[52:53], -v[54:55]
	v_mul_f64 v[60:61], v[60:61], v[70:71]
	ds_read2_b64 v[78:81], v72 offset0:6 offset1:7
	v_fmac_f64_e32 v[60:61], v[62:63], v[52:53]
	v_add_f64 v[46:47], v[46:47], -v[60:61]
	ds_read2_b64 v[60:63], v72 offset0:8 offset1:9
	v_add_f64 v[44:45], v[44:45], -v[54:55]
	s_waitcnt lgkmcnt(1)
	v_mul_f64 v[54:55], v[80:81], v[70:71]
	v_fma_f64 v[54:55], v[78:79], v[52:53], -v[54:55]
	v_mul_f64 v[78:79], v[78:79], v[70:71]
	v_fmac_f64_e32 v[78:79], v[80:81], v[52:53]
	v_add_f64 v[36:37], v[36:37], -v[54:55]
	s_waitcnt lgkmcnt(0)
	v_mul_f64 v[54:55], v[62:63], v[70:71]
	v_add_f64 v[38:39], v[38:39], -v[78:79]
	v_fma_f64 v[54:55], v[60:61], v[52:53], -v[54:55]
	v_mul_f64 v[60:61], v[60:61], v[70:71]
	ds_read2_b64 v[78:81], v72 offset0:10 offset1:11
	v_fmac_f64_e32 v[60:61], v[62:63], v[52:53]
	s_waitcnt vmcnt(10)
	v_add_f64 v[42:43], v[42:43], -v[60:61]
	ds_read2_b64 v[60:63], v72 offset0:12 offset1:13
	v_add_f64 v[40:41], v[40:41], -v[54:55]
	s_waitcnt lgkmcnt(1)
	v_mul_f64 v[54:55], v[80:81], v[70:71]
	v_fma_f64 v[54:55], v[78:79], v[52:53], -v[54:55]
	v_mul_f64 v[78:79], v[78:79], v[70:71]
	v_fmac_f64_e32 v[78:79], v[80:81], v[52:53]
	s_waitcnt vmcnt(9)
	v_add_f64 v[32:33], v[32:33], -v[54:55]
	s_waitcnt lgkmcnt(0)
	v_mul_f64 v[54:55], v[62:63], v[70:71]
	v_add_f64 v[34:35], v[34:35], -v[78:79]
	v_fma_f64 v[54:55], v[60:61], v[52:53], -v[54:55]
	v_mul_f64 v[60:61], v[60:61], v[70:71]
	ds_read2_b64 v[78:81], v72 offset0:14 offset1:15
	v_fmac_f64_e32 v[60:61], v[62:63], v[52:53]
	s_waitcnt vmcnt(8)
	v_add_f64 v[30:31], v[30:31], -v[60:61]
	ds_read2_b64 v[60:63], v72 offset0:16 offset1:17
	v_add_f64 v[28:29], v[28:29], -v[54:55]
	s_waitcnt lgkmcnt(1)
	v_mul_f64 v[54:55], v[80:81], v[70:71]
	v_fma_f64 v[54:55], v[78:79], v[52:53], -v[54:55]
	v_mul_f64 v[78:79], v[78:79], v[70:71]
	v_fmac_f64_e32 v[78:79], v[80:81], v[52:53]
	s_waitcnt vmcnt(7)
	;; [unrolled: 18-line block ×4, first 2 shown]
	v_add_f64 v[8:9], v[8:9], -v[54:55]
	s_waitcnt lgkmcnt(0)
	v_mul_f64 v[54:55], v[62:63], v[70:71]
	v_add_f64 v[10:11], v[10:11], -v[78:79]
	v_fma_f64 v[54:55], v[60:61], v[52:53], -v[54:55]
	v_mul_f64 v[60:61], v[60:61], v[70:71]
	ds_read2_b64 v[78:81], v72 offset0:26 offset1:27
	v_fmac_f64_e32 v[60:61], v[62:63], v[52:53]
	s_waitcnt vmcnt(2)
	v_add_f64 v[6:7], v[6:7], -v[60:61]
	ds_read2_b64 v[60:63], v72 offset0:28 offset1:29
	v_add_f64 v[4:5], v[4:5], -v[54:55]
	s_waitcnt lgkmcnt(1)
	v_mul_f64 v[54:55], v[80:81], v[70:71]
	v_fma_f64 v[54:55], v[78:79], v[52:53], -v[54:55]
	s_waitcnt vmcnt(1)
	v_add_f64 v[0:1], v[0:1], -v[54:55]
	s_waitcnt lgkmcnt(0)
	v_mul_f64 v[54:55], v[62:63], v[70:71]
	v_mul_f64 v[78:79], v[78:79], v[70:71]
	v_fma_f64 v[54:55], v[60:61], v[52:53], -v[54:55]
	v_mul_f64 v[60:61], v[60:61], v[70:71]
	v_fmac_f64_e32 v[78:79], v[80:81], v[52:53]
	v_fmac_f64_e32 v[60:61], v[62:63], v[52:53]
	v_add_f64 v[2:3], v[2:3], -v[78:79]
	s_waitcnt vmcnt(0)
	v_add_f64 v[56:57], v[56:57], -v[54:55]
	v_add_f64 v[58:59], v[58:59], -v[60:61]
	v_mov_b64_e32 v[54:55], v[70:71]
.LBB28_22:
	s_or_b64 exec, exec, s[0:1]
	v_lshl_add_u32 v60, v73, 4, v72
	s_barrier
	s_waitcnt vmcnt(11)
	ds_write2_b64 v60, v[48:49], v[50:51] offset1:1
	s_waitcnt lgkmcnt(0)
	s_barrier
	ds_read2_b64 v[60:63], v72 offset0:2 offset1:3
	s_cmp_lt_i32 s20, 3
	v_mov_b32_e32 v70, 1
	s_cbranch_scc1 .LBB28_25
; %bb.23:
	v_add3_u32 v71, v76, 0, 32
	s_mov_b32 s16, 2
	v_mov_b32_e32 v70, 1
.LBB28_24:                              ; =>This Inner Loop Header: Depth=1
	ds_read2_b64 v[78:81], v71 offset1:1
	s_waitcnt lgkmcnt(1)
	v_xor_b32_e32 v83, 0x80000000, v61
	v_xor_b32_e32 v85, 0x80000000, v63
	v_cmp_gt_f64_e32 vcc, 0, v[62:63]
	v_cmp_gt_f64_e64 s[0:1], 0, v[60:61]
	v_mov_b32_e32 v82, v60
	v_mov_b32_e32 v84, v62
	v_cndmask_b32_e64 v83, v61, v83, s[0:1]
	v_cndmask_b32_e32 v85, v63, v85, vcc
	v_add_f64 v[82:83], v[82:83], v[84:85]
	s_waitcnt lgkmcnt(0)
	v_xor_b32_e32 v85, 0x80000000, v79
	v_xor_b32_e32 v87, 0x80000000, v81
	v_cmp_gt_f64_e32 vcc, 0, v[80:81]
	v_cmp_gt_f64_e64 s[0:1], 0, v[78:79]
	v_mov_b32_e32 v84, v78
	v_mov_b32_e32 v86, v80
	v_cndmask_b32_e64 v85, v79, v85, s[0:1]
	v_cndmask_b32_e32 v87, v81, v87, vcc
	v_add_f64 v[84:85], v[84:85], v[86:87]
	v_mov_b32_e32 v88, s16
	s_add_i32 s16, s16, 1
	v_cmp_lt_f64_e32 vcc, v[82:83], v[84:85]
	v_add_u32_e32 v71, 16, v71
	s_cmp_lg_u32 s20, s16
	v_cndmask_b32_e32 v61, v61, v79, vcc
	v_cndmask_b32_e32 v60, v60, v78, vcc
	;; [unrolled: 1-line block ×5, first 2 shown]
	s_cbranch_scc1 .LBB28_24
.LBB28_25:
	s_waitcnt lgkmcnt(0)
	v_cmp_neq_f64_e32 vcc, 0, v[60:61]
	v_cmp_neq_f64_e64 s[0:1], 0, v[62:63]
	s_or_b64 s[16:17], vcc, s[0:1]
	s_and_saveexec_b64 s[0:1], s[16:17]
	s_cbranch_execz .LBB28_31
; %bb.26:
	v_cmp_ngt_f64_e64 s[16:17], |v[60:61]|, |v[62:63]|
	s_and_saveexec_b64 s[18:19], s[16:17]
	s_xor_b64 s[16:17], exec, s[18:19]
	s_cbranch_execz .LBB28_28
; %bb.27:
	v_div_scale_f64 v[78:79], s[18:19], v[62:63], v[62:63], v[60:61]
	v_rcp_f64_e32 v[80:81], v[78:79]
	v_div_scale_f64 v[82:83], vcc, v[60:61], v[62:63], v[60:61]
	v_fma_f64 v[84:85], -v[78:79], v[80:81], 1.0
	v_fmac_f64_e32 v[80:81], v[80:81], v[84:85]
	v_fma_f64 v[84:85], -v[78:79], v[80:81], 1.0
	v_fmac_f64_e32 v[80:81], v[80:81], v[84:85]
	v_mul_f64 v[84:85], v[82:83], v[80:81]
	v_fma_f64 v[78:79], -v[78:79], v[84:85], v[82:83]
	v_div_fmas_f64 v[78:79], v[78:79], v[80:81], v[84:85]
	v_div_fixup_f64 v[78:79], v[78:79], v[62:63], v[60:61]
	v_fmac_f64_e32 v[62:63], v[60:61], v[78:79]
	v_div_scale_f64 v[60:61], s[18:19], v[62:63], v[62:63], 1.0
	v_rcp_f64_e32 v[80:81], v[60:61]
	s_nop 0
	v_fma_f64 v[82:83], -v[60:61], v[80:81], 1.0
	v_fmac_f64_e32 v[80:81], v[80:81], v[82:83]
	v_fma_f64 v[82:83], -v[60:61], v[80:81], 1.0
	v_fmac_f64_e32 v[80:81], v[80:81], v[82:83]
	v_div_scale_f64 v[82:83], vcc, 1.0, v[62:63], 1.0
	v_mul_f64 v[84:85], v[82:83], v[80:81]
	v_fma_f64 v[60:61], -v[60:61], v[84:85], v[82:83]
	s_nop 1
	v_div_fmas_f64 v[60:61], v[60:61], v[80:81], v[84:85]
	v_div_fixup_f64 v[62:63], v[60:61], v[62:63], 1.0
	v_mul_f64 v[60:61], v[78:79], v[62:63]
	v_xor_b32_e32 v63, 0x80000000, v63
.LBB28_28:
	s_andn2_saveexec_b64 s[16:17], s[16:17]
	s_cbranch_execz .LBB28_30
; %bb.29:
	v_div_scale_f64 v[78:79], s[18:19], v[60:61], v[60:61], v[62:63]
	v_rcp_f64_e32 v[80:81], v[78:79]
	v_div_scale_f64 v[82:83], vcc, v[62:63], v[60:61], v[62:63]
	v_fma_f64 v[84:85], -v[78:79], v[80:81], 1.0
	v_fmac_f64_e32 v[80:81], v[80:81], v[84:85]
	v_fma_f64 v[84:85], -v[78:79], v[80:81], 1.0
	v_fmac_f64_e32 v[80:81], v[80:81], v[84:85]
	v_mul_f64 v[84:85], v[82:83], v[80:81]
	v_fma_f64 v[78:79], -v[78:79], v[84:85], v[82:83]
	v_div_fmas_f64 v[78:79], v[78:79], v[80:81], v[84:85]
	v_div_fixup_f64 v[78:79], v[78:79], v[60:61], v[62:63]
	v_fmac_f64_e32 v[60:61], v[62:63], v[78:79]
	v_div_scale_f64 v[62:63], s[18:19], v[60:61], v[60:61], 1.0
	v_rcp_f64_e32 v[80:81], v[62:63]
	s_nop 0
	v_fma_f64 v[82:83], -v[62:63], v[80:81], 1.0
	v_fmac_f64_e32 v[80:81], v[80:81], v[82:83]
	v_fma_f64 v[82:83], -v[62:63], v[80:81], 1.0
	v_fmac_f64_e32 v[80:81], v[80:81], v[82:83]
	v_div_scale_f64 v[82:83], vcc, 1.0, v[60:61], 1.0
	v_mul_f64 v[84:85], v[82:83], v[80:81]
	v_fma_f64 v[62:63], -v[62:63], v[84:85], v[82:83]
	s_nop 1
	v_div_fmas_f64 v[62:63], v[62:63], v[80:81], v[84:85]
	v_div_fixup_f64 v[60:61], v[62:63], v[60:61], 1.0
	v_mul_f64 v[62:63], v[78:79], -v[60:61]
.LBB28_30:
	s_or_b64 exec, exec, s[16:17]
	v_mov_b32_e32 v75, v77
.LBB28_31:
	s_or_b64 exec, exec, s[0:1]
	v_cmp_ne_u32_e32 vcc, v73, v70
	s_and_saveexec_b64 s[0:1], vcc
	s_xor_b64 s[0:1], exec, s[0:1]
	s_cbranch_execz .LBB28_37
; %bb.32:
	v_cmp_eq_u32_e32 vcc, 1, v73
	s_and_saveexec_b64 s[16:17], vcc
	s_cbranch_execz .LBB28_36
; %bb.33:
	v_cmp_ne_u32_e32 vcc, 1, v70
	s_xor_b64 s[18:19], s[14:15], -1
	s_and_b64 s[22:23], s[18:19], vcc
	s_and_saveexec_b64 s[18:19], s[22:23]
	s_cbranch_execz .LBB28_35
; %bb.34:
	v_ashrrev_i32_e32 v71, 31, v70
	v_lshl_add_u64 v[78:79], v[70:71], 2, v[68:69]
	global_load_dword v71, v[78:79], off
	global_load_dword v73, v[68:69], off offset:4
	s_waitcnt vmcnt(1)
	global_store_dword v[68:69], v71, off offset:4
	s_waitcnt vmcnt(1)
	global_store_dword v[78:79], v73, off
.LBB28_35:
	s_or_b64 exec, exec, s[18:19]
	v_mov_b32_e32 v73, v70
	v_mov_b32_e32 v74, v70
.LBB28_36:
	s_or_b64 exec, exec, s[16:17]
.LBB28_37:
	s_andn2_saveexec_b64 s[0:1], s[0:1]
	s_cbranch_execz .LBB28_39
; %bb.38:
	v_mov_b32_e32 v73, 1
	ds_write2_b64 v72, v[44:45], v[46:47] offset0:4 offset1:5
	ds_write2_b64 v72, v[36:37], v[38:39] offset0:6 offset1:7
	s_waitcnt vmcnt(10)
	ds_write2_b64 v72, v[40:41], v[42:43] offset0:8 offset1:9
	s_waitcnt vmcnt(9)
	;; [unrolled: 2-line block ×11, first 2 shown]
	ds_write2_b64 v72, v[56:57], v[58:59] offset0:28 offset1:29
.LBB28_39:
	s_or_b64 exec, exec, s[0:1]
	v_cmp_lt_i32_e32 vcc, 1, v73
	s_waitcnt lgkmcnt(0)
	s_barrier
	s_and_saveexec_b64 s[0:1], vcc
	s_cbranch_execz .LBB28_41
; %bb.40:
	ds_read2_b64 v[78:81], v72 offset0:4 offset1:5
	v_mul_f64 v[70:71], v[60:61], v[50:51]
	v_fmac_f64_e32 v[70:71], v[62:63], v[48:49]
	v_mul_f64 v[50:51], v[62:63], v[50:51]
	v_fma_f64 v[48:49], v[60:61], v[48:49], -v[50:51]
	ds_read2_b64 v[60:63], v72 offset0:6 offset1:7
	s_waitcnt lgkmcnt(1)
	v_mul_f64 v[50:51], v[80:81], v[70:71]
	v_fma_f64 v[50:51], v[78:79], v[48:49], -v[50:51]
	v_mul_f64 v[78:79], v[78:79], v[70:71]
	v_fmac_f64_e32 v[78:79], v[80:81], v[48:49]
	v_add_f64 v[46:47], v[46:47], -v[78:79]
	ds_read2_b64 v[78:81], v72 offset0:8 offset1:9
	v_add_f64 v[44:45], v[44:45], -v[50:51]
	s_waitcnt lgkmcnt(1)
	v_mul_f64 v[50:51], v[62:63], v[70:71]
	v_fma_f64 v[50:51], v[60:61], v[48:49], -v[50:51]
	v_mul_f64 v[60:61], v[60:61], v[70:71]
	v_fmac_f64_e32 v[60:61], v[62:63], v[48:49]
	v_add_f64 v[36:37], v[36:37], -v[50:51]
	v_add_f64 v[38:39], v[38:39], -v[60:61]
	ds_read2_b64 v[60:63], v72 offset0:10 offset1:11
	s_waitcnt lgkmcnt(1)
	v_mul_f64 v[50:51], v[80:81], v[70:71]
	v_fma_f64 v[50:51], v[78:79], v[48:49], -v[50:51]
	v_mul_f64 v[78:79], v[78:79], v[70:71]
	v_fmac_f64_e32 v[78:79], v[80:81], v[48:49]
	s_waitcnt vmcnt(10)
	v_add_f64 v[42:43], v[42:43], -v[78:79]
	ds_read2_b64 v[78:81], v72 offset0:12 offset1:13
	v_add_f64 v[40:41], v[40:41], -v[50:51]
	s_waitcnt lgkmcnt(1)
	v_mul_f64 v[50:51], v[62:63], v[70:71]
	v_fma_f64 v[50:51], v[60:61], v[48:49], -v[50:51]
	v_mul_f64 v[60:61], v[60:61], v[70:71]
	v_fmac_f64_e32 v[60:61], v[62:63], v[48:49]
	s_waitcnt vmcnt(9)
	v_add_f64 v[32:33], v[32:33], -v[50:51]
	v_add_f64 v[34:35], v[34:35], -v[60:61]
	ds_read2_b64 v[60:63], v72 offset0:14 offset1:15
	s_waitcnt lgkmcnt(1)
	v_mul_f64 v[50:51], v[80:81], v[70:71]
	v_fma_f64 v[50:51], v[78:79], v[48:49], -v[50:51]
	v_mul_f64 v[78:79], v[78:79], v[70:71]
	v_fmac_f64_e32 v[78:79], v[80:81], v[48:49]
	s_waitcnt vmcnt(8)
	v_add_f64 v[30:31], v[30:31], -v[78:79]
	ds_read2_b64 v[78:81], v72 offset0:16 offset1:17
	v_add_f64 v[28:29], v[28:29], -v[50:51]
	s_waitcnt lgkmcnt(1)
	v_mul_f64 v[50:51], v[62:63], v[70:71]
	v_fma_f64 v[50:51], v[60:61], v[48:49], -v[50:51]
	v_mul_f64 v[60:61], v[60:61], v[70:71]
	v_fmac_f64_e32 v[60:61], v[62:63], v[48:49]
	s_waitcnt vmcnt(7)
	;; [unrolled: 18-line block ×5, first 2 shown]
	v_add_f64 v[0:1], v[0:1], -v[50:51]
	v_add_f64 v[2:3], v[2:3], -v[60:61]
	s_waitcnt lgkmcnt(0)
	v_mul_f64 v[50:51], v[80:81], v[70:71]
	v_mul_f64 v[60:61], v[78:79], v[70:71]
	v_fma_f64 v[50:51], v[78:79], v[48:49], -v[50:51]
	v_fmac_f64_e32 v[60:61], v[80:81], v[48:49]
	s_waitcnt vmcnt(0)
	v_add_f64 v[56:57], v[56:57], -v[50:51]
	v_add_f64 v[58:59], v[58:59], -v[60:61]
	v_mov_b64_e32 v[50:51], v[70:71]
.LBB28_41:
	s_or_b64 exec, exec, s[0:1]
	v_lshl_add_u32 v60, v73, 4, v72
	s_barrier
	ds_write2_b64 v60, v[44:45], v[46:47] offset1:1
	s_waitcnt lgkmcnt(0)
	s_barrier
	ds_read2_b64 v[60:63], v72 offset0:4 offset1:5
	s_cmp_lt_i32 s20, 4
	v_mov_b32_e32 v70, 2
	s_cbranch_scc1 .LBB28_44
; %bb.42:
	v_add3_u32 v71, v76, 0, 48
	s_mov_b32 s16, 3
	v_mov_b32_e32 v70, 2
.LBB28_43:                              ; =>This Inner Loop Header: Depth=1
	ds_read2_b64 v[78:81], v71 offset1:1
	s_waitcnt lgkmcnt(1)
	v_xor_b32_e32 v77, 0x80000000, v61
	v_xor_b32_e32 v85, 0x80000000, v63
	v_cmp_gt_f64_e32 vcc, 0, v[62:63]
	v_cmp_gt_f64_e64 s[0:1], 0, v[60:61]
	v_mov_b32_e32 v82, v60
	v_mov_b32_e32 v84, v62
	v_cndmask_b32_e64 v83, v61, v77, s[0:1]
	v_cndmask_b32_e32 v85, v63, v85, vcc
	s_waitcnt lgkmcnt(0)
	v_xor_b32_e32 v77, 0x80000000, v79
	v_xor_b32_e32 v87, 0x80000000, v81
	v_cmp_gt_f64_e32 vcc, 0, v[80:81]
	v_cmp_gt_f64_e64 s[0:1], 0, v[78:79]
	v_add_f64 v[82:83], v[82:83], v[84:85]
	v_mov_b32_e32 v84, v78
	v_mov_b32_e32 v86, v80
	v_cndmask_b32_e64 v85, v79, v77, s[0:1]
	v_cndmask_b32_e32 v87, v81, v87, vcc
	v_add_f64 v[84:85], v[84:85], v[86:87]
	v_mov_b32_e32 v88, s16
	s_add_i32 s16, s16, 1
	v_cmp_lt_f64_e32 vcc, v[82:83], v[84:85]
	v_add_u32_e32 v71, 16, v71
	s_cmp_lg_u32 s20, s16
	v_cndmask_b32_e32 v61, v61, v79, vcc
	v_cndmask_b32_e32 v60, v60, v78, vcc
	;; [unrolled: 1-line block ×5, first 2 shown]
	s_cbranch_scc1 .LBB28_43
.LBB28_44:
	s_waitcnt lgkmcnt(0)
	v_cmp_eq_f64_e32 vcc, 0, v[60:61]
	v_cmp_eq_f64_e64 s[0:1], 0, v[62:63]
	s_and_b64 s[0:1], vcc, s[0:1]
	s_and_saveexec_b64 s[16:17], s[0:1]
	s_xor_b64 s[0:1], exec, s[16:17]
; %bb.45:
	v_cmp_ne_u32_e32 vcc, 0, v75
	s_nop 1
	v_cndmask_b32_e32 v75, 3, v75, vcc
; %bb.46:
	s_andn2_saveexec_b64 s[0:1], s[0:1]
	s_cbranch_execz .LBB28_52
; %bb.47:
	v_cmp_ngt_f64_e64 s[16:17], |v[60:61]|, |v[62:63]|
	s_and_saveexec_b64 s[18:19], s[16:17]
	s_xor_b64 s[16:17], exec, s[18:19]
	s_cbranch_execz .LBB28_49
; %bb.48:
	v_div_scale_f64 v[78:79], s[18:19], v[62:63], v[62:63], v[60:61]
	v_rcp_f64_e32 v[80:81], v[78:79]
	v_div_scale_f64 v[82:83], vcc, v[60:61], v[62:63], v[60:61]
	v_fma_f64 v[84:85], -v[78:79], v[80:81], 1.0
	v_fmac_f64_e32 v[80:81], v[80:81], v[84:85]
	v_fma_f64 v[84:85], -v[78:79], v[80:81], 1.0
	v_fmac_f64_e32 v[80:81], v[80:81], v[84:85]
	v_mul_f64 v[84:85], v[82:83], v[80:81]
	v_fma_f64 v[78:79], -v[78:79], v[84:85], v[82:83]
	v_div_fmas_f64 v[78:79], v[78:79], v[80:81], v[84:85]
	v_div_fixup_f64 v[78:79], v[78:79], v[62:63], v[60:61]
	v_fmac_f64_e32 v[62:63], v[60:61], v[78:79]
	v_div_scale_f64 v[60:61], s[18:19], v[62:63], v[62:63], 1.0
	v_rcp_f64_e32 v[80:81], v[60:61]
	s_nop 0
	v_fma_f64 v[82:83], -v[60:61], v[80:81], 1.0
	v_fmac_f64_e32 v[80:81], v[80:81], v[82:83]
	v_fma_f64 v[82:83], -v[60:61], v[80:81], 1.0
	v_fmac_f64_e32 v[80:81], v[80:81], v[82:83]
	v_div_scale_f64 v[82:83], vcc, 1.0, v[62:63], 1.0
	v_mul_f64 v[84:85], v[82:83], v[80:81]
	v_fma_f64 v[60:61], -v[60:61], v[84:85], v[82:83]
	s_nop 1
	v_div_fmas_f64 v[60:61], v[60:61], v[80:81], v[84:85]
	v_div_fixup_f64 v[62:63], v[60:61], v[62:63], 1.0
	v_mul_f64 v[60:61], v[78:79], v[62:63]
	v_xor_b32_e32 v63, 0x80000000, v63
.LBB28_49:
	s_andn2_saveexec_b64 s[16:17], s[16:17]
	s_cbranch_execz .LBB28_51
; %bb.50:
	v_div_scale_f64 v[78:79], s[18:19], v[60:61], v[60:61], v[62:63]
	v_rcp_f64_e32 v[80:81], v[78:79]
	v_div_scale_f64 v[82:83], vcc, v[62:63], v[60:61], v[62:63]
	v_fma_f64 v[84:85], -v[78:79], v[80:81], 1.0
	v_fmac_f64_e32 v[80:81], v[80:81], v[84:85]
	v_fma_f64 v[84:85], -v[78:79], v[80:81], 1.0
	v_fmac_f64_e32 v[80:81], v[80:81], v[84:85]
	v_mul_f64 v[84:85], v[82:83], v[80:81]
	v_fma_f64 v[78:79], -v[78:79], v[84:85], v[82:83]
	v_div_fmas_f64 v[78:79], v[78:79], v[80:81], v[84:85]
	v_div_fixup_f64 v[78:79], v[78:79], v[60:61], v[62:63]
	v_fmac_f64_e32 v[60:61], v[62:63], v[78:79]
	v_div_scale_f64 v[62:63], s[18:19], v[60:61], v[60:61], 1.0
	v_rcp_f64_e32 v[80:81], v[62:63]
	s_nop 0
	v_fma_f64 v[82:83], -v[62:63], v[80:81], 1.0
	v_fmac_f64_e32 v[80:81], v[80:81], v[82:83]
	v_fma_f64 v[82:83], -v[62:63], v[80:81], 1.0
	v_fmac_f64_e32 v[80:81], v[80:81], v[82:83]
	v_div_scale_f64 v[82:83], vcc, 1.0, v[60:61], 1.0
	v_mul_f64 v[84:85], v[82:83], v[80:81]
	v_fma_f64 v[62:63], -v[62:63], v[84:85], v[82:83]
	s_nop 1
	v_div_fmas_f64 v[62:63], v[62:63], v[80:81], v[84:85]
	v_div_fixup_f64 v[60:61], v[62:63], v[60:61], 1.0
	v_mul_f64 v[62:63], v[78:79], -v[60:61]
.LBB28_51:
	s_or_b64 exec, exec, s[16:17]
.LBB28_52:
	s_or_b64 exec, exec, s[0:1]
	v_cmp_ne_u32_e32 vcc, v73, v70
	s_and_saveexec_b64 s[0:1], vcc
	s_xor_b64 s[0:1], exec, s[0:1]
	s_cbranch_execz .LBB28_58
; %bb.53:
	v_cmp_eq_u32_e32 vcc, 2, v73
	s_and_saveexec_b64 s[16:17], vcc
	s_cbranch_execz .LBB28_57
; %bb.54:
	v_cmp_ne_u32_e32 vcc, 2, v70
	s_xor_b64 s[18:19], s[14:15], -1
	s_and_b64 s[22:23], s[18:19], vcc
	s_and_saveexec_b64 s[18:19], s[22:23]
	s_cbranch_execz .LBB28_56
; %bb.55:
	v_ashrrev_i32_e32 v71, 31, v70
	v_lshl_add_u64 v[78:79], v[70:71], 2, v[68:69]
	global_load_dword v71, v[78:79], off
	global_load_dword v73, v[68:69], off offset:8
	s_waitcnt vmcnt(1)
	global_store_dword v[68:69], v71, off offset:8
	s_waitcnt vmcnt(1)
	global_store_dword v[78:79], v73, off
.LBB28_56:
	s_or_b64 exec, exec, s[18:19]
	v_mov_b32_e32 v73, v70
	v_mov_b32_e32 v74, v70
.LBB28_57:
	s_or_b64 exec, exec, s[16:17]
.LBB28_58:
	s_andn2_saveexec_b64 s[0:1], s[0:1]
	s_cbranch_execz .LBB28_60
; %bb.59:
	v_mov_b32_e32 v73, 2
	ds_write2_b64 v72, v[36:37], v[38:39] offset0:6 offset1:7
	s_waitcnt vmcnt(10)
	ds_write2_b64 v72, v[40:41], v[42:43] offset0:8 offset1:9
	s_waitcnt vmcnt(9)
	;; [unrolled: 2-line block ×11, first 2 shown]
	ds_write2_b64 v72, v[56:57], v[58:59] offset0:28 offset1:29
.LBB28_60:
	s_or_b64 exec, exec, s[0:1]
	v_cmp_lt_i32_e32 vcc, 2, v73
	s_waitcnt lgkmcnt(0)
	s_barrier
	s_and_saveexec_b64 s[0:1], vcc
	s_cbranch_execz .LBB28_62
; %bb.61:
	ds_read2_b64 v[78:81], v72 offset0:6 offset1:7
	v_mul_f64 v[70:71], v[60:61], v[46:47]
	v_mul_f64 v[46:47], v[62:63], v[46:47]
	v_fmac_f64_e32 v[70:71], v[62:63], v[44:45]
	v_fma_f64 v[44:45], v[60:61], v[44:45], -v[46:47]
	ds_read2_b64 v[60:63], v72 offset0:8 offset1:9
	s_waitcnt lgkmcnt(1)
	v_mul_f64 v[46:47], v[80:81], v[70:71]
	v_fma_f64 v[46:47], v[78:79], v[44:45], -v[46:47]
	v_mul_f64 v[78:79], v[78:79], v[70:71]
	v_fmac_f64_e32 v[78:79], v[80:81], v[44:45]
	v_add_f64 v[36:37], v[36:37], -v[46:47]
	s_waitcnt lgkmcnt(0)
	v_mul_f64 v[46:47], v[62:63], v[70:71]
	v_add_f64 v[38:39], v[38:39], -v[78:79]
	v_fma_f64 v[46:47], v[60:61], v[44:45], -v[46:47]
	v_mul_f64 v[60:61], v[60:61], v[70:71]
	ds_read2_b64 v[78:81], v72 offset0:10 offset1:11
	v_fmac_f64_e32 v[60:61], v[62:63], v[44:45]
	s_waitcnt vmcnt(10)
	v_add_f64 v[42:43], v[42:43], -v[60:61]
	ds_read2_b64 v[60:63], v72 offset0:12 offset1:13
	v_add_f64 v[40:41], v[40:41], -v[46:47]
	s_waitcnt lgkmcnt(1)
	v_mul_f64 v[46:47], v[80:81], v[70:71]
	v_fma_f64 v[46:47], v[78:79], v[44:45], -v[46:47]
	v_mul_f64 v[78:79], v[78:79], v[70:71]
	v_fmac_f64_e32 v[78:79], v[80:81], v[44:45]
	s_waitcnt vmcnt(9)
	v_add_f64 v[32:33], v[32:33], -v[46:47]
	s_waitcnt lgkmcnt(0)
	v_mul_f64 v[46:47], v[62:63], v[70:71]
	v_add_f64 v[34:35], v[34:35], -v[78:79]
	v_fma_f64 v[46:47], v[60:61], v[44:45], -v[46:47]
	v_mul_f64 v[60:61], v[60:61], v[70:71]
	ds_read2_b64 v[78:81], v72 offset0:14 offset1:15
	v_fmac_f64_e32 v[60:61], v[62:63], v[44:45]
	s_waitcnt vmcnt(8)
	v_add_f64 v[30:31], v[30:31], -v[60:61]
	ds_read2_b64 v[60:63], v72 offset0:16 offset1:17
	v_add_f64 v[28:29], v[28:29], -v[46:47]
	s_waitcnt lgkmcnt(1)
	v_mul_f64 v[46:47], v[80:81], v[70:71]
	v_fma_f64 v[46:47], v[78:79], v[44:45], -v[46:47]
	v_mul_f64 v[78:79], v[78:79], v[70:71]
	v_fmac_f64_e32 v[78:79], v[80:81], v[44:45]
	s_waitcnt vmcnt(7)
	;; [unrolled: 18-line block ×4, first 2 shown]
	v_add_f64 v[8:9], v[8:9], -v[46:47]
	s_waitcnt lgkmcnt(0)
	v_mul_f64 v[46:47], v[62:63], v[70:71]
	v_add_f64 v[10:11], v[10:11], -v[78:79]
	v_fma_f64 v[46:47], v[60:61], v[44:45], -v[46:47]
	v_mul_f64 v[60:61], v[60:61], v[70:71]
	ds_read2_b64 v[78:81], v72 offset0:26 offset1:27
	v_fmac_f64_e32 v[60:61], v[62:63], v[44:45]
	s_waitcnt vmcnt(2)
	v_add_f64 v[6:7], v[6:7], -v[60:61]
	ds_read2_b64 v[60:63], v72 offset0:28 offset1:29
	v_add_f64 v[4:5], v[4:5], -v[46:47]
	s_waitcnt lgkmcnt(1)
	v_mul_f64 v[46:47], v[80:81], v[70:71]
	v_fma_f64 v[46:47], v[78:79], v[44:45], -v[46:47]
	s_waitcnt vmcnt(1)
	v_add_f64 v[0:1], v[0:1], -v[46:47]
	s_waitcnt lgkmcnt(0)
	v_mul_f64 v[46:47], v[62:63], v[70:71]
	v_mul_f64 v[78:79], v[78:79], v[70:71]
	v_fma_f64 v[46:47], v[60:61], v[44:45], -v[46:47]
	v_mul_f64 v[60:61], v[60:61], v[70:71]
	v_fmac_f64_e32 v[78:79], v[80:81], v[44:45]
	v_fmac_f64_e32 v[60:61], v[62:63], v[44:45]
	v_add_f64 v[2:3], v[2:3], -v[78:79]
	s_waitcnt vmcnt(0)
	v_add_f64 v[56:57], v[56:57], -v[46:47]
	v_add_f64 v[58:59], v[58:59], -v[60:61]
	v_mov_b64_e32 v[46:47], v[70:71]
.LBB28_62:
	s_or_b64 exec, exec, s[0:1]
	v_lshl_add_u32 v60, v73, 4, v72
	s_barrier
	ds_write2_b64 v60, v[36:37], v[38:39] offset1:1
	s_waitcnt lgkmcnt(0)
	s_barrier
	ds_read2_b64 v[60:63], v72 offset0:6 offset1:7
	s_mov_b32 s16, 4
	s_cmp_lt_i32 s20, 5
	v_mov_b32_e32 v70, 3
	s_cbranch_scc1 .LBB28_65
; %bb.63:
	v_add3_u32 v71, v76, 0, 64
	v_mov_b32_e32 v70, 3
.LBB28_64:                              ; =>This Inner Loop Header: Depth=1
	ds_read2_b64 v[76:79], v71 offset1:1
	s_waitcnt lgkmcnt(1)
	v_xor_b32_e32 v81, 0x80000000, v61
	v_xor_b32_e32 v83, 0x80000000, v63
	v_cmp_gt_f64_e32 vcc, 0, v[62:63]
	v_cmp_gt_f64_e64 s[0:1], 0, v[60:61]
	v_mov_b32_e32 v80, v60
	v_mov_b32_e32 v82, v62
	v_cndmask_b32_e64 v81, v61, v81, s[0:1]
	v_cndmask_b32_e32 v83, v63, v83, vcc
	v_add_f64 v[80:81], v[80:81], v[82:83]
	s_waitcnt lgkmcnt(0)
	v_xor_b32_e32 v83, 0x80000000, v77
	v_xor_b32_e32 v85, 0x80000000, v79
	v_cmp_gt_f64_e32 vcc, 0, v[78:79]
	v_cmp_gt_f64_e64 s[0:1], 0, v[76:77]
	v_mov_b32_e32 v82, v76
	v_mov_b32_e32 v84, v78
	v_cndmask_b32_e64 v83, v77, v83, s[0:1]
	v_cndmask_b32_e32 v85, v79, v85, vcc
	v_add_f64 v[82:83], v[82:83], v[84:85]
	v_mov_b32_e32 v86, s16
	s_add_i32 s16, s16, 1
	v_cmp_lt_f64_e32 vcc, v[80:81], v[82:83]
	v_add_u32_e32 v71, 16, v71
	s_cmp_lg_u32 s20, s16
	v_cndmask_b32_e32 v61, v61, v77, vcc
	v_cndmask_b32_e32 v60, v60, v76, vcc
	;; [unrolled: 1-line block ×5, first 2 shown]
	s_cbranch_scc1 .LBB28_64
.LBB28_65:
	s_waitcnt lgkmcnt(0)
	v_cmp_eq_f64_e32 vcc, 0, v[60:61]
	v_cmp_eq_f64_e64 s[0:1], 0, v[62:63]
	s_and_b64 s[0:1], vcc, s[0:1]
	s_and_saveexec_b64 s[16:17], s[0:1]
	s_xor_b64 s[0:1], exec, s[16:17]
; %bb.66:
	v_cmp_ne_u32_e32 vcc, 0, v75
	s_nop 1
	v_cndmask_b32_e32 v75, 4, v75, vcc
; %bb.67:
	s_andn2_saveexec_b64 s[0:1], s[0:1]
	s_cbranch_execz .LBB28_73
; %bb.68:
	v_cmp_ngt_f64_e64 s[16:17], |v[60:61]|, |v[62:63]|
	s_and_saveexec_b64 s[18:19], s[16:17]
	s_xor_b64 s[16:17], exec, s[18:19]
	s_cbranch_execz .LBB28_70
; %bb.69:
	v_div_scale_f64 v[76:77], s[18:19], v[62:63], v[62:63], v[60:61]
	v_rcp_f64_e32 v[78:79], v[76:77]
	v_div_scale_f64 v[80:81], vcc, v[60:61], v[62:63], v[60:61]
	v_fma_f64 v[82:83], -v[76:77], v[78:79], 1.0
	v_fmac_f64_e32 v[78:79], v[78:79], v[82:83]
	v_fma_f64 v[82:83], -v[76:77], v[78:79], 1.0
	v_fmac_f64_e32 v[78:79], v[78:79], v[82:83]
	v_mul_f64 v[82:83], v[80:81], v[78:79]
	v_fma_f64 v[76:77], -v[76:77], v[82:83], v[80:81]
	v_div_fmas_f64 v[76:77], v[76:77], v[78:79], v[82:83]
	v_div_fixup_f64 v[76:77], v[76:77], v[62:63], v[60:61]
	v_fmac_f64_e32 v[62:63], v[60:61], v[76:77]
	v_div_scale_f64 v[60:61], s[18:19], v[62:63], v[62:63], 1.0
	v_rcp_f64_e32 v[78:79], v[60:61]
	s_nop 0
	v_fma_f64 v[80:81], -v[60:61], v[78:79], 1.0
	v_fmac_f64_e32 v[78:79], v[78:79], v[80:81]
	v_fma_f64 v[80:81], -v[60:61], v[78:79], 1.0
	v_fmac_f64_e32 v[78:79], v[78:79], v[80:81]
	v_div_scale_f64 v[80:81], vcc, 1.0, v[62:63], 1.0
	v_mul_f64 v[82:83], v[80:81], v[78:79]
	v_fma_f64 v[60:61], -v[60:61], v[82:83], v[80:81]
	s_nop 1
	v_div_fmas_f64 v[60:61], v[60:61], v[78:79], v[82:83]
	v_div_fixup_f64 v[62:63], v[60:61], v[62:63], 1.0
	v_mul_f64 v[60:61], v[76:77], v[62:63]
	v_xor_b32_e32 v63, 0x80000000, v63
.LBB28_70:
	s_andn2_saveexec_b64 s[16:17], s[16:17]
	s_cbranch_execz .LBB28_72
; %bb.71:
	v_div_scale_f64 v[76:77], s[18:19], v[60:61], v[60:61], v[62:63]
	v_rcp_f64_e32 v[78:79], v[76:77]
	v_div_scale_f64 v[80:81], vcc, v[62:63], v[60:61], v[62:63]
	v_fma_f64 v[82:83], -v[76:77], v[78:79], 1.0
	v_fmac_f64_e32 v[78:79], v[78:79], v[82:83]
	v_fma_f64 v[82:83], -v[76:77], v[78:79], 1.0
	v_fmac_f64_e32 v[78:79], v[78:79], v[82:83]
	v_mul_f64 v[82:83], v[80:81], v[78:79]
	v_fma_f64 v[76:77], -v[76:77], v[82:83], v[80:81]
	v_div_fmas_f64 v[76:77], v[76:77], v[78:79], v[82:83]
	v_div_fixup_f64 v[76:77], v[76:77], v[60:61], v[62:63]
	v_fmac_f64_e32 v[60:61], v[62:63], v[76:77]
	v_div_scale_f64 v[62:63], s[18:19], v[60:61], v[60:61], 1.0
	v_rcp_f64_e32 v[78:79], v[62:63]
	s_nop 0
	v_fma_f64 v[80:81], -v[62:63], v[78:79], 1.0
	v_fmac_f64_e32 v[78:79], v[78:79], v[80:81]
	v_fma_f64 v[80:81], -v[62:63], v[78:79], 1.0
	v_fmac_f64_e32 v[78:79], v[78:79], v[80:81]
	v_div_scale_f64 v[80:81], vcc, 1.0, v[60:61], 1.0
	v_mul_f64 v[82:83], v[80:81], v[78:79]
	v_fma_f64 v[62:63], -v[62:63], v[82:83], v[80:81]
	s_nop 1
	v_div_fmas_f64 v[62:63], v[62:63], v[78:79], v[82:83]
	v_div_fixup_f64 v[60:61], v[62:63], v[60:61], 1.0
	v_mul_f64 v[62:63], v[76:77], -v[60:61]
.LBB28_72:
	s_or_b64 exec, exec, s[16:17]
.LBB28_73:
	s_or_b64 exec, exec, s[0:1]
	v_cmp_ne_u32_e32 vcc, v73, v70
	s_and_saveexec_b64 s[0:1], vcc
	s_xor_b64 s[0:1], exec, s[0:1]
	s_cbranch_execz .LBB28_79
; %bb.74:
	v_cmp_eq_u32_e32 vcc, 3, v73
	s_and_saveexec_b64 s[16:17], vcc
	s_cbranch_execz .LBB28_78
; %bb.75:
	v_cmp_ne_u32_e32 vcc, 3, v70
	s_xor_b64 s[18:19], s[14:15], -1
	s_and_b64 s[22:23], s[18:19], vcc
	s_and_saveexec_b64 s[18:19], s[22:23]
	s_cbranch_execz .LBB28_77
; %bb.76:
	v_ashrrev_i32_e32 v71, 31, v70
	v_lshl_add_u64 v[76:77], v[70:71], 2, v[68:69]
	global_load_dword v71, v[76:77], off
	global_load_dword v73, v[68:69], off offset:12
	s_waitcnt vmcnt(1)
	global_store_dword v[68:69], v71, off offset:12
	s_waitcnt vmcnt(1)
	global_store_dword v[76:77], v73, off
.LBB28_77:
	s_or_b64 exec, exec, s[18:19]
	v_mov_b32_e32 v73, v70
	v_mov_b32_e32 v74, v70
.LBB28_78:
	s_or_b64 exec, exec, s[16:17]
.LBB28_79:
	s_andn2_saveexec_b64 s[0:1], s[0:1]
	s_cbranch_execz .LBB28_81
; %bb.80:
	v_mov_b32_e32 v73, 3
	s_waitcnt vmcnt(10)
	ds_write2_b64 v72, v[40:41], v[42:43] offset0:8 offset1:9
	s_waitcnt vmcnt(9)
	ds_write2_b64 v72, v[32:33], v[34:35] offset0:10 offset1:11
	;; [unrolled: 2-line block ×11, first 2 shown]
.LBB28_81:
	s_or_b64 exec, exec, s[0:1]
	v_cmp_lt_i32_e32 vcc, 3, v73
	s_waitcnt lgkmcnt(0)
	s_barrier
	s_and_saveexec_b64 s[0:1], vcc
	s_cbranch_execz .LBB28_83
; %bb.82:
	ds_read2_b64 v[76:79], v72 offset0:8 offset1:9
	v_mul_f64 v[70:71], v[60:61], v[38:39]
	v_fmac_f64_e32 v[70:71], v[62:63], v[36:37]
	v_mul_f64 v[38:39], v[62:63], v[38:39]
	v_fma_f64 v[36:37], v[60:61], v[36:37], -v[38:39]
	ds_read2_b64 v[60:63], v72 offset0:10 offset1:11
	s_waitcnt lgkmcnt(1)
	v_mul_f64 v[38:39], v[78:79], v[70:71]
	v_fma_f64 v[38:39], v[76:77], v[36:37], -v[38:39]
	v_mul_f64 v[76:77], v[76:77], v[70:71]
	v_fmac_f64_e32 v[76:77], v[78:79], v[36:37]
	s_waitcnt vmcnt(10)
	v_add_f64 v[42:43], v[42:43], -v[76:77]
	ds_read2_b64 v[76:79], v72 offset0:12 offset1:13
	v_add_f64 v[40:41], v[40:41], -v[38:39]
	s_waitcnt lgkmcnt(1)
	v_mul_f64 v[38:39], v[62:63], v[70:71]
	v_fma_f64 v[38:39], v[60:61], v[36:37], -v[38:39]
	v_mul_f64 v[60:61], v[60:61], v[70:71]
	v_fmac_f64_e32 v[60:61], v[62:63], v[36:37]
	s_waitcnt vmcnt(9)
	v_add_f64 v[32:33], v[32:33], -v[38:39]
	v_add_f64 v[34:35], v[34:35], -v[60:61]
	ds_read2_b64 v[60:63], v72 offset0:14 offset1:15
	s_waitcnt lgkmcnt(1)
	v_mul_f64 v[38:39], v[78:79], v[70:71]
	v_fma_f64 v[38:39], v[76:77], v[36:37], -v[38:39]
	v_mul_f64 v[76:77], v[76:77], v[70:71]
	v_fmac_f64_e32 v[76:77], v[78:79], v[36:37]
	s_waitcnt vmcnt(8)
	v_add_f64 v[30:31], v[30:31], -v[76:77]
	ds_read2_b64 v[76:79], v72 offset0:16 offset1:17
	v_add_f64 v[28:29], v[28:29], -v[38:39]
	s_waitcnt lgkmcnt(1)
	v_mul_f64 v[38:39], v[62:63], v[70:71]
	v_fma_f64 v[38:39], v[60:61], v[36:37], -v[38:39]
	v_mul_f64 v[60:61], v[60:61], v[70:71]
	v_fmac_f64_e32 v[60:61], v[62:63], v[36:37]
	s_waitcnt vmcnt(7)
	v_add_f64 v[24:25], v[24:25], -v[38:39]
	v_add_f64 v[26:27], v[26:27], -v[60:61]
	;; [unrolled: 18-line block ×5, first 2 shown]
	s_waitcnt lgkmcnt(0)
	v_mul_f64 v[38:39], v[78:79], v[70:71]
	v_mul_f64 v[60:61], v[76:77], v[70:71]
	v_fma_f64 v[38:39], v[76:77], v[36:37], -v[38:39]
	v_fmac_f64_e32 v[60:61], v[78:79], v[36:37]
	s_waitcnt vmcnt(0)
	v_add_f64 v[56:57], v[56:57], -v[38:39]
	v_add_f64 v[58:59], v[58:59], -v[60:61]
	v_mov_b64_e32 v[38:39], v[70:71]
.LBB28_83:
	s_or_b64 exec, exec, s[0:1]
	v_lshl_add_u32 v60, v73, 4, v72
	s_barrier
	s_waitcnt vmcnt(10)
	ds_write2_b64 v60, v[40:41], v[42:43] offset1:1
	s_waitcnt lgkmcnt(0)
	s_barrier
	ds_read2_b64 v[60:63], v72 offset0:8 offset1:9
	s_cmp_lt_i32 s20, 6
	v_mov_b32_e32 v70, 4
	s_cbranch_scc1 .LBB28_86
; %bb.84:
	v_mov_b32_e32 v70, 4
	v_add_u32_e32 v71, 0x50, v72
	s_mov_b32 s16, 5
.LBB28_85:                              ; =>This Inner Loop Header: Depth=1
	ds_read2_b64 v[76:79], v71 offset1:1
	s_waitcnt lgkmcnt(1)
	v_xor_b32_e32 v81, 0x80000000, v61
	v_xor_b32_e32 v83, 0x80000000, v63
	v_cmp_gt_f64_e32 vcc, 0, v[62:63]
	v_cmp_gt_f64_e64 s[0:1], 0, v[60:61]
	v_mov_b32_e32 v80, v60
	v_mov_b32_e32 v82, v62
	v_cndmask_b32_e64 v81, v61, v81, s[0:1]
	v_cndmask_b32_e32 v83, v63, v83, vcc
	v_add_f64 v[80:81], v[80:81], v[82:83]
	s_waitcnt lgkmcnt(0)
	v_xor_b32_e32 v83, 0x80000000, v77
	v_xor_b32_e32 v85, 0x80000000, v79
	v_cmp_gt_f64_e32 vcc, 0, v[78:79]
	v_cmp_gt_f64_e64 s[0:1], 0, v[76:77]
	v_mov_b32_e32 v82, v76
	v_mov_b32_e32 v84, v78
	v_cndmask_b32_e64 v83, v77, v83, s[0:1]
	v_cndmask_b32_e32 v85, v79, v85, vcc
	v_add_f64 v[82:83], v[82:83], v[84:85]
	v_mov_b32_e32 v86, s16
	s_add_i32 s16, s16, 1
	v_cmp_lt_f64_e32 vcc, v[80:81], v[82:83]
	v_add_u32_e32 v71, 16, v71
	s_cmp_lg_u32 s20, s16
	v_cndmask_b32_e32 v61, v61, v77, vcc
	v_cndmask_b32_e32 v60, v60, v76, vcc
	;; [unrolled: 1-line block ×5, first 2 shown]
	s_cbranch_scc1 .LBB28_85
.LBB28_86:
	s_waitcnt lgkmcnt(0)
	v_cmp_eq_f64_e32 vcc, 0, v[60:61]
	v_cmp_eq_f64_e64 s[0:1], 0, v[62:63]
	s_and_b64 s[0:1], vcc, s[0:1]
	s_and_saveexec_b64 s[16:17], s[0:1]
	s_xor_b64 s[0:1], exec, s[16:17]
; %bb.87:
	v_cmp_ne_u32_e32 vcc, 0, v75
	s_nop 1
	v_cndmask_b32_e32 v75, 5, v75, vcc
; %bb.88:
	s_andn2_saveexec_b64 s[0:1], s[0:1]
	s_cbranch_execz .LBB28_94
; %bb.89:
	v_cmp_ngt_f64_e64 s[16:17], |v[60:61]|, |v[62:63]|
	s_and_saveexec_b64 s[18:19], s[16:17]
	s_xor_b64 s[16:17], exec, s[18:19]
	s_cbranch_execz .LBB28_91
; %bb.90:
	v_div_scale_f64 v[76:77], s[18:19], v[62:63], v[62:63], v[60:61]
	v_rcp_f64_e32 v[78:79], v[76:77]
	v_div_scale_f64 v[80:81], vcc, v[60:61], v[62:63], v[60:61]
	v_fma_f64 v[82:83], -v[76:77], v[78:79], 1.0
	v_fmac_f64_e32 v[78:79], v[78:79], v[82:83]
	v_fma_f64 v[82:83], -v[76:77], v[78:79], 1.0
	v_fmac_f64_e32 v[78:79], v[78:79], v[82:83]
	v_mul_f64 v[82:83], v[80:81], v[78:79]
	v_fma_f64 v[76:77], -v[76:77], v[82:83], v[80:81]
	v_div_fmas_f64 v[76:77], v[76:77], v[78:79], v[82:83]
	v_div_fixup_f64 v[76:77], v[76:77], v[62:63], v[60:61]
	v_fmac_f64_e32 v[62:63], v[60:61], v[76:77]
	v_div_scale_f64 v[60:61], s[18:19], v[62:63], v[62:63], 1.0
	v_rcp_f64_e32 v[78:79], v[60:61]
	s_nop 0
	v_fma_f64 v[80:81], -v[60:61], v[78:79], 1.0
	v_fmac_f64_e32 v[78:79], v[78:79], v[80:81]
	v_fma_f64 v[80:81], -v[60:61], v[78:79], 1.0
	v_fmac_f64_e32 v[78:79], v[78:79], v[80:81]
	v_div_scale_f64 v[80:81], vcc, 1.0, v[62:63], 1.0
	v_mul_f64 v[82:83], v[80:81], v[78:79]
	v_fma_f64 v[60:61], -v[60:61], v[82:83], v[80:81]
	s_nop 1
	v_div_fmas_f64 v[60:61], v[60:61], v[78:79], v[82:83]
	v_div_fixup_f64 v[62:63], v[60:61], v[62:63], 1.0
	v_mul_f64 v[60:61], v[76:77], v[62:63]
	v_xor_b32_e32 v63, 0x80000000, v63
.LBB28_91:
	s_andn2_saveexec_b64 s[16:17], s[16:17]
	s_cbranch_execz .LBB28_93
; %bb.92:
	v_div_scale_f64 v[76:77], s[18:19], v[60:61], v[60:61], v[62:63]
	v_rcp_f64_e32 v[78:79], v[76:77]
	v_div_scale_f64 v[80:81], vcc, v[62:63], v[60:61], v[62:63]
	v_fma_f64 v[82:83], -v[76:77], v[78:79], 1.0
	v_fmac_f64_e32 v[78:79], v[78:79], v[82:83]
	v_fma_f64 v[82:83], -v[76:77], v[78:79], 1.0
	v_fmac_f64_e32 v[78:79], v[78:79], v[82:83]
	v_mul_f64 v[82:83], v[80:81], v[78:79]
	v_fma_f64 v[76:77], -v[76:77], v[82:83], v[80:81]
	v_div_fmas_f64 v[76:77], v[76:77], v[78:79], v[82:83]
	v_div_fixup_f64 v[76:77], v[76:77], v[60:61], v[62:63]
	v_fmac_f64_e32 v[60:61], v[62:63], v[76:77]
	v_div_scale_f64 v[62:63], s[18:19], v[60:61], v[60:61], 1.0
	v_rcp_f64_e32 v[78:79], v[62:63]
	s_nop 0
	v_fma_f64 v[80:81], -v[62:63], v[78:79], 1.0
	v_fmac_f64_e32 v[78:79], v[78:79], v[80:81]
	v_fma_f64 v[80:81], -v[62:63], v[78:79], 1.0
	v_fmac_f64_e32 v[78:79], v[78:79], v[80:81]
	v_div_scale_f64 v[80:81], vcc, 1.0, v[60:61], 1.0
	v_mul_f64 v[82:83], v[80:81], v[78:79]
	v_fma_f64 v[62:63], -v[62:63], v[82:83], v[80:81]
	s_nop 1
	v_div_fmas_f64 v[62:63], v[62:63], v[78:79], v[82:83]
	v_div_fixup_f64 v[60:61], v[62:63], v[60:61], 1.0
	v_mul_f64 v[62:63], v[76:77], -v[60:61]
.LBB28_93:
	s_or_b64 exec, exec, s[16:17]
.LBB28_94:
	s_or_b64 exec, exec, s[0:1]
	v_cmp_ne_u32_e32 vcc, v73, v70
	s_and_saveexec_b64 s[0:1], vcc
	s_xor_b64 s[0:1], exec, s[0:1]
	s_cbranch_execz .LBB28_100
; %bb.95:
	v_cmp_eq_u32_e32 vcc, 4, v73
	s_and_saveexec_b64 s[16:17], vcc
	s_cbranch_execz .LBB28_99
; %bb.96:
	v_cmp_ne_u32_e32 vcc, 4, v70
	s_xor_b64 s[18:19], s[14:15], -1
	s_and_b64 s[22:23], s[18:19], vcc
	s_and_saveexec_b64 s[18:19], s[22:23]
	s_cbranch_execz .LBB28_98
; %bb.97:
	v_ashrrev_i32_e32 v71, 31, v70
	v_lshl_add_u64 v[76:77], v[70:71], 2, v[68:69]
	global_load_dword v71, v[76:77], off
	global_load_dword v73, v[68:69], off offset:16
	s_waitcnt vmcnt(1)
	global_store_dword v[68:69], v71, off offset:16
	s_waitcnt vmcnt(1)
	global_store_dword v[76:77], v73, off
.LBB28_98:
	s_or_b64 exec, exec, s[18:19]
	v_mov_b32_e32 v73, v70
	v_mov_b32_e32 v74, v70
.LBB28_99:
	s_or_b64 exec, exec, s[16:17]
.LBB28_100:
	s_andn2_saveexec_b64 s[0:1], s[0:1]
	s_cbranch_execz .LBB28_102
; %bb.101:
	v_mov_b32_e32 v73, 4
	s_waitcnt vmcnt(9)
	ds_write2_b64 v72, v[32:33], v[34:35] offset0:10 offset1:11
	s_waitcnt vmcnt(8)
	ds_write2_b64 v72, v[28:29], v[30:31] offset0:12 offset1:13
	;; [unrolled: 2-line block ×10, first 2 shown]
.LBB28_102:
	s_or_b64 exec, exec, s[0:1]
	v_cmp_lt_i32_e32 vcc, 4, v73
	s_waitcnt lgkmcnt(0)
	s_barrier
	s_and_saveexec_b64 s[0:1], vcc
	s_cbranch_execz .LBB28_104
; %bb.103:
	ds_read2_b64 v[76:79], v72 offset0:10 offset1:11
	v_mul_f64 v[70:71], v[60:61], v[42:43]
	v_mul_f64 v[42:43], v[62:63], v[42:43]
	v_fmac_f64_e32 v[70:71], v[62:63], v[40:41]
	v_fma_f64 v[40:41], v[60:61], v[40:41], -v[42:43]
	ds_read2_b64 v[60:63], v72 offset0:12 offset1:13
	s_waitcnt lgkmcnt(1)
	v_mul_f64 v[42:43], v[78:79], v[70:71]
	v_fma_f64 v[42:43], v[76:77], v[40:41], -v[42:43]
	v_mul_f64 v[76:77], v[76:77], v[70:71]
	v_fmac_f64_e32 v[76:77], v[78:79], v[40:41]
	s_waitcnt vmcnt(9)
	v_add_f64 v[32:33], v[32:33], -v[42:43]
	s_waitcnt lgkmcnt(0)
	v_mul_f64 v[42:43], v[62:63], v[70:71]
	v_add_f64 v[34:35], v[34:35], -v[76:77]
	v_fma_f64 v[42:43], v[60:61], v[40:41], -v[42:43]
	v_mul_f64 v[60:61], v[60:61], v[70:71]
	ds_read2_b64 v[76:79], v72 offset0:14 offset1:15
	v_fmac_f64_e32 v[60:61], v[62:63], v[40:41]
	s_waitcnt vmcnt(8)
	v_add_f64 v[30:31], v[30:31], -v[60:61]
	ds_read2_b64 v[60:63], v72 offset0:16 offset1:17
	v_add_f64 v[28:29], v[28:29], -v[42:43]
	s_waitcnt lgkmcnt(1)
	v_mul_f64 v[42:43], v[78:79], v[70:71]
	v_fma_f64 v[42:43], v[76:77], v[40:41], -v[42:43]
	v_mul_f64 v[76:77], v[76:77], v[70:71]
	v_fmac_f64_e32 v[76:77], v[78:79], v[40:41]
	s_waitcnt vmcnt(7)
	v_add_f64 v[24:25], v[24:25], -v[42:43]
	s_waitcnt lgkmcnt(0)
	v_mul_f64 v[42:43], v[62:63], v[70:71]
	v_add_f64 v[26:27], v[26:27], -v[76:77]
	v_fma_f64 v[42:43], v[60:61], v[40:41], -v[42:43]
	v_mul_f64 v[60:61], v[60:61], v[70:71]
	ds_read2_b64 v[76:79], v72 offset0:18 offset1:19
	v_fmac_f64_e32 v[60:61], v[62:63], v[40:41]
	s_waitcnt vmcnt(6)
	v_add_f64 v[22:23], v[22:23], -v[60:61]
	ds_read2_b64 v[60:63], v72 offset0:20 offset1:21
	v_add_f64 v[20:21], v[20:21], -v[42:43]
	;; [unrolled: 18-line block ×4, first 2 shown]
	s_waitcnt lgkmcnt(1)
	v_mul_f64 v[42:43], v[78:79], v[70:71]
	v_fma_f64 v[42:43], v[76:77], v[40:41], -v[42:43]
	s_waitcnt vmcnt(1)
	v_add_f64 v[0:1], v[0:1], -v[42:43]
	s_waitcnt lgkmcnt(0)
	v_mul_f64 v[42:43], v[62:63], v[70:71]
	v_mul_f64 v[76:77], v[76:77], v[70:71]
	v_fma_f64 v[42:43], v[60:61], v[40:41], -v[42:43]
	v_mul_f64 v[60:61], v[60:61], v[70:71]
	v_fmac_f64_e32 v[76:77], v[78:79], v[40:41]
	v_fmac_f64_e32 v[60:61], v[62:63], v[40:41]
	v_add_f64 v[2:3], v[2:3], -v[76:77]
	s_waitcnt vmcnt(0)
	v_add_f64 v[56:57], v[56:57], -v[42:43]
	v_add_f64 v[58:59], v[58:59], -v[60:61]
	v_mov_b64_e32 v[42:43], v[70:71]
.LBB28_104:
	s_or_b64 exec, exec, s[0:1]
	v_lshl_add_u32 v60, v73, 4, v72
	s_barrier
	s_waitcnt vmcnt(9)
	ds_write2_b64 v60, v[32:33], v[34:35] offset1:1
	s_waitcnt lgkmcnt(0)
	s_barrier
	ds_read2_b64 v[60:63], v72 offset0:10 offset1:11
	s_cmp_lt_i32 s20, 7
	v_mov_b32_e32 v70, 5
	s_cbranch_scc1 .LBB28_107
; %bb.105:
	v_add_u32_e32 v71, 0x60, v72
	s_mov_b32 s16, 6
	v_mov_b32_e32 v70, 5
.LBB28_106:                             ; =>This Inner Loop Header: Depth=1
	ds_read2_b64 v[76:79], v71 offset1:1
	s_waitcnt lgkmcnt(1)
	v_xor_b32_e32 v81, 0x80000000, v61
	v_xor_b32_e32 v83, 0x80000000, v63
	v_cmp_gt_f64_e32 vcc, 0, v[62:63]
	v_cmp_gt_f64_e64 s[0:1], 0, v[60:61]
	v_mov_b32_e32 v80, v60
	v_mov_b32_e32 v82, v62
	v_cndmask_b32_e64 v81, v61, v81, s[0:1]
	v_cndmask_b32_e32 v83, v63, v83, vcc
	v_add_f64 v[80:81], v[80:81], v[82:83]
	s_waitcnt lgkmcnt(0)
	v_xor_b32_e32 v83, 0x80000000, v77
	v_xor_b32_e32 v85, 0x80000000, v79
	v_cmp_gt_f64_e32 vcc, 0, v[78:79]
	v_cmp_gt_f64_e64 s[0:1], 0, v[76:77]
	v_mov_b32_e32 v82, v76
	v_mov_b32_e32 v84, v78
	v_cndmask_b32_e64 v83, v77, v83, s[0:1]
	v_cndmask_b32_e32 v85, v79, v85, vcc
	v_add_f64 v[82:83], v[82:83], v[84:85]
	v_mov_b32_e32 v86, s16
	s_add_i32 s16, s16, 1
	v_cmp_lt_f64_e32 vcc, v[80:81], v[82:83]
	v_add_u32_e32 v71, 16, v71
	s_cmp_lg_u32 s20, s16
	v_cndmask_b32_e32 v61, v61, v77, vcc
	v_cndmask_b32_e32 v60, v60, v76, vcc
	;; [unrolled: 1-line block ×5, first 2 shown]
	s_cbranch_scc1 .LBB28_106
.LBB28_107:
	s_waitcnt lgkmcnt(0)
	v_cmp_eq_f64_e32 vcc, 0, v[60:61]
	v_cmp_eq_f64_e64 s[0:1], 0, v[62:63]
	s_and_b64 s[0:1], vcc, s[0:1]
	s_and_saveexec_b64 s[16:17], s[0:1]
	s_xor_b64 s[0:1], exec, s[16:17]
; %bb.108:
	v_cmp_ne_u32_e32 vcc, 0, v75
	s_nop 1
	v_cndmask_b32_e32 v75, 6, v75, vcc
; %bb.109:
	s_andn2_saveexec_b64 s[0:1], s[0:1]
	s_cbranch_execz .LBB28_115
; %bb.110:
	v_cmp_ngt_f64_e64 s[16:17], |v[60:61]|, |v[62:63]|
	s_and_saveexec_b64 s[18:19], s[16:17]
	s_xor_b64 s[16:17], exec, s[18:19]
	s_cbranch_execz .LBB28_112
; %bb.111:
	v_div_scale_f64 v[76:77], s[18:19], v[62:63], v[62:63], v[60:61]
	v_rcp_f64_e32 v[78:79], v[76:77]
	v_div_scale_f64 v[80:81], vcc, v[60:61], v[62:63], v[60:61]
	v_fma_f64 v[82:83], -v[76:77], v[78:79], 1.0
	v_fmac_f64_e32 v[78:79], v[78:79], v[82:83]
	v_fma_f64 v[82:83], -v[76:77], v[78:79], 1.0
	v_fmac_f64_e32 v[78:79], v[78:79], v[82:83]
	v_mul_f64 v[82:83], v[80:81], v[78:79]
	v_fma_f64 v[76:77], -v[76:77], v[82:83], v[80:81]
	v_div_fmas_f64 v[76:77], v[76:77], v[78:79], v[82:83]
	v_div_fixup_f64 v[76:77], v[76:77], v[62:63], v[60:61]
	v_fmac_f64_e32 v[62:63], v[60:61], v[76:77]
	v_div_scale_f64 v[60:61], s[18:19], v[62:63], v[62:63], 1.0
	v_rcp_f64_e32 v[78:79], v[60:61]
	s_nop 0
	v_fma_f64 v[80:81], -v[60:61], v[78:79], 1.0
	v_fmac_f64_e32 v[78:79], v[78:79], v[80:81]
	v_fma_f64 v[80:81], -v[60:61], v[78:79], 1.0
	v_fmac_f64_e32 v[78:79], v[78:79], v[80:81]
	v_div_scale_f64 v[80:81], vcc, 1.0, v[62:63], 1.0
	v_mul_f64 v[82:83], v[80:81], v[78:79]
	v_fma_f64 v[60:61], -v[60:61], v[82:83], v[80:81]
	s_nop 1
	v_div_fmas_f64 v[60:61], v[60:61], v[78:79], v[82:83]
	v_div_fixup_f64 v[62:63], v[60:61], v[62:63], 1.0
	v_mul_f64 v[60:61], v[76:77], v[62:63]
	v_xor_b32_e32 v63, 0x80000000, v63
.LBB28_112:
	s_andn2_saveexec_b64 s[16:17], s[16:17]
	s_cbranch_execz .LBB28_114
; %bb.113:
	v_div_scale_f64 v[76:77], s[18:19], v[60:61], v[60:61], v[62:63]
	v_rcp_f64_e32 v[78:79], v[76:77]
	v_div_scale_f64 v[80:81], vcc, v[62:63], v[60:61], v[62:63]
	v_fma_f64 v[82:83], -v[76:77], v[78:79], 1.0
	v_fmac_f64_e32 v[78:79], v[78:79], v[82:83]
	v_fma_f64 v[82:83], -v[76:77], v[78:79], 1.0
	v_fmac_f64_e32 v[78:79], v[78:79], v[82:83]
	v_mul_f64 v[82:83], v[80:81], v[78:79]
	v_fma_f64 v[76:77], -v[76:77], v[82:83], v[80:81]
	v_div_fmas_f64 v[76:77], v[76:77], v[78:79], v[82:83]
	v_div_fixup_f64 v[76:77], v[76:77], v[60:61], v[62:63]
	v_fmac_f64_e32 v[60:61], v[62:63], v[76:77]
	v_div_scale_f64 v[62:63], s[18:19], v[60:61], v[60:61], 1.0
	v_rcp_f64_e32 v[78:79], v[62:63]
	s_nop 0
	v_fma_f64 v[80:81], -v[62:63], v[78:79], 1.0
	v_fmac_f64_e32 v[78:79], v[78:79], v[80:81]
	v_fma_f64 v[80:81], -v[62:63], v[78:79], 1.0
	v_fmac_f64_e32 v[78:79], v[78:79], v[80:81]
	v_div_scale_f64 v[80:81], vcc, 1.0, v[60:61], 1.0
	v_mul_f64 v[82:83], v[80:81], v[78:79]
	v_fma_f64 v[62:63], -v[62:63], v[82:83], v[80:81]
	s_nop 1
	v_div_fmas_f64 v[62:63], v[62:63], v[78:79], v[82:83]
	v_div_fixup_f64 v[60:61], v[62:63], v[60:61], 1.0
	v_mul_f64 v[62:63], v[76:77], -v[60:61]
.LBB28_114:
	s_or_b64 exec, exec, s[16:17]
.LBB28_115:
	s_or_b64 exec, exec, s[0:1]
	v_cmp_ne_u32_e32 vcc, v73, v70
	s_and_saveexec_b64 s[0:1], vcc
	s_xor_b64 s[0:1], exec, s[0:1]
	s_cbranch_execz .LBB28_121
; %bb.116:
	v_cmp_eq_u32_e32 vcc, 5, v73
	s_and_saveexec_b64 s[16:17], vcc
	s_cbranch_execz .LBB28_120
; %bb.117:
	v_cmp_ne_u32_e32 vcc, 5, v70
	s_xor_b64 s[18:19], s[14:15], -1
	s_and_b64 s[22:23], s[18:19], vcc
	s_and_saveexec_b64 s[18:19], s[22:23]
	s_cbranch_execz .LBB28_119
; %bb.118:
	v_ashrrev_i32_e32 v71, 31, v70
	v_lshl_add_u64 v[76:77], v[70:71], 2, v[68:69]
	global_load_dword v71, v[76:77], off
	global_load_dword v73, v[68:69], off offset:20
	s_waitcnt vmcnt(1)
	global_store_dword v[68:69], v71, off offset:20
	s_waitcnt vmcnt(1)
	global_store_dword v[76:77], v73, off
.LBB28_119:
	s_or_b64 exec, exec, s[18:19]
	v_mov_b32_e32 v73, v70
	v_mov_b32_e32 v74, v70
.LBB28_120:
	s_or_b64 exec, exec, s[16:17]
.LBB28_121:
	s_andn2_saveexec_b64 s[0:1], s[0:1]
	s_cbranch_execz .LBB28_123
; %bb.122:
	v_mov_b32_e32 v73, 5
	s_waitcnt vmcnt(8)
	ds_write2_b64 v72, v[28:29], v[30:31] offset0:12 offset1:13
	s_waitcnt vmcnt(7)
	ds_write2_b64 v72, v[24:25], v[26:27] offset0:14 offset1:15
	;; [unrolled: 2-line block ×9, first 2 shown]
.LBB28_123:
	s_or_b64 exec, exec, s[0:1]
	v_cmp_lt_i32_e32 vcc, 5, v73
	s_waitcnt lgkmcnt(0)
	s_barrier
	s_and_saveexec_b64 s[0:1], vcc
	s_cbranch_execz .LBB28_125
; %bb.124:
	ds_read2_b64 v[76:79], v72 offset0:12 offset1:13
	v_mul_f64 v[70:71], v[60:61], v[34:35]
	v_fmac_f64_e32 v[70:71], v[62:63], v[32:33]
	v_mul_f64 v[34:35], v[62:63], v[34:35]
	v_fma_f64 v[32:33], v[60:61], v[32:33], -v[34:35]
	ds_read2_b64 v[60:63], v72 offset0:14 offset1:15
	s_waitcnt lgkmcnt(1)
	v_mul_f64 v[34:35], v[78:79], v[70:71]
	v_fma_f64 v[34:35], v[76:77], v[32:33], -v[34:35]
	v_mul_f64 v[76:77], v[76:77], v[70:71]
	v_fmac_f64_e32 v[76:77], v[78:79], v[32:33]
	s_waitcnt vmcnt(8)
	v_add_f64 v[30:31], v[30:31], -v[76:77]
	ds_read2_b64 v[76:79], v72 offset0:16 offset1:17
	v_add_f64 v[28:29], v[28:29], -v[34:35]
	s_waitcnt lgkmcnt(1)
	v_mul_f64 v[34:35], v[62:63], v[70:71]
	v_fma_f64 v[34:35], v[60:61], v[32:33], -v[34:35]
	v_mul_f64 v[60:61], v[60:61], v[70:71]
	v_fmac_f64_e32 v[60:61], v[62:63], v[32:33]
	s_waitcnt vmcnt(7)
	v_add_f64 v[24:25], v[24:25], -v[34:35]
	v_add_f64 v[26:27], v[26:27], -v[60:61]
	ds_read2_b64 v[60:63], v72 offset0:18 offset1:19
	s_waitcnt lgkmcnt(1)
	v_mul_f64 v[34:35], v[78:79], v[70:71]
	v_fma_f64 v[34:35], v[76:77], v[32:33], -v[34:35]
	v_mul_f64 v[76:77], v[76:77], v[70:71]
	v_fmac_f64_e32 v[76:77], v[78:79], v[32:33]
	s_waitcnt vmcnt(6)
	v_add_f64 v[22:23], v[22:23], -v[76:77]
	ds_read2_b64 v[76:79], v72 offset0:20 offset1:21
	v_add_f64 v[20:21], v[20:21], -v[34:35]
	s_waitcnt lgkmcnt(1)
	v_mul_f64 v[34:35], v[62:63], v[70:71]
	v_fma_f64 v[34:35], v[60:61], v[32:33], -v[34:35]
	v_mul_f64 v[60:61], v[60:61], v[70:71]
	v_fmac_f64_e32 v[60:61], v[62:63], v[32:33]
	s_waitcnt vmcnt(5)
	v_add_f64 v[12:13], v[12:13], -v[34:35]
	v_add_f64 v[14:15], v[14:15], -v[60:61]
	;; [unrolled: 18-line block ×4, first 2 shown]
	s_waitcnt lgkmcnt(0)
	v_mul_f64 v[34:35], v[78:79], v[70:71]
	v_mul_f64 v[60:61], v[76:77], v[70:71]
	v_fma_f64 v[34:35], v[76:77], v[32:33], -v[34:35]
	v_fmac_f64_e32 v[60:61], v[78:79], v[32:33]
	s_waitcnt vmcnt(0)
	v_add_f64 v[56:57], v[56:57], -v[34:35]
	v_add_f64 v[58:59], v[58:59], -v[60:61]
	v_mov_b64_e32 v[34:35], v[70:71]
.LBB28_125:
	s_or_b64 exec, exec, s[0:1]
	v_lshl_add_u32 v60, v73, 4, v72
	s_barrier
	s_waitcnt vmcnt(8)
	ds_write2_b64 v60, v[28:29], v[30:31] offset1:1
	s_waitcnt lgkmcnt(0)
	s_barrier
	ds_read2_b64 v[60:63], v72 offset0:12 offset1:13
	s_cmp_lt_i32 s20, 8
	v_mov_b32_e32 v70, 6
	s_cbranch_scc1 .LBB28_128
; %bb.126:
	v_add_u32_e32 v71, 0x70, v72
	s_mov_b32 s16, 7
	v_mov_b32_e32 v70, 6
.LBB28_127:                             ; =>This Inner Loop Header: Depth=1
	ds_read2_b64 v[76:79], v71 offset1:1
	s_waitcnt lgkmcnt(1)
	v_xor_b32_e32 v81, 0x80000000, v61
	v_xor_b32_e32 v83, 0x80000000, v63
	v_cmp_gt_f64_e32 vcc, 0, v[62:63]
	v_cmp_gt_f64_e64 s[0:1], 0, v[60:61]
	v_mov_b32_e32 v80, v60
	v_mov_b32_e32 v82, v62
	v_cndmask_b32_e64 v81, v61, v81, s[0:1]
	v_cndmask_b32_e32 v83, v63, v83, vcc
	v_add_f64 v[80:81], v[80:81], v[82:83]
	s_waitcnt lgkmcnt(0)
	v_xor_b32_e32 v83, 0x80000000, v77
	v_xor_b32_e32 v85, 0x80000000, v79
	v_cmp_gt_f64_e32 vcc, 0, v[78:79]
	v_cmp_gt_f64_e64 s[0:1], 0, v[76:77]
	v_mov_b32_e32 v82, v76
	v_mov_b32_e32 v84, v78
	v_cndmask_b32_e64 v83, v77, v83, s[0:1]
	v_cndmask_b32_e32 v85, v79, v85, vcc
	v_add_f64 v[82:83], v[82:83], v[84:85]
	v_mov_b32_e32 v86, s16
	s_add_i32 s16, s16, 1
	v_cmp_lt_f64_e32 vcc, v[80:81], v[82:83]
	v_add_u32_e32 v71, 16, v71
	s_cmp_lg_u32 s20, s16
	v_cndmask_b32_e32 v61, v61, v77, vcc
	v_cndmask_b32_e32 v60, v60, v76, vcc
	;; [unrolled: 1-line block ×5, first 2 shown]
	s_cbranch_scc1 .LBB28_127
.LBB28_128:
	s_waitcnt lgkmcnt(0)
	v_cmp_eq_f64_e32 vcc, 0, v[60:61]
	v_cmp_eq_f64_e64 s[0:1], 0, v[62:63]
	s_and_b64 s[0:1], vcc, s[0:1]
	s_and_saveexec_b64 s[16:17], s[0:1]
	s_xor_b64 s[0:1], exec, s[16:17]
; %bb.129:
	v_cmp_ne_u32_e32 vcc, 0, v75
	s_nop 1
	v_cndmask_b32_e32 v75, 7, v75, vcc
; %bb.130:
	s_andn2_saveexec_b64 s[0:1], s[0:1]
	s_cbranch_execz .LBB28_136
; %bb.131:
	v_cmp_ngt_f64_e64 s[16:17], |v[60:61]|, |v[62:63]|
	s_and_saveexec_b64 s[18:19], s[16:17]
	s_xor_b64 s[16:17], exec, s[18:19]
	s_cbranch_execz .LBB28_133
; %bb.132:
	v_div_scale_f64 v[76:77], s[18:19], v[62:63], v[62:63], v[60:61]
	v_rcp_f64_e32 v[78:79], v[76:77]
	v_div_scale_f64 v[80:81], vcc, v[60:61], v[62:63], v[60:61]
	v_fma_f64 v[82:83], -v[76:77], v[78:79], 1.0
	v_fmac_f64_e32 v[78:79], v[78:79], v[82:83]
	v_fma_f64 v[82:83], -v[76:77], v[78:79], 1.0
	v_fmac_f64_e32 v[78:79], v[78:79], v[82:83]
	v_mul_f64 v[82:83], v[80:81], v[78:79]
	v_fma_f64 v[76:77], -v[76:77], v[82:83], v[80:81]
	v_div_fmas_f64 v[76:77], v[76:77], v[78:79], v[82:83]
	v_div_fixup_f64 v[76:77], v[76:77], v[62:63], v[60:61]
	v_fmac_f64_e32 v[62:63], v[60:61], v[76:77]
	v_div_scale_f64 v[60:61], s[18:19], v[62:63], v[62:63], 1.0
	v_rcp_f64_e32 v[78:79], v[60:61]
	s_nop 0
	v_fma_f64 v[80:81], -v[60:61], v[78:79], 1.0
	v_fmac_f64_e32 v[78:79], v[78:79], v[80:81]
	v_fma_f64 v[80:81], -v[60:61], v[78:79], 1.0
	v_fmac_f64_e32 v[78:79], v[78:79], v[80:81]
	v_div_scale_f64 v[80:81], vcc, 1.0, v[62:63], 1.0
	v_mul_f64 v[82:83], v[80:81], v[78:79]
	v_fma_f64 v[60:61], -v[60:61], v[82:83], v[80:81]
	s_nop 1
	v_div_fmas_f64 v[60:61], v[60:61], v[78:79], v[82:83]
	v_div_fixup_f64 v[62:63], v[60:61], v[62:63], 1.0
	v_mul_f64 v[60:61], v[76:77], v[62:63]
	v_xor_b32_e32 v63, 0x80000000, v63
.LBB28_133:
	s_andn2_saveexec_b64 s[16:17], s[16:17]
	s_cbranch_execz .LBB28_135
; %bb.134:
	v_div_scale_f64 v[76:77], s[18:19], v[60:61], v[60:61], v[62:63]
	v_rcp_f64_e32 v[78:79], v[76:77]
	v_div_scale_f64 v[80:81], vcc, v[62:63], v[60:61], v[62:63]
	v_fma_f64 v[82:83], -v[76:77], v[78:79], 1.0
	v_fmac_f64_e32 v[78:79], v[78:79], v[82:83]
	v_fma_f64 v[82:83], -v[76:77], v[78:79], 1.0
	v_fmac_f64_e32 v[78:79], v[78:79], v[82:83]
	v_mul_f64 v[82:83], v[80:81], v[78:79]
	v_fma_f64 v[76:77], -v[76:77], v[82:83], v[80:81]
	v_div_fmas_f64 v[76:77], v[76:77], v[78:79], v[82:83]
	v_div_fixup_f64 v[76:77], v[76:77], v[60:61], v[62:63]
	v_fmac_f64_e32 v[60:61], v[62:63], v[76:77]
	v_div_scale_f64 v[62:63], s[18:19], v[60:61], v[60:61], 1.0
	v_rcp_f64_e32 v[78:79], v[62:63]
	s_nop 0
	v_fma_f64 v[80:81], -v[62:63], v[78:79], 1.0
	v_fmac_f64_e32 v[78:79], v[78:79], v[80:81]
	v_fma_f64 v[80:81], -v[62:63], v[78:79], 1.0
	v_fmac_f64_e32 v[78:79], v[78:79], v[80:81]
	v_div_scale_f64 v[80:81], vcc, 1.0, v[60:61], 1.0
	v_mul_f64 v[82:83], v[80:81], v[78:79]
	v_fma_f64 v[62:63], -v[62:63], v[82:83], v[80:81]
	s_nop 1
	v_div_fmas_f64 v[62:63], v[62:63], v[78:79], v[82:83]
	v_div_fixup_f64 v[60:61], v[62:63], v[60:61], 1.0
	v_mul_f64 v[62:63], v[76:77], -v[60:61]
.LBB28_135:
	s_or_b64 exec, exec, s[16:17]
.LBB28_136:
	s_or_b64 exec, exec, s[0:1]
	v_cmp_ne_u32_e32 vcc, v73, v70
	s_and_saveexec_b64 s[0:1], vcc
	s_xor_b64 s[0:1], exec, s[0:1]
	s_cbranch_execz .LBB28_142
; %bb.137:
	v_cmp_eq_u32_e32 vcc, 6, v73
	s_and_saveexec_b64 s[16:17], vcc
	s_cbranch_execz .LBB28_141
; %bb.138:
	v_cmp_ne_u32_e32 vcc, 6, v70
	s_xor_b64 s[18:19], s[14:15], -1
	s_and_b64 s[22:23], s[18:19], vcc
	s_and_saveexec_b64 s[18:19], s[22:23]
	s_cbranch_execz .LBB28_140
; %bb.139:
	v_ashrrev_i32_e32 v71, 31, v70
	v_lshl_add_u64 v[76:77], v[70:71], 2, v[68:69]
	global_load_dword v71, v[76:77], off
	global_load_dword v73, v[68:69], off offset:24
	s_waitcnt vmcnt(1)
	global_store_dword v[68:69], v71, off offset:24
	s_waitcnt vmcnt(1)
	global_store_dword v[76:77], v73, off
.LBB28_140:
	s_or_b64 exec, exec, s[18:19]
	v_mov_b32_e32 v73, v70
	v_mov_b32_e32 v74, v70
.LBB28_141:
	s_or_b64 exec, exec, s[16:17]
.LBB28_142:
	s_andn2_saveexec_b64 s[0:1], s[0:1]
	s_cbranch_execz .LBB28_144
; %bb.143:
	v_mov_b32_e32 v73, 6
	s_waitcnt vmcnt(7)
	ds_write2_b64 v72, v[24:25], v[26:27] offset0:14 offset1:15
	s_waitcnt vmcnt(6)
	ds_write2_b64 v72, v[20:21], v[22:23] offset0:16 offset1:17
	;; [unrolled: 2-line block ×8, first 2 shown]
.LBB28_144:
	s_or_b64 exec, exec, s[0:1]
	v_cmp_lt_i32_e32 vcc, 6, v73
	s_waitcnt lgkmcnt(0)
	s_barrier
	s_and_saveexec_b64 s[0:1], vcc
	s_cbranch_execz .LBB28_146
; %bb.145:
	ds_read2_b64 v[76:79], v72 offset0:14 offset1:15
	v_mul_f64 v[70:71], v[60:61], v[30:31]
	v_mul_f64 v[30:31], v[62:63], v[30:31]
	v_fmac_f64_e32 v[70:71], v[62:63], v[28:29]
	v_fma_f64 v[28:29], v[60:61], v[28:29], -v[30:31]
	ds_read2_b64 v[60:63], v72 offset0:16 offset1:17
	s_waitcnt lgkmcnt(1)
	v_mul_f64 v[30:31], v[78:79], v[70:71]
	v_fma_f64 v[30:31], v[76:77], v[28:29], -v[30:31]
	v_mul_f64 v[76:77], v[76:77], v[70:71]
	v_fmac_f64_e32 v[76:77], v[78:79], v[28:29]
	s_waitcnt vmcnt(7)
	v_add_f64 v[24:25], v[24:25], -v[30:31]
	s_waitcnt lgkmcnt(0)
	v_mul_f64 v[30:31], v[62:63], v[70:71]
	v_add_f64 v[26:27], v[26:27], -v[76:77]
	v_fma_f64 v[30:31], v[60:61], v[28:29], -v[30:31]
	v_mul_f64 v[60:61], v[60:61], v[70:71]
	ds_read2_b64 v[76:79], v72 offset0:18 offset1:19
	v_fmac_f64_e32 v[60:61], v[62:63], v[28:29]
	s_waitcnt vmcnt(6)
	v_add_f64 v[22:23], v[22:23], -v[60:61]
	ds_read2_b64 v[60:63], v72 offset0:20 offset1:21
	v_add_f64 v[20:21], v[20:21], -v[30:31]
	s_waitcnt lgkmcnt(1)
	v_mul_f64 v[30:31], v[78:79], v[70:71]
	v_fma_f64 v[30:31], v[76:77], v[28:29], -v[30:31]
	v_mul_f64 v[76:77], v[76:77], v[70:71]
	v_fmac_f64_e32 v[76:77], v[78:79], v[28:29]
	s_waitcnt vmcnt(5)
	v_add_f64 v[12:13], v[12:13], -v[30:31]
	s_waitcnt lgkmcnt(0)
	v_mul_f64 v[30:31], v[62:63], v[70:71]
	v_add_f64 v[14:15], v[14:15], -v[76:77]
	v_fma_f64 v[30:31], v[60:61], v[28:29], -v[30:31]
	v_mul_f64 v[60:61], v[60:61], v[70:71]
	ds_read2_b64 v[76:79], v72 offset0:22 offset1:23
	v_fmac_f64_e32 v[60:61], v[62:63], v[28:29]
	s_waitcnt vmcnt(4)
	v_add_f64 v[18:19], v[18:19], -v[60:61]
	ds_read2_b64 v[60:63], v72 offset0:24 offset1:25
	v_add_f64 v[16:17], v[16:17], -v[30:31]
	;; [unrolled: 18-line block ×3, first 2 shown]
	s_waitcnt lgkmcnt(1)
	v_mul_f64 v[30:31], v[78:79], v[70:71]
	v_fma_f64 v[30:31], v[76:77], v[28:29], -v[30:31]
	s_waitcnt vmcnt(1)
	v_add_f64 v[0:1], v[0:1], -v[30:31]
	s_waitcnt lgkmcnt(0)
	v_mul_f64 v[30:31], v[62:63], v[70:71]
	v_mul_f64 v[76:77], v[76:77], v[70:71]
	v_fma_f64 v[30:31], v[60:61], v[28:29], -v[30:31]
	v_mul_f64 v[60:61], v[60:61], v[70:71]
	v_fmac_f64_e32 v[76:77], v[78:79], v[28:29]
	v_fmac_f64_e32 v[60:61], v[62:63], v[28:29]
	v_add_f64 v[2:3], v[2:3], -v[76:77]
	s_waitcnt vmcnt(0)
	v_add_f64 v[56:57], v[56:57], -v[30:31]
	v_add_f64 v[58:59], v[58:59], -v[60:61]
	v_mov_b64_e32 v[30:31], v[70:71]
.LBB28_146:
	s_or_b64 exec, exec, s[0:1]
	v_lshl_add_u32 v60, v73, 4, v72
	s_barrier
	s_waitcnt vmcnt(7)
	ds_write2_b64 v60, v[24:25], v[26:27] offset1:1
	s_waitcnt lgkmcnt(0)
	s_barrier
	ds_read2_b64 v[60:63], v72 offset0:14 offset1:15
	s_cmp_lt_i32 s20, 9
	v_mov_b32_e32 v70, 7
	s_cbranch_scc1 .LBB28_149
; %bb.147:
	v_add_u32_e32 v71, 0x80, v72
	s_mov_b32 s16, 8
	v_mov_b32_e32 v70, 7
.LBB28_148:                             ; =>This Inner Loop Header: Depth=1
	ds_read2_b64 v[76:79], v71 offset1:1
	s_waitcnt lgkmcnt(1)
	v_xor_b32_e32 v81, 0x80000000, v61
	v_xor_b32_e32 v83, 0x80000000, v63
	v_cmp_gt_f64_e32 vcc, 0, v[62:63]
	v_cmp_gt_f64_e64 s[0:1], 0, v[60:61]
	v_mov_b32_e32 v80, v60
	v_mov_b32_e32 v82, v62
	v_cndmask_b32_e64 v81, v61, v81, s[0:1]
	v_cndmask_b32_e32 v83, v63, v83, vcc
	v_add_f64 v[80:81], v[80:81], v[82:83]
	s_waitcnt lgkmcnt(0)
	v_xor_b32_e32 v83, 0x80000000, v77
	v_xor_b32_e32 v85, 0x80000000, v79
	v_cmp_gt_f64_e32 vcc, 0, v[78:79]
	v_cmp_gt_f64_e64 s[0:1], 0, v[76:77]
	v_mov_b32_e32 v82, v76
	v_mov_b32_e32 v84, v78
	v_cndmask_b32_e64 v83, v77, v83, s[0:1]
	v_cndmask_b32_e32 v85, v79, v85, vcc
	v_add_f64 v[82:83], v[82:83], v[84:85]
	v_mov_b32_e32 v86, s16
	s_add_i32 s16, s16, 1
	v_cmp_lt_f64_e32 vcc, v[80:81], v[82:83]
	v_add_u32_e32 v71, 16, v71
	s_cmp_lg_u32 s20, s16
	v_cndmask_b32_e32 v61, v61, v77, vcc
	v_cndmask_b32_e32 v60, v60, v76, vcc
	;; [unrolled: 1-line block ×5, first 2 shown]
	s_cbranch_scc1 .LBB28_148
.LBB28_149:
	s_waitcnt lgkmcnt(0)
	v_cmp_eq_f64_e32 vcc, 0, v[60:61]
	v_cmp_eq_f64_e64 s[0:1], 0, v[62:63]
	s_and_b64 s[0:1], vcc, s[0:1]
	s_and_saveexec_b64 s[16:17], s[0:1]
	s_xor_b64 s[0:1], exec, s[16:17]
; %bb.150:
	v_cmp_ne_u32_e32 vcc, 0, v75
	s_nop 1
	v_cndmask_b32_e32 v75, 8, v75, vcc
; %bb.151:
	s_andn2_saveexec_b64 s[0:1], s[0:1]
	s_cbranch_execz .LBB28_157
; %bb.152:
	v_cmp_ngt_f64_e64 s[16:17], |v[60:61]|, |v[62:63]|
	s_and_saveexec_b64 s[18:19], s[16:17]
	s_xor_b64 s[16:17], exec, s[18:19]
	s_cbranch_execz .LBB28_154
; %bb.153:
	v_div_scale_f64 v[76:77], s[18:19], v[62:63], v[62:63], v[60:61]
	v_rcp_f64_e32 v[78:79], v[76:77]
	v_div_scale_f64 v[80:81], vcc, v[60:61], v[62:63], v[60:61]
	v_fma_f64 v[82:83], -v[76:77], v[78:79], 1.0
	v_fmac_f64_e32 v[78:79], v[78:79], v[82:83]
	v_fma_f64 v[82:83], -v[76:77], v[78:79], 1.0
	v_fmac_f64_e32 v[78:79], v[78:79], v[82:83]
	v_mul_f64 v[82:83], v[80:81], v[78:79]
	v_fma_f64 v[76:77], -v[76:77], v[82:83], v[80:81]
	v_div_fmas_f64 v[76:77], v[76:77], v[78:79], v[82:83]
	v_div_fixup_f64 v[76:77], v[76:77], v[62:63], v[60:61]
	v_fmac_f64_e32 v[62:63], v[60:61], v[76:77]
	v_div_scale_f64 v[60:61], s[18:19], v[62:63], v[62:63], 1.0
	v_rcp_f64_e32 v[78:79], v[60:61]
	s_nop 0
	v_fma_f64 v[80:81], -v[60:61], v[78:79], 1.0
	v_fmac_f64_e32 v[78:79], v[78:79], v[80:81]
	v_fma_f64 v[80:81], -v[60:61], v[78:79], 1.0
	v_fmac_f64_e32 v[78:79], v[78:79], v[80:81]
	v_div_scale_f64 v[80:81], vcc, 1.0, v[62:63], 1.0
	v_mul_f64 v[82:83], v[80:81], v[78:79]
	v_fma_f64 v[60:61], -v[60:61], v[82:83], v[80:81]
	s_nop 1
	v_div_fmas_f64 v[60:61], v[60:61], v[78:79], v[82:83]
	v_div_fixup_f64 v[62:63], v[60:61], v[62:63], 1.0
	v_mul_f64 v[60:61], v[76:77], v[62:63]
	v_xor_b32_e32 v63, 0x80000000, v63
.LBB28_154:
	s_andn2_saveexec_b64 s[16:17], s[16:17]
	s_cbranch_execz .LBB28_156
; %bb.155:
	v_div_scale_f64 v[76:77], s[18:19], v[60:61], v[60:61], v[62:63]
	v_rcp_f64_e32 v[78:79], v[76:77]
	v_div_scale_f64 v[80:81], vcc, v[62:63], v[60:61], v[62:63]
	v_fma_f64 v[82:83], -v[76:77], v[78:79], 1.0
	v_fmac_f64_e32 v[78:79], v[78:79], v[82:83]
	v_fma_f64 v[82:83], -v[76:77], v[78:79], 1.0
	v_fmac_f64_e32 v[78:79], v[78:79], v[82:83]
	v_mul_f64 v[82:83], v[80:81], v[78:79]
	v_fma_f64 v[76:77], -v[76:77], v[82:83], v[80:81]
	v_div_fmas_f64 v[76:77], v[76:77], v[78:79], v[82:83]
	v_div_fixup_f64 v[76:77], v[76:77], v[60:61], v[62:63]
	v_fmac_f64_e32 v[60:61], v[62:63], v[76:77]
	v_div_scale_f64 v[62:63], s[18:19], v[60:61], v[60:61], 1.0
	v_rcp_f64_e32 v[78:79], v[62:63]
	s_nop 0
	v_fma_f64 v[80:81], -v[62:63], v[78:79], 1.0
	v_fmac_f64_e32 v[78:79], v[78:79], v[80:81]
	v_fma_f64 v[80:81], -v[62:63], v[78:79], 1.0
	v_fmac_f64_e32 v[78:79], v[78:79], v[80:81]
	v_div_scale_f64 v[80:81], vcc, 1.0, v[60:61], 1.0
	v_mul_f64 v[82:83], v[80:81], v[78:79]
	v_fma_f64 v[62:63], -v[62:63], v[82:83], v[80:81]
	s_nop 1
	v_div_fmas_f64 v[62:63], v[62:63], v[78:79], v[82:83]
	v_div_fixup_f64 v[60:61], v[62:63], v[60:61], 1.0
	v_mul_f64 v[62:63], v[76:77], -v[60:61]
.LBB28_156:
	s_or_b64 exec, exec, s[16:17]
.LBB28_157:
	s_or_b64 exec, exec, s[0:1]
	v_cmp_ne_u32_e32 vcc, v73, v70
	s_and_saveexec_b64 s[0:1], vcc
	s_xor_b64 s[0:1], exec, s[0:1]
	s_cbranch_execz .LBB28_163
; %bb.158:
	v_cmp_eq_u32_e32 vcc, 7, v73
	s_and_saveexec_b64 s[16:17], vcc
	s_cbranch_execz .LBB28_162
; %bb.159:
	v_cmp_ne_u32_e32 vcc, 7, v70
	s_xor_b64 s[18:19], s[14:15], -1
	s_and_b64 s[22:23], s[18:19], vcc
	s_and_saveexec_b64 s[18:19], s[22:23]
	s_cbranch_execz .LBB28_161
; %bb.160:
	v_ashrrev_i32_e32 v71, 31, v70
	v_lshl_add_u64 v[76:77], v[70:71], 2, v[68:69]
	global_load_dword v71, v[76:77], off
	global_load_dword v73, v[68:69], off offset:28
	s_waitcnt vmcnt(1)
	global_store_dword v[68:69], v71, off offset:28
	s_waitcnt vmcnt(1)
	global_store_dword v[76:77], v73, off
.LBB28_161:
	s_or_b64 exec, exec, s[18:19]
	v_mov_b32_e32 v73, v70
	v_mov_b32_e32 v74, v70
.LBB28_162:
	s_or_b64 exec, exec, s[16:17]
.LBB28_163:
	s_andn2_saveexec_b64 s[0:1], s[0:1]
	s_cbranch_execz .LBB28_165
; %bb.164:
	v_mov_b32_e32 v73, 7
	s_waitcnt vmcnt(6)
	ds_write2_b64 v72, v[20:21], v[22:23] offset0:16 offset1:17
	s_waitcnt vmcnt(5)
	ds_write2_b64 v72, v[12:13], v[14:15] offset0:18 offset1:19
	;; [unrolled: 2-line block ×7, first 2 shown]
.LBB28_165:
	s_or_b64 exec, exec, s[0:1]
	v_cmp_lt_i32_e32 vcc, 7, v73
	s_waitcnt lgkmcnt(0)
	s_barrier
	s_and_saveexec_b64 s[0:1], vcc
	s_cbranch_execz .LBB28_167
; %bb.166:
	ds_read2_b64 v[76:79], v72 offset0:16 offset1:17
	v_mul_f64 v[70:71], v[60:61], v[26:27]
	v_fmac_f64_e32 v[70:71], v[62:63], v[24:25]
	v_mul_f64 v[26:27], v[62:63], v[26:27]
	v_fma_f64 v[24:25], v[60:61], v[24:25], -v[26:27]
	ds_read2_b64 v[60:63], v72 offset0:18 offset1:19
	s_waitcnt lgkmcnt(1)
	v_mul_f64 v[26:27], v[78:79], v[70:71]
	v_fma_f64 v[26:27], v[76:77], v[24:25], -v[26:27]
	v_mul_f64 v[76:77], v[76:77], v[70:71]
	v_fmac_f64_e32 v[76:77], v[78:79], v[24:25]
	s_waitcnt vmcnt(6)
	v_add_f64 v[22:23], v[22:23], -v[76:77]
	ds_read2_b64 v[76:79], v72 offset0:20 offset1:21
	v_add_f64 v[20:21], v[20:21], -v[26:27]
	s_waitcnt lgkmcnt(1)
	v_mul_f64 v[26:27], v[62:63], v[70:71]
	v_fma_f64 v[26:27], v[60:61], v[24:25], -v[26:27]
	v_mul_f64 v[60:61], v[60:61], v[70:71]
	v_fmac_f64_e32 v[60:61], v[62:63], v[24:25]
	s_waitcnt vmcnt(5)
	v_add_f64 v[12:13], v[12:13], -v[26:27]
	v_add_f64 v[14:15], v[14:15], -v[60:61]
	ds_read2_b64 v[60:63], v72 offset0:22 offset1:23
	s_waitcnt lgkmcnt(1)
	v_mul_f64 v[26:27], v[78:79], v[70:71]
	v_fma_f64 v[26:27], v[76:77], v[24:25], -v[26:27]
	v_mul_f64 v[76:77], v[76:77], v[70:71]
	v_fmac_f64_e32 v[76:77], v[78:79], v[24:25]
	s_waitcnt vmcnt(4)
	v_add_f64 v[18:19], v[18:19], -v[76:77]
	ds_read2_b64 v[76:79], v72 offset0:24 offset1:25
	v_add_f64 v[16:17], v[16:17], -v[26:27]
	s_waitcnt lgkmcnt(1)
	v_mul_f64 v[26:27], v[62:63], v[70:71]
	v_fma_f64 v[26:27], v[60:61], v[24:25], -v[26:27]
	v_mul_f64 v[60:61], v[60:61], v[70:71]
	v_fmac_f64_e32 v[60:61], v[62:63], v[24:25]
	s_waitcnt vmcnt(3)
	v_add_f64 v[8:9], v[8:9], -v[26:27]
	v_add_f64 v[10:11], v[10:11], -v[60:61]
	;; [unrolled: 18-line block ×3, first 2 shown]
	s_waitcnt lgkmcnt(0)
	v_mul_f64 v[26:27], v[78:79], v[70:71]
	v_mul_f64 v[60:61], v[76:77], v[70:71]
	v_fma_f64 v[26:27], v[76:77], v[24:25], -v[26:27]
	v_fmac_f64_e32 v[60:61], v[78:79], v[24:25]
	s_waitcnt vmcnt(0)
	v_add_f64 v[56:57], v[56:57], -v[26:27]
	v_add_f64 v[58:59], v[58:59], -v[60:61]
	v_mov_b64_e32 v[26:27], v[70:71]
.LBB28_167:
	s_or_b64 exec, exec, s[0:1]
	v_lshl_add_u32 v60, v73, 4, v72
	s_barrier
	s_waitcnt vmcnt(6)
	ds_write2_b64 v60, v[20:21], v[22:23] offset1:1
	s_waitcnt lgkmcnt(0)
	s_barrier
	ds_read2_b64 v[60:63], v72 offset0:16 offset1:17
	s_cmp_lt_i32 s20, 10
	v_mov_b32_e32 v70, 8
	s_cbranch_scc1 .LBB28_170
; %bb.168:
	v_add_u32_e32 v71, 0x90, v72
	s_mov_b32 s16, 9
	v_mov_b32_e32 v70, 8
.LBB28_169:                             ; =>This Inner Loop Header: Depth=1
	ds_read2_b64 v[76:79], v71 offset1:1
	s_waitcnt lgkmcnt(1)
	v_xor_b32_e32 v81, 0x80000000, v61
	v_xor_b32_e32 v83, 0x80000000, v63
	v_cmp_gt_f64_e32 vcc, 0, v[62:63]
	v_cmp_gt_f64_e64 s[0:1], 0, v[60:61]
	v_mov_b32_e32 v80, v60
	v_mov_b32_e32 v82, v62
	v_cndmask_b32_e64 v81, v61, v81, s[0:1]
	v_cndmask_b32_e32 v83, v63, v83, vcc
	v_add_f64 v[80:81], v[80:81], v[82:83]
	s_waitcnt lgkmcnt(0)
	v_xor_b32_e32 v83, 0x80000000, v77
	v_xor_b32_e32 v85, 0x80000000, v79
	v_cmp_gt_f64_e32 vcc, 0, v[78:79]
	v_cmp_gt_f64_e64 s[0:1], 0, v[76:77]
	v_mov_b32_e32 v82, v76
	v_mov_b32_e32 v84, v78
	v_cndmask_b32_e64 v83, v77, v83, s[0:1]
	v_cndmask_b32_e32 v85, v79, v85, vcc
	v_add_f64 v[82:83], v[82:83], v[84:85]
	v_mov_b32_e32 v86, s16
	s_add_i32 s16, s16, 1
	v_cmp_lt_f64_e32 vcc, v[80:81], v[82:83]
	v_add_u32_e32 v71, 16, v71
	s_cmp_lg_u32 s20, s16
	v_cndmask_b32_e32 v61, v61, v77, vcc
	v_cndmask_b32_e32 v60, v60, v76, vcc
	;; [unrolled: 1-line block ×5, first 2 shown]
	s_cbranch_scc1 .LBB28_169
.LBB28_170:
	s_waitcnt lgkmcnt(0)
	v_cmp_eq_f64_e32 vcc, 0, v[60:61]
	v_cmp_eq_f64_e64 s[0:1], 0, v[62:63]
	s_and_b64 s[0:1], vcc, s[0:1]
	s_and_saveexec_b64 s[16:17], s[0:1]
	s_xor_b64 s[0:1], exec, s[16:17]
; %bb.171:
	v_cmp_ne_u32_e32 vcc, 0, v75
	s_nop 1
	v_cndmask_b32_e32 v75, 9, v75, vcc
; %bb.172:
	s_andn2_saveexec_b64 s[0:1], s[0:1]
	s_cbranch_execz .LBB28_178
; %bb.173:
	v_cmp_ngt_f64_e64 s[16:17], |v[60:61]|, |v[62:63]|
	s_and_saveexec_b64 s[18:19], s[16:17]
	s_xor_b64 s[16:17], exec, s[18:19]
	s_cbranch_execz .LBB28_175
; %bb.174:
	v_div_scale_f64 v[76:77], s[18:19], v[62:63], v[62:63], v[60:61]
	v_rcp_f64_e32 v[78:79], v[76:77]
	v_div_scale_f64 v[80:81], vcc, v[60:61], v[62:63], v[60:61]
	v_fma_f64 v[82:83], -v[76:77], v[78:79], 1.0
	v_fmac_f64_e32 v[78:79], v[78:79], v[82:83]
	v_fma_f64 v[82:83], -v[76:77], v[78:79], 1.0
	v_fmac_f64_e32 v[78:79], v[78:79], v[82:83]
	v_mul_f64 v[82:83], v[80:81], v[78:79]
	v_fma_f64 v[76:77], -v[76:77], v[82:83], v[80:81]
	v_div_fmas_f64 v[76:77], v[76:77], v[78:79], v[82:83]
	v_div_fixup_f64 v[76:77], v[76:77], v[62:63], v[60:61]
	v_fmac_f64_e32 v[62:63], v[60:61], v[76:77]
	v_div_scale_f64 v[60:61], s[18:19], v[62:63], v[62:63], 1.0
	v_rcp_f64_e32 v[78:79], v[60:61]
	s_nop 0
	v_fma_f64 v[80:81], -v[60:61], v[78:79], 1.0
	v_fmac_f64_e32 v[78:79], v[78:79], v[80:81]
	v_fma_f64 v[80:81], -v[60:61], v[78:79], 1.0
	v_fmac_f64_e32 v[78:79], v[78:79], v[80:81]
	v_div_scale_f64 v[80:81], vcc, 1.0, v[62:63], 1.0
	v_mul_f64 v[82:83], v[80:81], v[78:79]
	v_fma_f64 v[60:61], -v[60:61], v[82:83], v[80:81]
	s_nop 1
	v_div_fmas_f64 v[60:61], v[60:61], v[78:79], v[82:83]
	v_div_fixup_f64 v[62:63], v[60:61], v[62:63], 1.0
	v_mul_f64 v[60:61], v[76:77], v[62:63]
	v_xor_b32_e32 v63, 0x80000000, v63
.LBB28_175:
	s_andn2_saveexec_b64 s[16:17], s[16:17]
	s_cbranch_execz .LBB28_177
; %bb.176:
	v_div_scale_f64 v[76:77], s[18:19], v[60:61], v[60:61], v[62:63]
	v_rcp_f64_e32 v[78:79], v[76:77]
	v_div_scale_f64 v[80:81], vcc, v[62:63], v[60:61], v[62:63]
	v_fma_f64 v[82:83], -v[76:77], v[78:79], 1.0
	v_fmac_f64_e32 v[78:79], v[78:79], v[82:83]
	v_fma_f64 v[82:83], -v[76:77], v[78:79], 1.0
	v_fmac_f64_e32 v[78:79], v[78:79], v[82:83]
	v_mul_f64 v[82:83], v[80:81], v[78:79]
	v_fma_f64 v[76:77], -v[76:77], v[82:83], v[80:81]
	v_div_fmas_f64 v[76:77], v[76:77], v[78:79], v[82:83]
	v_div_fixup_f64 v[76:77], v[76:77], v[60:61], v[62:63]
	v_fmac_f64_e32 v[60:61], v[62:63], v[76:77]
	v_div_scale_f64 v[62:63], s[18:19], v[60:61], v[60:61], 1.0
	v_rcp_f64_e32 v[78:79], v[62:63]
	s_nop 0
	v_fma_f64 v[80:81], -v[62:63], v[78:79], 1.0
	v_fmac_f64_e32 v[78:79], v[78:79], v[80:81]
	v_fma_f64 v[80:81], -v[62:63], v[78:79], 1.0
	v_fmac_f64_e32 v[78:79], v[78:79], v[80:81]
	v_div_scale_f64 v[80:81], vcc, 1.0, v[60:61], 1.0
	v_mul_f64 v[82:83], v[80:81], v[78:79]
	v_fma_f64 v[62:63], -v[62:63], v[82:83], v[80:81]
	s_nop 1
	v_div_fmas_f64 v[62:63], v[62:63], v[78:79], v[82:83]
	v_div_fixup_f64 v[60:61], v[62:63], v[60:61], 1.0
	v_mul_f64 v[62:63], v[76:77], -v[60:61]
.LBB28_177:
	s_or_b64 exec, exec, s[16:17]
.LBB28_178:
	s_or_b64 exec, exec, s[0:1]
	v_cmp_ne_u32_e32 vcc, v73, v70
	s_and_saveexec_b64 s[0:1], vcc
	s_xor_b64 s[0:1], exec, s[0:1]
	s_cbranch_execz .LBB28_184
; %bb.179:
	v_cmp_eq_u32_e32 vcc, 8, v73
	s_and_saveexec_b64 s[16:17], vcc
	s_cbranch_execz .LBB28_183
; %bb.180:
	v_cmp_ne_u32_e32 vcc, 8, v70
	s_xor_b64 s[18:19], s[14:15], -1
	s_and_b64 s[22:23], s[18:19], vcc
	s_and_saveexec_b64 s[18:19], s[22:23]
	s_cbranch_execz .LBB28_182
; %bb.181:
	v_ashrrev_i32_e32 v71, 31, v70
	v_lshl_add_u64 v[76:77], v[70:71], 2, v[68:69]
	global_load_dword v71, v[76:77], off
	global_load_dword v73, v[68:69], off offset:32
	s_waitcnt vmcnt(1)
	global_store_dword v[68:69], v71, off offset:32
	s_waitcnt vmcnt(1)
	global_store_dword v[76:77], v73, off
.LBB28_182:
	s_or_b64 exec, exec, s[18:19]
	v_mov_b32_e32 v73, v70
	v_mov_b32_e32 v74, v70
.LBB28_183:
	s_or_b64 exec, exec, s[16:17]
.LBB28_184:
	s_andn2_saveexec_b64 s[0:1], s[0:1]
	s_cbranch_execz .LBB28_186
; %bb.185:
	v_mov_b32_e32 v73, 8
	s_waitcnt vmcnt(5)
	ds_write2_b64 v72, v[12:13], v[14:15] offset0:18 offset1:19
	s_waitcnt vmcnt(4)
	ds_write2_b64 v72, v[16:17], v[18:19] offset0:20 offset1:21
	;; [unrolled: 2-line block ×6, first 2 shown]
.LBB28_186:
	s_or_b64 exec, exec, s[0:1]
	v_cmp_lt_i32_e32 vcc, 8, v73
	s_waitcnt lgkmcnt(0)
	s_barrier
	s_and_saveexec_b64 s[0:1], vcc
	s_cbranch_execz .LBB28_188
; %bb.187:
	ds_read2_b64 v[76:79], v72 offset0:18 offset1:19
	v_mul_f64 v[70:71], v[60:61], v[22:23]
	v_mul_f64 v[22:23], v[62:63], v[22:23]
	v_fmac_f64_e32 v[70:71], v[62:63], v[20:21]
	v_fma_f64 v[20:21], v[60:61], v[20:21], -v[22:23]
	ds_read2_b64 v[60:63], v72 offset0:20 offset1:21
	s_waitcnt lgkmcnt(1)
	v_mul_f64 v[22:23], v[78:79], v[70:71]
	v_fma_f64 v[22:23], v[76:77], v[20:21], -v[22:23]
	v_mul_f64 v[76:77], v[76:77], v[70:71]
	v_fmac_f64_e32 v[76:77], v[78:79], v[20:21]
	s_waitcnt vmcnt(5)
	v_add_f64 v[12:13], v[12:13], -v[22:23]
	s_waitcnt lgkmcnt(0)
	v_mul_f64 v[22:23], v[62:63], v[70:71]
	v_add_f64 v[14:15], v[14:15], -v[76:77]
	v_fma_f64 v[22:23], v[60:61], v[20:21], -v[22:23]
	v_mul_f64 v[60:61], v[60:61], v[70:71]
	ds_read2_b64 v[76:79], v72 offset0:22 offset1:23
	v_fmac_f64_e32 v[60:61], v[62:63], v[20:21]
	s_waitcnt vmcnt(4)
	v_add_f64 v[18:19], v[18:19], -v[60:61]
	ds_read2_b64 v[60:63], v72 offset0:24 offset1:25
	v_add_f64 v[16:17], v[16:17], -v[22:23]
	s_waitcnt lgkmcnt(1)
	v_mul_f64 v[22:23], v[78:79], v[70:71]
	v_fma_f64 v[22:23], v[76:77], v[20:21], -v[22:23]
	v_mul_f64 v[76:77], v[76:77], v[70:71]
	v_fmac_f64_e32 v[76:77], v[78:79], v[20:21]
	s_waitcnt vmcnt(3)
	v_add_f64 v[8:9], v[8:9], -v[22:23]
	s_waitcnt lgkmcnt(0)
	v_mul_f64 v[22:23], v[62:63], v[70:71]
	v_add_f64 v[10:11], v[10:11], -v[76:77]
	v_fma_f64 v[22:23], v[60:61], v[20:21], -v[22:23]
	v_mul_f64 v[60:61], v[60:61], v[70:71]
	ds_read2_b64 v[76:79], v72 offset0:26 offset1:27
	v_fmac_f64_e32 v[60:61], v[62:63], v[20:21]
	s_waitcnt vmcnt(2)
	v_add_f64 v[6:7], v[6:7], -v[60:61]
	ds_read2_b64 v[60:63], v72 offset0:28 offset1:29
	v_add_f64 v[4:5], v[4:5], -v[22:23]
	s_waitcnt lgkmcnt(1)
	v_mul_f64 v[22:23], v[78:79], v[70:71]
	v_fma_f64 v[22:23], v[76:77], v[20:21], -v[22:23]
	s_waitcnt vmcnt(1)
	v_add_f64 v[0:1], v[0:1], -v[22:23]
	s_waitcnt lgkmcnt(0)
	v_mul_f64 v[22:23], v[62:63], v[70:71]
	v_mul_f64 v[76:77], v[76:77], v[70:71]
	v_fma_f64 v[22:23], v[60:61], v[20:21], -v[22:23]
	v_mul_f64 v[60:61], v[60:61], v[70:71]
	v_fmac_f64_e32 v[76:77], v[78:79], v[20:21]
	v_fmac_f64_e32 v[60:61], v[62:63], v[20:21]
	v_add_f64 v[2:3], v[2:3], -v[76:77]
	s_waitcnt vmcnt(0)
	v_add_f64 v[56:57], v[56:57], -v[22:23]
	v_add_f64 v[58:59], v[58:59], -v[60:61]
	v_mov_b64_e32 v[22:23], v[70:71]
.LBB28_188:
	s_or_b64 exec, exec, s[0:1]
	v_lshl_add_u32 v60, v73, 4, v72
	s_barrier
	s_waitcnt vmcnt(5)
	ds_write2_b64 v60, v[12:13], v[14:15] offset1:1
	s_waitcnt lgkmcnt(0)
	s_barrier
	ds_read2_b64 v[60:63], v72 offset0:18 offset1:19
	s_cmp_lt_i32 s20, 11
	v_mov_b32_e32 v70, 9
	s_cbranch_scc1 .LBB28_191
; %bb.189:
	v_add_u32_e32 v71, 0xa0, v72
	s_mov_b32 s16, 10
	v_mov_b32_e32 v70, 9
.LBB28_190:                             ; =>This Inner Loop Header: Depth=1
	ds_read2_b64 v[76:79], v71 offset1:1
	s_waitcnt lgkmcnt(1)
	v_xor_b32_e32 v81, 0x80000000, v61
	v_xor_b32_e32 v83, 0x80000000, v63
	v_cmp_gt_f64_e32 vcc, 0, v[62:63]
	v_cmp_gt_f64_e64 s[0:1], 0, v[60:61]
	v_mov_b32_e32 v80, v60
	v_mov_b32_e32 v82, v62
	v_cndmask_b32_e64 v81, v61, v81, s[0:1]
	v_cndmask_b32_e32 v83, v63, v83, vcc
	v_add_f64 v[80:81], v[80:81], v[82:83]
	s_waitcnt lgkmcnt(0)
	v_xor_b32_e32 v83, 0x80000000, v77
	v_xor_b32_e32 v85, 0x80000000, v79
	v_cmp_gt_f64_e32 vcc, 0, v[78:79]
	v_cmp_gt_f64_e64 s[0:1], 0, v[76:77]
	v_mov_b32_e32 v82, v76
	v_mov_b32_e32 v84, v78
	v_cndmask_b32_e64 v83, v77, v83, s[0:1]
	v_cndmask_b32_e32 v85, v79, v85, vcc
	v_add_f64 v[82:83], v[82:83], v[84:85]
	v_mov_b32_e32 v86, s16
	s_add_i32 s16, s16, 1
	v_cmp_lt_f64_e32 vcc, v[80:81], v[82:83]
	v_add_u32_e32 v71, 16, v71
	s_cmp_lg_u32 s20, s16
	v_cndmask_b32_e32 v61, v61, v77, vcc
	v_cndmask_b32_e32 v60, v60, v76, vcc
	;; [unrolled: 1-line block ×5, first 2 shown]
	s_cbranch_scc1 .LBB28_190
.LBB28_191:
	s_waitcnt lgkmcnt(0)
	v_cmp_eq_f64_e32 vcc, 0, v[60:61]
	v_cmp_eq_f64_e64 s[0:1], 0, v[62:63]
	s_and_b64 s[0:1], vcc, s[0:1]
	s_and_saveexec_b64 s[16:17], s[0:1]
	s_xor_b64 s[0:1], exec, s[16:17]
; %bb.192:
	v_cmp_ne_u32_e32 vcc, 0, v75
	s_nop 1
	v_cndmask_b32_e32 v75, 10, v75, vcc
; %bb.193:
	s_andn2_saveexec_b64 s[0:1], s[0:1]
	s_cbranch_execz .LBB28_199
; %bb.194:
	v_cmp_ngt_f64_e64 s[16:17], |v[60:61]|, |v[62:63]|
	s_and_saveexec_b64 s[18:19], s[16:17]
	s_xor_b64 s[16:17], exec, s[18:19]
	s_cbranch_execz .LBB28_196
; %bb.195:
	v_div_scale_f64 v[76:77], s[18:19], v[62:63], v[62:63], v[60:61]
	v_rcp_f64_e32 v[78:79], v[76:77]
	v_div_scale_f64 v[80:81], vcc, v[60:61], v[62:63], v[60:61]
	v_fma_f64 v[82:83], -v[76:77], v[78:79], 1.0
	v_fmac_f64_e32 v[78:79], v[78:79], v[82:83]
	v_fma_f64 v[82:83], -v[76:77], v[78:79], 1.0
	v_fmac_f64_e32 v[78:79], v[78:79], v[82:83]
	v_mul_f64 v[82:83], v[80:81], v[78:79]
	v_fma_f64 v[76:77], -v[76:77], v[82:83], v[80:81]
	v_div_fmas_f64 v[76:77], v[76:77], v[78:79], v[82:83]
	v_div_fixup_f64 v[76:77], v[76:77], v[62:63], v[60:61]
	v_fmac_f64_e32 v[62:63], v[60:61], v[76:77]
	v_div_scale_f64 v[60:61], s[18:19], v[62:63], v[62:63], 1.0
	v_rcp_f64_e32 v[78:79], v[60:61]
	s_nop 0
	v_fma_f64 v[80:81], -v[60:61], v[78:79], 1.0
	v_fmac_f64_e32 v[78:79], v[78:79], v[80:81]
	v_fma_f64 v[80:81], -v[60:61], v[78:79], 1.0
	v_fmac_f64_e32 v[78:79], v[78:79], v[80:81]
	v_div_scale_f64 v[80:81], vcc, 1.0, v[62:63], 1.0
	v_mul_f64 v[82:83], v[80:81], v[78:79]
	v_fma_f64 v[60:61], -v[60:61], v[82:83], v[80:81]
	s_nop 1
	v_div_fmas_f64 v[60:61], v[60:61], v[78:79], v[82:83]
	v_div_fixup_f64 v[62:63], v[60:61], v[62:63], 1.0
	v_mul_f64 v[60:61], v[76:77], v[62:63]
	v_xor_b32_e32 v63, 0x80000000, v63
.LBB28_196:
	s_andn2_saveexec_b64 s[16:17], s[16:17]
	s_cbranch_execz .LBB28_198
; %bb.197:
	v_div_scale_f64 v[76:77], s[18:19], v[60:61], v[60:61], v[62:63]
	v_rcp_f64_e32 v[78:79], v[76:77]
	v_div_scale_f64 v[80:81], vcc, v[62:63], v[60:61], v[62:63]
	v_fma_f64 v[82:83], -v[76:77], v[78:79], 1.0
	v_fmac_f64_e32 v[78:79], v[78:79], v[82:83]
	v_fma_f64 v[82:83], -v[76:77], v[78:79], 1.0
	v_fmac_f64_e32 v[78:79], v[78:79], v[82:83]
	v_mul_f64 v[82:83], v[80:81], v[78:79]
	v_fma_f64 v[76:77], -v[76:77], v[82:83], v[80:81]
	v_div_fmas_f64 v[76:77], v[76:77], v[78:79], v[82:83]
	v_div_fixup_f64 v[76:77], v[76:77], v[60:61], v[62:63]
	v_fmac_f64_e32 v[60:61], v[62:63], v[76:77]
	v_div_scale_f64 v[62:63], s[18:19], v[60:61], v[60:61], 1.0
	v_rcp_f64_e32 v[78:79], v[62:63]
	s_nop 0
	v_fma_f64 v[80:81], -v[62:63], v[78:79], 1.0
	v_fmac_f64_e32 v[78:79], v[78:79], v[80:81]
	v_fma_f64 v[80:81], -v[62:63], v[78:79], 1.0
	v_fmac_f64_e32 v[78:79], v[78:79], v[80:81]
	v_div_scale_f64 v[80:81], vcc, 1.0, v[60:61], 1.0
	v_mul_f64 v[82:83], v[80:81], v[78:79]
	v_fma_f64 v[62:63], -v[62:63], v[82:83], v[80:81]
	s_nop 1
	v_div_fmas_f64 v[62:63], v[62:63], v[78:79], v[82:83]
	v_div_fixup_f64 v[60:61], v[62:63], v[60:61], 1.0
	v_mul_f64 v[62:63], v[76:77], -v[60:61]
.LBB28_198:
	s_or_b64 exec, exec, s[16:17]
.LBB28_199:
	s_or_b64 exec, exec, s[0:1]
	v_cmp_ne_u32_e32 vcc, v73, v70
	s_and_saveexec_b64 s[0:1], vcc
	s_xor_b64 s[0:1], exec, s[0:1]
	s_cbranch_execz .LBB28_205
; %bb.200:
	v_cmp_eq_u32_e32 vcc, 9, v73
	s_and_saveexec_b64 s[16:17], vcc
	s_cbranch_execz .LBB28_204
; %bb.201:
	v_cmp_ne_u32_e32 vcc, 9, v70
	s_xor_b64 s[18:19], s[14:15], -1
	s_and_b64 s[22:23], s[18:19], vcc
	s_and_saveexec_b64 s[18:19], s[22:23]
	s_cbranch_execz .LBB28_203
; %bb.202:
	v_ashrrev_i32_e32 v71, 31, v70
	v_lshl_add_u64 v[76:77], v[70:71], 2, v[68:69]
	global_load_dword v71, v[76:77], off
	global_load_dword v73, v[68:69], off offset:36
	s_waitcnt vmcnt(1)
	global_store_dword v[68:69], v71, off offset:36
	s_waitcnt vmcnt(1)
	global_store_dword v[76:77], v73, off
.LBB28_203:
	s_or_b64 exec, exec, s[18:19]
	v_mov_b32_e32 v73, v70
	v_mov_b32_e32 v74, v70
.LBB28_204:
	s_or_b64 exec, exec, s[16:17]
.LBB28_205:
	s_andn2_saveexec_b64 s[0:1], s[0:1]
	s_cbranch_execz .LBB28_207
; %bb.206:
	v_mov_b32_e32 v73, 9
	s_waitcnt vmcnt(4)
	ds_write2_b64 v72, v[16:17], v[18:19] offset0:20 offset1:21
	s_waitcnt vmcnt(3)
	ds_write2_b64 v72, v[8:9], v[10:11] offset0:22 offset1:23
	;; [unrolled: 2-line block ×5, first 2 shown]
.LBB28_207:
	s_or_b64 exec, exec, s[0:1]
	v_cmp_lt_i32_e32 vcc, 9, v73
	s_waitcnt lgkmcnt(0)
	s_barrier
	s_and_saveexec_b64 s[0:1], vcc
	s_cbranch_execz .LBB28_209
; %bb.208:
	ds_read2_b64 v[76:79], v72 offset0:20 offset1:21
	v_mul_f64 v[70:71], v[60:61], v[14:15]
	v_fmac_f64_e32 v[70:71], v[62:63], v[12:13]
	v_mul_f64 v[14:15], v[62:63], v[14:15]
	v_fma_f64 v[12:13], v[60:61], v[12:13], -v[14:15]
	ds_read2_b64 v[60:63], v72 offset0:22 offset1:23
	s_waitcnt lgkmcnt(1)
	v_mul_f64 v[14:15], v[78:79], v[70:71]
	v_fma_f64 v[14:15], v[76:77], v[12:13], -v[14:15]
	v_mul_f64 v[76:77], v[76:77], v[70:71]
	v_fmac_f64_e32 v[76:77], v[78:79], v[12:13]
	s_waitcnt vmcnt(4)
	v_add_f64 v[18:19], v[18:19], -v[76:77]
	ds_read2_b64 v[76:79], v72 offset0:24 offset1:25
	v_add_f64 v[16:17], v[16:17], -v[14:15]
	s_waitcnt lgkmcnt(1)
	v_mul_f64 v[14:15], v[62:63], v[70:71]
	v_fma_f64 v[14:15], v[60:61], v[12:13], -v[14:15]
	v_mul_f64 v[60:61], v[60:61], v[70:71]
	v_fmac_f64_e32 v[60:61], v[62:63], v[12:13]
	s_waitcnt vmcnt(3)
	v_add_f64 v[8:9], v[8:9], -v[14:15]
	v_add_f64 v[10:11], v[10:11], -v[60:61]
	ds_read2_b64 v[60:63], v72 offset0:26 offset1:27
	s_waitcnt lgkmcnt(1)
	v_mul_f64 v[14:15], v[78:79], v[70:71]
	v_fma_f64 v[14:15], v[76:77], v[12:13], -v[14:15]
	v_mul_f64 v[76:77], v[76:77], v[70:71]
	v_fmac_f64_e32 v[76:77], v[78:79], v[12:13]
	s_waitcnt vmcnt(2)
	v_add_f64 v[6:7], v[6:7], -v[76:77]
	ds_read2_b64 v[76:79], v72 offset0:28 offset1:29
	v_add_f64 v[4:5], v[4:5], -v[14:15]
	s_waitcnt lgkmcnt(1)
	v_mul_f64 v[14:15], v[62:63], v[70:71]
	v_fma_f64 v[14:15], v[60:61], v[12:13], -v[14:15]
	v_mul_f64 v[60:61], v[60:61], v[70:71]
	v_fmac_f64_e32 v[60:61], v[62:63], v[12:13]
	s_waitcnt vmcnt(1)
	v_add_f64 v[0:1], v[0:1], -v[14:15]
	v_add_f64 v[2:3], v[2:3], -v[60:61]
	s_waitcnt lgkmcnt(0)
	v_mul_f64 v[14:15], v[78:79], v[70:71]
	v_mul_f64 v[60:61], v[76:77], v[70:71]
	v_fma_f64 v[14:15], v[76:77], v[12:13], -v[14:15]
	v_fmac_f64_e32 v[60:61], v[78:79], v[12:13]
	s_waitcnt vmcnt(0)
	v_add_f64 v[56:57], v[56:57], -v[14:15]
	v_add_f64 v[58:59], v[58:59], -v[60:61]
	v_mov_b64_e32 v[14:15], v[70:71]
.LBB28_209:
	s_or_b64 exec, exec, s[0:1]
	v_lshl_add_u32 v60, v73, 4, v72
	s_barrier
	s_waitcnt vmcnt(4)
	ds_write2_b64 v60, v[16:17], v[18:19] offset1:1
	s_waitcnt lgkmcnt(0)
	s_barrier
	ds_read2_b64 v[60:63], v72 offset0:20 offset1:21
	s_cmp_lt_i32 s20, 12
	v_mov_b32_e32 v70, 10
	s_cbranch_scc1 .LBB28_212
; %bb.210:
	v_add_u32_e32 v71, 0xb0, v72
	s_mov_b32 s16, 11
	v_mov_b32_e32 v70, 10
.LBB28_211:                             ; =>This Inner Loop Header: Depth=1
	ds_read2_b64 v[76:79], v71 offset1:1
	s_waitcnt lgkmcnt(1)
	v_xor_b32_e32 v81, 0x80000000, v61
	v_xor_b32_e32 v83, 0x80000000, v63
	v_cmp_gt_f64_e32 vcc, 0, v[62:63]
	v_cmp_gt_f64_e64 s[0:1], 0, v[60:61]
	v_mov_b32_e32 v80, v60
	v_mov_b32_e32 v82, v62
	v_cndmask_b32_e64 v81, v61, v81, s[0:1]
	v_cndmask_b32_e32 v83, v63, v83, vcc
	v_add_f64 v[80:81], v[80:81], v[82:83]
	s_waitcnt lgkmcnt(0)
	v_xor_b32_e32 v83, 0x80000000, v77
	v_xor_b32_e32 v85, 0x80000000, v79
	v_cmp_gt_f64_e32 vcc, 0, v[78:79]
	v_cmp_gt_f64_e64 s[0:1], 0, v[76:77]
	v_mov_b32_e32 v82, v76
	v_mov_b32_e32 v84, v78
	v_cndmask_b32_e64 v83, v77, v83, s[0:1]
	v_cndmask_b32_e32 v85, v79, v85, vcc
	v_add_f64 v[82:83], v[82:83], v[84:85]
	v_mov_b32_e32 v86, s16
	s_add_i32 s16, s16, 1
	v_cmp_lt_f64_e32 vcc, v[80:81], v[82:83]
	v_add_u32_e32 v71, 16, v71
	s_cmp_lg_u32 s20, s16
	v_cndmask_b32_e32 v61, v61, v77, vcc
	v_cndmask_b32_e32 v60, v60, v76, vcc
	;; [unrolled: 1-line block ×5, first 2 shown]
	s_cbranch_scc1 .LBB28_211
.LBB28_212:
	s_waitcnt lgkmcnt(0)
	v_cmp_eq_f64_e32 vcc, 0, v[60:61]
	v_cmp_eq_f64_e64 s[0:1], 0, v[62:63]
	s_and_b64 s[0:1], vcc, s[0:1]
	s_and_saveexec_b64 s[16:17], s[0:1]
	s_xor_b64 s[0:1], exec, s[16:17]
; %bb.213:
	v_cmp_ne_u32_e32 vcc, 0, v75
	s_nop 1
	v_cndmask_b32_e32 v75, 11, v75, vcc
; %bb.214:
	s_andn2_saveexec_b64 s[0:1], s[0:1]
	s_cbranch_execz .LBB28_220
; %bb.215:
	v_cmp_ngt_f64_e64 s[16:17], |v[60:61]|, |v[62:63]|
	s_and_saveexec_b64 s[18:19], s[16:17]
	s_xor_b64 s[16:17], exec, s[18:19]
	s_cbranch_execz .LBB28_217
; %bb.216:
	v_div_scale_f64 v[76:77], s[18:19], v[62:63], v[62:63], v[60:61]
	v_rcp_f64_e32 v[78:79], v[76:77]
	v_div_scale_f64 v[80:81], vcc, v[60:61], v[62:63], v[60:61]
	v_fma_f64 v[82:83], -v[76:77], v[78:79], 1.0
	v_fmac_f64_e32 v[78:79], v[78:79], v[82:83]
	v_fma_f64 v[82:83], -v[76:77], v[78:79], 1.0
	v_fmac_f64_e32 v[78:79], v[78:79], v[82:83]
	v_mul_f64 v[82:83], v[80:81], v[78:79]
	v_fma_f64 v[76:77], -v[76:77], v[82:83], v[80:81]
	v_div_fmas_f64 v[76:77], v[76:77], v[78:79], v[82:83]
	v_div_fixup_f64 v[76:77], v[76:77], v[62:63], v[60:61]
	v_fmac_f64_e32 v[62:63], v[60:61], v[76:77]
	v_div_scale_f64 v[60:61], s[18:19], v[62:63], v[62:63], 1.0
	v_rcp_f64_e32 v[78:79], v[60:61]
	s_nop 0
	v_fma_f64 v[80:81], -v[60:61], v[78:79], 1.0
	v_fmac_f64_e32 v[78:79], v[78:79], v[80:81]
	v_fma_f64 v[80:81], -v[60:61], v[78:79], 1.0
	v_fmac_f64_e32 v[78:79], v[78:79], v[80:81]
	v_div_scale_f64 v[80:81], vcc, 1.0, v[62:63], 1.0
	v_mul_f64 v[82:83], v[80:81], v[78:79]
	v_fma_f64 v[60:61], -v[60:61], v[82:83], v[80:81]
	s_nop 1
	v_div_fmas_f64 v[60:61], v[60:61], v[78:79], v[82:83]
	v_div_fixup_f64 v[62:63], v[60:61], v[62:63], 1.0
	v_mul_f64 v[60:61], v[76:77], v[62:63]
	v_xor_b32_e32 v63, 0x80000000, v63
.LBB28_217:
	s_andn2_saveexec_b64 s[16:17], s[16:17]
	s_cbranch_execz .LBB28_219
; %bb.218:
	v_div_scale_f64 v[76:77], s[18:19], v[60:61], v[60:61], v[62:63]
	v_rcp_f64_e32 v[78:79], v[76:77]
	v_div_scale_f64 v[80:81], vcc, v[62:63], v[60:61], v[62:63]
	v_fma_f64 v[82:83], -v[76:77], v[78:79], 1.0
	v_fmac_f64_e32 v[78:79], v[78:79], v[82:83]
	v_fma_f64 v[82:83], -v[76:77], v[78:79], 1.0
	v_fmac_f64_e32 v[78:79], v[78:79], v[82:83]
	v_mul_f64 v[82:83], v[80:81], v[78:79]
	v_fma_f64 v[76:77], -v[76:77], v[82:83], v[80:81]
	v_div_fmas_f64 v[76:77], v[76:77], v[78:79], v[82:83]
	v_div_fixup_f64 v[76:77], v[76:77], v[60:61], v[62:63]
	v_fmac_f64_e32 v[60:61], v[62:63], v[76:77]
	v_div_scale_f64 v[62:63], s[18:19], v[60:61], v[60:61], 1.0
	v_rcp_f64_e32 v[78:79], v[62:63]
	s_nop 0
	v_fma_f64 v[80:81], -v[62:63], v[78:79], 1.0
	v_fmac_f64_e32 v[78:79], v[78:79], v[80:81]
	v_fma_f64 v[80:81], -v[62:63], v[78:79], 1.0
	v_fmac_f64_e32 v[78:79], v[78:79], v[80:81]
	v_div_scale_f64 v[80:81], vcc, 1.0, v[60:61], 1.0
	v_mul_f64 v[82:83], v[80:81], v[78:79]
	v_fma_f64 v[62:63], -v[62:63], v[82:83], v[80:81]
	s_nop 1
	v_div_fmas_f64 v[62:63], v[62:63], v[78:79], v[82:83]
	v_div_fixup_f64 v[60:61], v[62:63], v[60:61], 1.0
	v_mul_f64 v[62:63], v[76:77], -v[60:61]
.LBB28_219:
	s_or_b64 exec, exec, s[16:17]
.LBB28_220:
	s_or_b64 exec, exec, s[0:1]
	v_cmp_ne_u32_e32 vcc, v73, v70
	s_and_saveexec_b64 s[0:1], vcc
	s_xor_b64 s[0:1], exec, s[0:1]
	s_cbranch_execz .LBB28_226
; %bb.221:
	v_cmp_eq_u32_e32 vcc, 10, v73
	s_and_saveexec_b64 s[16:17], vcc
	s_cbranch_execz .LBB28_225
; %bb.222:
	v_cmp_ne_u32_e32 vcc, 10, v70
	s_xor_b64 s[18:19], s[14:15], -1
	s_and_b64 s[22:23], s[18:19], vcc
	s_and_saveexec_b64 s[18:19], s[22:23]
	s_cbranch_execz .LBB28_224
; %bb.223:
	v_ashrrev_i32_e32 v71, 31, v70
	v_lshl_add_u64 v[76:77], v[70:71], 2, v[68:69]
	global_load_dword v71, v[76:77], off
	global_load_dword v73, v[68:69], off offset:40
	s_waitcnt vmcnt(1)
	global_store_dword v[68:69], v71, off offset:40
	s_waitcnt vmcnt(1)
	global_store_dword v[76:77], v73, off
.LBB28_224:
	s_or_b64 exec, exec, s[18:19]
	v_mov_b32_e32 v73, v70
	v_mov_b32_e32 v74, v70
.LBB28_225:
	s_or_b64 exec, exec, s[16:17]
.LBB28_226:
	s_andn2_saveexec_b64 s[0:1], s[0:1]
	s_cbranch_execz .LBB28_228
; %bb.227:
	v_mov_b32_e32 v73, 10
	s_waitcnt vmcnt(3)
	ds_write2_b64 v72, v[8:9], v[10:11] offset0:22 offset1:23
	s_waitcnt vmcnt(2)
	ds_write2_b64 v72, v[4:5], v[6:7] offset0:24 offset1:25
	;; [unrolled: 2-line block ×4, first 2 shown]
.LBB28_228:
	s_or_b64 exec, exec, s[0:1]
	v_cmp_lt_i32_e32 vcc, 10, v73
	s_waitcnt lgkmcnt(0)
	s_barrier
	s_and_saveexec_b64 s[0:1], vcc
	s_cbranch_execz .LBB28_230
; %bb.229:
	ds_read2_b64 v[76:79], v72 offset0:22 offset1:23
	v_mul_f64 v[70:71], v[60:61], v[18:19]
	v_mul_f64 v[18:19], v[62:63], v[18:19]
	v_fmac_f64_e32 v[70:71], v[62:63], v[16:17]
	v_fma_f64 v[16:17], v[60:61], v[16:17], -v[18:19]
	ds_read2_b64 v[60:63], v72 offset0:24 offset1:25
	s_waitcnt lgkmcnt(1)
	v_mul_f64 v[18:19], v[78:79], v[70:71]
	v_fma_f64 v[18:19], v[76:77], v[16:17], -v[18:19]
	v_mul_f64 v[76:77], v[76:77], v[70:71]
	v_fmac_f64_e32 v[76:77], v[78:79], v[16:17]
	s_waitcnt vmcnt(3)
	v_add_f64 v[8:9], v[8:9], -v[18:19]
	s_waitcnt lgkmcnt(0)
	v_mul_f64 v[18:19], v[62:63], v[70:71]
	v_add_f64 v[10:11], v[10:11], -v[76:77]
	v_fma_f64 v[18:19], v[60:61], v[16:17], -v[18:19]
	v_mul_f64 v[60:61], v[60:61], v[70:71]
	ds_read2_b64 v[76:79], v72 offset0:26 offset1:27
	v_fmac_f64_e32 v[60:61], v[62:63], v[16:17]
	s_waitcnt vmcnt(2)
	v_add_f64 v[6:7], v[6:7], -v[60:61]
	ds_read2_b64 v[60:63], v72 offset0:28 offset1:29
	v_add_f64 v[4:5], v[4:5], -v[18:19]
	s_waitcnt lgkmcnt(1)
	v_mul_f64 v[18:19], v[78:79], v[70:71]
	v_fma_f64 v[18:19], v[76:77], v[16:17], -v[18:19]
	s_waitcnt vmcnt(1)
	v_add_f64 v[0:1], v[0:1], -v[18:19]
	s_waitcnt lgkmcnt(0)
	v_mul_f64 v[18:19], v[62:63], v[70:71]
	v_mul_f64 v[76:77], v[76:77], v[70:71]
	v_fma_f64 v[18:19], v[60:61], v[16:17], -v[18:19]
	v_mul_f64 v[60:61], v[60:61], v[70:71]
	v_fmac_f64_e32 v[76:77], v[78:79], v[16:17]
	v_fmac_f64_e32 v[60:61], v[62:63], v[16:17]
	v_add_f64 v[2:3], v[2:3], -v[76:77]
	s_waitcnt vmcnt(0)
	v_add_f64 v[56:57], v[56:57], -v[18:19]
	v_add_f64 v[58:59], v[58:59], -v[60:61]
	v_mov_b64_e32 v[18:19], v[70:71]
.LBB28_230:
	s_or_b64 exec, exec, s[0:1]
	v_lshl_add_u32 v60, v73, 4, v72
	s_barrier
	s_waitcnt vmcnt(3)
	ds_write2_b64 v60, v[8:9], v[10:11] offset1:1
	s_waitcnt lgkmcnt(0)
	s_barrier
	ds_read2_b64 v[60:63], v72 offset0:22 offset1:23
	s_cmp_lt_i32 s20, 13
	v_mov_b32_e32 v70, 11
	s_cbranch_scc1 .LBB28_233
; %bb.231:
	v_add_u32_e32 v71, 0xc0, v72
	s_mov_b32 s16, 12
	v_mov_b32_e32 v70, 11
.LBB28_232:                             ; =>This Inner Loop Header: Depth=1
	ds_read2_b64 v[76:79], v71 offset1:1
	s_waitcnt lgkmcnt(1)
	v_xor_b32_e32 v81, 0x80000000, v61
	v_xor_b32_e32 v83, 0x80000000, v63
	v_cmp_gt_f64_e32 vcc, 0, v[62:63]
	v_cmp_gt_f64_e64 s[0:1], 0, v[60:61]
	v_mov_b32_e32 v80, v60
	v_mov_b32_e32 v82, v62
	v_cndmask_b32_e64 v81, v61, v81, s[0:1]
	v_cndmask_b32_e32 v83, v63, v83, vcc
	v_add_f64 v[80:81], v[80:81], v[82:83]
	s_waitcnt lgkmcnt(0)
	v_xor_b32_e32 v83, 0x80000000, v77
	v_xor_b32_e32 v85, 0x80000000, v79
	v_cmp_gt_f64_e32 vcc, 0, v[78:79]
	v_cmp_gt_f64_e64 s[0:1], 0, v[76:77]
	v_mov_b32_e32 v82, v76
	v_mov_b32_e32 v84, v78
	v_cndmask_b32_e64 v83, v77, v83, s[0:1]
	v_cndmask_b32_e32 v85, v79, v85, vcc
	v_add_f64 v[82:83], v[82:83], v[84:85]
	v_mov_b32_e32 v86, s16
	s_add_i32 s16, s16, 1
	v_cmp_lt_f64_e32 vcc, v[80:81], v[82:83]
	v_add_u32_e32 v71, 16, v71
	s_cmp_lg_u32 s20, s16
	v_cndmask_b32_e32 v61, v61, v77, vcc
	v_cndmask_b32_e32 v60, v60, v76, vcc
	;; [unrolled: 1-line block ×5, first 2 shown]
	s_cbranch_scc1 .LBB28_232
.LBB28_233:
	s_waitcnt lgkmcnt(0)
	v_cmp_eq_f64_e32 vcc, 0, v[60:61]
	v_cmp_eq_f64_e64 s[0:1], 0, v[62:63]
	s_and_b64 s[0:1], vcc, s[0:1]
	s_and_saveexec_b64 s[16:17], s[0:1]
	s_xor_b64 s[0:1], exec, s[16:17]
; %bb.234:
	v_cmp_ne_u32_e32 vcc, 0, v75
	s_nop 1
	v_cndmask_b32_e32 v75, 12, v75, vcc
; %bb.235:
	s_andn2_saveexec_b64 s[0:1], s[0:1]
	s_cbranch_execz .LBB28_241
; %bb.236:
	v_cmp_ngt_f64_e64 s[16:17], |v[60:61]|, |v[62:63]|
	s_and_saveexec_b64 s[18:19], s[16:17]
	s_xor_b64 s[16:17], exec, s[18:19]
	s_cbranch_execz .LBB28_238
; %bb.237:
	v_div_scale_f64 v[76:77], s[18:19], v[62:63], v[62:63], v[60:61]
	v_rcp_f64_e32 v[78:79], v[76:77]
	v_div_scale_f64 v[80:81], vcc, v[60:61], v[62:63], v[60:61]
	v_fma_f64 v[82:83], -v[76:77], v[78:79], 1.0
	v_fmac_f64_e32 v[78:79], v[78:79], v[82:83]
	v_fma_f64 v[82:83], -v[76:77], v[78:79], 1.0
	v_fmac_f64_e32 v[78:79], v[78:79], v[82:83]
	v_mul_f64 v[82:83], v[80:81], v[78:79]
	v_fma_f64 v[76:77], -v[76:77], v[82:83], v[80:81]
	v_div_fmas_f64 v[76:77], v[76:77], v[78:79], v[82:83]
	v_div_fixup_f64 v[76:77], v[76:77], v[62:63], v[60:61]
	v_fmac_f64_e32 v[62:63], v[60:61], v[76:77]
	v_div_scale_f64 v[60:61], s[18:19], v[62:63], v[62:63], 1.0
	v_rcp_f64_e32 v[78:79], v[60:61]
	s_nop 0
	v_fma_f64 v[80:81], -v[60:61], v[78:79], 1.0
	v_fmac_f64_e32 v[78:79], v[78:79], v[80:81]
	v_fma_f64 v[80:81], -v[60:61], v[78:79], 1.0
	v_fmac_f64_e32 v[78:79], v[78:79], v[80:81]
	v_div_scale_f64 v[80:81], vcc, 1.0, v[62:63], 1.0
	v_mul_f64 v[82:83], v[80:81], v[78:79]
	v_fma_f64 v[60:61], -v[60:61], v[82:83], v[80:81]
	s_nop 1
	v_div_fmas_f64 v[60:61], v[60:61], v[78:79], v[82:83]
	v_div_fixup_f64 v[62:63], v[60:61], v[62:63], 1.0
	v_mul_f64 v[60:61], v[76:77], v[62:63]
	v_xor_b32_e32 v63, 0x80000000, v63
.LBB28_238:
	s_andn2_saveexec_b64 s[16:17], s[16:17]
	s_cbranch_execz .LBB28_240
; %bb.239:
	v_div_scale_f64 v[76:77], s[18:19], v[60:61], v[60:61], v[62:63]
	v_rcp_f64_e32 v[78:79], v[76:77]
	v_div_scale_f64 v[80:81], vcc, v[62:63], v[60:61], v[62:63]
	v_fma_f64 v[82:83], -v[76:77], v[78:79], 1.0
	v_fmac_f64_e32 v[78:79], v[78:79], v[82:83]
	v_fma_f64 v[82:83], -v[76:77], v[78:79], 1.0
	v_fmac_f64_e32 v[78:79], v[78:79], v[82:83]
	v_mul_f64 v[82:83], v[80:81], v[78:79]
	v_fma_f64 v[76:77], -v[76:77], v[82:83], v[80:81]
	v_div_fmas_f64 v[76:77], v[76:77], v[78:79], v[82:83]
	v_div_fixup_f64 v[76:77], v[76:77], v[60:61], v[62:63]
	v_fmac_f64_e32 v[60:61], v[62:63], v[76:77]
	v_div_scale_f64 v[62:63], s[18:19], v[60:61], v[60:61], 1.0
	v_rcp_f64_e32 v[78:79], v[62:63]
	s_nop 0
	v_fma_f64 v[80:81], -v[62:63], v[78:79], 1.0
	v_fmac_f64_e32 v[78:79], v[78:79], v[80:81]
	v_fma_f64 v[80:81], -v[62:63], v[78:79], 1.0
	v_fmac_f64_e32 v[78:79], v[78:79], v[80:81]
	v_div_scale_f64 v[80:81], vcc, 1.0, v[60:61], 1.0
	v_mul_f64 v[82:83], v[80:81], v[78:79]
	v_fma_f64 v[62:63], -v[62:63], v[82:83], v[80:81]
	s_nop 1
	v_div_fmas_f64 v[62:63], v[62:63], v[78:79], v[82:83]
	v_div_fixup_f64 v[60:61], v[62:63], v[60:61], 1.0
	v_mul_f64 v[62:63], v[76:77], -v[60:61]
.LBB28_240:
	s_or_b64 exec, exec, s[16:17]
.LBB28_241:
	s_or_b64 exec, exec, s[0:1]
	v_cmp_ne_u32_e32 vcc, v73, v70
	s_and_saveexec_b64 s[0:1], vcc
	s_xor_b64 s[0:1], exec, s[0:1]
	s_cbranch_execz .LBB28_247
; %bb.242:
	v_cmp_eq_u32_e32 vcc, 11, v73
	s_and_saveexec_b64 s[16:17], vcc
	s_cbranch_execz .LBB28_246
; %bb.243:
	v_cmp_ne_u32_e32 vcc, 11, v70
	s_xor_b64 s[18:19], s[14:15], -1
	s_and_b64 s[22:23], s[18:19], vcc
	s_and_saveexec_b64 s[18:19], s[22:23]
	s_cbranch_execz .LBB28_245
; %bb.244:
	v_ashrrev_i32_e32 v71, 31, v70
	v_lshl_add_u64 v[76:77], v[70:71], 2, v[68:69]
	global_load_dword v71, v[76:77], off
	global_load_dword v73, v[68:69], off offset:44
	s_waitcnt vmcnt(1)
	global_store_dword v[68:69], v71, off offset:44
	s_waitcnt vmcnt(1)
	global_store_dword v[76:77], v73, off
.LBB28_245:
	s_or_b64 exec, exec, s[18:19]
	v_mov_b32_e32 v73, v70
	v_mov_b32_e32 v74, v70
.LBB28_246:
	s_or_b64 exec, exec, s[16:17]
.LBB28_247:
	s_andn2_saveexec_b64 s[0:1], s[0:1]
	s_cbranch_execz .LBB28_249
; %bb.248:
	v_mov_b32_e32 v73, 11
	s_waitcnt vmcnt(2)
	ds_write2_b64 v72, v[4:5], v[6:7] offset0:24 offset1:25
	s_waitcnt vmcnt(1)
	ds_write2_b64 v72, v[0:1], v[2:3] offset0:26 offset1:27
	;; [unrolled: 2-line block ×3, first 2 shown]
.LBB28_249:
	s_or_b64 exec, exec, s[0:1]
	v_cmp_lt_i32_e32 vcc, 11, v73
	s_waitcnt lgkmcnt(0)
	s_barrier
	s_and_saveexec_b64 s[0:1], vcc
	s_cbranch_execz .LBB28_251
; %bb.250:
	ds_read2_b64 v[76:79], v72 offset0:24 offset1:25
	v_mul_f64 v[70:71], v[60:61], v[10:11]
	v_fmac_f64_e32 v[70:71], v[62:63], v[8:9]
	v_mul_f64 v[10:11], v[62:63], v[10:11]
	v_fma_f64 v[8:9], v[60:61], v[8:9], -v[10:11]
	ds_read2_b64 v[60:63], v72 offset0:26 offset1:27
	s_waitcnt lgkmcnt(1)
	v_mul_f64 v[10:11], v[78:79], v[70:71]
	v_fma_f64 v[10:11], v[76:77], v[8:9], -v[10:11]
	v_mul_f64 v[76:77], v[76:77], v[70:71]
	v_fmac_f64_e32 v[76:77], v[78:79], v[8:9]
	s_waitcnt vmcnt(2)
	v_add_f64 v[6:7], v[6:7], -v[76:77]
	ds_read2_b64 v[76:79], v72 offset0:28 offset1:29
	v_add_f64 v[4:5], v[4:5], -v[10:11]
	s_waitcnt lgkmcnt(1)
	v_mul_f64 v[10:11], v[62:63], v[70:71]
	v_fma_f64 v[10:11], v[60:61], v[8:9], -v[10:11]
	v_mul_f64 v[60:61], v[60:61], v[70:71]
	v_fmac_f64_e32 v[60:61], v[62:63], v[8:9]
	s_waitcnt vmcnt(1)
	v_add_f64 v[0:1], v[0:1], -v[10:11]
	v_add_f64 v[2:3], v[2:3], -v[60:61]
	s_waitcnt lgkmcnt(0)
	v_mul_f64 v[10:11], v[78:79], v[70:71]
	v_mul_f64 v[60:61], v[76:77], v[70:71]
	v_fma_f64 v[10:11], v[76:77], v[8:9], -v[10:11]
	v_fmac_f64_e32 v[60:61], v[78:79], v[8:9]
	s_waitcnt vmcnt(0)
	v_add_f64 v[56:57], v[56:57], -v[10:11]
	v_add_f64 v[58:59], v[58:59], -v[60:61]
	v_mov_b64_e32 v[10:11], v[70:71]
.LBB28_251:
	s_or_b64 exec, exec, s[0:1]
	v_lshl_add_u32 v60, v73, 4, v72
	s_barrier
	s_waitcnt vmcnt(2)
	ds_write2_b64 v60, v[4:5], v[6:7] offset1:1
	s_waitcnt lgkmcnt(0)
	s_barrier
	ds_read2_b64 v[60:63], v72 offset0:24 offset1:25
	s_cmp_lt_i32 s20, 14
	v_mov_b32_e32 v70, 12
	s_cbranch_scc1 .LBB28_254
; %bb.252:
	v_add_u32_e32 v71, 0xd0, v72
	s_mov_b32 s16, 13
	v_mov_b32_e32 v70, 12
.LBB28_253:                             ; =>This Inner Loop Header: Depth=1
	ds_read2_b64 v[76:79], v71 offset1:1
	s_waitcnt lgkmcnt(1)
	v_xor_b32_e32 v81, 0x80000000, v61
	v_xor_b32_e32 v83, 0x80000000, v63
	v_cmp_gt_f64_e32 vcc, 0, v[62:63]
	v_cmp_gt_f64_e64 s[0:1], 0, v[60:61]
	v_mov_b32_e32 v80, v60
	v_mov_b32_e32 v82, v62
	v_cndmask_b32_e64 v81, v61, v81, s[0:1]
	v_cndmask_b32_e32 v83, v63, v83, vcc
	v_add_f64 v[80:81], v[80:81], v[82:83]
	s_waitcnt lgkmcnt(0)
	v_xor_b32_e32 v83, 0x80000000, v77
	v_xor_b32_e32 v85, 0x80000000, v79
	v_cmp_gt_f64_e32 vcc, 0, v[78:79]
	v_cmp_gt_f64_e64 s[0:1], 0, v[76:77]
	v_mov_b32_e32 v82, v76
	v_mov_b32_e32 v84, v78
	v_cndmask_b32_e64 v83, v77, v83, s[0:1]
	v_cndmask_b32_e32 v85, v79, v85, vcc
	v_add_f64 v[82:83], v[82:83], v[84:85]
	v_mov_b32_e32 v86, s16
	s_add_i32 s16, s16, 1
	v_cmp_lt_f64_e32 vcc, v[80:81], v[82:83]
	v_add_u32_e32 v71, 16, v71
	s_cmp_lg_u32 s20, s16
	v_cndmask_b32_e32 v61, v61, v77, vcc
	v_cndmask_b32_e32 v60, v60, v76, vcc
	v_cndmask_b32_e32 v63, v63, v79, vcc
	v_cndmask_b32_e32 v62, v62, v78, vcc
	v_cndmask_b32_e32 v70, v70, v86, vcc
	s_cbranch_scc1 .LBB28_253
.LBB28_254:
	s_waitcnt lgkmcnt(0)
	v_cmp_eq_f64_e32 vcc, 0, v[60:61]
	v_cmp_eq_f64_e64 s[0:1], 0, v[62:63]
	s_and_b64 s[0:1], vcc, s[0:1]
	s_and_saveexec_b64 s[16:17], s[0:1]
	s_xor_b64 s[0:1], exec, s[16:17]
; %bb.255:
	v_cmp_ne_u32_e32 vcc, 0, v75
	s_nop 1
	v_cndmask_b32_e32 v75, 13, v75, vcc
; %bb.256:
	s_andn2_saveexec_b64 s[0:1], s[0:1]
	s_cbranch_execz .LBB28_262
; %bb.257:
	v_cmp_ngt_f64_e64 s[16:17], |v[60:61]|, |v[62:63]|
	s_and_saveexec_b64 s[18:19], s[16:17]
	s_xor_b64 s[16:17], exec, s[18:19]
	s_cbranch_execz .LBB28_259
; %bb.258:
	v_div_scale_f64 v[76:77], s[18:19], v[62:63], v[62:63], v[60:61]
	v_rcp_f64_e32 v[78:79], v[76:77]
	v_div_scale_f64 v[80:81], vcc, v[60:61], v[62:63], v[60:61]
	v_fma_f64 v[82:83], -v[76:77], v[78:79], 1.0
	v_fmac_f64_e32 v[78:79], v[78:79], v[82:83]
	v_fma_f64 v[82:83], -v[76:77], v[78:79], 1.0
	v_fmac_f64_e32 v[78:79], v[78:79], v[82:83]
	v_mul_f64 v[82:83], v[80:81], v[78:79]
	v_fma_f64 v[76:77], -v[76:77], v[82:83], v[80:81]
	v_div_fmas_f64 v[76:77], v[76:77], v[78:79], v[82:83]
	v_div_fixup_f64 v[76:77], v[76:77], v[62:63], v[60:61]
	v_fmac_f64_e32 v[62:63], v[60:61], v[76:77]
	v_div_scale_f64 v[60:61], s[18:19], v[62:63], v[62:63], 1.0
	v_rcp_f64_e32 v[78:79], v[60:61]
	s_nop 0
	v_fma_f64 v[80:81], -v[60:61], v[78:79], 1.0
	v_fmac_f64_e32 v[78:79], v[78:79], v[80:81]
	v_fma_f64 v[80:81], -v[60:61], v[78:79], 1.0
	v_fmac_f64_e32 v[78:79], v[78:79], v[80:81]
	v_div_scale_f64 v[80:81], vcc, 1.0, v[62:63], 1.0
	v_mul_f64 v[82:83], v[80:81], v[78:79]
	v_fma_f64 v[60:61], -v[60:61], v[82:83], v[80:81]
	s_nop 1
	v_div_fmas_f64 v[60:61], v[60:61], v[78:79], v[82:83]
	v_div_fixup_f64 v[62:63], v[60:61], v[62:63], 1.0
	v_mul_f64 v[60:61], v[76:77], v[62:63]
	v_xor_b32_e32 v63, 0x80000000, v63
.LBB28_259:
	s_andn2_saveexec_b64 s[16:17], s[16:17]
	s_cbranch_execz .LBB28_261
; %bb.260:
	v_div_scale_f64 v[76:77], s[18:19], v[60:61], v[60:61], v[62:63]
	v_rcp_f64_e32 v[78:79], v[76:77]
	v_div_scale_f64 v[80:81], vcc, v[62:63], v[60:61], v[62:63]
	v_fma_f64 v[82:83], -v[76:77], v[78:79], 1.0
	v_fmac_f64_e32 v[78:79], v[78:79], v[82:83]
	v_fma_f64 v[82:83], -v[76:77], v[78:79], 1.0
	v_fmac_f64_e32 v[78:79], v[78:79], v[82:83]
	v_mul_f64 v[82:83], v[80:81], v[78:79]
	v_fma_f64 v[76:77], -v[76:77], v[82:83], v[80:81]
	v_div_fmas_f64 v[76:77], v[76:77], v[78:79], v[82:83]
	v_div_fixup_f64 v[76:77], v[76:77], v[60:61], v[62:63]
	v_fmac_f64_e32 v[60:61], v[62:63], v[76:77]
	v_div_scale_f64 v[62:63], s[18:19], v[60:61], v[60:61], 1.0
	v_rcp_f64_e32 v[78:79], v[62:63]
	s_nop 0
	v_fma_f64 v[80:81], -v[62:63], v[78:79], 1.0
	v_fmac_f64_e32 v[78:79], v[78:79], v[80:81]
	v_fma_f64 v[80:81], -v[62:63], v[78:79], 1.0
	v_fmac_f64_e32 v[78:79], v[78:79], v[80:81]
	v_div_scale_f64 v[80:81], vcc, 1.0, v[60:61], 1.0
	v_mul_f64 v[82:83], v[80:81], v[78:79]
	v_fma_f64 v[62:63], -v[62:63], v[82:83], v[80:81]
	s_nop 1
	v_div_fmas_f64 v[62:63], v[62:63], v[78:79], v[82:83]
	v_div_fixup_f64 v[60:61], v[62:63], v[60:61], 1.0
	v_mul_f64 v[62:63], v[76:77], -v[60:61]
.LBB28_261:
	s_or_b64 exec, exec, s[16:17]
.LBB28_262:
	s_or_b64 exec, exec, s[0:1]
	v_cmp_ne_u32_e32 vcc, v73, v70
	s_and_saveexec_b64 s[0:1], vcc
	s_xor_b64 s[0:1], exec, s[0:1]
	s_cbranch_execz .LBB28_268
; %bb.263:
	v_cmp_eq_u32_e32 vcc, 12, v73
	s_and_saveexec_b64 s[16:17], vcc
	s_cbranch_execz .LBB28_267
; %bb.264:
	v_cmp_ne_u32_e32 vcc, 12, v70
	s_xor_b64 s[18:19], s[14:15], -1
	s_and_b64 s[22:23], s[18:19], vcc
	s_and_saveexec_b64 s[18:19], s[22:23]
	s_cbranch_execz .LBB28_266
; %bb.265:
	v_ashrrev_i32_e32 v71, 31, v70
	v_lshl_add_u64 v[76:77], v[70:71], 2, v[68:69]
	global_load_dword v71, v[76:77], off
	global_load_dword v73, v[68:69], off offset:48
	s_waitcnt vmcnt(1)
	global_store_dword v[68:69], v71, off offset:48
	s_waitcnt vmcnt(1)
	global_store_dword v[76:77], v73, off
.LBB28_266:
	s_or_b64 exec, exec, s[18:19]
	v_mov_b32_e32 v73, v70
	v_mov_b32_e32 v74, v70
.LBB28_267:
	s_or_b64 exec, exec, s[16:17]
.LBB28_268:
	s_andn2_saveexec_b64 s[0:1], s[0:1]
	s_cbranch_execz .LBB28_270
; %bb.269:
	v_mov_b32_e32 v73, 12
	s_waitcnt vmcnt(1)
	ds_write2_b64 v72, v[0:1], v[2:3] offset0:26 offset1:27
	s_waitcnt vmcnt(0)
	ds_write2_b64 v72, v[56:57], v[58:59] offset0:28 offset1:29
.LBB28_270:
	s_or_b64 exec, exec, s[0:1]
	v_cmp_lt_i32_e32 vcc, 12, v73
	s_waitcnt lgkmcnt(0)
	s_barrier
	s_and_saveexec_b64 s[0:1], vcc
	s_cbranch_execz .LBB28_272
; %bb.271:
	ds_read2_b64 v[76:79], v72 offset0:26 offset1:27
	v_mul_f64 v[70:71], v[60:61], v[6:7]
	v_mul_f64 v[6:7], v[62:63], v[6:7]
	v_fmac_f64_e32 v[70:71], v[62:63], v[4:5]
	v_fma_f64 v[4:5], v[60:61], v[4:5], -v[6:7]
	ds_read2_b64 v[60:63], v72 offset0:28 offset1:29
	s_waitcnt lgkmcnt(1)
	v_mul_f64 v[6:7], v[78:79], v[70:71]
	v_fma_f64 v[6:7], v[76:77], v[4:5], -v[6:7]
	s_waitcnt vmcnt(1)
	v_add_f64 v[0:1], v[0:1], -v[6:7]
	v_mul_f64 v[76:77], v[76:77], v[70:71]
	s_waitcnt lgkmcnt(0)
	v_mul_f64 v[6:7], v[62:63], v[70:71]
	v_fma_f64 v[6:7], v[60:61], v[4:5], -v[6:7]
	v_mul_f64 v[60:61], v[60:61], v[70:71]
	v_fmac_f64_e32 v[76:77], v[78:79], v[4:5]
	v_fmac_f64_e32 v[60:61], v[62:63], v[4:5]
	v_add_f64 v[2:3], v[2:3], -v[76:77]
	s_waitcnt vmcnt(0)
	v_add_f64 v[56:57], v[56:57], -v[6:7]
	v_add_f64 v[58:59], v[58:59], -v[60:61]
	v_mov_b64_e32 v[6:7], v[70:71]
.LBB28_272:
	s_or_b64 exec, exec, s[0:1]
	v_lshl_add_u32 v60, v73, 4, v72
	s_barrier
	s_waitcnt vmcnt(1)
	ds_write2_b64 v60, v[0:1], v[2:3] offset1:1
	s_waitcnt lgkmcnt(0)
	s_barrier
	ds_read2_b64 v[60:63], v72 offset0:26 offset1:27
	s_cmp_lt_i32 s20, 15
	v_mov_b32_e32 v70, 13
	s_cbranch_scc1 .LBB28_275
; %bb.273:
	v_add_u32_e32 v71, 0xe0, v72
	s_mov_b32 s16, 14
	v_mov_b32_e32 v70, 13
.LBB28_274:                             ; =>This Inner Loop Header: Depth=1
	ds_read2_b64 v[76:79], v71 offset1:1
	s_waitcnt lgkmcnt(1)
	v_xor_b32_e32 v81, 0x80000000, v61
	v_xor_b32_e32 v83, 0x80000000, v63
	v_cmp_gt_f64_e32 vcc, 0, v[62:63]
	v_cmp_gt_f64_e64 s[0:1], 0, v[60:61]
	v_mov_b32_e32 v80, v60
	v_mov_b32_e32 v82, v62
	v_cndmask_b32_e64 v81, v61, v81, s[0:1]
	v_cndmask_b32_e32 v83, v63, v83, vcc
	v_add_f64 v[80:81], v[80:81], v[82:83]
	s_waitcnt lgkmcnt(0)
	v_xor_b32_e32 v83, 0x80000000, v77
	v_xor_b32_e32 v85, 0x80000000, v79
	v_cmp_gt_f64_e32 vcc, 0, v[78:79]
	v_cmp_gt_f64_e64 s[0:1], 0, v[76:77]
	v_mov_b32_e32 v82, v76
	v_mov_b32_e32 v84, v78
	v_cndmask_b32_e64 v83, v77, v83, s[0:1]
	v_cndmask_b32_e32 v85, v79, v85, vcc
	v_add_f64 v[82:83], v[82:83], v[84:85]
	v_mov_b32_e32 v86, s16
	s_add_i32 s16, s16, 1
	v_cmp_lt_f64_e32 vcc, v[80:81], v[82:83]
	v_add_u32_e32 v71, 16, v71
	s_cmp_lg_u32 s20, s16
	v_cndmask_b32_e32 v61, v61, v77, vcc
	v_cndmask_b32_e32 v60, v60, v76, vcc
	;; [unrolled: 1-line block ×5, first 2 shown]
	s_cbranch_scc1 .LBB28_274
.LBB28_275:
	s_waitcnt lgkmcnt(0)
	v_cmp_eq_f64_e32 vcc, 0, v[60:61]
	v_cmp_eq_f64_e64 s[0:1], 0, v[62:63]
	s_and_b64 s[0:1], vcc, s[0:1]
	s_and_saveexec_b64 s[16:17], s[0:1]
	s_xor_b64 s[0:1], exec, s[16:17]
; %bb.276:
	v_cmp_ne_u32_e32 vcc, 0, v75
	s_nop 1
	v_cndmask_b32_e32 v75, 14, v75, vcc
; %bb.277:
	s_andn2_saveexec_b64 s[0:1], s[0:1]
	s_cbranch_execz .LBB28_283
; %bb.278:
	v_cmp_ngt_f64_e64 s[16:17], |v[60:61]|, |v[62:63]|
	s_and_saveexec_b64 s[18:19], s[16:17]
	s_xor_b64 s[16:17], exec, s[18:19]
	s_cbranch_execz .LBB28_280
; %bb.279:
	v_div_scale_f64 v[76:77], s[18:19], v[62:63], v[62:63], v[60:61]
	v_rcp_f64_e32 v[78:79], v[76:77]
	v_div_scale_f64 v[80:81], vcc, v[60:61], v[62:63], v[60:61]
	v_fma_f64 v[82:83], -v[76:77], v[78:79], 1.0
	v_fmac_f64_e32 v[78:79], v[78:79], v[82:83]
	v_fma_f64 v[82:83], -v[76:77], v[78:79], 1.0
	v_fmac_f64_e32 v[78:79], v[78:79], v[82:83]
	v_mul_f64 v[82:83], v[80:81], v[78:79]
	v_fma_f64 v[76:77], -v[76:77], v[82:83], v[80:81]
	v_div_fmas_f64 v[76:77], v[76:77], v[78:79], v[82:83]
	v_div_fixup_f64 v[76:77], v[76:77], v[62:63], v[60:61]
	v_fmac_f64_e32 v[62:63], v[60:61], v[76:77]
	v_div_scale_f64 v[60:61], s[18:19], v[62:63], v[62:63], 1.0
	v_rcp_f64_e32 v[78:79], v[60:61]
	s_nop 0
	v_fma_f64 v[80:81], -v[60:61], v[78:79], 1.0
	v_fmac_f64_e32 v[78:79], v[78:79], v[80:81]
	v_fma_f64 v[80:81], -v[60:61], v[78:79], 1.0
	v_fmac_f64_e32 v[78:79], v[78:79], v[80:81]
	v_div_scale_f64 v[80:81], vcc, 1.0, v[62:63], 1.0
	v_mul_f64 v[82:83], v[80:81], v[78:79]
	v_fma_f64 v[60:61], -v[60:61], v[82:83], v[80:81]
	s_nop 1
	v_div_fmas_f64 v[60:61], v[60:61], v[78:79], v[82:83]
	v_div_fixup_f64 v[62:63], v[60:61], v[62:63], 1.0
	v_mul_f64 v[60:61], v[76:77], v[62:63]
	v_xor_b32_e32 v63, 0x80000000, v63
.LBB28_280:
	s_andn2_saveexec_b64 s[16:17], s[16:17]
	s_cbranch_execz .LBB28_282
; %bb.281:
	v_div_scale_f64 v[76:77], s[18:19], v[60:61], v[60:61], v[62:63]
	v_rcp_f64_e32 v[78:79], v[76:77]
	v_div_scale_f64 v[80:81], vcc, v[62:63], v[60:61], v[62:63]
	v_fma_f64 v[82:83], -v[76:77], v[78:79], 1.0
	v_fmac_f64_e32 v[78:79], v[78:79], v[82:83]
	v_fma_f64 v[82:83], -v[76:77], v[78:79], 1.0
	v_fmac_f64_e32 v[78:79], v[78:79], v[82:83]
	v_mul_f64 v[82:83], v[80:81], v[78:79]
	v_fma_f64 v[76:77], -v[76:77], v[82:83], v[80:81]
	v_div_fmas_f64 v[76:77], v[76:77], v[78:79], v[82:83]
	v_div_fixup_f64 v[76:77], v[76:77], v[60:61], v[62:63]
	v_fmac_f64_e32 v[60:61], v[62:63], v[76:77]
	v_div_scale_f64 v[62:63], s[18:19], v[60:61], v[60:61], 1.0
	v_rcp_f64_e32 v[78:79], v[62:63]
	s_nop 0
	v_fma_f64 v[80:81], -v[62:63], v[78:79], 1.0
	v_fmac_f64_e32 v[78:79], v[78:79], v[80:81]
	v_fma_f64 v[80:81], -v[62:63], v[78:79], 1.0
	v_fmac_f64_e32 v[78:79], v[78:79], v[80:81]
	v_div_scale_f64 v[80:81], vcc, 1.0, v[60:61], 1.0
	v_mul_f64 v[82:83], v[80:81], v[78:79]
	v_fma_f64 v[62:63], -v[62:63], v[82:83], v[80:81]
	s_nop 1
	v_div_fmas_f64 v[62:63], v[62:63], v[78:79], v[82:83]
	v_div_fixup_f64 v[60:61], v[62:63], v[60:61], 1.0
	v_mul_f64 v[62:63], v[76:77], -v[60:61]
.LBB28_282:
	s_or_b64 exec, exec, s[16:17]
.LBB28_283:
	s_or_b64 exec, exec, s[0:1]
	v_cmp_ne_u32_e32 vcc, v73, v70
	s_and_saveexec_b64 s[0:1], vcc
	s_xor_b64 s[0:1], exec, s[0:1]
	s_cbranch_execz .LBB28_289
; %bb.284:
	v_cmp_eq_u32_e32 vcc, 13, v73
	s_and_saveexec_b64 s[16:17], vcc
	s_cbranch_execz .LBB28_288
; %bb.285:
	v_cmp_ne_u32_e32 vcc, 13, v70
	s_xor_b64 s[18:19], s[14:15], -1
	s_and_b64 s[22:23], s[18:19], vcc
	s_and_saveexec_b64 s[18:19], s[22:23]
	s_cbranch_execz .LBB28_287
; %bb.286:
	v_ashrrev_i32_e32 v71, 31, v70
	v_lshl_add_u64 v[76:77], v[70:71], 2, v[68:69]
	global_load_dword v71, v[76:77], off
	global_load_dword v73, v[68:69], off offset:52
	s_waitcnt vmcnt(1)
	global_store_dword v[68:69], v71, off offset:52
	s_waitcnt vmcnt(1)
	global_store_dword v[76:77], v73, off
.LBB28_287:
	s_or_b64 exec, exec, s[18:19]
	v_mov_b32_e32 v73, v70
	v_mov_b32_e32 v74, v70
.LBB28_288:
	s_or_b64 exec, exec, s[16:17]
.LBB28_289:
	s_andn2_saveexec_b64 s[0:1], s[0:1]
	s_cbranch_execz .LBB28_291
; %bb.290:
	v_mov_b32_e32 v73, 13
	s_waitcnt vmcnt(0)
	ds_write2_b64 v72, v[56:57], v[58:59] offset0:28 offset1:29
.LBB28_291:
	s_or_b64 exec, exec, s[0:1]
	v_cmp_lt_i32_e32 vcc, 13, v73
	s_waitcnt lgkmcnt(0)
	s_barrier
	s_and_saveexec_b64 s[0:1], vcc
	s_cbranch_execz .LBB28_293
; %bb.292:
	ds_read2_b64 v[76:79], v72 offset0:28 offset1:29
	v_mul_f64 v[70:71], v[60:61], v[2:3]
	v_mul_f64 v[2:3], v[62:63], v[2:3]
	v_fmac_f64_e32 v[70:71], v[62:63], v[0:1]
	v_fma_f64 v[0:1], v[60:61], v[0:1], -v[2:3]
	s_waitcnt lgkmcnt(0)
	v_mul_f64 v[2:3], v[78:79], v[70:71]
	v_mul_f64 v[60:61], v[76:77], v[70:71]
	v_fma_f64 v[2:3], v[76:77], v[0:1], -v[2:3]
	v_fmac_f64_e32 v[60:61], v[78:79], v[0:1]
	s_waitcnt vmcnt(0)
	v_add_f64 v[56:57], v[56:57], -v[2:3]
	v_add_f64 v[58:59], v[58:59], -v[60:61]
	v_mov_b64_e32 v[2:3], v[70:71]
.LBB28_293:
	s_or_b64 exec, exec, s[0:1]
	v_lshl_add_u32 v60, v73, 4, v72
	s_barrier
	s_waitcnt vmcnt(0)
	ds_write2_b64 v60, v[56:57], v[58:59] offset1:1
	s_waitcnt lgkmcnt(0)
	s_barrier
	ds_read2_b64 v[60:63], v72 offset0:28 offset1:29
	s_cmp_lt_i32 s20, 16
	v_mov_b32_e32 v70, 14
	s_cbranch_scc1 .LBB28_296
; %bb.294:
	v_add_u32_e32 v71, 0xf0, v72
	s_mov_b32 s16, 15
	v_mov_b32_e32 v70, 14
.LBB28_295:                             ; =>This Inner Loop Header: Depth=1
	ds_read2_b64 v[76:79], v71 offset1:1
	s_waitcnt lgkmcnt(1)
	v_xor_b32_e32 v72, 0x80000000, v61
	v_xor_b32_e32 v83, 0x80000000, v63
	v_cmp_gt_f64_e32 vcc, 0, v[62:63]
	v_cmp_gt_f64_e64 s[0:1], 0, v[60:61]
	v_mov_b32_e32 v80, v60
	v_mov_b32_e32 v82, v62
	v_cndmask_b32_e64 v81, v61, v72, s[0:1]
	v_cndmask_b32_e32 v83, v63, v83, vcc
	s_waitcnt lgkmcnt(0)
	v_xor_b32_e32 v72, 0x80000000, v77
	v_xor_b32_e32 v85, 0x80000000, v79
	v_cmp_gt_f64_e32 vcc, 0, v[78:79]
	v_cmp_gt_f64_e64 s[0:1], 0, v[76:77]
	v_add_f64 v[80:81], v[80:81], v[82:83]
	v_mov_b32_e32 v82, v76
	v_mov_b32_e32 v84, v78
	v_cndmask_b32_e64 v83, v77, v72, s[0:1]
	v_cndmask_b32_e32 v85, v79, v85, vcc
	v_add_f64 v[82:83], v[82:83], v[84:85]
	v_mov_b32_e32 v86, s16
	s_add_i32 s16, s16, 1
	v_cmp_lt_f64_e32 vcc, v[80:81], v[82:83]
	v_add_u32_e32 v71, 16, v71
	s_cmp_lg_u32 s20, s16
	v_cndmask_b32_e32 v61, v61, v77, vcc
	v_cndmask_b32_e32 v60, v60, v76, vcc
	;; [unrolled: 1-line block ×5, first 2 shown]
	s_cbranch_scc1 .LBB28_295
.LBB28_296:
	s_waitcnt lgkmcnt(0)
	v_cmp_eq_f64_e32 vcc, 0, v[60:61]
	v_cmp_eq_f64_e64 s[0:1], 0, v[62:63]
	s_and_b64 s[0:1], vcc, s[0:1]
	s_and_saveexec_b64 s[16:17], s[0:1]
	s_xor_b64 s[0:1], exec, s[16:17]
; %bb.297:
	v_cmp_ne_u32_e32 vcc, 0, v75
	s_nop 1
	v_cndmask_b32_e32 v75, 15, v75, vcc
; %bb.298:
	s_andn2_saveexec_b64 s[0:1], s[0:1]
	s_cbranch_execz .LBB28_304
; %bb.299:
	v_cmp_ngt_f64_e64 s[16:17], |v[60:61]|, |v[62:63]|
	s_and_saveexec_b64 s[18:19], s[16:17]
	s_xor_b64 s[16:17], exec, s[18:19]
	s_cbranch_execz .LBB28_301
; %bb.300:
	v_div_scale_f64 v[76:77], s[18:19], v[62:63], v[62:63], v[60:61]
	v_rcp_f64_e32 v[78:79], v[76:77]
	v_div_scale_f64 v[80:81], vcc, v[60:61], v[62:63], v[60:61]
	v_fma_f64 v[82:83], -v[76:77], v[78:79], 1.0
	v_fmac_f64_e32 v[78:79], v[78:79], v[82:83]
	v_fma_f64 v[82:83], -v[76:77], v[78:79], 1.0
	v_fmac_f64_e32 v[78:79], v[78:79], v[82:83]
	v_mul_f64 v[82:83], v[80:81], v[78:79]
	v_fma_f64 v[76:77], -v[76:77], v[82:83], v[80:81]
	v_div_fmas_f64 v[76:77], v[76:77], v[78:79], v[82:83]
	v_div_fixup_f64 v[76:77], v[76:77], v[62:63], v[60:61]
	v_fmac_f64_e32 v[62:63], v[60:61], v[76:77]
	v_div_scale_f64 v[60:61], s[18:19], v[62:63], v[62:63], 1.0
	v_rcp_f64_e32 v[78:79], v[60:61]
	s_nop 0
	v_fma_f64 v[80:81], -v[60:61], v[78:79], 1.0
	v_fmac_f64_e32 v[78:79], v[78:79], v[80:81]
	v_fma_f64 v[80:81], -v[60:61], v[78:79], 1.0
	v_fmac_f64_e32 v[78:79], v[78:79], v[80:81]
	v_div_scale_f64 v[80:81], vcc, 1.0, v[62:63], 1.0
	v_mul_f64 v[82:83], v[80:81], v[78:79]
	v_fma_f64 v[60:61], -v[60:61], v[82:83], v[80:81]
	s_nop 1
	v_div_fmas_f64 v[60:61], v[60:61], v[78:79], v[82:83]
	v_div_fixup_f64 v[62:63], v[60:61], v[62:63], 1.0
	v_mul_f64 v[60:61], v[76:77], v[62:63]
	v_xor_b32_e32 v63, 0x80000000, v63
.LBB28_301:
	s_andn2_saveexec_b64 s[16:17], s[16:17]
	s_cbranch_execz .LBB28_303
; %bb.302:
	v_div_scale_f64 v[76:77], s[18:19], v[60:61], v[60:61], v[62:63]
	v_rcp_f64_e32 v[78:79], v[76:77]
	v_div_scale_f64 v[80:81], vcc, v[62:63], v[60:61], v[62:63]
	v_fma_f64 v[82:83], -v[76:77], v[78:79], 1.0
	v_fmac_f64_e32 v[78:79], v[78:79], v[82:83]
	v_fma_f64 v[82:83], -v[76:77], v[78:79], 1.0
	v_fmac_f64_e32 v[78:79], v[78:79], v[82:83]
	v_mul_f64 v[82:83], v[80:81], v[78:79]
	v_fma_f64 v[76:77], -v[76:77], v[82:83], v[80:81]
	v_div_fmas_f64 v[76:77], v[76:77], v[78:79], v[82:83]
	v_div_fixup_f64 v[76:77], v[76:77], v[60:61], v[62:63]
	v_fmac_f64_e32 v[60:61], v[62:63], v[76:77]
	v_div_scale_f64 v[62:63], s[18:19], v[60:61], v[60:61], 1.0
	v_rcp_f64_e32 v[78:79], v[62:63]
	s_nop 0
	v_fma_f64 v[80:81], -v[62:63], v[78:79], 1.0
	v_fmac_f64_e32 v[78:79], v[78:79], v[80:81]
	v_fma_f64 v[80:81], -v[62:63], v[78:79], 1.0
	v_fmac_f64_e32 v[78:79], v[78:79], v[80:81]
	v_div_scale_f64 v[80:81], vcc, 1.0, v[60:61], 1.0
	v_mul_f64 v[82:83], v[80:81], v[78:79]
	v_fma_f64 v[62:63], -v[62:63], v[82:83], v[80:81]
	s_nop 1
	v_div_fmas_f64 v[62:63], v[62:63], v[78:79], v[82:83]
	v_div_fixup_f64 v[60:61], v[62:63], v[60:61], 1.0
	v_mul_f64 v[62:63], v[76:77], -v[60:61]
.LBB28_303:
	s_or_b64 exec, exec, s[16:17]
.LBB28_304:
	s_or_b64 exec, exec, s[0:1]
	v_cmp_ne_u32_e32 vcc, v73, v70
	v_mov_b32_e32 v72, 14
	s_and_saveexec_b64 s[0:1], vcc
	s_cbranch_execz .LBB28_310
; %bb.305:
	v_cmp_eq_u32_e32 vcc, 14, v73
	s_and_saveexec_b64 s[16:17], vcc
	s_cbranch_execz .LBB28_309
; %bb.306:
	v_cmp_ne_u32_e32 vcc, 14, v70
	s_xor_b64 s[14:15], s[14:15], -1
	s_and_b64 s[18:19], s[14:15], vcc
	s_and_saveexec_b64 s[14:15], s[18:19]
	s_cbranch_execz .LBB28_308
; %bb.307:
	v_ashrrev_i32_e32 v71, 31, v70
	v_lshl_add_u64 v[72:73], v[70:71], 2, v[68:69]
	global_load_dword v71, v[72:73], off
	global_load_dword v74, v[68:69], off offset:56
	s_waitcnt vmcnt(1)
	global_store_dword v[68:69], v71, off offset:56
	s_waitcnt vmcnt(1)
	global_store_dword v[72:73], v74, off
.LBB28_308:
	s_or_b64 exec, exec, s[14:15]
	v_mov_b32_e32 v73, v70
	v_mov_b32_e32 v74, v70
.LBB28_309:
	s_or_b64 exec, exec, s[16:17]
	v_mov_b32_e32 v72, v73
.LBB28_310:
	s_or_b64 exec, exec, s[0:1]
	v_cmp_gt_i32_e32 vcc, 15, v72
	v_ashrrev_i32_e32 v73, 31, v72
	s_barrier
	s_barrier
	s_and_saveexec_b64 s[0:1], vcc
	s_cbranch_execz .LBB28_312
; %bb.311:
	v_mov_b32_e32 v68, s6
	v_mov_b32_e32 v69, s7
	v_mul_lo_u32 v76, s11, v66
	v_mul_lo_u32 v77, s10, v67
	v_mad_u64_u32 v[70:71], s[6:7], s10, v66, 0
	v_add3_u32 v71, v71, v77, v76
	v_lshl_add_u64 v[68:69], v[70:71], 2, v[68:69]
	v_lshl_add_u64 v[68:69], s[8:9], 2, v[68:69]
	;; [unrolled: 1-line block ×3, first 2 shown]
	v_add3_u32 v70, v74, s13, 1
	global_store_dword v[68:69], v70, off
.LBB28_312:
	s_or_b64 exec, exec, s[0:1]
	v_cmp_eq_u32_e32 vcc, 0, v72
	s_and_saveexec_b64 s[6:7], vcc
	s_cbranch_execz .LBB28_315
; %bb.313:
	v_mov_b32_e32 v68, s4
	v_mov_b32_e32 v69, s5
	v_lshl_add_u64 v[66:67], v[66:67], 2, v[68:69]
	global_load_dword v68, v[66:67], off
	v_cmp_ne_u32_e64 s[0:1], 0, v75
	s_waitcnt vmcnt(0)
	v_cmp_eq_u32_e32 vcc, 0, v68
	s_and_b64 s[0:1], vcc, s[0:1]
	s_and_b64 exec, exec, s[0:1]
	s_cbranch_execz .LBB28_315
; %bb.314:
	v_add_u32_e32 v68, s13, v75
	global_store_dword v[66:67], v68, off
.LBB28_315:
	s_or_b64 exec, exec, s[6:7]
	v_mul_f64 v[66:67], v[62:63], v[58:59]
	v_fma_f64 v[66:67], v[60:61], v[56:57], -v[66:67]
	v_mul_f64 v[60:61], v[60:61], v[58:59]
	v_fmac_f64_e32 v[60:61], v[62:63], v[56:57]
	v_cmp_lt_i32_e32 vcc, 14, v72
	s_nop 1
	v_cndmask_b32_e32 v59, v59, v61, vcc
	v_cndmask_b32_e32 v58, v58, v60, vcc
	v_lshl_add_u64 v[60:61], v[72:73], 4, v[64:65]
	global_store_dwordx4 v[60:61], v[52:55], off
	v_cndmask_b32_e32 v57, v57, v67, vcc
	v_cndmask_b32_e32 v56, v56, v66, vcc
	v_lshl_add_u64 v[52:53], s[2:3], 4, v[60:61]
	global_store_dwordx4 v[52:53], v[48:51], off
	s_nop 1
	v_add_u32_e32 v48, s12, v72
	v_ashrrev_i32_e32 v49, 31, v48
	v_lshl_add_u64 v[50:51], v[48:49], 4, v[64:65]
	global_store_dwordx4 v[50:51], v[44:47], off
	s_nop 1
	v_add_u32_e32 v44, s2, v48
	v_ashrrev_i32_e32 v45, 31, v44
	;; [unrolled: 5-line block ×3, first 2 shown]
	v_lshl_add_u64 v[38:39], v[36:37], 4, v[64:65]
	v_add_u32_e32 v36, s2, v36
	v_ashrrev_i32_e32 v37, 31, v36
	global_store_dwordx4 v[38:39], v[40:43], off
	v_lshl_add_u64 v[38:39], v[36:37], 4, v[64:65]
	global_store_dwordx4 v[38:39], v[32:35], off
	s_nop 1
	v_add_u32_e32 v32, s2, v36
	v_ashrrev_i32_e32 v33, 31, v32
	v_lshl_add_u64 v[34:35], v[32:33], 4, v[64:65]
	global_store_dwordx4 v[34:35], v[28:31], off
	s_nop 1
	v_add_u32_e32 v28, s2, v32
	v_ashrrev_i32_e32 v29, 31, v28
	;; [unrolled: 5-line block ×5, first 2 shown]
	v_lshl_add_u64 v[14:15], v[12:13], 4, v[64:65]
	v_add_u32_e32 v12, s2, v12
	v_ashrrev_i32_e32 v13, 31, v12
	global_store_dwordx4 v[14:15], v[16:19], off
	v_lshl_add_u64 v[14:15], v[12:13], 4, v[64:65]
	global_store_dwordx4 v[14:15], v[8:11], off
	s_nop 1
	v_add_u32_e32 v8, s2, v12
	v_ashrrev_i32_e32 v9, 31, v8
	v_lshl_add_u64 v[10:11], v[8:9], 4, v[64:65]
	global_store_dwordx4 v[10:11], v[4:7], off
	s_nop 1
	v_add_u32_e32 v4, s2, v8
	v_ashrrev_i32_e32 v5, 31, v4
	v_lshl_add_u64 v[6:7], v[4:5], 4, v[64:65]
	global_store_dwordx4 v[6:7], v[0:3], off
	s_nop 1
	v_add_u32_e32 v0, s2, v4
	v_ashrrev_i32_e32 v1, 31, v0
	v_lshl_add_u64 v[0:1], v[0:1], 4, v[64:65]
	global_store_dwordx4 v[0:1], v[56:59], off
.LBB28_316:
	s_endpgm
	.section	.rodata,"a",@progbits
	.p2align	6, 0x0
	.amdhsa_kernel _ZN9rocsolver6v33100L18getf2_small_kernelILi15E19rocblas_complex_numIdEiiPS3_EEvT1_T3_lS5_lPS5_llPT2_S5_S5_S7_l
		.amdhsa_group_segment_fixed_size 0
		.amdhsa_private_segment_fixed_size 0
		.amdhsa_kernarg_size 352
		.amdhsa_user_sgpr_count 2
		.amdhsa_user_sgpr_dispatch_ptr 0
		.amdhsa_user_sgpr_queue_ptr 0
		.amdhsa_user_sgpr_kernarg_segment_ptr 1
		.amdhsa_user_sgpr_dispatch_id 0
		.amdhsa_user_sgpr_kernarg_preload_length 0
		.amdhsa_user_sgpr_kernarg_preload_offset 0
		.amdhsa_user_sgpr_private_segment_size 0
		.amdhsa_uses_dynamic_stack 0
		.amdhsa_enable_private_segment 0
		.amdhsa_system_sgpr_workgroup_id_x 1
		.amdhsa_system_sgpr_workgroup_id_y 1
		.amdhsa_system_sgpr_workgroup_id_z 0
		.amdhsa_system_sgpr_workgroup_info 0
		.amdhsa_system_vgpr_workitem_id 1
		.amdhsa_next_free_vgpr 89
		.amdhsa_next_free_sgpr 24
		.amdhsa_accum_offset 92
		.amdhsa_reserve_vcc 1
		.amdhsa_float_round_mode_32 0
		.amdhsa_float_round_mode_16_64 0
		.amdhsa_float_denorm_mode_32 3
		.amdhsa_float_denorm_mode_16_64 3
		.amdhsa_dx10_clamp 1
		.amdhsa_ieee_mode 1
		.amdhsa_fp16_overflow 0
		.amdhsa_tg_split 0
		.amdhsa_exception_fp_ieee_invalid_op 0
		.amdhsa_exception_fp_denorm_src 0
		.amdhsa_exception_fp_ieee_div_zero 0
		.amdhsa_exception_fp_ieee_overflow 0
		.amdhsa_exception_fp_ieee_underflow 0
		.amdhsa_exception_fp_ieee_inexact 0
		.amdhsa_exception_int_div_zero 0
	.end_amdhsa_kernel
	.section	.text._ZN9rocsolver6v33100L18getf2_small_kernelILi15E19rocblas_complex_numIdEiiPS3_EEvT1_T3_lS5_lPS5_llPT2_S5_S5_S7_l,"axG",@progbits,_ZN9rocsolver6v33100L18getf2_small_kernelILi15E19rocblas_complex_numIdEiiPS3_EEvT1_T3_lS5_lPS5_llPT2_S5_S5_S7_l,comdat
.Lfunc_end28:
	.size	_ZN9rocsolver6v33100L18getf2_small_kernelILi15E19rocblas_complex_numIdEiiPS3_EEvT1_T3_lS5_lPS5_llPT2_S5_S5_S7_l, .Lfunc_end28-_ZN9rocsolver6v33100L18getf2_small_kernelILi15E19rocblas_complex_numIdEiiPS3_EEvT1_T3_lS5_lPS5_llPT2_S5_S5_S7_l
                                        ; -- End function
	.set _ZN9rocsolver6v33100L18getf2_small_kernelILi15E19rocblas_complex_numIdEiiPS3_EEvT1_T3_lS5_lPS5_llPT2_S5_S5_S7_l.num_vgpr, 89
	.set _ZN9rocsolver6v33100L18getf2_small_kernelILi15E19rocblas_complex_numIdEiiPS3_EEvT1_T3_lS5_lPS5_llPT2_S5_S5_S7_l.num_agpr, 0
	.set _ZN9rocsolver6v33100L18getf2_small_kernelILi15E19rocblas_complex_numIdEiiPS3_EEvT1_T3_lS5_lPS5_llPT2_S5_S5_S7_l.numbered_sgpr, 24
	.set _ZN9rocsolver6v33100L18getf2_small_kernelILi15E19rocblas_complex_numIdEiiPS3_EEvT1_T3_lS5_lPS5_llPT2_S5_S5_S7_l.num_named_barrier, 0
	.set _ZN9rocsolver6v33100L18getf2_small_kernelILi15E19rocblas_complex_numIdEiiPS3_EEvT1_T3_lS5_lPS5_llPT2_S5_S5_S7_l.private_seg_size, 0
	.set _ZN9rocsolver6v33100L18getf2_small_kernelILi15E19rocblas_complex_numIdEiiPS3_EEvT1_T3_lS5_lPS5_llPT2_S5_S5_S7_l.uses_vcc, 1
	.set _ZN9rocsolver6v33100L18getf2_small_kernelILi15E19rocblas_complex_numIdEiiPS3_EEvT1_T3_lS5_lPS5_llPT2_S5_S5_S7_l.uses_flat_scratch, 0
	.set _ZN9rocsolver6v33100L18getf2_small_kernelILi15E19rocblas_complex_numIdEiiPS3_EEvT1_T3_lS5_lPS5_llPT2_S5_S5_S7_l.has_dyn_sized_stack, 0
	.set _ZN9rocsolver6v33100L18getf2_small_kernelILi15E19rocblas_complex_numIdEiiPS3_EEvT1_T3_lS5_lPS5_llPT2_S5_S5_S7_l.has_recursion, 0
	.set _ZN9rocsolver6v33100L18getf2_small_kernelILi15E19rocblas_complex_numIdEiiPS3_EEvT1_T3_lS5_lPS5_llPT2_S5_S5_S7_l.has_indirect_call, 0
	.section	.AMDGPU.csdata,"",@progbits
; Kernel info:
; codeLenInByte = 21636
; TotalNumSgprs: 30
; NumVgprs: 89
; NumAgprs: 0
; TotalNumVgprs: 89
; ScratchSize: 0
; MemoryBound: 0
; FloatMode: 240
; IeeeMode: 1
; LDSByteSize: 0 bytes/workgroup (compile time only)
; SGPRBlocks: 3
; VGPRBlocks: 11
; NumSGPRsForWavesPerEU: 30
; NumVGPRsForWavesPerEU: 89
; AccumOffset: 92
; Occupancy: 5
; WaveLimiterHint : 0
; COMPUTE_PGM_RSRC2:SCRATCH_EN: 0
; COMPUTE_PGM_RSRC2:USER_SGPR: 2
; COMPUTE_PGM_RSRC2:TRAP_HANDLER: 0
; COMPUTE_PGM_RSRC2:TGID_X_EN: 1
; COMPUTE_PGM_RSRC2:TGID_Y_EN: 1
; COMPUTE_PGM_RSRC2:TGID_Z_EN: 0
; COMPUTE_PGM_RSRC2:TIDIG_COMP_CNT: 1
; COMPUTE_PGM_RSRC3_GFX90A:ACCUM_OFFSET: 22
; COMPUTE_PGM_RSRC3_GFX90A:TG_SPLIT: 0
	.section	.text._ZN9rocsolver6v33100L23getf2_npvt_small_kernelILi15E19rocblas_complex_numIdEiiPS3_EEvT1_T3_lS5_lPT2_S5_S5_,"axG",@progbits,_ZN9rocsolver6v33100L23getf2_npvt_small_kernelILi15E19rocblas_complex_numIdEiiPS3_EEvT1_T3_lS5_lPT2_S5_S5_,comdat
	.globl	_ZN9rocsolver6v33100L23getf2_npvt_small_kernelILi15E19rocblas_complex_numIdEiiPS3_EEvT1_T3_lS5_lPT2_S5_S5_ ; -- Begin function _ZN9rocsolver6v33100L23getf2_npvt_small_kernelILi15E19rocblas_complex_numIdEiiPS3_EEvT1_T3_lS5_lPT2_S5_S5_
	.p2align	8
	.type	_ZN9rocsolver6v33100L23getf2_npvt_small_kernelILi15E19rocblas_complex_numIdEiiPS3_EEvT1_T3_lS5_lPT2_S5_S5_,@function
_ZN9rocsolver6v33100L23getf2_npvt_small_kernelILi15E19rocblas_complex_numIdEiiPS3_EEvT1_T3_lS5_lPT2_S5_S5_: ; @_ZN9rocsolver6v33100L23getf2_npvt_small_kernelILi15E19rocblas_complex_numIdEiiPS3_EEvT1_T3_lS5_lPT2_S5_S5_
; %bb.0:
	s_load_dword s2, s[0:1], 0x44
	s_load_dwordx2 s[8:9], s[0:1], 0x30
	v_bfe_u32 v60, v0, 10, 10
	s_waitcnt lgkmcnt(0)
	s_lshr_b32 s10, s2, 16
	s_mul_i32 s3, s3, s10
	v_add_u32_e32 v142, s3, v60
	v_cmp_gt_i32_e32 vcc, s8, v142
	s_and_saveexec_b64 s[2:3], vcc
	s_cbranch_execz .LBB29_138
; %bb.1:
	s_load_dwordx4 s[12:15], s[0:1], 0x8
	s_load_dword s2, s[0:1], 0x18
	s_load_dwordx4 s[4:7], s[0:1], 0x20
	v_and_b32_e32 v152, 0x3ff, v0
	v_ashrrev_i32_e32 v143, 31, v142
	s_waitcnt lgkmcnt(0)
	v_mov_b32_e32 v2, s12
	v_mov_b32_e32 v3, s13
	v_mad_u64_u32 v[0:1], s[0:1], s4, v142, 0
	v_mul_lo_u32 v4, s5, v142
	v_mul_lo_u32 v5, s4, v143
	s_add_i32 s0, s2, s2
	v_add3_u32 v1, v1, v5, v4
	v_add_u32_e32 v8, s0, v152
	v_lshl_add_u64 v[0:1], v[0:1], 4, v[2:3]
	v_add_u32_e32 v16, s2, v8
	v_lshl_add_u64 v[24:25], s[14:15], 4, v[0:1]
	v_ashrrev_i32_e32 v17, 31, v16
	v_lshl_add_u64 v[126:127], v[16:17], 4, v[24:25]
	v_add_u32_e32 v16, s2, v16
	v_add_u32_e32 v26, s2, v16
	v_ashrrev_i32_e32 v27, 31, v26
	v_lshl_add_u64 v[130:131], v[26:27], 4, v[24:25]
	v_add_u32_e32 v26, s2, v26
	v_ashrrev_i32_e32 v27, 31, v26
	v_lshl_add_u64 v[132:133], v[26:27], 4, v[24:25]
	;; [unrolled: 3-line block ×8, first 2 shown]
	v_add_u32_e32 v26, s2, v26
	v_ashrrev_i32_e32 v27, 31, v26
	v_lshlrev_b32_e32 v0, 4, v152
	v_mov_b32_e32 v1, 0
	v_ashrrev_i32_e32 v9, 31, v8
	v_ashrrev_i32_e32 v17, 31, v16
	v_lshl_add_u64 v[148:149], v[26:27], 4, v[24:25]
	v_add_u32_e32 v26, s2, v26
	s_ashr_i32 s3, s2, 31
	v_lshl_add_u64 v[120:121], v[24:25], 0, v[0:1]
	v_lshl_add_u64 v[124:125], v[8:9], 4, v[24:25]
	;; [unrolled: 1-line block ×3, first 2 shown]
	v_ashrrev_i32_e32 v27, 31, v26
	v_lshl_add_u64 v[122:123], s[2:3], 4, v[120:121]
	global_load_dwordx4 v[4:7], v[120:121], off
	global_load_dwordx4 v[0:3], v[122:123], off
	;; [unrolled: 1-line block ×6, first 2 shown]
	v_lshl_add_u64 v[150:151], v[26:27], 4, v[24:25]
	global_load_dwordx4 v[52:55], v[132:133], off
	global_load_dwordx4 v[48:51], v[134:135], off
	global_load_dwordx4 v[44:47], v[136:137], off
	global_load_dwordx4 v[40:43], v[138:139], off
	global_load_dwordx4 v[36:39], v[140:141], off
	global_load_dwordx4 v[32:35], v[144:145], off
	global_load_dwordx4 v[28:31], v[146:147], off
	global_load_dwordx4 v[24:27], v[148:149], off
	global_load_dwordx4 v[56:59], v[150:151], off
	s_mulk_i32 s10, 0xf0
	s_movk_i32 s0, 0xf0
	s_add_i32 s1, s10, 0
	v_mad_u32_u24 v154, v60, s0, 0
	v_lshl_add_u32 v153, v60, 4, s1
	v_cmp_ne_u32_e64 s[2:3], 0, v152
	v_cmp_eq_u32_e64 s[0:1], 0, v152
	s_and_saveexec_b64 s[10:11], s[0:1]
	s_cbranch_execz .LBB29_8
; %bb.2:
	s_waitcnt vmcnt(14)
	ds_write2_b64 v153, v[4:5], v[6:7] offset1:1
	s_waitcnt vmcnt(13)
	ds_write2_b64 v154, v[0:1], v[2:3] offset0:2 offset1:3
	s_waitcnt vmcnt(12)
	ds_write2_b64 v154, v[12:13], v[14:15] offset0:4 offset1:5
	;; [unrolled: 2-line block ×14, first 2 shown]
	ds_read2_b64 v[60:63], v153 offset1:1
	s_waitcnt lgkmcnt(0)
	v_cmp_neq_f64_e32 vcc, 0, v[60:61]
	v_cmp_neq_f64_e64 s[4:5], 0, v[62:63]
	s_or_b64 s[4:5], vcc, s[4:5]
	s_and_b64 exec, exec, s[4:5]
	s_cbranch_execz .LBB29_8
; %bb.3:
	v_cmp_ngt_f64_e64 s[4:5], |v[60:61]|, |v[62:63]|
                                        ; implicit-def: $vgpr64_vgpr65
	s_and_saveexec_b64 s[12:13], s[4:5]
	s_xor_b64 s[4:5], exec, s[12:13]
                                        ; implicit-def: $vgpr66_vgpr67
	s_cbranch_execz .LBB29_5
; %bb.4:
	v_div_scale_f64 v[64:65], s[12:13], v[62:63], v[62:63], v[60:61]
	v_rcp_f64_e32 v[66:67], v[64:65]
	v_div_scale_f64 v[68:69], vcc, v[60:61], v[62:63], v[60:61]
	v_fma_f64 v[70:71], -v[64:65], v[66:67], 1.0
	v_fmac_f64_e32 v[66:67], v[66:67], v[70:71]
	v_fma_f64 v[70:71], -v[64:65], v[66:67], 1.0
	v_fmac_f64_e32 v[66:67], v[66:67], v[70:71]
	v_mul_f64 v[70:71], v[68:69], v[66:67]
	v_fma_f64 v[64:65], -v[64:65], v[70:71], v[68:69]
	v_div_fmas_f64 v[64:65], v[64:65], v[66:67], v[70:71]
	v_div_fixup_f64 v[64:65], v[64:65], v[62:63], v[60:61]
	v_fmac_f64_e32 v[62:63], v[60:61], v[64:65]
	v_div_scale_f64 v[60:61], s[12:13], v[62:63], v[62:63], 1.0
	v_rcp_f64_e32 v[66:67], v[60:61]
	s_nop 0
	v_fma_f64 v[68:69], -v[60:61], v[66:67], 1.0
	v_fmac_f64_e32 v[66:67], v[66:67], v[68:69]
	v_fma_f64 v[68:69], -v[60:61], v[66:67], 1.0
	v_fmac_f64_e32 v[66:67], v[66:67], v[68:69]
	v_div_scale_f64 v[68:69], vcc, 1.0, v[62:63], 1.0
	v_mul_f64 v[70:71], v[68:69], v[66:67]
	v_fma_f64 v[60:61], -v[60:61], v[70:71], v[68:69]
	s_nop 1
	v_div_fmas_f64 v[60:61], v[60:61], v[66:67], v[70:71]
	v_div_fixup_f64 v[66:67], v[60:61], v[62:63], 1.0
	v_mul_f64 v[64:65], v[64:65], v[66:67]
	v_xor_b32_e32 v67, 0x80000000, v67
                                        ; implicit-def: $vgpr60_vgpr61
.LBB29_5:
	s_andn2_saveexec_b64 s[4:5], s[4:5]
	s_cbranch_execz .LBB29_7
; %bb.6:
	v_div_scale_f64 v[64:65], s[12:13], v[60:61], v[60:61], v[62:63]
	v_rcp_f64_e32 v[66:67], v[64:65]
	v_div_scale_f64 v[68:69], vcc, v[62:63], v[60:61], v[62:63]
	v_fma_f64 v[70:71], -v[64:65], v[66:67], 1.0
	v_fmac_f64_e32 v[66:67], v[66:67], v[70:71]
	v_fma_f64 v[70:71], -v[64:65], v[66:67], 1.0
	v_fmac_f64_e32 v[66:67], v[66:67], v[70:71]
	v_mul_f64 v[70:71], v[68:69], v[66:67]
	v_fma_f64 v[64:65], -v[64:65], v[70:71], v[68:69]
	v_div_fmas_f64 v[64:65], v[64:65], v[66:67], v[70:71]
	v_div_fixup_f64 v[66:67], v[64:65], v[60:61], v[62:63]
	v_fmac_f64_e32 v[60:61], v[62:63], v[66:67]
	v_div_scale_f64 v[62:63], s[12:13], v[60:61], v[60:61], 1.0
	v_rcp_f64_e32 v[64:65], v[62:63]
	s_nop 0
	v_fma_f64 v[68:69], -v[62:63], v[64:65], 1.0
	v_fmac_f64_e32 v[64:65], v[64:65], v[68:69]
	v_fma_f64 v[68:69], -v[62:63], v[64:65], 1.0
	v_fmac_f64_e32 v[64:65], v[64:65], v[68:69]
	v_div_scale_f64 v[68:69], vcc, 1.0, v[60:61], 1.0
	v_mul_f64 v[70:71], v[68:69], v[64:65]
	v_fma_f64 v[62:63], -v[62:63], v[70:71], v[68:69]
	s_nop 1
	v_div_fmas_f64 v[62:63], v[62:63], v[64:65], v[70:71]
	v_div_fixup_f64 v[64:65], v[62:63], v[60:61], 1.0
	v_mul_f64 v[66:67], v[66:67], -v[64:65]
.LBB29_7:
	s_or_b64 exec, exec, s[4:5]
	ds_write2_b64 v153, v[64:65], v[66:67] offset1:1
.LBB29_8:
	s_or_b64 exec, exec, s[10:11]
	s_waitcnt lgkmcnt(0)
	s_barrier
	ds_read2_b64 v[60:63], v153 offset1:1
	s_and_saveexec_b64 s[4:5], s[2:3]
	s_cbranch_execz .LBB29_10
; %bb.9:
	ds_read2_b64 v[66:69], v154 offset0:2 offset1:3
	ds_read2_b64 v[70:73], v154 offset0:4 offset1:5
	s_waitcnt vmcnt(14) lgkmcnt(2)
	v_mul_f64 v[64:65], v[60:61], v[6:7]
	v_fmac_f64_e32 v[64:65], v[62:63], v[4:5]
	v_mul_f64 v[6:7], v[62:63], v[6:7]
	v_fma_f64 v[4:5], v[60:61], v[4:5], -v[6:7]
	s_waitcnt lgkmcnt(1)
	v_mul_f64 v[6:7], v[68:69], v[64:65]
	v_fma_f64 v[6:7], v[66:67], v[4:5], -v[6:7]
	v_mul_f64 v[66:67], v[66:67], v[64:65]
	v_fmac_f64_e32 v[66:67], v[68:69], v[4:5]
	s_waitcnt vmcnt(13)
	v_add_f64 v[0:1], v[0:1], -v[6:7]
	v_add_f64 v[2:3], v[2:3], -v[66:67]
	s_waitcnt lgkmcnt(0)
	v_mul_f64 v[6:7], v[72:73], v[64:65]
	ds_read2_b64 v[66:69], v154 offset0:6 offset1:7
	v_fma_f64 v[6:7], v[70:71], v[4:5], -v[6:7]
	v_mul_f64 v[70:71], v[70:71], v[64:65]
	v_fmac_f64_e32 v[70:71], v[72:73], v[4:5]
	s_waitcnt vmcnt(12)
	v_add_f64 v[14:15], v[14:15], -v[70:71]
	ds_read2_b64 v[70:73], v154 offset0:8 offset1:9
	v_add_f64 v[12:13], v[12:13], -v[6:7]
	s_waitcnt lgkmcnt(1)
	v_mul_f64 v[6:7], v[68:69], v[64:65]
	v_fma_f64 v[6:7], v[66:67], v[4:5], -v[6:7]
	v_mul_f64 v[66:67], v[66:67], v[64:65]
	v_fmac_f64_e32 v[66:67], v[68:69], v[4:5]
	s_waitcnt vmcnt(11)
	v_add_f64 v[8:9], v[8:9], -v[6:7]
	v_add_f64 v[10:11], v[10:11], -v[66:67]
	s_waitcnt lgkmcnt(0)
	v_mul_f64 v[6:7], v[72:73], v[64:65]
	ds_read2_b64 v[66:69], v154 offset0:10 offset1:11
	v_fma_f64 v[6:7], v[70:71], v[4:5], -v[6:7]
	v_mul_f64 v[70:71], v[70:71], v[64:65]
	v_fmac_f64_e32 v[70:71], v[72:73], v[4:5]
	s_waitcnt vmcnt(10)
	v_add_f64 v[22:23], v[22:23], -v[70:71]
	ds_read2_b64 v[70:73], v154 offset0:12 offset1:13
	v_add_f64 v[20:21], v[20:21], -v[6:7]
	;; [unrolled: 18-line block ×6, first 2 shown]
	s_waitcnt lgkmcnt(1)
	v_mul_f64 v[6:7], v[68:69], v[64:65]
	v_fma_f64 v[6:7], v[66:67], v[4:5], -v[6:7]
	v_mul_f64 v[66:67], v[66:67], v[64:65]
	v_fmac_f64_e32 v[66:67], v[68:69], v[4:5]
	s_waitcnt vmcnt(1)
	v_add_f64 v[24:25], v[24:25], -v[6:7]
	v_add_f64 v[26:27], v[26:27], -v[66:67]
	s_waitcnt lgkmcnt(0)
	v_mul_f64 v[6:7], v[72:73], v[64:65]
	v_mul_f64 v[66:67], v[70:71], v[64:65]
	v_fma_f64 v[6:7], v[70:71], v[4:5], -v[6:7]
	v_fmac_f64_e32 v[66:67], v[72:73], v[4:5]
	s_waitcnt vmcnt(0)
	v_add_f64 v[56:57], v[56:57], -v[6:7]
	v_add_f64 v[58:59], v[58:59], -v[66:67]
	v_mov_b64_e32 v[6:7], v[64:65]
.LBB29_10:
	s_or_b64 exec, exec, s[4:5]
	v_cmp_eq_u32_e32 vcc, 1, v152
	s_waitcnt lgkmcnt(0)
	s_barrier
	s_and_saveexec_b64 s[4:5], vcc
	s_cbranch_execz .LBB29_17
; %bb.11:
	s_waitcnt vmcnt(13)
	ds_write2_b64 v153, v[0:1], v[2:3] offset1:1
	s_waitcnt vmcnt(12)
	ds_write2_b64 v154, v[12:13], v[14:15] offset0:4 offset1:5
	s_waitcnt vmcnt(11)
	ds_write2_b64 v154, v[8:9], v[10:11] offset0:6 offset1:7
	;; [unrolled: 2-line block ×13, first 2 shown]
	ds_read2_b64 v[64:67], v153 offset1:1
	s_waitcnt lgkmcnt(0)
	v_cmp_neq_f64_e32 vcc, 0, v[64:65]
	v_cmp_neq_f64_e64 s[2:3], 0, v[66:67]
	s_or_b64 s[2:3], vcc, s[2:3]
	s_and_b64 exec, exec, s[2:3]
	s_cbranch_execz .LBB29_17
; %bb.12:
	v_cmp_ngt_f64_e64 s[2:3], |v[64:65]|, |v[66:67]|
                                        ; implicit-def: $vgpr68_vgpr69
	s_and_saveexec_b64 s[10:11], s[2:3]
	s_xor_b64 s[2:3], exec, s[10:11]
                                        ; implicit-def: $vgpr70_vgpr71
	s_cbranch_execz .LBB29_14
; %bb.13:
	v_div_scale_f64 v[68:69], s[10:11], v[66:67], v[66:67], v[64:65]
	v_rcp_f64_e32 v[70:71], v[68:69]
	v_div_scale_f64 v[72:73], vcc, v[64:65], v[66:67], v[64:65]
	v_fma_f64 v[74:75], -v[68:69], v[70:71], 1.0
	v_fmac_f64_e32 v[70:71], v[70:71], v[74:75]
	v_fma_f64 v[74:75], -v[68:69], v[70:71], 1.0
	v_fmac_f64_e32 v[70:71], v[70:71], v[74:75]
	v_mul_f64 v[74:75], v[72:73], v[70:71]
	v_fma_f64 v[68:69], -v[68:69], v[74:75], v[72:73]
	v_div_fmas_f64 v[68:69], v[68:69], v[70:71], v[74:75]
	v_div_fixup_f64 v[68:69], v[68:69], v[66:67], v[64:65]
	v_fmac_f64_e32 v[66:67], v[64:65], v[68:69]
	v_div_scale_f64 v[64:65], s[10:11], v[66:67], v[66:67], 1.0
	v_rcp_f64_e32 v[70:71], v[64:65]
	s_nop 0
	v_fma_f64 v[72:73], -v[64:65], v[70:71], 1.0
	v_fmac_f64_e32 v[70:71], v[70:71], v[72:73]
	v_fma_f64 v[72:73], -v[64:65], v[70:71], 1.0
	v_fmac_f64_e32 v[70:71], v[70:71], v[72:73]
	v_div_scale_f64 v[72:73], vcc, 1.0, v[66:67], 1.0
	v_mul_f64 v[74:75], v[72:73], v[70:71]
	v_fma_f64 v[64:65], -v[64:65], v[74:75], v[72:73]
	s_nop 1
	v_div_fmas_f64 v[64:65], v[64:65], v[70:71], v[74:75]
	v_div_fixup_f64 v[70:71], v[64:65], v[66:67], 1.0
	v_mul_f64 v[68:69], v[68:69], v[70:71]
	v_xor_b32_e32 v71, 0x80000000, v71
                                        ; implicit-def: $vgpr64_vgpr65
.LBB29_14:
	s_andn2_saveexec_b64 s[2:3], s[2:3]
	s_cbranch_execz .LBB29_16
; %bb.15:
	v_div_scale_f64 v[68:69], s[10:11], v[64:65], v[64:65], v[66:67]
	v_rcp_f64_e32 v[70:71], v[68:69]
	v_div_scale_f64 v[72:73], vcc, v[66:67], v[64:65], v[66:67]
	v_fma_f64 v[74:75], -v[68:69], v[70:71], 1.0
	v_fmac_f64_e32 v[70:71], v[70:71], v[74:75]
	v_fma_f64 v[74:75], -v[68:69], v[70:71], 1.0
	v_fmac_f64_e32 v[70:71], v[70:71], v[74:75]
	v_mul_f64 v[74:75], v[72:73], v[70:71]
	v_fma_f64 v[68:69], -v[68:69], v[74:75], v[72:73]
	v_div_fmas_f64 v[68:69], v[68:69], v[70:71], v[74:75]
	v_div_fixup_f64 v[70:71], v[68:69], v[64:65], v[66:67]
	v_fmac_f64_e32 v[64:65], v[66:67], v[70:71]
	v_div_scale_f64 v[66:67], s[10:11], v[64:65], v[64:65], 1.0
	v_rcp_f64_e32 v[68:69], v[66:67]
	s_nop 0
	v_fma_f64 v[72:73], -v[66:67], v[68:69], 1.0
	v_fmac_f64_e32 v[68:69], v[68:69], v[72:73]
	v_fma_f64 v[72:73], -v[66:67], v[68:69], 1.0
	v_fmac_f64_e32 v[68:69], v[68:69], v[72:73]
	v_div_scale_f64 v[72:73], vcc, 1.0, v[64:65], 1.0
	v_mul_f64 v[74:75], v[72:73], v[68:69]
	v_fma_f64 v[66:67], -v[66:67], v[74:75], v[72:73]
	s_nop 1
	v_div_fmas_f64 v[66:67], v[66:67], v[68:69], v[74:75]
	v_div_fixup_f64 v[68:69], v[66:67], v[64:65], 1.0
	v_mul_f64 v[70:71], v[70:71], -v[68:69]
.LBB29_16:
	s_or_b64 exec, exec, s[2:3]
	ds_write2_b64 v153, v[68:69], v[70:71] offset1:1
.LBB29_17:
	s_or_b64 exec, exec, s[4:5]
	s_waitcnt lgkmcnt(0)
	s_barrier
	ds_read2_b64 v[64:67], v153 offset1:1
	v_cmp_lt_u32_e32 vcc, 1, v152
	s_and_saveexec_b64 s[2:3], vcc
	s_cbranch_execz .LBB29_19
; %bb.18:
	ds_read2_b64 v[68:71], v154 offset0:4 offset1:5
	ds_read2_b64 v[72:75], v154 offset0:6 offset1:7
	s_waitcnt vmcnt(13) lgkmcnt(2)
	v_mul_f64 v[76:77], v[64:65], v[2:3]
	v_fmac_f64_e32 v[76:77], v[66:67], v[0:1]
	v_mul_f64 v[2:3], v[66:67], v[2:3]
	v_fma_f64 v[0:1], v[64:65], v[0:1], -v[2:3]
	s_waitcnt lgkmcnt(1)
	v_mul_f64 v[2:3], v[70:71], v[76:77]
	v_fma_f64 v[2:3], v[68:69], v[0:1], -v[2:3]
	v_mul_f64 v[68:69], v[68:69], v[76:77]
	v_fmac_f64_e32 v[68:69], v[70:71], v[0:1]
	s_waitcnt vmcnt(12)
	v_add_f64 v[14:15], v[14:15], -v[68:69]
	ds_read2_b64 v[68:71], v154 offset0:8 offset1:9
	v_add_f64 v[12:13], v[12:13], -v[2:3]
	s_waitcnt lgkmcnt(1)
	v_mul_f64 v[2:3], v[74:75], v[76:77]
	v_fma_f64 v[2:3], v[72:73], v[0:1], -v[2:3]
	v_mul_f64 v[72:73], v[72:73], v[76:77]
	v_fmac_f64_e32 v[72:73], v[74:75], v[0:1]
	s_waitcnt vmcnt(11)
	v_add_f64 v[8:9], v[8:9], -v[2:3]
	v_add_f64 v[10:11], v[10:11], -v[72:73]
	ds_read2_b64 v[72:75], v154 offset0:10 offset1:11
	s_waitcnt lgkmcnt(1)
	v_mul_f64 v[2:3], v[70:71], v[76:77]
	v_fma_f64 v[2:3], v[68:69], v[0:1], -v[2:3]
	v_mul_f64 v[68:69], v[68:69], v[76:77]
	v_fmac_f64_e32 v[68:69], v[70:71], v[0:1]
	s_waitcnt vmcnt(10)
	v_add_f64 v[22:23], v[22:23], -v[68:69]
	ds_read2_b64 v[68:71], v154 offset0:12 offset1:13
	v_add_f64 v[20:21], v[20:21], -v[2:3]
	s_waitcnt lgkmcnt(1)
	v_mul_f64 v[2:3], v[74:75], v[76:77]
	v_fma_f64 v[2:3], v[72:73], v[0:1], -v[2:3]
	v_mul_f64 v[72:73], v[72:73], v[76:77]
	v_fmac_f64_e32 v[72:73], v[74:75], v[0:1]
	s_waitcnt vmcnt(9)
	v_add_f64 v[16:17], v[16:17], -v[2:3]
	v_add_f64 v[18:19], v[18:19], -v[72:73]
	ds_read2_b64 v[72:75], v154 offset0:14 offset1:15
	;; [unrolled: 18-line block ×5, first 2 shown]
	s_waitcnt lgkmcnt(1)
	v_mul_f64 v[2:3], v[70:71], v[76:77]
	v_fma_f64 v[2:3], v[68:69], v[0:1], -v[2:3]
	v_mul_f64 v[68:69], v[68:69], v[76:77]
	v_fmac_f64_e32 v[68:69], v[70:71], v[0:1]
	s_waitcnt vmcnt(2)
	v_add_f64 v[30:31], v[30:31], -v[68:69]
	ds_read2_b64 v[68:71], v154 offset0:28 offset1:29
	v_add_f64 v[28:29], v[28:29], -v[2:3]
	s_waitcnt lgkmcnt(1)
	v_mul_f64 v[2:3], v[74:75], v[76:77]
	v_fma_f64 v[2:3], v[72:73], v[0:1], -v[2:3]
	s_waitcnt vmcnt(1)
	v_add_f64 v[24:25], v[24:25], -v[2:3]
	s_waitcnt lgkmcnt(0)
	v_mul_f64 v[2:3], v[70:71], v[76:77]
	v_mul_f64 v[72:73], v[72:73], v[76:77]
	v_fma_f64 v[2:3], v[68:69], v[0:1], -v[2:3]
	v_mul_f64 v[68:69], v[68:69], v[76:77]
	v_fmac_f64_e32 v[72:73], v[74:75], v[0:1]
	v_fmac_f64_e32 v[68:69], v[70:71], v[0:1]
	v_add_f64 v[26:27], v[26:27], -v[72:73]
	s_waitcnt vmcnt(0)
	v_add_f64 v[56:57], v[56:57], -v[2:3]
	v_add_f64 v[58:59], v[58:59], -v[68:69]
	v_mov_b64_e32 v[2:3], v[76:77]
.LBB29_19:
	s_or_b64 exec, exec, s[2:3]
	v_cmp_eq_u32_e32 vcc, 2, v152
	s_waitcnt lgkmcnt(0)
	s_barrier
	s_and_saveexec_b64 s[4:5], vcc
	s_cbranch_execz .LBB29_26
; %bb.20:
	s_waitcnt vmcnt(12)
	ds_write2_b64 v153, v[12:13], v[14:15] offset1:1
	s_waitcnt vmcnt(11)
	ds_write2_b64 v154, v[8:9], v[10:11] offset0:6 offset1:7
	s_waitcnt vmcnt(10)
	ds_write2_b64 v154, v[20:21], v[22:23] offset0:8 offset1:9
	s_waitcnt vmcnt(9)
	ds_write2_b64 v154, v[16:17], v[18:19] offset0:10 offset1:11
	s_waitcnt vmcnt(8)
	ds_write2_b64 v154, v[52:53], v[54:55] offset0:12 offset1:13
	s_waitcnt vmcnt(7)
	ds_write2_b64 v154, v[48:49], v[50:51] offset0:14 offset1:15
	s_waitcnt vmcnt(6)
	ds_write2_b64 v154, v[44:45], v[46:47] offset0:16 offset1:17
	s_waitcnt vmcnt(5)
	ds_write2_b64 v154, v[40:41], v[42:43] offset0:18 offset1:19
	s_waitcnt vmcnt(4)
	ds_write2_b64 v154, v[36:37], v[38:39] offset0:20 offset1:21
	s_waitcnt vmcnt(3)
	ds_write2_b64 v154, v[32:33], v[34:35] offset0:22 offset1:23
	s_waitcnt vmcnt(2)
	ds_write2_b64 v154, v[28:29], v[30:31] offset0:24 offset1:25
	s_waitcnt vmcnt(1)
	ds_write2_b64 v154, v[24:25], v[26:27] offset0:26 offset1:27
	s_waitcnt vmcnt(0)
	ds_write2_b64 v154, v[56:57], v[58:59] offset0:28 offset1:29
	ds_read2_b64 v[68:71], v153 offset1:1
	s_waitcnt lgkmcnt(0)
	v_cmp_neq_f64_e32 vcc, 0, v[68:69]
	v_cmp_neq_f64_e64 s[2:3], 0, v[70:71]
	s_or_b64 s[2:3], vcc, s[2:3]
	s_and_b64 exec, exec, s[2:3]
	s_cbranch_execz .LBB29_26
; %bb.21:
	v_cmp_ngt_f64_e64 s[2:3], |v[68:69]|, |v[70:71]|
                                        ; implicit-def: $vgpr72_vgpr73
	s_and_saveexec_b64 s[10:11], s[2:3]
	s_xor_b64 s[2:3], exec, s[10:11]
                                        ; implicit-def: $vgpr74_vgpr75
	s_cbranch_execz .LBB29_23
; %bb.22:
	v_div_scale_f64 v[72:73], s[10:11], v[70:71], v[70:71], v[68:69]
	v_rcp_f64_e32 v[74:75], v[72:73]
	v_div_scale_f64 v[76:77], vcc, v[68:69], v[70:71], v[68:69]
	v_fma_f64 v[78:79], -v[72:73], v[74:75], 1.0
	v_fmac_f64_e32 v[74:75], v[74:75], v[78:79]
	v_fma_f64 v[78:79], -v[72:73], v[74:75], 1.0
	v_fmac_f64_e32 v[74:75], v[74:75], v[78:79]
	v_mul_f64 v[78:79], v[76:77], v[74:75]
	v_fma_f64 v[72:73], -v[72:73], v[78:79], v[76:77]
	v_div_fmas_f64 v[72:73], v[72:73], v[74:75], v[78:79]
	v_div_fixup_f64 v[72:73], v[72:73], v[70:71], v[68:69]
	v_fmac_f64_e32 v[70:71], v[68:69], v[72:73]
	v_div_scale_f64 v[68:69], s[10:11], v[70:71], v[70:71], 1.0
	v_rcp_f64_e32 v[74:75], v[68:69]
	s_nop 0
	v_fma_f64 v[76:77], -v[68:69], v[74:75], 1.0
	v_fmac_f64_e32 v[74:75], v[74:75], v[76:77]
	v_fma_f64 v[76:77], -v[68:69], v[74:75], 1.0
	v_fmac_f64_e32 v[74:75], v[74:75], v[76:77]
	v_div_scale_f64 v[76:77], vcc, 1.0, v[70:71], 1.0
	v_mul_f64 v[78:79], v[76:77], v[74:75]
	v_fma_f64 v[68:69], -v[68:69], v[78:79], v[76:77]
	s_nop 1
	v_div_fmas_f64 v[68:69], v[68:69], v[74:75], v[78:79]
	v_div_fixup_f64 v[74:75], v[68:69], v[70:71], 1.0
	v_mul_f64 v[72:73], v[72:73], v[74:75]
	v_xor_b32_e32 v75, 0x80000000, v75
                                        ; implicit-def: $vgpr68_vgpr69
.LBB29_23:
	s_andn2_saveexec_b64 s[2:3], s[2:3]
	s_cbranch_execz .LBB29_25
; %bb.24:
	v_div_scale_f64 v[72:73], s[10:11], v[68:69], v[68:69], v[70:71]
	v_rcp_f64_e32 v[74:75], v[72:73]
	v_div_scale_f64 v[76:77], vcc, v[70:71], v[68:69], v[70:71]
	v_fma_f64 v[78:79], -v[72:73], v[74:75], 1.0
	v_fmac_f64_e32 v[74:75], v[74:75], v[78:79]
	v_fma_f64 v[78:79], -v[72:73], v[74:75], 1.0
	v_fmac_f64_e32 v[74:75], v[74:75], v[78:79]
	v_mul_f64 v[78:79], v[76:77], v[74:75]
	v_fma_f64 v[72:73], -v[72:73], v[78:79], v[76:77]
	v_div_fmas_f64 v[72:73], v[72:73], v[74:75], v[78:79]
	v_div_fixup_f64 v[74:75], v[72:73], v[68:69], v[70:71]
	v_fmac_f64_e32 v[68:69], v[70:71], v[74:75]
	v_div_scale_f64 v[70:71], s[10:11], v[68:69], v[68:69], 1.0
	v_rcp_f64_e32 v[72:73], v[70:71]
	s_nop 0
	v_fma_f64 v[76:77], -v[70:71], v[72:73], 1.0
	v_fmac_f64_e32 v[72:73], v[72:73], v[76:77]
	v_fma_f64 v[76:77], -v[70:71], v[72:73], 1.0
	v_fmac_f64_e32 v[72:73], v[72:73], v[76:77]
	v_div_scale_f64 v[76:77], vcc, 1.0, v[68:69], 1.0
	v_mul_f64 v[78:79], v[76:77], v[72:73]
	v_fma_f64 v[70:71], -v[70:71], v[78:79], v[76:77]
	s_nop 1
	v_div_fmas_f64 v[70:71], v[70:71], v[72:73], v[78:79]
	v_div_fixup_f64 v[72:73], v[70:71], v[68:69], 1.0
	v_mul_f64 v[74:75], v[74:75], -v[72:73]
.LBB29_25:
	s_or_b64 exec, exec, s[2:3]
	ds_write2_b64 v153, v[72:73], v[74:75] offset1:1
.LBB29_26:
	s_or_b64 exec, exec, s[4:5]
	s_waitcnt lgkmcnt(0)
	s_barrier
	ds_read2_b64 v[68:71], v153 offset1:1
	v_cmp_lt_u32_e32 vcc, 2, v152
	s_and_saveexec_b64 s[2:3], vcc
	s_cbranch_execz .LBB29_28
; %bb.27:
	ds_read2_b64 v[72:75], v154 offset0:6 offset1:7
	ds_read2_b64 v[76:79], v154 offset0:8 offset1:9
	s_waitcnt vmcnt(12) lgkmcnt(2)
	v_mul_f64 v[80:81], v[68:69], v[14:15]
	v_fmac_f64_e32 v[80:81], v[70:71], v[12:13]
	v_mul_f64 v[14:15], v[70:71], v[14:15]
	v_fma_f64 v[12:13], v[68:69], v[12:13], -v[14:15]
	s_waitcnt lgkmcnt(1)
	v_mul_f64 v[14:15], v[74:75], v[80:81]
	v_fma_f64 v[14:15], v[72:73], v[12:13], -v[14:15]
	v_mul_f64 v[72:73], v[72:73], v[80:81]
	v_fmac_f64_e32 v[72:73], v[74:75], v[12:13]
	s_waitcnt vmcnt(11)
	v_add_f64 v[8:9], v[8:9], -v[14:15]
	v_add_f64 v[10:11], v[10:11], -v[72:73]
	s_waitcnt lgkmcnt(0)
	v_mul_f64 v[14:15], v[78:79], v[80:81]
	ds_read2_b64 v[72:75], v154 offset0:10 offset1:11
	v_fma_f64 v[14:15], v[76:77], v[12:13], -v[14:15]
	v_mul_f64 v[76:77], v[76:77], v[80:81]
	v_fmac_f64_e32 v[76:77], v[78:79], v[12:13]
	s_waitcnt vmcnt(10)
	v_add_f64 v[22:23], v[22:23], -v[76:77]
	ds_read2_b64 v[76:79], v154 offset0:12 offset1:13
	v_add_f64 v[20:21], v[20:21], -v[14:15]
	s_waitcnt lgkmcnt(1)
	v_mul_f64 v[14:15], v[74:75], v[80:81]
	v_fma_f64 v[14:15], v[72:73], v[12:13], -v[14:15]
	v_mul_f64 v[72:73], v[72:73], v[80:81]
	v_fmac_f64_e32 v[72:73], v[74:75], v[12:13]
	s_waitcnt vmcnt(9)
	v_add_f64 v[16:17], v[16:17], -v[14:15]
	v_add_f64 v[18:19], v[18:19], -v[72:73]
	s_waitcnt lgkmcnt(0)
	v_mul_f64 v[14:15], v[78:79], v[80:81]
	ds_read2_b64 v[72:75], v154 offset0:14 offset1:15
	v_fma_f64 v[14:15], v[76:77], v[12:13], -v[14:15]
	v_mul_f64 v[76:77], v[76:77], v[80:81]
	v_fmac_f64_e32 v[76:77], v[78:79], v[12:13]
	s_waitcnt vmcnt(8)
	v_add_f64 v[54:55], v[54:55], -v[76:77]
	ds_read2_b64 v[76:79], v154 offset0:16 offset1:17
	v_add_f64 v[52:53], v[52:53], -v[14:15]
	;; [unrolled: 18-line block ×5, first 2 shown]
	s_waitcnt lgkmcnt(1)
	v_mul_f64 v[14:15], v[74:75], v[80:81]
	v_fma_f64 v[14:15], v[72:73], v[12:13], -v[14:15]
	v_mul_f64 v[72:73], v[72:73], v[80:81]
	v_fmac_f64_e32 v[72:73], v[74:75], v[12:13]
	s_waitcnt vmcnt(1)
	v_add_f64 v[24:25], v[24:25], -v[14:15]
	v_add_f64 v[26:27], v[26:27], -v[72:73]
	s_waitcnt lgkmcnt(0)
	v_mul_f64 v[14:15], v[78:79], v[80:81]
	v_mul_f64 v[72:73], v[76:77], v[80:81]
	v_fma_f64 v[14:15], v[76:77], v[12:13], -v[14:15]
	v_fmac_f64_e32 v[72:73], v[78:79], v[12:13]
	s_waitcnt vmcnt(0)
	v_add_f64 v[56:57], v[56:57], -v[14:15]
	v_add_f64 v[58:59], v[58:59], -v[72:73]
	v_mov_b64_e32 v[14:15], v[80:81]
.LBB29_28:
	s_or_b64 exec, exec, s[2:3]
	v_cmp_eq_u32_e32 vcc, 3, v152
	s_waitcnt lgkmcnt(0)
	s_barrier
	s_and_saveexec_b64 s[4:5], vcc
	s_cbranch_execz .LBB29_35
; %bb.29:
	s_waitcnt vmcnt(11)
	ds_write2_b64 v153, v[8:9], v[10:11] offset1:1
	s_waitcnt vmcnt(10)
	ds_write2_b64 v154, v[20:21], v[22:23] offset0:8 offset1:9
	s_waitcnt vmcnt(9)
	ds_write2_b64 v154, v[16:17], v[18:19] offset0:10 offset1:11
	s_waitcnt vmcnt(8)
	ds_write2_b64 v154, v[52:53], v[54:55] offset0:12 offset1:13
	s_waitcnt vmcnt(7)
	ds_write2_b64 v154, v[48:49], v[50:51] offset0:14 offset1:15
	s_waitcnt vmcnt(6)
	ds_write2_b64 v154, v[44:45], v[46:47] offset0:16 offset1:17
	s_waitcnt vmcnt(5)
	ds_write2_b64 v154, v[40:41], v[42:43] offset0:18 offset1:19
	s_waitcnt vmcnt(4)
	ds_write2_b64 v154, v[36:37], v[38:39] offset0:20 offset1:21
	s_waitcnt vmcnt(3)
	ds_write2_b64 v154, v[32:33], v[34:35] offset0:22 offset1:23
	s_waitcnt vmcnt(2)
	ds_write2_b64 v154, v[28:29], v[30:31] offset0:24 offset1:25
	s_waitcnt vmcnt(1)
	ds_write2_b64 v154, v[24:25], v[26:27] offset0:26 offset1:27
	s_waitcnt vmcnt(0)
	ds_write2_b64 v154, v[56:57], v[58:59] offset0:28 offset1:29
	ds_read2_b64 v[72:75], v153 offset1:1
	s_waitcnt lgkmcnt(0)
	v_cmp_neq_f64_e32 vcc, 0, v[72:73]
	v_cmp_neq_f64_e64 s[2:3], 0, v[74:75]
	s_or_b64 s[2:3], vcc, s[2:3]
	s_and_b64 exec, exec, s[2:3]
	s_cbranch_execz .LBB29_35
; %bb.30:
	v_cmp_ngt_f64_e64 s[2:3], |v[72:73]|, |v[74:75]|
                                        ; implicit-def: $vgpr76_vgpr77
	s_and_saveexec_b64 s[10:11], s[2:3]
	s_xor_b64 s[2:3], exec, s[10:11]
                                        ; implicit-def: $vgpr78_vgpr79
	s_cbranch_execz .LBB29_32
; %bb.31:
	v_div_scale_f64 v[76:77], s[10:11], v[74:75], v[74:75], v[72:73]
	v_rcp_f64_e32 v[78:79], v[76:77]
	v_div_scale_f64 v[80:81], vcc, v[72:73], v[74:75], v[72:73]
	v_fma_f64 v[82:83], -v[76:77], v[78:79], 1.0
	v_fmac_f64_e32 v[78:79], v[78:79], v[82:83]
	v_fma_f64 v[82:83], -v[76:77], v[78:79], 1.0
	v_fmac_f64_e32 v[78:79], v[78:79], v[82:83]
	v_mul_f64 v[82:83], v[80:81], v[78:79]
	v_fma_f64 v[76:77], -v[76:77], v[82:83], v[80:81]
	v_div_fmas_f64 v[76:77], v[76:77], v[78:79], v[82:83]
	v_div_fixup_f64 v[76:77], v[76:77], v[74:75], v[72:73]
	v_fmac_f64_e32 v[74:75], v[72:73], v[76:77]
	v_div_scale_f64 v[72:73], s[10:11], v[74:75], v[74:75], 1.0
	v_rcp_f64_e32 v[78:79], v[72:73]
	s_nop 0
	v_fma_f64 v[80:81], -v[72:73], v[78:79], 1.0
	v_fmac_f64_e32 v[78:79], v[78:79], v[80:81]
	v_fma_f64 v[80:81], -v[72:73], v[78:79], 1.0
	v_fmac_f64_e32 v[78:79], v[78:79], v[80:81]
	v_div_scale_f64 v[80:81], vcc, 1.0, v[74:75], 1.0
	v_mul_f64 v[82:83], v[80:81], v[78:79]
	v_fma_f64 v[72:73], -v[72:73], v[82:83], v[80:81]
	s_nop 1
	v_div_fmas_f64 v[72:73], v[72:73], v[78:79], v[82:83]
	v_div_fixup_f64 v[78:79], v[72:73], v[74:75], 1.0
	v_mul_f64 v[76:77], v[76:77], v[78:79]
	v_xor_b32_e32 v79, 0x80000000, v79
                                        ; implicit-def: $vgpr72_vgpr73
.LBB29_32:
	s_andn2_saveexec_b64 s[2:3], s[2:3]
	s_cbranch_execz .LBB29_34
; %bb.33:
	v_div_scale_f64 v[76:77], s[10:11], v[72:73], v[72:73], v[74:75]
	v_rcp_f64_e32 v[78:79], v[76:77]
	v_div_scale_f64 v[80:81], vcc, v[74:75], v[72:73], v[74:75]
	v_fma_f64 v[82:83], -v[76:77], v[78:79], 1.0
	v_fmac_f64_e32 v[78:79], v[78:79], v[82:83]
	v_fma_f64 v[82:83], -v[76:77], v[78:79], 1.0
	v_fmac_f64_e32 v[78:79], v[78:79], v[82:83]
	v_mul_f64 v[82:83], v[80:81], v[78:79]
	v_fma_f64 v[76:77], -v[76:77], v[82:83], v[80:81]
	v_div_fmas_f64 v[76:77], v[76:77], v[78:79], v[82:83]
	v_div_fixup_f64 v[78:79], v[76:77], v[72:73], v[74:75]
	v_fmac_f64_e32 v[72:73], v[74:75], v[78:79]
	v_div_scale_f64 v[74:75], s[10:11], v[72:73], v[72:73], 1.0
	v_rcp_f64_e32 v[76:77], v[74:75]
	s_nop 0
	v_fma_f64 v[80:81], -v[74:75], v[76:77], 1.0
	v_fmac_f64_e32 v[76:77], v[76:77], v[80:81]
	v_fma_f64 v[80:81], -v[74:75], v[76:77], 1.0
	v_fmac_f64_e32 v[76:77], v[76:77], v[80:81]
	v_div_scale_f64 v[80:81], vcc, 1.0, v[72:73], 1.0
	v_mul_f64 v[82:83], v[80:81], v[76:77]
	v_fma_f64 v[74:75], -v[74:75], v[82:83], v[80:81]
	s_nop 1
	v_div_fmas_f64 v[74:75], v[74:75], v[76:77], v[82:83]
	v_div_fixup_f64 v[76:77], v[74:75], v[72:73], 1.0
	v_mul_f64 v[78:79], v[78:79], -v[76:77]
.LBB29_34:
	s_or_b64 exec, exec, s[2:3]
	ds_write2_b64 v153, v[76:77], v[78:79] offset1:1
.LBB29_35:
	s_or_b64 exec, exec, s[4:5]
	s_waitcnt lgkmcnt(0)
	s_barrier
	ds_read2_b64 v[72:75], v153 offset1:1
	v_cmp_lt_u32_e32 vcc, 3, v152
	s_and_saveexec_b64 s[2:3], vcc
	s_cbranch_execz .LBB29_37
; %bb.36:
	ds_read2_b64 v[76:79], v154 offset0:8 offset1:9
	ds_read2_b64 v[80:83], v154 offset0:10 offset1:11
	s_waitcnt vmcnt(11) lgkmcnt(2)
	v_mul_f64 v[84:85], v[72:73], v[10:11]
	v_fmac_f64_e32 v[84:85], v[74:75], v[8:9]
	v_mul_f64 v[10:11], v[74:75], v[10:11]
	v_fma_f64 v[8:9], v[72:73], v[8:9], -v[10:11]
	s_waitcnt lgkmcnt(1)
	v_mul_f64 v[10:11], v[78:79], v[84:85]
	v_fma_f64 v[10:11], v[76:77], v[8:9], -v[10:11]
	v_mul_f64 v[76:77], v[76:77], v[84:85]
	v_fmac_f64_e32 v[76:77], v[78:79], v[8:9]
	s_waitcnt vmcnt(10)
	v_add_f64 v[22:23], v[22:23], -v[76:77]
	ds_read2_b64 v[76:79], v154 offset0:12 offset1:13
	v_add_f64 v[20:21], v[20:21], -v[10:11]
	s_waitcnt lgkmcnt(1)
	v_mul_f64 v[10:11], v[82:83], v[84:85]
	v_fma_f64 v[10:11], v[80:81], v[8:9], -v[10:11]
	v_mul_f64 v[80:81], v[80:81], v[84:85]
	v_fmac_f64_e32 v[80:81], v[82:83], v[8:9]
	s_waitcnt vmcnt(9)
	v_add_f64 v[16:17], v[16:17], -v[10:11]
	v_add_f64 v[18:19], v[18:19], -v[80:81]
	ds_read2_b64 v[80:83], v154 offset0:14 offset1:15
	s_waitcnt lgkmcnt(1)
	v_mul_f64 v[10:11], v[78:79], v[84:85]
	v_fma_f64 v[10:11], v[76:77], v[8:9], -v[10:11]
	v_mul_f64 v[76:77], v[76:77], v[84:85]
	v_fmac_f64_e32 v[76:77], v[78:79], v[8:9]
	s_waitcnt vmcnt(8)
	v_add_f64 v[54:55], v[54:55], -v[76:77]
	ds_read2_b64 v[76:79], v154 offset0:16 offset1:17
	v_add_f64 v[52:53], v[52:53], -v[10:11]
	s_waitcnt lgkmcnt(1)
	v_mul_f64 v[10:11], v[82:83], v[84:85]
	v_fma_f64 v[10:11], v[80:81], v[8:9], -v[10:11]
	v_mul_f64 v[80:81], v[80:81], v[84:85]
	v_fmac_f64_e32 v[80:81], v[82:83], v[8:9]
	s_waitcnt vmcnt(7)
	v_add_f64 v[48:49], v[48:49], -v[10:11]
	v_add_f64 v[50:51], v[50:51], -v[80:81]
	ds_read2_b64 v[80:83], v154 offset0:18 offset1:19
	;; [unrolled: 18-line block ×4, first 2 shown]
	s_waitcnt lgkmcnt(1)
	v_mul_f64 v[10:11], v[78:79], v[84:85]
	v_fma_f64 v[10:11], v[76:77], v[8:9], -v[10:11]
	v_mul_f64 v[76:77], v[76:77], v[84:85]
	v_fmac_f64_e32 v[76:77], v[78:79], v[8:9]
	s_waitcnt vmcnt(2)
	v_add_f64 v[30:31], v[30:31], -v[76:77]
	ds_read2_b64 v[76:79], v154 offset0:28 offset1:29
	v_add_f64 v[28:29], v[28:29], -v[10:11]
	s_waitcnt lgkmcnt(1)
	v_mul_f64 v[10:11], v[82:83], v[84:85]
	v_fma_f64 v[10:11], v[80:81], v[8:9], -v[10:11]
	s_waitcnt vmcnt(1)
	v_add_f64 v[24:25], v[24:25], -v[10:11]
	s_waitcnt lgkmcnt(0)
	v_mul_f64 v[10:11], v[78:79], v[84:85]
	v_mul_f64 v[80:81], v[80:81], v[84:85]
	v_fma_f64 v[10:11], v[76:77], v[8:9], -v[10:11]
	v_mul_f64 v[76:77], v[76:77], v[84:85]
	v_fmac_f64_e32 v[80:81], v[82:83], v[8:9]
	v_fmac_f64_e32 v[76:77], v[78:79], v[8:9]
	v_add_f64 v[26:27], v[26:27], -v[80:81]
	s_waitcnt vmcnt(0)
	v_add_f64 v[56:57], v[56:57], -v[10:11]
	v_add_f64 v[58:59], v[58:59], -v[76:77]
	v_mov_b64_e32 v[10:11], v[84:85]
.LBB29_37:
	s_or_b64 exec, exec, s[2:3]
	v_cmp_eq_u32_e32 vcc, 4, v152
	s_waitcnt lgkmcnt(0)
	s_barrier
	s_and_saveexec_b64 s[4:5], vcc
	s_cbranch_execz .LBB29_44
; %bb.38:
	s_waitcnt vmcnt(10)
	ds_write2_b64 v153, v[20:21], v[22:23] offset1:1
	s_waitcnt vmcnt(9)
	ds_write2_b64 v154, v[16:17], v[18:19] offset0:10 offset1:11
	s_waitcnt vmcnt(8)
	ds_write2_b64 v154, v[52:53], v[54:55] offset0:12 offset1:13
	;; [unrolled: 2-line block ×10, first 2 shown]
	ds_read2_b64 v[76:79], v153 offset1:1
	s_waitcnt lgkmcnt(0)
	v_cmp_neq_f64_e32 vcc, 0, v[76:77]
	v_cmp_neq_f64_e64 s[2:3], 0, v[78:79]
	s_or_b64 s[2:3], vcc, s[2:3]
	s_and_b64 exec, exec, s[2:3]
	s_cbranch_execz .LBB29_44
; %bb.39:
	v_cmp_ngt_f64_e64 s[2:3], |v[76:77]|, |v[78:79]|
                                        ; implicit-def: $vgpr80_vgpr81
	s_and_saveexec_b64 s[10:11], s[2:3]
	s_xor_b64 s[2:3], exec, s[10:11]
                                        ; implicit-def: $vgpr82_vgpr83
	s_cbranch_execz .LBB29_41
; %bb.40:
	v_div_scale_f64 v[80:81], s[10:11], v[78:79], v[78:79], v[76:77]
	v_rcp_f64_e32 v[82:83], v[80:81]
	v_div_scale_f64 v[84:85], vcc, v[76:77], v[78:79], v[76:77]
	v_fma_f64 v[86:87], -v[80:81], v[82:83], 1.0
	v_fmac_f64_e32 v[82:83], v[82:83], v[86:87]
	v_fma_f64 v[86:87], -v[80:81], v[82:83], 1.0
	v_fmac_f64_e32 v[82:83], v[82:83], v[86:87]
	v_mul_f64 v[86:87], v[84:85], v[82:83]
	v_fma_f64 v[80:81], -v[80:81], v[86:87], v[84:85]
	v_div_fmas_f64 v[80:81], v[80:81], v[82:83], v[86:87]
	v_div_fixup_f64 v[80:81], v[80:81], v[78:79], v[76:77]
	v_fmac_f64_e32 v[78:79], v[76:77], v[80:81]
	v_div_scale_f64 v[76:77], s[10:11], v[78:79], v[78:79], 1.0
	v_rcp_f64_e32 v[82:83], v[76:77]
	s_nop 0
	v_fma_f64 v[84:85], -v[76:77], v[82:83], 1.0
	v_fmac_f64_e32 v[82:83], v[82:83], v[84:85]
	v_fma_f64 v[84:85], -v[76:77], v[82:83], 1.0
	v_fmac_f64_e32 v[82:83], v[82:83], v[84:85]
	v_div_scale_f64 v[84:85], vcc, 1.0, v[78:79], 1.0
	v_mul_f64 v[86:87], v[84:85], v[82:83]
	v_fma_f64 v[76:77], -v[76:77], v[86:87], v[84:85]
	s_nop 1
	v_div_fmas_f64 v[76:77], v[76:77], v[82:83], v[86:87]
	v_div_fixup_f64 v[82:83], v[76:77], v[78:79], 1.0
	v_mul_f64 v[80:81], v[80:81], v[82:83]
	v_xor_b32_e32 v83, 0x80000000, v83
                                        ; implicit-def: $vgpr76_vgpr77
.LBB29_41:
	s_andn2_saveexec_b64 s[2:3], s[2:3]
	s_cbranch_execz .LBB29_43
; %bb.42:
	v_div_scale_f64 v[80:81], s[10:11], v[76:77], v[76:77], v[78:79]
	v_rcp_f64_e32 v[82:83], v[80:81]
	v_div_scale_f64 v[84:85], vcc, v[78:79], v[76:77], v[78:79]
	v_fma_f64 v[86:87], -v[80:81], v[82:83], 1.0
	v_fmac_f64_e32 v[82:83], v[82:83], v[86:87]
	v_fma_f64 v[86:87], -v[80:81], v[82:83], 1.0
	v_fmac_f64_e32 v[82:83], v[82:83], v[86:87]
	v_mul_f64 v[86:87], v[84:85], v[82:83]
	v_fma_f64 v[80:81], -v[80:81], v[86:87], v[84:85]
	v_div_fmas_f64 v[80:81], v[80:81], v[82:83], v[86:87]
	v_div_fixup_f64 v[82:83], v[80:81], v[76:77], v[78:79]
	v_fmac_f64_e32 v[76:77], v[78:79], v[82:83]
	v_div_scale_f64 v[78:79], s[10:11], v[76:77], v[76:77], 1.0
	v_rcp_f64_e32 v[80:81], v[78:79]
	s_nop 0
	v_fma_f64 v[84:85], -v[78:79], v[80:81], 1.0
	v_fmac_f64_e32 v[80:81], v[80:81], v[84:85]
	v_fma_f64 v[84:85], -v[78:79], v[80:81], 1.0
	v_fmac_f64_e32 v[80:81], v[80:81], v[84:85]
	v_div_scale_f64 v[84:85], vcc, 1.0, v[76:77], 1.0
	v_mul_f64 v[86:87], v[84:85], v[80:81]
	v_fma_f64 v[78:79], -v[78:79], v[86:87], v[84:85]
	s_nop 1
	v_div_fmas_f64 v[78:79], v[78:79], v[80:81], v[86:87]
	v_div_fixup_f64 v[80:81], v[78:79], v[76:77], 1.0
	v_mul_f64 v[82:83], v[82:83], -v[80:81]
.LBB29_43:
	s_or_b64 exec, exec, s[2:3]
	ds_write2_b64 v153, v[80:81], v[82:83] offset1:1
.LBB29_44:
	s_or_b64 exec, exec, s[4:5]
	s_waitcnt lgkmcnt(0)
	s_barrier
	ds_read2_b64 v[76:79], v153 offset1:1
	v_cmp_lt_u32_e32 vcc, 4, v152
	s_and_saveexec_b64 s[2:3], vcc
	s_cbranch_execz .LBB29_46
; %bb.45:
	ds_read2_b64 v[80:83], v154 offset0:10 offset1:11
	ds_read2_b64 v[84:87], v154 offset0:12 offset1:13
	s_waitcnt vmcnt(10) lgkmcnt(2)
	v_mul_f64 v[88:89], v[76:77], v[22:23]
	v_fmac_f64_e32 v[88:89], v[78:79], v[20:21]
	v_mul_f64 v[22:23], v[78:79], v[22:23]
	v_fma_f64 v[20:21], v[76:77], v[20:21], -v[22:23]
	s_waitcnt lgkmcnt(1)
	v_mul_f64 v[22:23], v[82:83], v[88:89]
	v_fma_f64 v[22:23], v[80:81], v[20:21], -v[22:23]
	v_mul_f64 v[80:81], v[80:81], v[88:89]
	v_fmac_f64_e32 v[80:81], v[82:83], v[20:21]
	s_waitcnt vmcnt(9)
	v_add_f64 v[16:17], v[16:17], -v[22:23]
	v_add_f64 v[18:19], v[18:19], -v[80:81]
	s_waitcnt lgkmcnt(0)
	v_mul_f64 v[22:23], v[86:87], v[88:89]
	ds_read2_b64 v[80:83], v154 offset0:14 offset1:15
	v_fma_f64 v[22:23], v[84:85], v[20:21], -v[22:23]
	v_mul_f64 v[84:85], v[84:85], v[88:89]
	v_fmac_f64_e32 v[84:85], v[86:87], v[20:21]
	s_waitcnt vmcnt(8)
	v_add_f64 v[54:55], v[54:55], -v[84:85]
	ds_read2_b64 v[84:87], v154 offset0:16 offset1:17
	v_add_f64 v[52:53], v[52:53], -v[22:23]
	s_waitcnt lgkmcnt(1)
	v_mul_f64 v[22:23], v[82:83], v[88:89]
	v_fma_f64 v[22:23], v[80:81], v[20:21], -v[22:23]
	v_mul_f64 v[80:81], v[80:81], v[88:89]
	v_fmac_f64_e32 v[80:81], v[82:83], v[20:21]
	s_waitcnt vmcnt(7)
	v_add_f64 v[48:49], v[48:49], -v[22:23]
	v_add_f64 v[50:51], v[50:51], -v[80:81]
	s_waitcnt lgkmcnt(0)
	v_mul_f64 v[22:23], v[86:87], v[88:89]
	ds_read2_b64 v[80:83], v154 offset0:18 offset1:19
	v_fma_f64 v[22:23], v[84:85], v[20:21], -v[22:23]
	v_mul_f64 v[84:85], v[84:85], v[88:89]
	v_fmac_f64_e32 v[84:85], v[86:87], v[20:21]
	s_waitcnt vmcnt(6)
	v_add_f64 v[46:47], v[46:47], -v[84:85]
	ds_read2_b64 v[84:87], v154 offset0:20 offset1:21
	v_add_f64 v[44:45], v[44:45], -v[22:23]
	;; [unrolled: 18-line block ×4, first 2 shown]
	s_waitcnt lgkmcnt(1)
	v_mul_f64 v[22:23], v[82:83], v[88:89]
	v_fma_f64 v[22:23], v[80:81], v[20:21], -v[22:23]
	v_mul_f64 v[80:81], v[80:81], v[88:89]
	v_fmac_f64_e32 v[80:81], v[82:83], v[20:21]
	s_waitcnt vmcnt(1)
	v_add_f64 v[24:25], v[24:25], -v[22:23]
	v_add_f64 v[26:27], v[26:27], -v[80:81]
	s_waitcnt lgkmcnt(0)
	v_mul_f64 v[22:23], v[86:87], v[88:89]
	v_mul_f64 v[80:81], v[84:85], v[88:89]
	v_fma_f64 v[22:23], v[84:85], v[20:21], -v[22:23]
	v_fmac_f64_e32 v[80:81], v[86:87], v[20:21]
	s_waitcnt vmcnt(0)
	v_add_f64 v[56:57], v[56:57], -v[22:23]
	v_add_f64 v[58:59], v[58:59], -v[80:81]
	v_mov_b64_e32 v[22:23], v[88:89]
.LBB29_46:
	s_or_b64 exec, exec, s[2:3]
	v_cmp_eq_u32_e32 vcc, 5, v152
	s_waitcnt lgkmcnt(0)
	s_barrier
	s_and_saveexec_b64 s[4:5], vcc
	s_cbranch_execz .LBB29_53
; %bb.47:
	s_waitcnt vmcnt(9)
	ds_write2_b64 v153, v[16:17], v[18:19] offset1:1
	s_waitcnt vmcnt(8)
	ds_write2_b64 v154, v[52:53], v[54:55] offset0:12 offset1:13
	s_waitcnt vmcnt(7)
	ds_write2_b64 v154, v[48:49], v[50:51] offset0:14 offset1:15
	;; [unrolled: 2-line block ×9, first 2 shown]
	ds_read2_b64 v[80:83], v153 offset1:1
	s_waitcnt lgkmcnt(0)
	v_cmp_neq_f64_e32 vcc, 0, v[80:81]
	v_cmp_neq_f64_e64 s[2:3], 0, v[82:83]
	s_or_b64 s[2:3], vcc, s[2:3]
	s_and_b64 exec, exec, s[2:3]
	s_cbranch_execz .LBB29_53
; %bb.48:
	v_cmp_ngt_f64_e64 s[2:3], |v[80:81]|, |v[82:83]|
                                        ; implicit-def: $vgpr84_vgpr85
	s_and_saveexec_b64 s[10:11], s[2:3]
	s_xor_b64 s[2:3], exec, s[10:11]
                                        ; implicit-def: $vgpr86_vgpr87
	s_cbranch_execz .LBB29_50
; %bb.49:
	v_div_scale_f64 v[84:85], s[10:11], v[82:83], v[82:83], v[80:81]
	v_rcp_f64_e32 v[86:87], v[84:85]
	v_div_scale_f64 v[88:89], vcc, v[80:81], v[82:83], v[80:81]
	v_fma_f64 v[90:91], -v[84:85], v[86:87], 1.0
	v_fmac_f64_e32 v[86:87], v[86:87], v[90:91]
	v_fma_f64 v[90:91], -v[84:85], v[86:87], 1.0
	v_fmac_f64_e32 v[86:87], v[86:87], v[90:91]
	v_mul_f64 v[90:91], v[88:89], v[86:87]
	v_fma_f64 v[84:85], -v[84:85], v[90:91], v[88:89]
	v_div_fmas_f64 v[84:85], v[84:85], v[86:87], v[90:91]
	v_div_fixup_f64 v[84:85], v[84:85], v[82:83], v[80:81]
	v_fmac_f64_e32 v[82:83], v[80:81], v[84:85]
	v_div_scale_f64 v[80:81], s[10:11], v[82:83], v[82:83], 1.0
	v_rcp_f64_e32 v[86:87], v[80:81]
	s_nop 0
	v_fma_f64 v[88:89], -v[80:81], v[86:87], 1.0
	v_fmac_f64_e32 v[86:87], v[86:87], v[88:89]
	v_fma_f64 v[88:89], -v[80:81], v[86:87], 1.0
	v_fmac_f64_e32 v[86:87], v[86:87], v[88:89]
	v_div_scale_f64 v[88:89], vcc, 1.0, v[82:83], 1.0
	v_mul_f64 v[90:91], v[88:89], v[86:87]
	v_fma_f64 v[80:81], -v[80:81], v[90:91], v[88:89]
	s_nop 1
	v_div_fmas_f64 v[80:81], v[80:81], v[86:87], v[90:91]
	v_div_fixup_f64 v[86:87], v[80:81], v[82:83], 1.0
	v_mul_f64 v[84:85], v[84:85], v[86:87]
	v_xor_b32_e32 v87, 0x80000000, v87
                                        ; implicit-def: $vgpr80_vgpr81
.LBB29_50:
	s_andn2_saveexec_b64 s[2:3], s[2:3]
	s_cbranch_execz .LBB29_52
; %bb.51:
	v_div_scale_f64 v[84:85], s[10:11], v[80:81], v[80:81], v[82:83]
	v_rcp_f64_e32 v[86:87], v[84:85]
	v_div_scale_f64 v[88:89], vcc, v[82:83], v[80:81], v[82:83]
	v_fma_f64 v[90:91], -v[84:85], v[86:87], 1.0
	v_fmac_f64_e32 v[86:87], v[86:87], v[90:91]
	v_fma_f64 v[90:91], -v[84:85], v[86:87], 1.0
	v_fmac_f64_e32 v[86:87], v[86:87], v[90:91]
	v_mul_f64 v[90:91], v[88:89], v[86:87]
	v_fma_f64 v[84:85], -v[84:85], v[90:91], v[88:89]
	v_div_fmas_f64 v[84:85], v[84:85], v[86:87], v[90:91]
	v_div_fixup_f64 v[86:87], v[84:85], v[80:81], v[82:83]
	v_fmac_f64_e32 v[80:81], v[82:83], v[86:87]
	v_div_scale_f64 v[82:83], s[10:11], v[80:81], v[80:81], 1.0
	v_rcp_f64_e32 v[84:85], v[82:83]
	s_nop 0
	v_fma_f64 v[88:89], -v[82:83], v[84:85], 1.0
	v_fmac_f64_e32 v[84:85], v[84:85], v[88:89]
	v_fma_f64 v[88:89], -v[82:83], v[84:85], 1.0
	v_fmac_f64_e32 v[84:85], v[84:85], v[88:89]
	v_div_scale_f64 v[88:89], vcc, 1.0, v[80:81], 1.0
	v_mul_f64 v[90:91], v[88:89], v[84:85]
	v_fma_f64 v[82:83], -v[82:83], v[90:91], v[88:89]
	s_nop 1
	v_div_fmas_f64 v[82:83], v[82:83], v[84:85], v[90:91]
	v_div_fixup_f64 v[84:85], v[82:83], v[80:81], 1.0
	v_mul_f64 v[86:87], v[86:87], -v[84:85]
.LBB29_52:
	s_or_b64 exec, exec, s[2:3]
	ds_write2_b64 v153, v[84:85], v[86:87] offset1:1
.LBB29_53:
	s_or_b64 exec, exec, s[4:5]
	s_waitcnt lgkmcnt(0)
	s_barrier
	ds_read2_b64 v[80:83], v153 offset1:1
	v_cmp_lt_u32_e32 vcc, 5, v152
	s_and_saveexec_b64 s[2:3], vcc
	s_cbranch_execz .LBB29_55
; %bb.54:
	ds_read2_b64 v[84:87], v154 offset0:12 offset1:13
	ds_read2_b64 v[88:91], v154 offset0:14 offset1:15
	s_waitcnt vmcnt(9) lgkmcnt(2)
	v_mul_f64 v[92:93], v[80:81], v[18:19]
	v_fmac_f64_e32 v[92:93], v[82:83], v[16:17]
	v_mul_f64 v[18:19], v[82:83], v[18:19]
	v_fma_f64 v[16:17], v[80:81], v[16:17], -v[18:19]
	s_waitcnt lgkmcnt(1)
	v_mul_f64 v[18:19], v[86:87], v[92:93]
	v_fma_f64 v[18:19], v[84:85], v[16:17], -v[18:19]
	v_mul_f64 v[84:85], v[84:85], v[92:93]
	v_fmac_f64_e32 v[84:85], v[86:87], v[16:17]
	s_waitcnt vmcnt(8)
	v_add_f64 v[54:55], v[54:55], -v[84:85]
	ds_read2_b64 v[84:87], v154 offset0:16 offset1:17
	v_add_f64 v[52:53], v[52:53], -v[18:19]
	s_waitcnt lgkmcnt(1)
	v_mul_f64 v[18:19], v[90:91], v[92:93]
	v_fma_f64 v[18:19], v[88:89], v[16:17], -v[18:19]
	v_mul_f64 v[88:89], v[88:89], v[92:93]
	v_fmac_f64_e32 v[88:89], v[90:91], v[16:17]
	s_waitcnt vmcnt(7)
	v_add_f64 v[48:49], v[48:49], -v[18:19]
	v_add_f64 v[50:51], v[50:51], -v[88:89]
	ds_read2_b64 v[88:91], v154 offset0:18 offset1:19
	s_waitcnt lgkmcnt(1)
	v_mul_f64 v[18:19], v[86:87], v[92:93]
	v_fma_f64 v[18:19], v[84:85], v[16:17], -v[18:19]
	v_mul_f64 v[84:85], v[84:85], v[92:93]
	v_fmac_f64_e32 v[84:85], v[86:87], v[16:17]
	s_waitcnt vmcnt(6)
	v_add_f64 v[46:47], v[46:47], -v[84:85]
	ds_read2_b64 v[84:87], v154 offset0:20 offset1:21
	v_add_f64 v[44:45], v[44:45], -v[18:19]
	s_waitcnt lgkmcnt(1)
	v_mul_f64 v[18:19], v[90:91], v[92:93]
	v_fma_f64 v[18:19], v[88:89], v[16:17], -v[18:19]
	v_mul_f64 v[88:89], v[88:89], v[92:93]
	v_fmac_f64_e32 v[88:89], v[90:91], v[16:17]
	s_waitcnt vmcnt(5)
	v_add_f64 v[40:41], v[40:41], -v[18:19]
	v_add_f64 v[42:43], v[42:43], -v[88:89]
	ds_read2_b64 v[88:91], v154 offset0:22 offset1:23
	;; [unrolled: 18-line block ×3, first 2 shown]
	s_waitcnt lgkmcnt(1)
	v_mul_f64 v[18:19], v[86:87], v[92:93]
	v_fma_f64 v[18:19], v[84:85], v[16:17], -v[18:19]
	v_mul_f64 v[84:85], v[84:85], v[92:93]
	v_fmac_f64_e32 v[84:85], v[86:87], v[16:17]
	s_waitcnt vmcnt(2)
	v_add_f64 v[30:31], v[30:31], -v[84:85]
	ds_read2_b64 v[84:87], v154 offset0:28 offset1:29
	v_add_f64 v[28:29], v[28:29], -v[18:19]
	s_waitcnt lgkmcnt(1)
	v_mul_f64 v[18:19], v[90:91], v[92:93]
	v_fma_f64 v[18:19], v[88:89], v[16:17], -v[18:19]
	s_waitcnt vmcnt(1)
	v_add_f64 v[24:25], v[24:25], -v[18:19]
	s_waitcnt lgkmcnt(0)
	v_mul_f64 v[18:19], v[86:87], v[92:93]
	v_mul_f64 v[88:89], v[88:89], v[92:93]
	v_fma_f64 v[18:19], v[84:85], v[16:17], -v[18:19]
	v_mul_f64 v[84:85], v[84:85], v[92:93]
	v_fmac_f64_e32 v[88:89], v[90:91], v[16:17]
	v_fmac_f64_e32 v[84:85], v[86:87], v[16:17]
	v_add_f64 v[26:27], v[26:27], -v[88:89]
	s_waitcnt vmcnt(0)
	v_add_f64 v[56:57], v[56:57], -v[18:19]
	v_add_f64 v[58:59], v[58:59], -v[84:85]
	v_mov_b64_e32 v[18:19], v[92:93]
.LBB29_55:
	s_or_b64 exec, exec, s[2:3]
	v_cmp_eq_u32_e32 vcc, 6, v152
	s_waitcnt lgkmcnt(0)
	s_barrier
	s_and_saveexec_b64 s[4:5], vcc
	s_cbranch_execz .LBB29_62
; %bb.56:
	s_waitcnt vmcnt(8)
	ds_write2_b64 v153, v[52:53], v[54:55] offset1:1
	s_waitcnt vmcnt(7)
	ds_write2_b64 v154, v[48:49], v[50:51] offset0:14 offset1:15
	s_waitcnt vmcnt(6)
	ds_write2_b64 v154, v[44:45], v[46:47] offset0:16 offset1:17
	;; [unrolled: 2-line block ×8, first 2 shown]
	ds_read2_b64 v[84:87], v153 offset1:1
	s_waitcnt lgkmcnt(0)
	v_cmp_neq_f64_e32 vcc, 0, v[84:85]
	v_cmp_neq_f64_e64 s[2:3], 0, v[86:87]
	s_or_b64 s[2:3], vcc, s[2:3]
	s_and_b64 exec, exec, s[2:3]
	s_cbranch_execz .LBB29_62
; %bb.57:
	v_cmp_ngt_f64_e64 s[2:3], |v[84:85]|, |v[86:87]|
                                        ; implicit-def: $vgpr88_vgpr89
	s_and_saveexec_b64 s[10:11], s[2:3]
	s_xor_b64 s[2:3], exec, s[10:11]
                                        ; implicit-def: $vgpr90_vgpr91
	s_cbranch_execz .LBB29_59
; %bb.58:
	v_div_scale_f64 v[88:89], s[10:11], v[86:87], v[86:87], v[84:85]
	v_rcp_f64_e32 v[90:91], v[88:89]
	v_div_scale_f64 v[92:93], vcc, v[84:85], v[86:87], v[84:85]
	v_fma_f64 v[94:95], -v[88:89], v[90:91], 1.0
	v_fmac_f64_e32 v[90:91], v[90:91], v[94:95]
	v_fma_f64 v[94:95], -v[88:89], v[90:91], 1.0
	v_fmac_f64_e32 v[90:91], v[90:91], v[94:95]
	v_mul_f64 v[94:95], v[92:93], v[90:91]
	v_fma_f64 v[88:89], -v[88:89], v[94:95], v[92:93]
	v_div_fmas_f64 v[88:89], v[88:89], v[90:91], v[94:95]
	v_div_fixup_f64 v[88:89], v[88:89], v[86:87], v[84:85]
	v_fmac_f64_e32 v[86:87], v[84:85], v[88:89]
	v_div_scale_f64 v[84:85], s[10:11], v[86:87], v[86:87], 1.0
	v_rcp_f64_e32 v[90:91], v[84:85]
	s_nop 0
	v_fma_f64 v[92:93], -v[84:85], v[90:91], 1.0
	v_fmac_f64_e32 v[90:91], v[90:91], v[92:93]
	v_fma_f64 v[92:93], -v[84:85], v[90:91], 1.0
	v_fmac_f64_e32 v[90:91], v[90:91], v[92:93]
	v_div_scale_f64 v[92:93], vcc, 1.0, v[86:87], 1.0
	v_mul_f64 v[94:95], v[92:93], v[90:91]
	v_fma_f64 v[84:85], -v[84:85], v[94:95], v[92:93]
	s_nop 1
	v_div_fmas_f64 v[84:85], v[84:85], v[90:91], v[94:95]
	v_div_fixup_f64 v[90:91], v[84:85], v[86:87], 1.0
	v_mul_f64 v[88:89], v[88:89], v[90:91]
	v_xor_b32_e32 v91, 0x80000000, v91
                                        ; implicit-def: $vgpr84_vgpr85
.LBB29_59:
	s_andn2_saveexec_b64 s[2:3], s[2:3]
	s_cbranch_execz .LBB29_61
; %bb.60:
	v_div_scale_f64 v[88:89], s[10:11], v[84:85], v[84:85], v[86:87]
	v_rcp_f64_e32 v[90:91], v[88:89]
	v_div_scale_f64 v[92:93], vcc, v[86:87], v[84:85], v[86:87]
	v_fma_f64 v[94:95], -v[88:89], v[90:91], 1.0
	v_fmac_f64_e32 v[90:91], v[90:91], v[94:95]
	v_fma_f64 v[94:95], -v[88:89], v[90:91], 1.0
	v_fmac_f64_e32 v[90:91], v[90:91], v[94:95]
	v_mul_f64 v[94:95], v[92:93], v[90:91]
	v_fma_f64 v[88:89], -v[88:89], v[94:95], v[92:93]
	v_div_fmas_f64 v[88:89], v[88:89], v[90:91], v[94:95]
	v_div_fixup_f64 v[90:91], v[88:89], v[84:85], v[86:87]
	v_fmac_f64_e32 v[84:85], v[86:87], v[90:91]
	v_div_scale_f64 v[86:87], s[10:11], v[84:85], v[84:85], 1.0
	v_rcp_f64_e32 v[88:89], v[86:87]
	s_nop 0
	v_fma_f64 v[92:93], -v[86:87], v[88:89], 1.0
	v_fmac_f64_e32 v[88:89], v[88:89], v[92:93]
	v_fma_f64 v[92:93], -v[86:87], v[88:89], 1.0
	v_fmac_f64_e32 v[88:89], v[88:89], v[92:93]
	v_div_scale_f64 v[92:93], vcc, 1.0, v[84:85], 1.0
	v_mul_f64 v[94:95], v[92:93], v[88:89]
	v_fma_f64 v[86:87], -v[86:87], v[94:95], v[92:93]
	s_nop 1
	v_div_fmas_f64 v[86:87], v[86:87], v[88:89], v[94:95]
	v_div_fixup_f64 v[88:89], v[86:87], v[84:85], 1.0
	v_mul_f64 v[90:91], v[90:91], -v[88:89]
.LBB29_61:
	s_or_b64 exec, exec, s[2:3]
	ds_write2_b64 v153, v[88:89], v[90:91] offset1:1
.LBB29_62:
	s_or_b64 exec, exec, s[4:5]
	s_waitcnt lgkmcnt(0)
	s_barrier
	ds_read2_b64 v[84:87], v153 offset1:1
	v_cmp_lt_u32_e32 vcc, 6, v152
	s_and_saveexec_b64 s[2:3], vcc
	s_cbranch_execz .LBB29_64
; %bb.63:
	ds_read2_b64 v[88:91], v154 offset0:14 offset1:15
	ds_read2_b64 v[92:95], v154 offset0:16 offset1:17
	s_waitcnt vmcnt(8) lgkmcnt(2)
	v_mul_f64 v[96:97], v[84:85], v[54:55]
	v_fmac_f64_e32 v[96:97], v[86:87], v[52:53]
	v_mul_f64 v[54:55], v[86:87], v[54:55]
	v_fma_f64 v[52:53], v[84:85], v[52:53], -v[54:55]
	s_waitcnt lgkmcnt(1)
	v_mul_f64 v[54:55], v[90:91], v[96:97]
	v_fma_f64 v[54:55], v[88:89], v[52:53], -v[54:55]
	v_mul_f64 v[88:89], v[88:89], v[96:97]
	v_fmac_f64_e32 v[88:89], v[90:91], v[52:53]
	s_waitcnt vmcnt(7)
	v_add_f64 v[48:49], v[48:49], -v[54:55]
	v_add_f64 v[50:51], v[50:51], -v[88:89]
	s_waitcnt lgkmcnt(0)
	v_mul_f64 v[54:55], v[94:95], v[96:97]
	ds_read2_b64 v[88:91], v154 offset0:18 offset1:19
	v_fma_f64 v[54:55], v[92:93], v[52:53], -v[54:55]
	v_mul_f64 v[92:93], v[92:93], v[96:97]
	v_fmac_f64_e32 v[92:93], v[94:95], v[52:53]
	s_waitcnt vmcnt(6)
	v_add_f64 v[46:47], v[46:47], -v[92:93]
	ds_read2_b64 v[92:95], v154 offset0:20 offset1:21
	v_add_f64 v[44:45], v[44:45], -v[54:55]
	s_waitcnt lgkmcnt(1)
	v_mul_f64 v[54:55], v[90:91], v[96:97]
	v_fma_f64 v[54:55], v[88:89], v[52:53], -v[54:55]
	v_mul_f64 v[88:89], v[88:89], v[96:97]
	v_fmac_f64_e32 v[88:89], v[90:91], v[52:53]
	s_waitcnt vmcnt(5)
	v_add_f64 v[40:41], v[40:41], -v[54:55]
	v_add_f64 v[42:43], v[42:43], -v[88:89]
	s_waitcnt lgkmcnt(0)
	v_mul_f64 v[54:55], v[94:95], v[96:97]
	ds_read2_b64 v[88:91], v154 offset0:22 offset1:23
	v_fma_f64 v[54:55], v[92:93], v[52:53], -v[54:55]
	v_mul_f64 v[92:93], v[92:93], v[96:97]
	v_fmac_f64_e32 v[92:93], v[94:95], v[52:53]
	s_waitcnt vmcnt(4)
	v_add_f64 v[38:39], v[38:39], -v[92:93]
	ds_read2_b64 v[92:95], v154 offset0:24 offset1:25
	v_add_f64 v[36:37], v[36:37], -v[54:55]
	;; [unrolled: 18-line block ×3, first 2 shown]
	s_waitcnt lgkmcnt(1)
	v_mul_f64 v[54:55], v[90:91], v[96:97]
	v_fma_f64 v[54:55], v[88:89], v[52:53], -v[54:55]
	v_mul_f64 v[88:89], v[88:89], v[96:97]
	v_fmac_f64_e32 v[88:89], v[90:91], v[52:53]
	s_waitcnt vmcnt(1)
	v_add_f64 v[24:25], v[24:25], -v[54:55]
	v_add_f64 v[26:27], v[26:27], -v[88:89]
	s_waitcnt lgkmcnt(0)
	v_mul_f64 v[54:55], v[94:95], v[96:97]
	v_mul_f64 v[88:89], v[92:93], v[96:97]
	v_fma_f64 v[54:55], v[92:93], v[52:53], -v[54:55]
	v_fmac_f64_e32 v[88:89], v[94:95], v[52:53]
	s_waitcnt vmcnt(0)
	v_add_f64 v[56:57], v[56:57], -v[54:55]
	v_add_f64 v[58:59], v[58:59], -v[88:89]
	v_mov_b64_e32 v[54:55], v[96:97]
.LBB29_64:
	s_or_b64 exec, exec, s[2:3]
	v_cmp_eq_u32_e32 vcc, 7, v152
	s_waitcnt lgkmcnt(0)
	s_barrier
	s_and_saveexec_b64 s[4:5], vcc
	s_cbranch_execz .LBB29_71
; %bb.65:
	s_waitcnt vmcnt(7)
	ds_write2_b64 v153, v[48:49], v[50:51] offset1:1
	s_waitcnt vmcnt(6)
	ds_write2_b64 v154, v[44:45], v[46:47] offset0:16 offset1:17
	s_waitcnt vmcnt(5)
	ds_write2_b64 v154, v[40:41], v[42:43] offset0:18 offset1:19
	;; [unrolled: 2-line block ×7, first 2 shown]
	ds_read2_b64 v[88:91], v153 offset1:1
	s_waitcnt lgkmcnt(0)
	v_cmp_neq_f64_e32 vcc, 0, v[88:89]
	v_cmp_neq_f64_e64 s[2:3], 0, v[90:91]
	s_or_b64 s[2:3], vcc, s[2:3]
	s_and_b64 exec, exec, s[2:3]
	s_cbranch_execz .LBB29_71
; %bb.66:
	v_cmp_ngt_f64_e64 s[2:3], |v[88:89]|, |v[90:91]|
                                        ; implicit-def: $vgpr92_vgpr93
	s_and_saveexec_b64 s[10:11], s[2:3]
	s_xor_b64 s[2:3], exec, s[10:11]
                                        ; implicit-def: $vgpr94_vgpr95
	s_cbranch_execz .LBB29_68
; %bb.67:
	v_div_scale_f64 v[92:93], s[10:11], v[90:91], v[90:91], v[88:89]
	v_rcp_f64_e32 v[94:95], v[92:93]
	v_div_scale_f64 v[96:97], vcc, v[88:89], v[90:91], v[88:89]
	v_fma_f64 v[98:99], -v[92:93], v[94:95], 1.0
	v_fmac_f64_e32 v[94:95], v[94:95], v[98:99]
	v_fma_f64 v[98:99], -v[92:93], v[94:95], 1.0
	v_fmac_f64_e32 v[94:95], v[94:95], v[98:99]
	v_mul_f64 v[98:99], v[96:97], v[94:95]
	v_fma_f64 v[92:93], -v[92:93], v[98:99], v[96:97]
	v_div_fmas_f64 v[92:93], v[92:93], v[94:95], v[98:99]
	v_div_fixup_f64 v[92:93], v[92:93], v[90:91], v[88:89]
	v_fmac_f64_e32 v[90:91], v[88:89], v[92:93]
	v_div_scale_f64 v[88:89], s[10:11], v[90:91], v[90:91], 1.0
	v_rcp_f64_e32 v[94:95], v[88:89]
	s_nop 0
	v_fma_f64 v[96:97], -v[88:89], v[94:95], 1.0
	v_fmac_f64_e32 v[94:95], v[94:95], v[96:97]
	v_fma_f64 v[96:97], -v[88:89], v[94:95], 1.0
	v_fmac_f64_e32 v[94:95], v[94:95], v[96:97]
	v_div_scale_f64 v[96:97], vcc, 1.0, v[90:91], 1.0
	v_mul_f64 v[98:99], v[96:97], v[94:95]
	v_fma_f64 v[88:89], -v[88:89], v[98:99], v[96:97]
	s_nop 1
	v_div_fmas_f64 v[88:89], v[88:89], v[94:95], v[98:99]
	v_div_fixup_f64 v[94:95], v[88:89], v[90:91], 1.0
	v_mul_f64 v[92:93], v[92:93], v[94:95]
	v_xor_b32_e32 v95, 0x80000000, v95
                                        ; implicit-def: $vgpr88_vgpr89
.LBB29_68:
	s_andn2_saveexec_b64 s[2:3], s[2:3]
	s_cbranch_execz .LBB29_70
; %bb.69:
	v_div_scale_f64 v[92:93], s[10:11], v[88:89], v[88:89], v[90:91]
	v_rcp_f64_e32 v[94:95], v[92:93]
	v_div_scale_f64 v[96:97], vcc, v[90:91], v[88:89], v[90:91]
	v_fma_f64 v[98:99], -v[92:93], v[94:95], 1.0
	v_fmac_f64_e32 v[94:95], v[94:95], v[98:99]
	v_fma_f64 v[98:99], -v[92:93], v[94:95], 1.0
	v_fmac_f64_e32 v[94:95], v[94:95], v[98:99]
	v_mul_f64 v[98:99], v[96:97], v[94:95]
	v_fma_f64 v[92:93], -v[92:93], v[98:99], v[96:97]
	v_div_fmas_f64 v[92:93], v[92:93], v[94:95], v[98:99]
	v_div_fixup_f64 v[94:95], v[92:93], v[88:89], v[90:91]
	v_fmac_f64_e32 v[88:89], v[90:91], v[94:95]
	v_div_scale_f64 v[90:91], s[10:11], v[88:89], v[88:89], 1.0
	v_rcp_f64_e32 v[92:93], v[90:91]
	s_nop 0
	v_fma_f64 v[96:97], -v[90:91], v[92:93], 1.0
	v_fmac_f64_e32 v[92:93], v[92:93], v[96:97]
	v_fma_f64 v[96:97], -v[90:91], v[92:93], 1.0
	v_fmac_f64_e32 v[92:93], v[92:93], v[96:97]
	v_div_scale_f64 v[96:97], vcc, 1.0, v[88:89], 1.0
	v_mul_f64 v[98:99], v[96:97], v[92:93]
	v_fma_f64 v[90:91], -v[90:91], v[98:99], v[96:97]
	s_nop 1
	v_div_fmas_f64 v[90:91], v[90:91], v[92:93], v[98:99]
	v_div_fixup_f64 v[92:93], v[90:91], v[88:89], 1.0
	v_mul_f64 v[94:95], v[94:95], -v[92:93]
.LBB29_70:
	s_or_b64 exec, exec, s[2:3]
	ds_write2_b64 v153, v[92:93], v[94:95] offset1:1
.LBB29_71:
	s_or_b64 exec, exec, s[4:5]
	s_waitcnt lgkmcnt(0)
	s_barrier
	ds_read2_b64 v[88:91], v153 offset1:1
	v_cmp_lt_u32_e32 vcc, 7, v152
	s_and_saveexec_b64 s[2:3], vcc
	s_cbranch_execz .LBB29_73
; %bb.72:
	ds_read2_b64 v[92:95], v154 offset0:16 offset1:17
	ds_read2_b64 v[96:99], v154 offset0:18 offset1:19
	s_waitcnt vmcnt(7) lgkmcnt(2)
	v_mul_f64 v[100:101], v[88:89], v[50:51]
	v_fmac_f64_e32 v[100:101], v[90:91], v[48:49]
	v_mul_f64 v[50:51], v[90:91], v[50:51]
	v_fma_f64 v[48:49], v[88:89], v[48:49], -v[50:51]
	s_waitcnt lgkmcnt(1)
	v_mul_f64 v[50:51], v[94:95], v[100:101]
	v_fma_f64 v[50:51], v[92:93], v[48:49], -v[50:51]
	v_mul_f64 v[92:93], v[92:93], v[100:101]
	v_fmac_f64_e32 v[92:93], v[94:95], v[48:49]
	s_waitcnt vmcnt(6)
	v_add_f64 v[46:47], v[46:47], -v[92:93]
	ds_read2_b64 v[92:95], v154 offset0:20 offset1:21
	v_add_f64 v[44:45], v[44:45], -v[50:51]
	s_waitcnt lgkmcnt(1)
	v_mul_f64 v[50:51], v[98:99], v[100:101]
	v_fma_f64 v[50:51], v[96:97], v[48:49], -v[50:51]
	v_mul_f64 v[96:97], v[96:97], v[100:101]
	v_fmac_f64_e32 v[96:97], v[98:99], v[48:49]
	s_waitcnt vmcnt(5)
	v_add_f64 v[40:41], v[40:41], -v[50:51]
	v_add_f64 v[42:43], v[42:43], -v[96:97]
	ds_read2_b64 v[96:99], v154 offset0:22 offset1:23
	s_waitcnt lgkmcnt(1)
	v_mul_f64 v[50:51], v[94:95], v[100:101]
	v_fma_f64 v[50:51], v[92:93], v[48:49], -v[50:51]
	v_mul_f64 v[92:93], v[92:93], v[100:101]
	v_fmac_f64_e32 v[92:93], v[94:95], v[48:49]
	s_waitcnt vmcnt(4)
	v_add_f64 v[38:39], v[38:39], -v[92:93]
	ds_read2_b64 v[92:95], v154 offset0:24 offset1:25
	v_add_f64 v[36:37], v[36:37], -v[50:51]
	s_waitcnt lgkmcnt(1)
	v_mul_f64 v[50:51], v[98:99], v[100:101]
	v_fma_f64 v[50:51], v[96:97], v[48:49], -v[50:51]
	v_mul_f64 v[96:97], v[96:97], v[100:101]
	v_fmac_f64_e32 v[96:97], v[98:99], v[48:49]
	s_waitcnt vmcnt(3)
	v_add_f64 v[32:33], v[32:33], -v[50:51]
	v_add_f64 v[34:35], v[34:35], -v[96:97]
	ds_read2_b64 v[96:99], v154 offset0:26 offset1:27
	s_waitcnt lgkmcnt(1)
	v_mul_f64 v[50:51], v[94:95], v[100:101]
	v_fma_f64 v[50:51], v[92:93], v[48:49], -v[50:51]
	v_mul_f64 v[92:93], v[92:93], v[100:101]
	v_fmac_f64_e32 v[92:93], v[94:95], v[48:49]
	s_waitcnt vmcnt(2)
	v_add_f64 v[30:31], v[30:31], -v[92:93]
	ds_read2_b64 v[92:95], v154 offset0:28 offset1:29
	v_add_f64 v[28:29], v[28:29], -v[50:51]
	s_waitcnt lgkmcnt(1)
	v_mul_f64 v[50:51], v[98:99], v[100:101]
	v_fma_f64 v[50:51], v[96:97], v[48:49], -v[50:51]
	s_waitcnt vmcnt(1)
	v_add_f64 v[24:25], v[24:25], -v[50:51]
	s_waitcnt lgkmcnt(0)
	v_mul_f64 v[50:51], v[94:95], v[100:101]
	v_mul_f64 v[96:97], v[96:97], v[100:101]
	v_fma_f64 v[50:51], v[92:93], v[48:49], -v[50:51]
	v_mul_f64 v[92:93], v[92:93], v[100:101]
	v_fmac_f64_e32 v[96:97], v[98:99], v[48:49]
	v_fmac_f64_e32 v[92:93], v[94:95], v[48:49]
	v_add_f64 v[26:27], v[26:27], -v[96:97]
	s_waitcnt vmcnt(0)
	v_add_f64 v[56:57], v[56:57], -v[50:51]
	v_add_f64 v[58:59], v[58:59], -v[92:93]
	v_mov_b64_e32 v[50:51], v[100:101]
.LBB29_73:
	s_or_b64 exec, exec, s[2:3]
	v_cmp_eq_u32_e32 vcc, 8, v152
	s_waitcnt lgkmcnt(0)
	s_barrier
	s_and_saveexec_b64 s[4:5], vcc
	s_cbranch_execz .LBB29_80
; %bb.74:
	s_waitcnt vmcnt(6)
	ds_write2_b64 v153, v[44:45], v[46:47] offset1:1
	s_waitcnt vmcnt(5)
	ds_write2_b64 v154, v[40:41], v[42:43] offset0:18 offset1:19
	s_waitcnt vmcnt(4)
	ds_write2_b64 v154, v[36:37], v[38:39] offset0:20 offset1:21
	;; [unrolled: 2-line block ×6, first 2 shown]
	ds_read2_b64 v[92:95], v153 offset1:1
	s_waitcnt lgkmcnt(0)
	v_cmp_neq_f64_e32 vcc, 0, v[92:93]
	v_cmp_neq_f64_e64 s[2:3], 0, v[94:95]
	s_or_b64 s[2:3], vcc, s[2:3]
	s_and_b64 exec, exec, s[2:3]
	s_cbranch_execz .LBB29_80
; %bb.75:
	v_cmp_ngt_f64_e64 s[2:3], |v[92:93]|, |v[94:95]|
                                        ; implicit-def: $vgpr96_vgpr97
	s_and_saveexec_b64 s[10:11], s[2:3]
	s_xor_b64 s[2:3], exec, s[10:11]
                                        ; implicit-def: $vgpr98_vgpr99
	s_cbranch_execz .LBB29_77
; %bb.76:
	v_div_scale_f64 v[96:97], s[10:11], v[94:95], v[94:95], v[92:93]
	v_rcp_f64_e32 v[98:99], v[96:97]
	v_div_scale_f64 v[100:101], vcc, v[92:93], v[94:95], v[92:93]
	v_fma_f64 v[102:103], -v[96:97], v[98:99], 1.0
	v_fmac_f64_e32 v[98:99], v[98:99], v[102:103]
	v_fma_f64 v[102:103], -v[96:97], v[98:99], 1.0
	v_fmac_f64_e32 v[98:99], v[98:99], v[102:103]
	v_mul_f64 v[102:103], v[100:101], v[98:99]
	v_fma_f64 v[96:97], -v[96:97], v[102:103], v[100:101]
	v_div_fmas_f64 v[96:97], v[96:97], v[98:99], v[102:103]
	v_div_fixup_f64 v[96:97], v[96:97], v[94:95], v[92:93]
	v_fmac_f64_e32 v[94:95], v[92:93], v[96:97]
	v_div_scale_f64 v[92:93], s[10:11], v[94:95], v[94:95], 1.0
	v_rcp_f64_e32 v[98:99], v[92:93]
	s_nop 0
	v_fma_f64 v[100:101], -v[92:93], v[98:99], 1.0
	v_fmac_f64_e32 v[98:99], v[98:99], v[100:101]
	v_fma_f64 v[100:101], -v[92:93], v[98:99], 1.0
	v_fmac_f64_e32 v[98:99], v[98:99], v[100:101]
	v_div_scale_f64 v[100:101], vcc, 1.0, v[94:95], 1.0
	v_mul_f64 v[102:103], v[100:101], v[98:99]
	v_fma_f64 v[92:93], -v[92:93], v[102:103], v[100:101]
	s_nop 1
	v_div_fmas_f64 v[92:93], v[92:93], v[98:99], v[102:103]
	v_div_fixup_f64 v[98:99], v[92:93], v[94:95], 1.0
	v_mul_f64 v[96:97], v[96:97], v[98:99]
	v_xor_b32_e32 v99, 0x80000000, v99
                                        ; implicit-def: $vgpr92_vgpr93
.LBB29_77:
	s_andn2_saveexec_b64 s[2:3], s[2:3]
	s_cbranch_execz .LBB29_79
; %bb.78:
	v_div_scale_f64 v[96:97], s[10:11], v[92:93], v[92:93], v[94:95]
	v_rcp_f64_e32 v[98:99], v[96:97]
	v_div_scale_f64 v[100:101], vcc, v[94:95], v[92:93], v[94:95]
	v_fma_f64 v[102:103], -v[96:97], v[98:99], 1.0
	v_fmac_f64_e32 v[98:99], v[98:99], v[102:103]
	v_fma_f64 v[102:103], -v[96:97], v[98:99], 1.0
	v_fmac_f64_e32 v[98:99], v[98:99], v[102:103]
	v_mul_f64 v[102:103], v[100:101], v[98:99]
	v_fma_f64 v[96:97], -v[96:97], v[102:103], v[100:101]
	v_div_fmas_f64 v[96:97], v[96:97], v[98:99], v[102:103]
	v_div_fixup_f64 v[98:99], v[96:97], v[92:93], v[94:95]
	v_fmac_f64_e32 v[92:93], v[94:95], v[98:99]
	v_div_scale_f64 v[94:95], s[10:11], v[92:93], v[92:93], 1.0
	v_rcp_f64_e32 v[96:97], v[94:95]
	s_nop 0
	v_fma_f64 v[100:101], -v[94:95], v[96:97], 1.0
	v_fmac_f64_e32 v[96:97], v[96:97], v[100:101]
	v_fma_f64 v[100:101], -v[94:95], v[96:97], 1.0
	v_fmac_f64_e32 v[96:97], v[96:97], v[100:101]
	v_div_scale_f64 v[100:101], vcc, 1.0, v[92:93], 1.0
	v_mul_f64 v[102:103], v[100:101], v[96:97]
	v_fma_f64 v[94:95], -v[94:95], v[102:103], v[100:101]
	s_nop 1
	v_div_fmas_f64 v[94:95], v[94:95], v[96:97], v[102:103]
	v_div_fixup_f64 v[96:97], v[94:95], v[92:93], 1.0
	v_mul_f64 v[98:99], v[98:99], -v[96:97]
.LBB29_79:
	s_or_b64 exec, exec, s[2:3]
	ds_write2_b64 v153, v[96:97], v[98:99] offset1:1
.LBB29_80:
	s_or_b64 exec, exec, s[4:5]
	s_waitcnt lgkmcnt(0)
	s_barrier
	ds_read2_b64 v[92:95], v153 offset1:1
	v_cmp_lt_u32_e32 vcc, 8, v152
	s_and_saveexec_b64 s[2:3], vcc
	s_cbranch_execz .LBB29_82
; %bb.81:
	ds_read2_b64 v[96:99], v154 offset0:18 offset1:19
	ds_read2_b64 v[100:103], v154 offset0:20 offset1:21
	s_waitcnt vmcnt(6) lgkmcnt(2)
	v_mul_f64 v[104:105], v[92:93], v[46:47]
	v_fmac_f64_e32 v[104:105], v[94:95], v[44:45]
	v_mul_f64 v[46:47], v[94:95], v[46:47]
	v_fma_f64 v[44:45], v[92:93], v[44:45], -v[46:47]
	s_waitcnt lgkmcnt(1)
	v_mul_f64 v[46:47], v[98:99], v[104:105]
	v_fma_f64 v[46:47], v[96:97], v[44:45], -v[46:47]
	v_mul_f64 v[96:97], v[96:97], v[104:105]
	v_fmac_f64_e32 v[96:97], v[98:99], v[44:45]
	s_waitcnt vmcnt(5)
	v_add_f64 v[40:41], v[40:41], -v[46:47]
	v_add_f64 v[42:43], v[42:43], -v[96:97]
	s_waitcnt lgkmcnt(0)
	v_mul_f64 v[46:47], v[102:103], v[104:105]
	ds_read2_b64 v[96:99], v154 offset0:22 offset1:23
	v_fma_f64 v[46:47], v[100:101], v[44:45], -v[46:47]
	v_mul_f64 v[100:101], v[100:101], v[104:105]
	v_fmac_f64_e32 v[100:101], v[102:103], v[44:45]
	s_waitcnt vmcnt(4)
	v_add_f64 v[38:39], v[38:39], -v[100:101]
	ds_read2_b64 v[100:103], v154 offset0:24 offset1:25
	v_add_f64 v[36:37], v[36:37], -v[46:47]
	s_waitcnt lgkmcnt(1)
	v_mul_f64 v[46:47], v[98:99], v[104:105]
	v_fma_f64 v[46:47], v[96:97], v[44:45], -v[46:47]
	v_mul_f64 v[96:97], v[96:97], v[104:105]
	v_fmac_f64_e32 v[96:97], v[98:99], v[44:45]
	s_waitcnt vmcnt(3)
	v_add_f64 v[32:33], v[32:33], -v[46:47]
	v_add_f64 v[34:35], v[34:35], -v[96:97]
	s_waitcnt lgkmcnt(0)
	v_mul_f64 v[46:47], v[102:103], v[104:105]
	ds_read2_b64 v[96:99], v154 offset0:26 offset1:27
	v_fma_f64 v[46:47], v[100:101], v[44:45], -v[46:47]
	v_mul_f64 v[100:101], v[100:101], v[104:105]
	v_fmac_f64_e32 v[100:101], v[102:103], v[44:45]
	s_waitcnt vmcnt(2)
	v_add_f64 v[30:31], v[30:31], -v[100:101]
	ds_read2_b64 v[100:103], v154 offset0:28 offset1:29
	v_add_f64 v[28:29], v[28:29], -v[46:47]
	s_waitcnt lgkmcnt(1)
	v_mul_f64 v[46:47], v[98:99], v[104:105]
	v_fma_f64 v[46:47], v[96:97], v[44:45], -v[46:47]
	v_mul_f64 v[96:97], v[96:97], v[104:105]
	v_fmac_f64_e32 v[96:97], v[98:99], v[44:45]
	s_waitcnt vmcnt(1)
	v_add_f64 v[24:25], v[24:25], -v[46:47]
	v_add_f64 v[26:27], v[26:27], -v[96:97]
	s_waitcnt lgkmcnt(0)
	v_mul_f64 v[46:47], v[102:103], v[104:105]
	v_mul_f64 v[96:97], v[100:101], v[104:105]
	v_fma_f64 v[46:47], v[100:101], v[44:45], -v[46:47]
	v_fmac_f64_e32 v[96:97], v[102:103], v[44:45]
	s_waitcnt vmcnt(0)
	v_add_f64 v[56:57], v[56:57], -v[46:47]
	v_add_f64 v[58:59], v[58:59], -v[96:97]
	v_mov_b64_e32 v[46:47], v[104:105]
.LBB29_82:
	s_or_b64 exec, exec, s[2:3]
	v_cmp_eq_u32_e32 vcc, 9, v152
	s_waitcnt lgkmcnt(0)
	s_barrier
	s_and_saveexec_b64 s[4:5], vcc
	s_cbranch_execz .LBB29_89
; %bb.83:
	s_waitcnt vmcnt(5)
	ds_write2_b64 v153, v[40:41], v[42:43] offset1:1
	s_waitcnt vmcnt(4)
	ds_write2_b64 v154, v[36:37], v[38:39] offset0:20 offset1:21
	s_waitcnt vmcnt(3)
	ds_write2_b64 v154, v[32:33], v[34:35] offset0:22 offset1:23
	;; [unrolled: 2-line block ×5, first 2 shown]
	ds_read2_b64 v[96:99], v153 offset1:1
	s_waitcnt lgkmcnt(0)
	v_cmp_neq_f64_e32 vcc, 0, v[96:97]
	v_cmp_neq_f64_e64 s[2:3], 0, v[98:99]
	s_or_b64 s[2:3], vcc, s[2:3]
	s_and_b64 exec, exec, s[2:3]
	s_cbranch_execz .LBB29_89
; %bb.84:
	v_cmp_ngt_f64_e64 s[2:3], |v[96:97]|, |v[98:99]|
                                        ; implicit-def: $vgpr100_vgpr101
	s_and_saveexec_b64 s[10:11], s[2:3]
	s_xor_b64 s[2:3], exec, s[10:11]
                                        ; implicit-def: $vgpr102_vgpr103
	s_cbranch_execz .LBB29_86
; %bb.85:
	v_div_scale_f64 v[100:101], s[10:11], v[98:99], v[98:99], v[96:97]
	v_rcp_f64_e32 v[102:103], v[100:101]
	v_div_scale_f64 v[104:105], vcc, v[96:97], v[98:99], v[96:97]
	v_fma_f64 v[106:107], -v[100:101], v[102:103], 1.0
	v_fmac_f64_e32 v[102:103], v[102:103], v[106:107]
	v_fma_f64 v[106:107], -v[100:101], v[102:103], 1.0
	v_fmac_f64_e32 v[102:103], v[102:103], v[106:107]
	v_mul_f64 v[106:107], v[104:105], v[102:103]
	v_fma_f64 v[100:101], -v[100:101], v[106:107], v[104:105]
	v_div_fmas_f64 v[100:101], v[100:101], v[102:103], v[106:107]
	v_div_fixup_f64 v[100:101], v[100:101], v[98:99], v[96:97]
	v_fmac_f64_e32 v[98:99], v[96:97], v[100:101]
	v_div_scale_f64 v[96:97], s[10:11], v[98:99], v[98:99], 1.0
	v_rcp_f64_e32 v[102:103], v[96:97]
	s_nop 0
	v_fma_f64 v[104:105], -v[96:97], v[102:103], 1.0
	v_fmac_f64_e32 v[102:103], v[102:103], v[104:105]
	v_fma_f64 v[104:105], -v[96:97], v[102:103], 1.0
	v_fmac_f64_e32 v[102:103], v[102:103], v[104:105]
	v_div_scale_f64 v[104:105], vcc, 1.0, v[98:99], 1.0
	v_mul_f64 v[106:107], v[104:105], v[102:103]
	v_fma_f64 v[96:97], -v[96:97], v[106:107], v[104:105]
	s_nop 1
	v_div_fmas_f64 v[96:97], v[96:97], v[102:103], v[106:107]
	v_div_fixup_f64 v[102:103], v[96:97], v[98:99], 1.0
	v_mul_f64 v[100:101], v[100:101], v[102:103]
	v_xor_b32_e32 v103, 0x80000000, v103
                                        ; implicit-def: $vgpr96_vgpr97
.LBB29_86:
	s_andn2_saveexec_b64 s[2:3], s[2:3]
	s_cbranch_execz .LBB29_88
; %bb.87:
	v_div_scale_f64 v[100:101], s[10:11], v[96:97], v[96:97], v[98:99]
	v_rcp_f64_e32 v[102:103], v[100:101]
	v_div_scale_f64 v[104:105], vcc, v[98:99], v[96:97], v[98:99]
	v_fma_f64 v[106:107], -v[100:101], v[102:103], 1.0
	v_fmac_f64_e32 v[102:103], v[102:103], v[106:107]
	v_fma_f64 v[106:107], -v[100:101], v[102:103], 1.0
	v_fmac_f64_e32 v[102:103], v[102:103], v[106:107]
	v_mul_f64 v[106:107], v[104:105], v[102:103]
	v_fma_f64 v[100:101], -v[100:101], v[106:107], v[104:105]
	v_div_fmas_f64 v[100:101], v[100:101], v[102:103], v[106:107]
	v_div_fixup_f64 v[102:103], v[100:101], v[96:97], v[98:99]
	v_fmac_f64_e32 v[96:97], v[98:99], v[102:103]
	v_div_scale_f64 v[98:99], s[10:11], v[96:97], v[96:97], 1.0
	v_rcp_f64_e32 v[100:101], v[98:99]
	s_nop 0
	v_fma_f64 v[104:105], -v[98:99], v[100:101], 1.0
	v_fmac_f64_e32 v[100:101], v[100:101], v[104:105]
	v_fma_f64 v[104:105], -v[98:99], v[100:101], 1.0
	v_fmac_f64_e32 v[100:101], v[100:101], v[104:105]
	v_div_scale_f64 v[104:105], vcc, 1.0, v[96:97], 1.0
	v_mul_f64 v[106:107], v[104:105], v[100:101]
	v_fma_f64 v[98:99], -v[98:99], v[106:107], v[104:105]
	s_nop 1
	v_div_fmas_f64 v[98:99], v[98:99], v[100:101], v[106:107]
	v_div_fixup_f64 v[100:101], v[98:99], v[96:97], 1.0
	v_mul_f64 v[102:103], v[102:103], -v[100:101]
.LBB29_88:
	s_or_b64 exec, exec, s[2:3]
	ds_write2_b64 v153, v[100:101], v[102:103] offset1:1
.LBB29_89:
	s_or_b64 exec, exec, s[4:5]
	s_waitcnt lgkmcnt(0)
	s_barrier
	ds_read2_b64 v[96:99], v153 offset1:1
	v_cmp_lt_u32_e32 vcc, 9, v152
	s_and_saveexec_b64 s[2:3], vcc
	s_cbranch_execz .LBB29_91
; %bb.90:
	ds_read2_b64 v[100:103], v154 offset0:20 offset1:21
	ds_read2_b64 v[104:107], v154 offset0:22 offset1:23
	s_waitcnt vmcnt(5) lgkmcnt(2)
	v_mul_f64 v[108:109], v[96:97], v[42:43]
	v_fmac_f64_e32 v[108:109], v[98:99], v[40:41]
	v_mul_f64 v[42:43], v[98:99], v[42:43]
	v_fma_f64 v[40:41], v[96:97], v[40:41], -v[42:43]
	s_waitcnt lgkmcnt(1)
	v_mul_f64 v[42:43], v[102:103], v[108:109]
	v_fma_f64 v[42:43], v[100:101], v[40:41], -v[42:43]
	v_mul_f64 v[100:101], v[100:101], v[108:109]
	v_fmac_f64_e32 v[100:101], v[102:103], v[40:41]
	s_waitcnt vmcnt(4)
	v_add_f64 v[38:39], v[38:39], -v[100:101]
	ds_read2_b64 v[100:103], v154 offset0:24 offset1:25
	v_add_f64 v[36:37], v[36:37], -v[42:43]
	s_waitcnt lgkmcnt(1)
	v_mul_f64 v[42:43], v[106:107], v[108:109]
	v_fma_f64 v[42:43], v[104:105], v[40:41], -v[42:43]
	v_mul_f64 v[104:105], v[104:105], v[108:109]
	v_fmac_f64_e32 v[104:105], v[106:107], v[40:41]
	s_waitcnt vmcnt(3)
	v_add_f64 v[32:33], v[32:33], -v[42:43]
	v_add_f64 v[34:35], v[34:35], -v[104:105]
	ds_read2_b64 v[104:107], v154 offset0:26 offset1:27
	s_waitcnt lgkmcnt(1)
	v_mul_f64 v[42:43], v[102:103], v[108:109]
	v_fma_f64 v[42:43], v[100:101], v[40:41], -v[42:43]
	v_mul_f64 v[100:101], v[100:101], v[108:109]
	v_fmac_f64_e32 v[100:101], v[102:103], v[40:41]
	s_waitcnt vmcnt(2)
	v_add_f64 v[30:31], v[30:31], -v[100:101]
	ds_read2_b64 v[100:103], v154 offset0:28 offset1:29
	v_add_f64 v[28:29], v[28:29], -v[42:43]
	s_waitcnt lgkmcnt(1)
	v_mul_f64 v[42:43], v[106:107], v[108:109]
	v_fma_f64 v[42:43], v[104:105], v[40:41], -v[42:43]
	s_waitcnt vmcnt(1)
	v_add_f64 v[24:25], v[24:25], -v[42:43]
	s_waitcnt lgkmcnt(0)
	v_mul_f64 v[42:43], v[102:103], v[108:109]
	v_mul_f64 v[104:105], v[104:105], v[108:109]
	v_fma_f64 v[42:43], v[100:101], v[40:41], -v[42:43]
	v_mul_f64 v[100:101], v[100:101], v[108:109]
	v_fmac_f64_e32 v[104:105], v[106:107], v[40:41]
	v_fmac_f64_e32 v[100:101], v[102:103], v[40:41]
	v_add_f64 v[26:27], v[26:27], -v[104:105]
	s_waitcnt vmcnt(0)
	v_add_f64 v[56:57], v[56:57], -v[42:43]
	v_add_f64 v[58:59], v[58:59], -v[100:101]
	v_mov_b64_e32 v[42:43], v[108:109]
.LBB29_91:
	s_or_b64 exec, exec, s[2:3]
	v_cmp_eq_u32_e32 vcc, 10, v152
	s_waitcnt lgkmcnt(0)
	s_barrier
	s_and_saveexec_b64 s[4:5], vcc
	s_cbranch_execz .LBB29_98
; %bb.92:
	s_waitcnt vmcnt(4)
	ds_write2_b64 v153, v[36:37], v[38:39] offset1:1
	s_waitcnt vmcnt(3)
	ds_write2_b64 v154, v[32:33], v[34:35] offset0:22 offset1:23
	s_waitcnt vmcnt(2)
	ds_write2_b64 v154, v[28:29], v[30:31] offset0:24 offset1:25
	;; [unrolled: 2-line block ×4, first 2 shown]
	ds_read2_b64 v[100:103], v153 offset1:1
	s_waitcnt lgkmcnt(0)
	v_cmp_neq_f64_e32 vcc, 0, v[100:101]
	v_cmp_neq_f64_e64 s[2:3], 0, v[102:103]
	s_or_b64 s[2:3], vcc, s[2:3]
	s_and_b64 exec, exec, s[2:3]
	s_cbranch_execz .LBB29_98
; %bb.93:
	v_cmp_ngt_f64_e64 s[2:3], |v[100:101]|, |v[102:103]|
                                        ; implicit-def: $vgpr104_vgpr105
	s_and_saveexec_b64 s[10:11], s[2:3]
	s_xor_b64 s[2:3], exec, s[10:11]
                                        ; implicit-def: $vgpr106_vgpr107
	s_cbranch_execz .LBB29_95
; %bb.94:
	v_div_scale_f64 v[104:105], s[10:11], v[102:103], v[102:103], v[100:101]
	v_rcp_f64_e32 v[106:107], v[104:105]
	v_div_scale_f64 v[108:109], vcc, v[100:101], v[102:103], v[100:101]
	v_fma_f64 v[110:111], -v[104:105], v[106:107], 1.0
	v_fmac_f64_e32 v[106:107], v[106:107], v[110:111]
	v_fma_f64 v[110:111], -v[104:105], v[106:107], 1.0
	v_fmac_f64_e32 v[106:107], v[106:107], v[110:111]
	v_mul_f64 v[110:111], v[108:109], v[106:107]
	v_fma_f64 v[104:105], -v[104:105], v[110:111], v[108:109]
	v_div_fmas_f64 v[104:105], v[104:105], v[106:107], v[110:111]
	v_div_fixup_f64 v[104:105], v[104:105], v[102:103], v[100:101]
	v_fmac_f64_e32 v[102:103], v[100:101], v[104:105]
	v_div_scale_f64 v[100:101], s[10:11], v[102:103], v[102:103], 1.0
	v_rcp_f64_e32 v[106:107], v[100:101]
	s_nop 0
	v_fma_f64 v[108:109], -v[100:101], v[106:107], 1.0
	v_fmac_f64_e32 v[106:107], v[106:107], v[108:109]
	v_fma_f64 v[108:109], -v[100:101], v[106:107], 1.0
	v_fmac_f64_e32 v[106:107], v[106:107], v[108:109]
	v_div_scale_f64 v[108:109], vcc, 1.0, v[102:103], 1.0
	v_mul_f64 v[110:111], v[108:109], v[106:107]
	v_fma_f64 v[100:101], -v[100:101], v[110:111], v[108:109]
	s_nop 1
	v_div_fmas_f64 v[100:101], v[100:101], v[106:107], v[110:111]
	v_div_fixup_f64 v[106:107], v[100:101], v[102:103], 1.0
	v_mul_f64 v[104:105], v[104:105], v[106:107]
	v_xor_b32_e32 v107, 0x80000000, v107
                                        ; implicit-def: $vgpr100_vgpr101
.LBB29_95:
	s_andn2_saveexec_b64 s[2:3], s[2:3]
	s_cbranch_execz .LBB29_97
; %bb.96:
	v_div_scale_f64 v[104:105], s[10:11], v[100:101], v[100:101], v[102:103]
	v_rcp_f64_e32 v[106:107], v[104:105]
	v_div_scale_f64 v[108:109], vcc, v[102:103], v[100:101], v[102:103]
	v_fma_f64 v[110:111], -v[104:105], v[106:107], 1.0
	v_fmac_f64_e32 v[106:107], v[106:107], v[110:111]
	v_fma_f64 v[110:111], -v[104:105], v[106:107], 1.0
	v_fmac_f64_e32 v[106:107], v[106:107], v[110:111]
	v_mul_f64 v[110:111], v[108:109], v[106:107]
	v_fma_f64 v[104:105], -v[104:105], v[110:111], v[108:109]
	v_div_fmas_f64 v[104:105], v[104:105], v[106:107], v[110:111]
	v_div_fixup_f64 v[106:107], v[104:105], v[100:101], v[102:103]
	v_fmac_f64_e32 v[100:101], v[102:103], v[106:107]
	v_div_scale_f64 v[102:103], s[10:11], v[100:101], v[100:101], 1.0
	v_rcp_f64_e32 v[104:105], v[102:103]
	s_nop 0
	v_fma_f64 v[108:109], -v[102:103], v[104:105], 1.0
	v_fmac_f64_e32 v[104:105], v[104:105], v[108:109]
	v_fma_f64 v[108:109], -v[102:103], v[104:105], 1.0
	v_fmac_f64_e32 v[104:105], v[104:105], v[108:109]
	v_div_scale_f64 v[108:109], vcc, 1.0, v[100:101], 1.0
	v_mul_f64 v[110:111], v[108:109], v[104:105]
	v_fma_f64 v[102:103], -v[102:103], v[110:111], v[108:109]
	s_nop 1
	v_div_fmas_f64 v[102:103], v[102:103], v[104:105], v[110:111]
	v_div_fixup_f64 v[104:105], v[102:103], v[100:101], 1.0
	v_mul_f64 v[106:107], v[106:107], -v[104:105]
.LBB29_97:
	s_or_b64 exec, exec, s[2:3]
	ds_write2_b64 v153, v[104:105], v[106:107] offset1:1
.LBB29_98:
	s_or_b64 exec, exec, s[4:5]
	s_waitcnt lgkmcnt(0)
	s_barrier
	ds_read2_b64 v[100:103], v153 offset1:1
	v_cmp_lt_u32_e32 vcc, 10, v152
	s_and_saveexec_b64 s[2:3], vcc
	s_cbranch_execz .LBB29_100
; %bb.99:
	ds_read2_b64 v[104:107], v154 offset0:22 offset1:23
	ds_read2_b64 v[108:111], v154 offset0:24 offset1:25
	s_waitcnt vmcnt(4) lgkmcnt(2)
	v_mul_f64 v[112:113], v[100:101], v[38:39]
	v_fmac_f64_e32 v[112:113], v[102:103], v[36:37]
	v_mul_f64 v[38:39], v[102:103], v[38:39]
	v_fma_f64 v[36:37], v[100:101], v[36:37], -v[38:39]
	s_waitcnt lgkmcnt(1)
	v_mul_f64 v[38:39], v[106:107], v[112:113]
	v_fma_f64 v[38:39], v[104:105], v[36:37], -v[38:39]
	v_mul_f64 v[104:105], v[104:105], v[112:113]
	v_fmac_f64_e32 v[104:105], v[106:107], v[36:37]
	s_waitcnt vmcnt(3)
	v_add_f64 v[32:33], v[32:33], -v[38:39]
	v_add_f64 v[34:35], v[34:35], -v[104:105]
	s_waitcnt lgkmcnt(0)
	v_mul_f64 v[38:39], v[110:111], v[112:113]
	ds_read2_b64 v[104:107], v154 offset0:26 offset1:27
	v_fma_f64 v[38:39], v[108:109], v[36:37], -v[38:39]
	v_mul_f64 v[108:109], v[108:109], v[112:113]
	v_fmac_f64_e32 v[108:109], v[110:111], v[36:37]
	s_waitcnt vmcnt(2)
	v_add_f64 v[30:31], v[30:31], -v[108:109]
	ds_read2_b64 v[108:111], v154 offset0:28 offset1:29
	v_add_f64 v[28:29], v[28:29], -v[38:39]
	s_waitcnt lgkmcnt(1)
	v_mul_f64 v[38:39], v[106:107], v[112:113]
	v_fma_f64 v[38:39], v[104:105], v[36:37], -v[38:39]
	v_mul_f64 v[104:105], v[104:105], v[112:113]
	v_fmac_f64_e32 v[104:105], v[106:107], v[36:37]
	s_waitcnt vmcnt(1)
	v_add_f64 v[24:25], v[24:25], -v[38:39]
	v_add_f64 v[26:27], v[26:27], -v[104:105]
	s_waitcnt lgkmcnt(0)
	v_mul_f64 v[38:39], v[110:111], v[112:113]
	v_mul_f64 v[104:105], v[108:109], v[112:113]
	v_fma_f64 v[38:39], v[108:109], v[36:37], -v[38:39]
	v_fmac_f64_e32 v[104:105], v[110:111], v[36:37]
	s_waitcnt vmcnt(0)
	v_add_f64 v[56:57], v[56:57], -v[38:39]
	v_add_f64 v[58:59], v[58:59], -v[104:105]
	v_mov_b64_e32 v[38:39], v[112:113]
.LBB29_100:
	s_or_b64 exec, exec, s[2:3]
	v_cmp_eq_u32_e32 vcc, 11, v152
	s_waitcnt lgkmcnt(0)
	s_barrier
	s_and_saveexec_b64 s[4:5], vcc
	s_cbranch_execz .LBB29_107
; %bb.101:
	s_waitcnt vmcnt(3)
	ds_write2_b64 v153, v[32:33], v[34:35] offset1:1
	s_waitcnt vmcnt(2)
	ds_write2_b64 v154, v[28:29], v[30:31] offset0:24 offset1:25
	s_waitcnt vmcnt(1)
	ds_write2_b64 v154, v[24:25], v[26:27] offset0:26 offset1:27
	;; [unrolled: 2-line block ×3, first 2 shown]
	ds_read2_b64 v[104:107], v153 offset1:1
	s_waitcnt lgkmcnt(0)
	v_cmp_neq_f64_e32 vcc, 0, v[104:105]
	v_cmp_neq_f64_e64 s[2:3], 0, v[106:107]
	s_or_b64 s[2:3], vcc, s[2:3]
	s_and_b64 exec, exec, s[2:3]
	s_cbranch_execz .LBB29_107
; %bb.102:
	v_cmp_ngt_f64_e64 s[2:3], |v[104:105]|, |v[106:107]|
                                        ; implicit-def: $vgpr108_vgpr109
	s_and_saveexec_b64 s[10:11], s[2:3]
	s_xor_b64 s[2:3], exec, s[10:11]
                                        ; implicit-def: $vgpr110_vgpr111
	s_cbranch_execz .LBB29_104
; %bb.103:
	v_div_scale_f64 v[108:109], s[10:11], v[106:107], v[106:107], v[104:105]
	v_rcp_f64_e32 v[110:111], v[108:109]
	v_div_scale_f64 v[112:113], vcc, v[104:105], v[106:107], v[104:105]
	v_fma_f64 v[114:115], -v[108:109], v[110:111], 1.0
	v_fmac_f64_e32 v[110:111], v[110:111], v[114:115]
	v_fma_f64 v[114:115], -v[108:109], v[110:111], 1.0
	v_fmac_f64_e32 v[110:111], v[110:111], v[114:115]
	v_mul_f64 v[114:115], v[112:113], v[110:111]
	v_fma_f64 v[108:109], -v[108:109], v[114:115], v[112:113]
	v_div_fmas_f64 v[108:109], v[108:109], v[110:111], v[114:115]
	v_div_fixup_f64 v[108:109], v[108:109], v[106:107], v[104:105]
	v_fmac_f64_e32 v[106:107], v[104:105], v[108:109]
	v_div_scale_f64 v[104:105], s[10:11], v[106:107], v[106:107], 1.0
	v_rcp_f64_e32 v[110:111], v[104:105]
	s_nop 0
	v_fma_f64 v[112:113], -v[104:105], v[110:111], 1.0
	v_fmac_f64_e32 v[110:111], v[110:111], v[112:113]
	v_fma_f64 v[112:113], -v[104:105], v[110:111], 1.0
	v_fmac_f64_e32 v[110:111], v[110:111], v[112:113]
	v_div_scale_f64 v[112:113], vcc, 1.0, v[106:107], 1.0
	v_mul_f64 v[114:115], v[112:113], v[110:111]
	v_fma_f64 v[104:105], -v[104:105], v[114:115], v[112:113]
	s_nop 1
	v_div_fmas_f64 v[104:105], v[104:105], v[110:111], v[114:115]
	v_div_fixup_f64 v[110:111], v[104:105], v[106:107], 1.0
	v_mul_f64 v[108:109], v[108:109], v[110:111]
	v_xor_b32_e32 v111, 0x80000000, v111
                                        ; implicit-def: $vgpr104_vgpr105
.LBB29_104:
	s_andn2_saveexec_b64 s[2:3], s[2:3]
	s_cbranch_execz .LBB29_106
; %bb.105:
	v_div_scale_f64 v[108:109], s[10:11], v[104:105], v[104:105], v[106:107]
	v_rcp_f64_e32 v[110:111], v[108:109]
	v_div_scale_f64 v[112:113], vcc, v[106:107], v[104:105], v[106:107]
	v_fma_f64 v[114:115], -v[108:109], v[110:111], 1.0
	v_fmac_f64_e32 v[110:111], v[110:111], v[114:115]
	v_fma_f64 v[114:115], -v[108:109], v[110:111], 1.0
	v_fmac_f64_e32 v[110:111], v[110:111], v[114:115]
	v_mul_f64 v[114:115], v[112:113], v[110:111]
	v_fma_f64 v[108:109], -v[108:109], v[114:115], v[112:113]
	v_div_fmas_f64 v[108:109], v[108:109], v[110:111], v[114:115]
	v_div_fixup_f64 v[110:111], v[108:109], v[104:105], v[106:107]
	v_fmac_f64_e32 v[104:105], v[106:107], v[110:111]
	v_div_scale_f64 v[106:107], s[10:11], v[104:105], v[104:105], 1.0
	v_rcp_f64_e32 v[108:109], v[106:107]
	s_nop 0
	v_fma_f64 v[112:113], -v[106:107], v[108:109], 1.0
	v_fmac_f64_e32 v[108:109], v[108:109], v[112:113]
	v_fma_f64 v[112:113], -v[106:107], v[108:109], 1.0
	v_fmac_f64_e32 v[108:109], v[108:109], v[112:113]
	v_div_scale_f64 v[112:113], vcc, 1.0, v[104:105], 1.0
	v_mul_f64 v[114:115], v[112:113], v[108:109]
	v_fma_f64 v[106:107], -v[106:107], v[114:115], v[112:113]
	s_nop 1
	v_div_fmas_f64 v[106:107], v[106:107], v[108:109], v[114:115]
	v_div_fixup_f64 v[108:109], v[106:107], v[104:105], 1.0
	v_mul_f64 v[110:111], v[110:111], -v[108:109]
.LBB29_106:
	s_or_b64 exec, exec, s[2:3]
	ds_write2_b64 v153, v[108:109], v[110:111] offset1:1
.LBB29_107:
	s_or_b64 exec, exec, s[4:5]
	s_waitcnt lgkmcnt(0)
	s_barrier
	ds_read2_b64 v[104:107], v153 offset1:1
	v_cmp_lt_u32_e32 vcc, 11, v152
	s_and_saveexec_b64 s[2:3], vcc
	s_cbranch_execz .LBB29_109
; %bb.108:
	ds_read2_b64 v[108:111], v154 offset0:24 offset1:25
	ds_read2_b64 v[112:115], v154 offset0:26 offset1:27
	s_waitcnt vmcnt(3) lgkmcnt(2)
	v_mul_f64 v[116:117], v[104:105], v[34:35]
	v_fmac_f64_e32 v[116:117], v[106:107], v[32:33]
	v_mul_f64 v[34:35], v[106:107], v[34:35]
	v_fma_f64 v[32:33], v[104:105], v[32:33], -v[34:35]
	s_waitcnt lgkmcnt(1)
	v_mul_f64 v[34:35], v[110:111], v[116:117]
	v_fma_f64 v[34:35], v[108:109], v[32:33], -v[34:35]
	v_mul_f64 v[108:109], v[108:109], v[116:117]
	v_fmac_f64_e32 v[108:109], v[110:111], v[32:33]
	s_waitcnt vmcnt(2)
	v_add_f64 v[30:31], v[30:31], -v[108:109]
	ds_read2_b64 v[108:111], v154 offset0:28 offset1:29
	v_add_f64 v[28:29], v[28:29], -v[34:35]
	s_waitcnt lgkmcnt(1)
	v_mul_f64 v[34:35], v[114:115], v[116:117]
	v_fma_f64 v[34:35], v[112:113], v[32:33], -v[34:35]
	s_waitcnt vmcnt(1)
	v_add_f64 v[24:25], v[24:25], -v[34:35]
	s_waitcnt lgkmcnt(0)
	v_mul_f64 v[34:35], v[110:111], v[116:117]
	v_mul_f64 v[112:113], v[112:113], v[116:117]
	v_fma_f64 v[34:35], v[108:109], v[32:33], -v[34:35]
	v_mul_f64 v[108:109], v[108:109], v[116:117]
	v_fmac_f64_e32 v[112:113], v[114:115], v[32:33]
	v_fmac_f64_e32 v[108:109], v[110:111], v[32:33]
	v_add_f64 v[26:27], v[26:27], -v[112:113]
	s_waitcnt vmcnt(0)
	v_add_f64 v[56:57], v[56:57], -v[34:35]
	v_add_f64 v[58:59], v[58:59], -v[108:109]
	v_mov_b64_e32 v[34:35], v[116:117]
.LBB29_109:
	s_or_b64 exec, exec, s[2:3]
	v_cmp_eq_u32_e32 vcc, 12, v152
	s_waitcnt lgkmcnt(0)
	s_barrier
	s_and_saveexec_b64 s[4:5], vcc
	s_cbranch_execz .LBB29_116
; %bb.110:
	s_waitcnt vmcnt(2)
	ds_write2_b64 v153, v[28:29], v[30:31] offset1:1
	s_waitcnt vmcnt(1)
	ds_write2_b64 v154, v[24:25], v[26:27] offset0:26 offset1:27
	s_waitcnt vmcnt(0)
	ds_write2_b64 v154, v[56:57], v[58:59] offset0:28 offset1:29
	ds_read2_b64 v[108:111], v153 offset1:1
	s_waitcnt lgkmcnt(0)
	v_cmp_neq_f64_e32 vcc, 0, v[108:109]
	v_cmp_neq_f64_e64 s[2:3], 0, v[110:111]
	s_or_b64 s[2:3], vcc, s[2:3]
	s_and_b64 exec, exec, s[2:3]
	s_cbranch_execz .LBB29_116
; %bb.111:
	v_cmp_ngt_f64_e64 s[2:3], |v[108:109]|, |v[110:111]|
                                        ; implicit-def: $vgpr112_vgpr113
	s_and_saveexec_b64 s[10:11], s[2:3]
	s_xor_b64 s[2:3], exec, s[10:11]
                                        ; implicit-def: $vgpr114_vgpr115
	s_cbranch_execz .LBB29_113
; %bb.112:
	v_div_scale_f64 v[112:113], s[10:11], v[110:111], v[110:111], v[108:109]
	v_rcp_f64_e32 v[114:115], v[112:113]
	v_div_scale_f64 v[116:117], vcc, v[108:109], v[110:111], v[108:109]
	v_fma_f64 v[118:119], -v[112:113], v[114:115], 1.0
	v_fmac_f64_e32 v[114:115], v[114:115], v[118:119]
	v_fma_f64 v[118:119], -v[112:113], v[114:115], 1.0
	v_fmac_f64_e32 v[114:115], v[114:115], v[118:119]
	v_mul_f64 v[118:119], v[116:117], v[114:115]
	v_fma_f64 v[112:113], -v[112:113], v[118:119], v[116:117]
	v_div_fmas_f64 v[112:113], v[112:113], v[114:115], v[118:119]
	v_div_fixup_f64 v[112:113], v[112:113], v[110:111], v[108:109]
	v_fmac_f64_e32 v[110:111], v[108:109], v[112:113]
	v_div_scale_f64 v[108:109], s[10:11], v[110:111], v[110:111], 1.0
	v_rcp_f64_e32 v[114:115], v[108:109]
	s_nop 0
	v_fma_f64 v[116:117], -v[108:109], v[114:115], 1.0
	v_fmac_f64_e32 v[114:115], v[114:115], v[116:117]
	v_fma_f64 v[116:117], -v[108:109], v[114:115], 1.0
	v_fmac_f64_e32 v[114:115], v[114:115], v[116:117]
	v_div_scale_f64 v[116:117], vcc, 1.0, v[110:111], 1.0
	v_mul_f64 v[118:119], v[116:117], v[114:115]
	v_fma_f64 v[108:109], -v[108:109], v[118:119], v[116:117]
	s_nop 1
	v_div_fmas_f64 v[108:109], v[108:109], v[114:115], v[118:119]
	v_div_fixup_f64 v[114:115], v[108:109], v[110:111], 1.0
	v_mul_f64 v[112:113], v[112:113], v[114:115]
	v_xor_b32_e32 v115, 0x80000000, v115
                                        ; implicit-def: $vgpr108_vgpr109
.LBB29_113:
	s_andn2_saveexec_b64 s[2:3], s[2:3]
	s_cbranch_execz .LBB29_115
; %bb.114:
	v_div_scale_f64 v[112:113], s[10:11], v[108:109], v[108:109], v[110:111]
	v_rcp_f64_e32 v[114:115], v[112:113]
	v_div_scale_f64 v[116:117], vcc, v[110:111], v[108:109], v[110:111]
	v_fma_f64 v[118:119], -v[112:113], v[114:115], 1.0
	v_fmac_f64_e32 v[114:115], v[114:115], v[118:119]
	v_fma_f64 v[118:119], -v[112:113], v[114:115], 1.0
	v_fmac_f64_e32 v[114:115], v[114:115], v[118:119]
	v_mul_f64 v[118:119], v[116:117], v[114:115]
	v_fma_f64 v[112:113], -v[112:113], v[118:119], v[116:117]
	v_div_fmas_f64 v[112:113], v[112:113], v[114:115], v[118:119]
	v_div_fixup_f64 v[114:115], v[112:113], v[108:109], v[110:111]
	v_fmac_f64_e32 v[108:109], v[110:111], v[114:115]
	v_div_scale_f64 v[110:111], s[10:11], v[108:109], v[108:109], 1.0
	v_rcp_f64_e32 v[112:113], v[110:111]
	s_nop 0
	v_fma_f64 v[116:117], -v[110:111], v[112:113], 1.0
	v_fmac_f64_e32 v[112:113], v[112:113], v[116:117]
	v_fma_f64 v[116:117], -v[110:111], v[112:113], 1.0
	v_fmac_f64_e32 v[112:113], v[112:113], v[116:117]
	v_div_scale_f64 v[116:117], vcc, 1.0, v[108:109], 1.0
	v_mul_f64 v[118:119], v[116:117], v[112:113]
	v_fma_f64 v[110:111], -v[110:111], v[118:119], v[116:117]
	s_nop 1
	v_div_fmas_f64 v[110:111], v[110:111], v[112:113], v[118:119]
	v_div_fixup_f64 v[112:113], v[110:111], v[108:109], 1.0
	v_mul_f64 v[114:115], v[114:115], -v[112:113]
.LBB29_115:
	s_or_b64 exec, exec, s[2:3]
	ds_write2_b64 v153, v[112:113], v[114:115] offset1:1
.LBB29_116:
	s_or_b64 exec, exec, s[4:5]
	s_waitcnt lgkmcnt(0)
	s_barrier
	ds_read2_b64 v[108:111], v153 offset1:1
	v_cmp_lt_u32_e32 vcc, 12, v152
	s_and_saveexec_b64 s[2:3], vcc
	s_cbranch_execz .LBB29_118
; %bb.117:
	ds_read2_b64 v[112:115], v154 offset0:26 offset1:27
	ds_read2_b64 v[116:119], v154 offset0:28 offset1:29
	s_waitcnt vmcnt(2) lgkmcnt(2)
	v_mul_f64 v[156:157], v[108:109], v[30:31]
	v_fmac_f64_e32 v[156:157], v[110:111], v[28:29]
	v_mul_f64 v[30:31], v[110:111], v[30:31]
	v_fma_f64 v[28:29], v[108:109], v[28:29], -v[30:31]
	s_waitcnt lgkmcnt(1)
	v_mul_f64 v[30:31], v[114:115], v[156:157]
	v_fma_f64 v[30:31], v[112:113], v[28:29], -v[30:31]
	v_mul_f64 v[112:113], v[112:113], v[156:157]
	v_fmac_f64_e32 v[112:113], v[114:115], v[28:29]
	s_waitcnt vmcnt(1)
	v_add_f64 v[24:25], v[24:25], -v[30:31]
	v_add_f64 v[26:27], v[26:27], -v[112:113]
	s_waitcnt lgkmcnt(0)
	v_mul_f64 v[30:31], v[118:119], v[156:157]
	v_mul_f64 v[112:113], v[116:117], v[156:157]
	v_fma_f64 v[30:31], v[116:117], v[28:29], -v[30:31]
	v_fmac_f64_e32 v[112:113], v[118:119], v[28:29]
	s_waitcnt vmcnt(0)
	v_add_f64 v[56:57], v[56:57], -v[30:31]
	v_add_f64 v[58:59], v[58:59], -v[112:113]
	v_mov_b64_e32 v[30:31], v[156:157]
.LBB29_118:
	s_or_b64 exec, exec, s[2:3]
	v_cmp_eq_u32_e32 vcc, 13, v152
	s_waitcnt lgkmcnt(0)
	s_barrier
	s_and_saveexec_b64 s[4:5], vcc
	s_cbranch_execz .LBB29_125
; %bb.119:
	s_waitcnt vmcnt(1)
	ds_write2_b64 v153, v[24:25], v[26:27] offset1:1
	s_waitcnt vmcnt(0)
	ds_write2_b64 v154, v[56:57], v[58:59] offset0:28 offset1:29
	ds_read2_b64 v[112:115], v153 offset1:1
	s_waitcnt lgkmcnt(0)
	v_cmp_neq_f64_e32 vcc, 0, v[112:113]
	v_cmp_neq_f64_e64 s[2:3], 0, v[114:115]
	s_or_b64 s[2:3], vcc, s[2:3]
	s_and_b64 exec, exec, s[2:3]
	s_cbranch_execz .LBB29_125
; %bb.120:
	v_cmp_ngt_f64_e64 s[2:3], |v[112:113]|, |v[114:115]|
                                        ; implicit-def: $vgpr116_vgpr117
	s_and_saveexec_b64 s[10:11], s[2:3]
	s_xor_b64 s[2:3], exec, s[10:11]
                                        ; implicit-def: $vgpr118_vgpr119
	s_cbranch_execz .LBB29_122
; %bb.121:
	v_div_scale_f64 v[116:117], s[10:11], v[114:115], v[114:115], v[112:113]
	v_rcp_f64_e32 v[118:119], v[116:117]
	v_div_scale_f64 v[156:157], vcc, v[112:113], v[114:115], v[112:113]
	v_fma_f64 v[158:159], -v[116:117], v[118:119], 1.0
	v_fmac_f64_e32 v[118:119], v[118:119], v[158:159]
	v_fma_f64 v[158:159], -v[116:117], v[118:119], 1.0
	v_fmac_f64_e32 v[118:119], v[118:119], v[158:159]
	v_mul_f64 v[158:159], v[156:157], v[118:119]
	v_fma_f64 v[116:117], -v[116:117], v[158:159], v[156:157]
	v_div_fmas_f64 v[116:117], v[116:117], v[118:119], v[158:159]
	v_div_fixup_f64 v[116:117], v[116:117], v[114:115], v[112:113]
	v_fmac_f64_e32 v[114:115], v[112:113], v[116:117]
	v_div_scale_f64 v[112:113], s[10:11], v[114:115], v[114:115], 1.0
	v_rcp_f64_e32 v[118:119], v[112:113]
	s_nop 0
	v_fma_f64 v[156:157], -v[112:113], v[118:119], 1.0
	v_fmac_f64_e32 v[118:119], v[118:119], v[156:157]
	v_fma_f64 v[156:157], -v[112:113], v[118:119], 1.0
	v_fmac_f64_e32 v[118:119], v[118:119], v[156:157]
	v_div_scale_f64 v[156:157], vcc, 1.0, v[114:115], 1.0
	v_mul_f64 v[158:159], v[156:157], v[118:119]
	v_fma_f64 v[112:113], -v[112:113], v[158:159], v[156:157]
	s_nop 1
	v_div_fmas_f64 v[112:113], v[112:113], v[118:119], v[158:159]
	v_div_fixup_f64 v[118:119], v[112:113], v[114:115], 1.0
	v_mul_f64 v[116:117], v[116:117], v[118:119]
	v_xor_b32_e32 v119, 0x80000000, v119
                                        ; implicit-def: $vgpr112_vgpr113
.LBB29_122:
	s_andn2_saveexec_b64 s[2:3], s[2:3]
	s_cbranch_execz .LBB29_124
; %bb.123:
	v_div_scale_f64 v[116:117], s[10:11], v[112:113], v[112:113], v[114:115]
	v_rcp_f64_e32 v[118:119], v[116:117]
	v_div_scale_f64 v[156:157], vcc, v[114:115], v[112:113], v[114:115]
	v_fma_f64 v[158:159], -v[116:117], v[118:119], 1.0
	v_fmac_f64_e32 v[118:119], v[118:119], v[158:159]
	v_fma_f64 v[158:159], -v[116:117], v[118:119], 1.0
	v_fmac_f64_e32 v[118:119], v[118:119], v[158:159]
	v_mul_f64 v[158:159], v[156:157], v[118:119]
	v_fma_f64 v[116:117], -v[116:117], v[158:159], v[156:157]
	v_div_fmas_f64 v[116:117], v[116:117], v[118:119], v[158:159]
	v_div_fixup_f64 v[118:119], v[116:117], v[112:113], v[114:115]
	v_fmac_f64_e32 v[112:113], v[114:115], v[118:119]
	v_div_scale_f64 v[114:115], s[10:11], v[112:113], v[112:113], 1.0
	v_rcp_f64_e32 v[116:117], v[114:115]
	s_nop 0
	v_fma_f64 v[156:157], -v[114:115], v[116:117], 1.0
	v_fmac_f64_e32 v[116:117], v[116:117], v[156:157]
	v_fma_f64 v[156:157], -v[114:115], v[116:117], 1.0
	v_fmac_f64_e32 v[116:117], v[116:117], v[156:157]
	v_div_scale_f64 v[156:157], vcc, 1.0, v[112:113], 1.0
	v_mul_f64 v[158:159], v[156:157], v[116:117]
	v_fma_f64 v[114:115], -v[114:115], v[158:159], v[156:157]
	s_nop 1
	v_div_fmas_f64 v[114:115], v[114:115], v[116:117], v[158:159]
	v_div_fixup_f64 v[116:117], v[114:115], v[112:113], 1.0
	v_mul_f64 v[118:119], v[118:119], -v[116:117]
.LBB29_124:
	s_or_b64 exec, exec, s[2:3]
	ds_write2_b64 v153, v[116:117], v[118:119] offset1:1
.LBB29_125:
	s_or_b64 exec, exec, s[4:5]
	s_waitcnt lgkmcnt(0)
	s_barrier
	ds_read2_b64 v[112:115], v153 offset1:1
	v_cmp_lt_u32_e32 vcc, 13, v152
	s_and_saveexec_b64 s[2:3], vcc
	s_cbranch_execz .LBB29_127
; %bb.126:
	ds_read2_b64 v[116:119], v154 offset0:28 offset1:29
	s_waitcnt vmcnt(1) lgkmcnt(1)
	v_mul_f64 v[154:155], v[112:113], v[26:27]
	v_mul_f64 v[26:27], v[114:115], v[26:27]
	v_fmac_f64_e32 v[154:155], v[114:115], v[24:25]
	v_fma_f64 v[24:25], v[112:113], v[24:25], -v[26:27]
	s_waitcnt lgkmcnt(0)
	v_mul_f64 v[26:27], v[118:119], v[154:155]
	v_fma_f64 v[26:27], v[116:117], v[24:25], -v[26:27]
	v_mul_f64 v[116:117], v[116:117], v[154:155]
	v_fmac_f64_e32 v[116:117], v[118:119], v[24:25]
	s_waitcnt vmcnt(0)
	v_add_f64 v[56:57], v[56:57], -v[26:27]
	v_add_f64 v[58:59], v[58:59], -v[116:117]
	v_mov_b64_e32 v[26:27], v[154:155]
.LBB29_127:
	s_or_b64 exec, exec, s[2:3]
	v_cmp_eq_u32_e32 vcc, 14, v152
	s_waitcnt lgkmcnt(0)
	s_barrier
	s_and_saveexec_b64 s[4:5], vcc
	s_cbranch_execz .LBB29_134
; %bb.128:
	s_waitcnt vmcnt(0)
	v_cmp_neq_f64_e32 vcc, 0, v[56:57]
	v_cmp_neq_f64_e64 s[2:3], 0, v[58:59]
	s_or_b64 s[2:3], vcc, s[2:3]
	ds_write2_b64 v153, v[56:57], v[58:59] offset1:1
	s_and_b64 exec, exec, s[2:3]
	s_cbranch_execz .LBB29_134
; %bb.129:
	v_cmp_ngt_f64_e64 s[2:3], |v[56:57]|, |v[58:59]|
                                        ; implicit-def: $vgpr116_vgpr117
	s_and_saveexec_b64 s[10:11], s[2:3]
	s_xor_b64 s[2:3], exec, s[10:11]
                                        ; implicit-def: $vgpr118_vgpr119
	s_cbranch_execz .LBB29_131
; %bb.130:
	v_div_scale_f64 v[116:117], s[10:11], v[58:59], v[58:59], v[56:57]
	v_rcp_f64_e32 v[118:119], v[116:117]
	v_div_scale_f64 v[154:155], vcc, v[56:57], v[58:59], v[56:57]
	v_fma_f64 v[156:157], -v[116:117], v[118:119], 1.0
	v_fmac_f64_e32 v[118:119], v[118:119], v[156:157]
	v_fma_f64 v[156:157], -v[116:117], v[118:119], 1.0
	v_fmac_f64_e32 v[118:119], v[118:119], v[156:157]
	v_mul_f64 v[156:157], v[154:155], v[118:119]
	v_fma_f64 v[116:117], -v[116:117], v[156:157], v[154:155]
	v_div_fmas_f64 v[116:117], v[116:117], v[118:119], v[156:157]
	v_div_fixup_f64 v[116:117], v[116:117], v[58:59], v[56:57]
	v_fma_f64 v[118:119], v[56:57], v[116:117], v[58:59]
	v_div_scale_f64 v[154:155], s[10:11], v[118:119], v[118:119], 1.0
	v_rcp_f64_e32 v[156:157], v[154:155]
	s_nop 0
	v_fma_f64 v[158:159], -v[154:155], v[156:157], 1.0
	v_fmac_f64_e32 v[156:157], v[156:157], v[158:159]
	v_fma_f64 v[158:159], -v[154:155], v[156:157], 1.0
	v_fmac_f64_e32 v[156:157], v[156:157], v[158:159]
	v_div_scale_f64 v[158:159], vcc, 1.0, v[118:119], 1.0
	v_mul_f64 v[160:161], v[158:159], v[156:157]
	v_fma_f64 v[154:155], -v[154:155], v[160:161], v[158:159]
	s_nop 1
	v_div_fmas_f64 v[154:155], v[154:155], v[156:157], v[160:161]
	v_div_fixup_f64 v[118:119], v[154:155], v[118:119], 1.0
	v_mul_f64 v[116:117], v[116:117], v[118:119]
	v_xor_b32_e32 v119, 0x80000000, v119
.LBB29_131:
	s_andn2_saveexec_b64 s[2:3], s[2:3]
	s_cbranch_execz .LBB29_133
; %bb.132:
	v_div_scale_f64 v[116:117], s[10:11], v[56:57], v[56:57], v[58:59]
	v_rcp_f64_e32 v[118:119], v[116:117]
	v_div_scale_f64 v[154:155], vcc, v[58:59], v[56:57], v[58:59]
	v_fma_f64 v[156:157], -v[116:117], v[118:119], 1.0
	v_fmac_f64_e32 v[118:119], v[118:119], v[156:157]
	v_fma_f64 v[156:157], -v[116:117], v[118:119], 1.0
	v_fmac_f64_e32 v[118:119], v[118:119], v[156:157]
	v_mul_f64 v[156:157], v[154:155], v[118:119]
	v_fma_f64 v[116:117], -v[116:117], v[156:157], v[154:155]
	v_div_fmas_f64 v[116:117], v[116:117], v[118:119], v[156:157]
	v_div_fixup_f64 v[118:119], v[116:117], v[56:57], v[58:59]
	v_fma_f64 v[116:117], v[58:59], v[118:119], v[56:57]
	v_div_scale_f64 v[154:155], s[10:11], v[116:117], v[116:117], 1.0
	v_rcp_f64_e32 v[156:157], v[154:155]
	s_nop 0
	v_fma_f64 v[158:159], -v[154:155], v[156:157], 1.0
	v_fmac_f64_e32 v[156:157], v[156:157], v[158:159]
	v_fma_f64 v[158:159], -v[154:155], v[156:157], 1.0
	v_fmac_f64_e32 v[156:157], v[156:157], v[158:159]
	v_div_scale_f64 v[158:159], vcc, 1.0, v[116:117], 1.0
	v_mul_f64 v[160:161], v[158:159], v[156:157]
	v_fma_f64 v[154:155], -v[154:155], v[160:161], v[158:159]
	s_nop 1
	v_div_fmas_f64 v[154:155], v[154:155], v[156:157], v[160:161]
	v_div_fixup_f64 v[116:117], v[154:155], v[116:117], 1.0
	v_mul_f64 v[118:119], v[118:119], -v[116:117]
.LBB29_133:
	s_or_b64 exec, exec, s[2:3]
	ds_write2_b64 v153, v[116:117], v[118:119] offset1:1
.LBB29_134:
	s_or_b64 exec, exec, s[4:5]
	s_waitcnt lgkmcnt(0)
	s_barrier
	ds_read2_b64 v[116:119], v153 offset1:1
	s_waitcnt lgkmcnt(0)
	s_barrier
	s_and_saveexec_b64 s[2:3], s[0:1]
	s_cbranch_execz .LBB29_137
; %bb.135:
	v_cmp_eq_f64_e32 vcc, 0, v[60:61]
	v_mov_b32_e32 v60, s6
	v_mov_b32_e32 v61, s7
	v_lshl_add_u64 v[60:61], v[142:143], 2, v[60:61]
	v_cmp_eq_f64_e64 s[0:1], 0, v[62:63]
	global_load_dword v63, v[60:61], off
	s_and_b64 s[4:5], vcc, s[0:1]
	v_cmp_neq_f64_e32 vcc, 0, v[64:65]
	v_cmp_neq_f64_e64 s[0:1], 0, v[66:67]
	s_or_b64 s[0:1], vcc, s[0:1]
	v_cndmask_b32_e64 v62, 0, 1, s[4:5]
	s_or_b64 vcc, s[0:1], s[4:5]
	v_cndmask_b32_e32 v62, 2, v62, vcc
	v_cmp_eq_f64_e32 vcc, 0, v[68:69]
	v_cmp_eq_f64_e64 s[0:1], 0, v[70:71]
	s_and_b64 s[0:1], vcc, s[0:1]
	v_cmp_eq_u32_e32 vcc, 0, v62
	s_and_b64 s[0:1], s[0:1], vcc
	v_cndmask_b32_e64 v62, v62, 3, s[0:1]
	v_cmp_eq_f64_e32 vcc, 0, v[72:73]
	v_cmp_eq_f64_e64 s[0:1], 0, v[74:75]
	s_and_b64 s[0:1], vcc, s[0:1]
	v_cmp_eq_u32_e32 vcc, 0, v62
	s_and_b64 s[0:1], s[0:1], vcc
	v_cndmask_b32_e64 v62, v62, 4, s[0:1]
	;; [unrolled: 6-line block ×13, first 2 shown]
	s_waitcnt vmcnt(0)
	v_cmp_eq_u32_e32 vcc, 0, v63
	v_cmp_ne_u32_e64 s[0:1], 0, v62
	s_and_b64 s[0:1], vcc, s[0:1]
	s_and_b64 exec, exec, s[0:1]
	s_cbranch_execz .LBB29_137
; %bb.136:
	v_add_u32_e32 v62, s9, v62
	global_store_dword v[60:61], v62, off
.LBB29_137:
	s_or_b64 exec, exec, s[2:3]
	s_waitcnt vmcnt(0)
	v_mul_f64 v[60:61], v[118:119], v[58:59]
	v_mul_f64 v[62:63], v[116:117], v[58:59]
	v_fma_f64 v[60:61], v[116:117], v[56:57], -v[60:61]
	v_fmac_f64_e32 v[62:63], v[118:119], v[56:57]
	v_cmp_lt_u32_e32 vcc, 14, v152
	s_nop 1
	v_cndmask_b32_e32 v59, v59, v63, vcc
	v_cndmask_b32_e32 v58, v58, v62, vcc
	v_cndmask_b32_e32 v57, v57, v61, vcc
	v_cndmask_b32_e32 v56, v56, v60, vcc
	global_store_dwordx4 v[120:121], v[4:7], off
	global_store_dwordx4 v[122:123], v[0:3], off
	;; [unrolled: 1-line block ×15, first 2 shown]
.LBB29_138:
	s_endpgm
	.section	.rodata,"a",@progbits
	.p2align	6, 0x0
	.amdhsa_kernel _ZN9rocsolver6v33100L23getf2_npvt_small_kernelILi15E19rocblas_complex_numIdEiiPS3_EEvT1_T3_lS5_lPT2_S5_S5_
		.amdhsa_group_segment_fixed_size 0
		.amdhsa_private_segment_fixed_size 0
		.amdhsa_kernarg_size 312
		.amdhsa_user_sgpr_count 2
		.amdhsa_user_sgpr_dispatch_ptr 0
		.amdhsa_user_sgpr_queue_ptr 0
		.amdhsa_user_sgpr_kernarg_segment_ptr 1
		.amdhsa_user_sgpr_dispatch_id 0
		.amdhsa_user_sgpr_kernarg_preload_length 0
		.amdhsa_user_sgpr_kernarg_preload_offset 0
		.amdhsa_user_sgpr_private_segment_size 0
		.amdhsa_uses_dynamic_stack 0
		.amdhsa_enable_private_segment 0
		.amdhsa_system_sgpr_workgroup_id_x 1
		.amdhsa_system_sgpr_workgroup_id_y 1
		.amdhsa_system_sgpr_workgroup_id_z 0
		.amdhsa_system_sgpr_workgroup_info 0
		.amdhsa_system_vgpr_workitem_id 1
		.amdhsa_next_free_vgpr 162
		.amdhsa_next_free_sgpr 16
		.amdhsa_accum_offset 164
		.amdhsa_reserve_vcc 1
		.amdhsa_float_round_mode_32 0
		.amdhsa_float_round_mode_16_64 0
		.amdhsa_float_denorm_mode_32 3
		.amdhsa_float_denorm_mode_16_64 3
		.amdhsa_dx10_clamp 1
		.amdhsa_ieee_mode 1
		.amdhsa_fp16_overflow 0
		.amdhsa_tg_split 0
		.amdhsa_exception_fp_ieee_invalid_op 0
		.amdhsa_exception_fp_denorm_src 0
		.amdhsa_exception_fp_ieee_div_zero 0
		.amdhsa_exception_fp_ieee_overflow 0
		.amdhsa_exception_fp_ieee_underflow 0
		.amdhsa_exception_fp_ieee_inexact 0
		.amdhsa_exception_int_div_zero 0
	.end_amdhsa_kernel
	.section	.text._ZN9rocsolver6v33100L23getf2_npvt_small_kernelILi15E19rocblas_complex_numIdEiiPS3_EEvT1_T3_lS5_lPT2_S5_S5_,"axG",@progbits,_ZN9rocsolver6v33100L23getf2_npvt_small_kernelILi15E19rocblas_complex_numIdEiiPS3_EEvT1_T3_lS5_lPT2_S5_S5_,comdat
.Lfunc_end29:
	.size	_ZN9rocsolver6v33100L23getf2_npvt_small_kernelILi15E19rocblas_complex_numIdEiiPS3_EEvT1_T3_lS5_lPT2_S5_S5_, .Lfunc_end29-_ZN9rocsolver6v33100L23getf2_npvt_small_kernelILi15E19rocblas_complex_numIdEiiPS3_EEvT1_T3_lS5_lPT2_S5_S5_
                                        ; -- End function
	.set _ZN9rocsolver6v33100L23getf2_npvt_small_kernelILi15E19rocblas_complex_numIdEiiPS3_EEvT1_T3_lS5_lPT2_S5_S5_.num_vgpr, 162
	.set _ZN9rocsolver6v33100L23getf2_npvt_small_kernelILi15E19rocblas_complex_numIdEiiPS3_EEvT1_T3_lS5_lPT2_S5_S5_.num_agpr, 0
	.set _ZN9rocsolver6v33100L23getf2_npvt_small_kernelILi15E19rocblas_complex_numIdEiiPS3_EEvT1_T3_lS5_lPT2_S5_S5_.numbered_sgpr, 16
	.set _ZN9rocsolver6v33100L23getf2_npvt_small_kernelILi15E19rocblas_complex_numIdEiiPS3_EEvT1_T3_lS5_lPT2_S5_S5_.num_named_barrier, 0
	.set _ZN9rocsolver6v33100L23getf2_npvt_small_kernelILi15E19rocblas_complex_numIdEiiPS3_EEvT1_T3_lS5_lPT2_S5_S5_.private_seg_size, 0
	.set _ZN9rocsolver6v33100L23getf2_npvt_small_kernelILi15E19rocblas_complex_numIdEiiPS3_EEvT1_T3_lS5_lPT2_S5_S5_.uses_vcc, 1
	.set _ZN9rocsolver6v33100L23getf2_npvt_small_kernelILi15E19rocblas_complex_numIdEiiPS3_EEvT1_T3_lS5_lPT2_S5_S5_.uses_flat_scratch, 0
	.set _ZN9rocsolver6v33100L23getf2_npvt_small_kernelILi15E19rocblas_complex_numIdEiiPS3_EEvT1_T3_lS5_lPT2_S5_S5_.has_dyn_sized_stack, 0
	.set _ZN9rocsolver6v33100L23getf2_npvt_small_kernelILi15E19rocblas_complex_numIdEiiPS3_EEvT1_T3_lS5_lPT2_S5_S5_.has_recursion, 0
	.set _ZN9rocsolver6v33100L23getf2_npvt_small_kernelILi15E19rocblas_complex_numIdEiiPS3_EEvT1_T3_lS5_lPT2_S5_S5_.has_indirect_call, 0
	.section	.AMDGPU.csdata,"",@progbits
; Kernel info:
; codeLenInByte = 16748
; TotalNumSgprs: 22
; NumVgprs: 162
; NumAgprs: 0
; TotalNumVgprs: 162
; ScratchSize: 0
; MemoryBound: 1
; FloatMode: 240
; IeeeMode: 1
; LDSByteSize: 0 bytes/workgroup (compile time only)
; SGPRBlocks: 2
; VGPRBlocks: 20
; NumSGPRsForWavesPerEU: 22
; NumVGPRsForWavesPerEU: 162
; AccumOffset: 164
; Occupancy: 3
; WaveLimiterHint : 0
; COMPUTE_PGM_RSRC2:SCRATCH_EN: 0
; COMPUTE_PGM_RSRC2:USER_SGPR: 2
; COMPUTE_PGM_RSRC2:TRAP_HANDLER: 0
; COMPUTE_PGM_RSRC2:TGID_X_EN: 1
; COMPUTE_PGM_RSRC2:TGID_Y_EN: 1
; COMPUTE_PGM_RSRC2:TGID_Z_EN: 0
; COMPUTE_PGM_RSRC2:TIDIG_COMP_CNT: 1
; COMPUTE_PGM_RSRC3_GFX90A:ACCUM_OFFSET: 40
; COMPUTE_PGM_RSRC3_GFX90A:TG_SPLIT: 0
	.section	.text._ZN9rocsolver6v33100L18getf2_small_kernelILi16E19rocblas_complex_numIdEiiPS3_EEvT1_T3_lS5_lPS5_llPT2_S5_S5_S7_l,"axG",@progbits,_ZN9rocsolver6v33100L18getf2_small_kernelILi16E19rocblas_complex_numIdEiiPS3_EEvT1_T3_lS5_lPS5_llPT2_S5_S5_S7_l,comdat
	.globl	_ZN9rocsolver6v33100L18getf2_small_kernelILi16E19rocblas_complex_numIdEiiPS3_EEvT1_T3_lS5_lPS5_llPT2_S5_S5_S7_l ; -- Begin function _ZN9rocsolver6v33100L18getf2_small_kernelILi16E19rocblas_complex_numIdEiiPS3_EEvT1_T3_lS5_lPS5_llPT2_S5_S5_S7_l
	.p2align	8
	.type	_ZN9rocsolver6v33100L18getf2_small_kernelILi16E19rocblas_complex_numIdEiiPS3_EEvT1_T3_lS5_lPS5_llPT2_S5_S5_S7_l,@function
_ZN9rocsolver6v33100L18getf2_small_kernelILi16E19rocblas_complex_numIdEiiPS3_EEvT1_T3_lS5_lPS5_llPT2_S5_S5_S7_l: ; @_ZN9rocsolver6v33100L18getf2_small_kernelILi16E19rocblas_complex_numIdEiiPS3_EEvT1_T3_lS5_lPS5_llPT2_S5_S5_S7_l
; %bb.0:
	s_load_dword s2, s[0:1], 0x6c
	s_load_dwordx2 s[12:13], s[0:1], 0x48
	v_bfe_u32 v64, v0, 10, 10
	s_waitcnt lgkmcnt(0)
	s_lshr_b32 s2, s2, 16
	s_mul_i32 s3, s3, s2
	v_add_u32_e32 v70, s3, v64
	v_cmp_gt_i32_e32 vcc, s12, v70
	s_and_saveexec_b64 s[2:3], vcc
	s_cbranch_execz .LBB30_337
; %bb.1:
	s_load_dwordx4 s[4:7], s[0:1], 0x50
	v_ashrrev_i32_e32 v71, 31, v70
	v_mov_b64_e32 v[72:73], 0
	s_waitcnt lgkmcnt(0)
	s_cmp_eq_u64 s[4:5], 0
	s_cselect_b64 s[14:15], -1, 0
	s_and_b64 vcc, exec, s[14:15]
	s_cbranch_vccnz .LBB30_3
; %bb.2:
	v_mul_lo_u32 v1, s7, v70
	v_mul_lo_u32 v4, s6, v71
	v_mad_u64_u32 v[2:3], s[2:3], s6, v70, 0
	v_add3_u32 v3, v3, v4, v1
	v_lshl_add_u64 v[72:73], v[2:3], 2, s[4:5]
.LBB30_3:
	s_load_dwordx4 s[16:19], s[0:1], 0x8
	s_load_dwordx8 s[4:11], s[0:1], 0x20
	s_load_dword s2, s[0:1], 0x18
	s_load_dword s20, s[0:1], 0x0
	v_and_b32_e32 v78, 0x3ff, v0
	s_waitcnt lgkmcnt(0)
	v_mov_b32_e32 v2, s16
	v_mul_lo_u32 v1, s5, v70
	v_mul_lo_u32 v6, s4, v71
	v_mad_u64_u32 v[4:5], s[4:5], s4, v70, 0
	v_mov_b32_e32 v3, s17
	v_add3_u32 v5, v5, v6, v1
	v_lshl_add_u64 v[2:3], v[4:5], 4, v[2:3]
	s_add_i32 s12, s2, s2
	v_lshl_add_u64 v[68:69], s[18:19], 4, v[2:3]
	v_add_u32_e32 v2, s12, v78
	v_add_u32_e32 v4, s2, v2
	v_ashrrev_i32_e32 v3, 31, v2
	v_ashrrev_i32_e32 v5, 31, v4
	v_add_u32_e32 v6, s2, v4
	v_lshl_add_u64 v[2:3], v[2:3], 4, v[68:69]
	v_lshl_add_u64 v[4:5], v[4:5], 4, v[68:69]
	v_add_u32_e32 v8, s2, v6
	v_lshlrev_b32_e32 v74, 4, v78
	v_mov_b32_e32 v75, 0
	v_ashrrev_i32_e32 v7, 31, v6
	global_load_dwordx4 v[48:51], v[2:3], off
	global_load_dwordx4 v[40:43], v[4:5], off
	v_add_u32_e32 v4, s2, v8
	v_lshl_add_u64 v[0:1], v[68:69], 0, v[74:75]
	s_ashr_i32 s3, s2, 31
	v_lshl_add_u64 v[2:3], v[6:7], 4, v[68:69]
	v_ashrrev_i32_e32 v9, 31, v8
	v_add_u32_e32 v6, s2, v4
	v_lshl_add_u64 v[10:11], s[2:3], 4, v[0:1]
	global_load_dwordx4 v[56:59], v[0:1], off
	global_load_dwordx4 v[52:55], v[10:11], off
	v_lshl_add_u64 v[0:1], v[8:9], 4, v[68:69]
	v_ashrrev_i32_e32 v5, 31, v4
	global_load_dwordx4 v[44:47], v[2:3], off
	global_load_dwordx4 v[32:35], v[0:1], off
	v_ashrrev_i32_e32 v7, 31, v6
	v_add_u32_e32 v2, s2, v6
	v_lshl_add_u64 v[0:1], v[4:5], 4, v[68:69]
	v_lshl_add_u64 v[4:5], v[6:7], 4, v[68:69]
	v_add_u32_e32 v6, s2, v2
	v_ashrrev_i32_e32 v3, 31, v2
	global_load_dwordx4 v[28:31], v[0:1], off
	global_load_dwordx4 v[20:23], v[4:5], off
	v_add_u32_e32 v0, s2, v6
	v_lshl_add_u64 v[66:67], v[2:3], 4, v[68:69]
	v_ashrrev_i32_e32 v1, 31, v0
	v_add_u32_e32 v2, s2, v0
	v_lshl_add_u64 v[80:81], v[0:1], 4, v[68:69]
	v_ashrrev_i32_e32 v3, 31, v2
	v_add_u32_e32 v0, s2, v2
	v_lshl_add_u64 v[82:83], v[2:3], 4, v[68:69]
	v_ashrrev_i32_e32 v1, 31, v0
	v_add_u32_e32 v2, s2, v0
	v_lshl_add_u64 v[84:85], v[0:1], 4, v[68:69]
	v_ashrrev_i32_e32 v3, 31, v2
	v_add_u32_e32 v0, s2, v2
	v_lshl_add_u64 v[86:87], v[2:3], 4, v[68:69]
	v_add_u32_e32 v2, s2, v0
	v_ashrrev_i32_e32 v7, 31, v6
	v_ashrrev_i32_e32 v1, 31, v0
	;; [unrolled: 1-line block ×3, first 2 shown]
	v_lshl_add_u64 v[76:77], v[6:7], 4, v[68:69]
	v_lshl_add_u64 v[88:89], v[0:1], 4, v[68:69]
	;; [unrolled: 1-line block ×3, first 2 shown]
	global_load_dwordx4 v[36:39], v[66:67], off
	global_load_dwordx4 v[24:27], v[76:77], off
	;; [unrolled: 1-line block ×8, first 2 shown]
	s_load_dwordx2 s[4:5], s[0:1], 0x40
	s_max_i32 s0, s20, 16
	v_mul_lo_u32 v77, s0, v64
	v_lshl_add_u32 v76, v77, 4, 0
	v_add_u32_e32 v64, v76, v74
	s_cmp_lt_i32 s20, 2
	v_lshlrev_b32_e32 v80, 4, v77
	s_waitcnt vmcnt(13)
	ds_write2_b64 v64, v[56:57], v[58:59] offset1:1
	s_waitcnt lgkmcnt(0)
	s_barrier
	ds_read2_b64 v[64:67], v76 offset1:1
	s_cbranch_scc1 .LBB30_6
; %bb.4:
	v_add3_u32 v74, v80, 0, 16
	s_mov_b32 s16, 1
	v_mov_b32_e32 v75, 0
.LBB30_5:                               ; =>This Inner Loop Header: Depth=1
	ds_read2_b64 v[82:85], v74 offset1:1
	s_waitcnt lgkmcnt(1)
	v_xor_b32_e32 v77, 0x80000000, v65
	v_xor_b32_e32 v79, 0x80000000, v67
	v_cmp_gt_f64_e32 vcc, 0, v[66:67]
	v_cmp_gt_f64_e64 s[0:1], 0, v[64:65]
	v_mov_b32_e32 v86, v64
	v_mov_b32_e32 v88, v66
	v_cndmask_b32_e64 v87, v65, v77, s[0:1]
	v_cndmask_b32_e32 v89, v67, v79, vcc
	s_waitcnt lgkmcnt(0)
	v_xor_b32_e32 v77, 0x80000000, v83
	v_xor_b32_e32 v79, 0x80000000, v85
	v_cmp_gt_f64_e32 vcc, 0, v[84:85]
	v_cmp_gt_f64_e64 s[0:1], 0, v[82:83]
	v_add_f64 v[86:87], v[86:87], v[88:89]
	v_mov_b32_e32 v88, v82
	v_mov_b32_e32 v90, v84
	v_cndmask_b32_e64 v89, v83, v77, s[0:1]
	v_cndmask_b32_e32 v91, v85, v79, vcc
	v_add_f64 v[88:89], v[88:89], v[90:91]
	v_mov_b32_e32 v81, s16
	s_add_i32 s16, s16, 1
	v_cmp_lt_f64_e32 vcc, v[86:87], v[88:89]
	v_add_u32_e32 v74, 16, v74
	s_cmp_eq_u32 s20, s16
	v_cndmask_b32_e32 v65, v65, v83, vcc
	v_cndmask_b32_e32 v64, v64, v82, vcc
	;; [unrolled: 1-line block ×5, first 2 shown]
	s_cbranch_scc0 .LBB30_5
.LBB30_6:
	s_waitcnt lgkmcnt(0)
	v_cmp_neq_f64_e32 vcc, 0, v[64:65]
	v_cmp_neq_f64_e64 s[0:1], 0, v[66:67]
	s_or_b64 s[16:17], vcc, s[0:1]
	v_mov_b32_e32 v79, 1
	v_mov_b32_e32 v81, 1
	s_and_saveexec_b64 s[0:1], s[16:17]
	s_cbranch_execz .LBB30_12
; %bb.7:
	v_cmp_ngt_f64_e64 s[16:17], |v[64:65]|, |v[66:67]|
	s_and_saveexec_b64 s[18:19], s[16:17]
	s_xor_b64 s[16:17], exec, s[18:19]
	s_cbranch_execz .LBB30_9
; %bb.8:
	v_div_scale_f64 v[82:83], s[18:19], v[66:67], v[66:67], v[64:65]
	v_rcp_f64_e32 v[84:85], v[82:83]
	v_div_scale_f64 v[86:87], vcc, v[64:65], v[66:67], v[64:65]
	v_fma_f64 v[88:89], -v[82:83], v[84:85], 1.0
	v_fmac_f64_e32 v[84:85], v[84:85], v[88:89]
	v_fma_f64 v[88:89], -v[82:83], v[84:85], 1.0
	v_fmac_f64_e32 v[84:85], v[84:85], v[88:89]
	v_mul_f64 v[88:89], v[86:87], v[84:85]
	v_fma_f64 v[82:83], -v[82:83], v[88:89], v[86:87]
	v_div_fmas_f64 v[82:83], v[82:83], v[84:85], v[88:89]
	v_div_fixup_f64 v[82:83], v[82:83], v[66:67], v[64:65]
	v_fmac_f64_e32 v[66:67], v[64:65], v[82:83]
	v_div_scale_f64 v[64:65], s[18:19], v[66:67], v[66:67], 1.0
	v_rcp_f64_e32 v[84:85], v[64:65]
	s_nop 0
	v_fma_f64 v[86:87], -v[64:65], v[84:85], 1.0
	v_fmac_f64_e32 v[84:85], v[84:85], v[86:87]
	v_fma_f64 v[86:87], -v[64:65], v[84:85], 1.0
	v_fmac_f64_e32 v[84:85], v[84:85], v[86:87]
	v_div_scale_f64 v[86:87], vcc, 1.0, v[66:67], 1.0
	v_mul_f64 v[88:89], v[86:87], v[84:85]
	v_fma_f64 v[64:65], -v[64:65], v[88:89], v[86:87]
	s_nop 1
	v_div_fmas_f64 v[64:65], v[64:65], v[84:85], v[88:89]
	v_div_fixup_f64 v[66:67], v[64:65], v[66:67], 1.0
	v_mul_f64 v[64:65], v[82:83], v[66:67]
	v_xor_b32_e32 v67, 0x80000000, v67
.LBB30_9:
	s_andn2_saveexec_b64 s[16:17], s[16:17]
	s_cbranch_execz .LBB30_11
; %bb.10:
	v_div_scale_f64 v[82:83], s[18:19], v[64:65], v[64:65], v[66:67]
	v_rcp_f64_e32 v[84:85], v[82:83]
	v_div_scale_f64 v[86:87], vcc, v[66:67], v[64:65], v[66:67]
	v_fma_f64 v[88:89], -v[82:83], v[84:85], 1.0
	v_fmac_f64_e32 v[84:85], v[84:85], v[88:89]
	v_fma_f64 v[88:89], -v[82:83], v[84:85], 1.0
	v_fmac_f64_e32 v[84:85], v[84:85], v[88:89]
	v_mul_f64 v[88:89], v[86:87], v[84:85]
	v_fma_f64 v[82:83], -v[82:83], v[88:89], v[86:87]
	v_div_fmas_f64 v[82:83], v[82:83], v[84:85], v[88:89]
	v_div_fixup_f64 v[82:83], v[82:83], v[64:65], v[66:67]
	v_fmac_f64_e32 v[64:65], v[66:67], v[82:83]
	v_div_scale_f64 v[66:67], s[18:19], v[64:65], v[64:65], 1.0
	v_rcp_f64_e32 v[84:85], v[66:67]
	s_nop 0
	v_fma_f64 v[86:87], -v[66:67], v[84:85], 1.0
	v_fmac_f64_e32 v[84:85], v[84:85], v[86:87]
	v_fma_f64 v[86:87], -v[66:67], v[84:85], 1.0
	v_fmac_f64_e32 v[84:85], v[84:85], v[86:87]
	v_div_scale_f64 v[86:87], vcc, 1.0, v[64:65], 1.0
	v_mul_f64 v[88:89], v[86:87], v[84:85]
	v_fma_f64 v[66:67], -v[66:67], v[88:89], v[86:87]
	s_nop 1
	v_div_fmas_f64 v[66:67], v[66:67], v[84:85], v[88:89]
	v_div_fixup_f64 v[64:65], v[66:67], v[64:65], 1.0
	v_mul_f64 v[66:67], v[82:83], -v[64:65]
.LBB30_11:
	s_or_b64 exec, exec, s[16:17]
	v_mov_b32_e32 v81, 0
	v_mov_b32_e32 v79, 2
.LBB30_12:
	s_or_b64 exec, exec, s[0:1]
	v_cmp_ne_u32_e32 vcc, v78, v75
	s_and_saveexec_b64 s[0:1], vcc
	s_xor_b64 s[0:1], exec, s[0:1]
	s_cbranch_execz .LBB30_18
; %bb.13:
	v_cmp_eq_u32_e32 vcc, 0, v78
	s_and_saveexec_b64 s[16:17], vcc
	s_cbranch_execz .LBB30_17
; %bb.14:
	v_cmp_ne_u32_e32 vcc, 0, v75
	s_xor_b64 s[18:19], s[14:15], -1
	s_and_b64 s[22:23], s[18:19], vcc
	s_and_saveexec_b64 s[18:19], s[22:23]
	s_cbranch_execz .LBB30_16
; %bb.15:
	v_ashrrev_i32_e32 v83, 31, v75
	v_mov_b32_e32 v82, v75
	v_lshl_add_u64 v[82:83], v[82:83], 2, v[72:73]
	global_load_dword v74, v[82:83], off
	global_load_dword v77, v[72:73], off
	s_waitcnt vmcnt(1)
	global_store_dword v[72:73], v74, off
	s_waitcnt vmcnt(1)
	global_store_dword v[82:83], v77, off
.LBB30_16:
	s_or_b64 exec, exec, s[18:19]
	v_mov_b32_e32 v78, v75
.LBB30_17:
	s_or_b64 exec, exec, s[16:17]
.LBB30_18:
	s_or_saveexec_b64 s[0:1], s[0:1]
	v_mov_b32_e32 v77, v78
	s_xor_b64 exec, exec, s[0:1]
	s_cbranch_execz .LBB30_20
; %bb.19:
	v_mov_b32_e32 v77, 0
	s_waitcnt vmcnt(12)
	ds_write2_b64 v76, v[52:53], v[54:55] offset0:2 offset1:3
	ds_write2_b64 v76, v[48:49], v[50:51] offset0:4 offset1:5
	;; [unrolled: 1-line block ×3, first 2 shown]
	s_waitcnt vmcnt(11)
	ds_write2_b64 v76, v[44:45], v[46:47] offset0:8 offset1:9
	s_waitcnt vmcnt(10)
	ds_write2_b64 v76, v[32:33], v[34:35] offset0:10 offset1:11
	;; [unrolled: 2-line block ×12, first 2 shown]
.LBB30_20:
	s_or_b64 exec, exec, s[0:1]
	v_cmp_lt_i32_e32 vcc, 0, v77
	s_waitcnt lgkmcnt(0)
	s_barrier
	s_and_saveexec_b64 s[0:1], vcc
	s_cbranch_execz .LBB30_22
; %bb.21:
	ds_read2_b64 v[82:85], v76 offset0:2 offset1:3
	v_mul_f64 v[74:75], v[64:65], v[58:59]
	v_fmac_f64_e32 v[74:75], v[66:67], v[56:57]
	v_mul_f64 v[58:59], v[66:67], v[58:59]
	v_fma_f64 v[56:57], v[64:65], v[56:57], -v[58:59]
	ds_read2_b64 v[64:67], v76 offset0:4 offset1:5
	s_waitcnt lgkmcnt(1)
	v_mul_f64 v[58:59], v[84:85], v[74:75]
	v_fma_f64 v[58:59], v[82:83], v[56:57], -v[58:59]
	v_mul_f64 v[82:83], v[82:83], v[74:75]
	v_fmac_f64_e32 v[82:83], v[84:85], v[56:57]
	s_waitcnt vmcnt(12)
	v_add_f64 v[54:55], v[54:55], -v[82:83]
	ds_read2_b64 v[82:85], v76 offset0:6 offset1:7
	v_add_f64 v[52:53], v[52:53], -v[58:59]
	s_waitcnt lgkmcnt(1)
	v_mul_f64 v[58:59], v[66:67], v[74:75]
	v_fma_f64 v[58:59], v[64:65], v[56:57], -v[58:59]
	v_mul_f64 v[64:65], v[64:65], v[74:75]
	v_fmac_f64_e32 v[64:65], v[66:67], v[56:57]
	v_add_f64 v[48:49], v[48:49], -v[58:59]
	v_add_f64 v[50:51], v[50:51], -v[64:65]
	ds_read2_b64 v[64:67], v76 offset0:8 offset1:9
	s_waitcnt lgkmcnt(1)
	v_mul_f64 v[58:59], v[84:85], v[74:75]
	v_fma_f64 v[58:59], v[82:83], v[56:57], -v[58:59]
	v_mul_f64 v[82:83], v[82:83], v[74:75]
	v_fmac_f64_e32 v[82:83], v[84:85], v[56:57]
	v_add_f64 v[42:43], v[42:43], -v[82:83]
	ds_read2_b64 v[82:85], v76 offset0:10 offset1:11
	v_add_f64 v[40:41], v[40:41], -v[58:59]
	s_waitcnt lgkmcnt(1)
	v_mul_f64 v[58:59], v[66:67], v[74:75]
	v_fma_f64 v[58:59], v[64:65], v[56:57], -v[58:59]
	v_mul_f64 v[64:65], v[64:65], v[74:75]
	v_fmac_f64_e32 v[64:65], v[66:67], v[56:57]
	s_waitcnt vmcnt(11)
	v_add_f64 v[44:45], v[44:45], -v[58:59]
	v_add_f64 v[46:47], v[46:47], -v[64:65]
	ds_read2_b64 v[64:67], v76 offset0:12 offset1:13
	s_waitcnt lgkmcnt(1)
	v_mul_f64 v[58:59], v[84:85], v[74:75]
	v_fma_f64 v[58:59], v[82:83], v[56:57], -v[58:59]
	v_mul_f64 v[82:83], v[82:83], v[74:75]
	v_fmac_f64_e32 v[82:83], v[84:85], v[56:57]
	s_waitcnt vmcnt(10)
	v_add_f64 v[34:35], v[34:35], -v[82:83]
	ds_read2_b64 v[82:85], v76 offset0:14 offset1:15
	v_add_f64 v[32:33], v[32:33], -v[58:59]
	s_waitcnt lgkmcnt(1)
	v_mul_f64 v[58:59], v[66:67], v[74:75]
	v_fma_f64 v[58:59], v[64:65], v[56:57], -v[58:59]
	v_mul_f64 v[64:65], v[64:65], v[74:75]
	v_fmac_f64_e32 v[64:65], v[66:67], v[56:57]
	s_waitcnt vmcnt(9)
	v_add_f64 v[28:29], v[28:29], -v[58:59]
	v_add_f64 v[30:31], v[30:31], -v[64:65]
	ds_read2_b64 v[64:67], v76 offset0:16 offset1:17
	s_waitcnt lgkmcnt(1)
	v_mul_f64 v[58:59], v[84:85], v[74:75]
	v_fma_f64 v[58:59], v[82:83], v[56:57], -v[58:59]
	v_mul_f64 v[82:83], v[82:83], v[74:75]
	v_fmac_f64_e32 v[82:83], v[84:85], v[56:57]
	s_waitcnt vmcnt(8)
	;; [unrolled: 18-line block ×5, first 2 shown]
	v_add_f64 v[6:7], v[6:7], -v[82:83]
	ds_read2_b64 v[82:85], v76 offset0:30 offset1:31
	v_add_f64 v[4:5], v[4:5], -v[58:59]
	s_waitcnt lgkmcnt(1)
	v_mul_f64 v[58:59], v[66:67], v[74:75]
	v_fma_f64 v[58:59], v[64:65], v[56:57], -v[58:59]
	v_mul_f64 v[64:65], v[64:65], v[74:75]
	v_fmac_f64_e32 v[64:65], v[66:67], v[56:57]
	s_waitcnt vmcnt(1)
	v_add_f64 v[0:1], v[0:1], -v[58:59]
	v_add_f64 v[2:3], v[2:3], -v[64:65]
	s_waitcnt lgkmcnt(0)
	v_mul_f64 v[58:59], v[84:85], v[74:75]
	v_mul_f64 v[64:65], v[82:83], v[74:75]
	v_fma_f64 v[58:59], v[82:83], v[56:57], -v[58:59]
	v_fmac_f64_e32 v[64:65], v[84:85], v[56:57]
	s_waitcnt vmcnt(0)
	v_add_f64 v[60:61], v[60:61], -v[58:59]
	v_add_f64 v[62:63], v[62:63], -v[64:65]
	v_mov_b64_e32 v[58:59], v[74:75]
.LBB30_22:
	s_or_b64 exec, exec, s[0:1]
	v_lshl_add_u32 v64, v77, 4, v76
	s_barrier
	s_waitcnt vmcnt(12)
	ds_write2_b64 v64, v[52:53], v[54:55] offset1:1
	s_waitcnt lgkmcnt(0)
	s_barrier
	ds_read2_b64 v[64:67], v76 offset0:2 offset1:3
	s_cmp_lt_i32 s20, 3
	v_mov_b32_e32 v74, 1
	s_cbranch_scc1 .LBB30_25
; %bb.23:
	v_add3_u32 v75, v80, 0, 32
	s_mov_b32 s16, 2
	v_mov_b32_e32 v74, 1
.LBB30_24:                              ; =>This Inner Loop Header: Depth=1
	ds_read2_b64 v[82:85], v75 offset1:1
	s_waitcnt lgkmcnt(1)
	v_xor_b32_e32 v87, 0x80000000, v65
	v_xor_b32_e32 v89, 0x80000000, v67
	v_cmp_gt_f64_e32 vcc, 0, v[66:67]
	v_cmp_gt_f64_e64 s[0:1], 0, v[64:65]
	v_mov_b32_e32 v86, v64
	v_mov_b32_e32 v88, v66
	v_cndmask_b32_e64 v87, v65, v87, s[0:1]
	v_cndmask_b32_e32 v89, v67, v89, vcc
	v_add_f64 v[86:87], v[86:87], v[88:89]
	s_waitcnt lgkmcnt(0)
	v_xor_b32_e32 v89, 0x80000000, v83
	v_xor_b32_e32 v91, 0x80000000, v85
	v_cmp_gt_f64_e32 vcc, 0, v[84:85]
	v_cmp_gt_f64_e64 s[0:1], 0, v[82:83]
	v_mov_b32_e32 v88, v82
	v_mov_b32_e32 v90, v84
	v_cndmask_b32_e64 v89, v83, v89, s[0:1]
	v_cndmask_b32_e32 v91, v85, v91, vcc
	v_add_f64 v[88:89], v[88:89], v[90:91]
	v_mov_b32_e32 v92, s16
	s_add_i32 s16, s16, 1
	v_cmp_lt_f64_e32 vcc, v[86:87], v[88:89]
	v_add_u32_e32 v75, 16, v75
	s_cmp_lg_u32 s20, s16
	v_cndmask_b32_e32 v65, v65, v83, vcc
	v_cndmask_b32_e32 v64, v64, v82, vcc
	;; [unrolled: 1-line block ×5, first 2 shown]
	s_cbranch_scc1 .LBB30_24
.LBB30_25:
	s_waitcnt lgkmcnt(0)
	v_cmp_neq_f64_e32 vcc, 0, v[64:65]
	v_cmp_neq_f64_e64 s[0:1], 0, v[66:67]
	s_or_b64 s[16:17], vcc, s[0:1]
	s_and_saveexec_b64 s[0:1], s[16:17]
	s_cbranch_execz .LBB30_31
; %bb.26:
	v_cmp_ngt_f64_e64 s[16:17], |v[64:65]|, |v[66:67]|
	s_and_saveexec_b64 s[18:19], s[16:17]
	s_xor_b64 s[16:17], exec, s[18:19]
	s_cbranch_execz .LBB30_28
; %bb.27:
	v_div_scale_f64 v[82:83], s[18:19], v[66:67], v[66:67], v[64:65]
	v_rcp_f64_e32 v[84:85], v[82:83]
	v_div_scale_f64 v[86:87], vcc, v[64:65], v[66:67], v[64:65]
	v_fma_f64 v[88:89], -v[82:83], v[84:85], 1.0
	v_fmac_f64_e32 v[84:85], v[84:85], v[88:89]
	v_fma_f64 v[88:89], -v[82:83], v[84:85], 1.0
	v_fmac_f64_e32 v[84:85], v[84:85], v[88:89]
	v_mul_f64 v[88:89], v[86:87], v[84:85]
	v_fma_f64 v[82:83], -v[82:83], v[88:89], v[86:87]
	v_div_fmas_f64 v[82:83], v[82:83], v[84:85], v[88:89]
	v_div_fixup_f64 v[82:83], v[82:83], v[66:67], v[64:65]
	v_fmac_f64_e32 v[66:67], v[64:65], v[82:83]
	v_div_scale_f64 v[64:65], s[18:19], v[66:67], v[66:67], 1.0
	v_rcp_f64_e32 v[84:85], v[64:65]
	s_nop 0
	v_fma_f64 v[86:87], -v[64:65], v[84:85], 1.0
	v_fmac_f64_e32 v[84:85], v[84:85], v[86:87]
	v_fma_f64 v[86:87], -v[64:65], v[84:85], 1.0
	v_fmac_f64_e32 v[84:85], v[84:85], v[86:87]
	v_div_scale_f64 v[86:87], vcc, 1.0, v[66:67], 1.0
	v_mul_f64 v[88:89], v[86:87], v[84:85]
	v_fma_f64 v[64:65], -v[64:65], v[88:89], v[86:87]
	s_nop 1
	v_div_fmas_f64 v[64:65], v[64:65], v[84:85], v[88:89]
	v_div_fixup_f64 v[66:67], v[64:65], v[66:67], 1.0
	v_mul_f64 v[64:65], v[82:83], v[66:67]
	v_xor_b32_e32 v67, 0x80000000, v67
.LBB30_28:
	s_andn2_saveexec_b64 s[16:17], s[16:17]
	s_cbranch_execz .LBB30_30
; %bb.29:
	v_div_scale_f64 v[82:83], s[18:19], v[64:65], v[64:65], v[66:67]
	v_rcp_f64_e32 v[84:85], v[82:83]
	v_div_scale_f64 v[86:87], vcc, v[66:67], v[64:65], v[66:67]
	v_fma_f64 v[88:89], -v[82:83], v[84:85], 1.0
	v_fmac_f64_e32 v[84:85], v[84:85], v[88:89]
	v_fma_f64 v[88:89], -v[82:83], v[84:85], 1.0
	v_fmac_f64_e32 v[84:85], v[84:85], v[88:89]
	v_mul_f64 v[88:89], v[86:87], v[84:85]
	v_fma_f64 v[82:83], -v[82:83], v[88:89], v[86:87]
	v_div_fmas_f64 v[82:83], v[82:83], v[84:85], v[88:89]
	v_div_fixup_f64 v[82:83], v[82:83], v[64:65], v[66:67]
	v_fmac_f64_e32 v[64:65], v[66:67], v[82:83]
	v_div_scale_f64 v[66:67], s[18:19], v[64:65], v[64:65], 1.0
	v_rcp_f64_e32 v[84:85], v[66:67]
	s_nop 0
	v_fma_f64 v[86:87], -v[66:67], v[84:85], 1.0
	v_fmac_f64_e32 v[84:85], v[84:85], v[86:87]
	v_fma_f64 v[86:87], -v[66:67], v[84:85], 1.0
	v_fmac_f64_e32 v[84:85], v[84:85], v[86:87]
	v_div_scale_f64 v[86:87], vcc, 1.0, v[64:65], 1.0
	v_mul_f64 v[88:89], v[86:87], v[84:85]
	v_fma_f64 v[66:67], -v[66:67], v[88:89], v[86:87]
	s_nop 1
	v_div_fmas_f64 v[66:67], v[66:67], v[84:85], v[88:89]
	v_div_fixup_f64 v[64:65], v[66:67], v[64:65], 1.0
	v_mul_f64 v[66:67], v[82:83], -v[64:65]
.LBB30_30:
	s_or_b64 exec, exec, s[16:17]
	v_mov_b32_e32 v79, v81
.LBB30_31:
	s_or_b64 exec, exec, s[0:1]
	v_cmp_ne_u32_e32 vcc, v77, v74
	s_and_saveexec_b64 s[0:1], vcc
	s_xor_b64 s[0:1], exec, s[0:1]
	s_cbranch_execz .LBB30_37
; %bb.32:
	v_cmp_eq_u32_e32 vcc, 1, v77
	s_and_saveexec_b64 s[16:17], vcc
	s_cbranch_execz .LBB30_36
; %bb.33:
	v_cmp_ne_u32_e32 vcc, 1, v74
	s_xor_b64 s[18:19], s[14:15], -1
	s_and_b64 s[22:23], s[18:19], vcc
	s_and_saveexec_b64 s[18:19], s[22:23]
	s_cbranch_execz .LBB30_35
; %bb.34:
	v_ashrrev_i32_e32 v75, 31, v74
	v_lshl_add_u64 v[82:83], v[74:75], 2, v[72:73]
	global_load_dword v75, v[82:83], off
	global_load_dword v77, v[72:73], off offset:4
	s_waitcnt vmcnt(1)
	global_store_dword v[72:73], v75, off offset:4
	s_waitcnt vmcnt(1)
	global_store_dword v[82:83], v77, off
.LBB30_35:
	s_or_b64 exec, exec, s[18:19]
	v_mov_b32_e32 v77, v74
	v_mov_b32_e32 v78, v74
.LBB30_36:
	s_or_b64 exec, exec, s[16:17]
.LBB30_37:
	s_andn2_saveexec_b64 s[0:1], s[0:1]
	s_cbranch_execz .LBB30_39
; %bb.38:
	v_mov_b32_e32 v77, 1
	ds_write2_b64 v76, v[48:49], v[50:51] offset0:4 offset1:5
	ds_write2_b64 v76, v[40:41], v[42:43] offset0:6 offset1:7
	s_waitcnt vmcnt(11)
	ds_write2_b64 v76, v[44:45], v[46:47] offset0:8 offset1:9
	s_waitcnt vmcnt(10)
	;; [unrolled: 2-line block ×12, first 2 shown]
	ds_write2_b64 v76, v[60:61], v[62:63] offset0:30 offset1:31
.LBB30_39:
	s_or_b64 exec, exec, s[0:1]
	v_cmp_lt_i32_e32 vcc, 1, v77
	s_waitcnt lgkmcnt(0)
	s_barrier
	s_and_saveexec_b64 s[0:1], vcc
	s_cbranch_execz .LBB30_41
; %bb.40:
	ds_read2_b64 v[82:85], v76 offset0:4 offset1:5
	v_mul_f64 v[74:75], v[64:65], v[54:55]
	v_mul_f64 v[54:55], v[66:67], v[54:55]
	v_fmac_f64_e32 v[74:75], v[66:67], v[52:53]
	v_fma_f64 v[52:53], v[64:65], v[52:53], -v[54:55]
	ds_read2_b64 v[64:67], v76 offset0:6 offset1:7
	s_waitcnt lgkmcnt(1)
	v_mul_f64 v[54:55], v[84:85], v[74:75]
	v_fma_f64 v[54:55], v[82:83], v[52:53], -v[54:55]
	v_mul_f64 v[82:83], v[82:83], v[74:75]
	v_fmac_f64_e32 v[82:83], v[84:85], v[52:53]
	v_add_f64 v[48:49], v[48:49], -v[54:55]
	s_waitcnt lgkmcnt(0)
	v_mul_f64 v[54:55], v[66:67], v[74:75]
	v_add_f64 v[50:51], v[50:51], -v[82:83]
	v_fma_f64 v[54:55], v[64:65], v[52:53], -v[54:55]
	v_mul_f64 v[64:65], v[64:65], v[74:75]
	ds_read2_b64 v[82:85], v76 offset0:8 offset1:9
	v_fmac_f64_e32 v[64:65], v[66:67], v[52:53]
	v_add_f64 v[42:43], v[42:43], -v[64:65]
	ds_read2_b64 v[64:67], v76 offset0:10 offset1:11
	v_add_f64 v[40:41], v[40:41], -v[54:55]
	s_waitcnt lgkmcnt(1)
	v_mul_f64 v[54:55], v[84:85], v[74:75]
	v_fma_f64 v[54:55], v[82:83], v[52:53], -v[54:55]
	v_mul_f64 v[82:83], v[82:83], v[74:75]
	v_fmac_f64_e32 v[82:83], v[84:85], v[52:53]
	s_waitcnt vmcnt(11)
	v_add_f64 v[44:45], v[44:45], -v[54:55]
	s_waitcnt lgkmcnt(0)
	v_mul_f64 v[54:55], v[66:67], v[74:75]
	v_add_f64 v[46:47], v[46:47], -v[82:83]
	v_fma_f64 v[54:55], v[64:65], v[52:53], -v[54:55]
	v_mul_f64 v[64:65], v[64:65], v[74:75]
	ds_read2_b64 v[82:85], v76 offset0:12 offset1:13
	v_fmac_f64_e32 v[64:65], v[66:67], v[52:53]
	s_waitcnt vmcnt(10)
	v_add_f64 v[34:35], v[34:35], -v[64:65]
	ds_read2_b64 v[64:67], v76 offset0:14 offset1:15
	v_add_f64 v[32:33], v[32:33], -v[54:55]
	s_waitcnt lgkmcnt(1)
	v_mul_f64 v[54:55], v[84:85], v[74:75]
	v_fma_f64 v[54:55], v[82:83], v[52:53], -v[54:55]
	v_mul_f64 v[82:83], v[82:83], v[74:75]
	v_fmac_f64_e32 v[82:83], v[84:85], v[52:53]
	s_waitcnt vmcnt(9)
	v_add_f64 v[28:29], v[28:29], -v[54:55]
	s_waitcnt lgkmcnt(0)
	v_mul_f64 v[54:55], v[66:67], v[74:75]
	v_add_f64 v[30:31], v[30:31], -v[82:83]
	v_fma_f64 v[54:55], v[64:65], v[52:53], -v[54:55]
	v_mul_f64 v[64:65], v[64:65], v[74:75]
	ds_read2_b64 v[82:85], v76 offset0:16 offset1:17
	v_fmac_f64_e32 v[64:65], v[66:67], v[52:53]
	s_waitcnt vmcnt(8)
	;; [unrolled: 18-line block ×5, first 2 shown]
	v_add_f64 v[6:7], v[6:7], -v[64:65]
	ds_read2_b64 v[64:67], v76 offset0:30 offset1:31
	v_add_f64 v[4:5], v[4:5], -v[54:55]
	s_waitcnt lgkmcnt(1)
	v_mul_f64 v[54:55], v[84:85], v[74:75]
	v_fma_f64 v[54:55], v[82:83], v[52:53], -v[54:55]
	s_waitcnt vmcnt(1)
	v_add_f64 v[0:1], v[0:1], -v[54:55]
	s_waitcnt lgkmcnt(0)
	v_mul_f64 v[54:55], v[66:67], v[74:75]
	v_mul_f64 v[82:83], v[82:83], v[74:75]
	v_fma_f64 v[54:55], v[64:65], v[52:53], -v[54:55]
	v_mul_f64 v[64:65], v[64:65], v[74:75]
	v_fmac_f64_e32 v[82:83], v[84:85], v[52:53]
	v_fmac_f64_e32 v[64:65], v[66:67], v[52:53]
	v_add_f64 v[2:3], v[2:3], -v[82:83]
	s_waitcnt vmcnt(0)
	v_add_f64 v[60:61], v[60:61], -v[54:55]
	v_add_f64 v[62:63], v[62:63], -v[64:65]
	v_mov_b64_e32 v[54:55], v[74:75]
.LBB30_41:
	s_or_b64 exec, exec, s[0:1]
	v_lshl_add_u32 v64, v77, 4, v76
	s_barrier
	ds_write2_b64 v64, v[48:49], v[50:51] offset1:1
	s_waitcnt lgkmcnt(0)
	s_barrier
	ds_read2_b64 v[64:67], v76 offset0:4 offset1:5
	s_cmp_lt_i32 s20, 4
	v_mov_b32_e32 v74, 2
	s_cbranch_scc1 .LBB30_44
; %bb.42:
	v_add3_u32 v75, v80, 0, 48
	s_mov_b32 s16, 3
	v_mov_b32_e32 v74, 2
.LBB30_43:                              ; =>This Inner Loop Header: Depth=1
	ds_read2_b64 v[82:85], v75 offset1:1
	s_waitcnt lgkmcnt(1)
	v_xor_b32_e32 v81, 0x80000000, v65
	v_xor_b32_e32 v89, 0x80000000, v67
	v_cmp_gt_f64_e32 vcc, 0, v[66:67]
	v_cmp_gt_f64_e64 s[0:1], 0, v[64:65]
	v_mov_b32_e32 v86, v64
	v_mov_b32_e32 v88, v66
	v_cndmask_b32_e64 v87, v65, v81, s[0:1]
	v_cndmask_b32_e32 v89, v67, v89, vcc
	s_waitcnt lgkmcnt(0)
	v_xor_b32_e32 v81, 0x80000000, v83
	v_xor_b32_e32 v91, 0x80000000, v85
	v_cmp_gt_f64_e32 vcc, 0, v[84:85]
	v_cmp_gt_f64_e64 s[0:1], 0, v[82:83]
	v_add_f64 v[86:87], v[86:87], v[88:89]
	v_mov_b32_e32 v88, v82
	v_mov_b32_e32 v90, v84
	v_cndmask_b32_e64 v89, v83, v81, s[0:1]
	v_cndmask_b32_e32 v91, v85, v91, vcc
	v_add_f64 v[88:89], v[88:89], v[90:91]
	v_mov_b32_e32 v92, s16
	s_add_i32 s16, s16, 1
	v_cmp_lt_f64_e32 vcc, v[86:87], v[88:89]
	v_add_u32_e32 v75, 16, v75
	s_cmp_lg_u32 s20, s16
	v_cndmask_b32_e32 v65, v65, v83, vcc
	v_cndmask_b32_e32 v64, v64, v82, vcc
	;; [unrolled: 1-line block ×5, first 2 shown]
	s_cbranch_scc1 .LBB30_43
.LBB30_44:
	s_waitcnt lgkmcnt(0)
	v_cmp_eq_f64_e32 vcc, 0, v[64:65]
	v_cmp_eq_f64_e64 s[0:1], 0, v[66:67]
	s_and_b64 s[0:1], vcc, s[0:1]
	s_and_saveexec_b64 s[16:17], s[0:1]
	s_xor_b64 s[0:1], exec, s[16:17]
; %bb.45:
	v_cmp_ne_u32_e32 vcc, 0, v79
	s_nop 1
	v_cndmask_b32_e32 v79, 3, v79, vcc
; %bb.46:
	s_andn2_saveexec_b64 s[0:1], s[0:1]
	s_cbranch_execz .LBB30_52
; %bb.47:
	v_cmp_ngt_f64_e64 s[16:17], |v[64:65]|, |v[66:67]|
	s_and_saveexec_b64 s[18:19], s[16:17]
	s_xor_b64 s[16:17], exec, s[18:19]
	s_cbranch_execz .LBB30_49
; %bb.48:
	v_div_scale_f64 v[82:83], s[18:19], v[66:67], v[66:67], v[64:65]
	v_rcp_f64_e32 v[84:85], v[82:83]
	v_div_scale_f64 v[86:87], vcc, v[64:65], v[66:67], v[64:65]
	v_fma_f64 v[88:89], -v[82:83], v[84:85], 1.0
	v_fmac_f64_e32 v[84:85], v[84:85], v[88:89]
	v_fma_f64 v[88:89], -v[82:83], v[84:85], 1.0
	v_fmac_f64_e32 v[84:85], v[84:85], v[88:89]
	v_mul_f64 v[88:89], v[86:87], v[84:85]
	v_fma_f64 v[82:83], -v[82:83], v[88:89], v[86:87]
	v_div_fmas_f64 v[82:83], v[82:83], v[84:85], v[88:89]
	v_div_fixup_f64 v[82:83], v[82:83], v[66:67], v[64:65]
	v_fmac_f64_e32 v[66:67], v[64:65], v[82:83]
	v_div_scale_f64 v[64:65], s[18:19], v[66:67], v[66:67], 1.0
	v_rcp_f64_e32 v[84:85], v[64:65]
	s_nop 0
	v_fma_f64 v[86:87], -v[64:65], v[84:85], 1.0
	v_fmac_f64_e32 v[84:85], v[84:85], v[86:87]
	v_fma_f64 v[86:87], -v[64:65], v[84:85], 1.0
	v_fmac_f64_e32 v[84:85], v[84:85], v[86:87]
	v_div_scale_f64 v[86:87], vcc, 1.0, v[66:67], 1.0
	v_mul_f64 v[88:89], v[86:87], v[84:85]
	v_fma_f64 v[64:65], -v[64:65], v[88:89], v[86:87]
	s_nop 1
	v_div_fmas_f64 v[64:65], v[64:65], v[84:85], v[88:89]
	v_div_fixup_f64 v[66:67], v[64:65], v[66:67], 1.0
	v_mul_f64 v[64:65], v[82:83], v[66:67]
	v_xor_b32_e32 v67, 0x80000000, v67
.LBB30_49:
	s_andn2_saveexec_b64 s[16:17], s[16:17]
	s_cbranch_execz .LBB30_51
; %bb.50:
	v_div_scale_f64 v[82:83], s[18:19], v[64:65], v[64:65], v[66:67]
	v_rcp_f64_e32 v[84:85], v[82:83]
	v_div_scale_f64 v[86:87], vcc, v[66:67], v[64:65], v[66:67]
	v_fma_f64 v[88:89], -v[82:83], v[84:85], 1.0
	v_fmac_f64_e32 v[84:85], v[84:85], v[88:89]
	v_fma_f64 v[88:89], -v[82:83], v[84:85], 1.0
	v_fmac_f64_e32 v[84:85], v[84:85], v[88:89]
	v_mul_f64 v[88:89], v[86:87], v[84:85]
	v_fma_f64 v[82:83], -v[82:83], v[88:89], v[86:87]
	v_div_fmas_f64 v[82:83], v[82:83], v[84:85], v[88:89]
	v_div_fixup_f64 v[82:83], v[82:83], v[64:65], v[66:67]
	v_fmac_f64_e32 v[64:65], v[66:67], v[82:83]
	v_div_scale_f64 v[66:67], s[18:19], v[64:65], v[64:65], 1.0
	v_rcp_f64_e32 v[84:85], v[66:67]
	s_nop 0
	v_fma_f64 v[86:87], -v[66:67], v[84:85], 1.0
	v_fmac_f64_e32 v[84:85], v[84:85], v[86:87]
	v_fma_f64 v[86:87], -v[66:67], v[84:85], 1.0
	v_fmac_f64_e32 v[84:85], v[84:85], v[86:87]
	v_div_scale_f64 v[86:87], vcc, 1.0, v[64:65], 1.0
	v_mul_f64 v[88:89], v[86:87], v[84:85]
	v_fma_f64 v[66:67], -v[66:67], v[88:89], v[86:87]
	s_nop 1
	v_div_fmas_f64 v[66:67], v[66:67], v[84:85], v[88:89]
	v_div_fixup_f64 v[64:65], v[66:67], v[64:65], 1.0
	v_mul_f64 v[66:67], v[82:83], -v[64:65]
.LBB30_51:
	s_or_b64 exec, exec, s[16:17]
.LBB30_52:
	s_or_b64 exec, exec, s[0:1]
	v_cmp_ne_u32_e32 vcc, v77, v74
	s_and_saveexec_b64 s[0:1], vcc
	s_xor_b64 s[0:1], exec, s[0:1]
	s_cbranch_execz .LBB30_58
; %bb.53:
	v_cmp_eq_u32_e32 vcc, 2, v77
	s_and_saveexec_b64 s[16:17], vcc
	s_cbranch_execz .LBB30_57
; %bb.54:
	v_cmp_ne_u32_e32 vcc, 2, v74
	s_xor_b64 s[18:19], s[14:15], -1
	s_and_b64 s[22:23], s[18:19], vcc
	s_and_saveexec_b64 s[18:19], s[22:23]
	s_cbranch_execz .LBB30_56
; %bb.55:
	v_ashrrev_i32_e32 v75, 31, v74
	v_lshl_add_u64 v[82:83], v[74:75], 2, v[72:73]
	global_load_dword v75, v[82:83], off
	global_load_dword v77, v[72:73], off offset:8
	s_waitcnt vmcnt(1)
	global_store_dword v[72:73], v75, off offset:8
	s_waitcnt vmcnt(1)
	global_store_dword v[82:83], v77, off
.LBB30_56:
	s_or_b64 exec, exec, s[18:19]
	v_mov_b32_e32 v77, v74
	v_mov_b32_e32 v78, v74
.LBB30_57:
	s_or_b64 exec, exec, s[16:17]
.LBB30_58:
	s_andn2_saveexec_b64 s[0:1], s[0:1]
	s_cbranch_execz .LBB30_60
; %bb.59:
	v_mov_b32_e32 v77, 2
	ds_write2_b64 v76, v[40:41], v[42:43] offset0:6 offset1:7
	s_waitcnt vmcnt(11)
	ds_write2_b64 v76, v[44:45], v[46:47] offset0:8 offset1:9
	s_waitcnt vmcnt(10)
	;; [unrolled: 2-line block ×12, first 2 shown]
	ds_write2_b64 v76, v[60:61], v[62:63] offset0:30 offset1:31
.LBB30_60:
	s_or_b64 exec, exec, s[0:1]
	v_cmp_lt_i32_e32 vcc, 2, v77
	s_waitcnt lgkmcnt(0)
	s_barrier
	s_and_saveexec_b64 s[0:1], vcc
	s_cbranch_execz .LBB30_62
; %bb.61:
	ds_read2_b64 v[82:85], v76 offset0:6 offset1:7
	v_mul_f64 v[74:75], v[64:65], v[50:51]
	v_fmac_f64_e32 v[74:75], v[66:67], v[48:49]
	v_mul_f64 v[50:51], v[66:67], v[50:51]
	v_fma_f64 v[48:49], v[64:65], v[48:49], -v[50:51]
	ds_read2_b64 v[64:67], v76 offset0:8 offset1:9
	s_waitcnt lgkmcnt(1)
	v_mul_f64 v[50:51], v[84:85], v[74:75]
	v_fma_f64 v[50:51], v[82:83], v[48:49], -v[50:51]
	v_mul_f64 v[82:83], v[82:83], v[74:75]
	v_fmac_f64_e32 v[82:83], v[84:85], v[48:49]
	v_add_f64 v[42:43], v[42:43], -v[82:83]
	ds_read2_b64 v[82:85], v76 offset0:10 offset1:11
	v_add_f64 v[40:41], v[40:41], -v[50:51]
	s_waitcnt lgkmcnt(1)
	v_mul_f64 v[50:51], v[66:67], v[74:75]
	v_fma_f64 v[50:51], v[64:65], v[48:49], -v[50:51]
	v_mul_f64 v[64:65], v[64:65], v[74:75]
	v_fmac_f64_e32 v[64:65], v[66:67], v[48:49]
	s_waitcnt vmcnt(11)
	v_add_f64 v[44:45], v[44:45], -v[50:51]
	v_add_f64 v[46:47], v[46:47], -v[64:65]
	ds_read2_b64 v[64:67], v76 offset0:12 offset1:13
	s_waitcnt lgkmcnt(1)
	v_mul_f64 v[50:51], v[84:85], v[74:75]
	v_fma_f64 v[50:51], v[82:83], v[48:49], -v[50:51]
	v_mul_f64 v[82:83], v[82:83], v[74:75]
	v_fmac_f64_e32 v[82:83], v[84:85], v[48:49]
	s_waitcnt vmcnt(10)
	v_add_f64 v[34:35], v[34:35], -v[82:83]
	ds_read2_b64 v[82:85], v76 offset0:14 offset1:15
	v_add_f64 v[32:33], v[32:33], -v[50:51]
	s_waitcnt lgkmcnt(1)
	v_mul_f64 v[50:51], v[66:67], v[74:75]
	v_fma_f64 v[50:51], v[64:65], v[48:49], -v[50:51]
	v_mul_f64 v[64:65], v[64:65], v[74:75]
	v_fmac_f64_e32 v[64:65], v[66:67], v[48:49]
	s_waitcnt vmcnt(9)
	v_add_f64 v[28:29], v[28:29], -v[50:51]
	v_add_f64 v[30:31], v[30:31], -v[64:65]
	ds_read2_b64 v[64:67], v76 offset0:16 offset1:17
	s_waitcnt lgkmcnt(1)
	v_mul_f64 v[50:51], v[84:85], v[74:75]
	v_fma_f64 v[50:51], v[82:83], v[48:49], -v[50:51]
	v_mul_f64 v[82:83], v[82:83], v[74:75]
	v_fmac_f64_e32 v[82:83], v[84:85], v[48:49]
	s_waitcnt vmcnt(8)
	;; [unrolled: 18-line block ×5, first 2 shown]
	v_add_f64 v[6:7], v[6:7], -v[82:83]
	ds_read2_b64 v[82:85], v76 offset0:30 offset1:31
	v_add_f64 v[4:5], v[4:5], -v[50:51]
	s_waitcnt lgkmcnt(1)
	v_mul_f64 v[50:51], v[66:67], v[74:75]
	v_fma_f64 v[50:51], v[64:65], v[48:49], -v[50:51]
	v_mul_f64 v[64:65], v[64:65], v[74:75]
	v_fmac_f64_e32 v[64:65], v[66:67], v[48:49]
	s_waitcnt vmcnt(1)
	v_add_f64 v[0:1], v[0:1], -v[50:51]
	v_add_f64 v[2:3], v[2:3], -v[64:65]
	s_waitcnt lgkmcnt(0)
	v_mul_f64 v[50:51], v[84:85], v[74:75]
	v_mul_f64 v[64:65], v[82:83], v[74:75]
	v_fma_f64 v[50:51], v[82:83], v[48:49], -v[50:51]
	v_fmac_f64_e32 v[64:65], v[84:85], v[48:49]
	s_waitcnt vmcnt(0)
	v_add_f64 v[60:61], v[60:61], -v[50:51]
	v_add_f64 v[62:63], v[62:63], -v[64:65]
	v_mov_b64_e32 v[50:51], v[74:75]
.LBB30_62:
	s_or_b64 exec, exec, s[0:1]
	v_lshl_add_u32 v64, v77, 4, v76
	s_barrier
	ds_write2_b64 v64, v[40:41], v[42:43] offset1:1
	s_waitcnt lgkmcnt(0)
	s_barrier
	ds_read2_b64 v[64:67], v76 offset0:6 offset1:7
	s_mov_b32 s16, 4
	s_cmp_lt_i32 s20, 5
	v_mov_b32_e32 v74, 3
	s_cbranch_scc1 .LBB30_65
; %bb.63:
	v_add3_u32 v75, v80, 0, 64
	v_mov_b32_e32 v74, 3
.LBB30_64:                              ; =>This Inner Loop Header: Depth=1
	ds_read2_b64 v[80:83], v75 offset1:1
	s_waitcnt lgkmcnt(1)
	v_xor_b32_e32 v85, 0x80000000, v65
	v_xor_b32_e32 v87, 0x80000000, v67
	v_cmp_gt_f64_e32 vcc, 0, v[66:67]
	v_cmp_gt_f64_e64 s[0:1], 0, v[64:65]
	v_mov_b32_e32 v84, v64
	v_mov_b32_e32 v86, v66
	v_cndmask_b32_e64 v85, v65, v85, s[0:1]
	v_cndmask_b32_e32 v87, v67, v87, vcc
	v_add_f64 v[84:85], v[84:85], v[86:87]
	s_waitcnt lgkmcnt(0)
	v_xor_b32_e32 v87, 0x80000000, v81
	v_xor_b32_e32 v89, 0x80000000, v83
	v_cmp_gt_f64_e32 vcc, 0, v[82:83]
	v_cmp_gt_f64_e64 s[0:1], 0, v[80:81]
	v_mov_b32_e32 v86, v80
	v_mov_b32_e32 v88, v82
	v_cndmask_b32_e64 v87, v81, v87, s[0:1]
	v_cndmask_b32_e32 v89, v83, v89, vcc
	v_add_f64 v[86:87], v[86:87], v[88:89]
	v_mov_b32_e32 v90, s16
	s_add_i32 s16, s16, 1
	v_cmp_lt_f64_e32 vcc, v[84:85], v[86:87]
	v_add_u32_e32 v75, 16, v75
	s_cmp_lg_u32 s20, s16
	v_cndmask_b32_e32 v65, v65, v81, vcc
	v_cndmask_b32_e32 v64, v64, v80, vcc
	;; [unrolled: 1-line block ×5, first 2 shown]
	s_cbranch_scc1 .LBB30_64
.LBB30_65:
	s_waitcnt lgkmcnt(0)
	v_cmp_eq_f64_e32 vcc, 0, v[64:65]
	v_cmp_eq_f64_e64 s[0:1], 0, v[66:67]
	s_and_b64 s[0:1], vcc, s[0:1]
	s_and_saveexec_b64 s[16:17], s[0:1]
	s_xor_b64 s[0:1], exec, s[16:17]
; %bb.66:
	v_cmp_ne_u32_e32 vcc, 0, v79
	s_nop 1
	v_cndmask_b32_e32 v79, 4, v79, vcc
; %bb.67:
	s_andn2_saveexec_b64 s[0:1], s[0:1]
	s_cbranch_execz .LBB30_73
; %bb.68:
	v_cmp_ngt_f64_e64 s[16:17], |v[64:65]|, |v[66:67]|
	s_and_saveexec_b64 s[18:19], s[16:17]
	s_xor_b64 s[16:17], exec, s[18:19]
	s_cbranch_execz .LBB30_70
; %bb.69:
	v_div_scale_f64 v[80:81], s[18:19], v[66:67], v[66:67], v[64:65]
	v_rcp_f64_e32 v[82:83], v[80:81]
	v_div_scale_f64 v[84:85], vcc, v[64:65], v[66:67], v[64:65]
	v_fma_f64 v[86:87], -v[80:81], v[82:83], 1.0
	v_fmac_f64_e32 v[82:83], v[82:83], v[86:87]
	v_fma_f64 v[86:87], -v[80:81], v[82:83], 1.0
	v_fmac_f64_e32 v[82:83], v[82:83], v[86:87]
	v_mul_f64 v[86:87], v[84:85], v[82:83]
	v_fma_f64 v[80:81], -v[80:81], v[86:87], v[84:85]
	v_div_fmas_f64 v[80:81], v[80:81], v[82:83], v[86:87]
	v_div_fixup_f64 v[80:81], v[80:81], v[66:67], v[64:65]
	v_fmac_f64_e32 v[66:67], v[64:65], v[80:81]
	v_div_scale_f64 v[64:65], s[18:19], v[66:67], v[66:67], 1.0
	v_rcp_f64_e32 v[82:83], v[64:65]
	s_nop 0
	v_fma_f64 v[84:85], -v[64:65], v[82:83], 1.0
	v_fmac_f64_e32 v[82:83], v[82:83], v[84:85]
	v_fma_f64 v[84:85], -v[64:65], v[82:83], 1.0
	v_fmac_f64_e32 v[82:83], v[82:83], v[84:85]
	v_div_scale_f64 v[84:85], vcc, 1.0, v[66:67], 1.0
	v_mul_f64 v[86:87], v[84:85], v[82:83]
	v_fma_f64 v[64:65], -v[64:65], v[86:87], v[84:85]
	s_nop 1
	v_div_fmas_f64 v[64:65], v[64:65], v[82:83], v[86:87]
	v_div_fixup_f64 v[66:67], v[64:65], v[66:67], 1.0
	v_mul_f64 v[64:65], v[80:81], v[66:67]
	v_xor_b32_e32 v67, 0x80000000, v67
.LBB30_70:
	s_andn2_saveexec_b64 s[16:17], s[16:17]
	s_cbranch_execz .LBB30_72
; %bb.71:
	v_div_scale_f64 v[80:81], s[18:19], v[64:65], v[64:65], v[66:67]
	v_rcp_f64_e32 v[82:83], v[80:81]
	v_div_scale_f64 v[84:85], vcc, v[66:67], v[64:65], v[66:67]
	v_fma_f64 v[86:87], -v[80:81], v[82:83], 1.0
	v_fmac_f64_e32 v[82:83], v[82:83], v[86:87]
	v_fma_f64 v[86:87], -v[80:81], v[82:83], 1.0
	v_fmac_f64_e32 v[82:83], v[82:83], v[86:87]
	v_mul_f64 v[86:87], v[84:85], v[82:83]
	v_fma_f64 v[80:81], -v[80:81], v[86:87], v[84:85]
	v_div_fmas_f64 v[80:81], v[80:81], v[82:83], v[86:87]
	v_div_fixup_f64 v[80:81], v[80:81], v[64:65], v[66:67]
	v_fmac_f64_e32 v[64:65], v[66:67], v[80:81]
	v_div_scale_f64 v[66:67], s[18:19], v[64:65], v[64:65], 1.0
	v_rcp_f64_e32 v[82:83], v[66:67]
	s_nop 0
	v_fma_f64 v[84:85], -v[66:67], v[82:83], 1.0
	v_fmac_f64_e32 v[82:83], v[82:83], v[84:85]
	v_fma_f64 v[84:85], -v[66:67], v[82:83], 1.0
	v_fmac_f64_e32 v[82:83], v[82:83], v[84:85]
	v_div_scale_f64 v[84:85], vcc, 1.0, v[64:65], 1.0
	v_mul_f64 v[86:87], v[84:85], v[82:83]
	v_fma_f64 v[66:67], -v[66:67], v[86:87], v[84:85]
	s_nop 1
	v_div_fmas_f64 v[66:67], v[66:67], v[82:83], v[86:87]
	v_div_fixup_f64 v[64:65], v[66:67], v[64:65], 1.0
	v_mul_f64 v[66:67], v[80:81], -v[64:65]
.LBB30_72:
	s_or_b64 exec, exec, s[16:17]
.LBB30_73:
	s_or_b64 exec, exec, s[0:1]
	v_cmp_ne_u32_e32 vcc, v77, v74
	s_and_saveexec_b64 s[0:1], vcc
	s_xor_b64 s[0:1], exec, s[0:1]
	s_cbranch_execz .LBB30_79
; %bb.74:
	v_cmp_eq_u32_e32 vcc, 3, v77
	s_and_saveexec_b64 s[16:17], vcc
	s_cbranch_execz .LBB30_78
; %bb.75:
	v_cmp_ne_u32_e32 vcc, 3, v74
	s_xor_b64 s[18:19], s[14:15], -1
	s_and_b64 s[22:23], s[18:19], vcc
	s_and_saveexec_b64 s[18:19], s[22:23]
	s_cbranch_execz .LBB30_77
; %bb.76:
	v_ashrrev_i32_e32 v75, 31, v74
	v_lshl_add_u64 v[80:81], v[74:75], 2, v[72:73]
	global_load_dword v75, v[80:81], off
	global_load_dword v77, v[72:73], off offset:12
	s_waitcnt vmcnt(1)
	global_store_dword v[72:73], v75, off offset:12
	s_waitcnt vmcnt(1)
	global_store_dword v[80:81], v77, off
.LBB30_77:
	s_or_b64 exec, exec, s[18:19]
	v_mov_b32_e32 v77, v74
	v_mov_b32_e32 v78, v74
.LBB30_78:
	s_or_b64 exec, exec, s[16:17]
.LBB30_79:
	s_andn2_saveexec_b64 s[0:1], s[0:1]
	s_cbranch_execz .LBB30_81
; %bb.80:
	v_mov_b32_e32 v77, 3
	s_waitcnt vmcnt(11)
	ds_write2_b64 v76, v[44:45], v[46:47] offset0:8 offset1:9
	s_waitcnt vmcnt(10)
	ds_write2_b64 v76, v[32:33], v[34:35] offset0:10 offset1:11
	s_waitcnt vmcnt(9)
	ds_write2_b64 v76, v[28:29], v[30:31] offset0:12 offset1:13
	s_waitcnt vmcnt(8)
	ds_write2_b64 v76, v[20:21], v[22:23] offset0:14 offset1:15
	s_waitcnt vmcnt(7)
	ds_write2_b64 v76, v[36:37], v[38:39] offset0:16 offset1:17
	s_waitcnt vmcnt(6)
	ds_write2_b64 v76, v[24:25], v[26:27] offset0:18 offset1:19
	s_waitcnt vmcnt(5)
	ds_write2_b64 v76, v[16:17], v[18:19] offset0:20 offset1:21
	s_waitcnt vmcnt(4)
	ds_write2_b64 v76, v[12:13], v[14:15] offset0:22 offset1:23
	s_waitcnt vmcnt(3)
	ds_write2_b64 v76, v[8:9], v[10:11] offset0:24 offset1:25
	s_waitcnt vmcnt(2)
	ds_write2_b64 v76, v[4:5], v[6:7] offset0:26 offset1:27
	s_waitcnt vmcnt(1)
	ds_write2_b64 v76, v[0:1], v[2:3] offset0:28 offset1:29
	s_waitcnt vmcnt(0)
	ds_write2_b64 v76, v[60:61], v[62:63] offset0:30 offset1:31
.LBB30_81:
	s_or_b64 exec, exec, s[0:1]
	v_cmp_lt_i32_e32 vcc, 3, v77
	s_waitcnt lgkmcnt(0)
	s_barrier
	s_and_saveexec_b64 s[0:1], vcc
	s_cbranch_execz .LBB30_83
; %bb.82:
	ds_read2_b64 v[80:83], v76 offset0:8 offset1:9
	v_mul_f64 v[74:75], v[64:65], v[42:43]
	v_mul_f64 v[42:43], v[66:67], v[42:43]
	v_fmac_f64_e32 v[74:75], v[66:67], v[40:41]
	v_fma_f64 v[40:41], v[64:65], v[40:41], -v[42:43]
	ds_read2_b64 v[64:67], v76 offset0:10 offset1:11
	s_waitcnt lgkmcnt(1)
	v_mul_f64 v[42:43], v[82:83], v[74:75]
	v_fma_f64 v[42:43], v[80:81], v[40:41], -v[42:43]
	v_mul_f64 v[80:81], v[80:81], v[74:75]
	v_fmac_f64_e32 v[80:81], v[82:83], v[40:41]
	s_waitcnt vmcnt(11)
	v_add_f64 v[44:45], v[44:45], -v[42:43]
	s_waitcnt lgkmcnt(0)
	v_mul_f64 v[42:43], v[66:67], v[74:75]
	v_add_f64 v[46:47], v[46:47], -v[80:81]
	v_fma_f64 v[42:43], v[64:65], v[40:41], -v[42:43]
	v_mul_f64 v[64:65], v[64:65], v[74:75]
	ds_read2_b64 v[80:83], v76 offset0:12 offset1:13
	v_fmac_f64_e32 v[64:65], v[66:67], v[40:41]
	s_waitcnt vmcnt(10)
	v_add_f64 v[34:35], v[34:35], -v[64:65]
	ds_read2_b64 v[64:67], v76 offset0:14 offset1:15
	v_add_f64 v[32:33], v[32:33], -v[42:43]
	s_waitcnt lgkmcnt(1)
	v_mul_f64 v[42:43], v[82:83], v[74:75]
	v_fma_f64 v[42:43], v[80:81], v[40:41], -v[42:43]
	v_mul_f64 v[80:81], v[80:81], v[74:75]
	v_fmac_f64_e32 v[80:81], v[82:83], v[40:41]
	s_waitcnt vmcnt(9)
	v_add_f64 v[28:29], v[28:29], -v[42:43]
	s_waitcnt lgkmcnt(0)
	v_mul_f64 v[42:43], v[66:67], v[74:75]
	v_add_f64 v[30:31], v[30:31], -v[80:81]
	v_fma_f64 v[42:43], v[64:65], v[40:41], -v[42:43]
	v_mul_f64 v[64:65], v[64:65], v[74:75]
	ds_read2_b64 v[80:83], v76 offset0:16 offset1:17
	v_fmac_f64_e32 v[64:65], v[66:67], v[40:41]
	s_waitcnt vmcnt(8)
	v_add_f64 v[22:23], v[22:23], -v[64:65]
	ds_read2_b64 v[64:67], v76 offset0:18 offset1:19
	v_add_f64 v[20:21], v[20:21], -v[42:43]
	;; [unrolled: 18-line block ×5, first 2 shown]
	s_waitcnt lgkmcnt(1)
	v_mul_f64 v[42:43], v[82:83], v[74:75]
	v_fma_f64 v[42:43], v[80:81], v[40:41], -v[42:43]
	s_waitcnt vmcnt(1)
	v_add_f64 v[0:1], v[0:1], -v[42:43]
	s_waitcnt lgkmcnt(0)
	v_mul_f64 v[42:43], v[66:67], v[74:75]
	v_mul_f64 v[80:81], v[80:81], v[74:75]
	v_fma_f64 v[42:43], v[64:65], v[40:41], -v[42:43]
	v_mul_f64 v[64:65], v[64:65], v[74:75]
	v_fmac_f64_e32 v[80:81], v[82:83], v[40:41]
	v_fmac_f64_e32 v[64:65], v[66:67], v[40:41]
	v_add_f64 v[2:3], v[2:3], -v[80:81]
	s_waitcnt vmcnt(0)
	v_add_f64 v[60:61], v[60:61], -v[42:43]
	v_add_f64 v[62:63], v[62:63], -v[64:65]
	v_mov_b64_e32 v[42:43], v[74:75]
.LBB30_83:
	s_or_b64 exec, exec, s[0:1]
	v_lshl_add_u32 v64, v77, 4, v76
	s_barrier
	s_waitcnt vmcnt(11)
	ds_write2_b64 v64, v[44:45], v[46:47] offset1:1
	s_waitcnt lgkmcnt(0)
	s_barrier
	ds_read2_b64 v[64:67], v76 offset0:8 offset1:9
	s_cmp_lt_i32 s20, 6
	v_mov_b32_e32 v74, 4
	s_cbranch_scc1 .LBB30_86
; %bb.84:
	v_mov_b32_e32 v74, 4
	v_add_u32_e32 v75, 0x50, v76
	s_mov_b32 s16, 5
.LBB30_85:                              ; =>This Inner Loop Header: Depth=1
	ds_read2_b64 v[80:83], v75 offset1:1
	s_waitcnt lgkmcnt(1)
	v_xor_b32_e32 v85, 0x80000000, v65
	v_xor_b32_e32 v87, 0x80000000, v67
	v_cmp_gt_f64_e32 vcc, 0, v[66:67]
	v_cmp_gt_f64_e64 s[0:1], 0, v[64:65]
	v_mov_b32_e32 v84, v64
	v_mov_b32_e32 v86, v66
	v_cndmask_b32_e64 v85, v65, v85, s[0:1]
	v_cndmask_b32_e32 v87, v67, v87, vcc
	v_add_f64 v[84:85], v[84:85], v[86:87]
	s_waitcnt lgkmcnt(0)
	v_xor_b32_e32 v87, 0x80000000, v81
	v_xor_b32_e32 v89, 0x80000000, v83
	v_cmp_gt_f64_e32 vcc, 0, v[82:83]
	v_cmp_gt_f64_e64 s[0:1], 0, v[80:81]
	v_mov_b32_e32 v86, v80
	v_mov_b32_e32 v88, v82
	v_cndmask_b32_e64 v87, v81, v87, s[0:1]
	v_cndmask_b32_e32 v89, v83, v89, vcc
	v_add_f64 v[86:87], v[86:87], v[88:89]
	v_mov_b32_e32 v90, s16
	s_add_i32 s16, s16, 1
	v_cmp_lt_f64_e32 vcc, v[84:85], v[86:87]
	v_add_u32_e32 v75, 16, v75
	s_cmp_lg_u32 s20, s16
	v_cndmask_b32_e32 v65, v65, v81, vcc
	v_cndmask_b32_e32 v64, v64, v80, vcc
	;; [unrolled: 1-line block ×5, first 2 shown]
	s_cbranch_scc1 .LBB30_85
.LBB30_86:
	s_waitcnt lgkmcnt(0)
	v_cmp_eq_f64_e32 vcc, 0, v[64:65]
	v_cmp_eq_f64_e64 s[0:1], 0, v[66:67]
	s_and_b64 s[0:1], vcc, s[0:1]
	s_and_saveexec_b64 s[16:17], s[0:1]
	s_xor_b64 s[0:1], exec, s[16:17]
; %bb.87:
	v_cmp_ne_u32_e32 vcc, 0, v79
	s_nop 1
	v_cndmask_b32_e32 v79, 5, v79, vcc
; %bb.88:
	s_andn2_saveexec_b64 s[0:1], s[0:1]
	s_cbranch_execz .LBB30_94
; %bb.89:
	v_cmp_ngt_f64_e64 s[16:17], |v[64:65]|, |v[66:67]|
	s_and_saveexec_b64 s[18:19], s[16:17]
	s_xor_b64 s[16:17], exec, s[18:19]
	s_cbranch_execz .LBB30_91
; %bb.90:
	v_div_scale_f64 v[80:81], s[18:19], v[66:67], v[66:67], v[64:65]
	v_rcp_f64_e32 v[82:83], v[80:81]
	v_div_scale_f64 v[84:85], vcc, v[64:65], v[66:67], v[64:65]
	v_fma_f64 v[86:87], -v[80:81], v[82:83], 1.0
	v_fmac_f64_e32 v[82:83], v[82:83], v[86:87]
	v_fma_f64 v[86:87], -v[80:81], v[82:83], 1.0
	v_fmac_f64_e32 v[82:83], v[82:83], v[86:87]
	v_mul_f64 v[86:87], v[84:85], v[82:83]
	v_fma_f64 v[80:81], -v[80:81], v[86:87], v[84:85]
	v_div_fmas_f64 v[80:81], v[80:81], v[82:83], v[86:87]
	v_div_fixup_f64 v[80:81], v[80:81], v[66:67], v[64:65]
	v_fmac_f64_e32 v[66:67], v[64:65], v[80:81]
	v_div_scale_f64 v[64:65], s[18:19], v[66:67], v[66:67], 1.0
	v_rcp_f64_e32 v[82:83], v[64:65]
	s_nop 0
	v_fma_f64 v[84:85], -v[64:65], v[82:83], 1.0
	v_fmac_f64_e32 v[82:83], v[82:83], v[84:85]
	v_fma_f64 v[84:85], -v[64:65], v[82:83], 1.0
	v_fmac_f64_e32 v[82:83], v[82:83], v[84:85]
	v_div_scale_f64 v[84:85], vcc, 1.0, v[66:67], 1.0
	v_mul_f64 v[86:87], v[84:85], v[82:83]
	v_fma_f64 v[64:65], -v[64:65], v[86:87], v[84:85]
	s_nop 1
	v_div_fmas_f64 v[64:65], v[64:65], v[82:83], v[86:87]
	v_div_fixup_f64 v[66:67], v[64:65], v[66:67], 1.0
	v_mul_f64 v[64:65], v[80:81], v[66:67]
	v_xor_b32_e32 v67, 0x80000000, v67
.LBB30_91:
	s_andn2_saveexec_b64 s[16:17], s[16:17]
	s_cbranch_execz .LBB30_93
; %bb.92:
	v_div_scale_f64 v[80:81], s[18:19], v[64:65], v[64:65], v[66:67]
	v_rcp_f64_e32 v[82:83], v[80:81]
	v_div_scale_f64 v[84:85], vcc, v[66:67], v[64:65], v[66:67]
	v_fma_f64 v[86:87], -v[80:81], v[82:83], 1.0
	v_fmac_f64_e32 v[82:83], v[82:83], v[86:87]
	v_fma_f64 v[86:87], -v[80:81], v[82:83], 1.0
	v_fmac_f64_e32 v[82:83], v[82:83], v[86:87]
	v_mul_f64 v[86:87], v[84:85], v[82:83]
	v_fma_f64 v[80:81], -v[80:81], v[86:87], v[84:85]
	v_div_fmas_f64 v[80:81], v[80:81], v[82:83], v[86:87]
	v_div_fixup_f64 v[80:81], v[80:81], v[64:65], v[66:67]
	v_fmac_f64_e32 v[64:65], v[66:67], v[80:81]
	v_div_scale_f64 v[66:67], s[18:19], v[64:65], v[64:65], 1.0
	v_rcp_f64_e32 v[82:83], v[66:67]
	s_nop 0
	v_fma_f64 v[84:85], -v[66:67], v[82:83], 1.0
	v_fmac_f64_e32 v[82:83], v[82:83], v[84:85]
	v_fma_f64 v[84:85], -v[66:67], v[82:83], 1.0
	v_fmac_f64_e32 v[82:83], v[82:83], v[84:85]
	v_div_scale_f64 v[84:85], vcc, 1.0, v[64:65], 1.0
	v_mul_f64 v[86:87], v[84:85], v[82:83]
	v_fma_f64 v[66:67], -v[66:67], v[86:87], v[84:85]
	s_nop 1
	v_div_fmas_f64 v[66:67], v[66:67], v[82:83], v[86:87]
	v_div_fixup_f64 v[64:65], v[66:67], v[64:65], 1.0
	v_mul_f64 v[66:67], v[80:81], -v[64:65]
.LBB30_93:
	s_or_b64 exec, exec, s[16:17]
.LBB30_94:
	s_or_b64 exec, exec, s[0:1]
	v_cmp_ne_u32_e32 vcc, v77, v74
	s_and_saveexec_b64 s[0:1], vcc
	s_xor_b64 s[0:1], exec, s[0:1]
	s_cbranch_execz .LBB30_100
; %bb.95:
	v_cmp_eq_u32_e32 vcc, 4, v77
	s_and_saveexec_b64 s[16:17], vcc
	s_cbranch_execz .LBB30_99
; %bb.96:
	v_cmp_ne_u32_e32 vcc, 4, v74
	s_xor_b64 s[18:19], s[14:15], -1
	s_and_b64 s[22:23], s[18:19], vcc
	s_and_saveexec_b64 s[18:19], s[22:23]
	s_cbranch_execz .LBB30_98
; %bb.97:
	v_ashrrev_i32_e32 v75, 31, v74
	v_lshl_add_u64 v[80:81], v[74:75], 2, v[72:73]
	global_load_dword v75, v[80:81], off
	global_load_dword v77, v[72:73], off offset:16
	s_waitcnt vmcnt(1)
	global_store_dword v[72:73], v75, off offset:16
	s_waitcnt vmcnt(1)
	global_store_dword v[80:81], v77, off
.LBB30_98:
	s_or_b64 exec, exec, s[18:19]
	v_mov_b32_e32 v77, v74
	v_mov_b32_e32 v78, v74
.LBB30_99:
	s_or_b64 exec, exec, s[16:17]
.LBB30_100:
	s_andn2_saveexec_b64 s[0:1], s[0:1]
	s_cbranch_execz .LBB30_102
; %bb.101:
	v_mov_b32_e32 v77, 4
	s_waitcnt vmcnt(10)
	ds_write2_b64 v76, v[32:33], v[34:35] offset0:10 offset1:11
	s_waitcnt vmcnt(9)
	ds_write2_b64 v76, v[28:29], v[30:31] offset0:12 offset1:13
	;; [unrolled: 2-line block ×11, first 2 shown]
.LBB30_102:
	s_or_b64 exec, exec, s[0:1]
	v_cmp_lt_i32_e32 vcc, 4, v77
	s_waitcnt lgkmcnt(0)
	s_barrier
	s_and_saveexec_b64 s[0:1], vcc
	s_cbranch_execz .LBB30_104
; %bb.103:
	ds_read2_b64 v[80:83], v76 offset0:10 offset1:11
	v_mul_f64 v[74:75], v[64:65], v[46:47]
	v_fmac_f64_e32 v[74:75], v[66:67], v[44:45]
	v_mul_f64 v[46:47], v[66:67], v[46:47]
	v_fma_f64 v[44:45], v[64:65], v[44:45], -v[46:47]
	ds_read2_b64 v[64:67], v76 offset0:12 offset1:13
	s_waitcnt lgkmcnt(1)
	v_mul_f64 v[46:47], v[82:83], v[74:75]
	v_fma_f64 v[46:47], v[80:81], v[44:45], -v[46:47]
	v_mul_f64 v[80:81], v[80:81], v[74:75]
	v_fmac_f64_e32 v[80:81], v[82:83], v[44:45]
	s_waitcnt vmcnt(10)
	v_add_f64 v[34:35], v[34:35], -v[80:81]
	ds_read2_b64 v[80:83], v76 offset0:14 offset1:15
	v_add_f64 v[32:33], v[32:33], -v[46:47]
	s_waitcnt lgkmcnt(1)
	v_mul_f64 v[46:47], v[66:67], v[74:75]
	v_fma_f64 v[46:47], v[64:65], v[44:45], -v[46:47]
	v_mul_f64 v[64:65], v[64:65], v[74:75]
	v_fmac_f64_e32 v[64:65], v[66:67], v[44:45]
	s_waitcnt vmcnt(9)
	v_add_f64 v[28:29], v[28:29], -v[46:47]
	v_add_f64 v[30:31], v[30:31], -v[64:65]
	ds_read2_b64 v[64:67], v76 offset0:16 offset1:17
	s_waitcnt lgkmcnt(1)
	v_mul_f64 v[46:47], v[82:83], v[74:75]
	v_fma_f64 v[46:47], v[80:81], v[44:45], -v[46:47]
	v_mul_f64 v[80:81], v[80:81], v[74:75]
	v_fmac_f64_e32 v[80:81], v[82:83], v[44:45]
	s_waitcnt vmcnt(8)
	v_add_f64 v[22:23], v[22:23], -v[80:81]
	ds_read2_b64 v[80:83], v76 offset0:18 offset1:19
	v_add_f64 v[20:21], v[20:21], -v[46:47]
	s_waitcnt lgkmcnt(1)
	v_mul_f64 v[46:47], v[66:67], v[74:75]
	v_fma_f64 v[46:47], v[64:65], v[44:45], -v[46:47]
	v_mul_f64 v[64:65], v[64:65], v[74:75]
	v_fmac_f64_e32 v[64:65], v[66:67], v[44:45]
	s_waitcnt vmcnt(7)
	v_add_f64 v[36:37], v[36:37], -v[46:47]
	v_add_f64 v[38:39], v[38:39], -v[64:65]
	;; [unrolled: 18-line block ×5, first 2 shown]
	s_waitcnt lgkmcnt(0)
	v_mul_f64 v[46:47], v[82:83], v[74:75]
	v_mul_f64 v[64:65], v[80:81], v[74:75]
	v_fma_f64 v[46:47], v[80:81], v[44:45], -v[46:47]
	v_fmac_f64_e32 v[64:65], v[82:83], v[44:45]
	s_waitcnt vmcnt(0)
	v_add_f64 v[60:61], v[60:61], -v[46:47]
	v_add_f64 v[62:63], v[62:63], -v[64:65]
	v_mov_b64_e32 v[46:47], v[74:75]
.LBB30_104:
	s_or_b64 exec, exec, s[0:1]
	v_lshl_add_u32 v64, v77, 4, v76
	s_barrier
	s_waitcnt vmcnt(10)
	ds_write2_b64 v64, v[32:33], v[34:35] offset1:1
	s_waitcnt lgkmcnt(0)
	s_barrier
	ds_read2_b64 v[64:67], v76 offset0:10 offset1:11
	s_cmp_lt_i32 s20, 7
	v_mov_b32_e32 v74, 5
	s_cbranch_scc1 .LBB30_107
; %bb.105:
	v_add_u32_e32 v75, 0x60, v76
	s_mov_b32 s16, 6
	v_mov_b32_e32 v74, 5
.LBB30_106:                             ; =>This Inner Loop Header: Depth=1
	ds_read2_b64 v[80:83], v75 offset1:1
	s_waitcnt lgkmcnt(1)
	v_xor_b32_e32 v85, 0x80000000, v65
	v_xor_b32_e32 v87, 0x80000000, v67
	v_cmp_gt_f64_e32 vcc, 0, v[66:67]
	v_cmp_gt_f64_e64 s[0:1], 0, v[64:65]
	v_mov_b32_e32 v84, v64
	v_mov_b32_e32 v86, v66
	v_cndmask_b32_e64 v85, v65, v85, s[0:1]
	v_cndmask_b32_e32 v87, v67, v87, vcc
	v_add_f64 v[84:85], v[84:85], v[86:87]
	s_waitcnt lgkmcnt(0)
	v_xor_b32_e32 v87, 0x80000000, v81
	v_xor_b32_e32 v89, 0x80000000, v83
	v_cmp_gt_f64_e32 vcc, 0, v[82:83]
	v_cmp_gt_f64_e64 s[0:1], 0, v[80:81]
	v_mov_b32_e32 v86, v80
	v_mov_b32_e32 v88, v82
	v_cndmask_b32_e64 v87, v81, v87, s[0:1]
	v_cndmask_b32_e32 v89, v83, v89, vcc
	v_add_f64 v[86:87], v[86:87], v[88:89]
	v_mov_b32_e32 v90, s16
	s_add_i32 s16, s16, 1
	v_cmp_lt_f64_e32 vcc, v[84:85], v[86:87]
	v_add_u32_e32 v75, 16, v75
	s_cmp_lg_u32 s20, s16
	v_cndmask_b32_e32 v65, v65, v81, vcc
	v_cndmask_b32_e32 v64, v64, v80, vcc
	;; [unrolled: 1-line block ×5, first 2 shown]
	s_cbranch_scc1 .LBB30_106
.LBB30_107:
	s_waitcnt lgkmcnt(0)
	v_cmp_eq_f64_e32 vcc, 0, v[64:65]
	v_cmp_eq_f64_e64 s[0:1], 0, v[66:67]
	s_and_b64 s[0:1], vcc, s[0:1]
	s_and_saveexec_b64 s[16:17], s[0:1]
	s_xor_b64 s[0:1], exec, s[16:17]
; %bb.108:
	v_cmp_ne_u32_e32 vcc, 0, v79
	s_nop 1
	v_cndmask_b32_e32 v79, 6, v79, vcc
; %bb.109:
	s_andn2_saveexec_b64 s[0:1], s[0:1]
	s_cbranch_execz .LBB30_115
; %bb.110:
	v_cmp_ngt_f64_e64 s[16:17], |v[64:65]|, |v[66:67]|
	s_and_saveexec_b64 s[18:19], s[16:17]
	s_xor_b64 s[16:17], exec, s[18:19]
	s_cbranch_execz .LBB30_112
; %bb.111:
	v_div_scale_f64 v[80:81], s[18:19], v[66:67], v[66:67], v[64:65]
	v_rcp_f64_e32 v[82:83], v[80:81]
	v_div_scale_f64 v[84:85], vcc, v[64:65], v[66:67], v[64:65]
	v_fma_f64 v[86:87], -v[80:81], v[82:83], 1.0
	v_fmac_f64_e32 v[82:83], v[82:83], v[86:87]
	v_fma_f64 v[86:87], -v[80:81], v[82:83], 1.0
	v_fmac_f64_e32 v[82:83], v[82:83], v[86:87]
	v_mul_f64 v[86:87], v[84:85], v[82:83]
	v_fma_f64 v[80:81], -v[80:81], v[86:87], v[84:85]
	v_div_fmas_f64 v[80:81], v[80:81], v[82:83], v[86:87]
	v_div_fixup_f64 v[80:81], v[80:81], v[66:67], v[64:65]
	v_fmac_f64_e32 v[66:67], v[64:65], v[80:81]
	v_div_scale_f64 v[64:65], s[18:19], v[66:67], v[66:67], 1.0
	v_rcp_f64_e32 v[82:83], v[64:65]
	s_nop 0
	v_fma_f64 v[84:85], -v[64:65], v[82:83], 1.0
	v_fmac_f64_e32 v[82:83], v[82:83], v[84:85]
	v_fma_f64 v[84:85], -v[64:65], v[82:83], 1.0
	v_fmac_f64_e32 v[82:83], v[82:83], v[84:85]
	v_div_scale_f64 v[84:85], vcc, 1.0, v[66:67], 1.0
	v_mul_f64 v[86:87], v[84:85], v[82:83]
	v_fma_f64 v[64:65], -v[64:65], v[86:87], v[84:85]
	s_nop 1
	v_div_fmas_f64 v[64:65], v[64:65], v[82:83], v[86:87]
	v_div_fixup_f64 v[66:67], v[64:65], v[66:67], 1.0
	v_mul_f64 v[64:65], v[80:81], v[66:67]
	v_xor_b32_e32 v67, 0x80000000, v67
.LBB30_112:
	s_andn2_saveexec_b64 s[16:17], s[16:17]
	s_cbranch_execz .LBB30_114
; %bb.113:
	v_div_scale_f64 v[80:81], s[18:19], v[64:65], v[64:65], v[66:67]
	v_rcp_f64_e32 v[82:83], v[80:81]
	v_div_scale_f64 v[84:85], vcc, v[66:67], v[64:65], v[66:67]
	v_fma_f64 v[86:87], -v[80:81], v[82:83], 1.0
	v_fmac_f64_e32 v[82:83], v[82:83], v[86:87]
	v_fma_f64 v[86:87], -v[80:81], v[82:83], 1.0
	v_fmac_f64_e32 v[82:83], v[82:83], v[86:87]
	v_mul_f64 v[86:87], v[84:85], v[82:83]
	v_fma_f64 v[80:81], -v[80:81], v[86:87], v[84:85]
	v_div_fmas_f64 v[80:81], v[80:81], v[82:83], v[86:87]
	v_div_fixup_f64 v[80:81], v[80:81], v[64:65], v[66:67]
	v_fmac_f64_e32 v[64:65], v[66:67], v[80:81]
	v_div_scale_f64 v[66:67], s[18:19], v[64:65], v[64:65], 1.0
	v_rcp_f64_e32 v[82:83], v[66:67]
	s_nop 0
	v_fma_f64 v[84:85], -v[66:67], v[82:83], 1.0
	v_fmac_f64_e32 v[82:83], v[82:83], v[84:85]
	v_fma_f64 v[84:85], -v[66:67], v[82:83], 1.0
	v_fmac_f64_e32 v[82:83], v[82:83], v[84:85]
	v_div_scale_f64 v[84:85], vcc, 1.0, v[64:65], 1.0
	v_mul_f64 v[86:87], v[84:85], v[82:83]
	v_fma_f64 v[66:67], -v[66:67], v[86:87], v[84:85]
	s_nop 1
	v_div_fmas_f64 v[66:67], v[66:67], v[82:83], v[86:87]
	v_div_fixup_f64 v[64:65], v[66:67], v[64:65], 1.0
	v_mul_f64 v[66:67], v[80:81], -v[64:65]
.LBB30_114:
	s_or_b64 exec, exec, s[16:17]
.LBB30_115:
	s_or_b64 exec, exec, s[0:1]
	v_cmp_ne_u32_e32 vcc, v77, v74
	s_and_saveexec_b64 s[0:1], vcc
	s_xor_b64 s[0:1], exec, s[0:1]
	s_cbranch_execz .LBB30_121
; %bb.116:
	v_cmp_eq_u32_e32 vcc, 5, v77
	s_and_saveexec_b64 s[16:17], vcc
	s_cbranch_execz .LBB30_120
; %bb.117:
	v_cmp_ne_u32_e32 vcc, 5, v74
	s_xor_b64 s[18:19], s[14:15], -1
	s_and_b64 s[22:23], s[18:19], vcc
	s_and_saveexec_b64 s[18:19], s[22:23]
	s_cbranch_execz .LBB30_119
; %bb.118:
	v_ashrrev_i32_e32 v75, 31, v74
	v_lshl_add_u64 v[80:81], v[74:75], 2, v[72:73]
	global_load_dword v75, v[80:81], off
	global_load_dword v77, v[72:73], off offset:20
	s_waitcnt vmcnt(1)
	global_store_dword v[72:73], v75, off offset:20
	s_waitcnt vmcnt(1)
	global_store_dword v[80:81], v77, off
.LBB30_119:
	s_or_b64 exec, exec, s[18:19]
	v_mov_b32_e32 v77, v74
	v_mov_b32_e32 v78, v74
.LBB30_120:
	s_or_b64 exec, exec, s[16:17]
.LBB30_121:
	s_andn2_saveexec_b64 s[0:1], s[0:1]
	s_cbranch_execz .LBB30_123
; %bb.122:
	v_mov_b32_e32 v77, 5
	s_waitcnt vmcnt(9)
	ds_write2_b64 v76, v[28:29], v[30:31] offset0:12 offset1:13
	s_waitcnt vmcnt(8)
	ds_write2_b64 v76, v[20:21], v[22:23] offset0:14 offset1:15
	;; [unrolled: 2-line block ×10, first 2 shown]
.LBB30_123:
	s_or_b64 exec, exec, s[0:1]
	v_cmp_lt_i32_e32 vcc, 5, v77
	s_waitcnt lgkmcnt(0)
	s_barrier
	s_and_saveexec_b64 s[0:1], vcc
	s_cbranch_execz .LBB30_125
; %bb.124:
	ds_read2_b64 v[80:83], v76 offset0:12 offset1:13
	v_mul_f64 v[74:75], v[64:65], v[34:35]
	v_mul_f64 v[34:35], v[66:67], v[34:35]
	v_fmac_f64_e32 v[74:75], v[66:67], v[32:33]
	v_fma_f64 v[32:33], v[64:65], v[32:33], -v[34:35]
	ds_read2_b64 v[64:67], v76 offset0:14 offset1:15
	s_waitcnt lgkmcnt(1)
	v_mul_f64 v[34:35], v[82:83], v[74:75]
	v_fma_f64 v[34:35], v[80:81], v[32:33], -v[34:35]
	v_mul_f64 v[80:81], v[80:81], v[74:75]
	v_fmac_f64_e32 v[80:81], v[82:83], v[32:33]
	s_waitcnt vmcnt(9)
	v_add_f64 v[28:29], v[28:29], -v[34:35]
	s_waitcnt lgkmcnt(0)
	v_mul_f64 v[34:35], v[66:67], v[74:75]
	v_add_f64 v[30:31], v[30:31], -v[80:81]
	v_fma_f64 v[34:35], v[64:65], v[32:33], -v[34:35]
	v_mul_f64 v[64:65], v[64:65], v[74:75]
	ds_read2_b64 v[80:83], v76 offset0:16 offset1:17
	v_fmac_f64_e32 v[64:65], v[66:67], v[32:33]
	s_waitcnt vmcnt(8)
	v_add_f64 v[22:23], v[22:23], -v[64:65]
	ds_read2_b64 v[64:67], v76 offset0:18 offset1:19
	v_add_f64 v[20:21], v[20:21], -v[34:35]
	s_waitcnt lgkmcnt(1)
	v_mul_f64 v[34:35], v[82:83], v[74:75]
	v_fma_f64 v[34:35], v[80:81], v[32:33], -v[34:35]
	v_mul_f64 v[80:81], v[80:81], v[74:75]
	v_fmac_f64_e32 v[80:81], v[82:83], v[32:33]
	s_waitcnt vmcnt(7)
	v_add_f64 v[36:37], v[36:37], -v[34:35]
	s_waitcnt lgkmcnt(0)
	v_mul_f64 v[34:35], v[66:67], v[74:75]
	v_add_f64 v[38:39], v[38:39], -v[80:81]
	v_fma_f64 v[34:35], v[64:65], v[32:33], -v[34:35]
	v_mul_f64 v[64:65], v[64:65], v[74:75]
	ds_read2_b64 v[80:83], v76 offset0:20 offset1:21
	v_fmac_f64_e32 v[64:65], v[66:67], v[32:33]
	s_waitcnt vmcnt(6)
	v_add_f64 v[26:27], v[26:27], -v[64:65]
	ds_read2_b64 v[64:67], v76 offset0:22 offset1:23
	v_add_f64 v[24:25], v[24:25], -v[34:35]
	;; [unrolled: 18-line block ×4, first 2 shown]
	s_waitcnt lgkmcnt(1)
	v_mul_f64 v[34:35], v[82:83], v[74:75]
	v_fma_f64 v[34:35], v[80:81], v[32:33], -v[34:35]
	s_waitcnt vmcnt(1)
	v_add_f64 v[0:1], v[0:1], -v[34:35]
	s_waitcnt lgkmcnt(0)
	v_mul_f64 v[34:35], v[66:67], v[74:75]
	v_mul_f64 v[80:81], v[80:81], v[74:75]
	v_fma_f64 v[34:35], v[64:65], v[32:33], -v[34:35]
	v_mul_f64 v[64:65], v[64:65], v[74:75]
	v_fmac_f64_e32 v[80:81], v[82:83], v[32:33]
	v_fmac_f64_e32 v[64:65], v[66:67], v[32:33]
	v_add_f64 v[2:3], v[2:3], -v[80:81]
	s_waitcnt vmcnt(0)
	v_add_f64 v[60:61], v[60:61], -v[34:35]
	v_add_f64 v[62:63], v[62:63], -v[64:65]
	v_mov_b64_e32 v[34:35], v[74:75]
.LBB30_125:
	s_or_b64 exec, exec, s[0:1]
	v_lshl_add_u32 v64, v77, 4, v76
	s_barrier
	s_waitcnt vmcnt(9)
	ds_write2_b64 v64, v[28:29], v[30:31] offset1:1
	s_waitcnt lgkmcnt(0)
	s_barrier
	ds_read2_b64 v[64:67], v76 offset0:12 offset1:13
	s_cmp_lt_i32 s20, 8
	v_mov_b32_e32 v74, 6
	s_cbranch_scc1 .LBB30_128
; %bb.126:
	v_add_u32_e32 v75, 0x70, v76
	s_mov_b32 s16, 7
	v_mov_b32_e32 v74, 6
.LBB30_127:                             ; =>This Inner Loop Header: Depth=1
	ds_read2_b64 v[80:83], v75 offset1:1
	s_waitcnt lgkmcnt(1)
	v_xor_b32_e32 v85, 0x80000000, v65
	v_xor_b32_e32 v87, 0x80000000, v67
	v_cmp_gt_f64_e32 vcc, 0, v[66:67]
	v_cmp_gt_f64_e64 s[0:1], 0, v[64:65]
	v_mov_b32_e32 v84, v64
	v_mov_b32_e32 v86, v66
	v_cndmask_b32_e64 v85, v65, v85, s[0:1]
	v_cndmask_b32_e32 v87, v67, v87, vcc
	v_add_f64 v[84:85], v[84:85], v[86:87]
	s_waitcnt lgkmcnt(0)
	v_xor_b32_e32 v87, 0x80000000, v81
	v_xor_b32_e32 v89, 0x80000000, v83
	v_cmp_gt_f64_e32 vcc, 0, v[82:83]
	v_cmp_gt_f64_e64 s[0:1], 0, v[80:81]
	v_mov_b32_e32 v86, v80
	v_mov_b32_e32 v88, v82
	v_cndmask_b32_e64 v87, v81, v87, s[0:1]
	v_cndmask_b32_e32 v89, v83, v89, vcc
	v_add_f64 v[86:87], v[86:87], v[88:89]
	v_mov_b32_e32 v90, s16
	s_add_i32 s16, s16, 1
	v_cmp_lt_f64_e32 vcc, v[84:85], v[86:87]
	v_add_u32_e32 v75, 16, v75
	s_cmp_lg_u32 s20, s16
	v_cndmask_b32_e32 v65, v65, v81, vcc
	v_cndmask_b32_e32 v64, v64, v80, vcc
	;; [unrolled: 1-line block ×5, first 2 shown]
	s_cbranch_scc1 .LBB30_127
.LBB30_128:
	s_waitcnt lgkmcnt(0)
	v_cmp_eq_f64_e32 vcc, 0, v[64:65]
	v_cmp_eq_f64_e64 s[0:1], 0, v[66:67]
	s_and_b64 s[0:1], vcc, s[0:1]
	s_and_saveexec_b64 s[16:17], s[0:1]
	s_xor_b64 s[0:1], exec, s[16:17]
; %bb.129:
	v_cmp_ne_u32_e32 vcc, 0, v79
	s_nop 1
	v_cndmask_b32_e32 v79, 7, v79, vcc
; %bb.130:
	s_andn2_saveexec_b64 s[0:1], s[0:1]
	s_cbranch_execz .LBB30_136
; %bb.131:
	v_cmp_ngt_f64_e64 s[16:17], |v[64:65]|, |v[66:67]|
	s_and_saveexec_b64 s[18:19], s[16:17]
	s_xor_b64 s[16:17], exec, s[18:19]
	s_cbranch_execz .LBB30_133
; %bb.132:
	v_div_scale_f64 v[80:81], s[18:19], v[66:67], v[66:67], v[64:65]
	v_rcp_f64_e32 v[82:83], v[80:81]
	v_div_scale_f64 v[84:85], vcc, v[64:65], v[66:67], v[64:65]
	v_fma_f64 v[86:87], -v[80:81], v[82:83], 1.0
	v_fmac_f64_e32 v[82:83], v[82:83], v[86:87]
	v_fma_f64 v[86:87], -v[80:81], v[82:83], 1.0
	v_fmac_f64_e32 v[82:83], v[82:83], v[86:87]
	v_mul_f64 v[86:87], v[84:85], v[82:83]
	v_fma_f64 v[80:81], -v[80:81], v[86:87], v[84:85]
	v_div_fmas_f64 v[80:81], v[80:81], v[82:83], v[86:87]
	v_div_fixup_f64 v[80:81], v[80:81], v[66:67], v[64:65]
	v_fmac_f64_e32 v[66:67], v[64:65], v[80:81]
	v_div_scale_f64 v[64:65], s[18:19], v[66:67], v[66:67], 1.0
	v_rcp_f64_e32 v[82:83], v[64:65]
	s_nop 0
	v_fma_f64 v[84:85], -v[64:65], v[82:83], 1.0
	v_fmac_f64_e32 v[82:83], v[82:83], v[84:85]
	v_fma_f64 v[84:85], -v[64:65], v[82:83], 1.0
	v_fmac_f64_e32 v[82:83], v[82:83], v[84:85]
	v_div_scale_f64 v[84:85], vcc, 1.0, v[66:67], 1.0
	v_mul_f64 v[86:87], v[84:85], v[82:83]
	v_fma_f64 v[64:65], -v[64:65], v[86:87], v[84:85]
	s_nop 1
	v_div_fmas_f64 v[64:65], v[64:65], v[82:83], v[86:87]
	v_div_fixup_f64 v[66:67], v[64:65], v[66:67], 1.0
	v_mul_f64 v[64:65], v[80:81], v[66:67]
	v_xor_b32_e32 v67, 0x80000000, v67
.LBB30_133:
	s_andn2_saveexec_b64 s[16:17], s[16:17]
	s_cbranch_execz .LBB30_135
; %bb.134:
	v_div_scale_f64 v[80:81], s[18:19], v[64:65], v[64:65], v[66:67]
	v_rcp_f64_e32 v[82:83], v[80:81]
	v_div_scale_f64 v[84:85], vcc, v[66:67], v[64:65], v[66:67]
	v_fma_f64 v[86:87], -v[80:81], v[82:83], 1.0
	v_fmac_f64_e32 v[82:83], v[82:83], v[86:87]
	v_fma_f64 v[86:87], -v[80:81], v[82:83], 1.0
	v_fmac_f64_e32 v[82:83], v[82:83], v[86:87]
	v_mul_f64 v[86:87], v[84:85], v[82:83]
	v_fma_f64 v[80:81], -v[80:81], v[86:87], v[84:85]
	v_div_fmas_f64 v[80:81], v[80:81], v[82:83], v[86:87]
	v_div_fixup_f64 v[80:81], v[80:81], v[64:65], v[66:67]
	v_fmac_f64_e32 v[64:65], v[66:67], v[80:81]
	v_div_scale_f64 v[66:67], s[18:19], v[64:65], v[64:65], 1.0
	v_rcp_f64_e32 v[82:83], v[66:67]
	s_nop 0
	v_fma_f64 v[84:85], -v[66:67], v[82:83], 1.0
	v_fmac_f64_e32 v[82:83], v[82:83], v[84:85]
	v_fma_f64 v[84:85], -v[66:67], v[82:83], 1.0
	v_fmac_f64_e32 v[82:83], v[82:83], v[84:85]
	v_div_scale_f64 v[84:85], vcc, 1.0, v[64:65], 1.0
	v_mul_f64 v[86:87], v[84:85], v[82:83]
	v_fma_f64 v[66:67], -v[66:67], v[86:87], v[84:85]
	s_nop 1
	v_div_fmas_f64 v[66:67], v[66:67], v[82:83], v[86:87]
	v_div_fixup_f64 v[64:65], v[66:67], v[64:65], 1.0
	v_mul_f64 v[66:67], v[80:81], -v[64:65]
.LBB30_135:
	s_or_b64 exec, exec, s[16:17]
.LBB30_136:
	s_or_b64 exec, exec, s[0:1]
	v_cmp_ne_u32_e32 vcc, v77, v74
	s_and_saveexec_b64 s[0:1], vcc
	s_xor_b64 s[0:1], exec, s[0:1]
	s_cbranch_execz .LBB30_142
; %bb.137:
	v_cmp_eq_u32_e32 vcc, 6, v77
	s_and_saveexec_b64 s[16:17], vcc
	s_cbranch_execz .LBB30_141
; %bb.138:
	v_cmp_ne_u32_e32 vcc, 6, v74
	s_xor_b64 s[18:19], s[14:15], -1
	s_and_b64 s[22:23], s[18:19], vcc
	s_and_saveexec_b64 s[18:19], s[22:23]
	s_cbranch_execz .LBB30_140
; %bb.139:
	v_ashrrev_i32_e32 v75, 31, v74
	v_lshl_add_u64 v[80:81], v[74:75], 2, v[72:73]
	global_load_dword v75, v[80:81], off
	global_load_dword v77, v[72:73], off offset:24
	s_waitcnt vmcnt(1)
	global_store_dword v[72:73], v75, off offset:24
	s_waitcnt vmcnt(1)
	global_store_dword v[80:81], v77, off
.LBB30_140:
	s_or_b64 exec, exec, s[18:19]
	v_mov_b32_e32 v77, v74
	v_mov_b32_e32 v78, v74
.LBB30_141:
	s_or_b64 exec, exec, s[16:17]
.LBB30_142:
	s_andn2_saveexec_b64 s[0:1], s[0:1]
	s_cbranch_execz .LBB30_144
; %bb.143:
	v_mov_b32_e32 v77, 6
	s_waitcnt vmcnt(8)
	ds_write2_b64 v76, v[20:21], v[22:23] offset0:14 offset1:15
	s_waitcnt vmcnt(7)
	ds_write2_b64 v76, v[36:37], v[38:39] offset0:16 offset1:17
	;; [unrolled: 2-line block ×9, first 2 shown]
.LBB30_144:
	s_or_b64 exec, exec, s[0:1]
	v_cmp_lt_i32_e32 vcc, 6, v77
	s_waitcnt lgkmcnt(0)
	s_barrier
	s_and_saveexec_b64 s[0:1], vcc
	s_cbranch_execz .LBB30_146
; %bb.145:
	ds_read2_b64 v[80:83], v76 offset0:14 offset1:15
	v_mul_f64 v[74:75], v[64:65], v[30:31]
	v_fmac_f64_e32 v[74:75], v[66:67], v[28:29]
	v_mul_f64 v[30:31], v[66:67], v[30:31]
	v_fma_f64 v[28:29], v[64:65], v[28:29], -v[30:31]
	ds_read2_b64 v[64:67], v76 offset0:16 offset1:17
	s_waitcnt lgkmcnt(1)
	v_mul_f64 v[30:31], v[82:83], v[74:75]
	v_fma_f64 v[30:31], v[80:81], v[28:29], -v[30:31]
	v_mul_f64 v[80:81], v[80:81], v[74:75]
	v_fmac_f64_e32 v[80:81], v[82:83], v[28:29]
	s_waitcnt vmcnt(8)
	v_add_f64 v[22:23], v[22:23], -v[80:81]
	ds_read2_b64 v[80:83], v76 offset0:18 offset1:19
	v_add_f64 v[20:21], v[20:21], -v[30:31]
	s_waitcnt lgkmcnt(1)
	v_mul_f64 v[30:31], v[66:67], v[74:75]
	v_fma_f64 v[30:31], v[64:65], v[28:29], -v[30:31]
	v_mul_f64 v[64:65], v[64:65], v[74:75]
	v_fmac_f64_e32 v[64:65], v[66:67], v[28:29]
	s_waitcnt vmcnt(7)
	v_add_f64 v[36:37], v[36:37], -v[30:31]
	v_add_f64 v[38:39], v[38:39], -v[64:65]
	ds_read2_b64 v[64:67], v76 offset0:20 offset1:21
	s_waitcnt lgkmcnt(1)
	v_mul_f64 v[30:31], v[82:83], v[74:75]
	v_fma_f64 v[30:31], v[80:81], v[28:29], -v[30:31]
	v_mul_f64 v[80:81], v[80:81], v[74:75]
	v_fmac_f64_e32 v[80:81], v[82:83], v[28:29]
	s_waitcnt vmcnt(6)
	v_add_f64 v[26:27], v[26:27], -v[80:81]
	ds_read2_b64 v[80:83], v76 offset0:22 offset1:23
	v_add_f64 v[24:25], v[24:25], -v[30:31]
	s_waitcnt lgkmcnt(1)
	v_mul_f64 v[30:31], v[66:67], v[74:75]
	v_fma_f64 v[30:31], v[64:65], v[28:29], -v[30:31]
	v_mul_f64 v[64:65], v[64:65], v[74:75]
	v_fmac_f64_e32 v[64:65], v[66:67], v[28:29]
	s_waitcnt vmcnt(5)
	v_add_f64 v[16:17], v[16:17], -v[30:31]
	v_add_f64 v[18:19], v[18:19], -v[64:65]
	;; [unrolled: 18-line block ×4, first 2 shown]
	s_waitcnt lgkmcnt(0)
	v_mul_f64 v[30:31], v[82:83], v[74:75]
	v_mul_f64 v[64:65], v[80:81], v[74:75]
	v_fma_f64 v[30:31], v[80:81], v[28:29], -v[30:31]
	v_fmac_f64_e32 v[64:65], v[82:83], v[28:29]
	s_waitcnt vmcnt(0)
	v_add_f64 v[60:61], v[60:61], -v[30:31]
	v_add_f64 v[62:63], v[62:63], -v[64:65]
	v_mov_b64_e32 v[30:31], v[74:75]
.LBB30_146:
	s_or_b64 exec, exec, s[0:1]
	v_lshl_add_u32 v64, v77, 4, v76
	s_barrier
	s_waitcnt vmcnt(8)
	ds_write2_b64 v64, v[20:21], v[22:23] offset1:1
	s_waitcnt lgkmcnt(0)
	s_barrier
	ds_read2_b64 v[64:67], v76 offset0:14 offset1:15
	s_cmp_lt_i32 s20, 9
	v_mov_b32_e32 v74, 7
	s_cbranch_scc1 .LBB30_149
; %bb.147:
	v_add_u32_e32 v75, 0x80, v76
	s_mov_b32 s16, 8
	v_mov_b32_e32 v74, 7
.LBB30_148:                             ; =>This Inner Loop Header: Depth=1
	ds_read2_b64 v[80:83], v75 offset1:1
	s_waitcnt lgkmcnt(1)
	v_xor_b32_e32 v85, 0x80000000, v65
	v_xor_b32_e32 v87, 0x80000000, v67
	v_cmp_gt_f64_e32 vcc, 0, v[66:67]
	v_cmp_gt_f64_e64 s[0:1], 0, v[64:65]
	v_mov_b32_e32 v84, v64
	v_mov_b32_e32 v86, v66
	v_cndmask_b32_e64 v85, v65, v85, s[0:1]
	v_cndmask_b32_e32 v87, v67, v87, vcc
	v_add_f64 v[84:85], v[84:85], v[86:87]
	s_waitcnt lgkmcnt(0)
	v_xor_b32_e32 v87, 0x80000000, v81
	v_xor_b32_e32 v89, 0x80000000, v83
	v_cmp_gt_f64_e32 vcc, 0, v[82:83]
	v_cmp_gt_f64_e64 s[0:1], 0, v[80:81]
	v_mov_b32_e32 v86, v80
	v_mov_b32_e32 v88, v82
	v_cndmask_b32_e64 v87, v81, v87, s[0:1]
	v_cndmask_b32_e32 v89, v83, v89, vcc
	v_add_f64 v[86:87], v[86:87], v[88:89]
	v_mov_b32_e32 v90, s16
	s_add_i32 s16, s16, 1
	v_cmp_lt_f64_e32 vcc, v[84:85], v[86:87]
	v_add_u32_e32 v75, 16, v75
	s_cmp_lg_u32 s20, s16
	v_cndmask_b32_e32 v65, v65, v81, vcc
	v_cndmask_b32_e32 v64, v64, v80, vcc
	;; [unrolled: 1-line block ×5, first 2 shown]
	s_cbranch_scc1 .LBB30_148
.LBB30_149:
	s_waitcnt lgkmcnt(0)
	v_cmp_eq_f64_e32 vcc, 0, v[64:65]
	v_cmp_eq_f64_e64 s[0:1], 0, v[66:67]
	s_and_b64 s[0:1], vcc, s[0:1]
	s_and_saveexec_b64 s[16:17], s[0:1]
	s_xor_b64 s[0:1], exec, s[16:17]
; %bb.150:
	v_cmp_ne_u32_e32 vcc, 0, v79
	s_nop 1
	v_cndmask_b32_e32 v79, 8, v79, vcc
; %bb.151:
	s_andn2_saveexec_b64 s[0:1], s[0:1]
	s_cbranch_execz .LBB30_157
; %bb.152:
	v_cmp_ngt_f64_e64 s[16:17], |v[64:65]|, |v[66:67]|
	s_and_saveexec_b64 s[18:19], s[16:17]
	s_xor_b64 s[16:17], exec, s[18:19]
	s_cbranch_execz .LBB30_154
; %bb.153:
	v_div_scale_f64 v[80:81], s[18:19], v[66:67], v[66:67], v[64:65]
	v_rcp_f64_e32 v[82:83], v[80:81]
	v_div_scale_f64 v[84:85], vcc, v[64:65], v[66:67], v[64:65]
	v_fma_f64 v[86:87], -v[80:81], v[82:83], 1.0
	v_fmac_f64_e32 v[82:83], v[82:83], v[86:87]
	v_fma_f64 v[86:87], -v[80:81], v[82:83], 1.0
	v_fmac_f64_e32 v[82:83], v[82:83], v[86:87]
	v_mul_f64 v[86:87], v[84:85], v[82:83]
	v_fma_f64 v[80:81], -v[80:81], v[86:87], v[84:85]
	v_div_fmas_f64 v[80:81], v[80:81], v[82:83], v[86:87]
	v_div_fixup_f64 v[80:81], v[80:81], v[66:67], v[64:65]
	v_fmac_f64_e32 v[66:67], v[64:65], v[80:81]
	v_div_scale_f64 v[64:65], s[18:19], v[66:67], v[66:67], 1.0
	v_rcp_f64_e32 v[82:83], v[64:65]
	s_nop 0
	v_fma_f64 v[84:85], -v[64:65], v[82:83], 1.0
	v_fmac_f64_e32 v[82:83], v[82:83], v[84:85]
	v_fma_f64 v[84:85], -v[64:65], v[82:83], 1.0
	v_fmac_f64_e32 v[82:83], v[82:83], v[84:85]
	v_div_scale_f64 v[84:85], vcc, 1.0, v[66:67], 1.0
	v_mul_f64 v[86:87], v[84:85], v[82:83]
	v_fma_f64 v[64:65], -v[64:65], v[86:87], v[84:85]
	s_nop 1
	v_div_fmas_f64 v[64:65], v[64:65], v[82:83], v[86:87]
	v_div_fixup_f64 v[66:67], v[64:65], v[66:67], 1.0
	v_mul_f64 v[64:65], v[80:81], v[66:67]
	v_xor_b32_e32 v67, 0x80000000, v67
.LBB30_154:
	s_andn2_saveexec_b64 s[16:17], s[16:17]
	s_cbranch_execz .LBB30_156
; %bb.155:
	v_div_scale_f64 v[80:81], s[18:19], v[64:65], v[64:65], v[66:67]
	v_rcp_f64_e32 v[82:83], v[80:81]
	v_div_scale_f64 v[84:85], vcc, v[66:67], v[64:65], v[66:67]
	v_fma_f64 v[86:87], -v[80:81], v[82:83], 1.0
	v_fmac_f64_e32 v[82:83], v[82:83], v[86:87]
	v_fma_f64 v[86:87], -v[80:81], v[82:83], 1.0
	v_fmac_f64_e32 v[82:83], v[82:83], v[86:87]
	v_mul_f64 v[86:87], v[84:85], v[82:83]
	v_fma_f64 v[80:81], -v[80:81], v[86:87], v[84:85]
	v_div_fmas_f64 v[80:81], v[80:81], v[82:83], v[86:87]
	v_div_fixup_f64 v[80:81], v[80:81], v[64:65], v[66:67]
	v_fmac_f64_e32 v[64:65], v[66:67], v[80:81]
	v_div_scale_f64 v[66:67], s[18:19], v[64:65], v[64:65], 1.0
	v_rcp_f64_e32 v[82:83], v[66:67]
	s_nop 0
	v_fma_f64 v[84:85], -v[66:67], v[82:83], 1.0
	v_fmac_f64_e32 v[82:83], v[82:83], v[84:85]
	v_fma_f64 v[84:85], -v[66:67], v[82:83], 1.0
	v_fmac_f64_e32 v[82:83], v[82:83], v[84:85]
	v_div_scale_f64 v[84:85], vcc, 1.0, v[64:65], 1.0
	v_mul_f64 v[86:87], v[84:85], v[82:83]
	v_fma_f64 v[66:67], -v[66:67], v[86:87], v[84:85]
	s_nop 1
	v_div_fmas_f64 v[66:67], v[66:67], v[82:83], v[86:87]
	v_div_fixup_f64 v[64:65], v[66:67], v[64:65], 1.0
	v_mul_f64 v[66:67], v[80:81], -v[64:65]
.LBB30_156:
	s_or_b64 exec, exec, s[16:17]
.LBB30_157:
	s_or_b64 exec, exec, s[0:1]
	v_cmp_ne_u32_e32 vcc, v77, v74
	s_and_saveexec_b64 s[0:1], vcc
	s_xor_b64 s[0:1], exec, s[0:1]
	s_cbranch_execz .LBB30_163
; %bb.158:
	v_cmp_eq_u32_e32 vcc, 7, v77
	s_and_saveexec_b64 s[16:17], vcc
	s_cbranch_execz .LBB30_162
; %bb.159:
	v_cmp_ne_u32_e32 vcc, 7, v74
	s_xor_b64 s[18:19], s[14:15], -1
	s_and_b64 s[22:23], s[18:19], vcc
	s_and_saveexec_b64 s[18:19], s[22:23]
	s_cbranch_execz .LBB30_161
; %bb.160:
	v_ashrrev_i32_e32 v75, 31, v74
	v_lshl_add_u64 v[80:81], v[74:75], 2, v[72:73]
	global_load_dword v75, v[80:81], off
	global_load_dword v77, v[72:73], off offset:28
	s_waitcnt vmcnt(1)
	global_store_dword v[72:73], v75, off offset:28
	s_waitcnt vmcnt(1)
	global_store_dword v[80:81], v77, off
.LBB30_161:
	s_or_b64 exec, exec, s[18:19]
	v_mov_b32_e32 v77, v74
	v_mov_b32_e32 v78, v74
.LBB30_162:
	s_or_b64 exec, exec, s[16:17]
.LBB30_163:
	s_andn2_saveexec_b64 s[0:1], s[0:1]
	s_cbranch_execz .LBB30_165
; %bb.164:
	v_mov_b32_e32 v77, 7
	s_waitcnt vmcnt(7)
	ds_write2_b64 v76, v[36:37], v[38:39] offset0:16 offset1:17
	s_waitcnt vmcnt(6)
	ds_write2_b64 v76, v[24:25], v[26:27] offset0:18 offset1:19
	s_waitcnt vmcnt(5)
	ds_write2_b64 v76, v[16:17], v[18:19] offset0:20 offset1:21
	s_waitcnt vmcnt(4)
	ds_write2_b64 v76, v[12:13], v[14:15] offset0:22 offset1:23
	s_waitcnt vmcnt(3)
	ds_write2_b64 v76, v[8:9], v[10:11] offset0:24 offset1:25
	s_waitcnt vmcnt(2)
	ds_write2_b64 v76, v[4:5], v[6:7] offset0:26 offset1:27
	s_waitcnt vmcnt(1)
	ds_write2_b64 v76, v[0:1], v[2:3] offset0:28 offset1:29
	s_waitcnt vmcnt(0)
	ds_write2_b64 v76, v[60:61], v[62:63] offset0:30 offset1:31
.LBB30_165:
	s_or_b64 exec, exec, s[0:1]
	v_cmp_lt_i32_e32 vcc, 7, v77
	s_waitcnt lgkmcnt(0)
	s_barrier
	s_and_saveexec_b64 s[0:1], vcc
	s_cbranch_execz .LBB30_167
; %bb.166:
	ds_read2_b64 v[80:83], v76 offset0:16 offset1:17
	v_mul_f64 v[74:75], v[64:65], v[22:23]
	v_mul_f64 v[22:23], v[66:67], v[22:23]
	v_fmac_f64_e32 v[74:75], v[66:67], v[20:21]
	v_fma_f64 v[20:21], v[64:65], v[20:21], -v[22:23]
	ds_read2_b64 v[64:67], v76 offset0:18 offset1:19
	s_waitcnt lgkmcnt(1)
	v_mul_f64 v[22:23], v[82:83], v[74:75]
	v_fma_f64 v[22:23], v[80:81], v[20:21], -v[22:23]
	v_mul_f64 v[80:81], v[80:81], v[74:75]
	v_fmac_f64_e32 v[80:81], v[82:83], v[20:21]
	s_waitcnt vmcnt(7)
	v_add_f64 v[36:37], v[36:37], -v[22:23]
	s_waitcnt lgkmcnt(0)
	v_mul_f64 v[22:23], v[66:67], v[74:75]
	v_add_f64 v[38:39], v[38:39], -v[80:81]
	v_fma_f64 v[22:23], v[64:65], v[20:21], -v[22:23]
	v_mul_f64 v[64:65], v[64:65], v[74:75]
	ds_read2_b64 v[80:83], v76 offset0:20 offset1:21
	v_fmac_f64_e32 v[64:65], v[66:67], v[20:21]
	s_waitcnt vmcnt(6)
	v_add_f64 v[26:27], v[26:27], -v[64:65]
	ds_read2_b64 v[64:67], v76 offset0:22 offset1:23
	v_add_f64 v[24:25], v[24:25], -v[22:23]
	s_waitcnt lgkmcnt(1)
	v_mul_f64 v[22:23], v[82:83], v[74:75]
	v_fma_f64 v[22:23], v[80:81], v[20:21], -v[22:23]
	v_mul_f64 v[80:81], v[80:81], v[74:75]
	v_fmac_f64_e32 v[80:81], v[82:83], v[20:21]
	s_waitcnt vmcnt(5)
	v_add_f64 v[16:17], v[16:17], -v[22:23]
	s_waitcnt lgkmcnt(0)
	v_mul_f64 v[22:23], v[66:67], v[74:75]
	v_add_f64 v[18:19], v[18:19], -v[80:81]
	v_fma_f64 v[22:23], v[64:65], v[20:21], -v[22:23]
	v_mul_f64 v[64:65], v[64:65], v[74:75]
	ds_read2_b64 v[80:83], v76 offset0:24 offset1:25
	v_fmac_f64_e32 v[64:65], v[66:67], v[20:21]
	s_waitcnt vmcnt(4)
	v_add_f64 v[14:15], v[14:15], -v[64:65]
	ds_read2_b64 v[64:67], v76 offset0:26 offset1:27
	v_add_f64 v[12:13], v[12:13], -v[22:23]
	s_waitcnt lgkmcnt(1)
	v_mul_f64 v[22:23], v[82:83], v[74:75]
	v_fma_f64 v[22:23], v[80:81], v[20:21], -v[22:23]
	v_mul_f64 v[80:81], v[80:81], v[74:75]
	v_fmac_f64_e32 v[80:81], v[82:83], v[20:21]
	s_waitcnt vmcnt(3)
	v_add_f64 v[8:9], v[8:9], -v[22:23]
	s_waitcnt lgkmcnt(0)
	v_mul_f64 v[22:23], v[66:67], v[74:75]
	v_add_f64 v[10:11], v[10:11], -v[80:81]
	v_fma_f64 v[22:23], v[64:65], v[20:21], -v[22:23]
	v_mul_f64 v[64:65], v[64:65], v[74:75]
	ds_read2_b64 v[80:83], v76 offset0:28 offset1:29
	v_fmac_f64_e32 v[64:65], v[66:67], v[20:21]
	s_waitcnt vmcnt(2)
	v_add_f64 v[6:7], v[6:7], -v[64:65]
	ds_read2_b64 v[64:67], v76 offset0:30 offset1:31
	v_add_f64 v[4:5], v[4:5], -v[22:23]
	s_waitcnt lgkmcnt(1)
	v_mul_f64 v[22:23], v[82:83], v[74:75]
	v_fma_f64 v[22:23], v[80:81], v[20:21], -v[22:23]
	s_waitcnt vmcnt(1)
	v_add_f64 v[0:1], v[0:1], -v[22:23]
	s_waitcnt lgkmcnt(0)
	v_mul_f64 v[22:23], v[66:67], v[74:75]
	v_mul_f64 v[80:81], v[80:81], v[74:75]
	v_fma_f64 v[22:23], v[64:65], v[20:21], -v[22:23]
	v_mul_f64 v[64:65], v[64:65], v[74:75]
	v_fmac_f64_e32 v[80:81], v[82:83], v[20:21]
	v_fmac_f64_e32 v[64:65], v[66:67], v[20:21]
	v_add_f64 v[2:3], v[2:3], -v[80:81]
	s_waitcnt vmcnt(0)
	v_add_f64 v[60:61], v[60:61], -v[22:23]
	v_add_f64 v[62:63], v[62:63], -v[64:65]
	v_mov_b64_e32 v[22:23], v[74:75]
.LBB30_167:
	s_or_b64 exec, exec, s[0:1]
	v_lshl_add_u32 v64, v77, 4, v76
	s_barrier
	s_waitcnt vmcnt(7)
	ds_write2_b64 v64, v[36:37], v[38:39] offset1:1
	s_waitcnt lgkmcnt(0)
	s_barrier
	ds_read2_b64 v[64:67], v76 offset0:16 offset1:17
	s_cmp_lt_i32 s20, 10
	v_mov_b32_e32 v74, 8
	s_cbranch_scc1 .LBB30_170
; %bb.168:
	v_add_u32_e32 v75, 0x90, v76
	s_mov_b32 s16, 9
	v_mov_b32_e32 v74, 8
.LBB30_169:                             ; =>This Inner Loop Header: Depth=1
	ds_read2_b64 v[80:83], v75 offset1:1
	s_waitcnt lgkmcnt(1)
	v_xor_b32_e32 v85, 0x80000000, v65
	v_xor_b32_e32 v87, 0x80000000, v67
	v_cmp_gt_f64_e32 vcc, 0, v[66:67]
	v_cmp_gt_f64_e64 s[0:1], 0, v[64:65]
	v_mov_b32_e32 v84, v64
	v_mov_b32_e32 v86, v66
	v_cndmask_b32_e64 v85, v65, v85, s[0:1]
	v_cndmask_b32_e32 v87, v67, v87, vcc
	v_add_f64 v[84:85], v[84:85], v[86:87]
	s_waitcnt lgkmcnt(0)
	v_xor_b32_e32 v87, 0x80000000, v81
	v_xor_b32_e32 v89, 0x80000000, v83
	v_cmp_gt_f64_e32 vcc, 0, v[82:83]
	v_cmp_gt_f64_e64 s[0:1], 0, v[80:81]
	v_mov_b32_e32 v86, v80
	v_mov_b32_e32 v88, v82
	v_cndmask_b32_e64 v87, v81, v87, s[0:1]
	v_cndmask_b32_e32 v89, v83, v89, vcc
	v_add_f64 v[86:87], v[86:87], v[88:89]
	v_mov_b32_e32 v90, s16
	s_add_i32 s16, s16, 1
	v_cmp_lt_f64_e32 vcc, v[84:85], v[86:87]
	v_add_u32_e32 v75, 16, v75
	s_cmp_lg_u32 s20, s16
	v_cndmask_b32_e32 v65, v65, v81, vcc
	v_cndmask_b32_e32 v64, v64, v80, vcc
	;; [unrolled: 1-line block ×5, first 2 shown]
	s_cbranch_scc1 .LBB30_169
.LBB30_170:
	s_waitcnt lgkmcnt(0)
	v_cmp_eq_f64_e32 vcc, 0, v[64:65]
	v_cmp_eq_f64_e64 s[0:1], 0, v[66:67]
	s_and_b64 s[0:1], vcc, s[0:1]
	s_and_saveexec_b64 s[16:17], s[0:1]
	s_xor_b64 s[0:1], exec, s[16:17]
; %bb.171:
	v_cmp_ne_u32_e32 vcc, 0, v79
	s_nop 1
	v_cndmask_b32_e32 v79, 9, v79, vcc
; %bb.172:
	s_andn2_saveexec_b64 s[0:1], s[0:1]
	s_cbranch_execz .LBB30_178
; %bb.173:
	v_cmp_ngt_f64_e64 s[16:17], |v[64:65]|, |v[66:67]|
	s_and_saveexec_b64 s[18:19], s[16:17]
	s_xor_b64 s[16:17], exec, s[18:19]
	s_cbranch_execz .LBB30_175
; %bb.174:
	v_div_scale_f64 v[80:81], s[18:19], v[66:67], v[66:67], v[64:65]
	v_rcp_f64_e32 v[82:83], v[80:81]
	v_div_scale_f64 v[84:85], vcc, v[64:65], v[66:67], v[64:65]
	v_fma_f64 v[86:87], -v[80:81], v[82:83], 1.0
	v_fmac_f64_e32 v[82:83], v[82:83], v[86:87]
	v_fma_f64 v[86:87], -v[80:81], v[82:83], 1.0
	v_fmac_f64_e32 v[82:83], v[82:83], v[86:87]
	v_mul_f64 v[86:87], v[84:85], v[82:83]
	v_fma_f64 v[80:81], -v[80:81], v[86:87], v[84:85]
	v_div_fmas_f64 v[80:81], v[80:81], v[82:83], v[86:87]
	v_div_fixup_f64 v[80:81], v[80:81], v[66:67], v[64:65]
	v_fmac_f64_e32 v[66:67], v[64:65], v[80:81]
	v_div_scale_f64 v[64:65], s[18:19], v[66:67], v[66:67], 1.0
	v_rcp_f64_e32 v[82:83], v[64:65]
	s_nop 0
	v_fma_f64 v[84:85], -v[64:65], v[82:83], 1.0
	v_fmac_f64_e32 v[82:83], v[82:83], v[84:85]
	v_fma_f64 v[84:85], -v[64:65], v[82:83], 1.0
	v_fmac_f64_e32 v[82:83], v[82:83], v[84:85]
	v_div_scale_f64 v[84:85], vcc, 1.0, v[66:67], 1.0
	v_mul_f64 v[86:87], v[84:85], v[82:83]
	v_fma_f64 v[64:65], -v[64:65], v[86:87], v[84:85]
	s_nop 1
	v_div_fmas_f64 v[64:65], v[64:65], v[82:83], v[86:87]
	v_div_fixup_f64 v[66:67], v[64:65], v[66:67], 1.0
	v_mul_f64 v[64:65], v[80:81], v[66:67]
	v_xor_b32_e32 v67, 0x80000000, v67
.LBB30_175:
	s_andn2_saveexec_b64 s[16:17], s[16:17]
	s_cbranch_execz .LBB30_177
; %bb.176:
	v_div_scale_f64 v[80:81], s[18:19], v[64:65], v[64:65], v[66:67]
	v_rcp_f64_e32 v[82:83], v[80:81]
	v_div_scale_f64 v[84:85], vcc, v[66:67], v[64:65], v[66:67]
	v_fma_f64 v[86:87], -v[80:81], v[82:83], 1.0
	v_fmac_f64_e32 v[82:83], v[82:83], v[86:87]
	v_fma_f64 v[86:87], -v[80:81], v[82:83], 1.0
	v_fmac_f64_e32 v[82:83], v[82:83], v[86:87]
	v_mul_f64 v[86:87], v[84:85], v[82:83]
	v_fma_f64 v[80:81], -v[80:81], v[86:87], v[84:85]
	v_div_fmas_f64 v[80:81], v[80:81], v[82:83], v[86:87]
	v_div_fixup_f64 v[80:81], v[80:81], v[64:65], v[66:67]
	v_fmac_f64_e32 v[64:65], v[66:67], v[80:81]
	v_div_scale_f64 v[66:67], s[18:19], v[64:65], v[64:65], 1.0
	v_rcp_f64_e32 v[82:83], v[66:67]
	s_nop 0
	v_fma_f64 v[84:85], -v[66:67], v[82:83], 1.0
	v_fmac_f64_e32 v[82:83], v[82:83], v[84:85]
	v_fma_f64 v[84:85], -v[66:67], v[82:83], 1.0
	v_fmac_f64_e32 v[82:83], v[82:83], v[84:85]
	v_div_scale_f64 v[84:85], vcc, 1.0, v[64:65], 1.0
	v_mul_f64 v[86:87], v[84:85], v[82:83]
	v_fma_f64 v[66:67], -v[66:67], v[86:87], v[84:85]
	s_nop 1
	v_div_fmas_f64 v[66:67], v[66:67], v[82:83], v[86:87]
	v_div_fixup_f64 v[64:65], v[66:67], v[64:65], 1.0
	v_mul_f64 v[66:67], v[80:81], -v[64:65]
.LBB30_177:
	s_or_b64 exec, exec, s[16:17]
.LBB30_178:
	s_or_b64 exec, exec, s[0:1]
	v_cmp_ne_u32_e32 vcc, v77, v74
	s_and_saveexec_b64 s[0:1], vcc
	s_xor_b64 s[0:1], exec, s[0:1]
	s_cbranch_execz .LBB30_184
; %bb.179:
	v_cmp_eq_u32_e32 vcc, 8, v77
	s_and_saveexec_b64 s[16:17], vcc
	s_cbranch_execz .LBB30_183
; %bb.180:
	v_cmp_ne_u32_e32 vcc, 8, v74
	s_xor_b64 s[18:19], s[14:15], -1
	s_and_b64 s[22:23], s[18:19], vcc
	s_and_saveexec_b64 s[18:19], s[22:23]
	s_cbranch_execz .LBB30_182
; %bb.181:
	v_ashrrev_i32_e32 v75, 31, v74
	v_lshl_add_u64 v[80:81], v[74:75], 2, v[72:73]
	global_load_dword v75, v[80:81], off
	global_load_dword v77, v[72:73], off offset:32
	s_waitcnt vmcnt(1)
	global_store_dword v[72:73], v75, off offset:32
	s_waitcnt vmcnt(1)
	global_store_dword v[80:81], v77, off
.LBB30_182:
	s_or_b64 exec, exec, s[18:19]
	v_mov_b32_e32 v77, v74
	v_mov_b32_e32 v78, v74
.LBB30_183:
	s_or_b64 exec, exec, s[16:17]
.LBB30_184:
	s_andn2_saveexec_b64 s[0:1], s[0:1]
	s_cbranch_execz .LBB30_186
; %bb.185:
	v_mov_b32_e32 v77, 8
	s_waitcnt vmcnt(6)
	ds_write2_b64 v76, v[24:25], v[26:27] offset0:18 offset1:19
	s_waitcnt vmcnt(5)
	ds_write2_b64 v76, v[16:17], v[18:19] offset0:20 offset1:21
	;; [unrolled: 2-line block ×7, first 2 shown]
.LBB30_186:
	s_or_b64 exec, exec, s[0:1]
	v_cmp_lt_i32_e32 vcc, 8, v77
	s_waitcnt lgkmcnt(0)
	s_barrier
	s_and_saveexec_b64 s[0:1], vcc
	s_cbranch_execz .LBB30_188
; %bb.187:
	ds_read2_b64 v[80:83], v76 offset0:18 offset1:19
	v_mul_f64 v[74:75], v[64:65], v[38:39]
	v_fmac_f64_e32 v[74:75], v[66:67], v[36:37]
	v_mul_f64 v[38:39], v[66:67], v[38:39]
	v_fma_f64 v[36:37], v[64:65], v[36:37], -v[38:39]
	ds_read2_b64 v[64:67], v76 offset0:20 offset1:21
	s_waitcnt lgkmcnt(1)
	v_mul_f64 v[38:39], v[82:83], v[74:75]
	v_fma_f64 v[38:39], v[80:81], v[36:37], -v[38:39]
	v_mul_f64 v[80:81], v[80:81], v[74:75]
	v_fmac_f64_e32 v[80:81], v[82:83], v[36:37]
	s_waitcnt vmcnt(6)
	v_add_f64 v[26:27], v[26:27], -v[80:81]
	ds_read2_b64 v[80:83], v76 offset0:22 offset1:23
	v_add_f64 v[24:25], v[24:25], -v[38:39]
	s_waitcnt lgkmcnt(1)
	v_mul_f64 v[38:39], v[66:67], v[74:75]
	v_fma_f64 v[38:39], v[64:65], v[36:37], -v[38:39]
	v_mul_f64 v[64:65], v[64:65], v[74:75]
	v_fmac_f64_e32 v[64:65], v[66:67], v[36:37]
	s_waitcnt vmcnt(5)
	v_add_f64 v[16:17], v[16:17], -v[38:39]
	v_add_f64 v[18:19], v[18:19], -v[64:65]
	ds_read2_b64 v[64:67], v76 offset0:24 offset1:25
	s_waitcnt lgkmcnt(1)
	v_mul_f64 v[38:39], v[82:83], v[74:75]
	v_fma_f64 v[38:39], v[80:81], v[36:37], -v[38:39]
	v_mul_f64 v[80:81], v[80:81], v[74:75]
	v_fmac_f64_e32 v[80:81], v[82:83], v[36:37]
	s_waitcnt vmcnt(4)
	v_add_f64 v[14:15], v[14:15], -v[80:81]
	ds_read2_b64 v[80:83], v76 offset0:26 offset1:27
	v_add_f64 v[12:13], v[12:13], -v[38:39]
	s_waitcnt lgkmcnt(1)
	v_mul_f64 v[38:39], v[66:67], v[74:75]
	v_fma_f64 v[38:39], v[64:65], v[36:37], -v[38:39]
	v_mul_f64 v[64:65], v[64:65], v[74:75]
	v_fmac_f64_e32 v[64:65], v[66:67], v[36:37]
	s_waitcnt vmcnt(3)
	v_add_f64 v[8:9], v[8:9], -v[38:39]
	v_add_f64 v[10:11], v[10:11], -v[64:65]
	;; [unrolled: 18-line block ×3, first 2 shown]
	s_waitcnt lgkmcnt(0)
	v_mul_f64 v[38:39], v[82:83], v[74:75]
	v_mul_f64 v[64:65], v[80:81], v[74:75]
	v_fma_f64 v[38:39], v[80:81], v[36:37], -v[38:39]
	v_fmac_f64_e32 v[64:65], v[82:83], v[36:37]
	s_waitcnt vmcnt(0)
	v_add_f64 v[60:61], v[60:61], -v[38:39]
	v_add_f64 v[62:63], v[62:63], -v[64:65]
	v_mov_b64_e32 v[38:39], v[74:75]
.LBB30_188:
	s_or_b64 exec, exec, s[0:1]
	v_lshl_add_u32 v64, v77, 4, v76
	s_barrier
	s_waitcnt vmcnt(6)
	ds_write2_b64 v64, v[24:25], v[26:27] offset1:1
	s_waitcnt lgkmcnt(0)
	s_barrier
	ds_read2_b64 v[64:67], v76 offset0:18 offset1:19
	s_cmp_lt_i32 s20, 11
	v_mov_b32_e32 v74, 9
	s_cbranch_scc1 .LBB30_191
; %bb.189:
	v_add_u32_e32 v75, 0xa0, v76
	s_mov_b32 s16, 10
	v_mov_b32_e32 v74, 9
.LBB30_190:                             ; =>This Inner Loop Header: Depth=1
	ds_read2_b64 v[80:83], v75 offset1:1
	s_waitcnt lgkmcnt(1)
	v_xor_b32_e32 v85, 0x80000000, v65
	v_xor_b32_e32 v87, 0x80000000, v67
	v_cmp_gt_f64_e32 vcc, 0, v[66:67]
	v_cmp_gt_f64_e64 s[0:1], 0, v[64:65]
	v_mov_b32_e32 v84, v64
	v_mov_b32_e32 v86, v66
	v_cndmask_b32_e64 v85, v65, v85, s[0:1]
	v_cndmask_b32_e32 v87, v67, v87, vcc
	v_add_f64 v[84:85], v[84:85], v[86:87]
	s_waitcnt lgkmcnt(0)
	v_xor_b32_e32 v87, 0x80000000, v81
	v_xor_b32_e32 v89, 0x80000000, v83
	v_cmp_gt_f64_e32 vcc, 0, v[82:83]
	v_cmp_gt_f64_e64 s[0:1], 0, v[80:81]
	v_mov_b32_e32 v86, v80
	v_mov_b32_e32 v88, v82
	v_cndmask_b32_e64 v87, v81, v87, s[0:1]
	v_cndmask_b32_e32 v89, v83, v89, vcc
	v_add_f64 v[86:87], v[86:87], v[88:89]
	v_mov_b32_e32 v90, s16
	s_add_i32 s16, s16, 1
	v_cmp_lt_f64_e32 vcc, v[84:85], v[86:87]
	v_add_u32_e32 v75, 16, v75
	s_cmp_lg_u32 s20, s16
	v_cndmask_b32_e32 v65, v65, v81, vcc
	v_cndmask_b32_e32 v64, v64, v80, vcc
	;; [unrolled: 1-line block ×5, first 2 shown]
	s_cbranch_scc1 .LBB30_190
.LBB30_191:
	s_waitcnt lgkmcnt(0)
	v_cmp_eq_f64_e32 vcc, 0, v[64:65]
	v_cmp_eq_f64_e64 s[0:1], 0, v[66:67]
	s_and_b64 s[0:1], vcc, s[0:1]
	s_and_saveexec_b64 s[16:17], s[0:1]
	s_xor_b64 s[0:1], exec, s[16:17]
; %bb.192:
	v_cmp_ne_u32_e32 vcc, 0, v79
	s_nop 1
	v_cndmask_b32_e32 v79, 10, v79, vcc
; %bb.193:
	s_andn2_saveexec_b64 s[0:1], s[0:1]
	s_cbranch_execz .LBB30_199
; %bb.194:
	v_cmp_ngt_f64_e64 s[16:17], |v[64:65]|, |v[66:67]|
	s_and_saveexec_b64 s[18:19], s[16:17]
	s_xor_b64 s[16:17], exec, s[18:19]
	s_cbranch_execz .LBB30_196
; %bb.195:
	v_div_scale_f64 v[80:81], s[18:19], v[66:67], v[66:67], v[64:65]
	v_rcp_f64_e32 v[82:83], v[80:81]
	v_div_scale_f64 v[84:85], vcc, v[64:65], v[66:67], v[64:65]
	v_fma_f64 v[86:87], -v[80:81], v[82:83], 1.0
	v_fmac_f64_e32 v[82:83], v[82:83], v[86:87]
	v_fma_f64 v[86:87], -v[80:81], v[82:83], 1.0
	v_fmac_f64_e32 v[82:83], v[82:83], v[86:87]
	v_mul_f64 v[86:87], v[84:85], v[82:83]
	v_fma_f64 v[80:81], -v[80:81], v[86:87], v[84:85]
	v_div_fmas_f64 v[80:81], v[80:81], v[82:83], v[86:87]
	v_div_fixup_f64 v[80:81], v[80:81], v[66:67], v[64:65]
	v_fmac_f64_e32 v[66:67], v[64:65], v[80:81]
	v_div_scale_f64 v[64:65], s[18:19], v[66:67], v[66:67], 1.0
	v_rcp_f64_e32 v[82:83], v[64:65]
	s_nop 0
	v_fma_f64 v[84:85], -v[64:65], v[82:83], 1.0
	v_fmac_f64_e32 v[82:83], v[82:83], v[84:85]
	v_fma_f64 v[84:85], -v[64:65], v[82:83], 1.0
	v_fmac_f64_e32 v[82:83], v[82:83], v[84:85]
	v_div_scale_f64 v[84:85], vcc, 1.0, v[66:67], 1.0
	v_mul_f64 v[86:87], v[84:85], v[82:83]
	v_fma_f64 v[64:65], -v[64:65], v[86:87], v[84:85]
	s_nop 1
	v_div_fmas_f64 v[64:65], v[64:65], v[82:83], v[86:87]
	v_div_fixup_f64 v[66:67], v[64:65], v[66:67], 1.0
	v_mul_f64 v[64:65], v[80:81], v[66:67]
	v_xor_b32_e32 v67, 0x80000000, v67
.LBB30_196:
	s_andn2_saveexec_b64 s[16:17], s[16:17]
	s_cbranch_execz .LBB30_198
; %bb.197:
	v_div_scale_f64 v[80:81], s[18:19], v[64:65], v[64:65], v[66:67]
	v_rcp_f64_e32 v[82:83], v[80:81]
	v_div_scale_f64 v[84:85], vcc, v[66:67], v[64:65], v[66:67]
	v_fma_f64 v[86:87], -v[80:81], v[82:83], 1.0
	v_fmac_f64_e32 v[82:83], v[82:83], v[86:87]
	v_fma_f64 v[86:87], -v[80:81], v[82:83], 1.0
	v_fmac_f64_e32 v[82:83], v[82:83], v[86:87]
	v_mul_f64 v[86:87], v[84:85], v[82:83]
	v_fma_f64 v[80:81], -v[80:81], v[86:87], v[84:85]
	v_div_fmas_f64 v[80:81], v[80:81], v[82:83], v[86:87]
	v_div_fixup_f64 v[80:81], v[80:81], v[64:65], v[66:67]
	v_fmac_f64_e32 v[64:65], v[66:67], v[80:81]
	v_div_scale_f64 v[66:67], s[18:19], v[64:65], v[64:65], 1.0
	v_rcp_f64_e32 v[82:83], v[66:67]
	s_nop 0
	v_fma_f64 v[84:85], -v[66:67], v[82:83], 1.0
	v_fmac_f64_e32 v[82:83], v[82:83], v[84:85]
	v_fma_f64 v[84:85], -v[66:67], v[82:83], 1.0
	v_fmac_f64_e32 v[82:83], v[82:83], v[84:85]
	v_div_scale_f64 v[84:85], vcc, 1.0, v[64:65], 1.0
	v_mul_f64 v[86:87], v[84:85], v[82:83]
	v_fma_f64 v[66:67], -v[66:67], v[86:87], v[84:85]
	s_nop 1
	v_div_fmas_f64 v[66:67], v[66:67], v[82:83], v[86:87]
	v_div_fixup_f64 v[64:65], v[66:67], v[64:65], 1.0
	v_mul_f64 v[66:67], v[80:81], -v[64:65]
.LBB30_198:
	s_or_b64 exec, exec, s[16:17]
.LBB30_199:
	s_or_b64 exec, exec, s[0:1]
	v_cmp_ne_u32_e32 vcc, v77, v74
	s_and_saveexec_b64 s[0:1], vcc
	s_xor_b64 s[0:1], exec, s[0:1]
	s_cbranch_execz .LBB30_205
; %bb.200:
	v_cmp_eq_u32_e32 vcc, 9, v77
	s_and_saveexec_b64 s[16:17], vcc
	s_cbranch_execz .LBB30_204
; %bb.201:
	v_cmp_ne_u32_e32 vcc, 9, v74
	s_xor_b64 s[18:19], s[14:15], -1
	s_and_b64 s[22:23], s[18:19], vcc
	s_and_saveexec_b64 s[18:19], s[22:23]
	s_cbranch_execz .LBB30_203
; %bb.202:
	v_ashrrev_i32_e32 v75, 31, v74
	v_lshl_add_u64 v[80:81], v[74:75], 2, v[72:73]
	global_load_dword v75, v[80:81], off
	global_load_dword v77, v[72:73], off offset:36
	s_waitcnt vmcnt(1)
	global_store_dword v[72:73], v75, off offset:36
	s_waitcnt vmcnt(1)
	global_store_dword v[80:81], v77, off
.LBB30_203:
	s_or_b64 exec, exec, s[18:19]
	v_mov_b32_e32 v77, v74
	v_mov_b32_e32 v78, v74
.LBB30_204:
	s_or_b64 exec, exec, s[16:17]
.LBB30_205:
	s_andn2_saveexec_b64 s[0:1], s[0:1]
	s_cbranch_execz .LBB30_207
; %bb.206:
	v_mov_b32_e32 v77, 9
	s_waitcnt vmcnt(5)
	ds_write2_b64 v76, v[16:17], v[18:19] offset0:20 offset1:21
	s_waitcnt vmcnt(4)
	ds_write2_b64 v76, v[12:13], v[14:15] offset0:22 offset1:23
	;; [unrolled: 2-line block ×6, first 2 shown]
.LBB30_207:
	s_or_b64 exec, exec, s[0:1]
	v_cmp_lt_i32_e32 vcc, 9, v77
	s_waitcnt lgkmcnt(0)
	s_barrier
	s_and_saveexec_b64 s[0:1], vcc
	s_cbranch_execz .LBB30_209
; %bb.208:
	ds_read2_b64 v[80:83], v76 offset0:20 offset1:21
	v_mul_f64 v[74:75], v[64:65], v[26:27]
	v_mul_f64 v[26:27], v[66:67], v[26:27]
	v_fmac_f64_e32 v[74:75], v[66:67], v[24:25]
	v_fma_f64 v[24:25], v[64:65], v[24:25], -v[26:27]
	ds_read2_b64 v[64:67], v76 offset0:22 offset1:23
	s_waitcnt lgkmcnt(1)
	v_mul_f64 v[26:27], v[82:83], v[74:75]
	v_fma_f64 v[26:27], v[80:81], v[24:25], -v[26:27]
	v_mul_f64 v[80:81], v[80:81], v[74:75]
	v_fmac_f64_e32 v[80:81], v[82:83], v[24:25]
	s_waitcnt vmcnt(5)
	v_add_f64 v[16:17], v[16:17], -v[26:27]
	s_waitcnt lgkmcnt(0)
	v_mul_f64 v[26:27], v[66:67], v[74:75]
	v_add_f64 v[18:19], v[18:19], -v[80:81]
	v_fma_f64 v[26:27], v[64:65], v[24:25], -v[26:27]
	v_mul_f64 v[64:65], v[64:65], v[74:75]
	ds_read2_b64 v[80:83], v76 offset0:24 offset1:25
	v_fmac_f64_e32 v[64:65], v[66:67], v[24:25]
	s_waitcnt vmcnt(4)
	v_add_f64 v[14:15], v[14:15], -v[64:65]
	ds_read2_b64 v[64:67], v76 offset0:26 offset1:27
	v_add_f64 v[12:13], v[12:13], -v[26:27]
	s_waitcnt lgkmcnt(1)
	v_mul_f64 v[26:27], v[82:83], v[74:75]
	v_fma_f64 v[26:27], v[80:81], v[24:25], -v[26:27]
	v_mul_f64 v[80:81], v[80:81], v[74:75]
	v_fmac_f64_e32 v[80:81], v[82:83], v[24:25]
	s_waitcnt vmcnt(3)
	v_add_f64 v[8:9], v[8:9], -v[26:27]
	s_waitcnt lgkmcnt(0)
	v_mul_f64 v[26:27], v[66:67], v[74:75]
	v_add_f64 v[10:11], v[10:11], -v[80:81]
	v_fma_f64 v[26:27], v[64:65], v[24:25], -v[26:27]
	v_mul_f64 v[64:65], v[64:65], v[74:75]
	ds_read2_b64 v[80:83], v76 offset0:28 offset1:29
	v_fmac_f64_e32 v[64:65], v[66:67], v[24:25]
	s_waitcnt vmcnt(2)
	v_add_f64 v[6:7], v[6:7], -v[64:65]
	ds_read2_b64 v[64:67], v76 offset0:30 offset1:31
	v_add_f64 v[4:5], v[4:5], -v[26:27]
	s_waitcnt lgkmcnt(1)
	v_mul_f64 v[26:27], v[82:83], v[74:75]
	v_fma_f64 v[26:27], v[80:81], v[24:25], -v[26:27]
	s_waitcnt vmcnt(1)
	v_add_f64 v[0:1], v[0:1], -v[26:27]
	s_waitcnt lgkmcnt(0)
	v_mul_f64 v[26:27], v[66:67], v[74:75]
	v_mul_f64 v[80:81], v[80:81], v[74:75]
	v_fma_f64 v[26:27], v[64:65], v[24:25], -v[26:27]
	v_mul_f64 v[64:65], v[64:65], v[74:75]
	v_fmac_f64_e32 v[80:81], v[82:83], v[24:25]
	v_fmac_f64_e32 v[64:65], v[66:67], v[24:25]
	v_add_f64 v[2:3], v[2:3], -v[80:81]
	s_waitcnt vmcnt(0)
	v_add_f64 v[60:61], v[60:61], -v[26:27]
	v_add_f64 v[62:63], v[62:63], -v[64:65]
	v_mov_b64_e32 v[26:27], v[74:75]
.LBB30_209:
	s_or_b64 exec, exec, s[0:1]
	v_lshl_add_u32 v64, v77, 4, v76
	s_barrier
	s_waitcnt vmcnt(5)
	ds_write2_b64 v64, v[16:17], v[18:19] offset1:1
	s_waitcnt lgkmcnt(0)
	s_barrier
	ds_read2_b64 v[64:67], v76 offset0:20 offset1:21
	s_cmp_lt_i32 s20, 12
	v_mov_b32_e32 v74, 10
	s_cbranch_scc1 .LBB30_212
; %bb.210:
	v_add_u32_e32 v75, 0xb0, v76
	s_mov_b32 s16, 11
	v_mov_b32_e32 v74, 10
.LBB30_211:                             ; =>This Inner Loop Header: Depth=1
	ds_read2_b64 v[80:83], v75 offset1:1
	s_waitcnt lgkmcnt(1)
	v_xor_b32_e32 v85, 0x80000000, v65
	v_xor_b32_e32 v87, 0x80000000, v67
	v_cmp_gt_f64_e32 vcc, 0, v[66:67]
	v_cmp_gt_f64_e64 s[0:1], 0, v[64:65]
	v_mov_b32_e32 v84, v64
	v_mov_b32_e32 v86, v66
	v_cndmask_b32_e64 v85, v65, v85, s[0:1]
	v_cndmask_b32_e32 v87, v67, v87, vcc
	v_add_f64 v[84:85], v[84:85], v[86:87]
	s_waitcnt lgkmcnt(0)
	v_xor_b32_e32 v87, 0x80000000, v81
	v_xor_b32_e32 v89, 0x80000000, v83
	v_cmp_gt_f64_e32 vcc, 0, v[82:83]
	v_cmp_gt_f64_e64 s[0:1], 0, v[80:81]
	v_mov_b32_e32 v86, v80
	v_mov_b32_e32 v88, v82
	v_cndmask_b32_e64 v87, v81, v87, s[0:1]
	v_cndmask_b32_e32 v89, v83, v89, vcc
	v_add_f64 v[86:87], v[86:87], v[88:89]
	v_mov_b32_e32 v90, s16
	s_add_i32 s16, s16, 1
	v_cmp_lt_f64_e32 vcc, v[84:85], v[86:87]
	v_add_u32_e32 v75, 16, v75
	s_cmp_lg_u32 s20, s16
	v_cndmask_b32_e32 v65, v65, v81, vcc
	v_cndmask_b32_e32 v64, v64, v80, vcc
	;; [unrolled: 1-line block ×5, first 2 shown]
	s_cbranch_scc1 .LBB30_211
.LBB30_212:
	s_waitcnt lgkmcnt(0)
	v_cmp_eq_f64_e32 vcc, 0, v[64:65]
	v_cmp_eq_f64_e64 s[0:1], 0, v[66:67]
	s_and_b64 s[0:1], vcc, s[0:1]
	s_and_saveexec_b64 s[16:17], s[0:1]
	s_xor_b64 s[0:1], exec, s[16:17]
; %bb.213:
	v_cmp_ne_u32_e32 vcc, 0, v79
	s_nop 1
	v_cndmask_b32_e32 v79, 11, v79, vcc
; %bb.214:
	s_andn2_saveexec_b64 s[0:1], s[0:1]
	s_cbranch_execz .LBB30_220
; %bb.215:
	v_cmp_ngt_f64_e64 s[16:17], |v[64:65]|, |v[66:67]|
	s_and_saveexec_b64 s[18:19], s[16:17]
	s_xor_b64 s[16:17], exec, s[18:19]
	s_cbranch_execz .LBB30_217
; %bb.216:
	v_div_scale_f64 v[80:81], s[18:19], v[66:67], v[66:67], v[64:65]
	v_rcp_f64_e32 v[82:83], v[80:81]
	v_div_scale_f64 v[84:85], vcc, v[64:65], v[66:67], v[64:65]
	v_fma_f64 v[86:87], -v[80:81], v[82:83], 1.0
	v_fmac_f64_e32 v[82:83], v[82:83], v[86:87]
	v_fma_f64 v[86:87], -v[80:81], v[82:83], 1.0
	v_fmac_f64_e32 v[82:83], v[82:83], v[86:87]
	v_mul_f64 v[86:87], v[84:85], v[82:83]
	v_fma_f64 v[80:81], -v[80:81], v[86:87], v[84:85]
	v_div_fmas_f64 v[80:81], v[80:81], v[82:83], v[86:87]
	v_div_fixup_f64 v[80:81], v[80:81], v[66:67], v[64:65]
	v_fmac_f64_e32 v[66:67], v[64:65], v[80:81]
	v_div_scale_f64 v[64:65], s[18:19], v[66:67], v[66:67], 1.0
	v_rcp_f64_e32 v[82:83], v[64:65]
	s_nop 0
	v_fma_f64 v[84:85], -v[64:65], v[82:83], 1.0
	v_fmac_f64_e32 v[82:83], v[82:83], v[84:85]
	v_fma_f64 v[84:85], -v[64:65], v[82:83], 1.0
	v_fmac_f64_e32 v[82:83], v[82:83], v[84:85]
	v_div_scale_f64 v[84:85], vcc, 1.0, v[66:67], 1.0
	v_mul_f64 v[86:87], v[84:85], v[82:83]
	v_fma_f64 v[64:65], -v[64:65], v[86:87], v[84:85]
	s_nop 1
	v_div_fmas_f64 v[64:65], v[64:65], v[82:83], v[86:87]
	v_div_fixup_f64 v[66:67], v[64:65], v[66:67], 1.0
	v_mul_f64 v[64:65], v[80:81], v[66:67]
	v_xor_b32_e32 v67, 0x80000000, v67
.LBB30_217:
	s_andn2_saveexec_b64 s[16:17], s[16:17]
	s_cbranch_execz .LBB30_219
; %bb.218:
	v_div_scale_f64 v[80:81], s[18:19], v[64:65], v[64:65], v[66:67]
	v_rcp_f64_e32 v[82:83], v[80:81]
	v_div_scale_f64 v[84:85], vcc, v[66:67], v[64:65], v[66:67]
	v_fma_f64 v[86:87], -v[80:81], v[82:83], 1.0
	v_fmac_f64_e32 v[82:83], v[82:83], v[86:87]
	v_fma_f64 v[86:87], -v[80:81], v[82:83], 1.0
	v_fmac_f64_e32 v[82:83], v[82:83], v[86:87]
	v_mul_f64 v[86:87], v[84:85], v[82:83]
	v_fma_f64 v[80:81], -v[80:81], v[86:87], v[84:85]
	v_div_fmas_f64 v[80:81], v[80:81], v[82:83], v[86:87]
	v_div_fixup_f64 v[80:81], v[80:81], v[64:65], v[66:67]
	v_fmac_f64_e32 v[64:65], v[66:67], v[80:81]
	v_div_scale_f64 v[66:67], s[18:19], v[64:65], v[64:65], 1.0
	v_rcp_f64_e32 v[82:83], v[66:67]
	s_nop 0
	v_fma_f64 v[84:85], -v[66:67], v[82:83], 1.0
	v_fmac_f64_e32 v[82:83], v[82:83], v[84:85]
	v_fma_f64 v[84:85], -v[66:67], v[82:83], 1.0
	v_fmac_f64_e32 v[82:83], v[82:83], v[84:85]
	v_div_scale_f64 v[84:85], vcc, 1.0, v[64:65], 1.0
	v_mul_f64 v[86:87], v[84:85], v[82:83]
	v_fma_f64 v[66:67], -v[66:67], v[86:87], v[84:85]
	s_nop 1
	v_div_fmas_f64 v[66:67], v[66:67], v[82:83], v[86:87]
	v_div_fixup_f64 v[64:65], v[66:67], v[64:65], 1.0
	v_mul_f64 v[66:67], v[80:81], -v[64:65]
.LBB30_219:
	s_or_b64 exec, exec, s[16:17]
.LBB30_220:
	s_or_b64 exec, exec, s[0:1]
	v_cmp_ne_u32_e32 vcc, v77, v74
	s_and_saveexec_b64 s[0:1], vcc
	s_xor_b64 s[0:1], exec, s[0:1]
	s_cbranch_execz .LBB30_226
; %bb.221:
	v_cmp_eq_u32_e32 vcc, 10, v77
	s_and_saveexec_b64 s[16:17], vcc
	s_cbranch_execz .LBB30_225
; %bb.222:
	v_cmp_ne_u32_e32 vcc, 10, v74
	s_xor_b64 s[18:19], s[14:15], -1
	s_and_b64 s[22:23], s[18:19], vcc
	s_and_saveexec_b64 s[18:19], s[22:23]
	s_cbranch_execz .LBB30_224
; %bb.223:
	v_ashrrev_i32_e32 v75, 31, v74
	v_lshl_add_u64 v[80:81], v[74:75], 2, v[72:73]
	global_load_dword v75, v[80:81], off
	global_load_dword v77, v[72:73], off offset:40
	s_waitcnt vmcnt(1)
	global_store_dword v[72:73], v75, off offset:40
	s_waitcnt vmcnt(1)
	global_store_dword v[80:81], v77, off
.LBB30_224:
	s_or_b64 exec, exec, s[18:19]
	v_mov_b32_e32 v77, v74
	v_mov_b32_e32 v78, v74
.LBB30_225:
	s_or_b64 exec, exec, s[16:17]
.LBB30_226:
	s_andn2_saveexec_b64 s[0:1], s[0:1]
	s_cbranch_execz .LBB30_228
; %bb.227:
	v_mov_b32_e32 v77, 10
	s_waitcnt vmcnt(4)
	ds_write2_b64 v76, v[12:13], v[14:15] offset0:22 offset1:23
	s_waitcnt vmcnt(3)
	ds_write2_b64 v76, v[8:9], v[10:11] offset0:24 offset1:25
	;; [unrolled: 2-line block ×5, first 2 shown]
.LBB30_228:
	s_or_b64 exec, exec, s[0:1]
	v_cmp_lt_i32_e32 vcc, 10, v77
	s_waitcnt lgkmcnt(0)
	s_barrier
	s_and_saveexec_b64 s[0:1], vcc
	s_cbranch_execz .LBB30_230
; %bb.229:
	ds_read2_b64 v[80:83], v76 offset0:22 offset1:23
	v_mul_f64 v[74:75], v[64:65], v[18:19]
	v_fmac_f64_e32 v[74:75], v[66:67], v[16:17]
	v_mul_f64 v[18:19], v[66:67], v[18:19]
	v_fma_f64 v[16:17], v[64:65], v[16:17], -v[18:19]
	ds_read2_b64 v[64:67], v76 offset0:24 offset1:25
	s_waitcnt lgkmcnt(1)
	v_mul_f64 v[18:19], v[82:83], v[74:75]
	v_fma_f64 v[18:19], v[80:81], v[16:17], -v[18:19]
	v_mul_f64 v[80:81], v[80:81], v[74:75]
	v_fmac_f64_e32 v[80:81], v[82:83], v[16:17]
	s_waitcnt vmcnt(4)
	v_add_f64 v[14:15], v[14:15], -v[80:81]
	ds_read2_b64 v[80:83], v76 offset0:26 offset1:27
	v_add_f64 v[12:13], v[12:13], -v[18:19]
	s_waitcnt lgkmcnt(1)
	v_mul_f64 v[18:19], v[66:67], v[74:75]
	v_fma_f64 v[18:19], v[64:65], v[16:17], -v[18:19]
	v_mul_f64 v[64:65], v[64:65], v[74:75]
	v_fmac_f64_e32 v[64:65], v[66:67], v[16:17]
	s_waitcnt vmcnt(3)
	v_add_f64 v[8:9], v[8:9], -v[18:19]
	v_add_f64 v[10:11], v[10:11], -v[64:65]
	ds_read2_b64 v[64:67], v76 offset0:28 offset1:29
	s_waitcnt lgkmcnt(1)
	v_mul_f64 v[18:19], v[82:83], v[74:75]
	v_fma_f64 v[18:19], v[80:81], v[16:17], -v[18:19]
	v_mul_f64 v[80:81], v[80:81], v[74:75]
	v_fmac_f64_e32 v[80:81], v[82:83], v[16:17]
	s_waitcnt vmcnt(2)
	v_add_f64 v[6:7], v[6:7], -v[80:81]
	ds_read2_b64 v[80:83], v76 offset0:30 offset1:31
	v_add_f64 v[4:5], v[4:5], -v[18:19]
	s_waitcnt lgkmcnt(1)
	v_mul_f64 v[18:19], v[66:67], v[74:75]
	v_fma_f64 v[18:19], v[64:65], v[16:17], -v[18:19]
	v_mul_f64 v[64:65], v[64:65], v[74:75]
	v_fmac_f64_e32 v[64:65], v[66:67], v[16:17]
	s_waitcnt vmcnt(1)
	v_add_f64 v[0:1], v[0:1], -v[18:19]
	v_add_f64 v[2:3], v[2:3], -v[64:65]
	s_waitcnt lgkmcnt(0)
	v_mul_f64 v[18:19], v[82:83], v[74:75]
	v_mul_f64 v[64:65], v[80:81], v[74:75]
	v_fma_f64 v[18:19], v[80:81], v[16:17], -v[18:19]
	v_fmac_f64_e32 v[64:65], v[82:83], v[16:17]
	s_waitcnt vmcnt(0)
	v_add_f64 v[60:61], v[60:61], -v[18:19]
	v_add_f64 v[62:63], v[62:63], -v[64:65]
	v_mov_b64_e32 v[18:19], v[74:75]
.LBB30_230:
	s_or_b64 exec, exec, s[0:1]
	v_lshl_add_u32 v64, v77, 4, v76
	s_barrier
	s_waitcnt vmcnt(4)
	ds_write2_b64 v64, v[12:13], v[14:15] offset1:1
	s_waitcnt lgkmcnt(0)
	s_barrier
	ds_read2_b64 v[64:67], v76 offset0:22 offset1:23
	s_cmp_lt_i32 s20, 13
	v_mov_b32_e32 v74, 11
	s_cbranch_scc1 .LBB30_233
; %bb.231:
	v_add_u32_e32 v75, 0xc0, v76
	s_mov_b32 s16, 12
	v_mov_b32_e32 v74, 11
.LBB30_232:                             ; =>This Inner Loop Header: Depth=1
	ds_read2_b64 v[80:83], v75 offset1:1
	s_waitcnt lgkmcnt(1)
	v_xor_b32_e32 v85, 0x80000000, v65
	v_xor_b32_e32 v87, 0x80000000, v67
	v_cmp_gt_f64_e32 vcc, 0, v[66:67]
	v_cmp_gt_f64_e64 s[0:1], 0, v[64:65]
	v_mov_b32_e32 v84, v64
	v_mov_b32_e32 v86, v66
	v_cndmask_b32_e64 v85, v65, v85, s[0:1]
	v_cndmask_b32_e32 v87, v67, v87, vcc
	v_add_f64 v[84:85], v[84:85], v[86:87]
	s_waitcnt lgkmcnt(0)
	v_xor_b32_e32 v87, 0x80000000, v81
	v_xor_b32_e32 v89, 0x80000000, v83
	v_cmp_gt_f64_e32 vcc, 0, v[82:83]
	v_cmp_gt_f64_e64 s[0:1], 0, v[80:81]
	v_mov_b32_e32 v86, v80
	v_mov_b32_e32 v88, v82
	v_cndmask_b32_e64 v87, v81, v87, s[0:1]
	v_cndmask_b32_e32 v89, v83, v89, vcc
	v_add_f64 v[86:87], v[86:87], v[88:89]
	v_mov_b32_e32 v90, s16
	s_add_i32 s16, s16, 1
	v_cmp_lt_f64_e32 vcc, v[84:85], v[86:87]
	v_add_u32_e32 v75, 16, v75
	s_cmp_lg_u32 s20, s16
	v_cndmask_b32_e32 v65, v65, v81, vcc
	v_cndmask_b32_e32 v64, v64, v80, vcc
	;; [unrolled: 1-line block ×5, first 2 shown]
	s_cbranch_scc1 .LBB30_232
.LBB30_233:
	s_waitcnt lgkmcnt(0)
	v_cmp_eq_f64_e32 vcc, 0, v[64:65]
	v_cmp_eq_f64_e64 s[0:1], 0, v[66:67]
	s_and_b64 s[0:1], vcc, s[0:1]
	s_and_saveexec_b64 s[16:17], s[0:1]
	s_xor_b64 s[0:1], exec, s[16:17]
; %bb.234:
	v_cmp_ne_u32_e32 vcc, 0, v79
	s_nop 1
	v_cndmask_b32_e32 v79, 12, v79, vcc
; %bb.235:
	s_andn2_saveexec_b64 s[0:1], s[0:1]
	s_cbranch_execz .LBB30_241
; %bb.236:
	v_cmp_ngt_f64_e64 s[16:17], |v[64:65]|, |v[66:67]|
	s_and_saveexec_b64 s[18:19], s[16:17]
	s_xor_b64 s[16:17], exec, s[18:19]
	s_cbranch_execz .LBB30_238
; %bb.237:
	v_div_scale_f64 v[80:81], s[18:19], v[66:67], v[66:67], v[64:65]
	v_rcp_f64_e32 v[82:83], v[80:81]
	v_div_scale_f64 v[84:85], vcc, v[64:65], v[66:67], v[64:65]
	v_fma_f64 v[86:87], -v[80:81], v[82:83], 1.0
	v_fmac_f64_e32 v[82:83], v[82:83], v[86:87]
	v_fma_f64 v[86:87], -v[80:81], v[82:83], 1.0
	v_fmac_f64_e32 v[82:83], v[82:83], v[86:87]
	v_mul_f64 v[86:87], v[84:85], v[82:83]
	v_fma_f64 v[80:81], -v[80:81], v[86:87], v[84:85]
	v_div_fmas_f64 v[80:81], v[80:81], v[82:83], v[86:87]
	v_div_fixup_f64 v[80:81], v[80:81], v[66:67], v[64:65]
	v_fmac_f64_e32 v[66:67], v[64:65], v[80:81]
	v_div_scale_f64 v[64:65], s[18:19], v[66:67], v[66:67], 1.0
	v_rcp_f64_e32 v[82:83], v[64:65]
	s_nop 0
	v_fma_f64 v[84:85], -v[64:65], v[82:83], 1.0
	v_fmac_f64_e32 v[82:83], v[82:83], v[84:85]
	v_fma_f64 v[84:85], -v[64:65], v[82:83], 1.0
	v_fmac_f64_e32 v[82:83], v[82:83], v[84:85]
	v_div_scale_f64 v[84:85], vcc, 1.0, v[66:67], 1.0
	v_mul_f64 v[86:87], v[84:85], v[82:83]
	v_fma_f64 v[64:65], -v[64:65], v[86:87], v[84:85]
	s_nop 1
	v_div_fmas_f64 v[64:65], v[64:65], v[82:83], v[86:87]
	v_div_fixup_f64 v[66:67], v[64:65], v[66:67], 1.0
	v_mul_f64 v[64:65], v[80:81], v[66:67]
	v_xor_b32_e32 v67, 0x80000000, v67
.LBB30_238:
	s_andn2_saveexec_b64 s[16:17], s[16:17]
	s_cbranch_execz .LBB30_240
; %bb.239:
	v_div_scale_f64 v[80:81], s[18:19], v[64:65], v[64:65], v[66:67]
	v_rcp_f64_e32 v[82:83], v[80:81]
	v_div_scale_f64 v[84:85], vcc, v[66:67], v[64:65], v[66:67]
	v_fma_f64 v[86:87], -v[80:81], v[82:83], 1.0
	v_fmac_f64_e32 v[82:83], v[82:83], v[86:87]
	v_fma_f64 v[86:87], -v[80:81], v[82:83], 1.0
	v_fmac_f64_e32 v[82:83], v[82:83], v[86:87]
	v_mul_f64 v[86:87], v[84:85], v[82:83]
	v_fma_f64 v[80:81], -v[80:81], v[86:87], v[84:85]
	v_div_fmas_f64 v[80:81], v[80:81], v[82:83], v[86:87]
	v_div_fixup_f64 v[80:81], v[80:81], v[64:65], v[66:67]
	v_fmac_f64_e32 v[64:65], v[66:67], v[80:81]
	v_div_scale_f64 v[66:67], s[18:19], v[64:65], v[64:65], 1.0
	v_rcp_f64_e32 v[82:83], v[66:67]
	s_nop 0
	v_fma_f64 v[84:85], -v[66:67], v[82:83], 1.0
	v_fmac_f64_e32 v[82:83], v[82:83], v[84:85]
	v_fma_f64 v[84:85], -v[66:67], v[82:83], 1.0
	v_fmac_f64_e32 v[82:83], v[82:83], v[84:85]
	v_div_scale_f64 v[84:85], vcc, 1.0, v[64:65], 1.0
	v_mul_f64 v[86:87], v[84:85], v[82:83]
	v_fma_f64 v[66:67], -v[66:67], v[86:87], v[84:85]
	s_nop 1
	v_div_fmas_f64 v[66:67], v[66:67], v[82:83], v[86:87]
	v_div_fixup_f64 v[64:65], v[66:67], v[64:65], 1.0
	v_mul_f64 v[66:67], v[80:81], -v[64:65]
.LBB30_240:
	s_or_b64 exec, exec, s[16:17]
.LBB30_241:
	s_or_b64 exec, exec, s[0:1]
	v_cmp_ne_u32_e32 vcc, v77, v74
	s_and_saveexec_b64 s[0:1], vcc
	s_xor_b64 s[0:1], exec, s[0:1]
	s_cbranch_execz .LBB30_247
; %bb.242:
	v_cmp_eq_u32_e32 vcc, 11, v77
	s_and_saveexec_b64 s[16:17], vcc
	s_cbranch_execz .LBB30_246
; %bb.243:
	v_cmp_ne_u32_e32 vcc, 11, v74
	s_xor_b64 s[18:19], s[14:15], -1
	s_and_b64 s[22:23], s[18:19], vcc
	s_and_saveexec_b64 s[18:19], s[22:23]
	s_cbranch_execz .LBB30_245
; %bb.244:
	v_ashrrev_i32_e32 v75, 31, v74
	v_lshl_add_u64 v[80:81], v[74:75], 2, v[72:73]
	global_load_dword v75, v[80:81], off
	global_load_dword v77, v[72:73], off offset:44
	s_waitcnt vmcnt(1)
	global_store_dword v[72:73], v75, off offset:44
	s_waitcnt vmcnt(1)
	global_store_dword v[80:81], v77, off
.LBB30_245:
	s_or_b64 exec, exec, s[18:19]
	v_mov_b32_e32 v77, v74
	v_mov_b32_e32 v78, v74
.LBB30_246:
	s_or_b64 exec, exec, s[16:17]
.LBB30_247:
	s_andn2_saveexec_b64 s[0:1], s[0:1]
	s_cbranch_execz .LBB30_249
; %bb.248:
	v_mov_b32_e32 v77, 11
	s_waitcnt vmcnt(3)
	ds_write2_b64 v76, v[8:9], v[10:11] offset0:24 offset1:25
	s_waitcnt vmcnt(2)
	ds_write2_b64 v76, v[4:5], v[6:7] offset0:26 offset1:27
	;; [unrolled: 2-line block ×4, first 2 shown]
.LBB30_249:
	s_or_b64 exec, exec, s[0:1]
	v_cmp_lt_i32_e32 vcc, 11, v77
	s_waitcnt lgkmcnt(0)
	s_barrier
	s_and_saveexec_b64 s[0:1], vcc
	s_cbranch_execz .LBB30_251
; %bb.250:
	ds_read2_b64 v[80:83], v76 offset0:24 offset1:25
	v_mul_f64 v[74:75], v[64:65], v[14:15]
	v_mul_f64 v[14:15], v[66:67], v[14:15]
	v_fmac_f64_e32 v[74:75], v[66:67], v[12:13]
	v_fma_f64 v[12:13], v[64:65], v[12:13], -v[14:15]
	ds_read2_b64 v[64:67], v76 offset0:26 offset1:27
	s_waitcnt lgkmcnt(1)
	v_mul_f64 v[14:15], v[82:83], v[74:75]
	v_fma_f64 v[14:15], v[80:81], v[12:13], -v[14:15]
	v_mul_f64 v[80:81], v[80:81], v[74:75]
	v_fmac_f64_e32 v[80:81], v[82:83], v[12:13]
	s_waitcnt vmcnt(3)
	v_add_f64 v[8:9], v[8:9], -v[14:15]
	s_waitcnt lgkmcnt(0)
	v_mul_f64 v[14:15], v[66:67], v[74:75]
	v_add_f64 v[10:11], v[10:11], -v[80:81]
	v_fma_f64 v[14:15], v[64:65], v[12:13], -v[14:15]
	v_mul_f64 v[64:65], v[64:65], v[74:75]
	ds_read2_b64 v[80:83], v76 offset0:28 offset1:29
	v_fmac_f64_e32 v[64:65], v[66:67], v[12:13]
	s_waitcnt vmcnt(2)
	v_add_f64 v[6:7], v[6:7], -v[64:65]
	ds_read2_b64 v[64:67], v76 offset0:30 offset1:31
	v_add_f64 v[4:5], v[4:5], -v[14:15]
	s_waitcnt lgkmcnt(1)
	v_mul_f64 v[14:15], v[82:83], v[74:75]
	v_fma_f64 v[14:15], v[80:81], v[12:13], -v[14:15]
	s_waitcnt vmcnt(1)
	v_add_f64 v[0:1], v[0:1], -v[14:15]
	s_waitcnt lgkmcnt(0)
	v_mul_f64 v[14:15], v[66:67], v[74:75]
	v_mul_f64 v[80:81], v[80:81], v[74:75]
	v_fma_f64 v[14:15], v[64:65], v[12:13], -v[14:15]
	v_mul_f64 v[64:65], v[64:65], v[74:75]
	v_fmac_f64_e32 v[80:81], v[82:83], v[12:13]
	v_fmac_f64_e32 v[64:65], v[66:67], v[12:13]
	v_add_f64 v[2:3], v[2:3], -v[80:81]
	s_waitcnt vmcnt(0)
	v_add_f64 v[60:61], v[60:61], -v[14:15]
	v_add_f64 v[62:63], v[62:63], -v[64:65]
	v_mov_b64_e32 v[14:15], v[74:75]
.LBB30_251:
	s_or_b64 exec, exec, s[0:1]
	v_lshl_add_u32 v64, v77, 4, v76
	s_barrier
	s_waitcnt vmcnt(3)
	ds_write2_b64 v64, v[8:9], v[10:11] offset1:1
	s_waitcnt lgkmcnt(0)
	s_barrier
	ds_read2_b64 v[64:67], v76 offset0:24 offset1:25
	s_cmp_lt_i32 s20, 14
	v_mov_b32_e32 v74, 12
	s_cbranch_scc1 .LBB30_254
; %bb.252:
	v_add_u32_e32 v75, 0xd0, v76
	s_mov_b32 s16, 13
	v_mov_b32_e32 v74, 12
.LBB30_253:                             ; =>This Inner Loop Header: Depth=1
	ds_read2_b64 v[80:83], v75 offset1:1
	s_waitcnt lgkmcnt(1)
	v_xor_b32_e32 v85, 0x80000000, v65
	v_xor_b32_e32 v87, 0x80000000, v67
	v_cmp_gt_f64_e32 vcc, 0, v[66:67]
	v_cmp_gt_f64_e64 s[0:1], 0, v[64:65]
	v_mov_b32_e32 v84, v64
	v_mov_b32_e32 v86, v66
	v_cndmask_b32_e64 v85, v65, v85, s[0:1]
	v_cndmask_b32_e32 v87, v67, v87, vcc
	v_add_f64 v[84:85], v[84:85], v[86:87]
	s_waitcnt lgkmcnt(0)
	v_xor_b32_e32 v87, 0x80000000, v81
	v_xor_b32_e32 v89, 0x80000000, v83
	v_cmp_gt_f64_e32 vcc, 0, v[82:83]
	v_cmp_gt_f64_e64 s[0:1], 0, v[80:81]
	v_mov_b32_e32 v86, v80
	v_mov_b32_e32 v88, v82
	v_cndmask_b32_e64 v87, v81, v87, s[0:1]
	v_cndmask_b32_e32 v89, v83, v89, vcc
	v_add_f64 v[86:87], v[86:87], v[88:89]
	v_mov_b32_e32 v90, s16
	s_add_i32 s16, s16, 1
	v_cmp_lt_f64_e32 vcc, v[84:85], v[86:87]
	v_add_u32_e32 v75, 16, v75
	s_cmp_lg_u32 s20, s16
	v_cndmask_b32_e32 v65, v65, v81, vcc
	v_cndmask_b32_e32 v64, v64, v80, vcc
	;; [unrolled: 1-line block ×5, first 2 shown]
	s_cbranch_scc1 .LBB30_253
.LBB30_254:
	s_waitcnt lgkmcnt(0)
	v_cmp_eq_f64_e32 vcc, 0, v[64:65]
	v_cmp_eq_f64_e64 s[0:1], 0, v[66:67]
	s_and_b64 s[0:1], vcc, s[0:1]
	s_and_saveexec_b64 s[16:17], s[0:1]
	s_xor_b64 s[0:1], exec, s[16:17]
; %bb.255:
	v_cmp_ne_u32_e32 vcc, 0, v79
	s_nop 1
	v_cndmask_b32_e32 v79, 13, v79, vcc
; %bb.256:
	s_andn2_saveexec_b64 s[0:1], s[0:1]
	s_cbranch_execz .LBB30_262
; %bb.257:
	v_cmp_ngt_f64_e64 s[16:17], |v[64:65]|, |v[66:67]|
	s_and_saveexec_b64 s[18:19], s[16:17]
	s_xor_b64 s[16:17], exec, s[18:19]
	s_cbranch_execz .LBB30_259
; %bb.258:
	v_div_scale_f64 v[80:81], s[18:19], v[66:67], v[66:67], v[64:65]
	v_rcp_f64_e32 v[82:83], v[80:81]
	v_div_scale_f64 v[84:85], vcc, v[64:65], v[66:67], v[64:65]
	v_fma_f64 v[86:87], -v[80:81], v[82:83], 1.0
	v_fmac_f64_e32 v[82:83], v[82:83], v[86:87]
	v_fma_f64 v[86:87], -v[80:81], v[82:83], 1.0
	v_fmac_f64_e32 v[82:83], v[82:83], v[86:87]
	v_mul_f64 v[86:87], v[84:85], v[82:83]
	v_fma_f64 v[80:81], -v[80:81], v[86:87], v[84:85]
	v_div_fmas_f64 v[80:81], v[80:81], v[82:83], v[86:87]
	v_div_fixup_f64 v[80:81], v[80:81], v[66:67], v[64:65]
	v_fmac_f64_e32 v[66:67], v[64:65], v[80:81]
	v_div_scale_f64 v[64:65], s[18:19], v[66:67], v[66:67], 1.0
	v_rcp_f64_e32 v[82:83], v[64:65]
	s_nop 0
	v_fma_f64 v[84:85], -v[64:65], v[82:83], 1.0
	v_fmac_f64_e32 v[82:83], v[82:83], v[84:85]
	v_fma_f64 v[84:85], -v[64:65], v[82:83], 1.0
	v_fmac_f64_e32 v[82:83], v[82:83], v[84:85]
	v_div_scale_f64 v[84:85], vcc, 1.0, v[66:67], 1.0
	v_mul_f64 v[86:87], v[84:85], v[82:83]
	v_fma_f64 v[64:65], -v[64:65], v[86:87], v[84:85]
	s_nop 1
	v_div_fmas_f64 v[64:65], v[64:65], v[82:83], v[86:87]
	v_div_fixup_f64 v[66:67], v[64:65], v[66:67], 1.0
	v_mul_f64 v[64:65], v[80:81], v[66:67]
	v_xor_b32_e32 v67, 0x80000000, v67
.LBB30_259:
	s_andn2_saveexec_b64 s[16:17], s[16:17]
	s_cbranch_execz .LBB30_261
; %bb.260:
	v_div_scale_f64 v[80:81], s[18:19], v[64:65], v[64:65], v[66:67]
	v_rcp_f64_e32 v[82:83], v[80:81]
	v_div_scale_f64 v[84:85], vcc, v[66:67], v[64:65], v[66:67]
	v_fma_f64 v[86:87], -v[80:81], v[82:83], 1.0
	v_fmac_f64_e32 v[82:83], v[82:83], v[86:87]
	v_fma_f64 v[86:87], -v[80:81], v[82:83], 1.0
	v_fmac_f64_e32 v[82:83], v[82:83], v[86:87]
	v_mul_f64 v[86:87], v[84:85], v[82:83]
	v_fma_f64 v[80:81], -v[80:81], v[86:87], v[84:85]
	v_div_fmas_f64 v[80:81], v[80:81], v[82:83], v[86:87]
	v_div_fixup_f64 v[80:81], v[80:81], v[64:65], v[66:67]
	v_fmac_f64_e32 v[64:65], v[66:67], v[80:81]
	v_div_scale_f64 v[66:67], s[18:19], v[64:65], v[64:65], 1.0
	v_rcp_f64_e32 v[82:83], v[66:67]
	s_nop 0
	v_fma_f64 v[84:85], -v[66:67], v[82:83], 1.0
	v_fmac_f64_e32 v[82:83], v[82:83], v[84:85]
	v_fma_f64 v[84:85], -v[66:67], v[82:83], 1.0
	v_fmac_f64_e32 v[82:83], v[82:83], v[84:85]
	v_div_scale_f64 v[84:85], vcc, 1.0, v[64:65], 1.0
	v_mul_f64 v[86:87], v[84:85], v[82:83]
	v_fma_f64 v[66:67], -v[66:67], v[86:87], v[84:85]
	s_nop 1
	v_div_fmas_f64 v[66:67], v[66:67], v[82:83], v[86:87]
	v_div_fixup_f64 v[64:65], v[66:67], v[64:65], 1.0
	v_mul_f64 v[66:67], v[80:81], -v[64:65]
.LBB30_261:
	s_or_b64 exec, exec, s[16:17]
.LBB30_262:
	s_or_b64 exec, exec, s[0:1]
	v_cmp_ne_u32_e32 vcc, v77, v74
	s_and_saveexec_b64 s[0:1], vcc
	s_xor_b64 s[0:1], exec, s[0:1]
	s_cbranch_execz .LBB30_268
; %bb.263:
	v_cmp_eq_u32_e32 vcc, 12, v77
	s_and_saveexec_b64 s[16:17], vcc
	s_cbranch_execz .LBB30_267
; %bb.264:
	v_cmp_ne_u32_e32 vcc, 12, v74
	s_xor_b64 s[18:19], s[14:15], -1
	s_and_b64 s[22:23], s[18:19], vcc
	s_and_saveexec_b64 s[18:19], s[22:23]
	s_cbranch_execz .LBB30_266
; %bb.265:
	v_ashrrev_i32_e32 v75, 31, v74
	v_lshl_add_u64 v[80:81], v[74:75], 2, v[72:73]
	global_load_dword v75, v[80:81], off
	global_load_dword v77, v[72:73], off offset:48
	s_waitcnt vmcnt(1)
	global_store_dword v[72:73], v75, off offset:48
	s_waitcnt vmcnt(1)
	global_store_dword v[80:81], v77, off
.LBB30_266:
	s_or_b64 exec, exec, s[18:19]
	v_mov_b32_e32 v77, v74
	v_mov_b32_e32 v78, v74
.LBB30_267:
	s_or_b64 exec, exec, s[16:17]
.LBB30_268:
	s_andn2_saveexec_b64 s[0:1], s[0:1]
	s_cbranch_execz .LBB30_270
; %bb.269:
	v_mov_b32_e32 v77, 12
	s_waitcnt vmcnt(2)
	ds_write2_b64 v76, v[4:5], v[6:7] offset0:26 offset1:27
	s_waitcnt vmcnt(1)
	ds_write2_b64 v76, v[0:1], v[2:3] offset0:28 offset1:29
	;; [unrolled: 2-line block ×3, first 2 shown]
.LBB30_270:
	s_or_b64 exec, exec, s[0:1]
	v_cmp_lt_i32_e32 vcc, 12, v77
	s_waitcnt lgkmcnt(0)
	s_barrier
	s_and_saveexec_b64 s[0:1], vcc
	s_cbranch_execz .LBB30_272
; %bb.271:
	ds_read2_b64 v[80:83], v76 offset0:26 offset1:27
	v_mul_f64 v[74:75], v[64:65], v[10:11]
	v_fmac_f64_e32 v[74:75], v[66:67], v[8:9]
	v_mul_f64 v[10:11], v[66:67], v[10:11]
	v_fma_f64 v[8:9], v[64:65], v[8:9], -v[10:11]
	ds_read2_b64 v[64:67], v76 offset0:28 offset1:29
	s_waitcnt lgkmcnt(1)
	v_mul_f64 v[10:11], v[82:83], v[74:75]
	v_fma_f64 v[10:11], v[80:81], v[8:9], -v[10:11]
	v_mul_f64 v[80:81], v[80:81], v[74:75]
	v_fmac_f64_e32 v[80:81], v[82:83], v[8:9]
	s_waitcnt vmcnt(2)
	v_add_f64 v[6:7], v[6:7], -v[80:81]
	ds_read2_b64 v[80:83], v76 offset0:30 offset1:31
	v_add_f64 v[4:5], v[4:5], -v[10:11]
	s_waitcnt lgkmcnt(1)
	v_mul_f64 v[10:11], v[66:67], v[74:75]
	v_fma_f64 v[10:11], v[64:65], v[8:9], -v[10:11]
	v_mul_f64 v[64:65], v[64:65], v[74:75]
	v_fmac_f64_e32 v[64:65], v[66:67], v[8:9]
	s_waitcnt vmcnt(1)
	v_add_f64 v[0:1], v[0:1], -v[10:11]
	v_add_f64 v[2:3], v[2:3], -v[64:65]
	s_waitcnt lgkmcnt(0)
	v_mul_f64 v[10:11], v[82:83], v[74:75]
	v_mul_f64 v[64:65], v[80:81], v[74:75]
	v_fma_f64 v[10:11], v[80:81], v[8:9], -v[10:11]
	v_fmac_f64_e32 v[64:65], v[82:83], v[8:9]
	s_waitcnt vmcnt(0)
	v_add_f64 v[60:61], v[60:61], -v[10:11]
	v_add_f64 v[62:63], v[62:63], -v[64:65]
	v_mov_b64_e32 v[10:11], v[74:75]
.LBB30_272:
	s_or_b64 exec, exec, s[0:1]
	v_lshl_add_u32 v64, v77, 4, v76
	s_barrier
	s_waitcnt vmcnt(2)
	ds_write2_b64 v64, v[4:5], v[6:7] offset1:1
	s_waitcnt lgkmcnt(0)
	s_barrier
	ds_read2_b64 v[64:67], v76 offset0:26 offset1:27
	s_cmp_lt_i32 s20, 15
	v_mov_b32_e32 v74, 13
	s_cbranch_scc1 .LBB30_275
; %bb.273:
	v_add_u32_e32 v75, 0xe0, v76
	s_mov_b32 s16, 14
	v_mov_b32_e32 v74, 13
.LBB30_274:                             ; =>This Inner Loop Header: Depth=1
	ds_read2_b64 v[80:83], v75 offset1:1
	s_waitcnt lgkmcnt(1)
	v_xor_b32_e32 v85, 0x80000000, v65
	v_xor_b32_e32 v87, 0x80000000, v67
	v_cmp_gt_f64_e32 vcc, 0, v[66:67]
	v_cmp_gt_f64_e64 s[0:1], 0, v[64:65]
	v_mov_b32_e32 v84, v64
	v_mov_b32_e32 v86, v66
	v_cndmask_b32_e64 v85, v65, v85, s[0:1]
	v_cndmask_b32_e32 v87, v67, v87, vcc
	v_add_f64 v[84:85], v[84:85], v[86:87]
	s_waitcnt lgkmcnt(0)
	v_xor_b32_e32 v87, 0x80000000, v81
	v_xor_b32_e32 v89, 0x80000000, v83
	v_cmp_gt_f64_e32 vcc, 0, v[82:83]
	v_cmp_gt_f64_e64 s[0:1], 0, v[80:81]
	v_mov_b32_e32 v86, v80
	v_mov_b32_e32 v88, v82
	v_cndmask_b32_e64 v87, v81, v87, s[0:1]
	v_cndmask_b32_e32 v89, v83, v89, vcc
	v_add_f64 v[86:87], v[86:87], v[88:89]
	v_mov_b32_e32 v90, s16
	s_add_i32 s16, s16, 1
	v_cmp_lt_f64_e32 vcc, v[84:85], v[86:87]
	v_add_u32_e32 v75, 16, v75
	s_cmp_lg_u32 s20, s16
	v_cndmask_b32_e32 v65, v65, v81, vcc
	v_cndmask_b32_e32 v64, v64, v80, vcc
	;; [unrolled: 1-line block ×5, first 2 shown]
	s_cbranch_scc1 .LBB30_274
.LBB30_275:
	s_waitcnt lgkmcnt(0)
	v_cmp_eq_f64_e32 vcc, 0, v[64:65]
	v_cmp_eq_f64_e64 s[0:1], 0, v[66:67]
	s_and_b64 s[0:1], vcc, s[0:1]
	s_and_saveexec_b64 s[16:17], s[0:1]
	s_xor_b64 s[0:1], exec, s[16:17]
; %bb.276:
	v_cmp_ne_u32_e32 vcc, 0, v79
	s_nop 1
	v_cndmask_b32_e32 v79, 14, v79, vcc
; %bb.277:
	s_andn2_saveexec_b64 s[0:1], s[0:1]
	s_cbranch_execz .LBB30_283
; %bb.278:
	v_cmp_ngt_f64_e64 s[16:17], |v[64:65]|, |v[66:67]|
	s_and_saveexec_b64 s[18:19], s[16:17]
	s_xor_b64 s[16:17], exec, s[18:19]
	s_cbranch_execz .LBB30_280
; %bb.279:
	v_div_scale_f64 v[80:81], s[18:19], v[66:67], v[66:67], v[64:65]
	v_rcp_f64_e32 v[82:83], v[80:81]
	v_div_scale_f64 v[84:85], vcc, v[64:65], v[66:67], v[64:65]
	v_fma_f64 v[86:87], -v[80:81], v[82:83], 1.0
	v_fmac_f64_e32 v[82:83], v[82:83], v[86:87]
	v_fma_f64 v[86:87], -v[80:81], v[82:83], 1.0
	v_fmac_f64_e32 v[82:83], v[82:83], v[86:87]
	v_mul_f64 v[86:87], v[84:85], v[82:83]
	v_fma_f64 v[80:81], -v[80:81], v[86:87], v[84:85]
	v_div_fmas_f64 v[80:81], v[80:81], v[82:83], v[86:87]
	v_div_fixup_f64 v[80:81], v[80:81], v[66:67], v[64:65]
	v_fmac_f64_e32 v[66:67], v[64:65], v[80:81]
	v_div_scale_f64 v[64:65], s[18:19], v[66:67], v[66:67], 1.0
	v_rcp_f64_e32 v[82:83], v[64:65]
	s_nop 0
	v_fma_f64 v[84:85], -v[64:65], v[82:83], 1.0
	v_fmac_f64_e32 v[82:83], v[82:83], v[84:85]
	v_fma_f64 v[84:85], -v[64:65], v[82:83], 1.0
	v_fmac_f64_e32 v[82:83], v[82:83], v[84:85]
	v_div_scale_f64 v[84:85], vcc, 1.0, v[66:67], 1.0
	v_mul_f64 v[86:87], v[84:85], v[82:83]
	v_fma_f64 v[64:65], -v[64:65], v[86:87], v[84:85]
	s_nop 1
	v_div_fmas_f64 v[64:65], v[64:65], v[82:83], v[86:87]
	v_div_fixup_f64 v[66:67], v[64:65], v[66:67], 1.0
	v_mul_f64 v[64:65], v[80:81], v[66:67]
	v_xor_b32_e32 v67, 0x80000000, v67
.LBB30_280:
	s_andn2_saveexec_b64 s[16:17], s[16:17]
	s_cbranch_execz .LBB30_282
; %bb.281:
	v_div_scale_f64 v[80:81], s[18:19], v[64:65], v[64:65], v[66:67]
	v_rcp_f64_e32 v[82:83], v[80:81]
	v_div_scale_f64 v[84:85], vcc, v[66:67], v[64:65], v[66:67]
	v_fma_f64 v[86:87], -v[80:81], v[82:83], 1.0
	v_fmac_f64_e32 v[82:83], v[82:83], v[86:87]
	v_fma_f64 v[86:87], -v[80:81], v[82:83], 1.0
	v_fmac_f64_e32 v[82:83], v[82:83], v[86:87]
	v_mul_f64 v[86:87], v[84:85], v[82:83]
	v_fma_f64 v[80:81], -v[80:81], v[86:87], v[84:85]
	v_div_fmas_f64 v[80:81], v[80:81], v[82:83], v[86:87]
	v_div_fixup_f64 v[80:81], v[80:81], v[64:65], v[66:67]
	v_fmac_f64_e32 v[64:65], v[66:67], v[80:81]
	v_div_scale_f64 v[66:67], s[18:19], v[64:65], v[64:65], 1.0
	v_rcp_f64_e32 v[82:83], v[66:67]
	s_nop 0
	v_fma_f64 v[84:85], -v[66:67], v[82:83], 1.0
	v_fmac_f64_e32 v[82:83], v[82:83], v[84:85]
	v_fma_f64 v[84:85], -v[66:67], v[82:83], 1.0
	v_fmac_f64_e32 v[82:83], v[82:83], v[84:85]
	v_div_scale_f64 v[84:85], vcc, 1.0, v[64:65], 1.0
	v_mul_f64 v[86:87], v[84:85], v[82:83]
	v_fma_f64 v[66:67], -v[66:67], v[86:87], v[84:85]
	s_nop 1
	v_div_fmas_f64 v[66:67], v[66:67], v[82:83], v[86:87]
	v_div_fixup_f64 v[64:65], v[66:67], v[64:65], 1.0
	v_mul_f64 v[66:67], v[80:81], -v[64:65]
.LBB30_282:
	s_or_b64 exec, exec, s[16:17]
.LBB30_283:
	s_or_b64 exec, exec, s[0:1]
	v_cmp_ne_u32_e32 vcc, v77, v74
	s_and_saveexec_b64 s[0:1], vcc
	s_xor_b64 s[0:1], exec, s[0:1]
	s_cbranch_execz .LBB30_289
; %bb.284:
	v_cmp_eq_u32_e32 vcc, 13, v77
	s_and_saveexec_b64 s[16:17], vcc
	s_cbranch_execz .LBB30_288
; %bb.285:
	v_cmp_ne_u32_e32 vcc, 13, v74
	s_xor_b64 s[18:19], s[14:15], -1
	s_and_b64 s[22:23], s[18:19], vcc
	s_and_saveexec_b64 s[18:19], s[22:23]
	s_cbranch_execz .LBB30_287
; %bb.286:
	v_ashrrev_i32_e32 v75, 31, v74
	v_lshl_add_u64 v[80:81], v[74:75], 2, v[72:73]
	global_load_dword v75, v[80:81], off
	global_load_dword v77, v[72:73], off offset:52
	s_waitcnt vmcnt(1)
	global_store_dword v[72:73], v75, off offset:52
	s_waitcnt vmcnt(1)
	global_store_dword v[80:81], v77, off
.LBB30_287:
	s_or_b64 exec, exec, s[18:19]
	v_mov_b32_e32 v77, v74
	v_mov_b32_e32 v78, v74
.LBB30_288:
	s_or_b64 exec, exec, s[16:17]
.LBB30_289:
	s_andn2_saveexec_b64 s[0:1], s[0:1]
	s_cbranch_execz .LBB30_291
; %bb.290:
	v_mov_b32_e32 v77, 13
	s_waitcnt vmcnt(1)
	ds_write2_b64 v76, v[0:1], v[2:3] offset0:28 offset1:29
	s_waitcnt vmcnt(0)
	ds_write2_b64 v76, v[60:61], v[62:63] offset0:30 offset1:31
.LBB30_291:
	s_or_b64 exec, exec, s[0:1]
	v_cmp_lt_i32_e32 vcc, 13, v77
	s_waitcnt lgkmcnt(0)
	s_barrier
	s_and_saveexec_b64 s[0:1], vcc
	s_cbranch_execz .LBB30_293
; %bb.292:
	ds_read2_b64 v[80:83], v76 offset0:28 offset1:29
	v_mul_f64 v[74:75], v[64:65], v[6:7]
	v_mul_f64 v[6:7], v[66:67], v[6:7]
	v_fmac_f64_e32 v[74:75], v[66:67], v[4:5]
	v_fma_f64 v[4:5], v[64:65], v[4:5], -v[6:7]
	ds_read2_b64 v[64:67], v76 offset0:30 offset1:31
	s_waitcnt lgkmcnt(1)
	v_mul_f64 v[6:7], v[82:83], v[74:75]
	v_fma_f64 v[6:7], v[80:81], v[4:5], -v[6:7]
	s_waitcnt vmcnt(1)
	v_add_f64 v[0:1], v[0:1], -v[6:7]
	v_mul_f64 v[80:81], v[80:81], v[74:75]
	s_waitcnt lgkmcnt(0)
	v_mul_f64 v[6:7], v[66:67], v[74:75]
	v_fma_f64 v[6:7], v[64:65], v[4:5], -v[6:7]
	v_mul_f64 v[64:65], v[64:65], v[74:75]
	v_fmac_f64_e32 v[80:81], v[82:83], v[4:5]
	v_fmac_f64_e32 v[64:65], v[66:67], v[4:5]
	v_add_f64 v[2:3], v[2:3], -v[80:81]
	s_waitcnt vmcnt(0)
	v_add_f64 v[60:61], v[60:61], -v[6:7]
	v_add_f64 v[62:63], v[62:63], -v[64:65]
	v_mov_b64_e32 v[6:7], v[74:75]
.LBB30_293:
	s_or_b64 exec, exec, s[0:1]
	v_lshl_add_u32 v64, v77, 4, v76
	s_barrier
	s_waitcnt vmcnt(1)
	ds_write2_b64 v64, v[0:1], v[2:3] offset1:1
	s_waitcnt lgkmcnt(0)
	s_barrier
	ds_read2_b64 v[64:67], v76 offset0:28 offset1:29
	s_cmp_lt_i32 s20, 16
	v_mov_b32_e32 v74, 14
	s_cbranch_scc1 .LBB30_296
; %bb.294:
	v_add_u32_e32 v75, 0xf0, v76
	s_mov_b32 s16, 15
	v_mov_b32_e32 v74, 14
.LBB30_295:                             ; =>This Inner Loop Header: Depth=1
	ds_read2_b64 v[80:83], v75 offset1:1
	s_waitcnt lgkmcnt(1)
	v_xor_b32_e32 v85, 0x80000000, v65
	v_xor_b32_e32 v87, 0x80000000, v67
	v_cmp_gt_f64_e32 vcc, 0, v[66:67]
	v_cmp_gt_f64_e64 s[0:1], 0, v[64:65]
	v_mov_b32_e32 v84, v64
	v_mov_b32_e32 v86, v66
	v_cndmask_b32_e64 v85, v65, v85, s[0:1]
	v_cndmask_b32_e32 v87, v67, v87, vcc
	v_add_f64 v[84:85], v[84:85], v[86:87]
	s_waitcnt lgkmcnt(0)
	v_xor_b32_e32 v87, 0x80000000, v81
	v_xor_b32_e32 v89, 0x80000000, v83
	v_cmp_gt_f64_e32 vcc, 0, v[82:83]
	v_cmp_gt_f64_e64 s[0:1], 0, v[80:81]
	v_mov_b32_e32 v86, v80
	v_mov_b32_e32 v88, v82
	v_cndmask_b32_e64 v87, v81, v87, s[0:1]
	v_cndmask_b32_e32 v89, v83, v89, vcc
	v_add_f64 v[86:87], v[86:87], v[88:89]
	v_mov_b32_e32 v90, s16
	s_add_i32 s16, s16, 1
	v_cmp_lt_f64_e32 vcc, v[84:85], v[86:87]
	v_add_u32_e32 v75, 16, v75
	s_cmp_lg_u32 s20, s16
	v_cndmask_b32_e32 v65, v65, v81, vcc
	v_cndmask_b32_e32 v64, v64, v80, vcc
	;; [unrolled: 1-line block ×5, first 2 shown]
	s_cbranch_scc1 .LBB30_295
.LBB30_296:
	s_waitcnt lgkmcnt(0)
	v_cmp_eq_f64_e32 vcc, 0, v[64:65]
	v_cmp_eq_f64_e64 s[0:1], 0, v[66:67]
	s_and_b64 s[0:1], vcc, s[0:1]
	s_and_saveexec_b64 s[16:17], s[0:1]
	s_xor_b64 s[0:1], exec, s[16:17]
; %bb.297:
	v_cmp_ne_u32_e32 vcc, 0, v79
	s_nop 1
	v_cndmask_b32_e32 v79, 15, v79, vcc
; %bb.298:
	s_andn2_saveexec_b64 s[0:1], s[0:1]
	s_cbranch_execz .LBB30_304
; %bb.299:
	v_cmp_ngt_f64_e64 s[16:17], |v[64:65]|, |v[66:67]|
	s_and_saveexec_b64 s[18:19], s[16:17]
	s_xor_b64 s[16:17], exec, s[18:19]
	s_cbranch_execz .LBB30_301
; %bb.300:
	v_div_scale_f64 v[80:81], s[18:19], v[66:67], v[66:67], v[64:65]
	v_rcp_f64_e32 v[82:83], v[80:81]
	v_div_scale_f64 v[84:85], vcc, v[64:65], v[66:67], v[64:65]
	v_fma_f64 v[86:87], -v[80:81], v[82:83], 1.0
	v_fmac_f64_e32 v[82:83], v[82:83], v[86:87]
	v_fma_f64 v[86:87], -v[80:81], v[82:83], 1.0
	v_fmac_f64_e32 v[82:83], v[82:83], v[86:87]
	v_mul_f64 v[86:87], v[84:85], v[82:83]
	v_fma_f64 v[80:81], -v[80:81], v[86:87], v[84:85]
	v_div_fmas_f64 v[80:81], v[80:81], v[82:83], v[86:87]
	v_div_fixup_f64 v[80:81], v[80:81], v[66:67], v[64:65]
	v_fmac_f64_e32 v[66:67], v[64:65], v[80:81]
	v_div_scale_f64 v[64:65], s[18:19], v[66:67], v[66:67], 1.0
	v_rcp_f64_e32 v[82:83], v[64:65]
	s_nop 0
	v_fma_f64 v[84:85], -v[64:65], v[82:83], 1.0
	v_fmac_f64_e32 v[82:83], v[82:83], v[84:85]
	v_fma_f64 v[84:85], -v[64:65], v[82:83], 1.0
	v_fmac_f64_e32 v[82:83], v[82:83], v[84:85]
	v_div_scale_f64 v[84:85], vcc, 1.0, v[66:67], 1.0
	v_mul_f64 v[86:87], v[84:85], v[82:83]
	v_fma_f64 v[64:65], -v[64:65], v[86:87], v[84:85]
	s_nop 1
	v_div_fmas_f64 v[64:65], v[64:65], v[82:83], v[86:87]
	v_div_fixup_f64 v[66:67], v[64:65], v[66:67], 1.0
	v_mul_f64 v[64:65], v[80:81], v[66:67]
	v_xor_b32_e32 v67, 0x80000000, v67
.LBB30_301:
	s_andn2_saveexec_b64 s[16:17], s[16:17]
	s_cbranch_execz .LBB30_303
; %bb.302:
	v_div_scale_f64 v[80:81], s[18:19], v[64:65], v[64:65], v[66:67]
	v_rcp_f64_e32 v[82:83], v[80:81]
	v_div_scale_f64 v[84:85], vcc, v[66:67], v[64:65], v[66:67]
	v_fma_f64 v[86:87], -v[80:81], v[82:83], 1.0
	v_fmac_f64_e32 v[82:83], v[82:83], v[86:87]
	v_fma_f64 v[86:87], -v[80:81], v[82:83], 1.0
	v_fmac_f64_e32 v[82:83], v[82:83], v[86:87]
	v_mul_f64 v[86:87], v[84:85], v[82:83]
	v_fma_f64 v[80:81], -v[80:81], v[86:87], v[84:85]
	v_div_fmas_f64 v[80:81], v[80:81], v[82:83], v[86:87]
	v_div_fixup_f64 v[80:81], v[80:81], v[64:65], v[66:67]
	v_fmac_f64_e32 v[64:65], v[66:67], v[80:81]
	v_div_scale_f64 v[66:67], s[18:19], v[64:65], v[64:65], 1.0
	v_rcp_f64_e32 v[82:83], v[66:67]
	s_nop 0
	v_fma_f64 v[84:85], -v[66:67], v[82:83], 1.0
	v_fmac_f64_e32 v[82:83], v[82:83], v[84:85]
	v_fma_f64 v[84:85], -v[66:67], v[82:83], 1.0
	v_fmac_f64_e32 v[82:83], v[82:83], v[84:85]
	v_div_scale_f64 v[84:85], vcc, 1.0, v[64:65], 1.0
	v_mul_f64 v[86:87], v[84:85], v[82:83]
	v_fma_f64 v[66:67], -v[66:67], v[86:87], v[84:85]
	s_nop 1
	v_div_fmas_f64 v[66:67], v[66:67], v[82:83], v[86:87]
	v_div_fixup_f64 v[64:65], v[66:67], v[64:65], 1.0
	v_mul_f64 v[66:67], v[80:81], -v[64:65]
.LBB30_303:
	s_or_b64 exec, exec, s[16:17]
.LBB30_304:
	s_or_b64 exec, exec, s[0:1]
	v_cmp_ne_u32_e32 vcc, v77, v74
	s_and_saveexec_b64 s[0:1], vcc
	s_xor_b64 s[0:1], exec, s[0:1]
	s_cbranch_execz .LBB30_310
; %bb.305:
	v_cmp_eq_u32_e32 vcc, 14, v77
	s_and_saveexec_b64 s[16:17], vcc
	s_cbranch_execz .LBB30_309
; %bb.306:
	v_cmp_ne_u32_e32 vcc, 14, v74
	s_xor_b64 s[18:19], s[14:15], -1
	s_and_b64 s[22:23], s[18:19], vcc
	s_and_saveexec_b64 s[18:19], s[22:23]
	s_cbranch_execz .LBB30_308
; %bb.307:
	v_ashrrev_i32_e32 v75, 31, v74
	v_lshl_add_u64 v[80:81], v[74:75], 2, v[72:73]
	global_load_dword v75, v[80:81], off
	global_load_dword v77, v[72:73], off offset:56
	s_waitcnt vmcnt(1)
	global_store_dword v[72:73], v75, off offset:56
	s_waitcnt vmcnt(1)
	global_store_dword v[80:81], v77, off
.LBB30_308:
	s_or_b64 exec, exec, s[18:19]
	v_mov_b32_e32 v77, v74
	v_mov_b32_e32 v78, v74
.LBB30_309:
	s_or_b64 exec, exec, s[16:17]
.LBB30_310:
	s_andn2_saveexec_b64 s[0:1], s[0:1]
	s_cbranch_execz .LBB30_312
; %bb.311:
	v_mov_b32_e32 v77, 14
	s_waitcnt vmcnt(0)
	ds_write2_b64 v76, v[60:61], v[62:63] offset0:30 offset1:31
.LBB30_312:
	s_or_b64 exec, exec, s[0:1]
	v_cmp_lt_i32_e32 vcc, 14, v77
	s_waitcnt lgkmcnt(0)
	s_barrier
	s_and_saveexec_b64 s[0:1], vcc
	s_cbranch_execz .LBB30_314
; %bb.313:
	ds_read2_b64 v[80:83], v76 offset0:30 offset1:31
	v_mul_f64 v[74:75], v[64:65], v[2:3]
	v_mul_f64 v[2:3], v[66:67], v[2:3]
	v_fmac_f64_e32 v[74:75], v[66:67], v[0:1]
	v_fma_f64 v[0:1], v[64:65], v[0:1], -v[2:3]
	s_waitcnt lgkmcnt(0)
	v_mul_f64 v[2:3], v[82:83], v[74:75]
	v_mul_f64 v[64:65], v[80:81], v[74:75]
	v_fma_f64 v[2:3], v[80:81], v[0:1], -v[2:3]
	v_fmac_f64_e32 v[64:65], v[82:83], v[0:1]
	s_waitcnt vmcnt(0)
	v_add_f64 v[60:61], v[60:61], -v[2:3]
	v_add_f64 v[62:63], v[62:63], -v[64:65]
	v_mov_b64_e32 v[2:3], v[74:75]
.LBB30_314:
	s_or_b64 exec, exec, s[0:1]
	v_lshl_add_u32 v64, v77, 4, v76
	s_barrier
	s_waitcnt vmcnt(0)
	ds_write2_b64 v64, v[60:61], v[62:63] offset1:1
	s_waitcnt lgkmcnt(0)
	s_barrier
	ds_read2_b64 v[64:67], v76 offset0:30 offset1:31
	s_cmp_lt_i32 s20, 17
	v_mov_b32_e32 v74, 15
	s_cbranch_scc1 .LBB30_317
; %bb.315:
	v_add_u32_e32 v75, 0x100, v76
	s_mov_b32 s16, 16
	v_mov_b32_e32 v74, 15
.LBB30_316:                             ; =>This Inner Loop Header: Depth=1
	ds_read2_b64 v[80:83], v75 offset1:1
	s_waitcnt lgkmcnt(1)
	v_xor_b32_e32 v76, 0x80000000, v65
	v_xor_b32_e32 v87, 0x80000000, v67
	v_cmp_gt_f64_e32 vcc, 0, v[66:67]
	v_cmp_gt_f64_e64 s[0:1], 0, v[64:65]
	v_mov_b32_e32 v84, v64
	v_mov_b32_e32 v86, v66
	v_cndmask_b32_e64 v85, v65, v76, s[0:1]
	v_cndmask_b32_e32 v87, v67, v87, vcc
	s_waitcnt lgkmcnt(0)
	v_xor_b32_e32 v76, 0x80000000, v81
	v_xor_b32_e32 v89, 0x80000000, v83
	v_cmp_gt_f64_e32 vcc, 0, v[82:83]
	v_cmp_gt_f64_e64 s[0:1], 0, v[80:81]
	v_add_f64 v[84:85], v[84:85], v[86:87]
	v_mov_b32_e32 v86, v80
	v_mov_b32_e32 v88, v82
	v_cndmask_b32_e64 v87, v81, v76, s[0:1]
	v_cndmask_b32_e32 v89, v83, v89, vcc
	v_add_f64 v[86:87], v[86:87], v[88:89]
	v_mov_b32_e32 v90, s16
	s_add_i32 s16, s16, 1
	v_cmp_lt_f64_e32 vcc, v[84:85], v[86:87]
	v_add_u32_e32 v75, 16, v75
	s_cmp_lg_u32 s20, s16
	v_cndmask_b32_e32 v65, v65, v81, vcc
	v_cndmask_b32_e32 v64, v64, v80, vcc
	;; [unrolled: 1-line block ×5, first 2 shown]
	s_cbranch_scc1 .LBB30_316
.LBB30_317:
	s_waitcnt lgkmcnt(0)
	v_cmp_eq_f64_e32 vcc, 0, v[64:65]
	v_cmp_eq_f64_e64 s[0:1], 0, v[66:67]
	s_and_b64 s[0:1], vcc, s[0:1]
	s_and_saveexec_b64 s[16:17], s[0:1]
	s_xor_b64 s[0:1], exec, s[16:17]
; %bb.318:
	v_cmp_ne_u32_e32 vcc, 0, v79
	s_nop 1
	v_cndmask_b32_e32 v79, 16, v79, vcc
; %bb.319:
	s_andn2_saveexec_b64 s[0:1], s[0:1]
	s_cbranch_execz .LBB30_325
; %bb.320:
	v_cmp_ngt_f64_e64 s[16:17], |v[64:65]|, |v[66:67]|
	s_and_saveexec_b64 s[18:19], s[16:17]
	s_xor_b64 s[16:17], exec, s[18:19]
	s_cbranch_execz .LBB30_322
; %bb.321:
	v_div_scale_f64 v[80:81], s[18:19], v[66:67], v[66:67], v[64:65]
	v_rcp_f64_e32 v[82:83], v[80:81]
	v_div_scale_f64 v[84:85], vcc, v[64:65], v[66:67], v[64:65]
	v_fma_f64 v[86:87], -v[80:81], v[82:83], 1.0
	v_fmac_f64_e32 v[82:83], v[82:83], v[86:87]
	v_fma_f64 v[86:87], -v[80:81], v[82:83], 1.0
	v_fmac_f64_e32 v[82:83], v[82:83], v[86:87]
	v_mul_f64 v[86:87], v[84:85], v[82:83]
	v_fma_f64 v[80:81], -v[80:81], v[86:87], v[84:85]
	v_div_fmas_f64 v[80:81], v[80:81], v[82:83], v[86:87]
	v_div_fixup_f64 v[80:81], v[80:81], v[66:67], v[64:65]
	v_fmac_f64_e32 v[66:67], v[64:65], v[80:81]
	v_div_scale_f64 v[64:65], s[18:19], v[66:67], v[66:67], 1.0
	v_rcp_f64_e32 v[82:83], v[64:65]
	s_nop 0
	v_fma_f64 v[84:85], -v[64:65], v[82:83], 1.0
	v_fmac_f64_e32 v[82:83], v[82:83], v[84:85]
	v_fma_f64 v[84:85], -v[64:65], v[82:83], 1.0
	v_fmac_f64_e32 v[82:83], v[82:83], v[84:85]
	v_div_scale_f64 v[84:85], vcc, 1.0, v[66:67], 1.0
	v_mul_f64 v[86:87], v[84:85], v[82:83]
	v_fma_f64 v[64:65], -v[64:65], v[86:87], v[84:85]
	s_nop 1
	v_div_fmas_f64 v[64:65], v[64:65], v[82:83], v[86:87]
	v_div_fixup_f64 v[66:67], v[64:65], v[66:67], 1.0
	v_mul_f64 v[64:65], v[80:81], v[66:67]
	v_xor_b32_e32 v67, 0x80000000, v67
.LBB30_322:
	s_andn2_saveexec_b64 s[16:17], s[16:17]
	s_cbranch_execz .LBB30_324
; %bb.323:
	v_div_scale_f64 v[80:81], s[18:19], v[64:65], v[64:65], v[66:67]
	v_rcp_f64_e32 v[82:83], v[80:81]
	v_div_scale_f64 v[84:85], vcc, v[66:67], v[64:65], v[66:67]
	v_fma_f64 v[86:87], -v[80:81], v[82:83], 1.0
	v_fmac_f64_e32 v[82:83], v[82:83], v[86:87]
	v_fma_f64 v[86:87], -v[80:81], v[82:83], 1.0
	v_fmac_f64_e32 v[82:83], v[82:83], v[86:87]
	v_mul_f64 v[86:87], v[84:85], v[82:83]
	v_fma_f64 v[80:81], -v[80:81], v[86:87], v[84:85]
	v_div_fmas_f64 v[80:81], v[80:81], v[82:83], v[86:87]
	v_div_fixup_f64 v[80:81], v[80:81], v[64:65], v[66:67]
	v_fmac_f64_e32 v[64:65], v[66:67], v[80:81]
	v_div_scale_f64 v[66:67], s[18:19], v[64:65], v[64:65], 1.0
	v_rcp_f64_e32 v[82:83], v[66:67]
	s_nop 0
	v_fma_f64 v[84:85], -v[66:67], v[82:83], 1.0
	v_fmac_f64_e32 v[82:83], v[82:83], v[84:85]
	v_fma_f64 v[84:85], -v[66:67], v[82:83], 1.0
	v_fmac_f64_e32 v[82:83], v[82:83], v[84:85]
	v_div_scale_f64 v[84:85], vcc, 1.0, v[64:65], 1.0
	v_mul_f64 v[86:87], v[84:85], v[82:83]
	v_fma_f64 v[66:67], -v[66:67], v[86:87], v[84:85]
	s_nop 1
	v_div_fmas_f64 v[66:67], v[66:67], v[82:83], v[86:87]
	v_div_fixup_f64 v[64:65], v[66:67], v[64:65], 1.0
	v_mul_f64 v[66:67], v[80:81], -v[64:65]
.LBB30_324:
	s_or_b64 exec, exec, s[16:17]
.LBB30_325:
	s_or_b64 exec, exec, s[0:1]
	v_cmp_ne_u32_e32 vcc, v77, v74
	v_mov_b32_e32 v76, 15
	s_and_saveexec_b64 s[0:1], vcc
	s_cbranch_execz .LBB30_331
; %bb.326:
	v_cmp_eq_u32_e32 vcc, 15, v77
	s_and_saveexec_b64 s[16:17], vcc
	s_cbranch_execz .LBB30_330
; %bb.327:
	v_cmp_ne_u32_e32 vcc, 15, v74
	s_xor_b64 s[14:15], s[14:15], -1
	s_and_b64 s[18:19], s[14:15], vcc
	s_and_saveexec_b64 s[14:15], s[18:19]
	s_cbranch_execz .LBB30_329
; %bb.328:
	v_ashrrev_i32_e32 v75, 31, v74
	v_lshl_add_u64 v[76:77], v[74:75], 2, v[72:73]
	global_load_dword v75, v[76:77], off
	global_load_dword v78, v[72:73], off offset:60
	s_waitcnt vmcnt(1)
	global_store_dword v[72:73], v75, off offset:60
	s_waitcnt vmcnt(1)
	global_store_dword v[76:77], v78, off
.LBB30_329:
	s_or_b64 exec, exec, s[14:15]
	v_mov_b32_e32 v77, v74
	v_mov_b32_e32 v78, v74
.LBB30_330:
	s_or_b64 exec, exec, s[16:17]
	v_mov_b32_e32 v76, v77
.LBB30_331:
	s_or_b64 exec, exec, s[0:1]
	v_cmp_gt_i32_e32 vcc, 16, v76
	v_ashrrev_i32_e32 v77, 31, v76
	s_barrier
	s_barrier
	s_and_saveexec_b64 s[0:1], vcc
	s_cbranch_execz .LBB30_333
; %bb.332:
	v_mov_b32_e32 v72, s6
	v_mov_b32_e32 v73, s7
	v_mul_lo_u32 v80, s11, v70
	v_mul_lo_u32 v81, s10, v71
	v_mad_u64_u32 v[74:75], s[6:7], s10, v70, 0
	v_add3_u32 v75, v75, v81, v80
	v_lshl_add_u64 v[72:73], v[74:75], 2, v[72:73]
	v_lshl_add_u64 v[72:73], s[8:9], 2, v[72:73]
	;; [unrolled: 1-line block ×3, first 2 shown]
	v_add3_u32 v74, v78, s13, 1
	global_store_dword v[72:73], v74, off
.LBB30_333:
	s_or_b64 exec, exec, s[0:1]
	v_cmp_eq_u32_e32 vcc, 0, v76
	s_and_saveexec_b64 s[6:7], vcc
	s_cbranch_execz .LBB30_336
; %bb.334:
	v_mov_b32_e32 v72, s4
	v_mov_b32_e32 v73, s5
	v_lshl_add_u64 v[70:71], v[70:71], 2, v[72:73]
	global_load_dword v72, v[70:71], off
	v_cmp_ne_u32_e64 s[0:1], 0, v79
	s_waitcnt vmcnt(0)
	v_cmp_eq_u32_e32 vcc, 0, v72
	s_and_b64 s[0:1], vcc, s[0:1]
	s_and_b64 exec, exec, s[0:1]
	s_cbranch_execz .LBB30_336
; %bb.335:
	v_add_u32_e32 v72, s13, v79
	global_store_dword v[70:71], v72, off
.LBB30_336:
	s_or_b64 exec, exec, s[6:7]
	v_mul_f64 v[70:71], v[66:67], v[62:63]
	v_fma_f64 v[70:71], v[64:65], v[60:61], -v[70:71]
	v_mul_f64 v[64:65], v[64:65], v[62:63]
	v_fmac_f64_e32 v[64:65], v[66:67], v[60:61]
	v_cmp_lt_i32_e32 vcc, 15, v76
	s_nop 1
	v_cndmask_b32_e32 v63, v63, v65, vcc
	v_cndmask_b32_e32 v62, v62, v64, vcc
	v_lshl_add_u64 v[64:65], v[76:77], 4, v[68:69]
	global_store_dwordx4 v[64:65], v[56:59], off
	v_cndmask_b32_e32 v61, v61, v71, vcc
	v_cndmask_b32_e32 v60, v60, v70, vcc
	v_lshl_add_u64 v[56:57], s[2:3], 4, v[64:65]
	global_store_dwordx4 v[56:57], v[52:55], off
	s_nop 1
	v_add_u32_e32 v52, s12, v76
	v_ashrrev_i32_e32 v53, 31, v52
	v_lshl_add_u64 v[54:55], v[52:53], 4, v[68:69]
	global_store_dwordx4 v[54:55], v[48:51], off
	s_nop 1
	v_add_u32_e32 v48, s2, v52
	v_ashrrev_i32_e32 v49, 31, v48
	;; [unrolled: 5-line block ×3, first 2 shown]
	v_lshl_add_u64 v[42:43], v[40:41], 4, v[68:69]
	v_add_u32_e32 v40, s2, v40
	v_ashrrev_i32_e32 v41, 31, v40
	global_store_dwordx4 v[42:43], v[44:47], off
	v_lshl_add_u64 v[42:43], v[40:41], 4, v[68:69]
	global_store_dwordx4 v[42:43], v[32:35], off
	s_nop 1
	v_add_u32_e32 v32, s2, v40
	v_ashrrev_i32_e32 v33, 31, v32
	v_lshl_add_u64 v[34:35], v[32:33], 4, v[68:69]
	global_store_dwordx4 v[34:35], v[28:31], off
	s_nop 1
	v_add_u32_e32 v28, s2, v32
	v_ashrrev_i32_e32 v29, 31, v28
	;; [unrolled: 5-line block ×3, first 2 shown]
	v_lshl_add_u64 v[22:23], v[20:21], 4, v[68:69]
	v_add_u32_e32 v20, s2, v20
	v_ashrrev_i32_e32 v21, 31, v20
	global_store_dwordx4 v[22:23], v[36:39], off
	v_lshl_add_u64 v[22:23], v[20:21], 4, v[68:69]
	v_add_u32_e32 v20, s2, v20
	v_ashrrev_i32_e32 v21, 31, v20
	global_store_dwordx4 v[22:23], v[24:27], off
	v_lshl_add_u64 v[22:23], v[20:21], 4, v[68:69]
	global_store_dwordx4 v[22:23], v[16:19], off
	s_nop 1
	v_add_u32_e32 v16, s2, v20
	v_ashrrev_i32_e32 v17, 31, v16
	v_lshl_add_u64 v[18:19], v[16:17], 4, v[68:69]
	global_store_dwordx4 v[18:19], v[12:15], off
	s_nop 1
	v_add_u32_e32 v12, s2, v16
	v_ashrrev_i32_e32 v13, 31, v12
	;; [unrolled: 5-line block ×5, first 2 shown]
	v_lshl_add_u64 v[0:1], v[0:1], 4, v[68:69]
	global_store_dwordx4 v[0:1], v[60:63], off
.LBB30_337:
	s_endpgm
	.section	.rodata,"a",@progbits
	.p2align	6, 0x0
	.amdhsa_kernel _ZN9rocsolver6v33100L18getf2_small_kernelILi16E19rocblas_complex_numIdEiiPS3_EEvT1_T3_lS5_lPS5_llPT2_S5_S5_S7_l
		.amdhsa_group_segment_fixed_size 0
		.amdhsa_private_segment_fixed_size 0
		.amdhsa_kernarg_size 352
		.amdhsa_user_sgpr_count 2
		.amdhsa_user_sgpr_dispatch_ptr 0
		.amdhsa_user_sgpr_queue_ptr 0
		.amdhsa_user_sgpr_kernarg_segment_ptr 1
		.amdhsa_user_sgpr_dispatch_id 0
		.amdhsa_user_sgpr_kernarg_preload_length 0
		.amdhsa_user_sgpr_kernarg_preload_offset 0
		.amdhsa_user_sgpr_private_segment_size 0
		.amdhsa_uses_dynamic_stack 0
		.amdhsa_enable_private_segment 0
		.amdhsa_system_sgpr_workgroup_id_x 1
		.amdhsa_system_sgpr_workgroup_id_y 1
		.amdhsa_system_sgpr_workgroup_id_z 0
		.amdhsa_system_sgpr_workgroup_info 0
		.amdhsa_system_vgpr_workitem_id 1
		.amdhsa_next_free_vgpr 93
		.amdhsa_next_free_sgpr 24
		.amdhsa_accum_offset 96
		.amdhsa_reserve_vcc 1
		.amdhsa_float_round_mode_32 0
		.amdhsa_float_round_mode_16_64 0
		.amdhsa_float_denorm_mode_32 3
		.amdhsa_float_denorm_mode_16_64 3
		.amdhsa_dx10_clamp 1
		.amdhsa_ieee_mode 1
		.amdhsa_fp16_overflow 0
		.amdhsa_tg_split 0
		.amdhsa_exception_fp_ieee_invalid_op 0
		.amdhsa_exception_fp_denorm_src 0
		.amdhsa_exception_fp_ieee_div_zero 0
		.amdhsa_exception_fp_ieee_overflow 0
		.amdhsa_exception_fp_ieee_underflow 0
		.amdhsa_exception_fp_ieee_inexact 0
		.amdhsa_exception_int_div_zero 0
	.end_amdhsa_kernel
	.section	.text._ZN9rocsolver6v33100L18getf2_small_kernelILi16E19rocblas_complex_numIdEiiPS3_EEvT1_T3_lS5_lPS5_llPT2_S5_S5_S7_l,"axG",@progbits,_ZN9rocsolver6v33100L18getf2_small_kernelILi16E19rocblas_complex_numIdEiiPS3_EEvT1_T3_lS5_lPS5_llPT2_S5_S5_S7_l,comdat
.Lfunc_end30:
	.size	_ZN9rocsolver6v33100L18getf2_small_kernelILi16E19rocblas_complex_numIdEiiPS3_EEvT1_T3_lS5_lPS5_llPT2_S5_S5_S7_l, .Lfunc_end30-_ZN9rocsolver6v33100L18getf2_small_kernelILi16E19rocblas_complex_numIdEiiPS3_EEvT1_T3_lS5_lPS5_llPT2_S5_S5_S7_l
                                        ; -- End function
	.set _ZN9rocsolver6v33100L18getf2_small_kernelILi16E19rocblas_complex_numIdEiiPS3_EEvT1_T3_lS5_lPS5_llPT2_S5_S5_S7_l.num_vgpr, 93
	.set _ZN9rocsolver6v33100L18getf2_small_kernelILi16E19rocblas_complex_numIdEiiPS3_EEvT1_T3_lS5_lPS5_llPT2_S5_S5_S7_l.num_agpr, 0
	.set _ZN9rocsolver6v33100L18getf2_small_kernelILi16E19rocblas_complex_numIdEiiPS3_EEvT1_T3_lS5_lPS5_llPT2_S5_S5_S7_l.numbered_sgpr, 24
	.set _ZN9rocsolver6v33100L18getf2_small_kernelILi16E19rocblas_complex_numIdEiiPS3_EEvT1_T3_lS5_lPS5_llPT2_S5_S5_S7_l.num_named_barrier, 0
	.set _ZN9rocsolver6v33100L18getf2_small_kernelILi16E19rocblas_complex_numIdEiiPS3_EEvT1_T3_lS5_lPS5_llPT2_S5_S5_S7_l.private_seg_size, 0
	.set _ZN9rocsolver6v33100L18getf2_small_kernelILi16E19rocblas_complex_numIdEiiPS3_EEvT1_T3_lS5_lPS5_llPT2_S5_S5_S7_l.uses_vcc, 1
	.set _ZN9rocsolver6v33100L18getf2_small_kernelILi16E19rocblas_complex_numIdEiiPS3_EEvT1_T3_lS5_lPS5_llPT2_S5_S5_S7_l.uses_flat_scratch, 0
	.set _ZN9rocsolver6v33100L18getf2_small_kernelILi16E19rocblas_complex_numIdEiiPS3_EEvT1_T3_lS5_lPS5_llPT2_S5_S5_S7_l.has_dyn_sized_stack, 0
	.set _ZN9rocsolver6v33100L18getf2_small_kernelILi16E19rocblas_complex_numIdEiiPS3_EEvT1_T3_lS5_lPS5_llPT2_S5_S5_S7_l.has_recursion, 0
	.set _ZN9rocsolver6v33100L18getf2_small_kernelILi16E19rocblas_complex_numIdEiiPS3_EEvT1_T3_lS5_lPS5_llPT2_S5_S5_S7_l.has_indirect_call, 0
	.section	.AMDGPU.csdata,"",@progbits
; Kernel info:
; codeLenInByte = 23628
; TotalNumSgprs: 30
; NumVgprs: 93
; NumAgprs: 0
; TotalNumVgprs: 93
; ScratchSize: 0
; MemoryBound: 0
; FloatMode: 240
; IeeeMode: 1
; LDSByteSize: 0 bytes/workgroup (compile time only)
; SGPRBlocks: 3
; VGPRBlocks: 11
; NumSGPRsForWavesPerEU: 30
; NumVGPRsForWavesPerEU: 93
; AccumOffset: 96
; Occupancy: 5
; WaveLimiterHint : 0
; COMPUTE_PGM_RSRC2:SCRATCH_EN: 0
; COMPUTE_PGM_RSRC2:USER_SGPR: 2
; COMPUTE_PGM_RSRC2:TRAP_HANDLER: 0
; COMPUTE_PGM_RSRC2:TGID_X_EN: 1
; COMPUTE_PGM_RSRC2:TGID_Y_EN: 1
; COMPUTE_PGM_RSRC2:TGID_Z_EN: 0
; COMPUTE_PGM_RSRC2:TIDIG_COMP_CNT: 1
; COMPUTE_PGM_RSRC3_GFX90A:ACCUM_OFFSET: 23
; COMPUTE_PGM_RSRC3_GFX90A:TG_SPLIT: 0
	.section	.text._ZN9rocsolver6v33100L23getf2_npvt_small_kernelILi16E19rocblas_complex_numIdEiiPS3_EEvT1_T3_lS5_lPT2_S5_S5_,"axG",@progbits,_ZN9rocsolver6v33100L23getf2_npvt_small_kernelILi16E19rocblas_complex_numIdEiiPS3_EEvT1_T3_lS5_lPT2_S5_S5_,comdat
	.globl	_ZN9rocsolver6v33100L23getf2_npvt_small_kernelILi16E19rocblas_complex_numIdEiiPS3_EEvT1_T3_lS5_lPT2_S5_S5_ ; -- Begin function _ZN9rocsolver6v33100L23getf2_npvt_small_kernelILi16E19rocblas_complex_numIdEiiPS3_EEvT1_T3_lS5_lPT2_S5_S5_
	.p2align	8
	.type	_ZN9rocsolver6v33100L23getf2_npvt_small_kernelILi16E19rocblas_complex_numIdEiiPS3_EEvT1_T3_lS5_lPT2_S5_S5_,@function
_ZN9rocsolver6v33100L23getf2_npvt_small_kernelILi16E19rocblas_complex_numIdEiiPS3_EEvT1_T3_lS5_lPT2_S5_S5_: ; @_ZN9rocsolver6v33100L23getf2_npvt_small_kernelILi16E19rocblas_complex_numIdEiiPS3_EEvT1_T3_lS5_lPT2_S5_S5_
; %bb.0:
	s_load_dword s2, s[0:1], 0x44
	s_load_dwordx2 s[8:9], s[0:1], 0x30
	v_bfe_u32 v64, v0, 10, 10
	s_waitcnt lgkmcnt(0)
	s_lshr_b32 s10, s2, 16
	s_mul_i32 s3, s3, s10
	v_add_u32_e32 v150, s3, v64
	v_cmp_gt_i32_e32 vcc, s8, v150
	s_and_saveexec_b64 s[2:3], vcc
	s_cbranch_execz .LBB31_147
; %bb.1:
	s_load_dwordx4 s[12:15], s[0:1], 0x8
	s_load_dword s2, s[0:1], 0x18
	s_load_dwordx4 s[4:7], s[0:1], 0x20
	v_and_b32_e32 v162, 0x3ff, v0
	v_ashrrev_i32_e32 v151, 31, v150
	s_waitcnt lgkmcnt(0)
	v_mov_b32_e32 v2, s12
	v_mov_b32_e32 v3, s13
	v_mad_u64_u32 v[0:1], s[0:1], s4, v150, 0
	v_mul_lo_u32 v4, s5, v150
	v_mul_lo_u32 v5, s4, v151
	s_add_i32 s0, s2, s2
	v_add3_u32 v1, v1, v5, v4
	v_add_u32_e32 v8, s0, v162
	v_lshl_add_u64 v[0:1], v[0:1], 4, v[2:3]
	v_add_u32_e32 v18, s2, v8
	v_lshl_add_u64 v[16:17], s[14:15], 4, v[0:1]
	v_ashrrev_i32_e32 v19, 31, v18
	v_lshl_add_u64 v[134:135], v[18:19], 4, v[16:17]
	v_add_u32_e32 v18, s2, v18
	v_ashrrev_i32_e32 v19, 31, v18
	v_lshl_add_u64 v[136:137], v[18:19], 4, v[16:17]
	v_add_u32_e32 v18, s2, v18
	;; [unrolled: 3-line block ×11, first 2 shown]
	v_ashrrev_i32_e32 v19, 31, v18
	v_lshlrev_b32_e32 v0, 4, v162
	v_mov_b32_e32 v1, 0
	v_ashrrev_i32_e32 v9, 31, v8
	v_lshl_add_u64 v[158:159], v[18:19], 4, v[16:17]
	v_add_u32_e32 v18, s2, v18
	s_ashr_i32 s3, s2, 31
	v_lshl_add_u64 v[128:129], v[16:17], 0, v[0:1]
	v_lshl_add_u64 v[132:133], v[8:9], 4, v[16:17]
	v_ashrrev_i32_e32 v19, 31, v18
	v_lshl_add_u64 v[130:131], s[2:3], 4, v[128:129]
	global_load_dwordx4 v[4:7], v[128:129], off
	global_load_dwordx4 v[0:3], v[130:131], off
	;; [unrolled: 1-line block ×4, first 2 shown]
	v_lshl_add_u64 v[160:161], v[18:19], 4, v[16:17]
	global_load_dwordx4 v[56:59], v[136:137], off
	global_load_dwordx4 v[52:55], v[138:139], off
	;; [unrolled: 1-line block ×12, first 2 shown]
	s_lshl_b32 s0, s10, 8
	s_add_i32 s0, s0, 0
	v_lshl_add_u32 v164, v64, 8, 0
	v_lshl_add_u32 v163, v64, 4, s0
	v_cmp_ne_u32_e64 s[2:3], 0, v162
	v_cmp_eq_u32_e64 s[0:1], 0, v162
	s_and_saveexec_b64 s[10:11], s[0:1]
	s_cbranch_execz .LBB31_8
; %bb.2:
	s_waitcnt vmcnt(15)
	ds_write2_b64 v163, v[4:5], v[6:7] offset1:1
	s_waitcnt vmcnt(14)
	ds_write2_b64 v164, v[0:1], v[2:3] offset0:2 offset1:3
	s_waitcnt vmcnt(13)
	ds_write2_b64 v164, v[12:13], v[14:15] offset0:4 offset1:5
	;; [unrolled: 2-line block ×15, first 2 shown]
	ds_read2_b64 v[64:67], v163 offset1:1
	s_waitcnt lgkmcnt(0)
	v_cmp_neq_f64_e32 vcc, 0, v[64:65]
	v_cmp_neq_f64_e64 s[4:5], 0, v[66:67]
	s_or_b64 s[4:5], vcc, s[4:5]
	s_and_b64 exec, exec, s[4:5]
	s_cbranch_execz .LBB31_8
; %bb.3:
	v_cmp_ngt_f64_e64 s[4:5], |v[64:65]|, |v[66:67]|
                                        ; implicit-def: $vgpr68_vgpr69
	s_and_saveexec_b64 s[12:13], s[4:5]
	s_xor_b64 s[4:5], exec, s[12:13]
                                        ; implicit-def: $vgpr70_vgpr71
	s_cbranch_execz .LBB31_5
; %bb.4:
	v_div_scale_f64 v[68:69], s[12:13], v[66:67], v[66:67], v[64:65]
	v_rcp_f64_e32 v[70:71], v[68:69]
	v_div_scale_f64 v[72:73], vcc, v[64:65], v[66:67], v[64:65]
	v_fma_f64 v[74:75], -v[68:69], v[70:71], 1.0
	v_fmac_f64_e32 v[70:71], v[70:71], v[74:75]
	v_fma_f64 v[74:75], -v[68:69], v[70:71], 1.0
	v_fmac_f64_e32 v[70:71], v[70:71], v[74:75]
	v_mul_f64 v[74:75], v[72:73], v[70:71]
	v_fma_f64 v[68:69], -v[68:69], v[74:75], v[72:73]
	v_div_fmas_f64 v[68:69], v[68:69], v[70:71], v[74:75]
	v_div_fixup_f64 v[68:69], v[68:69], v[66:67], v[64:65]
	v_fmac_f64_e32 v[66:67], v[64:65], v[68:69]
	v_div_scale_f64 v[64:65], s[12:13], v[66:67], v[66:67], 1.0
	v_rcp_f64_e32 v[70:71], v[64:65]
	s_nop 0
	v_fma_f64 v[72:73], -v[64:65], v[70:71], 1.0
	v_fmac_f64_e32 v[70:71], v[70:71], v[72:73]
	v_fma_f64 v[72:73], -v[64:65], v[70:71], 1.0
	v_fmac_f64_e32 v[70:71], v[70:71], v[72:73]
	v_div_scale_f64 v[72:73], vcc, 1.0, v[66:67], 1.0
	v_mul_f64 v[74:75], v[72:73], v[70:71]
	v_fma_f64 v[64:65], -v[64:65], v[74:75], v[72:73]
	s_nop 1
	v_div_fmas_f64 v[64:65], v[64:65], v[70:71], v[74:75]
	v_div_fixup_f64 v[70:71], v[64:65], v[66:67], 1.0
	v_mul_f64 v[68:69], v[68:69], v[70:71]
	v_xor_b32_e32 v71, 0x80000000, v71
                                        ; implicit-def: $vgpr64_vgpr65
.LBB31_5:
	s_andn2_saveexec_b64 s[4:5], s[4:5]
	s_cbranch_execz .LBB31_7
; %bb.6:
	v_div_scale_f64 v[68:69], s[12:13], v[64:65], v[64:65], v[66:67]
	v_rcp_f64_e32 v[70:71], v[68:69]
	v_div_scale_f64 v[72:73], vcc, v[66:67], v[64:65], v[66:67]
	v_fma_f64 v[74:75], -v[68:69], v[70:71], 1.0
	v_fmac_f64_e32 v[70:71], v[70:71], v[74:75]
	v_fma_f64 v[74:75], -v[68:69], v[70:71], 1.0
	v_fmac_f64_e32 v[70:71], v[70:71], v[74:75]
	v_mul_f64 v[74:75], v[72:73], v[70:71]
	v_fma_f64 v[68:69], -v[68:69], v[74:75], v[72:73]
	v_div_fmas_f64 v[68:69], v[68:69], v[70:71], v[74:75]
	v_div_fixup_f64 v[70:71], v[68:69], v[64:65], v[66:67]
	v_fmac_f64_e32 v[64:65], v[66:67], v[70:71]
	v_div_scale_f64 v[66:67], s[12:13], v[64:65], v[64:65], 1.0
	v_rcp_f64_e32 v[68:69], v[66:67]
	s_nop 0
	v_fma_f64 v[72:73], -v[66:67], v[68:69], 1.0
	v_fmac_f64_e32 v[68:69], v[68:69], v[72:73]
	v_fma_f64 v[72:73], -v[66:67], v[68:69], 1.0
	v_fmac_f64_e32 v[68:69], v[68:69], v[72:73]
	v_div_scale_f64 v[72:73], vcc, 1.0, v[64:65], 1.0
	v_mul_f64 v[74:75], v[72:73], v[68:69]
	v_fma_f64 v[66:67], -v[66:67], v[74:75], v[72:73]
	s_nop 1
	v_div_fmas_f64 v[66:67], v[66:67], v[68:69], v[74:75]
	v_div_fixup_f64 v[68:69], v[66:67], v[64:65], 1.0
	v_mul_f64 v[70:71], v[70:71], -v[68:69]
.LBB31_7:
	s_or_b64 exec, exec, s[4:5]
	ds_write2_b64 v163, v[68:69], v[70:71] offset1:1
.LBB31_8:
	s_or_b64 exec, exec, s[10:11]
	s_waitcnt lgkmcnt(0)
	s_barrier
	ds_read2_b64 v[64:67], v163 offset1:1
	s_and_saveexec_b64 s[4:5], s[2:3]
	s_cbranch_execz .LBB31_10
; %bb.9:
	ds_read2_b64 v[70:73], v164 offset0:2 offset1:3
	ds_read2_b64 v[74:77], v164 offset0:4 offset1:5
	s_waitcnt vmcnt(15) lgkmcnt(2)
	v_mul_f64 v[68:69], v[64:65], v[6:7]
	v_fmac_f64_e32 v[68:69], v[66:67], v[4:5]
	v_mul_f64 v[6:7], v[66:67], v[6:7]
	v_fma_f64 v[4:5], v[64:65], v[4:5], -v[6:7]
	s_waitcnt lgkmcnt(1)
	v_mul_f64 v[6:7], v[72:73], v[68:69]
	v_fma_f64 v[6:7], v[70:71], v[4:5], -v[6:7]
	v_mul_f64 v[70:71], v[70:71], v[68:69]
	v_fmac_f64_e32 v[70:71], v[72:73], v[4:5]
	s_waitcnt vmcnt(14)
	v_add_f64 v[2:3], v[2:3], -v[70:71]
	ds_read2_b64 v[70:73], v164 offset0:6 offset1:7
	v_add_f64 v[0:1], v[0:1], -v[6:7]
	s_waitcnt lgkmcnt(1)
	v_mul_f64 v[6:7], v[76:77], v[68:69]
	v_fma_f64 v[6:7], v[74:75], v[4:5], -v[6:7]
	v_mul_f64 v[74:75], v[74:75], v[68:69]
	v_fmac_f64_e32 v[74:75], v[76:77], v[4:5]
	s_waitcnt vmcnt(13)
	v_add_f64 v[12:13], v[12:13], -v[6:7]
	v_add_f64 v[14:15], v[14:15], -v[74:75]
	ds_read2_b64 v[74:77], v164 offset0:8 offset1:9
	s_waitcnt lgkmcnt(1)
	v_mul_f64 v[6:7], v[72:73], v[68:69]
	v_fma_f64 v[6:7], v[70:71], v[4:5], -v[6:7]
	v_mul_f64 v[70:71], v[70:71], v[68:69]
	v_fmac_f64_e32 v[70:71], v[72:73], v[4:5]
	s_waitcnt vmcnt(12)
	v_add_f64 v[10:11], v[10:11], -v[70:71]
	ds_read2_b64 v[70:73], v164 offset0:10 offset1:11
	v_add_f64 v[8:9], v[8:9], -v[6:7]
	s_waitcnt lgkmcnt(1)
	v_mul_f64 v[6:7], v[76:77], v[68:69]
	v_fma_f64 v[6:7], v[74:75], v[4:5], -v[6:7]
	v_mul_f64 v[74:75], v[74:75], v[68:69]
	v_fmac_f64_e32 v[74:75], v[76:77], v[4:5]
	s_waitcnt vmcnt(11)
	v_add_f64 v[56:57], v[56:57], -v[6:7]
	v_add_f64 v[58:59], v[58:59], -v[74:75]
	ds_read2_b64 v[74:77], v164 offset0:12 offset1:13
	;; [unrolled: 18-line block ×6, first 2 shown]
	s_waitcnt lgkmcnt(1)
	v_mul_f64 v[6:7], v[72:73], v[68:69]
	v_fma_f64 v[6:7], v[70:71], v[4:5], -v[6:7]
	v_mul_f64 v[70:71], v[70:71], v[68:69]
	v_fmac_f64_e32 v[70:71], v[72:73], v[4:5]
	s_waitcnt vmcnt(2)
	v_add_f64 v[22:23], v[22:23], -v[70:71]
	ds_read2_b64 v[70:73], v164 offset0:30 offset1:31
	v_add_f64 v[20:21], v[20:21], -v[6:7]
	s_waitcnt lgkmcnt(1)
	v_mul_f64 v[6:7], v[76:77], v[68:69]
	v_fma_f64 v[6:7], v[74:75], v[4:5], -v[6:7]
	s_waitcnt vmcnt(1)
	v_add_f64 v[16:17], v[16:17], -v[6:7]
	s_waitcnt lgkmcnt(0)
	v_mul_f64 v[6:7], v[72:73], v[68:69]
	v_mul_f64 v[74:75], v[74:75], v[68:69]
	v_fma_f64 v[6:7], v[70:71], v[4:5], -v[6:7]
	v_mul_f64 v[70:71], v[70:71], v[68:69]
	v_fmac_f64_e32 v[74:75], v[76:77], v[4:5]
	v_fmac_f64_e32 v[70:71], v[72:73], v[4:5]
	v_add_f64 v[18:19], v[18:19], -v[74:75]
	s_waitcnt vmcnt(0)
	v_add_f64 v[60:61], v[60:61], -v[6:7]
	v_add_f64 v[62:63], v[62:63], -v[70:71]
	v_mov_b64_e32 v[6:7], v[68:69]
.LBB31_10:
	s_or_b64 exec, exec, s[4:5]
	v_cmp_eq_u32_e32 vcc, 1, v162
	s_waitcnt lgkmcnt(0)
	s_barrier
	s_and_saveexec_b64 s[4:5], vcc
	s_cbranch_execz .LBB31_17
; %bb.11:
	s_waitcnt vmcnt(14)
	ds_write2_b64 v163, v[0:1], v[2:3] offset1:1
	s_waitcnt vmcnt(13)
	ds_write2_b64 v164, v[12:13], v[14:15] offset0:4 offset1:5
	s_waitcnt vmcnt(12)
	ds_write2_b64 v164, v[8:9], v[10:11] offset0:6 offset1:7
	;; [unrolled: 2-line block ×14, first 2 shown]
	ds_read2_b64 v[68:71], v163 offset1:1
	s_waitcnt lgkmcnt(0)
	v_cmp_neq_f64_e32 vcc, 0, v[68:69]
	v_cmp_neq_f64_e64 s[2:3], 0, v[70:71]
	s_or_b64 s[2:3], vcc, s[2:3]
	s_and_b64 exec, exec, s[2:3]
	s_cbranch_execz .LBB31_17
; %bb.12:
	v_cmp_ngt_f64_e64 s[2:3], |v[68:69]|, |v[70:71]|
                                        ; implicit-def: $vgpr72_vgpr73
	s_and_saveexec_b64 s[10:11], s[2:3]
	s_xor_b64 s[2:3], exec, s[10:11]
                                        ; implicit-def: $vgpr74_vgpr75
	s_cbranch_execz .LBB31_14
; %bb.13:
	v_div_scale_f64 v[72:73], s[10:11], v[70:71], v[70:71], v[68:69]
	v_rcp_f64_e32 v[74:75], v[72:73]
	v_div_scale_f64 v[76:77], vcc, v[68:69], v[70:71], v[68:69]
	v_fma_f64 v[78:79], -v[72:73], v[74:75], 1.0
	v_fmac_f64_e32 v[74:75], v[74:75], v[78:79]
	v_fma_f64 v[78:79], -v[72:73], v[74:75], 1.0
	v_fmac_f64_e32 v[74:75], v[74:75], v[78:79]
	v_mul_f64 v[78:79], v[76:77], v[74:75]
	v_fma_f64 v[72:73], -v[72:73], v[78:79], v[76:77]
	v_div_fmas_f64 v[72:73], v[72:73], v[74:75], v[78:79]
	v_div_fixup_f64 v[72:73], v[72:73], v[70:71], v[68:69]
	v_fmac_f64_e32 v[70:71], v[68:69], v[72:73]
	v_div_scale_f64 v[68:69], s[10:11], v[70:71], v[70:71], 1.0
	v_rcp_f64_e32 v[74:75], v[68:69]
	s_nop 0
	v_fma_f64 v[76:77], -v[68:69], v[74:75], 1.0
	v_fmac_f64_e32 v[74:75], v[74:75], v[76:77]
	v_fma_f64 v[76:77], -v[68:69], v[74:75], 1.0
	v_fmac_f64_e32 v[74:75], v[74:75], v[76:77]
	v_div_scale_f64 v[76:77], vcc, 1.0, v[70:71], 1.0
	v_mul_f64 v[78:79], v[76:77], v[74:75]
	v_fma_f64 v[68:69], -v[68:69], v[78:79], v[76:77]
	s_nop 1
	v_div_fmas_f64 v[68:69], v[68:69], v[74:75], v[78:79]
	v_div_fixup_f64 v[74:75], v[68:69], v[70:71], 1.0
	v_mul_f64 v[72:73], v[72:73], v[74:75]
	v_xor_b32_e32 v75, 0x80000000, v75
                                        ; implicit-def: $vgpr68_vgpr69
.LBB31_14:
	s_andn2_saveexec_b64 s[2:3], s[2:3]
	s_cbranch_execz .LBB31_16
; %bb.15:
	v_div_scale_f64 v[72:73], s[10:11], v[68:69], v[68:69], v[70:71]
	v_rcp_f64_e32 v[74:75], v[72:73]
	v_div_scale_f64 v[76:77], vcc, v[70:71], v[68:69], v[70:71]
	v_fma_f64 v[78:79], -v[72:73], v[74:75], 1.0
	v_fmac_f64_e32 v[74:75], v[74:75], v[78:79]
	v_fma_f64 v[78:79], -v[72:73], v[74:75], 1.0
	v_fmac_f64_e32 v[74:75], v[74:75], v[78:79]
	v_mul_f64 v[78:79], v[76:77], v[74:75]
	v_fma_f64 v[72:73], -v[72:73], v[78:79], v[76:77]
	v_div_fmas_f64 v[72:73], v[72:73], v[74:75], v[78:79]
	v_div_fixup_f64 v[74:75], v[72:73], v[68:69], v[70:71]
	v_fmac_f64_e32 v[68:69], v[70:71], v[74:75]
	v_div_scale_f64 v[70:71], s[10:11], v[68:69], v[68:69], 1.0
	v_rcp_f64_e32 v[72:73], v[70:71]
	s_nop 0
	v_fma_f64 v[76:77], -v[70:71], v[72:73], 1.0
	v_fmac_f64_e32 v[72:73], v[72:73], v[76:77]
	v_fma_f64 v[76:77], -v[70:71], v[72:73], 1.0
	v_fmac_f64_e32 v[72:73], v[72:73], v[76:77]
	v_div_scale_f64 v[76:77], vcc, 1.0, v[68:69], 1.0
	v_mul_f64 v[78:79], v[76:77], v[72:73]
	v_fma_f64 v[70:71], -v[70:71], v[78:79], v[76:77]
	s_nop 1
	v_div_fmas_f64 v[70:71], v[70:71], v[72:73], v[78:79]
	v_div_fixup_f64 v[72:73], v[70:71], v[68:69], 1.0
	v_mul_f64 v[74:75], v[74:75], -v[72:73]
.LBB31_16:
	s_or_b64 exec, exec, s[2:3]
	ds_write2_b64 v163, v[72:73], v[74:75] offset1:1
.LBB31_17:
	s_or_b64 exec, exec, s[4:5]
	s_waitcnt lgkmcnt(0)
	s_barrier
	ds_read2_b64 v[68:71], v163 offset1:1
	v_cmp_lt_u32_e32 vcc, 1, v162
	s_and_saveexec_b64 s[2:3], vcc
	s_cbranch_execz .LBB31_19
; %bb.18:
	ds_read2_b64 v[74:77], v164 offset0:4 offset1:5
	ds_read2_b64 v[78:81], v164 offset0:6 offset1:7
	s_waitcnt vmcnt(14) lgkmcnt(2)
	v_mul_f64 v[72:73], v[68:69], v[2:3]
	v_fmac_f64_e32 v[72:73], v[70:71], v[0:1]
	v_mul_f64 v[2:3], v[70:71], v[2:3]
	v_fma_f64 v[0:1], v[68:69], v[0:1], -v[2:3]
	s_waitcnt lgkmcnt(1)
	v_mul_f64 v[2:3], v[76:77], v[72:73]
	v_fma_f64 v[2:3], v[74:75], v[0:1], -v[2:3]
	v_mul_f64 v[74:75], v[74:75], v[72:73]
	v_fmac_f64_e32 v[74:75], v[76:77], v[0:1]
	s_waitcnt vmcnt(13)
	v_add_f64 v[12:13], v[12:13], -v[2:3]
	v_add_f64 v[14:15], v[14:15], -v[74:75]
	s_waitcnt lgkmcnt(0)
	v_mul_f64 v[2:3], v[80:81], v[72:73]
	ds_read2_b64 v[74:77], v164 offset0:8 offset1:9
	v_fma_f64 v[2:3], v[78:79], v[0:1], -v[2:3]
	v_mul_f64 v[78:79], v[78:79], v[72:73]
	v_fmac_f64_e32 v[78:79], v[80:81], v[0:1]
	s_waitcnt vmcnt(12)
	v_add_f64 v[10:11], v[10:11], -v[78:79]
	ds_read2_b64 v[78:81], v164 offset0:10 offset1:11
	v_add_f64 v[8:9], v[8:9], -v[2:3]
	s_waitcnt lgkmcnt(1)
	v_mul_f64 v[2:3], v[76:77], v[72:73]
	v_fma_f64 v[2:3], v[74:75], v[0:1], -v[2:3]
	v_mul_f64 v[74:75], v[74:75], v[72:73]
	v_fmac_f64_e32 v[74:75], v[76:77], v[0:1]
	s_waitcnt vmcnt(11)
	v_add_f64 v[56:57], v[56:57], -v[2:3]
	v_add_f64 v[58:59], v[58:59], -v[74:75]
	s_waitcnt lgkmcnt(0)
	v_mul_f64 v[2:3], v[80:81], v[72:73]
	ds_read2_b64 v[74:77], v164 offset0:12 offset1:13
	v_fma_f64 v[2:3], v[78:79], v[0:1], -v[2:3]
	v_mul_f64 v[78:79], v[78:79], v[72:73]
	v_fmac_f64_e32 v[78:79], v[80:81], v[0:1]
	s_waitcnt vmcnt(10)
	v_add_f64 v[54:55], v[54:55], -v[78:79]
	ds_read2_b64 v[78:81], v164 offset0:14 offset1:15
	v_add_f64 v[52:53], v[52:53], -v[2:3]
	;; [unrolled: 18-line block ×6, first 2 shown]
	s_waitcnt lgkmcnt(1)
	v_mul_f64 v[2:3], v[76:77], v[72:73]
	v_fma_f64 v[2:3], v[74:75], v[0:1], -v[2:3]
	v_mul_f64 v[74:75], v[74:75], v[72:73]
	v_fmac_f64_e32 v[74:75], v[76:77], v[0:1]
	s_waitcnt vmcnt(1)
	v_add_f64 v[16:17], v[16:17], -v[2:3]
	v_add_f64 v[18:19], v[18:19], -v[74:75]
	s_waitcnt lgkmcnt(0)
	v_mul_f64 v[2:3], v[80:81], v[72:73]
	v_mul_f64 v[74:75], v[78:79], v[72:73]
	v_fma_f64 v[2:3], v[78:79], v[0:1], -v[2:3]
	v_fmac_f64_e32 v[74:75], v[80:81], v[0:1]
	s_waitcnt vmcnt(0)
	v_add_f64 v[60:61], v[60:61], -v[2:3]
	v_add_f64 v[62:63], v[62:63], -v[74:75]
	v_mov_b64_e32 v[2:3], v[72:73]
.LBB31_19:
	s_or_b64 exec, exec, s[2:3]
	v_cmp_eq_u32_e32 vcc, 2, v162
	s_waitcnt lgkmcnt(0)
	s_barrier
	s_and_saveexec_b64 s[4:5], vcc
	s_cbranch_execz .LBB31_26
; %bb.20:
	s_waitcnt vmcnt(13)
	ds_write2_b64 v163, v[12:13], v[14:15] offset1:1
	s_waitcnt vmcnt(12)
	ds_write2_b64 v164, v[8:9], v[10:11] offset0:6 offset1:7
	s_waitcnt vmcnt(11)
	ds_write2_b64 v164, v[56:57], v[58:59] offset0:8 offset1:9
	;; [unrolled: 2-line block ×13, first 2 shown]
	ds_read2_b64 v[72:75], v163 offset1:1
	s_waitcnt lgkmcnt(0)
	v_cmp_neq_f64_e32 vcc, 0, v[72:73]
	v_cmp_neq_f64_e64 s[2:3], 0, v[74:75]
	s_or_b64 s[2:3], vcc, s[2:3]
	s_and_b64 exec, exec, s[2:3]
	s_cbranch_execz .LBB31_26
; %bb.21:
	v_cmp_ngt_f64_e64 s[2:3], |v[72:73]|, |v[74:75]|
                                        ; implicit-def: $vgpr76_vgpr77
	s_and_saveexec_b64 s[10:11], s[2:3]
	s_xor_b64 s[2:3], exec, s[10:11]
                                        ; implicit-def: $vgpr78_vgpr79
	s_cbranch_execz .LBB31_23
; %bb.22:
	v_div_scale_f64 v[76:77], s[10:11], v[74:75], v[74:75], v[72:73]
	v_rcp_f64_e32 v[78:79], v[76:77]
	v_div_scale_f64 v[80:81], vcc, v[72:73], v[74:75], v[72:73]
	v_fma_f64 v[82:83], -v[76:77], v[78:79], 1.0
	v_fmac_f64_e32 v[78:79], v[78:79], v[82:83]
	v_fma_f64 v[82:83], -v[76:77], v[78:79], 1.0
	v_fmac_f64_e32 v[78:79], v[78:79], v[82:83]
	v_mul_f64 v[82:83], v[80:81], v[78:79]
	v_fma_f64 v[76:77], -v[76:77], v[82:83], v[80:81]
	v_div_fmas_f64 v[76:77], v[76:77], v[78:79], v[82:83]
	v_div_fixup_f64 v[76:77], v[76:77], v[74:75], v[72:73]
	v_fmac_f64_e32 v[74:75], v[72:73], v[76:77]
	v_div_scale_f64 v[72:73], s[10:11], v[74:75], v[74:75], 1.0
	v_rcp_f64_e32 v[78:79], v[72:73]
	s_nop 0
	v_fma_f64 v[80:81], -v[72:73], v[78:79], 1.0
	v_fmac_f64_e32 v[78:79], v[78:79], v[80:81]
	v_fma_f64 v[80:81], -v[72:73], v[78:79], 1.0
	v_fmac_f64_e32 v[78:79], v[78:79], v[80:81]
	v_div_scale_f64 v[80:81], vcc, 1.0, v[74:75], 1.0
	v_mul_f64 v[82:83], v[80:81], v[78:79]
	v_fma_f64 v[72:73], -v[72:73], v[82:83], v[80:81]
	s_nop 1
	v_div_fmas_f64 v[72:73], v[72:73], v[78:79], v[82:83]
	v_div_fixup_f64 v[78:79], v[72:73], v[74:75], 1.0
	v_mul_f64 v[76:77], v[76:77], v[78:79]
	v_xor_b32_e32 v79, 0x80000000, v79
                                        ; implicit-def: $vgpr72_vgpr73
.LBB31_23:
	s_andn2_saveexec_b64 s[2:3], s[2:3]
	s_cbranch_execz .LBB31_25
; %bb.24:
	v_div_scale_f64 v[76:77], s[10:11], v[72:73], v[72:73], v[74:75]
	v_rcp_f64_e32 v[78:79], v[76:77]
	v_div_scale_f64 v[80:81], vcc, v[74:75], v[72:73], v[74:75]
	v_fma_f64 v[82:83], -v[76:77], v[78:79], 1.0
	v_fmac_f64_e32 v[78:79], v[78:79], v[82:83]
	v_fma_f64 v[82:83], -v[76:77], v[78:79], 1.0
	v_fmac_f64_e32 v[78:79], v[78:79], v[82:83]
	v_mul_f64 v[82:83], v[80:81], v[78:79]
	v_fma_f64 v[76:77], -v[76:77], v[82:83], v[80:81]
	v_div_fmas_f64 v[76:77], v[76:77], v[78:79], v[82:83]
	v_div_fixup_f64 v[78:79], v[76:77], v[72:73], v[74:75]
	v_fmac_f64_e32 v[72:73], v[74:75], v[78:79]
	v_div_scale_f64 v[74:75], s[10:11], v[72:73], v[72:73], 1.0
	v_rcp_f64_e32 v[76:77], v[74:75]
	s_nop 0
	v_fma_f64 v[80:81], -v[74:75], v[76:77], 1.0
	v_fmac_f64_e32 v[76:77], v[76:77], v[80:81]
	v_fma_f64 v[80:81], -v[74:75], v[76:77], 1.0
	v_fmac_f64_e32 v[76:77], v[76:77], v[80:81]
	v_div_scale_f64 v[80:81], vcc, 1.0, v[72:73], 1.0
	v_mul_f64 v[82:83], v[80:81], v[76:77]
	v_fma_f64 v[74:75], -v[74:75], v[82:83], v[80:81]
	s_nop 1
	v_div_fmas_f64 v[74:75], v[74:75], v[76:77], v[82:83]
	v_div_fixup_f64 v[76:77], v[74:75], v[72:73], 1.0
	v_mul_f64 v[78:79], v[78:79], -v[76:77]
.LBB31_25:
	s_or_b64 exec, exec, s[2:3]
	ds_write2_b64 v163, v[76:77], v[78:79] offset1:1
.LBB31_26:
	s_or_b64 exec, exec, s[4:5]
	s_waitcnt lgkmcnt(0)
	s_barrier
	ds_read2_b64 v[72:75], v163 offset1:1
	v_cmp_lt_u32_e32 vcc, 2, v162
	s_and_saveexec_b64 s[2:3], vcc
	s_cbranch_execz .LBB31_28
; %bb.27:
	ds_read2_b64 v[76:79], v164 offset0:6 offset1:7
	ds_read2_b64 v[80:83], v164 offset0:8 offset1:9
	s_waitcnt vmcnt(13) lgkmcnt(2)
	v_mul_f64 v[84:85], v[72:73], v[14:15]
	v_fmac_f64_e32 v[84:85], v[74:75], v[12:13]
	v_mul_f64 v[14:15], v[74:75], v[14:15]
	v_fma_f64 v[12:13], v[72:73], v[12:13], -v[14:15]
	s_waitcnt lgkmcnt(1)
	v_mul_f64 v[14:15], v[78:79], v[84:85]
	v_fma_f64 v[14:15], v[76:77], v[12:13], -v[14:15]
	v_mul_f64 v[76:77], v[76:77], v[84:85]
	v_fmac_f64_e32 v[76:77], v[78:79], v[12:13]
	s_waitcnt vmcnt(12)
	v_add_f64 v[10:11], v[10:11], -v[76:77]
	ds_read2_b64 v[76:79], v164 offset0:10 offset1:11
	v_add_f64 v[8:9], v[8:9], -v[14:15]
	s_waitcnt lgkmcnt(1)
	v_mul_f64 v[14:15], v[82:83], v[84:85]
	v_fma_f64 v[14:15], v[80:81], v[12:13], -v[14:15]
	v_mul_f64 v[80:81], v[80:81], v[84:85]
	v_fmac_f64_e32 v[80:81], v[82:83], v[12:13]
	s_waitcnt vmcnt(11)
	v_add_f64 v[56:57], v[56:57], -v[14:15]
	v_add_f64 v[58:59], v[58:59], -v[80:81]
	ds_read2_b64 v[80:83], v164 offset0:12 offset1:13
	s_waitcnt lgkmcnt(1)
	v_mul_f64 v[14:15], v[78:79], v[84:85]
	v_fma_f64 v[14:15], v[76:77], v[12:13], -v[14:15]
	v_mul_f64 v[76:77], v[76:77], v[84:85]
	v_fmac_f64_e32 v[76:77], v[78:79], v[12:13]
	s_waitcnt vmcnt(10)
	v_add_f64 v[54:55], v[54:55], -v[76:77]
	ds_read2_b64 v[76:79], v164 offset0:14 offset1:15
	v_add_f64 v[52:53], v[52:53], -v[14:15]
	s_waitcnt lgkmcnt(1)
	v_mul_f64 v[14:15], v[82:83], v[84:85]
	v_fma_f64 v[14:15], v[80:81], v[12:13], -v[14:15]
	v_mul_f64 v[80:81], v[80:81], v[84:85]
	v_fmac_f64_e32 v[80:81], v[82:83], v[12:13]
	s_waitcnt vmcnt(9)
	v_add_f64 v[48:49], v[48:49], -v[14:15]
	v_add_f64 v[50:51], v[50:51], -v[80:81]
	ds_read2_b64 v[80:83], v164 offset0:16 offset1:17
	;; [unrolled: 18-line block ×5, first 2 shown]
	s_waitcnt lgkmcnt(1)
	v_mul_f64 v[14:15], v[78:79], v[84:85]
	v_fma_f64 v[14:15], v[76:77], v[12:13], -v[14:15]
	v_mul_f64 v[76:77], v[76:77], v[84:85]
	v_fmac_f64_e32 v[76:77], v[78:79], v[12:13]
	s_waitcnt vmcnt(2)
	v_add_f64 v[22:23], v[22:23], -v[76:77]
	ds_read2_b64 v[76:79], v164 offset0:30 offset1:31
	v_add_f64 v[20:21], v[20:21], -v[14:15]
	s_waitcnt lgkmcnt(1)
	v_mul_f64 v[14:15], v[82:83], v[84:85]
	v_fma_f64 v[14:15], v[80:81], v[12:13], -v[14:15]
	s_waitcnt vmcnt(1)
	v_add_f64 v[16:17], v[16:17], -v[14:15]
	s_waitcnt lgkmcnt(0)
	v_mul_f64 v[14:15], v[78:79], v[84:85]
	v_mul_f64 v[80:81], v[80:81], v[84:85]
	v_fma_f64 v[14:15], v[76:77], v[12:13], -v[14:15]
	v_mul_f64 v[76:77], v[76:77], v[84:85]
	v_fmac_f64_e32 v[80:81], v[82:83], v[12:13]
	v_fmac_f64_e32 v[76:77], v[78:79], v[12:13]
	v_add_f64 v[18:19], v[18:19], -v[80:81]
	s_waitcnt vmcnt(0)
	v_add_f64 v[60:61], v[60:61], -v[14:15]
	v_add_f64 v[62:63], v[62:63], -v[76:77]
	v_mov_b64_e32 v[14:15], v[84:85]
.LBB31_28:
	s_or_b64 exec, exec, s[2:3]
	v_cmp_eq_u32_e32 vcc, 3, v162
	s_waitcnt lgkmcnt(0)
	s_barrier
	s_and_saveexec_b64 s[4:5], vcc
	s_cbranch_execz .LBB31_35
; %bb.29:
	s_waitcnt vmcnt(12)
	ds_write2_b64 v163, v[8:9], v[10:11] offset1:1
	s_waitcnt vmcnt(11)
	ds_write2_b64 v164, v[56:57], v[58:59] offset0:8 offset1:9
	s_waitcnt vmcnt(10)
	ds_write2_b64 v164, v[52:53], v[54:55] offset0:10 offset1:11
	;; [unrolled: 2-line block ×12, first 2 shown]
	ds_read2_b64 v[76:79], v163 offset1:1
	s_waitcnt lgkmcnt(0)
	v_cmp_neq_f64_e32 vcc, 0, v[76:77]
	v_cmp_neq_f64_e64 s[2:3], 0, v[78:79]
	s_or_b64 s[2:3], vcc, s[2:3]
	s_and_b64 exec, exec, s[2:3]
	s_cbranch_execz .LBB31_35
; %bb.30:
	v_cmp_ngt_f64_e64 s[2:3], |v[76:77]|, |v[78:79]|
                                        ; implicit-def: $vgpr80_vgpr81
	s_and_saveexec_b64 s[10:11], s[2:3]
	s_xor_b64 s[2:3], exec, s[10:11]
                                        ; implicit-def: $vgpr82_vgpr83
	s_cbranch_execz .LBB31_32
; %bb.31:
	v_div_scale_f64 v[80:81], s[10:11], v[78:79], v[78:79], v[76:77]
	v_rcp_f64_e32 v[82:83], v[80:81]
	v_div_scale_f64 v[84:85], vcc, v[76:77], v[78:79], v[76:77]
	v_fma_f64 v[86:87], -v[80:81], v[82:83], 1.0
	v_fmac_f64_e32 v[82:83], v[82:83], v[86:87]
	v_fma_f64 v[86:87], -v[80:81], v[82:83], 1.0
	v_fmac_f64_e32 v[82:83], v[82:83], v[86:87]
	v_mul_f64 v[86:87], v[84:85], v[82:83]
	v_fma_f64 v[80:81], -v[80:81], v[86:87], v[84:85]
	v_div_fmas_f64 v[80:81], v[80:81], v[82:83], v[86:87]
	v_div_fixup_f64 v[80:81], v[80:81], v[78:79], v[76:77]
	v_fmac_f64_e32 v[78:79], v[76:77], v[80:81]
	v_div_scale_f64 v[76:77], s[10:11], v[78:79], v[78:79], 1.0
	v_rcp_f64_e32 v[82:83], v[76:77]
	s_nop 0
	v_fma_f64 v[84:85], -v[76:77], v[82:83], 1.0
	v_fmac_f64_e32 v[82:83], v[82:83], v[84:85]
	v_fma_f64 v[84:85], -v[76:77], v[82:83], 1.0
	v_fmac_f64_e32 v[82:83], v[82:83], v[84:85]
	v_div_scale_f64 v[84:85], vcc, 1.0, v[78:79], 1.0
	v_mul_f64 v[86:87], v[84:85], v[82:83]
	v_fma_f64 v[76:77], -v[76:77], v[86:87], v[84:85]
	s_nop 1
	v_div_fmas_f64 v[76:77], v[76:77], v[82:83], v[86:87]
	v_div_fixup_f64 v[82:83], v[76:77], v[78:79], 1.0
	v_mul_f64 v[80:81], v[80:81], v[82:83]
	v_xor_b32_e32 v83, 0x80000000, v83
                                        ; implicit-def: $vgpr76_vgpr77
.LBB31_32:
	s_andn2_saveexec_b64 s[2:3], s[2:3]
	s_cbranch_execz .LBB31_34
; %bb.33:
	v_div_scale_f64 v[80:81], s[10:11], v[76:77], v[76:77], v[78:79]
	v_rcp_f64_e32 v[82:83], v[80:81]
	v_div_scale_f64 v[84:85], vcc, v[78:79], v[76:77], v[78:79]
	v_fma_f64 v[86:87], -v[80:81], v[82:83], 1.0
	v_fmac_f64_e32 v[82:83], v[82:83], v[86:87]
	v_fma_f64 v[86:87], -v[80:81], v[82:83], 1.0
	v_fmac_f64_e32 v[82:83], v[82:83], v[86:87]
	v_mul_f64 v[86:87], v[84:85], v[82:83]
	v_fma_f64 v[80:81], -v[80:81], v[86:87], v[84:85]
	v_div_fmas_f64 v[80:81], v[80:81], v[82:83], v[86:87]
	v_div_fixup_f64 v[82:83], v[80:81], v[76:77], v[78:79]
	v_fmac_f64_e32 v[76:77], v[78:79], v[82:83]
	v_div_scale_f64 v[78:79], s[10:11], v[76:77], v[76:77], 1.0
	v_rcp_f64_e32 v[80:81], v[78:79]
	s_nop 0
	v_fma_f64 v[84:85], -v[78:79], v[80:81], 1.0
	v_fmac_f64_e32 v[80:81], v[80:81], v[84:85]
	v_fma_f64 v[84:85], -v[78:79], v[80:81], 1.0
	v_fmac_f64_e32 v[80:81], v[80:81], v[84:85]
	v_div_scale_f64 v[84:85], vcc, 1.0, v[76:77], 1.0
	v_mul_f64 v[86:87], v[84:85], v[80:81]
	v_fma_f64 v[78:79], -v[78:79], v[86:87], v[84:85]
	s_nop 1
	v_div_fmas_f64 v[78:79], v[78:79], v[80:81], v[86:87]
	v_div_fixup_f64 v[80:81], v[78:79], v[76:77], 1.0
	v_mul_f64 v[82:83], v[82:83], -v[80:81]
.LBB31_34:
	s_or_b64 exec, exec, s[2:3]
	ds_write2_b64 v163, v[80:81], v[82:83] offset1:1
.LBB31_35:
	s_or_b64 exec, exec, s[4:5]
	s_waitcnt lgkmcnt(0)
	s_barrier
	ds_read2_b64 v[76:79], v163 offset1:1
	v_cmp_lt_u32_e32 vcc, 3, v162
	s_and_saveexec_b64 s[2:3], vcc
	s_cbranch_execz .LBB31_37
; %bb.36:
	ds_read2_b64 v[82:85], v164 offset0:8 offset1:9
	s_waitcnt vmcnt(12) lgkmcnt(1)
	v_mul_f64 v[80:81], v[76:77], v[10:11]
	v_fmac_f64_e32 v[80:81], v[78:79], v[8:9]
	v_mul_f64 v[10:11], v[78:79], v[10:11]
	v_fma_f64 v[8:9], v[76:77], v[8:9], -v[10:11]
	s_waitcnt lgkmcnt(0)
	v_mul_f64 v[10:11], v[84:85], v[80:81]
	v_fma_f64 v[10:11], v[82:83], v[8:9], -v[10:11]
	v_mul_f64 v[82:83], v[82:83], v[80:81]
	v_fmac_f64_e32 v[82:83], v[84:85], v[8:9]
	s_waitcnt vmcnt(11)
	v_add_f64 v[58:59], v[58:59], -v[82:83]
	ds_read2_b64 v[82:85], v164 offset0:10 offset1:11
	v_add_f64 v[56:57], v[56:57], -v[10:11]
	s_waitcnt lgkmcnt(0)
	v_mul_f64 v[10:11], v[84:85], v[80:81]
	v_fma_f64 v[10:11], v[82:83], v[8:9], -v[10:11]
	v_mul_f64 v[82:83], v[82:83], v[80:81]
	v_fmac_f64_e32 v[82:83], v[84:85], v[8:9]
	s_waitcnt vmcnt(10)
	v_add_f64 v[54:55], v[54:55], -v[82:83]
	ds_read2_b64 v[82:85], v164 offset0:12 offset1:13
	v_add_f64 v[52:53], v[52:53], -v[10:11]
	;; [unrolled: 9-line block ×11, first 2 shown]
	s_waitcnt lgkmcnt(0)
	v_mul_f64 v[10:11], v[84:85], v[80:81]
	v_fma_f64 v[10:11], v[82:83], v[8:9], -v[10:11]
	v_mul_f64 v[82:83], v[82:83], v[80:81]
	v_fmac_f64_e32 v[82:83], v[84:85], v[8:9]
	s_waitcnt vmcnt(0)
	v_add_f64 v[60:61], v[60:61], -v[10:11]
	v_add_f64 v[62:63], v[62:63], -v[82:83]
	v_mov_b64_e32 v[10:11], v[80:81]
.LBB31_37:
	s_or_b64 exec, exec, s[2:3]
	v_cmp_eq_u32_e32 vcc, 4, v162
	s_waitcnt lgkmcnt(0)
	s_barrier
	s_and_saveexec_b64 s[4:5], vcc
	s_cbranch_execz .LBB31_44
; %bb.38:
	s_waitcnt vmcnt(11)
	ds_write2_b64 v163, v[56:57], v[58:59] offset1:1
	s_waitcnt vmcnt(10)
	ds_write2_b64 v164, v[52:53], v[54:55] offset0:10 offset1:11
	s_waitcnt vmcnt(9)
	ds_write2_b64 v164, v[48:49], v[50:51] offset0:12 offset1:13
	;; [unrolled: 2-line block ×11, first 2 shown]
	ds_read2_b64 v[80:83], v163 offset1:1
	s_waitcnt lgkmcnt(0)
	v_cmp_neq_f64_e32 vcc, 0, v[80:81]
	v_cmp_neq_f64_e64 s[2:3], 0, v[82:83]
	s_or_b64 s[2:3], vcc, s[2:3]
	s_and_b64 exec, exec, s[2:3]
	s_cbranch_execz .LBB31_44
; %bb.39:
	v_cmp_ngt_f64_e64 s[2:3], |v[80:81]|, |v[82:83]|
                                        ; implicit-def: $vgpr84_vgpr85
	s_and_saveexec_b64 s[10:11], s[2:3]
	s_xor_b64 s[2:3], exec, s[10:11]
                                        ; implicit-def: $vgpr86_vgpr87
	s_cbranch_execz .LBB31_41
; %bb.40:
	v_div_scale_f64 v[84:85], s[10:11], v[82:83], v[82:83], v[80:81]
	v_rcp_f64_e32 v[86:87], v[84:85]
	v_div_scale_f64 v[88:89], vcc, v[80:81], v[82:83], v[80:81]
	v_fma_f64 v[90:91], -v[84:85], v[86:87], 1.0
	v_fmac_f64_e32 v[86:87], v[86:87], v[90:91]
	v_fma_f64 v[90:91], -v[84:85], v[86:87], 1.0
	v_fmac_f64_e32 v[86:87], v[86:87], v[90:91]
	v_mul_f64 v[90:91], v[88:89], v[86:87]
	v_fma_f64 v[84:85], -v[84:85], v[90:91], v[88:89]
	v_div_fmas_f64 v[84:85], v[84:85], v[86:87], v[90:91]
	v_div_fixup_f64 v[84:85], v[84:85], v[82:83], v[80:81]
	v_fmac_f64_e32 v[82:83], v[80:81], v[84:85]
	v_div_scale_f64 v[80:81], s[10:11], v[82:83], v[82:83], 1.0
	v_rcp_f64_e32 v[86:87], v[80:81]
	s_nop 0
	v_fma_f64 v[88:89], -v[80:81], v[86:87], 1.0
	v_fmac_f64_e32 v[86:87], v[86:87], v[88:89]
	v_fma_f64 v[88:89], -v[80:81], v[86:87], 1.0
	v_fmac_f64_e32 v[86:87], v[86:87], v[88:89]
	v_div_scale_f64 v[88:89], vcc, 1.0, v[82:83], 1.0
	v_mul_f64 v[90:91], v[88:89], v[86:87]
	v_fma_f64 v[80:81], -v[80:81], v[90:91], v[88:89]
	s_nop 1
	v_div_fmas_f64 v[80:81], v[80:81], v[86:87], v[90:91]
	v_div_fixup_f64 v[86:87], v[80:81], v[82:83], 1.0
	v_mul_f64 v[84:85], v[84:85], v[86:87]
	v_xor_b32_e32 v87, 0x80000000, v87
                                        ; implicit-def: $vgpr80_vgpr81
.LBB31_41:
	s_andn2_saveexec_b64 s[2:3], s[2:3]
	s_cbranch_execz .LBB31_43
; %bb.42:
	v_div_scale_f64 v[84:85], s[10:11], v[80:81], v[80:81], v[82:83]
	v_rcp_f64_e32 v[86:87], v[84:85]
	v_div_scale_f64 v[88:89], vcc, v[82:83], v[80:81], v[82:83]
	v_fma_f64 v[90:91], -v[84:85], v[86:87], 1.0
	v_fmac_f64_e32 v[86:87], v[86:87], v[90:91]
	v_fma_f64 v[90:91], -v[84:85], v[86:87], 1.0
	v_fmac_f64_e32 v[86:87], v[86:87], v[90:91]
	v_mul_f64 v[90:91], v[88:89], v[86:87]
	v_fma_f64 v[84:85], -v[84:85], v[90:91], v[88:89]
	v_div_fmas_f64 v[84:85], v[84:85], v[86:87], v[90:91]
	v_div_fixup_f64 v[86:87], v[84:85], v[80:81], v[82:83]
	v_fmac_f64_e32 v[80:81], v[82:83], v[86:87]
	v_div_scale_f64 v[82:83], s[10:11], v[80:81], v[80:81], 1.0
	v_rcp_f64_e32 v[84:85], v[82:83]
	s_nop 0
	v_fma_f64 v[88:89], -v[82:83], v[84:85], 1.0
	v_fmac_f64_e32 v[84:85], v[84:85], v[88:89]
	v_fma_f64 v[88:89], -v[82:83], v[84:85], 1.0
	v_fmac_f64_e32 v[84:85], v[84:85], v[88:89]
	v_div_scale_f64 v[88:89], vcc, 1.0, v[80:81], 1.0
	v_mul_f64 v[90:91], v[88:89], v[84:85]
	v_fma_f64 v[82:83], -v[82:83], v[90:91], v[88:89]
	s_nop 1
	v_div_fmas_f64 v[82:83], v[82:83], v[84:85], v[90:91]
	v_div_fixup_f64 v[84:85], v[82:83], v[80:81], 1.0
	v_mul_f64 v[86:87], v[86:87], -v[84:85]
.LBB31_43:
	s_or_b64 exec, exec, s[2:3]
	ds_write2_b64 v163, v[84:85], v[86:87] offset1:1
.LBB31_44:
	s_or_b64 exec, exec, s[4:5]
	s_waitcnt lgkmcnt(0)
	s_barrier
	ds_read2_b64 v[80:83], v163 offset1:1
	v_cmp_lt_u32_e32 vcc, 4, v162
	s_and_saveexec_b64 s[2:3], vcc
	s_cbranch_execz .LBB31_46
; %bb.45:
	ds_read2_b64 v[84:87], v164 offset0:10 offset1:11
	ds_read2_b64 v[88:91], v164 offset0:12 offset1:13
	s_waitcnt vmcnt(11) lgkmcnt(2)
	v_mul_f64 v[92:93], v[80:81], v[58:59]
	v_fmac_f64_e32 v[92:93], v[82:83], v[56:57]
	v_mul_f64 v[58:59], v[82:83], v[58:59]
	v_fma_f64 v[56:57], v[80:81], v[56:57], -v[58:59]
	s_waitcnt lgkmcnt(1)
	v_mul_f64 v[58:59], v[86:87], v[92:93]
	v_fma_f64 v[58:59], v[84:85], v[56:57], -v[58:59]
	v_mul_f64 v[84:85], v[84:85], v[92:93]
	v_fmac_f64_e32 v[84:85], v[86:87], v[56:57]
	s_waitcnt vmcnt(10)
	v_add_f64 v[54:55], v[54:55], -v[84:85]
	ds_read2_b64 v[84:87], v164 offset0:14 offset1:15
	v_add_f64 v[52:53], v[52:53], -v[58:59]
	s_waitcnt lgkmcnt(1)
	v_mul_f64 v[58:59], v[90:91], v[92:93]
	v_fma_f64 v[58:59], v[88:89], v[56:57], -v[58:59]
	v_mul_f64 v[88:89], v[88:89], v[92:93]
	v_fmac_f64_e32 v[88:89], v[90:91], v[56:57]
	s_waitcnt vmcnt(9)
	v_add_f64 v[48:49], v[48:49], -v[58:59]
	v_add_f64 v[50:51], v[50:51], -v[88:89]
	ds_read2_b64 v[88:91], v164 offset0:16 offset1:17
	s_waitcnt lgkmcnt(1)
	v_mul_f64 v[58:59], v[86:87], v[92:93]
	v_fma_f64 v[58:59], v[84:85], v[56:57], -v[58:59]
	v_mul_f64 v[84:85], v[84:85], v[92:93]
	v_fmac_f64_e32 v[84:85], v[86:87], v[56:57]
	s_waitcnt vmcnt(8)
	v_add_f64 v[46:47], v[46:47], -v[84:85]
	ds_read2_b64 v[84:87], v164 offset0:18 offset1:19
	v_add_f64 v[44:45], v[44:45], -v[58:59]
	s_waitcnt lgkmcnt(1)
	v_mul_f64 v[58:59], v[90:91], v[92:93]
	v_fma_f64 v[58:59], v[88:89], v[56:57], -v[58:59]
	v_mul_f64 v[88:89], v[88:89], v[92:93]
	v_fmac_f64_e32 v[88:89], v[90:91], v[56:57]
	s_waitcnt vmcnt(7)
	v_add_f64 v[40:41], v[40:41], -v[58:59]
	v_add_f64 v[42:43], v[42:43], -v[88:89]
	ds_read2_b64 v[88:91], v164 offset0:20 offset1:21
	;; [unrolled: 18-line block ×4, first 2 shown]
	s_waitcnt lgkmcnt(1)
	v_mul_f64 v[58:59], v[86:87], v[92:93]
	v_fma_f64 v[58:59], v[84:85], v[56:57], -v[58:59]
	v_mul_f64 v[84:85], v[84:85], v[92:93]
	v_fmac_f64_e32 v[84:85], v[86:87], v[56:57]
	s_waitcnt vmcnt(2)
	v_add_f64 v[22:23], v[22:23], -v[84:85]
	ds_read2_b64 v[84:87], v164 offset0:30 offset1:31
	v_add_f64 v[20:21], v[20:21], -v[58:59]
	s_waitcnt lgkmcnt(1)
	v_mul_f64 v[58:59], v[90:91], v[92:93]
	v_fma_f64 v[58:59], v[88:89], v[56:57], -v[58:59]
	s_waitcnt vmcnt(1)
	v_add_f64 v[16:17], v[16:17], -v[58:59]
	s_waitcnt lgkmcnt(0)
	v_mul_f64 v[58:59], v[86:87], v[92:93]
	v_mul_f64 v[88:89], v[88:89], v[92:93]
	v_fma_f64 v[58:59], v[84:85], v[56:57], -v[58:59]
	v_mul_f64 v[84:85], v[84:85], v[92:93]
	v_fmac_f64_e32 v[88:89], v[90:91], v[56:57]
	v_fmac_f64_e32 v[84:85], v[86:87], v[56:57]
	v_add_f64 v[18:19], v[18:19], -v[88:89]
	s_waitcnt vmcnt(0)
	v_add_f64 v[60:61], v[60:61], -v[58:59]
	v_add_f64 v[62:63], v[62:63], -v[84:85]
	v_mov_b64_e32 v[58:59], v[92:93]
.LBB31_46:
	s_or_b64 exec, exec, s[2:3]
	v_cmp_eq_u32_e32 vcc, 5, v162
	s_waitcnt lgkmcnt(0)
	s_barrier
	s_and_saveexec_b64 s[4:5], vcc
	s_cbranch_execz .LBB31_53
; %bb.47:
	s_waitcnt vmcnt(10)
	ds_write2_b64 v163, v[52:53], v[54:55] offset1:1
	s_waitcnt vmcnt(9)
	ds_write2_b64 v164, v[48:49], v[50:51] offset0:12 offset1:13
	s_waitcnt vmcnt(8)
	ds_write2_b64 v164, v[44:45], v[46:47] offset0:14 offset1:15
	;; [unrolled: 2-line block ×10, first 2 shown]
	ds_read2_b64 v[84:87], v163 offset1:1
	s_waitcnt lgkmcnt(0)
	v_cmp_neq_f64_e32 vcc, 0, v[84:85]
	v_cmp_neq_f64_e64 s[2:3], 0, v[86:87]
	s_or_b64 s[2:3], vcc, s[2:3]
	s_and_b64 exec, exec, s[2:3]
	s_cbranch_execz .LBB31_53
; %bb.48:
	v_cmp_ngt_f64_e64 s[2:3], |v[84:85]|, |v[86:87]|
                                        ; implicit-def: $vgpr88_vgpr89
	s_and_saveexec_b64 s[10:11], s[2:3]
	s_xor_b64 s[2:3], exec, s[10:11]
                                        ; implicit-def: $vgpr90_vgpr91
	s_cbranch_execz .LBB31_50
; %bb.49:
	v_div_scale_f64 v[88:89], s[10:11], v[86:87], v[86:87], v[84:85]
	v_rcp_f64_e32 v[90:91], v[88:89]
	v_div_scale_f64 v[92:93], vcc, v[84:85], v[86:87], v[84:85]
	v_fma_f64 v[94:95], -v[88:89], v[90:91], 1.0
	v_fmac_f64_e32 v[90:91], v[90:91], v[94:95]
	v_fma_f64 v[94:95], -v[88:89], v[90:91], 1.0
	v_fmac_f64_e32 v[90:91], v[90:91], v[94:95]
	v_mul_f64 v[94:95], v[92:93], v[90:91]
	v_fma_f64 v[88:89], -v[88:89], v[94:95], v[92:93]
	v_div_fmas_f64 v[88:89], v[88:89], v[90:91], v[94:95]
	v_div_fixup_f64 v[88:89], v[88:89], v[86:87], v[84:85]
	v_fmac_f64_e32 v[86:87], v[84:85], v[88:89]
	v_div_scale_f64 v[84:85], s[10:11], v[86:87], v[86:87], 1.0
	v_rcp_f64_e32 v[90:91], v[84:85]
	s_nop 0
	v_fma_f64 v[92:93], -v[84:85], v[90:91], 1.0
	v_fmac_f64_e32 v[90:91], v[90:91], v[92:93]
	v_fma_f64 v[92:93], -v[84:85], v[90:91], 1.0
	v_fmac_f64_e32 v[90:91], v[90:91], v[92:93]
	v_div_scale_f64 v[92:93], vcc, 1.0, v[86:87], 1.0
	v_mul_f64 v[94:95], v[92:93], v[90:91]
	v_fma_f64 v[84:85], -v[84:85], v[94:95], v[92:93]
	s_nop 1
	v_div_fmas_f64 v[84:85], v[84:85], v[90:91], v[94:95]
	v_div_fixup_f64 v[90:91], v[84:85], v[86:87], 1.0
	v_mul_f64 v[88:89], v[88:89], v[90:91]
	v_xor_b32_e32 v91, 0x80000000, v91
                                        ; implicit-def: $vgpr84_vgpr85
.LBB31_50:
	s_andn2_saveexec_b64 s[2:3], s[2:3]
	s_cbranch_execz .LBB31_52
; %bb.51:
	v_div_scale_f64 v[88:89], s[10:11], v[84:85], v[84:85], v[86:87]
	v_rcp_f64_e32 v[90:91], v[88:89]
	v_div_scale_f64 v[92:93], vcc, v[86:87], v[84:85], v[86:87]
	v_fma_f64 v[94:95], -v[88:89], v[90:91], 1.0
	v_fmac_f64_e32 v[90:91], v[90:91], v[94:95]
	v_fma_f64 v[94:95], -v[88:89], v[90:91], 1.0
	v_fmac_f64_e32 v[90:91], v[90:91], v[94:95]
	v_mul_f64 v[94:95], v[92:93], v[90:91]
	v_fma_f64 v[88:89], -v[88:89], v[94:95], v[92:93]
	v_div_fmas_f64 v[88:89], v[88:89], v[90:91], v[94:95]
	v_div_fixup_f64 v[90:91], v[88:89], v[84:85], v[86:87]
	v_fmac_f64_e32 v[84:85], v[86:87], v[90:91]
	v_div_scale_f64 v[86:87], s[10:11], v[84:85], v[84:85], 1.0
	v_rcp_f64_e32 v[88:89], v[86:87]
	s_nop 0
	v_fma_f64 v[92:93], -v[86:87], v[88:89], 1.0
	v_fmac_f64_e32 v[88:89], v[88:89], v[92:93]
	v_fma_f64 v[92:93], -v[86:87], v[88:89], 1.0
	v_fmac_f64_e32 v[88:89], v[88:89], v[92:93]
	v_div_scale_f64 v[92:93], vcc, 1.0, v[84:85], 1.0
	v_mul_f64 v[94:95], v[92:93], v[88:89]
	v_fma_f64 v[86:87], -v[86:87], v[94:95], v[92:93]
	s_nop 1
	v_div_fmas_f64 v[86:87], v[86:87], v[88:89], v[94:95]
	v_div_fixup_f64 v[88:89], v[86:87], v[84:85], 1.0
	v_mul_f64 v[90:91], v[90:91], -v[88:89]
.LBB31_52:
	s_or_b64 exec, exec, s[2:3]
	ds_write2_b64 v163, v[88:89], v[90:91] offset1:1
.LBB31_53:
	s_or_b64 exec, exec, s[4:5]
	s_waitcnt lgkmcnt(0)
	s_barrier
	ds_read2_b64 v[84:87], v163 offset1:1
	v_cmp_lt_u32_e32 vcc, 5, v162
	s_and_saveexec_b64 s[2:3], vcc
	s_cbranch_execz .LBB31_55
; %bb.54:
	ds_read2_b64 v[88:91], v164 offset0:12 offset1:13
	ds_read2_b64 v[92:95], v164 offset0:14 offset1:15
	s_waitcnt vmcnt(10) lgkmcnt(2)
	v_mul_f64 v[96:97], v[84:85], v[54:55]
	v_fmac_f64_e32 v[96:97], v[86:87], v[52:53]
	v_mul_f64 v[54:55], v[86:87], v[54:55]
	v_fma_f64 v[52:53], v[84:85], v[52:53], -v[54:55]
	s_waitcnt lgkmcnt(1)
	v_mul_f64 v[54:55], v[90:91], v[96:97]
	v_fma_f64 v[54:55], v[88:89], v[52:53], -v[54:55]
	v_mul_f64 v[88:89], v[88:89], v[96:97]
	v_fmac_f64_e32 v[88:89], v[90:91], v[52:53]
	s_waitcnt vmcnt(9)
	v_add_f64 v[48:49], v[48:49], -v[54:55]
	v_add_f64 v[50:51], v[50:51], -v[88:89]
	s_waitcnt lgkmcnt(0)
	v_mul_f64 v[54:55], v[94:95], v[96:97]
	ds_read2_b64 v[88:91], v164 offset0:16 offset1:17
	v_fma_f64 v[54:55], v[92:93], v[52:53], -v[54:55]
	v_mul_f64 v[92:93], v[92:93], v[96:97]
	v_fmac_f64_e32 v[92:93], v[94:95], v[52:53]
	s_waitcnt vmcnt(8)
	v_add_f64 v[46:47], v[46:47], -v[92:93]
	ds_read2_b64 v[92:95], v164 offset0:18 offset1:19
	v_add_f64 v[44:45], v[44:45], -v[54:55]
	s_waitcnt lgkmcnt(1)
	v_mul_f64 v[54:55], v[90:91], v[96:97]
	v_fma_f64 v[54:55], v[88:89], v[52:53], -v[54:55]
	v_mul_f64 v[88:89], v[88:89], v[96:97]
	v_fmac_f64_e32 v[88:89], v[90:91], v[52:53]
	s_waitcnt vmcnt(7)
	v_add_f64 v[40:41], v[40:41], -v[54:55]
	v_add_f64 v[42:43], v[42:43], -v[88:89]
	s_waitcnt lgkmcnt(0)
	v_mul_f64 v[54:55], v[94:95], v[96:97]
	ds_read2_b64 v[88:91], v164 offset0:20 offset1:21
	v_fma_f64 v[54:55], v[92:93], v[52:53], -v[54:55]
	v_mul_f64 v[92:93], v[92:93], v[96:97]
	v_fmac_f64_e32 v[92:93], v[94:95], v[52:53]
	s_waitcnt vmcnt(6)
	v_add_f64 v[38:39], v[38:39], -v[92:93]
	ds_read2_b64 v[92:95], v164 offset0:22 offset1:23
	v_add_f64 v[36:37], v[36:37], -v[54:55]
	;; [unrolled: 18-line block ×4, first 2 shown]
	s_waitcnt lgkmcnt(1)
	v_mul_f64 v[54:55], v[90:91], v[96:97]
	v_fma_f64 v[54:55], v[88:89], v[52:53], -v[54:55]
	v_mul_f64 v[88:89], v[88:89], v[96:97]
	v_fmac_f64_e32 v[88:89], v[90:91], v[52:53]
	s_waitcnt vmcnt(1)
	v_add_f64 v[16:17], v[16:17], -v[54:55]
	v_add_f64 v[18:19], v[18:19], -v[88:89]
	s_waitcnt lgkmcnt(0)
	v_mul_f64 v[54:55], v[94:95], v[96:97]
	v_mul_f64 v[88:89], v[92:93], v[96:97]
	v_fma_f64 v[54:55], v[92:93], v[52:53], -v[54:55]
	v_fmac_f64_e32 v[88:89], v[94:95], v[52:53]
	s_waitcnt vmcnt(0)
	v_add_f64 v[60:61], v[60:61], -v[54:55]
	v_add_f64 v[62:63], v[62:63], -v[88:89]
	v_mov_b64_e32 v[54:55], v[96:97]
.LBB31_55:
	s_or_b64 exec, exec, s[2:3]
	v_cmp_eq_u32_e32 vcc, 6, v162
	s_waitcnt lgkmcnt(0)
	s_barrier
	s_and_saveexec_b64 s[4:5], vcc
	s_cbranch_execz .LBB31_62
; %bb.56:
	s_waitcnt vmcnt(9)
	ds_write2_b64 v163, v[48:49], v[50:51] offset1:1
	s_waitcnt vmcnt(8)
	ds_write2_b64 v164, v[44:45], v[46:47] offset0:14 offset1:15
	s_waitcnt vmcnt(7)
	ds_write2_b64 v164, v[40:41], v[42:43] offset0:16 offset1:17
	;; [unrolled: 2-line block ×9, first 2 shown]
	ds_read2_b64 v[88:91], v163 offset1:1
	s_waitcnt lgkmcnt(0)
	v_cmp_neq_f64_e32 vcc, 0, v[88:89]
	v_cmp_neq_f64_e64 s[2:3], 0, v[90:91]
	s_or_b64 s[2:3], vcc, s[2:3]
	s_and_b64 exec, exec, s[2:3]
	s_cbranch_execz .LBB31_62
; %bb.57:
	v_cmp_ngt_f64_e64 s[2:3], |v[88:89]|, |v[90:91]|
                                        ; implicit-def: $vgpr92_vgpr93
	s_and_saveexec_b64 s[10:11], s[2:3]
	s_xor_b64 s[2:3], exec, s[10:11]
                                        ; implicit-def: $vgpr94_vgpr95
	s_cbranch_execz .LBB31_59
; %bb.58:
	v_div_scale_f64 v[92:93], s[10:11], v[90:91], v[90:91], v[88:89]
	v_rcp_f64_e32 v[94:95], v[92:93]
	v_div_scale_f64 v[96:97], vcc, v[88:89], v[90:91], v[88:89]
	v_fma_f64 v[98:99], -v[92:93], v[94:95], 1.0
	v_fmac_f64_e32 v[94:95], v[94:95], v[98:99]
	v_fma_f64 v[98:99], -v[92:93], v[94:95], 1.0
	v_fmac_f64_e32 v[94:95], v[94:95], v[98:99]
	v_mul_f64 v[98:99], v[96:97], v[94:95]
	v_fma_f64 v[92:93], -v[92:93], v[98:99], v[96:97]
	v_div_fmas_f64 v[92:93], v[92:93], v[94:95], v[98:99]
	v_div_fixup_f64 v[92:93], v[92:93], v[90:91], v[88:89]
	v_fmac_f64_e32 v[90:91], v[88:89], v[92:93]
	v_div_scale_f64 v[88:89], s[10:11], v[90:91], v[90:91], 1.0
	v_rcp_f64_e32 v[94:95], v[88:89]
	s_nop 0
	v_fma_f64 v[96:97], -v[88:89], v[94:95], 1.0
	v_fmac_f64_e32 v[94:95], v[94:95], v[96:97]
	v_fma_f64 v[96:97], -v[88:89], v[94:95], 1.0
	v_fmac_f64_e32 v[94:95], v[94:95], v[96:97]
	v_div_scale_f64 v[96:97], vcc, 1.0, v[90:91], 1.0
	v_mul_f64 v[98:99], v[96:97], v[94:95]
	v_fma_f64 v[88:89], -v[88:89], v[98:99], v[96:97]
	s_nop 1
	v_div_fmas_f64 v[88:89], v[88:89], v[94:95], v[98:99]
	v_div_fixup_f64 v[94:95], v[88:89], v[90:91], 1.0
	v_mul_f64 v[92:93], v[92:93], v[94:95]
	v_xor_b32_e32 v95, 0x80000000, v95
                                        ; implicit-def: $vgpr88_vgpr89
.LBB31_59:
	s_andn2_saveexec_b64 s[2:3], s[2:3]
	s_cbranch_execz .LBB31_61
; %bb.60:
	v_div_scale_f64 v[92:93], s[10:11], v[88:89], v[88:89], v[90:91]
	v_rcp_f64_e32 v[94:95], v[92:93]
	v_div_scale_f64 v[96:97], vcc, v[90:91], v[88:89], v[90:91]
	v_fma_f64 v[98:99], -v[92:93], v[94:95], 1.0
	v_fmac_f64_e32 v[94:95], v[94:95], v[98:99]
	v_fma_f64 v[98:99], -v[92:93], v[94:95], 1.0
	v_fmac_f64_e32 v[94:95], v[94:95], v[98:99]
	v_mul_f64 v[98:99], v[96:97], v[94:95]
	v_fma_f64 v[92:93], -v[92:93], v[98:99], v[96:97]
	v_div_fmas_f64 v[92:93], v[92:93], v[94:95], v[98:99]
	v_div_fixup_f64 v[94:95], v[92:93], v[88:89], v[90:91]
	v_fmac_f64_e32 v[88:89], v[90:91], v[94:95]
	v_div_scale_f64 v[90:91], s[10:11], v[88:89], v[88:89], 1.0
	v_rcp_f64_e32 v[92:93], v[90:91]
	s_nop 0
	v_fma_f64 v[96:97], -v[90:91], v[92:93], 1.0
	v_fmac_f64_e32 v[92:93], v[92:93], v[96:97]
	v_fma_f64 v[96:97], -v[90:91], v[92:93], 1.0
	v_fmac_f64_e32 v[92:93], v[92:93], v[96:97]
	v_div_scale_f64 v[96:97], vcc, 1.0, v[88:89], 1.0
	v_mul_f64 v[98:99], v[96:97], v[92:93]
	v_fma_f64 v[90:91], -v[90:91], v[98:99], v[96:97]
	s_nop 1
	v_div_fmas_f64 v[90:91], v[90:91], v[92:93], v[98:99]
	v_div_fixup_f64 v[92:93], v[90:91], v[88:89], 1.0
	v_mul_f64 v[94:95], v[94:95], -v[92:93]
.LBB31_61:
	s_or_b64 exec, exec, s[2:3]
	ds_write2_b64 v163, v[92:93], v[94:95] offset1:1
.LBB31_62:
	s_or_b64 exec, exec, s[4:5]
	s_waitcnt lgkmcnt(0)
	s_barrier
	ds_read2_b64 v[88:91], v163 offset1:1
	v_cmp_lt_u32_e32 vcc, 6, v162
	s_and_saveexec_b64 s[2:3], vcc
	s_cbranch_execz .LBB31_64
; %bb.63:
	ds_read2_b64 v[92:95], v164 offset0:14 offset1:15
	ds_read2_b64 v[96:99], v164 offset0:16 offset1:17
	s_waitcnt vmcnt(9) lgkmcnt(2)
	v_mul_f64 v[100:101], v[88:89], v[50:51]
	v_fmac_f64_e32 v[100:101], v[90:91], v[48:49]
	v_mul_f64 v[50:51], v[90:91], v[50:51]
	v_fma_f64 v[48:49], v[88:89], v[48:49], -v[50:51]
	s_waitcnt lgkmcnt(1)
	v_mul_f64 v[50:51], v[94:95], v[100:101]
	v_fma_f64 v[50:51], v[92:93], v[48:49], -v[50:51]
	v_mul_f64 v[92:93], v[92:93], v[100:101]
	v_fmac_f64_e32 v[92:93], v[94:95], v[48:49]
	s_waitcnt vmcnt(8)
	v_add_f64 v[46:47], v[46:47], -v[92:93]
	ds_read2_b64 v[92:95], v164 offset0:18 offset1:19
	v_add_f64 v[44:45], v[44:45], -v[50:51]
	s_waitcnt lgkmcnt(1)
	v_mul_f64 v[50:51], v[98:99], v[100:101]
	v_fma_f64 v[50:51], v[96:97], v[48:49], -v[50:51]
	v_mul_f64 v[96:97], v[96:97], v[100:101]
	v_fmac_f64_e32 v[96:97], v[98:99], v[48:49]
	s_waitcnt vmcnt(7)
	v_add_f64 v[40:41], v[40:41], -v[50:51]
	v_add_f64 v[42:43], v[42:43], -v[96:97]
	ds_read2_b64 v[96:99], v164 offset0:20 offset1:21
	s_waitcnt lgkmcnt(1)
	v_mul_f64 v[50:51], v[94:95], v[100:101]
	v_fma_f64 v[50:51], v[92:93], v[48:49], -v[50:51]
	v_mul_f64 v[92:93], v[92:93], v[100:101]
	v_fmac_f64_e32 v[92:93], v[94:95], v[48:49]
	s_waitcnt vmcnt(6)
	v_add_f64 v[38:39], v[38:39], -v[92:93]
	ds_read2_b64 v[92:95], v164 offset0:22 offset1:23
	v_add_f64 v[36:37], v[36:37], -v[50:51]
	s_waitcnt lgkmcnt(1)
	v_mul_f64 v[50:51], v[98:99], v[100:101]
	v_fma_f64 v[50:51], v[96:97], v[48:49], -v[50:51]
	v_mul_f64 v[96:97], v[96:97], v[100:101]
	v_fmac_f64_e32 v[96:97], v[98:99], v[48:49]
	s_waitcnt vmcnt(5)
	v_add_f64 v[32:33], v[32:33], -v[50:51]
	v_add_f64 v[34:35], v[34:35], -v[96:97]
	ds_read2_b64 v[96:99], v164 offset0:24 offset1:25
	;; [unrolled: 18-line block ×3, first 2 shown]
	s_waitcnt lgkmcnt(1)
	v_mul_f64 v[50:51], v[94:95], v[100:101]
	v_fma_f64 v[50:51], v[92:93], v[48:49], -v[50:51]
	v_mul_f64 v[92:93], v[92:93], v[100:101]
	v_fmac_f64_e32 v[92:93], v[94:95], v[48:49]
	s_waitcnt vmcnt(2)
	v_add_f64 v[22:23], v[22:23], -v[92:93]
	ds_read2_b64 v[92:95], v164 offset0:30 offset1:31
	v_add_f64 v[20:21], v[20:21], -v[50:51]
	s_waitcnt lgkmcnt(1)
	v_mul_f64 v[50:51], v[98:99], v[100:101]
	v_fma_f64 v[50:51], v[96:97], v[48:49], -v[50:51]
	s_waitcnt vmcnt(1)
	v_add_f64 v[16:17], v[16:17], -v[50:51]
	s_waitcnt lgkmcnt(0)
	v_mul_f64 v[50:51], v[94:95], v[100:101]
	v_mul_f64 v[96:97], v[96:97], v[100:101]
	v_fma_f64 v[50:51], v[92:93], v[48:49], -v[50:51]
	v_mul_f64 v[92:93], v[92:93], v[100:101]
	v_fmac_f64_e32 v[96:97], v[98:99], v[48:49]
	v_fmac_f64_e32 v[92:93], v[94:95], v[48:49]
	v_add_f64 v[18:19], v[18:19], -v[96:97]
	s_waitcnt vmcnt(0)
	v_add_f64 v[60:61], v[60:61], -v[50:51]
	v_add_f64 v[62:63], v[62:63], -v[92:93]
	v_mov_b64_e32 v[50:51], v[100:101]
.LBB31_64:
	s_or_b64 exec, exec, s[2:3]
	v_cmp_eq_u32_e32 vcc, 7, v162
	s_waitcnt lgkmcnt(0)
	s_barrier
	s_and_saveexec_b64 s[4:5], vcc
	s_cbranch_execz .LBB31_71
; %bb.65:
	s_waitcnt vmcnt(8)
	ds_write2_b64 v163, v[44:45], v[46:47] offset1:1
	s_waitcnt vmcnt(7)
	ds_write2_b64 v164, v[40:41], v[42:43] offset0:16 offset1:17
	s_waitcnt vmcnt(6)
	ds_write2_b64 v164, v[36:37], v[38:39] offset0:18 offset1:19
	;; [unrolled: 2-line block ×8, first 2 shown]
	ds_read2_b64 v[92:95], v163 offset1:1
	s_waitcnt lgkmcnt(0)
	v_cmp_neq_f64_e32 vcc, 0, v[92:93]
	v_cmp_neq_f64_e64 s[2:3], 0, v[94:95]
	s_or_b64 s[2:3], vcc, s[2:3]
	s_and_b64 exec, exec, s[2:3]
	s_cbranch_execz .LBB31_71
; %bb.66:
	v_cmp_ngt_f64_e64 s[2:3], |v[92:93]|, |v[94:95]|
                                        ; implicit-def: $vgpr96_vgpr97
	s_and_saveexec_b64 s[10:11], s[2:3]
	s_xor_b64 s[2:3], exec, s[10:11]
                                        ; implicit-def: $vgpr98_vgpr99
	s_cbranch_execz .LBB31_68
; %bb.67:
	v_div_scale_f64 v[96:97], s[10:11], v[94:95], v[94:95], v[92:93]
	v_rcp_f64_e32 v[98:99], v[96:97]
	v_div_scale_f64 v[100:101], vcc, v[92:93], v[94:95], v[92:93]
	v_fma_f64 v[102:103], -v[96:97], v[98:99], 1.0
	v_fmac_f64_e32 v[98:99], v[98:99], v[102:103]
	v_fma_f64 v[102:103], -v[96:97], v[98:99], 1.0
	v_fmac_f64_e32 v[98:99], v[98:99], v[102:103]
	v_mul_f64 v[102:103], v[100:101], v[98:99]
	v_fma_f64 v[96:97], -v[96:97], v[102:103], v[100:101]
	v_div_fmas_f64 v[96:97], v[96:97], v[98:99], v[102:103]
	v_div_fixup_f64 v[96:97], v[96:97], v[94:95], v[92:93]
	v_fmac_f64_e32 v[94:95], v[92:93], v[96:97]
	v_div_scale_f64 v[92:93], s[10:11], v[94:95], v[94:95], 1.0
	v_rcp_f64_e32 v[98:99], v[92:93]
	s_nop 0
	v_fma_f64 v[100:101], -v[92:93], v[98:99], 1.0
	v_fmac_f64_e32 v[98:99], v[98:99], v[100:101]
	v_fma_f64 v[100:101], -v[92:93], v[98:99], 1.0
	v_fmac_f64_e32 v[98:99], v[98:99], v[100:101]
	v_div_scale_f64 v[100:101], vcc, 1.0, v[94:95], 1.0
	v_mul_f64 v[102:103], v[100:101], v[98:99]
	v_fma_f64 v[92:93], -v[92:93], v[102:103], v[100:101]
	s_nop 1
	v_div_fmas_f64 v[92:93], v[92:93], v[98:99], v[102:103]
	v_div_fixup_f64 v[98:99], v[92:93], v[94:95], 1.0
	v_mul_f64 v[96:97], v[96:97], v[98:99]
	v_xor_b32_e32 v99, 0x80000000, v99
                                        ; implicit-def: $vgpr92_vgpr93
.LBB31_68:
	s_andn2_saveexec_b64 s[2:3], s[2:3]
	s_cbranch_execz .LBB31_70
; %bb.69:
	v_div_scale_f64 v[96:97], s[10:11], v[92:93], v[92:93], v[94:95]
	v_rcp_f64_e32 v[98:99], v[96:97]
	v_div_scale_f64 v[100:101], vcc, v[94:95], v[92:93], v[94:95]
	v_fma_f64 v[102:103], -v[96:97], v[98:99], 1.0
	v_fmac_f64_e32 v[98:99], v[98:99], v[102:103]
	v_fma_f64 v[102:103], -v[96:97], v[98:99], 1.0
	v_fmac_f64_e32 v[98:99], v[98:99], v[102:103]
	v_mul_f64 v[102:103], v[100:101], v[98:99]
	v_fma_f64 v[96:97], -v[96:97], v[102:103], v[100:101]
	v_div_fmas_f64 v[96:97], v[96:97], v[98:99], v[102:103]
	v_div_fixup_f64 v[98:99], v[96:97], v[92:93], v[94:95]
	v_fmac_f64_e32 v[92:93], v[94:95], v[98:99]
	v_div_scale_f64 v[94:95], s[10:11], v[92:93], v[92:93], 1.0
	v_rcp_f64_e32 v[96:97], v[94:95]
	s_nop 0
	v_fma_f64 v[100:101], -v[94:95], v[96:97], 1.0
	v_fmac_f64_e32 v[96:97], v[96:97], v[100:101]
	v_fma_f64 v[100:101], -v[94:95], v[96:97], 1.0
	v_fmac_f64_e32 v[96:97], v[96:97], v[100:101]
	v_div_scale_f64 v[100:101], vcc, 1.0, v[92:93], 1.0
	v_mul_f64 v[102:103], v[100:101], v[96:97]
	v_fma_f64 v[94:95], -v[94:95], v[102:103], v[100:101]
	s_nop 1
	v_div_fmas_f64 v[94:95], v[94:95], v[96:97], v[102:103]
	v_div_fixup_f64 v[96:97], v[94:95], v[92:93], 1.0
	v_mul_f64 v[98:99], v[98:99], -v[96:97]
.LBB31_70:
	s_or_b64 exec, exec, s[2:3]
	ds_write2_b64 v163, v[96:97], v[98:99] offset1:1
.LBB31_71:
	s_or_b64 exec, exec, s[4:5]
	s_waitcnt lgkmcnt(0)
	s_barrier
	ds_read2_b64 v[92:95], v163 offset1:1
	v_cmp_lt_u32_e32 vcc, 7, v162
	s_and_saveexec_b64 s[2:3], vcc
	s_cbranch_execz .LBB31_73
; %bb.72:
	ds_read2_b64 v[96:99], v164 offset0:16 offset1:17
	ds_read2_b64 v[100:103], v164 offset0:18 offset1:19
	s_waitcnt vmcnt(8) lgkmcnt(2)
	v_mul_f64 v[104:105], v[92:93], v[46:47]
	v_fmac_f64_e32 v[104:105], v[94:95], v[44:45]
	v_mul_f64 v[46:47], v[94:95], v[46:47]
	v_fma_f64 v[44:45], v[92:93], v[44:45], -v[46:47]
	s_waitcnt lgkmcnt(1)
	v_mul_f64 v[46:47], v[98:99], v[104:105]
	v_fma_f64 v[46:47], v[96:97], v[44:45], -v[46:47]
	v_mul_f64 v[96:97], v[96:97], v[104:105]
	v_fmac_f64_e32 v[96:97], v[98:99], v[44:45]
	s_waitcnt vmcnt(7)
	v_add_f64 v[40:41], v[40:41], -v[46:47]
	v_add_f64 v[42:43], v[42:43], -v[96:97]
	s_waitcnt lgkmcnt(0)
	v_mul_f64 v[46:47], v[102:103], v[104:105]
	ds_read2_b64 v[96:99], v164 offset0:20 offset1:21
	v_fma_f64 v[46:47], v[100:101], v[44:45], -v[46:47]
	v_mul_f64 v[100:101], v[100:101], v[104:105]
	v_fmac_f64_e32 v[100:101], v[102:103], v[44:45]
	s_waitcnt vmcnt(6)
	v_add_f64 v[38:39], v[38:39], -v[100:101]
	ds_read2_b64 v[100:103], v164 offset0:22 offset1:23
	v_add_f64 v[36:37], v[36:37], -v[46:47]
	s_waitcnt lgkmcnt(1)
	v_mul_f64 v[46:47], v[98:99], v[104:105]
	v_fma_f64 v[46:47], v[96:97], v[44:45], -v[46:47]
	v_mul_f64 v[96:97], v[96:97], v[104:105]
	v_fmac_f64_e32 v[96:97], v[98:99], v[44:45]
	s_waitcnt vmcnt(5)
	v_add_f64 v[32:33], v[32:33], -v[46:47]
	v_add_f64 v[34:35], v[34:35], -v[96:97]
	s_waitcnt lgkmcnt(0)
	v_mul_f64 v[46:47], v[102:103], v[104:105]
	ds_read2_b64 v[96:99], v164 offset0:24 offset1:25
	v_fma_f64 v[46:47], v[100:101], v[44:45], -v[46:47]
	v_mul_f64 v[100:101], v[100:101], v[104:105]
	v_fmac_f64_e32 v[100:101], v[102:103], v[44:45]
	s_waitcnt vmcnt(4)
	v_add_f64 v[30:31], v[30:31], -v[100:101]
	ds_read2_b64 v[100:103], v164 offset0:26 offset1:27
	v_add_f64 v[28:29], v[28:29], -v[46:47]
	;; [unrolled: 18-line block ×3, first 2 shown]
	s_waitcnt lgkmcnt(1)
	v_mul_f64 v[46:47], v[98:99], v[104:105]
	v_fma_f64 v[46:47], v[96:97], v[44:45], -v[46:47]
	v_mul_f64 v[96:97], v[96:97], v[104:105]
	v_fmac_f64_e32 v[96:97], v[98:99], v[44:45]
	s_waitcnt vmcnt(1)
	v_add_f64 v[16:17], v[16:17], -v[46:47]
	v_add_f64 v[18:19], v[18:19], -v[96:97]
	s_waitcnt lgkmcnt(0)
	v_mul_f64 v[46:47], v[102:103], v[104:105]
	v_mul_f64 v[96:97], v[100:101], v[104:105]
	v_fma_f64 v[46:47], v[100:101], v[44:45], -v[46:47]
	v_fmac_f64_e32 v[96:97], v[102:103], v[44:45]
	s_waitcnt vmcnt(0)
	v_add_f64 v[60:61], v[60:61], -v[46:47]
	v_add_f64 v[62:63], v[62:63], -v[96:97]
	v_mov_b64_e32 v[46:47], v[104:105]
.LBB31_73:
	s_or_b64 exec, exec, s[2:3]
	v_cmp_eq_u32_e32 vcc, 8, v162
	s_waitcnt lgkmcnt(0)
	s_barrier
	s_and_saveexec_b64 s[4:5], vcc
	s_cbranch_execz .LBB31_80
; %bb.74:
	s_waitcnt vmcnt(7)
	ds_write2_b64 v163, v[40:41], v[42:43] offset1:1
	s_waitcnt vmcnt(6)
	ds_write2_b64 v164, v[36:37], v[38:39] offset0:18 offset1:19
	s_waitcnt vmcnt(5)
	ds_write2_b64 v164, v[32:33], v[34:35] offset0:20 offset1:21
	;; [unrolled: 2-line block ×7, first 2 shown]
	ds_read2_b64 v[96:99], v163 offset1:1
	s_waitcnt lgkmcnt(0)
	v_cmp_neq_f64_e32 vcc, 0, v[96:97]
	v_cmp_neq_f64_e64 s[2:3], 0, v[98:99]
	s_or_b64 s[2:3], vcc, s[2:3]
	s_and_b64 exec, exec, s[2:3]
	s_cbranch_execz .LBB31_80
; %bb.75:
	v_cmp_ngt_f64_e64 s[2:3], |v[96:97]|, |v[98:99]|
                                        ; implicit-def: $vgpr100_vgpr101
	s_and_saveexec_b64 s[10:11], s[2:3]
	s_xor_b64 s[2:3], exec, s[10:11]
                                        ; implicit-def: $vgpr102_vgpr103
	s_cbranch_execz .LBB31_77
; %bb.76:
	v_div_scale_f64 v[100:101], s[10:11], v[98:99], v[98:99], v[96:97]
	v_rcp_f64_e32 v[102:103], v[100:101]
	v_div_scale_f64 v[104:105], vcc, v[96:97], v[98:99], v[96:97]
	v_fma_f64 v[106:107], -v[100:101], v[102:103], 1.0
	v_fmac_f64_e32 v[102:103], v[102:103], v[106:107]
	v_fma_f64 v[106:107], -v[100:101], v[102:103], 1.0
	v_fmac_f64_e32 v[102:103], v[102:103], v[106:107]
	v_mul_f64 v[106:107], v[104:105], v[102:103]
	v_fma_f64 v[100:101], -v[100:101], v[106:107], v[104:105]
	v_div_fmas_f64 v[100:101], v[100:101], v[102:103], v[106:107]
	v_div_fixup_f64 v[100:101], v[100:101], v[98:99], v[96:97]
	v_fmac_f64_e32 v[98:99], v[96:97], v[100:101]
	v_div_scale_f64 v[96:97], s[10:11], v[98:99], v[98:99], 1.0
	v_rcp_f64_e32 v[102:103], v[96:97]
	s_nop 0
	v_fma_f64 v[104:105], -v[96:97], v[102:103], 1.0
	v_fmac_f64_e32 v[102:103], v[102:103], v[104:105]
	v_fma_f64 v[104:105], -v[96:97], v[102:103], 1.0
	v_fmac_f64_e32 v[102:103], v[102:103], v[104:105]
	v_div_scale_f64 v[104:105], vcc, 1.0, v[98:99], 1.0
	v_mul_f64 v[106:107], v[104:105], v[102:103]
	v_fma_f64 v[96:97], -v[96:97], v[106:107], v[104:105]
	s_nop 1
	v_div_fmas_f64 v[96:97], v[96:97], v[102:103], v[106:107]
	v_div_fixup_f64 v[102:103], v[96:97], v[98:99], 1.0
	v_mul_f64 v[100:101], v[100:101], v[102:103]
	v_xor_b32_e32 v103, 0x80000000, v103
                                        ; implicit-def: $vgpr96_vgpr97
.LBB31_77:
	s_andn2_saveexec_b64 s[2:3], s[2:3]
	s_cbranch_execz .LBB31_79
; %bb.78:
	v_div_scale_f64 v[100:101], s[10:11], v[96:97], v[96:97], v[98:99]
	v_rcp_f64_e32 v[102:103], v[100:101]
	v_div_scale_f64 v[104:105], vcc, v[98:99], v[96:97], v[98:99]
	v_fma_f64 v[106:107], -v[100:101], v[102:103], 1.0
	v_fmac_f64_e32 v[102:103], v[102:103], v[106:107]
	v_fma_f64 v[106:107], -v[100:101], v[102:103], 1.0
	v_fmac_f64_e32 v[102:103], v[102:103], v[106:107]
	v_mul_f64 v[106:107], v[104:105], v[102:103]
	v_fma_f64 v[100:101], -v[100:101], v[106:107], v[104:105]
	v_div_fmas_f64 v[100:101], v[100:101], v[102:103], v[106:107]
	v_div_fixup_f64 v[102:103], v[100:101], v[96:97], v[98:99]
	v_fmac_f64_e32 v[96:97], v[98:99], v[102:103]
	v_div_scale_f64 v[98:99], s[10:11], v[96:97], v[96:97], 1.0
	v_rcp_f64_e32 v[100:101], v[98:99]
	s_nop 0
	v_fma_f64 v[104:105], -v[98:99], v[100:101], 1.0
	v_fmac_f64_e32 v[100:101], v[100:101], v[104:105]
	v_fma_f64 v[104:105], -v[98:99], v[100:101], 1.0
	v_fmac_f64_e32 v[100:101], v[100:101], v[104:105]
	v_div_scale_f64 v[104:105], vcc, 1.0, v[96:97], 1.0
	v_mul_f64 v[106:107], v[104:105], v[100:101]
	v_fma_f64 v[98:99], -v[98:99], v[106:107], v[104:105]
	s_nop 1
	v_div_fmas_f64 v[98:99], v[98:99], v[100:101], v[106:107]
	v_div_fixup_f64 v[100:101], v[98:99], v[96:97], 1.0
	v_mul_f64 v[102:103], v[102:103], -v[100:101]
.LBB31_79:
	s_or_b64 exec, exec, s[2:3]
	ds_write2_b64 v163, v[100:101], v[102:103] offset1:1
.LBB31_80:
	s_or_b64 exec, exec, s[4:5]
	s_waitcnt lgkmcnt(0)
	s_barrier
	ds_read2_b64 v[96:99], v163 offset1:1
	v_cmp_lt_u32_e32 vcc, 8, v162
	s_and_saveexec_b64 s[2:3], vcc
	s_cbranch_execz .LBB31_82
; %bb.81:
	ds_read2_b64 v[100:103], v164 offset0:18 offset1:19
	ds_read2_b64 v[104:107], v164 offset0:20 offset1:21
	s_waitcnt vmcnt(7) lgkmcnt(2)
	v_mul_f64 v[108:109], v[96:97], v[42:43]
	v_fmac_f64_e32 v[108:109], v[98:99], v[40:41]
	v_mul_f64 v[42:43], v[98:99], v[42:43]
	v_fma_f64 v[40:41], v[96:97], v[40:41], -v[42:43]
	s_waitcnt lgkmcnt(1)
	v_mul_f64 v[42:43], v[102:103], v[108:109]
	v_fma_f64 v[42:43], v[100:101], v[40:41], -v[42:43]
	v_mul_f64 v[100:101], v[100:101], v[108:109]
	v_fmac_f64_e32 v[100:101], v[102:103], v[40:41]
	s_waitcnt vmcnt(6)
	v_add_f64 v[38:39], v[38:39], -v[100:101]
	ds_read2_b64 v[100:103], v164 offset0:22 offset1:23
	v_add_f64 v[36:37], v[36:37], -v[42:43]
	s_waitcnt lgkmcnt(1)
	v_mul_f64 v[42:43], v[106:107], v[108:109]
	v_fma_f64 v[42:43], v[104:105], v[40:41], -v[42:43]
	v_mul_f64 v[104:105], v[104:105], v[108:109]
	v_fmac_f64_e32 v[104:105], v[106:107], v[40:41]
	s_waitcnt vmcnt(5)
	v_add_f64 v[32:33], v[32:33], -v[42:43]
	v_add_f64 v[34:35], v[34:35], -v[104:105]
	ds_read2_b64 v[104:107], v164 offset0:24 offset1:25
	s_waitcnt lgkmcnt(1)
	v_mul_f64 v[42:43], v[102:103], v[108:109]
	v_fma_f64 v[42:43], v[100:101], v[40:41], -v[42:43]
	v_mul_f64 v[100:101], v[100:101], v[108:109]
	v_fmac_f64_e32 v[100:101], v[102:103], v[40:41]
	s_waitcnt vmcnt(4)
	v_add_f64 v[30:31], v[30:31], -v[100:101]
	ds_read2_b64 v[100:103], v164 offset0:26 offset1:27
	v_add_f64 v[28:29], v[28:29], -v[42:43]
	s_waitcnt lgkmcnt(1)
	v_mul_f64 v[42:43], v[106:107], v[108:109]
	v_fma_f64 v[42:43], v[104:105], v[40:41], -v[42:43]
	v_mul_f64 v[104:105], v[104:105], v[108:109]
	v_fmac_f64_e32 v[104:105], v[106:107], v[40:41]
	s_waitcnt vmcnt(3)
	v_add_f64 v[24:25], v[24:25], -v[42:43]
	v_add_f64 v[26:27], v[26:27], -v[104:105]
	ds_read2_b64 v[104:107], v164 offset0:28 offset1:29
	s_waitcnt lgkmcnt(1)
	v_mul_f64 v[42:43], v[102:103], v[108:109]
	v_fma_f64 v[42:43], v[100:101], v[40:41], -v[42:43]
	v_mul_f64 v[100:101], v[100:101], v[108:109]
	v_fmac_f64_e32 v[100:101], v[102:103], v[40:41]
	s_waitcnt vmcnt(2)
	v_add_f64 v[22:23], v[22:23], -v[100:101]
	ds_read2_b64 v[100:103], v164 offset0:30 offset1:31
	v_add_f64 v[20:21], v[20:21], -v[42:43]
	s_waitcnt lgkmcnt(1)
	v_mul_f64 v[42:43], v[106:107], v[108:109]
	v_fma_f64 v[42:43], v[104:105], v[40:41], -v[42:43]
	s_waitcnt vmcnt(1)
	v_add_f64 v[16:17], v[16:17], -v[42:43]
	s_waitcnt lgkmcnt(0)
	v_mul_f64 v[42:43], v[102:103], v[108:109]
	v_mul_f64 v[104:105], v[104:105], v[108:109]
	v_fma_f64 v[42:43], v[100:101], v[40:41], -v[42:43]
	v_mul_f64 v[100:101], v[100:101], v[108:109]
	v_fmac_f64_e32 v[104:105], v[106:107], v[40:41]
	v_fmac_f64_e32 v[100:101], v[102:103], v[40:41]
	v_add_f64 v[18:19], v[18:19], -v[104:105]
	s_waitcnt vmcnt(0)
	v_add_f64 v[60:61], v[60:61], -v[42:43]
	v_add_f64 v[62:63], v[62:63], -v[100:101]
	v_mov_b64_e32 v[42:43], v[108:109]
.LBB31_82:
	s_or_b64 exec, exec, s[2:3]
	v_cmp_eq_u32_e32 vcc, 9, v162
	s_waitcnt lgkmcnt(0)
	s_barrier
	s_and_saveexec_b64 s[4:5], vcc
	s_cbranch_execz .LBB31_89
; %bb.83:
	s_waitcnt vmcnt(6)
	ds_write2_b64 v163, v[36:37], v[38:39] offset1:1
	s_waitcnt vmcnt(5)
	ds_write2_b64 v164, v[32:33], v[34:35] offset0:20 offset1:21
	s_waitcnt vmcnt(4)
	ds_write2_b64 v164, v[28:29], v[30:31] offset0:22 offset1:23
	s_waitcnt vmcnt(3)
	ds_write2_b64 v164, v[24:25], v[26:27] offset0:24 offset1:25
	s_waitcnt vmcnt(2)
	ds_write2_b64 v164, v[20:21], v[22:23] offset0:26 offset1:27
	s_waitcnt vmcnt(1)
	ds_write2_b64 v164, v[16:17], v[18:19] offset0:28 offset1:29
	s_waitcnt vmcnt(0)
	ds_write2_b64 v164, v[60:61], v[62:63] offset0:30 offset1:31
	ds_read2_b64 v[100:103], v163 offset1:1
	s_waitcnt lgkmcnt(0)
	v_cmp_neq_f64_e32 vcc, 0, v[100:101]
	v_cmp_neq_f64_e64 s[2:3], 0, v[102:103]
	s_or_b64 s[2:3], vcc, s[2:3]
	s_and_b64 exec, exec, s[2:3]
	s_cbranch_execz .LBB31_89
; %bb.84:
	v_cmp_ngt_f64_e64 s[2:3], |v[100:101]|, |v[102:103]|
                                        ; implicit-def: $vgpr104_vgpr105
	s_and_saveexec_b64 s[10:11], s[2:3]
	s_xor_b64 s[2:3], exec, s[10:11]
                                        ; implicit-def: $vgpr106_vgpr107
	s_cbranch_execz .LBB31_86
; %bb.85:
	v_div_scale_f64 v[104:105], s[10:11], v[102:103], v[102:103], v[100:101]
	v_rcp_f64_e32 v[106:107], v[104:105]
	v_div_scale_f64 v[108:109], vcc, v[100:101], v[102:103], v[100:101]
	v_fma_f64 v[110:111], -v[104:105], v[106:107], 1.0
	v_fmac_f64_e32 v[106:107], v[106:107], v[110:111]
	v_fma_f64 v[110:111], -v[104:105], v[106:107], 1.0
	v_fmac_f64_e32 v[106:107], v[106:107], v[110:111]
	v_mul_f64 v[110:111], v[108:109], v[106:107]
	v_fma_f64 v[104:105], -v[104:105], v[110:111], v[108:109]
	v_div_fmas_f64 v[104:105], v[104:105], v[106:107], v[110:111]
	v_div_fixup_f64 v[104:105], v[104:105], v[102:103], v[100:101]
	v_fmac_f64_e32 v[102:103], v[100:101], v[104:105]
	v_div_scale_f64 v[100:101], s[10:11], v[102:103], v[102:103], 1.0
	v_rcp_f64_e32 v[106:107], v[100:101]
	s_nop 0
	v_fma_f64 v[108:109], -v[100:101], v[106:107], 1.0
	v_fmac_f64_e32 v[106:107], v[106:107], v[108:109]
	v_fma_f64 v[108:109], -v[100:101], v[106:107], 1.0
	v_fmac_f64_e32 v[106:107], v[106:107], v[108:109]
	v_div_scale_f64 v[108:109], vcc, 1.0, v[102:103], 1.0
	v_mul_f64 v[110:111], v[108:109], v[106:107]
	v_fma_f64 v[100:101], -v[100:101], v[110:111], v[108:109]
	s_nop 1
	v_div_fmas_f64 v[100:101], v[100:101], v[106:107], v[110:111]
	v_div_fixup_f64 v[106:107], v[100:101], v[102:103], 1.0
	v_mul_f64 v[104:105], v[104:105], v[106:107]
	v_xor_b32_e32 v107, 0x80000000, v107
                                        ; implicit-def: $vgpr100_vgpr101
.LBB31_86:
	s_andn2_saveexec_b64 s[2:3], s[2:3]
	s_cbranch_execz .LBB31_88
; %bb.87:
	v_div_scale_f64 v[104:105], s[10:11], v[100:101], v[100:101], v[102:103]
	v_rcp_f64_e32 v[106:107], v[104:105]
	v_div_scale_f64 v[108:109], vcc, v[102:103], v[100:101], v[102:103]
	v_fma_f64 v[110:111], -v[104:105], v[106:107], 1.0
	v_fmac_f64_e32 v[106:107], v[106:107], v[110:111]
	v_fma_f64 v[110:111], -v[104:105], v[106:107], 1.0
	v_fmac_f64_e32 v[106:107], v[106:107], v[110:111]
	v_mul_f64 v[110:111], v[108:109], v[106:107]
	v_fma_f64 v[104:105], -v[104:105], v[110:111], v[108:109]
	v_div_fmas_f64 v[104:105], v[104:105], v[106:107], v[110:111]
	v_div_fixup_f64 v[106:107], v[104:105], v[100:101], v[102:103]
	v_fmac_f64_e32 v[100:101], v[102:103], v[106:107]
	v_div_scale_f64 v[102:103], s[10:11], v[100:101], v[100:101], 1.0
	v_rcp_f64_e32 v[104:105], v[102:103]
	s_nop 0
	v_fma_f64 v[108:109], -v[102:103], v[104:105], 1.0
	v_fmac_f64_e32 v[104:105], v[104:105], v[108:109]
	v_fma_f64 v[108:109], -v[102:103], v[104:105], 1.0
	v_fmac_f64_e32 v[104:105], v[104:105], v[108:109]
	v_div_scale_f64 v[108:109], vcc, 1.0, v[100:101], 1.0
	v_mul_f64 v[110:111], v[108:109], v[104:105]
	v_fma_f64 v[102:103], -v[102:103], v[110:111], v[108:109]
	s_nop 1
	v_div_fmas_f64 v[102:103], v[102:103], v[104:105], v[110:111]
	v_div_fixup_f64 v[104:105], v[102:103], v[100:101], 1.0
	v_mul_f64 v[106:107], v[106:107], -v[104:105]
.LBB31_88:
	s_or_b64 exec, exec, s[2:3]
	ds_write2_b64 v163, v[104:105], v[106:107] offset1:1
.LBB31_89:
	s_or_b64 exec, exec, s[4:5]
	s_waitcnt lgkmcnt(0)
	s_barrier
	ds_read2_b64 v[100:103], v163 offset1:1
	v_cmp_lt_u32_e32 vcc, 9, v162
	s_and_saveexec_b64 s[2:3], vcc
	s_cbranch_execz .LBB31_91
; %bb.90:
	ds_read2_b64 v[104:107], v164 offset0:20 offset1:21
	ds_read2_b64 v[108:111], v164 offset0:22 offset1:23
	s_waitcnt vmcnt(6) lgkmcnt(2)
	v_mul_f64 v[112:113], v[100:101], v[38:39]
	v_fmac_f64_e32 v[112:113], v[102:103], v[36:37]
	v_mul_f64 v[38:39], v[102:103], v[38:39]
	v_fma_f64 v[36:37], v[100:101], v[36:37], -v[38:39]
	s_waitcnt lgkmcnt(1)
	v_mul_f64 v[38:39], v[106:107], v[112:113]
	v_fma_f64 v[38:39], v[104:105], v[36:37], -v[38:39]
	v_mul_f64 v[104:105], v[104:105], v[112:113]
	v_fmac_f64_e32 v[104:105], v[106:107], v[36:37]
	s_waitcnt vmcnt(5)
	v_add_f64 v[32:33], v[32:33], -v[38:39]
	v_add_f64 v[34:35], v[34:35], -v[104:105]
	s_waitcnt lgkmcnt(0)
	v_mul_f64 v[38:39], v[110:111], v[112:113]
	ds_read2_b64 v[104:107], v164 offset0:24 offset1:25
	v_fma_f64 v[38:39], v[108:109], v[36:37], -v[38:39]
	v_mul_f64 v[108:109], v[108:109], v[112:113]
	v_fmac_f64_e32 v[108:109], v[110:111], v[36:37]
	s_waitcnt vmcnt(4)
	v_add_f64 v[30:31], v[30:31], -v[108:109]
	ds_read2_b64 v[108:111], v164 offset0:26 offset1:27
	v_add_f64 v[28:29], v[28:29], -v[38:39]
	s_waitcnt lgkmcnt(1)
	v_mul_f64 v[38:39], v[106:107], v[112:113]
	v_fma_f64 v[38:39], v[104:105], v[36:37], -v[38:39]
	v_mul_f64 v[104:105], v[104:105], v[112:113]
	v_fmac_f64_e32 v[104:105], v[106:107], v[36:37]
	s_waitcnt vmcnt(3)
	v_add_f64 v[24:25], v[24:25], -v[38:39]
	v_add_f64 v[26:27], v[26:27], -v[104:105]
	s_waitcnt lgkmcnt(0)
	v_mul_f64 v[38:39], v[110:111], v[112:113]
	ds_read2_b64 v[104:107], v164 offset0:28 offset1:29
	v_fma_f64 v[38:39], v[108:109], v[36:37], -v[38:39]
	v_mul_f64 v[108:109], v[108:109], v[112:113]
	v_fmac_f64_e32 v[108:109], v[110:111], v[36:37]
	s_waitcnt vmcnt(2)
	v_add_f64 v[22:23], v[22:23], -v[108:109]
	ds_read2_b64 v[108:111], v164 offset0:30 offset1:31
	v_add_f64 v[20:21], v[20:21], -v[38:39]
	s_waitcnt lgkmcnt(1)
	v_mul_f64 v[38:39], v[106:107], v[112:113]
	v_fma_f64 v[38:39], v[104:105], v[36:37], -v[38:39]
	v_mul_f64 v[104:105], v[104:105], v[112:113]
	v_fmac_f64_e32 v[104:105], v[106:107], v[36:37]
	s_waitcnt vmcnt(1)
	v_add_f64 v[16:17], v[16:17], -v[38:39]
	v_add_f64 v[18:19], v[18:19], -v[104:105]
	s_waitcnt lgkmcnt(0)
	v_mul_f64 v[38:39], v[110:111], v[112:113]
	v_mul_f64 v[104:105], v[108:109], v[112:113]
	v_fma_f64 v[38:39], v[108:109], v[36:37], -v[38:39]
	v_fmac_f64_e32 v[104:105], v[110:111], v[36:37]
	s_waitcnt vmcnt(0)
	v_add_f64 v[60:61], v[60:61], -v[38:39]
	v_add_f64 v[62:63], v[62:63], -v[104:105]
	v_mov_b64_e32 v[38:39], v[112:113]
.LBB31_91:
	s_or_b64 exec, exec, s[2:3]
	v_cmp_eq_u32_e32 vcc, 10, v162
	s_waitcnt lgkmcnt(0)
	s_barrier
	s_and_saveexec_b64 s[4:5], vcc
	s_cbranch_execz .LBB31_98
; %bb.92:
	s_waitcnt vmcnt(5)
	ds_write2_b64 v163, v[32:33], v[34:35] offset1:1
	s_waitcnt vmcnt(4)
	ds_write2_b64 v164, v[28:29], v[30:31] offset0:22 offset1:23
	s_waitcnt vmcnt(3)
	ds_write2_b64 v164, v[24:25], v[26:27] offset0:24 offset1:25
	;; [unrolled: 2-line block ×5, first 2 shown]
	ds_read2_b64 v[104:107], v163 offset1:1
	s_waitcnt lgkmcnt(0)
	v_cmp_neq_f64_e32 vcc, 0, v[104:105]
	v_cmp_neq_f64_e64 s[2:3], 0, v[106:107]
	s_or_b64 s[2:3], vcc, s[2:3]
	s_and_b64 exec, exec, s[2:3]
	s_cbranch_execz .LBB31_98
; %bb.93:
	v_cmp_ngt_f64_e64 s[2:3], |v[104:105]|, |v[106:107]|
                                        ; implicit-def: $vgpr108_vgpr109
	s_and_saveexec_b64 s[10:11], s[2:3]
	s_xor_b64 s[2:3], exec, s[10:11]
                                        ; implicit-def: $vgpr110_vgpr111
	s_cbranch_execz .LBB31_95
; %bb.94:
	v_div_scale_f64 v[108:109], s[10:11], v[106:107], v[106:107], v[104:105]
	v_rcp_f64_e32 v[110:111], v[108:109]
	v_div_scale_f64 v[112:113], vcc, v[104:105], v[106:107], v[104:105]
	v_fma_f64 v[114:115], -v[108:109], v[110:111], 1.0
	v_fmac_f64_e32 v[110:111], v[110:111], v[114:115]
	v_fma_f64 v[114:115], -v[108:109], v[110:111], 1.0
	v_fmac_f64_e32 v[110:111], v[110:111], v[114:115]
	v_mul_f64 v[114:115], v[112:113], v[110:111]
	v_fma_f64 v[108:109], -v[108:109], v[114:115], v[112:113]
	v_div_fmas_f64 v[108:109], v[108:109], v[110:111], v[114:115]
	v_div_fixup_f64 v[108:109], v[108:109], v[106:107], v[104:105]
	v_fmac_f64_e32 v[106:107], v[104:105], v[108:109]
	v_div_scale_f64 v[104:105], s[10:11], v[106:107], v[106:107], 1.0
	v_rcp_f64_e32 v[110:111], v[104:105]
	s_nop 0
	v_fma_f64 v[112:113], -v[104:105], v[110:111], 1.0
	v_fmac_f64_e32 v[110:111], v[110:111], v[112:113]
	v_fma_f64 v[112:113], -v[104:105], v[110:111], 1.0
	v_fmac_f64_e32 v[110:111], v[110:111], v[112:113]
	v_div_scale_f64 v[112:113], vcc, 1.0, v[106:107], 1.0
	v_mul_f64 v[114:115], v[112:113], v[110:111]
	v_fma_f64 v[104:105], -v[104:105], v[114:115], v[112:113]
	s_nop 1
	v_div_fmas_f64 v[104:105], v[104:105], v[110:111], v[114:115]
	v_div_fixup_f64 v[110:111], v[104:105], v[106:107], 1.0
	v_mul_f64 v[108:109], v[108:109], v[110:111]
	v_xor_b32_e32 v111, 0x80000000, v111
                                        ; implicit-def: $vgpr104_vgpr105
.LBB31_95:
	s_andn2_saveexec_b64 s[2:3], s[2:3]
	s_cbranch_execz .LBB31_97
; %bb.96:
	v_div_scale_f64 v[108:109], s[10:11], v[104:105], v[104:105], v[106:107]
	v_rcp_f64_e32 v[110:111], v[108:109]
	v_div_scale_f64 v[112:113], vcc, v[106:107], v[104:105], v[106:107]
	v_fma_f64 v[114:115], -v[108:109], v[110:111], 1.0
	v_fmac_f64_e32 v[110:111], v[110:111], v[114:115]
	v_fma_f64 v[114:115], -v[108:109], v[110:111], 1.0
	v_fmac_f64_e32 v[110:111], v[110:111], v[114:115]
	v_mul_f64 v[114:115], v[112:113], v[110:111]
	v_fma_f64 v[108:109], -v[108:109], v[114:115], v[112:113]
	v_div_fmas_f64 v[108:109], v[108:109], v[110:111], v[114:115]
	v_div_fixup_f64 v[110:111], v[108:109], v[104:105], v[106:107]
	v_fmac_f64_e32 v[104:105], v[106:107], v[110:111]
	v_div_scale_f64 v[106:107], s[10:11], v[104:105], v[104:105], 1.0
	v_rcp_f64_e32 v[108:109], v[106:107]
	s_nop 0
	v_fma_f64 v[112:113], -v[106:107], v[108:109], 1.0
	v_fmac_f64_e32 v[108:109], v[108:109], v[112:113]
	v_fma_f64 v[112:113], -v[106:107], v[108:109], 1.0
	v_fmac_f64_e32 v[108:109], v[108:109], v[112:113]
	v_div_scale_f64 v[112:113], vcc, 1.0, v[104:105], 1.0
	v_mul_f64 v[114:115], v[112:113], v[108:109]
	v_fma_f64 v[106:107], -v[106:107], v[114:115], v[112:113]
	s_nop 1
	v_div_fmas_f64 v[106:107], v[106:107], v[108:109], v[114:115]
	v_div_fixup_f64 v[108:109], v[106:107], v[104:105], 1.0
	v_mul_f64 v[110:111], v[110:111], -v[108:109]
.LBB31_97:
	s_or_b64 exec, exec, s[2:3]
	ds_write2_b64 v163, v[108:109], v[110:111] offset1:1
.LBB31_98:
	s_or_b64 exec, exec, s[4:5]
	s_waitcnt lgkmcnt(0)
	s_barrier
	ds_read2_b64 v[104:107], v163 offset1:1
	v_cmp_lt_u32_e32 vcc, 10, v162
	s_and_saveexec_b64 s[2:3], vcc
	s_cbranch_execz .LBB31_100
; %bb.99:
	ds_read2_b64 v[108:111], v164 offset0:22 offset1:23
	ds_read2_b64 v[112:115], v164 offset0:24 offset1:25
	s_waitcnt vmcnt(5) lgkmcnt(2)
	v_mul_f64 v[116:117], v[104:105], v[34:35]
	v_fmac_f64_e32 v[116:117], v[106:107], v[32:33]
	v_mul_f64 v[34:35], v[106:107], v[34:35]
	v_fma_f64 v[32:33], v[104:105], v[32:33], -v[34:35]
	s_waitcnt lgkmcnt(1)
	v_mul_f64 v[34:35], v[110:111], v[116:117]
	v_fma_f64 v[34:35], v[108:109], v[32:33], -v[34:35]
	v_mul_f64 v[108:109], v[108:109], v[116:117]
	v_fmac_f64_e32 v[108:109], v[110:111], v[32:33]
	s_waitcnt vmcnt(4)
	v_add_f64 v[30:31], v[30:31], -v[108:109]
	ds_read2_b64 v[108:111], v164 offset0:26 offset1:27
	v_add_f64 v[28:29], v[28:29], -v[34:35]
	s_waitcnt lgkmcnt(1)
	v_mul_f64 v[34:35], v[114:115], v[116:117]
	v_fma_f64 v[34:35], v[112:113], v[32:33], -v[34:35]
	v_mul_f64 v[112:113], v[112:113], v[116:117]
	v_fmac_f64_e32 v[112:113], v[114:115], v[32:33]
	s_waitcnt vmcnt(3)
	v_add_f64 v[24:25], v[24:25], -v[34:35]
	v_add_f64 v[26:27], v[26:27], -v[112:113]
	ds_read2_b64 v[112:115], v164 offset0:28 offset1:29
	s_waitcnt lgkmcnt(1)
	v_mul_f64 v[34:35], v[110:111], v[116:117]
	v_fma_f64 v[34:35], v[108:109], v[32:33], -v[34:35]
	v_mul_f64 v[108:109], v[108:109], v[116:117]
	v_fmac_f64_e32 v[108:109], v[110:111], v[32:33]
	s_waitcnt vmcnt(2)
	v_add_f64 v[22:23], v[22:23], -v[108:109]
	ds_read2_b64 v[108:111], v164 offset0:30 offset1:31
	v_add_f64 v[20:21], v[20:21], -v[34:35]
	s_waitcnt lgkmcnt(1)
	v_mul_f64 v[34:35], v[114:115], v[116:117]
	v_fma_f64 v[34:35], v[112:113], v[32:33], -v[34:35]
	s_waitcnt vmcnt(1)
	v_add_f64 v[16:17], v[16:17], -v[34:35]
	s_waitcnt lgkmcnt(0)
	v_mul_f64 v[34:35], v[110:111], v[116:117]
	v_mul_f64 v[112:113], v[112:113], v[116:117]
	v_fma_f64 v[34:35], v[108:109], v[32:33], -v[34:35]
	v_mul_f64 v[108:109], v[108:109], v[116:117]
	v_fmac_f64_e32 v[112:113], v[114:115], v[32:33]
	v_fmac_f64_e32 v[108:109], v[110:111], v[32:33]
	v_add_f64 v[18:19], v[18:19], -v[112:113]
	s_waitcnt vmcnt(0)
	v_add_f64 v[60:61], v[60:61], -v[34:35]
	v_add_f64 v[62:63], v[62:63], -v[108:109]
	v_mov_b64_e32 v[34:35], v[116:117]
.LBB31_100:
	s_or_b64 exec, exec, s[2:3]
	v_cmp_eq_u32_e32 vcc, 11, v162
	s_waitcnt lgkmcnt(0)
	s_barrier
	s_and_saveexec_b64 s[4:5], vcc
	s_cbranch_execz .LBB31_107
; %bb.101:
	s_waitcnt vmcnt(4)
	ds_write2_b64 v163, v[28:29], v[30:31] offset1:1
	s_waitcnt vmcnt(3)
	ds_write2_b64 v164, v[24:25], v[26:27] offset0:24 offset1:25
	s_waitcnt vmcnt(2)
	ds_write2_b64 v164, v[20:21], v[22:23] offset0:26 offset1:27
	;; [unrolled: 2-line block ×4, first 2 shown]
	ds_read2_b64 v[108:111], v163 offset1:1
	s_waitcnt lgkmcnt(0)
	v_cmp_neq_f64_e32 vcc, 0, v[108:109]
	v_cmp_neq_f64_e64 s[2:3], 0, v[110:111]
	s_or_b64 s[2:3], vcc, s[2:3]
	s_and_b64 exec, exec, s[2:3]
	s_cbranch_execz .LBB31_107
; %bb.102:
	v_cmp_ngt_f64_e64 s[2:3], |v[108:109]|, |v[110:111]|
                                        ; implicit-def: $vgpr112_vgpr113
	s_and_saveexec_b64 s[10:11], s[2:3]
	s_xor_b64 s[2:3], exec, s[10:11]
                                        ; implicit-def: $vgpr114_vgpr115
	s_cbranch_execz .LBB31_104
; %bb.103:
	v_div_scale_f64 v[112:113], s[10:11], v[110:111], v[110:111], v[108:109]
	v_rcp_f64_e32 v[114:115], v[112:113]
	v_div_scale_f64 v[116:117], vcc, v[108:109], v[110:111], v[108:109]
	v_fma_f64 v[118:119], -v[112:113], v[114:115], 1.0
	v_fmac_f64_e32 v[114:115], v[114:115], v[118:119]
	v_fma_f64 v[118:119], -v[112:113], v[114:115], 1.0
	v_fmac_f64_e32 v[114:115], v[114:115], v[118:119]
	v_mul_f64 v[118:119], v[116:117], v[114:115]
	v_fma_f64 v[112:113], -v[112:113], v[118:119], v[116:117]
	v_div_fmas_f64 v[112:113], v[112:113], v[114:115], v[118:119]
	v_div_fixup_f64 v[112:113], v[112:113], v[110:111], v[108:109]
	v_fmac_f64_e32 v[110:111], v[108:109], v[112:113]
	v_div_scale_f64 v[108:109], s[10:11], v[110:111], v[110:111], 1.0
	v_rcp_f64_e32 v[114:115], v[108:109]
	s_nop 0
	v_fma_f64 v[116:117], -v[108:109], v[114:115], 1.0
	v_fmac_f64_e32 v[114:115], v[114:115], v[116:117]
	v_fma_f64 v[116:117], -v[108:109], v[114:115], 1.0
	v_fmac_f64_e32 v[114:115], v[114:115], v[116:117]
	v_div_scale_f64 v[116:117], vcc, 1.0, v[110:111], 1.0
	v_mul_f64 v[118:119], v[116:117], v[114:115]
	v_fma_f64 v[108:109], -v[108:109], v[118:119], v[116:117]
	s_nop 1
	v_div_fmas_f64 v[108:109], v[108:109], v[114:115], v[118:119]
	v_div_fixup_f64 v[114:115], v[108:109], v[110:111], 1.0
	v_mul_f64 v[112:113], v[112:113], v[114:115]
	v_xor_b32_e32 v115, 0x80000000, v115
                                        ; implicit-def: $vgpr108_vgpr109
.LBB31_104:
	s_andn2_saveexec_b64 s[2:3], s[2:3]
	s_cbranch_execz .LBB31_106
; %bb.105:
	v_div_scale_f64 v[112:113], s[10:11], v[108:109], v[108:109], v[110:111]
	v_rcp_f64_e32 v[114:115], v[112:113]
	v_div_scale_f64 v[116:117], vcc, v[110:111], v[108:109], v[110:111]
	v_fma_f64 v[118:119], -v[112:113], v[114:115], 1.0
	v_fmac_f64_e32 v[114:115], v[114:115], v[118:119]
	v_fma_f64 v[118:119], -v[112:113], v[114:115], 1.0
	v_fmac_f64_e32 v[114:115], v[114:115], v[118:119]
	v_mul_f64 v[118:119], v[116:117], v[114:115]
	v_fma_f64 v[112:113], -v[112:113], v[118:119], v[116:117]
	v_div_fmas_f64 v[112:113], v[112:113], v[114:115], v[118:119]
	v_div_fixup_f64 v[114:115], v[112:113], v[108:109], v[110:111]
	v_fmac_f64_e32 v[108:109], v[110:111], v[114:115]
	v_div_scale_f64 v[110:111], s[10:11], v[108:109], v[108:109], 1.0
	v_rcp_f64_e32 v[112:113], v[110:111]
	s_nop 0
	v_fma_f64 v[116:117], -v[110:111], v[112:113], 1.0
	v_fmac_f64_e32 v[112:113], v[112:113], v[116:117]
	v_fma_f64 v[116:117], -v[110:111], v[112:113], 1.0
	v_fmac_f64_e32 v[112:113], v[112:113], v[116:117]
	v_div_scale_f64 v[116:117], vcc, 1.0, v[108:109], 1.0
	v_mul_f64 v[118:119], v[116:117], v[112:113]
	v_fma_f64 v[110:111], -v[110:111], v[118:119], v[116:117]
	s_nop 1
	v_div_fmas_f64 v[110:111], v[110:111], v[112:113], v[118:119]
	v_div_fixup_f64 v[112:113], v[110:111], v[108:109], 1.0
	v_mul_f64 v[114:115], v[114:115], -v[112:113]
.LBB31_106:
	s_or_b64 exec, exec, s[2:3]
	ds_write2_b64 v163, v[112:113], v[114:115] offset1:1
.LBB31_107:
	s_or_b64 exec, exec, s[4:5]
	s_waitcnt lgkmcnt(0)
	s_barrier
	ds_read2_b64 v[108:111], v163 offset1:1
	v_cmp_lt_u32_e32 vcc, 11, v162
	s_and_saveexec_b64 s[2:3], vcc
	s_cbranch_execz .LBB31_109
; %bb.108:
	ds_read2_b64 v[112:115], v164 offset0:24 offset1:25
	ds_read2_b64 v[116:119], v164 offset0:26 offset1:27
	s_waitcnt vmcnt(4) lgkmcnt(2)
	v_mul_f64 v[120:121], v[108:109], v[30:31]
	v_fmac_f64_e32 v[120:121], v[110:111], v[28:29]
	v_mul_f64 v[30:31], v[110:111], v[30:31]
	v_fma_f64 v[28:29], v[108:109], v[28:29], -v[30:31]
	s_waitcnt lgkmcnt(1)
	v_mul_f64 v[30:31], v[114:115], v[120:121]
	v_fma_f64 v[30:31], v[112:113], v[28:29], -v[30:31]
	v_mul_f64 v[112:113], v[112:113], v[120:121]
	v_fmac_f64_e32 v[112:113], v[114:115], v[28:29]
	s_waitcnt vmcnt(3)
	v_add_f64 v[24:25], v[24:25], -v[30:31]
	v_add_f64 v[26:27], v[26:27], -v[112:113]
	s_waitcnt lgkmcnt(0)
	v_mul_f64 v[30:31], v[118:119], v[120:121]
	ds_read2_b64 v[112:115], v164 offset0:28 offset1:29
	v_fma_f64 v[30:31], v[116:117], v[28:29], -v[30:31]
	v_mul_f64 v[116:117], v[116:117], v[120:121]
	v_fmac_f64_e32 v[116:117], v[118:119], v[28:29]
	s_waitcnt vmcnt(2)
	v_add_f64 v[22:23], v[22:23], -v[116:117]
	ds_read2_b64 v[116:119], v164 offset0:30 offset1:31
	v_add_f64 v[20:21], v[20:21], -v[30:31]
	s_waitcnt lgkmcnt(1)
	v_mul_f64 v[30:31], v[114:115], v[120:121]
	v_fma_f64 v[30:31], v[112:113], v[28:29], -v[30:31]
	v_mul_f64 v[112:113], v[112:113], v[120:121]
	v_fmac_f64_e32 v[112:113], v[114:115], v[28:29]
	s_waitcnt vmcnt(1)
	v_add_f64 v[16:17], v[16:17], -v[30:31]
	v_add_f64 v[18:19], v[18:19], -v[112:113]
	s_waitcnt lgkmcnt(0)
	v_mul_f64 v[30:31], v[118:119], v[120:121]
	v_mul_f64 v[112:113], v[116:117], v[120:121]
	v_fma_f64 v[30:31], v[116:117], v[28:29], -v[30:31]
	v_fmac_f64_e32 v[112:113], v[118:119], v[28:29]
	s_waitcnt vmcnt(0)
	v_add_f64 v[60:61], v[60:61], -v[30:31]
	v_add_f64 v[62:63], v[62:63], -v[112:113]
	v_mov_b64_e32 v[30:31], v[120:121]
.LBB31_109:
	s_or_b64 exec, exec, s[2:3]
	v_cmp_eq_u32_e32 vcc, 12, v162
	s_waitcnt lgkmcnt(0)
	s_barrier
	s_and_saveexec_b64 s[4:5], vcc
	s_cbranch_execz .LBB31_116
; %bb.110:
	s_waitcnt vmcnt(3)
	ds_write2_b64 v163, v[24:25], v[26:27] offset1:1
	s_waitcnt vmcnt(2)
	ds_write2_b64 v164, v[20:21], v[22:23] offset0:26 offset1:27
	s_waitcnt vmcnt(1)
	ds_write2_b64 v164, v[16:17], v[18:19] offset0:28 offset1:29
	;; [unrolled: 2-line block ×3, first 2 shown]
	ds_read2_b64 v[112:115], v163 offset1:1
	s_waitcnt lgkmcnt(0)
	v_cmp_neq_f64_e32 vcc, 0, v[112:113]
	v_cmp_neq_f64_e64 s[2:3], 0, v[114:115]
	s_or_b64 s[2:3], vcc, s[2:3]
	s_and_b64 exec, exec, s[2:3]
	s_cbranch_execz .LBB31_116
; %bb.111:
	v_cmp_ngt_f64_e64 s[2:3], |v[112:113]|, |v[114:115]|
                                        ; implicit-def: $vgpr116_vgpr117
	s_and_saveexec_b64 s[10:11], s[2:3]
	s_xor_b64 s[2:3], exec, s[10:11]
                                        ; implicit-def: $vgpr118_vgpr119
	s_cbranch_execz .LBB31_113
; %bb.112:
	v_div_scale_f64 v[116:117], s[10:11], v[114:115], v[114:115], v[112:113]
	v_rcp_f64_e32 v[118:119], v[116:117]
	v_div_scale_f64 v[120:121], vcc, v[112:113], v[114:115], v[112:113]
	v_fma_f64 v[122:123], -v[116:117], v[118:119], 1.0
	v_fmac_f64_e32 v[118:119], v[118:119], v[122:123]
	v_fma_f64 v[122:123], -v[116:117], v[118:119], 1.0
	v_fmac_f64_e32 v[118:119], v[118:119], v[122:123]
	v_mul_f64 v[122:123], v[120:121], v[118:119]
	v_fma_f64 v[116:117], -v[116:117], v[122:123], v[120:121]
	v_div_fmas_f64 v[116:117], v[116:117], v[118:119], v[122:123]
	v_div_fixup_f64 v[116:117], v[116:117], v[114:115], v[112:113]
	v_fmac_f64_e32 v[114:115], v[112:113], v[116:117]
	v_div_scale_f64 v[112:113], s[10:11], v[114:115], v[114:115], 1.0
	v_rcp_f64_e32 v[118:119], v[112:113]
	s_nop 0
	v_fma_f64 v[120:121], -v[112:113], v[118:119], 1.0
	v_fmac_f64_e32 v[118:119], v[118:119], v[120:121]
	v_fma_f64 v[120:121], -v[112:113], v[118:119], 1.0
	v_fmac_f64_e32 v[118:119], v[118:119], v[120:121]
	v_div_scale_f64 v[120:121], vcc, 1.0, v[114:115], 1.0
	v_mul_f64 v[122:123], v[120:121], v[118:119]
	v_fma_f64 v[112:113], -v[112:113], v[122:123], v[120:121]
	s_nop 1
	v_div_fmas_f64 v[112:113], v[112:113], v[118:119], v[122:123]
	v_div_fixup_f64 v[118:119], v[112:113], v[114:115], 1.0
	v_mul_f64 v[116:117], v[116:117], v[118:119]
	v_xor_b32_e32 v119, 0x80000000, v119
                                        ; implicit-def: $vgpr112_vgpr113
.LBB31_113:
	s_andn2_saveexec_b64 s[2:3], s[2:3]
	s_cbranch_execz .LBB31_115
; %bb.114:
	v_div_scale_f64 v[116:117], s[10:11], v[112:113], v[112:113], v[114:115]
	v_rcp_f64_e32 v[118:119], v[116:117]
	v_div_scale_f64 v[120:121], vcc, v[114:115], v[112:113], v[114:115]
	v_fma_f64 v[122:123], -v[116:117], v[118:119], 1.0
	v_fmac_f64_e32 v[118:119], v[118:119], v[122:123]
	v_fma_f64 v[122:123], -v[116:117], v[118:119], 1.0
	v_fmac_f64_e32 v[118:119], v[118:119], v[122:123]
	v_mul_f64 v[122:123], v[120:121], v[118:119]
	v_fma_f64 v[116:117], -v[116:117], v[122:123], v[120:121]
	v_div_fmas_f64 v[116:117], v[116:117], v[118:119], v[122:123]
	v_div_fixup_f64 v[118:119], v[116:117], v[112:113], v[114:115]
	v_fmac_f64_e32 v[112:113], v[114:115], v[118:119]
	v_div_scale_f64 v[114:115], s[10:11], v[112:113], v[112:113], 1.0
	v_rcp_f64_e32 v[116:117], v[114:115]
	s_nop 0
	v_fma_f64 v[120:121], -v[114:115], v[116:117], 1.0
	v_fmac_f64_e32 v[116:117], v[116:117], v[120:121]
	v_fma_f64 v[120:121], -v[114:115], v[116:117], 1.0
	v_fmac_f64_e32 v[116:117], v[116:117], v[120:121]
	v_div_scale_f64 v[120:121], vcc, 1.0, v[112:113], 1.0
	v_mul_f64 v[122:123], v[120:121], v[116:117]
	v_fma_f64 v[114:115], -v[114:115], v[122:123], v[120:121]
	s_nop 1
	v_div_fmas_f64 v[114:115], v[114:115], v[116:117], v[122:123]
	v_div_fixup_f64 v[116:117], v[114:115], v[112:113], 1.0
	v_mul_f64 v[118:119], v[118:119], -v[116:117]
.LBB31_115:
	s_or_b64 exec, exec, s[2:3]
	ds_write2_b64 v163, v[116:117], v[118:119] offset1:1
.LBB31_116:
	s_or_b64 exec, exec, s[4:5]
	s_waitcnt lgkmcnt(0)
	s_barrier
	ds_read2_b64 v[112:115], v163 offset1:1
	v_cmp_lt_u32_e32 vcc, 12, v162
	s_and_saveexec_b64 s[2:3], vcc
	s_cbranch_execz .LBB31_118
; %bb.117:
	ds_read2_b64 v[116:119], v164 offset0:26 offset1:27
	ds_read2_b64 v[120:123], v164 offset0:28 offset1:29
	s_waitcnt vmcnt(3) lgkmcnt(2)
	v_mul_f64 v[124:125], v[112:113], v[26:27]
	v_fmac_f64_e32 v[124:125], v[114:115], v[24:25]
	v_mul_f64 v[26:27], v[114:115], v[26:27]
	v_fma_f64 v[24:25], v[112:113], v[24:25], -v[26:27]
	s_waitcnt lgkmcnt(1)
	v_mul_f64 v[26:27], v[118:119], v[124:125]
	v_fma_f64 v[26:27], v[116:117], v[24:25], -v[26:27]
	v_mul_f64 v[116:117], v[116:117], v[124:125]
	v_fmac_f64_e32 v[116:117], v[118:119], v[24:25]
	s_waitcnt vmcnt(2)
	v_add_f64 v[22:23], v[22:23], -v[116:117]
	ds_read2_b64 v[116:119], v164 offset0:30 offset1:31
	v_add_f64 v[20:21], v[20:21], -v[26:27]
	s_waitcnt lgkmcnt(1)
	v_mul_f64 v[26:27], v[122:123], v[124:125]
	v_fma_f64 v[26:27], v[120:121], v[24:25], -v[26:27]
	s_waitcnt vmcnt(1)
	v_add_f64 v[16:17], v[16:17], -v[26:27]
	s_waitcnt lgkmcnt(0)
	v_mul_f64 v[26:27], v[118:119], v[124:125]
	v_mul_f64 v[120:121], v[120:121], v[124:125]
	v_fma_f64 v[26:27], v[116:117], v[24:25], -v[26:27]
	v_mul_f64 v[116:117], v[116:117], v[124:125]
	v_fmac_f64_e32 v[120:121], v[122:123], v[24:25]
	v_fmac_f64_e32 v[116:117], v[118:119], v[24:25]
	v_add_f64 v[18:19], v[18:19], -v[120:121]
	s_waitcnt vmcnt(0)
	v_add_f64 v[60:61], v[60:61], -v[26:27]
	v_add_f64 v[62:63], v[62:63], -v[116:117]
	v_mov_b64_e32 v[26:27], v[124:125]
.LBB31_118:
	s_or_b64 exec, exec, s[2:3]
	v_cmp_eq_u32_e32 vcc, 13, v162
	s_waitcnt lgkmcnt(0)
	s_barrier
	s_and_saveexec_b64 s[4:5], vcc
	s_cbranch_execz .LBB31_125
; %bb.119:
	s_waitcnt vmcnt(2)
	ds_write2_b64 v163, v[20:21], v[22:23] offset1:1
	s_waitcnt vmcnt(1)
	ds_write2_b64 v164, v[16:17], v[18:19] offset0:28 offset1:29
	s_waitcnt vmcnt(0)
	ds_write2_b64 v164, v[60:61], v[62:63] offset0:30 offset1:31
	ds_read2_b64 v[116:119], v163 offset1:1
	s_waitcnt lgkmcnt(0)
	v_cmp_neq_f64_e32 vcc, 0, v[116:117]
	v_cmp_neq_f64_e64 s[2:3], 0, v[118:119]
	s_or_b64 s[2:3], vcc, s[2:3]
	s_and_b64 exec, exec, s[2:3]
	s_cbranch_execz .LBB31_125
; %bb.120:
	v_cmp_ngt_f64_e64 s[2:3], |v[116:117]|, |v[118:119]|
                                        ; implicit-def: $vgpr120_vgpr121
	s_and_saveexec_b64 s[10:11], s[2:3]
	s_xor_b64 s[2:3], exec, s[10:11]
                                        ; implicit-def: $vgpr122_vgpr123
	s_cbranch_execz .LBB31_122
; %bb.121:
	v_div_scale_f64 v[120:121], s[10:11], v[118:119], v[118:119], v[116:117]
	v_rcp_f64_e32 v[122:123], v[120:121]
	v_div_scale_f64 v[124:125], vcc, v[116:117], v[118:119], v[116:117]
	v_fma_f64 v[126:127], -v[120:121], v[122:123], 1.0
	v_fmac_f64_e32 v[122:123], v[122:123], v[126:127]
	v_fma_f64 v[126:127], -v[120:121], v[122:123], 1.0
	v_fmac_f64_e32 v[122:123], v[122:123], v[126:127]
	v_mul_f64 v[126:127], v[124:125], v[122:123]
	v_fma_f64 v[120:121], -v[120:121], v[126:127], v[124:125]
	v_div_fmas_f64 v[120:121], v[120:121], v[122:123], v[126:127]
	v_div_fixup_f64 v[120:121], v[120:121], v[118:119], v[116:117]
	v_fmac_f64_e32 v[118:119], v[116:117], v[120:121]
	v_div_scale_f64 v[116:117], s[10:11], v[118:119], v[118:119], 1.0
	v_rcp_f64_e32 v[122:123], v[116:117]
	s_nop 0
	v_fma_f64 v[124:125], -v[116:117], v[122:123], 1.0
	v_fmac_f64_e32 v[122:123], v[122:123], v[124:125]
	v_fma_f64 v[124:125], -v[116:117], v[122:123], 1.0
	v_fmac_f64_e32 v[122:123], v[122:123], v[124:125]
	v_div_scale_f64 v[124:125], vcc, 1.0, v[118:119], 1.0
	v_mul_f64 v[126:127], v[124:125], v[122:123]
	v_fma_f64 v[116:117], -v[116:117], v[126:127], v[124:125]
	s_nop 1
	v_div_fmas_f64 v[116:117], v[116:117], v[122:123], v[126:127]
	v_div_fixup_f64 v[122:123], v[116:117], v[118:119], 1.0
	v_mul_f64 v[120:121], v[120:121], v[122:123]
	v_xor_b32_e32 v123, 0x80000000, v123
                                        ; implicit-def: $vgpr116_vgpr117
.LBB31_122:
	s_andn2_saveexec_b64 s[2:3], s[2:3]
	s_cbranch_execz .LBB31_124
; %bb.123:
	v_div_scale_f64 v[120:121], s[10:11], v[116:117], v[116:117], v[118:119]
	v_rcp_f64_e32 v[122:123], v[120:121]
	v_div_scale_f64 v[124:125], vcc, v[118:119], v[116:117], v[118:119]
	v_fma_f64 v[126:127], -v[120:121], v[122:123], 1.0
	v_fmac_f64_e32 v[122:123], v[122:123], v[126:127]
	v_fma_f64 v[126:127], -v[120:121], v[122:123], 1.0
	v_fmac_f64_e32 v[122:123], v[122:123], v[126:127]
	v_mul_f64 v[126:127], v[124:125], v[122:123]
	v_fma_f64 v[120:121], -v[120:121], v[126:127], v[124:125]
	v_div_fmas_f64 v[120:121], v[120:121], v[122:123], v[126:127]
	v_div_fixup_f64 v[122:123], v[120:121], v[116:117], v[118:119]
	v_fmac_f64_e32 v[116:117], v[118:119], v[122:123]
	v_div_scale_f64 v[118:119], s[10:11], v[116:117], v[116:117], 1.0
	v_rcp_f64_e32 v[120:121], v[118:119]
	s_nop 0
	v_fma_f64 v[124:125], -v[118:119], v[120:121], 1.0
	v_fmac_f64_e32 v[120:121], v[120:121], v[124:125]
	v_fma_f64 v[124:125], -v[118:119], v[120:121], 1.0
	v_fmac_f64_e32 v[120:121], v[120:121], v[124:125]
	v_div_scale_f64 v[124:125], vcc, 1.0, v[116:117], 1.0
	v_mul_f64 v[126:127], v[124:125], v[120:121]
	v_fma_f64 v[118:119], -v[118:119], v[126:127], v[124:125]
	s_nop 1
	v_div_fmas_f64 v[118:119], v[118:119], v[120:121], v[126:127]
	v_div_fixup_f64 v[120:121], v[118:119], v[116:117], 1.0
	v_mul_f64 v[122:123], v[122:123], -v[120:121]
.LBB31_124:
	s_or_b64 exec, exec, s[2:3]
	ds_write2_b64 v163, v[120:121], v[122:123] offset1:1
.LBB31_125:
	s_or_b64 exec, exec, s[4:5]
	s_waitcnt lgkmcnt(0)
	s_barrier
	ds_read2_b64 v[116:119], v163 offset1:1
	v_cmp_lt_u32_e32 vcc, 13, v162
	s_and_saveexec_b64 s[2:3], vcc
	s_cbranch_execz .LBB31_127
; %bb.126:
	ds_read2_b64 v[120:123], v164 offset0:28 offset1:29
	s_waitcnt vmcnt(2) lgkmcnt(1)
	v_mul_f64 v[124:125], v[116:117], v[22:23]
	v_fmac_f64_e32 v[124:125], v[118:119], v[20:21]
	v_mul_f64 v[22:23], v[118:119], v[22:23]
	v_fma_f64 v[20:21], v[116:117], v[20:21], -v[22:23]
	s_waitcnt lgkmcnt(0)
	v_mul_f64 v[22:23], v[122:123], v[124:125]
	v_fma_f64 v[22:23], v[120:121], v[20:21], -v[22:23]
	v_mul_f64 v[120:121], v[120:121], v[124:125]
	v_fmac_f64_e32 v[120:121], v[122:123], v[20:21]
	s_waitcnt vmcnt(1)
	v_add_f64 v[18:19], v[18:19], -v[120:121]
	ds_read2_b64 v[120:123], v164 offset0:30 offset1:31
	v_add_f64 v[16:17], v[16:17], -v[22:23]
	s_waitcnt lgkmcnt(0)
	v_mul_f64 v[22:23], v[122:123], v[124:125]
	v_fma_f64 v[22:23], v[120:121], v[20:21], -v[22:23]
	v_mul_f64 v[120:121], v[120:121], v[124:125]
	v_fmac_f64_e32 v[120:121], v[122:123], v[20:21]
	s_waitcnt vmcnt(0)
	v_add_f64 v[60:61], v[60:61], -v[22:23]
	v_add_f64 v[62:63], v[62:63], -v[120:121]
	v_mov_b64_e32 v[22:23], v[124:125]
.LBB31_127:
	s_or_b64 exec, exec, s[2:3]
	v_cmp_eq_u32_e32 vcc, 14, v162
	s_waitcnt lgkmcnt(0)
	s_barrier
	s_and_saveexec_b64 s[4:5], vcc
	s_cbranch_execz .LBB31_134
; %bb.128:
	s_waitcnt vmcnt(1)
	ds_write2_b64 v163, v[16:17], v[18:19] offset1:1
	s_waitcnt vmcnt(0)
	ds_write2_b64 v164, v[60:61], v[62:63] offset0:30 offset1:31
	ds_read2_b64 v[120:123], v163 offset1:1
	s_waitcnt lgkmcnt(0)
	v_cmp_neq_f64_e32 vcc, 0, v[120:121]
	v_cmp_neq_f64_e64 s[2:3], 0, v[122:123]
	s_or_b64 s[2:3], vcc, s[2:3]
	s_and_b64 exec, exec, s[2:3]
	s_cbranch_execz .LBB31_134
; %bb.129:
	v_cmp_ngt_f64_e64 s[2:3], |v[120:121]|, |v[122:123]|
                                        ; implicit-def: $vgpr124_vgpr125
	s_and_saveexec_b64 s[10:11], s[2:3]
	s_xor_b64 s[2:3], exec, s[10:11]
                                        ; implicit-def: $vgpr126_vgpr127
	s_cbranch_execz .LBB31_131
; %bb.130:
	v_div_scale_f64 v[124:125], s[10:11], v[122:123], v[122:123], v[120:121]
	v_rcp_f64_e32 v[126:127], v[124:125]
	v_div_scale_f64 v[166:167], vcc, v[120:121], v[122:123], v[120:121]
	v_fma_f64 v[168:169], -v[124:125], v[126:127], 1.0
	v_fmac_f64_e32 v[126:127], v[126:127], v[168:169]
	v_fma_f64 v[168:169], -v[124:125], v[126:127], 1.0
	v_fmac_f64_e32 v[126:127], v[126:127], v[168:169]
	v_mul_f64 v[168:169], v[166:167], v[126:127]
	v_fma_f64 v[124:125], -v[124:125], v[168:169], v[166:167]
	v_div_fmas_f64 v[124:125], v[124:125], v[126:127], v[168:169]
	v_div_fixup_f64 v[124:125], v[124:125], v[122:123], v[120:121]
	v_fmac_f64_e32 v[122:123], v[120:121], v[124:125]
	v_div_scale_f64 v[120:121], s[10:11], v[122:123], v[122:123], 1.0
	v_rcp_f64_e32 v[126:127], v[120:121]
	s_nop 0
	v_fma_f64 v[166:167], -v[120:121], v[126:127], 1.0
	v_fmac_f64_e32 v[126:127], v[126:127], v[166:167]
	v_fma_f64 v[166:167], -v[120:121], v[126:127], 1.0
	v_fmac_f64_e32 v[126:127], v[126:127], v[166:167]
	v_div_scale_f64 v[166:167], vcc, 1.0, v[122:123], 1.0
	v_mul_f64 v[168:169], v[166:167], v[126:127]
	v_fma_f64 v[120:121], -v[120:121], v[168:169], v[166:167]
	s_nop 1
	v_div_fmas_f64 v[120:121], v[120:121], v[126:127], v[168:169]
	v_div_fixup_f64 v[126:127], v[120:121], v[122:123], 1.0
	v_mul_f64 v[124:125], v[124:125], v[126:127]
	v_xor_b32_e32 v127, 0x80000000, v127
                                        ; implicit-def: $vgpr120_vgpr121
.LBB31_131:
	s_andn2_saveexec_b64 s[2:3], s[2:3]
	s_cbranch_execz .LBB31_133
; %bb.132:
	v_div_scale_f64 v[124:125], s[10:11], v[120:121], v[120:121], v[122:123]
	v_rcp_f64_e32 v[126:127], v[124:125]
	v_div_scale_f64 v[166:167], vcc, v[122:123], v[120:121], v[122:123]
	v_fma_f64 v[168:169], -v[124:125], v[126:127], 1.0
	v_fmac_f64_e32 v[126:127], v[126:127], v[168:169]
	v_fma_f64 v[168:169], -v[124:125], v[126:127], 1.0
	v_fmac_f64_e32 v[126:127], v[126:127], v[168:169]
	v_mul_f64 v[168:169], v[166:167], v[126:127]
	v_fma_f64 v[124:125], -v[124:125], v[168:169], v[166:167]
	v_div_fmas_f64 v[124:125], v[124:125], v[126:127], v[168:169]
	v_div_fixup_f64 v[126:127], v[124:125], v[120:121], v[122:123]
	v_fmac_f64_e32 v[120:121], v[122:123], v[126:127]
	v_div_scale_f64 v[122:123], s[10:11], v[120:121], v[120:121], 1.0
	v_rcp_f64_e32 v[124:125], v[122:123]
	s_nop 0
	v_fma_f64 v[166:167], -v[122:123], v[124:125], 1.0
	v_fmac_f64_e32 v[124:125], v[124:125], v[166:167]
	v_fma_f64 v[166:167], -v[122:123], v[124:125], 1.0
	v_fmac_f64_e32 v[124:125], v[124:125], v[166:167]
	v_div_scale_f64 v[166:167], vcc, 1.0, v[120:121], 1.0
	v_mul_f64 v[168:169], v[166:167], v[124:125]
	v_fma_f64 v[122:123], -v[122:123], v[168:169], v[166:167]
	s_nop 1
	v_div_fmas_f64 v[122:123], v[122:123], v[124:125], v[168:169]
	v_div_fixup_f64 v[124:125], v[122:123], v[120:121], 1.0
	v_mul_f64 v[126:127], v[126:127], -v[124:125]
.LBB31_133:
	s_or_b64 exec, exec, s[2:3]
	ds_write2_b64 v163, v[124:125], v[126:127] offset1:1
.LBB31_134:
	s_or_b64 exec, exec, s[4:5]
	s_waitcnt lgkmcnt(0)
	s_barrier
	ds_read2_b64 v[120:123], v163 offset1:1
	v_cmp_lt_u32_e32 vcc, 14, v162
	s_and_saveexec_b64 s[2:3], vcc
	s_cbranch_execz .LBB31_136
; %bb.135:
	ds_read2_b64 v[124:127], v164 offset0:30 offset1:31
	s_waitcnt vmcnt(1) lgkmcnt(1)
	v_mul_f64 v[164:165], v[120:121], v[18:19]
	v_mul_f64 v[18:19], v[122:123], v[18:19]
	v_fmac_f64_e32 v[164:165], v[122:123], v[16:17]
	v_fma_f64 v[16:17], v[120:121], v[16:17], -v[18:19]
	s_waitcnt lgkmcnt(0)
	v_mul_f64 v[18:19], v[126:127], v[164:165]
	v_fma_f64 v[18:19], v[124:125], v[16:17], -v[18:19]
	v_mul_f64 v[124:125], v[124:125], v[164:165]
	v_fmac_f64_e32 v[124:125], v[126:127], v[16:17]
	s_waitcnt vmcnt(0)
	v_add_f64 v[60:61], v[60:61], -v[18:19]
	v_add_f64 v[62:63], v[62:63], -v[124:125]
	v_mov_b64_e32 v[18:19], v[164:165]
.LBB31_136:
	s_or_b64 exec, exec, s[2:3]
	v_cmp_eq_u32_e32 vcc, 15, v162
	s_waitcnt lgkmcnt(0)
	s_barrier
	s_and_saveexec_b64 s[4:5], vcc
	s_cbranch_execz .LBB31_143
; %bb.137:
	s_waitcnt vmcnt(0)
	v_cmp_neq_f64_e32 vcc, 0, v[60:61]
	v_cmp_neq_f64_e64 s[2:3], 0, v[62:63]
	s_or_b64 s[2:3], vcc, s[2:3]
	ds_write2_b64 v163, v[60:61], v[62:63] offset1:1
	s_and_b64 exec, exec, s[2:3]
	s_cbranch_execz .LBB31_143
; %bb.138:
	v_cmp_ngt_f64_e64 s[2:3], |v[60:61]|, |v[62:63]|
                                        ; implicit-def: $vgpr124_vgpr125
	s_and_saveexec_b64 s[10:11], s[2:3]
	s_xor_b64 s[2:3], exec, s[10:11]
                                        ; implicit-def: $vgpr126_vgpr127
	s_cbranch_execz .LBB31_140
; %bb.139:
	v_div_scale_f64 v[124:125], s[10:11], v[62:63], v[62:63], v[60:61]
	v_rcp_f64_e32 v[126:127], v[124:125]
	v_div_scale_f64 v[164:165], vcc, v[60:61], v[62:63], v[60:61]
	v_fma_f64 v[166:167], -v[124:125], v[126:127], 1.0
	v_fmac_f64_e32 v[126:127], v[126:127], v[166:167]
	v_fma_f64 v[166:167], -v[124:125], v[126:127], 1.0
	v_fmac_f64_e32 v[126:127], v[126:127], v[166:167]
	v_mul_f64 v[166:167], v[164:165], v[126:127]
	v_fma_f64 v[124:125], -v[124:125], v[166:167], v[164:165]
	v_div_fmas_f64 v[124:125], v[124:125], v[126:127], v[166:167]
	v_div_fixup_f64 v[124:125], v[124:125], v[62:63], v[60:61]
	v_fma_f64 v[126:127], v[60:61], v[124:125], v[62:63]
	v_div_scale_f64 v[164:165], s[10:11], v[126:127], v[126:127], 1.0
	v_rcp_f64_e32 v[166:167], v[164:165]
	s_nop 0
	v_fma_f64 v[168:169], -v[164:165], v[166:167], 1.0
	v_fmac_f64_e32 v[166:167], v[166:167], v[168:169]
	v_fma_f64 v[168:169], -v[164:165], v[166:167], 1.0
	v_fmac_f64_e32 v[166:167], v[166:167], v[168:169]
	v_div_scale_f64 v[168:169], vcc, 1.0, v[126:127], 1.0
	v_mul_f64 v[170:171], v[168:169], v[166:167]
	v_fma_f64 v[164:165], -v[164:165], v[170:171], v[168:169]
	s_nop 1
	v_div_fmas_f64 v[164:165], v[164:165], v[166:167], v[170:171]
	v_div_fixup_f64 v[126:127], v[164:165], v[126:127], 1.0
	v_mul_f64 v[124:125], v[124:125], v[126:127]
	v_xor_b32_e32 v127, 0x80000000, v127
.LBB31_140:
	s_andn2_saveexec_b64 s[2:3], s[2:3]
	s_cbranch_execz .LBB31_142
; %bb.141:
	v_div_scale_f64 v[124:125], s[10:11], v[60:61], v[60:61], v[62:63]
	v_rcp_f64_e32 v[126:127], v[124:125]
	v_div_scale_f64 v[164:165], vcc, v[62:63], v[60:61], v[62:63]
	v_fma_f64 v[166:167], -v[124:125], v[126:127], 1.0
	v_fmac_f64_e32 v[126:127], v[126:127], v[166:167]
	v_fma_f64 v[166:167], -v[124:125], v[126:127], 1.0
	v_fmac_f64_e32 v[126:127], v[126:127], v[166:167]
	v_mul_f64 v[166:167], v[164:165], v[126:127]
	v_fma_f64 v[124:125], -v[124:125], v[166:167], v[164:165]
	v_div_fmas_f64 v[124:125], v[124:125], v[126:127], v[166:167]
	v_div_fixup_f64 v[126:127], v[124:125], v[60:61], v[62:63]
	v_fma_f64 v[124:125], v[62:63], v[126:127], v[60:61]
	v_div_scale_f64 v[164:165], s[10:11], v[124:125], v[124:125], 1.0
	v_rcp_f64_e32 v[166:167], v[164:165]
	s_nop 0
	v_fma_f64 v[168:169], -v[164:165], v[166:167], 1.0
	v_fmac_f64_e32 v[166:167], v[166:167], v[168:169]
	v_fma_f64 v[168:169], -v[164:165], v[166:167], 1.0
	v_fmac_f64_e32 v[166:167], v[166:167], v[168:169]
	v_div_scale_f64 v[168:169], vcc, 1.0, v[124:125], 1.0
	v_mul_f64 v[170:171], v[168:169], v[166:167]
	v_fma_f64 v[164:165], -v[164:165], v[170:171], v[168:169]
	s_nop 1
	v_div_fmas_f64 v[164:165], v[164:165], v[166:167], v[170:171]
	v_div_fixup_f64 v[124:125], v[164:165], v[124:125], 1.0
	v_mul_f64 v[126:127], v[126:127], -v[124:125]
.LBB31_142:
	s_or_b64 exec, exec, s[2:3]
	ds_write2_b64 v163, v[124:125], v[126:127] offset1:1
.LBB31_143:
	s_or_b64 exec, exec, s[4:5]
	s_waitcnt lgkmcnt(0)
	s_barrier
	ds_read2_b64 v[124:127], v163 offset1:1
	s_waitcnt lgkmcnt(0)
	s_barrier
	s_and_saveexec_b64 s[2:3], s[0:1]
	s_cbranch_execz .LBB31_146
; %bb.144:
	v_cmp_eq_f64_e32 vcc, 0, v[64:65]
	v_cmp_eq_f64_e64 s[0:1], 0, v[66:67]
	s_and_b64 s[4:5], vcc, s[0:1]
	v_cmp_neq_f64_e32 vcc, 0, v[68:69]
	v_cmp_neq_f64_e64 s[0:1], 0, v[70:71]
	s_or_b64 s[0:1], vcc, s[0:1]
	v_cndmask_b32_e64 v64, 0, 1, s[4:5]
	s_or_b64 vcc, s[0:1], s[4:5]
	v_cndmask_b32_e32 v66, 2, v64, vcc
	v_mov_b32_e32 v64, s6
	v_mov_b32_e32 v65, s7
	v_lshl_add_u64 v[64:65], v[150:151], 2, v[64:65]
	global_load_dword v67, v[64:65], off
	v_cmp_eq_f64_e32 vcc, 0, v[72:73]
	v_cmp_eq_f64_e64 s[0:1], 0, v[74:75]
	s_and_b64 s[0:1], vcc, s[0:1]
	v_cmp_eq_u32_e32 vcc, 0, v66
	s_and_b64 s[0:1], s[0:1], vcc
	v_cndmask_b32_e64 v66, v66, 3, s[0:1]
	v_cmp_eq_f64_e32 vcc, 0, v[76:77]
	v_cmp_eq_f64_e64 s[0:1], 0, v[78:79]
	s_and_b64 s[0:1], vcc, s[0:1]
	v_cmp_eq_u32_e32 vcc, 0, v66
	s_and_b64 s[0:1], s[0:1], vcc
	v_cndmask_b32_e64 v66, v66, 4, s[0:1]
	;; [unrolled: 6-line block ×14, first 2 shown]
	s_waitcnt vmcnt(0)
	v_cmp_eq_u32_e32 vcc, 0, v67
	v_cmp_ne_u32_e64 s[0:1], 0, v66
	s_and_b64 s[0:1], vcc, s[0:1]
	s_and_b64 exec, exec, s[0:1]
	s_cbranch_execz .LBB31_146
; %bb.145:
	v_add_u32_e32 v66, s9, v66
	global_store_dword v[64:65], v66, off
.LBB31_146:
	s_or_b64 exec, exec, s[2:3]
	s_waitcnt vmcnt(0)
	v_mul_f64 v[64:65], v[126:127], v[62:63]
	v_mul_f64 v[66:67], v[124:125], v[62:63]
	v_fma_f64 v[64:65], v[124:125], v[60:61], -v[64:65]
	v_fmac_f64_e32 v[66:67], v[126:127], v[60:61]
	v_cmp_lt_u32_e32 vcc, 15, v162
	s_nop 1
	v_cndmask_b32_e32 v63, v63, v67, vcc
	v_cndmask_b32_e32 v62, v62, v66, vcc
	;; [unrolled: 1-line block ×4, first 2 shown]
	global_store_dwordx4 v[128:129], v[4:7], off
	global_store_dwordx4 v[130:131], v[0:3], off
	;; [unrolled: 1-line block ×16, first 2 shown]
.LBB31_147:
	s_endpgm
	.section	.rodata,"a",@progbits
	.p2align	6, 0x0
	.amdhsa_kernel _ZN9rocsolver6v33100L23getf2_npvt_small_kernelILi16E19rocblas_complex_numIdEiiPS3_EEvT1_T3_lS5_lPT2_S5_S5_
		.amdhsa_group_segment_fixed_size 0
		.amdhsa_private_segment_fixed_size 0
		.amdhsa_kernarg_size 312
		.amdhsa_user_sgpr_count 2
		.amdhsa_user_sgpr_dispatch_ptr 0
		.amdhsa_user_sgpr_queue_ptr 0
		.amdhsa_user_sgpr_kernarg_segment_ptr 1
		.amdhsa_user_sgpr_dispatch_id 0
		.amdhsa_user_sgpr_kernarg_preload_length 0
		.amdhsa_user_sgpr_kernarg_preload_offset 0
		.amdhsa_user_sgpr_private_segment_size 0
		.amdhsa_uses_dynamic_stack 0
		.amdhsa_enable_private_segment 0
		.amdhsa_system_sgpr_workgroup_id_x 1
		.amdhsa_system_sgpr_workgroup_id_y 1
		.amdhsa_system_sgpr_workgroup_id_z 0
		.amdhsa_system_sgpr_workgroup_info 0
		.amdhsa_system_vgpr_workitem_id 1
		.amdhsa_next_free_vgpr 172
		.amdhsa_next_free_sgpr 16
		.amdhsa_accum_offset 172
		.amdhsa_reserve_vcc 1
		.amdhsa_float_round_mode_32 0
		.amdhsa_float_round_mode_16_64 0
		.amdhsa_float_denorm_mode_32 3
		.amdhsa_float_denorm_mode_16_64 3
		.amdhsa_dx10_clamp 1
		.amdhsa_ieee_mode 1
		.amdhsa_fp16_overflow 0
		.amdhsa_tg_split 0
		.amdhsa_exception_fp_ieee_invalid_op 0
		.amdhsa_exception_fp_denorm_src 0
		.amdhsa_exception_fp_ieee_div_zero 0
		.amdhsa_exception_fp_ieee_overflow 0
		.amdhsa_exception_fp_ieee_underflow 0
		.amdhsa_exception_fp_ieee_inexact 0
		.amdhsa_exception_int_div_zero 0
	.end_amdhsa_kernel
	.section	.text._ZN9rocsolver6v33100L23getf2_npvt_small_kernelILi16E19rocblas_complex_numIdEiiPS3_EEvT1_T3_lS5_lPT2_S5_S5_,"axG",@progbits,_ZN9rocsolver6v33100L23getf2_npvt_small_kernelILi16E19rocblas_complex_numIdEiiPS3_EEvT1_T3_lS5_lPT2_S5_S5_,comdat
.Lfunc_end31:
	.size	_ZN9rocsolver6v33100L23getf2_npvt_small_kernelILi16E19rocblas_complex_numIdEiiPS3_EEvT1_T3_lS5_lPT2_S5_S5_, .Lfunc_end31-_ZN9rocsolver6v33100L23getf2_npvt_small_kernelILi16E19rocblas_complex_numIdEiiPS3_EEvT1_T3_lS5_lPT2_S5_S5_
                                        ; -- End function
	.set _ZN9rocsolver6v33100L23getf2_npvt_small_kernelILi16E19rocblas_complex_numIdEiiPS3_EEvT1_T3_lS5_lPT2_S5_S5_.num_vgpr, 172
	.set _ZN9rocsolver6v33100L23getf2_npvt_small_kernelILi16E19rocblas_complex_numIdEiiPS3_EEvT1_T3_lS5_lPT2_S5_S5_.num_agpr, 0
	.set _ZN9rocsolver6v33100L23getf2_npvt_small_kernelILi16E19rocblas_complex_numIdEiiPS3_EEvT1_T3_lS5_lPT2_S5_S5_.numbered_sgpr, 16
	.set _ZN9rocsolver6v33100L23getf2_npvt_small_kernelILi16E19rocblas_complex_numIdEiiPS3_EEvT1_T3_lS5_lPT2_S5_S5_.num_named_barrier, 0
	.set _ZN9rocsolver6v33100L23getf2_npvt_small_kernelILi16E19rocblas_complex_numIdEiiPS3_EEvT1_T3_lS5_lPT2_S5_S5_.private_seg_size, 0
	.set _ZN9rocsolver6v33100L23getf2_npvt_small_kernelILi16E19rocblas_complex_numIdEiiPS3_EEvT1_T3_lS5_lPT2_S5_S5_.uses_vcc, 1
	.set _ZN9rocsolver6v33100L23getf2_npvt_small_kernelILi16E19rocblas_complex_numIdEiiPS3_EEvT1_T3_lS5_lPT2_S5_S5_.uses_flat_scratch, 0
	.set _ZN9rocsolver6v33100L23getf2_npvt_small_kernelILi16E19rocblas_complex_numIdEiiPS3_EEvT1_T3_lS5_lPT2_S5_S5_.has_dyn_sized_stack, 0
	.set _ZN9rocsolver6v33100L23getf2_npvt_small_kernelILi16E19rocblas_complex_numIdEiiPS3_EEvT1_T3_lS5_lPT2_S5_S5_.has_recursion, 0
	.set _ZN9rocsolver6v33100L23getf2_npvt_small_kernelILi16E19rocblas_complex_numIdEiiPS3_EEvT1_T3_lS5_lPT2_S5_S5_.has_indirect_call, 0
	.section	.AMDGPU.csdata,"",@progbits
; Kernel info:
; codeLenInByte = 18420
; TotalNumSgprs: 22
; NumVgprs: 172
; NumAgprs: 0
; TotalNumVgprs: 172
; ScratchSize: 0
; MemoryBound: 1
; FloatMode: 240
; IeeeMode: 1
; LDSByteSize: 0 bytes/workgroup (compile time only)
; SGPRBlocks: 2
; VGPRBlocks: 21
; NumSGPRsForWavesPerEU: 22
; NumVGPRsForWavesPerEU: 172
; AccumOffset: 172
; Occupancy: 2
; WaveLimiterHint : 0
; COMPUTE_PGM_RSRC2:SCRATCH_EN: 0
; COMPUTE_PGM_RSRC2:USER_SGPR: 2
; COMPUTE_PGM_RSRC2:TRAP_HANDLER: 0
; COMPUTE_PGM_RSRC2:TGID_X_EN: 1
; COMPUTE_PGM_RSRC2:TGID_Y_EN: 1
; COMPUTE_PGM_RSRC2:TGID_Z_EN: 0
; COMPUTE_PGM_RSRC2:TIDIG_COMP_CNT: 1
; COMPUTE_PGM_RSRC3_GFX90A:ACCUM_OFFSET: 42
; COMPUTE_PGM_RSRC3_GFX90A:TG_SPLIT: 0
	.section	.text._ZN9rocsolver6v33100L18getf2_small_kernelILi17E19rocblas_complex_numIdEiiPS3_EEvT1_T3_lS5_lPS5_llPT2_S5_S5_S7_l,"axG",@progbits,_ZN9rocsolver6v33100L18getf2_small_kernelILi17E19rocblas_complex_numIdEiiPS3_EEvT1_T3_lS5_lPS5_llPT2_S5_S5_S7_l,comdat
	.globl	_ZN9rocsolver6v33100L18getf2_small_kernelILi17E19rocblas_complex_numIdEiiPS3_EEvT1_T3_lS5_lPS5_llPT2_S5_S5_S7_l ; -- Begin function _ZN9rocsolver6v33100L18getf2_small_kernelILi17E19rocblas_complex_numIdEiiPS3_EEvT1_T3_lS5_lPS5_llPT2_S5_S5_S7_l
	.p2align	8
	.type	_ZN9rocsolver6v33100L18getf2_small_kernelILi17E19rocblas_complex_numIdEiiPS3_EEvT1_T3_lS5_lPS5_llPT2_S5_S5_S7_l,@function
_ZN9rocsolver6v33100L18getf2_small_kernelILi17E19rocblas_complex_numIdEiiPS3_EEvT1_T3_lS5_lPS5_llPT2_S5_S5_S7_l: ; @_ZN9rocsolver6v33100L18getf2_small_kernelILi17E19rocblas_complex_numIdEiiPS3_EEvT1_T3_lS5_lPS5_llPT2_S5_S5_S7_l
; %bb.0:
	s_load_dword s2, s[0:1], 0x6c
	s_load_dwordx2 s[12:13], s[0:1], 0x48
	v_bfe_u32 v68, v0, 10, 10
	s_waitcnt lgkmcnt(0)
	s_lshr_b32 s2, s2, 16
	s_mul_i32 s3, s3, s2
	v_add_u32_e32 v74, s3, v68
	v_cmp_gt_i32_e32 vcc, s12, v74
	s_and_saveexec_b64 s[2:3], vcc
	s_cbranch_execz .LBB32_358
; %bb.1:
	s_load_dwordx4 s[4:7], s[0:1], 0x50
	v_ashrrev_i32_e32 v75, 31, v74
	v_mov_b64_e32 v[76:77], 0
	s_waitcnt lgkmcnt(0)
	s_cmp_eq_u64 s[4:5], 0
	s_cselect_b64 s[14:15], -1, 0
	s_and_b64 vcc, exec, s[14:15]
	s_cbranch_vccnz .LBB32_3
; %bb.2:
	v_mul_lo_u32 v1, s7, v74
	v_mul_lo_u32 v4, s6, v75
	v_mad_u64_u32 v[2:3], s[2:3], s6, v74, 0
	v_add3_u32 v3, v3, v4, v1
	v_lshl_add_u64 v[76:77], v[2:3], 2, s[4:5]
.LBB32_3:
	s_load_dwordx4 s[16:19], s[0:1], 0x8
	s_load_dwordx8 s[4:11], s[0:1], 0x20
	s_load_dword s2, s[0:1], 0x18
	s_load_dword s20, s[0:1], 0x0
	v_and_b32_e32 v82, 0x3ff, v0
	s_waitcnt lgkmcnt(0)
	v_mov_b32_e32 v2, s16
	v_mul_lo_u32 v1, s5, v74
	v_mul_lo_u32 v6, s4, v75
	v_mad_u64_u32 v[4:5], s[4:5], s4, v74, 0
	v_mov_b32_e32 v3, s17
	v_add3_u32 v5, v5, v6, v1
	v_lshl_add_u64 v[2:3], v[4:5], 4, v[2:3]
	s_add_i32 s12, s2, s2
	v_lshl_add_u64 v[72:73], s[18:19], 4, v[2:3]
	v_add_u32_e32 v2, s12, v82
	v_add_u32_e32 v4, s2, v2
	v_ashrrev_i32_e32 v3, 31, v2
	v_ashrrev_i32_e32 v5, 31, v4
	v_add_u32_e32 v6, s2, v4
	v_lshl_add_u64 v[2:3], v[2:3], 4, v[72:73]
	v_lshl_add_u64 v[4:5], v[4:5], 4, v[72:73]
	v_add_u32_e32 v8, s2, v6
	v_lshlrev_b32_e32 v78, 4, v82
	v_mov_b32_e32 v79, 0
	v_ashrrev_i32_e32 v7, 31, v6
	global_load_dwordx4 v[52:55], v[2:3], off
	global_load_dwordx4 v[40:43], v[4:5], off
	v_add_u32_e32 v4, s2, v8
	v_lshl_add_u64 v[0:1], v[72:73], 0, v[78:79]
	s_ashr_i32 s3, s2, 31
	v_lshl_add_u64 v[2:3], v[6:7], 4, v[72:73]
	v_ashrrev_i32_e32 v9, 31, v8
	v_add_u32_e32 v6, s2, v4
	v_lshl_add_u64 v[10:11], s[2:3], 4, v[0:1]
	global_load_dwordx4 v[60:63], v[0:1], off
	global_load_dwordx4 v[56:59], v[10:11], off
	v_lshl_add_u64 v[0:1], v[8:9], 4, v[72:73]
	v_ashrrev_i32_e32 v5, 31, v4
	global_load_dwordx4 v[48:51], v[2:3], off
	global_load_dwordx4 v[36:39], v[0:1], off
	v_ashrrev_i32_e32 v7, 31, v6
	v_add_u32_e32 v2, s2, v6
	v_lshl_add_u64 v[0:1], v[4:5], 4, v[72:73]
	v_lshl_add_u64 v[4:5], v[6:7], 4, v[72:73]
	v_add_u32_e32 v6, s2, v2
	v_ashrrev_i32_e32 v3, 31, v2
	global_load_dwordx4 v[32:35], v[0:1], off
	global_load_dwordx4 v[24:27], v[4:5], off
	v_add_u32_e32 v0, s2, v6
	v_lshl_add_u64 v[70:71], v[2:3], 4, v[72:73]
	v_ashrrev_i32_e32 v1, 31, v0
	v_add_u32_e32 v2, s2, v0
	v_lshl_add_u64 v[84:85], v[0:1], 4, v[72:73]
	v_ashrrev_i32_e32 v3, 31, v2
	;; [unrolled: 3-line block ×5, first 2 shown]
	v_add_u32_e32 v2, s2, v0
	v_lshl_add_u64 v[92:93], v[0:1], 4, v[72:73]
	v_add_u32_e32 v0, s2, v2
	v_ashrrev_i32_e32 v7, 31, v6
	v_ashrrev_i32_e32 v3, 31, v2
	;; [unrolled: 1-line block ×3, first 2 shown]
	v_lshl_add_u64 v[80:81], v[6:7], 4, v[72:73]
	v_lshl_add_u64 v[94:95], v[2:3], 4, v[72:73]
	;; [unrolled: 1-line block ×3, first 2 shown]
	global_load_dwordx4 v[44:47], v[70:71], off
	global_load_dwordx4 v[28:31], v[80:81], off
	global_load_dwordx4 v[20:23], v[84:85], off
	global_load_dwordx4 v[16:19], v[86:87], off
	global_load_dwordx4 v[12:15], v[88:89], off
	global_load_dwordx4 v[8:11], v[90:91], off
	global_load_dwordx4 v[4:7], v[92:93], off
	global_load_dwordx4 v[0:3], v[94:95], off
	global_load_dwordx4 v[64:67], v[96:97], off
	s_load_dwordx2 s[4:5], s[0:1], 0x40
	s_max_i32 s0, s20, 17
	v_mul_lo_u32 v81, s0, v68
	v_lshl_add_u32 v80, v81, 4, 0
	v_add_u32_e32 v68, v80, v78
	s_cmp_lt_i32 s20, 2
	v_lshlrev_b32_e32 v84, 4, v81
	s_waitcnt vmcnt(14)
	ds_write2_b64 v68, v[60:61], v[62:63] offset1:1
	s_waitcnt lgkmcnt(0)
	s_barrier
	ds_read2_b64 v[68:71], v80 offset1:1
	s_cbranch_scc1 .LBB32_6
; %bb.4:
	v_add3_u32 v78, v84, 0, 16
	s_mov_b32 s16, 1
	v_mov_b32_e32 v79, 0
.LBB32_5:                               ; =>This Inner Loop Header: Depth=1
	ds_read2_b64 v[86:89], v78 offset1:1
	s_waitcnt lgkmcnt(1)
	v_xor_b32_e32 v81, 0x80000000, v69
	v_xor_b32_e32 v83, 0x80000000, v71
	v_cmp_gt_f64_e32 vcc, 0, v[70:71]
	v_cmp_gt_f64_e64 s[0:1], 0, v[68:69]
	v_mov_b32_e32 v90, v68
	v_mov_b32_e32 v92, v70
	v_cndmask_b32_e64 v91, v69, v81, s[0:1]
	v_cndmask_b32_e32 v93, v71, v83, vcc
	s_waitcnt lgkmcnt(0)
	v_xor_b32_e32 v81, 0x80000000, v87
	v_xor_b32_e32 v83, 0x80000000, v89
	v_cmp_gt_f64_e32 vcc, 0, v[88:89]
	v_cmp_gt_f64_e64 s[0:1], 0, v[86:87]
	v_add_f64 v[90:91], v[90:91], v[92:93]
	v_mov_b32_e32 v92, v86
	v_mov_b32_e32 v94, v88
	v_cndmask_b32_e64 v93, v87, v81, s[0:1]
	v_cndmask_b32_e32 v95, v89, v83, vcc
	v_add_f64 v[92:93], v[92:93], v[94:95]
	v_mov_b32_e32 v85, s16
	s_add_i32 s16, s16, 1
	v_cmp_lt_f64_e32 vcc, v[90:91], v[92:93]
	v_add_u32_e32 v78, 16, v78
	s_cmp_eq_u32 s20, s16
	v_cndmask_b32_e32 v69, v69, v87, vcc
	v_cndmask_b32_e32 v68, v68, v86, vcc
	;; [unrolled: 1-line block ×5, first 2 shown]
	s_cbranch_scc0 .LBB32_5
.LBB32_6:
	s_waitcnt lgkmcnt(0)
	v_cmp_neq_f64_e32 vcc, 0, v[68:69]
	v_cmp_neq_f64_e64 s[0:1], 0, v[70:71]
	s_or_b64 s[16:17], vcc, s[0:1]
	v_mov_b32_e32 v83, 1
	v_mov_b32_e32 v85, 1
	s_and_saveexec_b64 s[0:1], s[16:17]
	s_cbranch_execz .LBB32_12
; %bb.7:
	v_cmp_ngt_f64_e64 s[16:17], |v[68:69]|, |v[70:71]|
	s_and_saveexec_b64 s[18:19], s[16:17]
	s_xor_b64 s[16:17], exec, s[18:19]
	s_cbranch_execz .LBB32_9
; %bb.8:
	v_div_scale_f64 v[86:87], s[18:19], v[70:71], v[70:71], v[68:69]
	v_rcp_f64_e32 v[88:89], v[86:87]
	v_div_scale_f64 v[90:91], vcc, v[68:69], v[70:71], v[68:69]
	v_fma_f64 v[92:93], -v[86:87], v[88:89], 1.0
	v_fmac_f64_e32 v[88:89], v[88:89], v[92:93]
	v_fma_f64 v[92:93], -v[86:87], v[88:89], 1.0
	v_fmac_f64_e32 v[88:89], v[88:89], v[92:93]
	v_mul_f64 v[92:93], v[90:91], v[88:89]
	v_fma_f64 v[86:87], -v[86:87], v[92:93], v[90:91]
	v_div_fmas_f64 v[86:87], v[86:87], v[88:89], v[92:93]
	v_div_fixup_f64 v[86:87], v[86:87], v[70:71], v[68:69]
	v_fmac_f64_e32 v[70:71], v[68:69], v[86:87]
	v_div_scale_f64 v[68:69], s[18:19], v[70:71], v[70:71], 1.0
	v_rcp_f64_e32 v[88:89], v[68:69]
	s_nop 0
	v_fma_f64 v[90:91], -v[68:69], v[88:89], 1.0
	v_fmac_f64_e32 v[88:89], v[88:89], v[90:91]
	v_fma_f64 v[90:91], -v[68:69], v[88:89], 1.0
	v_fmac_f64_e32 v[88:89], v[88:89], v[90:91]
	v_div_scale_f64 v[90:91], vcc, 1.0, v[70:71], 1.0
	v_mul_f64 v[92:93], v[90:91], v[88:89]
	v_fma_f64 v[68:69], -v[68:69], v[92:93], v[90:91]
	s_nop 1
	v_div_fmas_f64 v[68:69], v[68:69], v[88:89], v[92:93]
	v_div_fixup_f64 v[70:71], v[68:69], v[70:71], 1.0
	v_mul_f64 v[68:69], v[86:87], v[70:71]
	v_xor_b32_e32 v71, 0x80000000, v71
.LBB32_9:
	s_andn2_saveexec_b64 s[16:17], s[16:17]
	s_cbranch_execz .LBB32_11
; %bb.10:
	v_div_scale_f64 v[86:87], s[18:19], v[68:69], v[68:69], v[70:71]
	v_rcp_f64_e32 v[88:89], v[86:87]
	v_div_scale_f64 v[90:91], vcc, v[70:71], v[68:69], v[70:71]
	v_fma_f64 v[92:93], -v[86:87], v[88:89], 1.0
	v_fmac_f64_e32 v[88:89], v[88:89], v[92:93]
	v_fma_f64 v[92:93], -v[86:87], v[88:89], 1.0
	v_fmac_f64_e32 v[88:89], v[88:89], v[92:93]
	v_mul_f64 v[92:93], v[90:91], v[88:89]
	v_fma_f64 v[86:87], -v[86:87], v[92:93], v[90:91]
	v_div_fmas_f64 v[86:87], v[86:87], v[88:89], v[92:93]
	v_div_fixup_f64 v[86:87], v[86:87], v[68:69], v[70:71]
	v_fmac_f64_e32 v[68:69], v[70:71], v[86:87]
	v_div_scale_f64 v[70:71], s[18:19], v[68:69], v[68:69], 1.0
	v_rcp_f64_e32 v[88:89], v[70:71]
	s_nop 0
	v_fma_f64 v[90:91], -v[70:71], v[88:89], 1.0
	v_fmac_f64_e32 v[88:89], v[88:89], v[90:91]
	v_fma_f64 v[90:91], -v[70:71], v[88:89], 1.0
	v_fmac_f64_e32 v[88:89], v[88:89], v[90:91]
	v_div_scale_f64 v[90:91], vcc, 1.0, v[68:69], 1.0
	v_mul_f64 v[92:93], v[90:91], v[88:89]
	v_fma_f64 v[70:71], -v[70:71], v[92:93], v[90:91]
	s_nop 1
	v_div_fmas_f64 v[70:71], v[70:71], v[88:89], v[92:93]
	v_div_fixup_f64 v[68:69], v[70:71], v[68:69], 1.0
	v_mul_f64 v[70:71], v[86:87], -v[68:69]
.LBB32_11:
	s_or_b64 exec, exec, s[16:17]
	v_mov_b32_e32 v85, 0
	v_mov_b32_e32 v83, 2
.LBB32_12:
	s_or_b64 exec, exec, s[0:1]
	v_cmp_ne_u32_e32 vcc, v82, v79
	s_and_saveexec_b64 s[0:1], vcc
	s_xor_b64 s[0:1], exec, s[0:1]
	s_cbranch_execz .LBB32_18
; %bb.13:
	v_cmp_eq_u32_e32 vcc, 0, v82
	s_and_saveexec_b64 s[16:17], vcc
	s_cbranch_execz .LBB32_17
; %bb.14:
	v_cmp_ne_u32_e32 vcc, 0, v79
	s_xor_b64 s[18:19], s[14:15], -1
	s_and_b64 s[22:23], s[18:19], vcc
	s_and_saveexec_b64 s[18:19], s[22:23]
	s_cbranch_execz .LBB32_16
; %bb.15:
	v_ashrrev_i32_e32 v87, 31, v79
	v_mov_b32_e32 v86, v79
	v_lshl_add_u64 v[86:87], v[86:87], 2, v[76:77]
	global_load_dword v78, v[86:87], off
	global_load_dword v81, v[76:77], off
	s_waitcnt vmcnt(1)
	global_store_dword v[76:77], v78, off
	s_waitcnt vmcnt(1)
	global_store_dword v[86:87], v81, off
.LBB32_16:
	s_or_b64 exec, exec, s[18:19]
	v_mov_b32_e32 v82, v79
.LBB32_17:
	s_or_b64 exec, exec, s[16:17]
.LBB32_18:
	s_or_saveexec_b64 s[0:1], s[0:1]
	v_mov_b32_e32 v81, v82
	s_xor_b64 exec, exec, s[0:1]
	s_cbranch_execz .LBB32_20
; %bb.19:
	v_mov_b32_e32 v81, 0
	s_waitcnt vmcnt(13)
	ds_write2_b64 v80, v[56:57], v[58:59] offset0:2 offset1:3
	ds_write2_b64 v80, v[52:53], v[54:55] offset0:4 offset1:5
	;; [unrolled: 1-line block ×3, first 2 shown]
	s_waitcnt vmcnt(12)
	ds_write2_b64 v80, v[48:49], v[50:51] offset0:8 offset1:9
	s_waitcnt vmcnt(11)
	ds_write2_b64 v80, v[36:37], v[38:39] offset0:10 offset1:11
	;; [unrolled: 2-line block ×13, first 2 shown]
.LBB32_20:
	s_or_b64 exec, exec, s[0:1]
	v_cmp_lt_i32_e32 vcc, 0, v81
	s_waitcnt lgkmcnt(0)
	s_barrier
	s_and_saveexec_b64 s[0:1], vcc
	s_cbranch_execz .LBB32_22
; %bb.21:
	ds_read2_b64 v[86:89], v80 offset0:2 offset1:3
	v_mul_f64 v[78:79], v[68:69], v[62:63]
	v_mul_f64 v[62:63], v[70:71], v[62:63]
	v_fmac_f64_e32 v[78:79], v[70:71], v[60:61]
	v_fma_f64 v[60:61], v[68:69], v[60:61], -v[62:63]
	ds_read2_b64 v[68:71], v80 offset0:4 offset1:5
	s_waitcnt lgkmcnt(1)
	v_mul_f64 v[62:63], v[88:89], v[78:79]
	v_fma_f64 v[62:63], v[86:87], v[60:61], -v[62:63]
	v_mul_f64 v[86:87], v[86:87], v[78:79]
	v_fmac_f64_e32 v[86:87], v[88:89], v[60:61]
	s_waitcnt vmcnt(13)
	v_add_f64 v[56:57], v[56:57], -v[62:63]
	s_waitcnt lgkmcnt(0)
	v_mul_f64 v[62:63], v[70:71], v[78:79]
	v_add_f64 v[58:59], v[58:59], -v[86:87]
	v_fma_f64 v[62:63], v[68:69], v[60:61], -v[62:63]
	v_mul_f64 v[68:69], v[68:69], v[78:79]
	ds_read2_b64 v[86:89], v80 offset0:6 offset1:7
	v_fmac_f64_e32 v[68:69], v[70:71], v[60:61]
	v_add_f64 v[54:55], v[54:55], -v[68:69]
	ds_read2_b64 v[68:71], v80 offset0:8 offset1:9
	v_add_f64 v[52:53], v[52:53], -v[62:63]
	s_waitcnt lgkmcnt(1)
	v_mul_f64 v[62:63], v[88:89], v[78:79]
	v_fma_f64 v[62:63], v[86:87], v[60:61], -v[62:63]
	v_mul_f64 v[86:87], v[86:87], v[78:79]
	v_fmac_f64_e32 v[86:87], v[88:89], v[60:61]
	v_add_f64 v[40:41], v[40:41], -v[62:63]
	s_waitcnt lgkmcnt(0)
	v_mul_f64 v[62:63], v[70:71], v[78:79]
	v_add_f64 v[42:43], v[42:43], -v[86:87]
	v_fma_f64 v[62:63], v[68:69], v[60:61], -v[62:63]
	v_mul_f64 v[68:69], v[68:69], v[78:79]
	ds_read2_b64 v[86:89], v80 offset0:10 offset1:11
	v_fmac_f64_e32 v[68:69], v[70:71], v[60:61]
	s_waitcnt vmcnt(12)
	v_add_f64 v[50:51], v[50:51], -v[68:69]
	ds_read2_b64 v[68:71], v80 offset0:12 offset1:13
	v_add_f64 v[48:49], v[48:49], -v[62:63]
	s_waitcnt lgkmcnt(1)
	v_mul_f64 v[62:63], v[88:89], v[78:79]
	v_fma_f64 v[62:63], v[86:87], v[60:61], -v[62:63]
	v_mul_f64 v[86:87], v[86:87], v[78:79]
	v_fmac_f64_e32 v[86:87], v[88:89], v[60:61]
	s_waitcnt vmcnt(11)
	v_add_f64 v[36:37], v[36:37], -v[62:63]
	s_waitcnt lgkmcnt(0)
	v_mul_f64 v[62:63], v[70:71], v[78:79]
	v_add_f64 v[38:39], v[38:39], -v[86:87]
	v_fma_f64 v[62:63], v[68:69], v[60:61], -v[62:63]
	v_mul_f64 v[68:69], v[68:69], v[78:79]
	ds_read2_b64 v[86:89], v80 offset0:14 offset1:15
	v_fmac_f64_e32 v[68:69], v[70:71], v[60:61]
	s_waitcnt vmcnt(10)
	v_add_f64 v[34:35], v[34:35], -v[68:69]
	ds_read2_b64 v[68:71], v80 offset0:16 offset1:17
	v_add_f64 v[32:33], v[32:33], -v[62:63]
	s_waitcnt lgkmcnt(1)
	v_mul_f64 v[62:63], v[88:89], v[78:79]
	v_fma_f64 v[62:63], v[86:87], v[60:61], -v[62:63]
	v_mul_f64 v[86:87], v[86:87], v[78:79]
	v_fmac_f64_e32 v[86:87], v[88:89], v[60:61]
	s_waitcnt vmcnt(9)
	;; [unrolled: 18-line block ×5, first 2 shown]
	v_add_f64 v[8:9], v[8:9], -v[62:63]
	s_waitcnt lgkmcnt(0)
	v_mul_f64 v[62:63], v[70:71], v[78:79]
	v_add_f64 v[10:11], v[10:11], -v[86:87]
	v_fma_f64 v[62:63], v[68:69], v[60:61], -v[62:63]
	v_mul_f64 v[68:69], v[68:69], v[78:79]
	ds_read2_b64 v[86:89], v80 offset0:30 offset1:31
	v_fmac_f64_e32 v[68:69], v[70:71], v[60:61]
	s_waitcnt vmcnt(2)
	v_add_f64 v[6:7], v[6:7], -v[68:69]
	ds_read2_b64 v[68:71], v80 offset0:32 offset1:33
	v_add_f64 v[4:5], v[4:5], -v[62:63]
	s_waitcnt lgkmcnt(1)
	v_mul_f64 v[62:63], v[88:89], v[78:79]
	v_fma_f64 v[62:63], v[86:87], v[60:61], -v[62:63]
	s_waitcnt vmcnt(1)
	v_add_f64 v[0:1], v[0:1], -v[62:63]
	s_waitcnt lgkmcnt(0)
	v_mul_f64 v[62:63], v[70:71], v[78:79]
	v_mul_f64 v[86:87], v[86:87], v[78:79]
	v_fma_f64 v[62:63], v[68:69], v[60:61], -v[62:63]
	v_mul_f64 v[68:69], v[68:69], v[78:79]
	v_fmac_f64_e32 v[86:87], v[88:89], v[60:61]
	v_fmac_f64_e32 v[68:69], v[70:71], v[60:61]
	v_add_f64 v[2:3], v[2:3], -v[86:87]
	s_waitcnt vmcnt(0)
	v_add_f64 v[64:65], v[64:65], -v[62:63]
	v_add_f64 v[66:67], v[66:67], -v[68:69]
	v_mov_b64_e32 v[62:63], v[78:79]
.LBB32_22:
	s_or_b64 exec, exec, s[0:1]
	v_lshl_add_u32 v68, v81, 4, v80
	s_barrier
	s_waitcnt vmcnt(13)
	ds_write2_b64 v68, v[56:57], v[58:59] offset1:1
	s_waitcnt lgkmcnt(0)
	s_barrier
	ds_read2_b64 v[68:71], v80 offset0:2 offset1:3
	s_cmp_lt_i32 s20, 3
	v_mov_b32_e32 v78, 1
	s_cbranch_scc1 .LBB32_25
; %bb.23:
	v_add3_u32 v79, v84, 0, 32
	s_mov_b32 s16, 2
	v_mov_b32_e32 v78, 1
.LBB32_24:                              ; =>This Inner Loop Header: Depth=1
	ds_read2_b64 v[86:89], v79 offset1:1
	s_waitcnt lgkmcnt(1)
	v_xor_b32_e32 v91, 0x80000000, v69
	v_xor_b32_e32 v93, 0x80000000, v71
	v_cmp_gt_f64_e32 vcc, 0, v[70:71]
	v_cmp_gt_f64_e64 s[0:1], 0, v[68:69]
	v_mov_b32_e32 v90, v68
	v_mov_b32_e32 v92, v70
	v_cndmask_b32_e64 v91, v69, v91, s[0:1]
	v_cndmask_b32_e32 v93, v71, v93, vcc
	v_add_f64 v[90:91], v[90:91], v[92:93]
	s_waitcnt lgkmcnt(0)
	v_xor_b32_e32 v93, 0x80000000, v87
	v_xor_b32_e32 v95, 0x80000000, v89
	v_cmp_gt_f64_e32 vcc, 0, v[88:89]
	v_cmp_gt_f64_e64 s[0:1], 0, v[86:87]
	v_mov_b32_e32 v92, v86
	v_mov_b32_e32 v94, v88
	v_cndmask_b32_e64 v93, v87, v93, s[0:1]
	v_cndmask_b32_e32 v95, v89, v95, vcc
	v_add_f64 v[92:93], v[92:93], v[94:95]
	v_mov_b32_e32 v96, s16
	s_add_i32 s16, s16, 1
	v_cmp_lt_f64_e32 vcc, v[90:91], v[92:93]
	v_add_u32_e32 v79, 16, v79
	s_cmp_lg_u32 s20, s16
	v_cndmask_b32_e32 v69, v69, v87, vcc
	v_cndmask_b32_e32 v68, v68, v86, vcc
	;; [unrolled: 1-line block ×5, first 2 shown]
	s_cbranch_scc1 .LBB32_24
.LBB32_25:
	s_waitcnt lgkmcnt(0)
	v_cmp_neq_f64_e32 vcc, 0, v[68:69]
	v_cmp_neq_f64_e64 s[0:1], 0, v[70:71]
	s_or_b64 s[16:17], vcc, s[0:1]
	s_and_saveexec_b64 s[0:1], s[16:17]
	s_cbranch_execz .LBB32_31
; %bb.26:
	v_cmp_ngt_f64_e64 s[16:17], |v[68:69]|, |v[70:71]|
	s_and_saveexec_b64 s[18:19], s[16:17]
	s_xor_b64 s[16:17], exec, s[18:19]
	s_cbranch_execz .LBB32_28
; %bb.27:
	v_div_scale_f64 v[86:87], s[18:19], v[70:71], v[70:71], v[68:69]
	v_rcp_f64_e32 v[88:89], v[86:87]
	v_div_scale_f64 v[90:91], vcc, v[68:69], v[70:71], v[68:69]
	v_fma_f64 v[92:93], -v[86:87], v[88:89], 1.0
	v_fmac_f64_e32 v[88:89], v[88:89], v[92:93]
	v_fma_f64 v[92:93], -v[86:87], v[88:89], 1.0
	v_fmac_f64_e32 v[88:89], v[88:89], v[92:93]
	v_mul_f64 v[92:93], v[90:91], v[88:89]
	v_fma_f64 v[86:87], -v[86:87], v[92:93], v[90:91]
	v_div_fmas_f64 v[86:87], v[86:87], v[88:89], v[92:93]
	v_div_fixup_f64 v[86:87], v[86:87], v[70:71], v[68:69]
	v_fmac_f64_e32 v[70:71], v[68:69], v[86:87]
	v_div_scale_f64 v[68:69], s[18:19], v[70:71], v[70:71], 1.0
	v_rcp_f64_e32 v[88:89], v[68:69]
	s_nop 0
	v_fma_f64 v[90:91], -v[68:69], v[88:89], 1.0
	v_fmac_f64_e32 v[88:89], v[88:89], v[90:91]
	v_fma_f64 v[90:91], -v[68:69], v[88:89], 1.0
	v_fmac_f64_e32 v[88:89], v[88:89], v[90:91]
	v_div_scale_f64 v[90:91], vcc, 1.0, v[70:71], 1.0
	v_mul_f64 v[92:93], v[90:91], v[88:89]
	v_fma_f64 v[68:69], -v[68:69], v[92:93], v[90:91]
	s_nop 1
	v_div_fmas_f64 v[68:69], v[68:69], v[88:89], v[92:93]
	v_div_fixup_f64 v[70:71], v[68:69], v[70:71], 1.0
	v_mul_f64 v[68:69], v[86:87], v[70:71]
	v_xor_b32_e32 v71, 0x80000000, v71
.LBB32_28:
	s_andn2_saveexec_b64 s[16:17], s[16:17]
	s_cbranch_execz .LBB32_30
; %bb.29:
	v_div_scale_f64 v[86:87], s[18:19], v[68:69], v[68:69], v[70:71]
	v_rcp_f64_e32 v[88:89], v[86:87]
	v_div_scale_f64 v[90:91], vcc, v[70:71], v[68:69], v[70:71]
	v_fma_f64 v[92:93], -v[86:87], v[88:89], 1.0
	v_fmac_f64_e32 v[88:89], v[88:89], v[92:93]
	v_fma_f64 v[92:93], -v[86:87], v[88:89], 1.0
	v_fmac_f64_e32 v[88:89], v[88:89], v[92:93]
	v_mul_f64 v[92:93], v[90:91], v[88:89]
	v_fma_f64 v[86:87], -v[86:87], v[92:93], v[90:91]
	v_div_fmas_f64 v[86:87], v[86:87], v[88:89], v[92:93]
	v_div_fixup_f64 v[86:87], v[86:87], v[68:69], v[70:71]
	v_fmac_f64_e32 v[68:69], v[70:71], v[86:87]
	v_div_scale_f64 v[70:71], s[18:19], v[68:69], v[68:69], 1.0
	v_rcp_f64_e32 v[88:89], v[70:71]
	s_nop 0
	v_fma_f64 v[90:91], -v[70:71], v[88:89], 1.0
	v_fmac_f64_e32 v[88:89], v[88:89], v[90:91]
	v_fma_f64 v[90:91], -v[70:71], v[88:89], 1.0
	v_fmac_f64_e32 v[88:89], v[88:89], v[90:91]
	v_div_scale_f64 v[90:91], vcc, 1.0, v[68:69], 1.0
	v_mul_f64 v[92:93], v[90:91], v[88:89]
	v_fma_f64 v[70:71], -v[70:71], v[92:93], v[90:91]
	s_nop 1
	v_div_fmas_f64 v[70:71], v[70:71], v[88:89], v[92:93]
	v_div_fixup_f64 v[68:69], v[70:71], v[68:69], 1.0
	v_mul_f64 v[70:71], v[86:87], -v[68:69]
.LBB32_30:
	s_or_b64 exec, exec, s[16:17]
	v_mov_b32_e32 v83, v85
.LBB32_31:
	s_or_b64 exec, exec, s[0:1]
	v_cmp_ne_u32_e32 vcc, v81, v78
	s_and_saveexec_b64 s[0:1], vcc
	s_xor_b64 s[0:1], exec, s[0:1]
	s_cbranch_execz .LBB32_37
; %bb.32:
	v_cmp_eq_u32_e32 vcc, 1, v81
	s_and_saveexec_b64 s[16:17], vcc
	s_cbranch_execz .LBB32_36
; %bb.33:
	v_cmp_ne_u32_e32 vcc, 1, v78
	s_xor_b64 s[18:19], s[14:15], -1
	s_and_b64 s[22:23], s[18:19], vcc
	s_and_saveexec_b64 s[18:19], s[22:23]
	s_cbranch_execz .LBB32_35
; %bb.34:
	v_ashrrev_i32_e32 v79, 31, v78
	v_lshl_add_u64 v[86:87], v[78:79], 2, v[76:77]
	global_load_dword v79, v[86:87], off
	global_load_dword v81, v[76:77], off offset:4
	s_waitcnt vmcnt(1)
	global_store_dword v[76:77], v79, off offset:4
	s_waitcnt vmcnt(1)
	global_store_dword v[86:87], v81, off
.LBB32_35:
	s_or_b64 exec, exec, s[18:19]
	v_mov_b32_e32 v81, v78
	v_mov_b32_e32 v82, v78
.LBB32_36:
	s_or_b64 exec, exec, s[16:17]
.LBB32_37:
	s_andn2_saveexec_b64 s[0:1], s[0:1]
	s_cbranch_execz .LBB32_39
; %bb.38:
	v_mov_b32_e32 v81, 1
	ds_write2_b64 v80, v[52:53], v[54:55] offset0:4 offset1:5
	ds_write2_b64 v80, v[40:41], v[42:43] offset0:6 offset1:7
	s_waitcnt vmcnt(12)
	ds_write2_b64 v80, v[48:49], v[50:51] offset0:8 offset1:9
	s_waitcnt vmcnt(11)
	;; [unrolled: 2-line block ×13, first 2 shown]
	ds_write2_b64 v80, v[64:65], v[66:67] offset0:32 offset1:33
.LBB32_39:
	s_or_b64 exec, exec, s[0:1]
	v_cmp_lt_i32_e32 vcc, 1, v81
	s_waitcnt lgkmcnt(0)
	s_barrier
	s_and_saveexec_b64 s[0:1], vcc
	s_cbranch_execz .LBB32_41
; %bb.40:
	ds_read2_b64 v[86:89], v80 offset0:4 offset1:5
	v_mul_f64 v[78:79], v[68:69], v[58:59]
	v_fmac_f64_e32 v[78:79], v[70:71], v[56:57]
	v_mul_f64 v[58:59], v[70:71], v[58:59]
	v_fma_f64 v[56:57], v[68:69], v[56:57], -v[58:59]
	ds_read2_b64 v[68:71], v80 offset0:6 offset1:7
	s_waitcnt lgkmcnt(1)
	v_mul_f64 v[58:59], v[88:89], v[78:79]
	v_fma_f64 v[58:59], v[86:87], v[56:57], -v[58:59]
	v_mul_f64 v[86:87], v[86:87], v[78:79]
	v_fmac_f64_e32 v[86:87], v[88:89], v[56:57]
	v_add_f64 v[54:55], v[54:55], -v[86:87]
	ds_read2_b64 v[86:89], v80 offset0:8 offset1:9
	v_add_f64 v[52:53], v[52:53], -v[58:59]
	s_waitcnt lgkmcnt(1)
	v_mul_f64 v[58:59], v[70:71], v[78:79]
	v_fma_f64 v[58:59], v[68:69], v[56:57], -v[58:59]
	v_mul_f64 v[68:69], v[68:69], v[78:79]
	v_fmac_f64_e32 v[68:69], v[70:71], v[56:57]
	v_add_f64 v[40:41], v[40:41], -v[58:59]
	v_add_f64 v[42:43], v[42:43], -v[68:69]
	ds_read2_b64 v[68:71], v80 offset0:10 offset1:11
	s_waitcnt lgkmcnt(1)
	v_mul_f64 v[58:59], v[88:89], v[78:79]
	v_fma_f64 v[58:59], v[86:87], v[56:57], -v[58:59]
	v_mul_f64 v[86:87], v[86:87], v[78:79]
	v_fmac_f64_e32 v[86:87], v[88:89], v[56:57]
	s_waitcnt vmcnt(12)
	v_add_f64 v[50:51], v[50:51], -v[86:87]
	ds_read2_b64 v[86:89], v80 offset0:12 offset1:13
	v_add_f64 v[48:49], v[48:49], -v[58:59]
	s_waitcnt lgkmcnt(1)
	v_mul_f64 v[58:59], v[70:71], v[78:79]
	v_fma_f64 v[58:59], v[68:69], v[56:57], -v[58:59]
	v_mul_f64 v[68:69], v[68:69], v[78:79]
	v_fmac_f64_e32 v[68:69], v[70:71], v[56:57]
	s_waitcnt vmcnt(11)
	v_add_f64 v[36:37], v[36:37], -v[58:59]
	v_add_f64 v[38:39], v[38:39], -v[68:69]
	ds_read2_b64 v[68:71], v80 offset0:14 offset1:15
	s_waitcnt lgkmcnt(1)
	v_mul_f64 v[58:59], v[88:89], v[78:79]
	v_fma_f64 v[58:59], v[86:87], v[56:57], -v[58:59]
	v_mul_f64 v[86:87], v[86:87], v[78:79]
	v_fmac_f64_e32 v[86:87], v[88:89], v[56:57]
	s_waitcnt vmcnt(10)
	v_add_f64 v[34:35], v[34:35], -v[86:87]
	ds_read2_b64 v[86:89], v80 offset0:16 offset1:17
	v_add_f64 v[32:33], v[32:33], -v[58:59]
	s_waitcnt lgkmcnt(1)
	v_mul_f64 v[58:59], v[70:71], v[78:79]
	v_fma_f64 v[58:59], v[68:69], v[56:57], -v[58:59]
	v_mul_f64 v[68:69], v[68:69], v[78:79]
	v_fmac_f64_e32 v[68:69], v[70:71], v[56:57]
	s_waitcnt vmcnt(9)
	;; [unrolled: 18-line block ×6, first 2 shown]
	v_add_f64 v[0:1], v[0:1], -v[58:59]
	v_add_f64 v[2:3], v[2:3], -v[68:69]
	s_waitcnt lgkmcnt(0)
	v_mul_f64 v[58:59], v[88:89], v[78:79]
	v_mul_f64 v[68:69], v[86:87], v[78:79]
	v_fma_f64 v[58:59], v[86:87], v[56:57], -v[58:59]
	v_fmac_f64_e32 v[68:69], v[88:89], v[56:57]
	s_waitcnt vmcnt(0)
	v_add_f64 v[64:65], v[64:65], -v[58:59]
	v_add_f64 v[66:67], v[66:67], -v[68:69]
	v_mov_b64_e32 v[58:59], v[78:79]
.LBB32_41:
	s_or_b64 exec, exec, s[0:1]
	v_lshl_add_u32 v68, v81, 4, v80
	s_barrier
	ds_write2_b64 v68, v[52:53], v[54:55] offset1:1
	s_waitcnt lgkmcnt(0)
	s_barrier
	ds_read2_b64 v[68:71], v80 offset0:4 offset1:5
	s_cmp_lt_i32 s20, 4
	v_mov_b32_e32 v78, 2
	s_cbranch_scc1 .LBB32_44
; %bb.42:
	v_add3_u32 v79, v84, 0, 48
	s_mov_b32 s16, 3
	v_mov_b32_e32 v78, 2
.LBB32_43:                              ; =>This Inner Loop Header: Depth=1
	ds_read2_b64 v[86:89], v79 offset1:1
	s_waitcnt lgkmcnt(1)
	v_xor_b32_e32 v85, 0x80000000, v69
	v_xor_b32_e32 v93, 0x80000000, v71
	v_cmp_gt_f64_e32 vcc, 0, v[70:71]
	v_cmp_gt_f64_e64 s[0:1], 0, v[68:69]
	v_mov_b32_e32 v90, v68
	v_mov_b32_e32 v92, v70
	v_cndmask_b32_e64 v91, v69, v85, s[0:1]
	v_cndmask_b32_e32 v93, v71, v93, vcc
	s_waitcnt lgkmcnt(0)
	v_xor_b32_e32 v85, 0x80000000, v87
	v_xor_b32_e32 v95, 0x80000000, v89
	v_cmp_gt_f64_e32 vcc, 0, v[88:89]
	v_cmp_gt_f64_e64 s[0:1], 0, v[86:87]
	v_add_f64 v[90:91], v[90:91], v[92:93]
	v_mov_b32_e32 v92, v86
	v_mov_b32_e32 v94, v88
	v_cndmask_b32_e64 v93, v87, v85, s[0:1]
	v_cndmask_b32_e32 v95, v89, v95, vcc
	v_add_f64 v[92:93], v[92:93], v[94:95]
	v_mov_b32_e32 v96, s16
	s_add_i32 s16, s16, 1
	v_cmp_lt_f64_e32 vcc, v[90:91], v[92:93]
	v_add_u32_e32 v79, 16, v79
	s_cmp_lg_u32 s20, s16
	v_cndmask_b32_e32 v69, v69, v87, vcc
	v_cndmask_b32_e32 v68, v68, v86, vcc
	;; [unrolled: 1-line block ×5, first 2 shown]
	s_cbranch_scc1 .LBB32_43
.LBB32_44:
	s_waitcnt lgkmcnt(0)
	v_cmp_eq_f64_e32 vcc, 0, v[68:69]
	v_cmp_eq_f64_e64 s[0:1], 0, v[70:71]
	s_and_b64 s[0:1], vcc, s[0:1]
	s_and_saveexec_b64 s[16:17], s[0:1]
	s_xor_b64 s[0:1], exec, s[16:17]
; %bb.45:
	v_cmp_ne_u32_e32 vcc, 0, v83
	s_nop 1
	v_cndmask_b32_e32 v83, 3, v83, vcc
; %bb.46:
	s_andn2_saveexec_b64 s[0:1], s[0:1]
	s_cbranch_execz .LBB32_52
; %bb.47:
	v_cmp_ngt_f64_e64 s[16:17], |v[68:69]|, |v[70:71]|
	s_and_saveexec_b64 s[18:19], s[16:17]
	s_xor_b64 s[16:17], exec, s[18:19]
	s_cbranch_execz .LBB32_49
; %bb.48:
	v_div_scale_f64 v[86:87], s[18:19], v[70:71], v[70:71], v[68:69]
	v_rcp_f64_e32 v[88:89], v[86:87]
	v_div_scale_f64 v[90:91], vcc, v[68:69], v[70:71], v[68:69]
	v_fma_f64 v[92:93], -v[86:87], v[88:89], 1.0
	v_fmac_f64_e32 v[88:89], v[88:89], v[92:93]
	v_fma_f64 v[92:93], -v[86:87], v[88:89], 1.0
	v_fmac_f64_e32 v[88:89], v[88:89], v[92:93]
	v_mul_f64 v[92:93], v[90:91], v[88:89]
	v_fma_f64 v[86:87], -v[86:87], v[92:93], v[90:91]
	v_div_fmas_f64 v[86:87], v[86:87], v[88:89], v[92:93]
	v_div_fixup_f64 v[86:87], v[86:87], v[70:71], v[68:69]
	v_fmac_f64_e32 v[70:71], v[68:69], v[86:87]
	v_div_scale_f64 v[68:69], s[18:19], v[70:71], v[70:71], 1.0
	v_rcp_f64_e32 v[88:89], v[68:69]
	s_nop 0
	v_fma_f64 v[90:91], -v[68:69], v[88:89], 1.0
	v_fmac_f64_e32 v[88:89], v[88:89], v[90:91]
	v_fma_f64 v[90:91], -v[68:69], v[88:89], 1.0
	v_fmac_f64_e32 v[88:89], v[88:89], v[90:91]
	v_div_scale_f64 v[90:91], vcc, 1.0, v[70:71], 1.0
	v_mul_f64 v[92:93], v[90:91], v[88:89]
	v_fma_f64 v[68:69], -v[68:69], v[92:93], v[90:91]
	s_nop 1
	v_div_fmas_f64 v[68:69], v[68:69], v[88:89], v[92:93]
	v_div_fixup_f64 v[70:71], v[68:69], v[70:71], 1.0
	v_mul_f64 v[68:69], v[86:87], v[70:71]
	v_xor_b32_e32 v71, 0x80000000, v71
.LBB32_49:
	s_andn2_saveexec_b64 s[16:17], s[16:17]
	s_cbranch_execz .LBB32_51
; %bb.50:
	v_div_scale_f64 v[86:87], s[18:19], v[68:69], v[68:69], v[70:71]
	v_rcp_f64_e32 v[88:89], v[86:87]
	v_div_scale_f64 v[90:91], vcc, v[70:71], v[68:69], v[70:71]
	v_fma_f64 v[92:93], -v[86:87], v[88:89], 1.0
	v_fmac_f64_e32 v[88:89], v[88:89], v[92:93]
	v_fma_f64 v[92:93], -v[86:87], v[88:89], 1.0
	v_fmac_f64_e32 v[88:89], v[88:89], v[92:93]
	v_mul_f64 v[92:93], v[90:91], v[88:89]
	v_fma_f64 v[86:87], -v[86:87], v[92:93], v[90:91]
	v_div_fmas_f64 v[86:87], v[86:87], v[88:89], v[92:93]
	v_div_fixup_f64 v[86:87], v[86:87], v[68:69], v[70:71]
	v_fmac_f64_e32 v[68:69], v[70:71], v[86:87]
	v_div_scale_f64 v[70:71], s[18:19], v[68:69], v[68:69], 1.0
	v_rcp_f64_e32 v[88:89], v[70:71]
	s_nop 0
	v_fma_f64 v[90:91], -v[70:71], v[88:89], 1.0
	v_fmac_f64_e32 v[88:89], v[88:89], v[90:91]
	v_fma_f64 v[90:91], -v[70:71], v[88:89], 1.0
	v_fmac_f64_e32 v[88:89], v[88:89], v[90:91]
	v_div_scale_f64 v[90:91], vcc, 1.0, v[68:69], 1.0
	v_mul_f64 v[92:93], v[90:91], v[88:89]
	v_fma_f64 v[70:71], -v[70:71], v[92:93], v[90:91]
	s_nop 1
	v_div_fmas_f64 v[70:71], v[70:71], v[88:89], v[92:93]
	v_div_fixup_f64 v[68:69], v[70:71], v[68:69], 1.0
	v_mul_f64 v[70:71], v[86:87], -v[68:69]
.LBB32_51:
	s_or_b64 exec, exec, s[16:17]
.LBB32_52:
	s_or_b64 exec, exec, s[0:1]
	v_cmp_ne_u32_e32 vcc, v81, v78
	s_and_saveexec_b64 s[0:1], vcc
	s_xor_b64 s[0:1], exec, s[0:1]
	s_cbranch_execz .LBB32_58
; %bb.53:
	v_cmp_eq_u32_e32 vcc, 2, v81
	s_and_saveexec_b64 s[16:17], vcc
	s_cbranch_execz .LBB32_57
; %bb.54:
	v_cmp_ne_u32_e32 vcc, 2, v78
	s_xor_b64 s[18:19], s[14:15], -1
	s_and_b64 s[22:23], s[18:19], vcc
	s_and_saveexec_b64 s[18:19], s[22:23]
	s_cbranch_execz .LBB32_56
; %bb.55:
	v_ashrrev_i32_e32 v79, 31, v78
	v_lshl_add_u64 v[86:87], v[78:79], 2, v[76:77]
	global_load_dword v79, v[86:87], off
	global_load_dword v81, v[76:77], off offset:8
	s_waitcnt vmcnt(1)
	global_store_dword v[76:77], v79, off offset:8
	s_waitcnt vmcnt(1)
	global_store_dword v[86:87], v81, off
.LBB32_56:
	s_or_b64 exec, exec, s[18:19]
	v_mov_b32_e32 v81, v78
	v_mov_b32_e32 v82, v78
.LBB32_57:
	s_or_b64 exec, exec, s[16:17]
.LBB32_58:
	s_andn2_saveexec_b64 s[0:1], s[0:1]
	s_cbranch_execz .LBB32_60
; %bb.59:
	v_mov_b32_e32 v81, 2
	ds_write2_b64 v80, v[40:41], v[42:43] offset0:6 offset1:7
	s_waitcnt vmcnt(12)
	ds_write2_b64 v80, v[48:49], v[50:51] offset0:8 offset1:9
	s_waitcnt vmcnt(11)
	;; [unrolled: 2-line block ×13, first 2 shown]
	ds_write2_b64 v80, v[64:65], v[66:67] offset0:32 offset1:33
.LBB32_60:
	s_or_b64 exec, exec, s[0:1]
	v_cmp_lt_i32_e32 vcc, 2, v81
	s_waitcnt lgkmcnt(0)
	s_barrier
	s_and_saveexec_b64 s[0:1], vcc
	s_cbranch_execz .LBB32_62
; %bb.61:
	ds_read2_b64 v[86:89], v80 offset0:6 offset1:7
	v_mul_f64 v[78:79], v[68:69], v[54:55]
	v_mul_f64 v[54:55], v[70:71], v[54:55]
	v_fmac_f64_e32 v[78:79], v[70:71], v[52:53]
	v_fma_f64 v[52:53], v[68:69], v[52:53], -v[54:55]
	ds_read2_b64 v[68:71], v80 offset0:8 offset1:9
	s_waitcnt lgkmcnt(1)
	v_mul_f64 v[54:55], v[88:89], v[78:79]
	v_fma_f64 v[54:55], v[86:87], v[52:53], -v[54:55]
	v_mul_f64 v[86:87], v[86:87], v[78:79]
	v_fmac_f64_e32 v[86:87], v[88:89], v[52:53]
	v_add_f64 v[40:41], v[40:41], -v[54:55]
	s_waitcnt lgkmcnt(0)
	v_mul_f64 v[54:55], v[70:71], v[78:79]
	v_add_f64 v[42:43], v[42:43], -v[86:87]
	v_fma_f64 v[54:55], v[68:69], v[52:53], -v[54:55]
	v_mul_f64 v[68:69], v[68:69], v[78:79]
	ds_read2_b64 v[86:89], v80 offset0:10 offset1:11
	v_fmac_f64_e32 v[68:69], v[70:71], v[52:53]
	s_waitcnt vmcnt(12)
	v_add_f64 v[50:51], v[50:51], -v[68:69]
	ds_read2_b64 v[68:71], v80 offset0:12 offset1:13
	v_add_f64 v[48:49], v[48:49], -v[54:55]
	s_waitcnt lgkmcnt(1)
	v_mul_f64 v[54:55], v[88:89], v[78:79]
	v_fma_f64 v[54:55], v[86:87], v[52:53], -v[54:55]
	v_mul_f64 v[86:87], v[86:87], v[78:79]
	v_fmac_f64_e32 v[86:87], v[88:89], v[52:53]
	s_waitcnt vmcnt(11)
	v_add_f64 v[36:37], v[36:37], -v[54:55]
	s_waitcnt lgkmcnt(0)
	v_mul_f64 v[54:55], v[70:71], v[78:79]
	v_add_f64 v[38:39], v[38:39], -v[86:87]
	v_fma_f64 v[54:55], v[68:69], v[52:53], -v[54:55]
	v_mul_f64 v[68:69], v[68:69], v[78:79]
	ds_read2_b64 v[86:89], v80 offset0:14 offset1:15
	v_fmac_f64_e32 v[68:69], v[70:71], v[52:53]
	s_waitcnt vmcnt(10)
	v_add_f64 v[34:35], v[34:35], -v[68:69]
	ds_read2_b64 v[68:71], v80 offset0:16 offset1:17
	v_add_f64 v[32:33], v[32:33], -v[54:55]
	s_waitcnt lgkmcnt(1)
	v_mul_f64 v[54:55], v[88:89], v[78:79]
	v_fma_f64 v[54:55], v[86:87], v[52:53], -v[54:55]
	v_mul_f64 v[86:87], v[86:87], v[78:79]
	v_fmac_f64_e32 v[86:87], v[88:89], v[52:53]
	s_waitcnt vmcnt(9)
	;; [unrolled: 18-line block ×5, first 2 shown]
	v_add_f64 v[8:9], v[8:9], -v[54:55]
	s_waitcnt lgkmcnt(0)
	v_mul_f64 v[54:55], v[70:71], v[78:79]
	v_add_f64 v[10:11], v[10:11], -v[86:87]
	v_fma_f64 v[54:55], v[68:69], v[52:53], -v[54:55]
	v_mul_f64 v[68:69], v[68:69], v[78:79]
	ds_read2_b64 v[86:89], v80 offset0:30 offset1:31
	v_fmac_f64_e32 v[68:69], v[70:71], v[52:53]
	s_waitcnt vmcnt(2)
	v_add_f64 v[6:7], v[6:7], -v[68:69]
	ds_read2_b64 v[68:71], v80 offset0:32 offset1:33
	v_add_f64 v[4:5], v[4:5], -v[54:55]
	s_waitcnt lgkmcnt(1)
	v_mul_f64 v[54:55], v[88:89], v[78:79]
	v_fma_f64 v[54:55], v[86:87], v[52:53], -v[54:55]
	s_waitcnt vmcnt(1)
	v_add_f64 v[0:1], v[0:1], -v[54:55]
	s_waitcnt lgkmcnt(0)
	v_mul_f64 v[54:55], v[70:71], v[78:79]
	v_mul_f64 v[86:87], v[86:87], v[78:79]
	v_fma_f64 v[54:55], v[68:69], v[52:53], -v[54:55]
	v_mul_f64 v[68:69], v[68:69], v[78:79]
	v_fmac_f64_e32 v[86:87], v[88:89], v[52:53]
	v_fmac_f64_e32 v[68:69], v[70:71], v[52:53]
	v_add_f64 v[2:3], v[2:3], -v[86:87]
	s_waitcnt vmcnt(0)
	v_add_f64 v[64:65], v[64:65], -v[54:55]
	v_add_f64 v[66:67], v[66:67], -v[68:69]
	v_mov_b64_e32 v[54:55], v[78:79]
.LBB32_62:
	s_or_b64 exec, exec, s[0:1]
	v_lshl_add_u32 v68, v81, 4, v80
	s_barrier
	ds_write2_b64 v68, v[40:41], v[42:43] offset1:1
	s_waitcnt lgkmcnt(0)
	s_barrier
	ds_read2_b64 v[68:71], v80 offset0:6 offset1:7
	s_mov_b32 s16, 4
	s_cmp_lt_i32 s20, 5
	v_mov_b32_e32 v78, 3
	s_cbranch_scc1 .LBB32_65
; %bb.63:
	v_add3_u32 v79, v84, 0, 64
	v_mov_b32_e32 v78, 3
.LBB32_64:                              ; =>This Inner Loop Header: Depth=1
	ds_read2_b64 v[84:87], v79 offset1:1
	s_waitcnt lgkmcnt(1)
	v_xor_b32_e32 v89, 0x80000000, v69
	v_xor_b32_e32 v91, 0x80000000, v71
	v_cmp_gt_f64_e32 vcc, 0, v[70:71]
	v_cmp_gt_f64_e64 s[0:1], 0, v[68:69]
	v_mov_b32_e32 v88, v68
	v_mov_b32_e32 v90, v70
	v_cndmask_b32_e64 v89, v69, v89, s[0:1]
	v_cndmask_b32_e32 v91, v71, v91, vcc
	v_add_f64 v[88:89], v[88:89], v[90:91]
	s_waitcnt lgkmcnt(0)
	v_xor_b32_e32 v91, 0x80000000, v85
	v_xor_b32_e32 v93, 0x80000000, v87
	v_cmp_gt_f64_e32 vcc, 0, v[86:87]
	v_cmp_gt_f64_e64 s[0:1], 0, v[84:85]
	v_mov_b32_e32 v90, v84
	v_mov_b32_e32 v92, v86
	v_cndmask_b32_e64 v91, v85, v91, s[0:1]
	v_cndmask_b32_e32 v93, v87, v93, vcc
	v_add_f64 v[90:91], v[90:91], v[92:93]
	v_mov_b32_e32 v94, s16
	s_add_i32 s16, s16, 1
	v_cmp_lt_f64_e32 vcc, v[88:89], v[90:91]
	v_add_u32_e32 v79, 16, v79
	s_cmp_lg_u32 s20, s16
	v_cndmask_b32_e32 v69, v69, v85, vcc
	v_cndmask_b32_e32 v68, v68, v84, vcc
	;; [unrolled: 1-line block ×5, first 2 shown]
	s_cbranch_scc1 .LBB32_64
.LBB32_65:
	s_waitcnt lgkmcnt(0)
	v_cmp_eq_f64_e32 vcc, 0, v[68:69]
	v_cmp_eq_f64_e64 s[0:1], 0, v[70:71]
	s_and_b64 s[0:1], vcc, s[0:1]
	s_and_saveexec_b64 s[16:17], s[0:1]
	s_xor_b64 s[0:1], exec, s[16:17]
; %bb.66:
	v_cmp_ne_u32_e32 vcc, 0, v83
	s_nop 1
	v_cndmask_b32_e32 v83, 4, v83, vcc
; %bb.67:
	s_andn2_saveexec_b64 s[0:1], s[0:1]
	s_cbranch_execz .LBB32_73
; %bb.68:
	v_cmp_ngt_f64_e64 s[16:17], |v[68:69]|, |v[70:71]|
	s_and_saveexec_b64 s[18:19], s[16:17]
	s_xor_b64 s[16:17], exec, s[18:19]
	s_cbranch_execz .LBB32_70
; %bb.69:
	v_div_scale_f64 v[84:85], s[18:19], v[70:71], v[70:71], v[68:69]
	v_rcp_f64_e32 v[86:87], v[84:85]
	v_div_scale_f64 v[88:89], vcc, v[68:69], v[70:71], v[68:69]
	v_fma_f64 v[90:91], -v[84:85], v[86:87], 1.0
	v_fmac_f64_e32 v[86:87], v[86:87], v[90:91]
	v_fma_f64 v[90:91], -v[84:85], v[86:87], 1.0
	v_fmac_f64_e32 v[86:87], v[86:87], v[90:91]
	v_mul_f64 v[90:91], v[88:89], v[86:87]
	v_fma_f64 v[84:85], -v[84:85], v[90:91], v[88:89]
	v_div_fmas_f64 v[84:85], v[84:85], v[86:87], v[90:91]
	v_div_fixup_f64 v[84:85], v[84:85], v[70:71], v[68:69]
	v_fmac_f64_e32 v[70:71], v[68:69], v[84:85]
	v_div_scale_f64 v[68:69], s[18:19], v[70:71], v[70:71], 1.0
	v_rcp_f64_e32 v[86:87], v[68:69]
	s_nop 0
	v_fma_f64 v[88:89], -v[68:69], v[86:87], 1.0
	v_fmac_f64_e32 v[86:87], v[86:87], v[88:89]
	v_fma_f64 v[88:89], -v[68:69], v[86:87], 1.0
	v_fmac_f64_e32 v[86:87], v[86:87], v[88:89]
	v_div_scale_f64 v[88:89], vcc, 1.0, v[70:71], 1.0
	v_mul_f64 v[90:91], v[88:89], v[86:87]
	v_fma_f64 v[68:69], -v[68:69], v[90:91], v[88:89]
	s_nop 1
	v_div_fmas_f64 v[68:69], v[68:69], v[86:87], v[90:91]
	v_div_fixup_f64 v[70:71], v[68:69], v[70:71], 1.0
	v_mul_f64 v[68:69], v[84:85], v[70:71]
	v_xor_b32_e32 v71, 0x80000000, v71
.LBB32_70:
	s_andn2_saveexec_b64 s[16:17], s[16:17]
	s_cbranch_execz .LBB32_72
; %bb.71:
	v_div_scale_f64 v[84:85], s[18:19], v[68:69], v[68:69], v[70:71]
	v_rcp_f64_e32 v[86:87], v[84:85]
	v_div_scale_f64 v[88:89], vcc, v[70:71], v[68:69], v[70:71]
	v_fma_f64 v[90:91], -v[84:85], v[86:87], 1.0
	v_fmac_f64_e32 v[86:87], v[86:87], v[90:91]
	v_fma_f64 v[90:91], -v[84:85], v[86:87], 1.0
	v_fmac_f64_e32 v[86:87], v[86:87], v[90:91]
	v_mul_f64 v[90:91], v[88:89], v[86:87]
	v_fma_f64 v[84:85], -v[84:85], v[90:91], v[88:89]
	v_div_fmas_f64 v[84:85], v[84:85], v[86:87], v[90:91]
	v_div_fixup_f64 v[84:85], v[84:85], v[68:69], v[70:71]
	v_fmac_f64_e32 v[68:69], v[70:71], v[84:85]
	v_div_scale_f64 v[70:71], s[18:19], v[68:69], v[68:69], 1.0
	v_rcp_f64_e32 v[86:87], v[70:71]
	s_nop 0
	v_fma_f64 v[88:89], -v[70:71], v[86:87], 1.0
	v_fmac_f64_e32 v[86:87], v[86:87], v[88:89]
	v_fma_f64 v[88:89], -v[70:71], v[86:87], 1.0
	v_fmac_f64_e32 v[86:87], v[86:87], v[88:89]
	v_div_scale_f64 v[88:89], vcc, 1.0, v[68:69], 1.0
	v_mul_f64 v[90:91], v[88:89], v[86:87]
	v_fma_f64 v[70:71], -v[70:71], v[90:91], v[88:89]
	s_nop 1
	v_div_fmas_f64 v[70:71], v[70:71], v[86:87], v[90:91]
	v_div_fixup_f64 v[68:69], v[70:71], v[68:69], 1.0
	v_mul_f64 v[70:71], v[84:85], -v[68:69]
.LBB32_72:
	s_or_b64 exec, exec, s[16:17]
.LBB32_73:
	s_or_b64 exec, exec, s[0:1]
	v_cmp_ne_u32_e32 vcc, v81, v78
	s_and_saveexec_b64 s[0:1], vcc
	s_xor_b64 s[0:1], exec, s[0:1]
	s_cbranch_execz .LBB32_79
; %bb.74:
	v_cmp_eq_u32_e32 vcc, 3, v81
	s_and_saveexec_b64 s[16:17], vcc
	s_cbranch_execz .LBB32_78
; %bb.75:
	v_cmp_ne_u32_e32 vcc, 3, v78
	s_xor_b64 s[18:19], s[14:15], -1
	s_and_b64 s[22:23], s[18:19], vcc
	s_and_saveexec_b64 s[18:19], s[22:23]
	s_cbranch_execz .LBB32_77
; %bb.76:
	v_ashrrev_i32_e32 v79, 31, v78
	v_lshl_add_u64 v[84:85], v[78:79], 2, v[76:77]
	global_load_dword v79, v[84:85], off
	global_load_dword v81, v[76:77], off offset:12
	s_waitcnt vmcnt(1)
	global_store_dword v[76:77], v79, off offset:12
	s_waitcnt vmcnt(1)
	global_store_dword v[84:85], v81, off
.LBB32_77:
	s_or_b64 exec, exec, s[18:19]
	v_mov_b32_e32 v81, v78
	v_mov_b32_e32 v82, v78
.LBB32_78:
	s_or_b64 exec, exec, s[16:17]
.LBB32_79:
	s_andn2_saveexec_b64 s[0:1], s[0:1]
	s_cbranch_execz .LBB32_81
; %bb.80:
	v_mov_b32_e32 v81, 3
	s_waitcnt vmcnt(12)
	ds_write2_b64 v80, v[48:49], v[50:51] offset0:8 offset1:9
	s_waitcnt vmcnt(11)
	ds_write2_b64 v80, v[36:37], v[38:39] offset0:10 offset1:11
	;; [unrolled: 2-line block ×13, first 2 shown]
.LBB32_81:
	s_or_b64 exec, exec, s[0:1]
	v_cmp_lt_i32_e32 vcc, 3, v81
	s_waitcnt lgkmcnt(0)
	s_barrier
	s_and_saveexec_b64 s[0:1], vcc
	s_cbranch_execz .LBB32_83
; %bb.82:
	ds_read2_b64 v[84:87], v80 offset0:8 offset1:9
	v_mul_f64 v[78:79], v[68:69], v[42:43]
	v_fmac_f64_e32 v[78:79], v[70:71], v[40:41]
	v_mul_f64 v[42:43], v[70:71], v[42:43]
	v_fma_f64 v[40:41], v[68:69], v[40:41], -v[42:43]
	ds_read2_b64 v[68:71], v80 offset0:10 offset1:11
	s_waitcnt lgkmcnt(1)
	v_mul_f64 v[42:43], v[86:87], v[78:79]
	v_fma_f64 v[42:43], v[84:85], v[40:41], -v[42:43]
	v_mul_f64 v[84:85], v[84:85], v[78:79]
	v_fmac_f64_e32 v[84:85], v[86:87], v[40:41]
	s_waitcnt vmcnt(12)
	v_add_f64 v[50:51], v[50:51], -v[84:85]
	ds_read2_b64 v[84:87], v80 offset0:12 offset1:13
	v_add_f64 v[48:49], v[48:49], -v[42:43]
	s_waitcnt lgkmcnt(1)
	v_mul_f64 v[42:43], v[70:71], v[78:79]
	v_fma_f64 v[42:43], v[68:69], v[40:41], -v[42:43]
	v_mul_f64 v[68:69], v[68:69], v[78:79]
	v_fmac_f64_e32 v[68:69], v[70:71], v[40:41]
	s_waitcnt vmcnt(11)
	v_add_f64 v[36:37], v[36:37], -v[42:43]
	v_add_f64 v[38:39], v[38:39], -v[68:69]
	ds_read2_b64 v[68:71], v80 offset0:14 offset1:15
	s_waitcnt lgkmcnt(1)
	v_mul_f64 v[42:43], v[86:87], v[78:79]
	v_fma_f64 v[42:43], v[84:85], v[40:41], -v[42:43]
	v_mul_f64 v[84:85], v[84:85], v[78:79]
	v_fmac_f64_e32 v[84:85], v[86:87], v[40:41]
	s_waitcnt vmcnt(10)
	v_add_f64 v[34:35], v[34:35], -v[84:85]
	ds_read2_b64 v[84:87], v80 offset0:16 offset1:17
	v_add_f64 v[32:33], v[32:33], -v[42:43]
	s_waitcnt lgkmcnt(1)
	v_mul_f64 v[42:43], v[70:71], v[78:79]
	v_fma_f64 v[42:43], v[68:69], v[40:41], -v[42:43]
	v_mul_f64 v[68:69], v[68:69], v[78:79]
	v_fmac_f64_e32 v[68:69], v[70:71], v[40:41]
	s_waitcnt vmcnt(9)
	v_add_f64 v[24:25], v[24:25], -v[42:43]
	v_add_f64 v[26:27], v[26:27], -v[68:69]
	;; [unrolled: 18-line block ×6, first 2 shown]
	s_waitcnt lgkmcnt(0)
	v_mul_f64 v[42:43], v[86:87], v[78:79]
	v_mul_f64 v[68:69], v[84:85], v[78:79]
	v_fma_f64 v[42:43], v[84:85], v[40:41], -v[42:43]
	v_fmac_f64_e32 v[68:69], v[86:87], v[40:41]
	s_waitcnt vmcnt(0)
	v_add_f64 v[64:65], v[64:65], -v[42:43]
	v_add_f64 v[66:67], v[66:67], -v[68:69]
	v_mov_b64_e32 v[42:43], v[78:79]
.LBB32_83:
	s_or_b64 exec, exec, s[0:1]
	v_lshl_add_u32 v68, v81, 4, v80
	s_barrier
	s_waitcnt vmcnt(12)
	ds_write2_b64 v68, v[48:49], v[50:51] offset1:1
	s_waitcnt lgkmcnt(0)
	s_barrier
	ds_read2_b64 v[68:71], v80 offset0:8 offset1:9
	s_cmp_lt_i32 s20, 6
	v_mov_b32_e32 v78, 4
	s_cbranch_scc1 .LBB32_86
; %bb.84:
	v_mov_b32_e32 v78, 4
	v_add_u32_e32 v79, 0x50, v80
	s_mov_b32 s16, 5
.LBB32_85:                              ; =>This Inner Loop Header: Depth=1
	ds_read2_b64 v[84:87], v79 offset1:1
	s_waitcnt lgkmcnt(1)
	v_xor_b32_e32 v89, 0x80000000, v69
	v_xor_b32_e32 v91, 0x80000000, v71
	v_cmp_gt_f64_e32 vcc, 0, v[70:71]
	v_cmp_gt_f64_e64 s[0:1], 0, v[68:69]
	v_mov_b32_e32 v88, v68
	v_mov_b32_e32 v90, v70
	v_cndmask_b32_e64 v89, v69, v89, s[0:1]
	v_cndmask_b32_e32 v91, v71, v91, vcc
	v_add_f64 v[88:89], v[88:89], v[90:91]
	s_waitcnt lgkmcnt(0)
	v_xor_b32_e32 v91, 0x80000000, v85
	v_xor_b32_e32 v93, 0x80000000, v87
	v_cmp_gt_f64_e32 vcc, 0, v[86:87]
	v_cmp_gt_f64_e64 s[0:1], 0, v[84:85]
	v_mov_b32_e32 v90, v84
	v_mov_b32_e32 v92, v86
	v_cndmask_b32_e64 v91, v85, v91, s[0:1]
	v_cndmask_b32_e32 v93, v87, v93, vcc
	v_add_f64 v[90:91], v[90:91], v[92:93]
	v_mov_b32_e32 v94, s16
	s_add_i32 s16, s16, 1
	v_cmp_lt_f64_e32 vcc, v[88:89], v[90:91]
	v_add_u32_e32 v79, 16, v79
	s_cmp_lg_u32 s20, s16
	v_cndmask_b32_e32 v69, v69, v85, vcc
	v_cndmask_b32_e32 v68, v68, v84, vcc
	;; [unrolled: 1-line block ×5, first 2 shown]
	s_cbranch_scc1 .LBB32_85
.LBB32_86:
	s_waitcnt lgkmcnt(0)
	v_cmp_eq_f64_e32 vcc, 0, v[68:69]
	v_cmp_eq_f64_e64 s[0:1], 0, v[70:71]
	s_and_b64 s[0:1], vcc, s[0:1]
	s_and_saveexec_b64 s[16:17], s[0:1]
	s_xor_b64 s[0:1], exec, s[16:17]
; %bb.87:
	v_cmp_ne_u32_e32 vcc, 0, v83
	s_nop 1
	v_cndmask_b32_e32 v83, 5, v83, vcc
; %bb.88:
	s_andn2_saveexec_b64 s[0:1], s[0:1]
	s_cbranch_execz .LBB32_94
; %bb.89:
	v_cmp_ngt_f64_e64 s[16:17], |v[68:69]|, |v[70:71]|
	s_and_saveexec_b64 s[18:19], s[16:17]
	s_xor_b64 s[16:17], exec, s[18:19]
	s_cbranch_execz .LBB32_91
; %bb.90:
	v_div_scale_f64 v[84:85], s[18:19], v[70:71], v[70:71], v[68:69]
	v_rcp_f64_e32 v[86:87], v[84:85]
	v_div_scale_f64 v[88:89], vcc, v[68:69], v[70:71], v[68:69]
	v_fma_f64 v[90:91], -v[84:85], v[86:87], 1.0
	v_fmac_f64_e32 v[86:87], v[86:87], v[90:91]
	v_fma_f64 v[90:91], -v[84:85], v[86:87], 1.0
	v_fmac_f64_e32 v[86:87], v[86:87], v[90:91]
	v_mul_f64 v[90:91], v[88:89], v[86:87]
	v_fma_f64 v[84:85], -v[84:85], v[90:91], v[88:89]
	v_div_fmas_f64 v[84:85], v[84:85], v[86:87], v[90:91]
	v_div_fixup_f64 v[84:85], v[84:85], v[70:71], v[68:69]
	v_fmac_f64_e32 v[70:71], v[68:69], v[84:85]
	v_div_scale_f64 v[68:69], s[18:19], v[70:71], v[70:71], 1.0
	v_rcp_f64_e32 v[86:87], v[68:69]
	s_nop 0
	v_fma_f64 v[88:89], -v[68:69], v[86:87], 1.0
	v_fmac_f64_e32 v[86:87], v[86:87], v[88:89]
	v_fma_f64 v[88:89], -v[68:69], v[86:87], 1.0
	v_fmac_f64_e32 v[86:87], v[86:87], v[88:89]
	v_div_scale_f64 v[88:89], vcc, 1.0, v[70:71], 1.0
	v_mul_f64 v[90:91], v[88:89], v[86:87]
	v_fma_f64 v[68:69], -v[68:69], v[90:91], v[88:89]
	s_nop 1
	v_div_fmas_f64 v[68:69], v[68:69], v[86:87], v[90:91]
	v_div_fixup_f64 v[70:71], v[68:69], v[70:71], 1.0
	v_mul_f64 v[68:69], v[84:85], v[70:71]
	v_xor_b32_e32 v71, 0x80000000, v71
.LBB32_91:
	s_andn2_saveexec_b64 s[16:17], s[16:17]
	s_cbranch_execz .LBB32_93
; %bb.92:
	v_div_scale_f64 v[84:85], s[18:19], v[68:69], v[68:69], v[70:71]
	v_rcp_f64_e32 v[86:87], v[84:85]
	v_div_scale_f64 v[88:89], vcc, v[70:71], v[68:69], v[70:71]
	v_fma_f64 v[90:91], -v[84:85], v[86:87], 1.0
	v_fmac_f64_e32 v[86:87], v[86:87], v[90:91]
	v_fma_f64 v[90:91], -v[84:85], v[86:87], 1.0
	v_fmac_f64_e32 v[86:87], v[86:87], v[90:91]
	v_mul_f64 v[90:91], v[88:89], v[86:87]
	v_fma_f64 v[84:85], -v[84:85], v[90:91], v[88:89]
	v_div_fmas_f64 v[84:85], v[84:85], v[86:87], v[90:91]
	v_div_fixup_f64 v[84:85], v[84:85], v[68:69], v[70:71]
	v_fmac_f64_e32 v[68:69], v[70:71], v[84:85]
	v_div_scale_f64 v[70:71], s[18:19], v[68:69], v[68:69], 1.0
	v_rcp_f64_e32 v[86:87], v[70:71]
	s_nop 0
	v_fma_f64 v[88:89], -v[70:71], v[86:87], 1.0
	v_fmac_f64_e32 v[86:87], v[86:87], v[88:89]
	v_fma_f64 v[88:89], -v[70:71], v[86:87], 1.0
	v_fmac_f64_e32 v[86:87], v[86:87], v[88:89]
	v_div_scale_f64 v[88:89], vcc, 1.0, v[68:69], 1.0
	v_mul_f64 v[90:91], v[88:89], v[86:87]
	v_fma_f64 v[70:71], -v[70:71], v[90:91], v[88:89]
	s_nop 1
	v_div_fmas_f64 v[70:71], v[70:71], v[86:87], v[90:91]
	v_div_fixup_f64 v[68:69], v[70:71], v[68:69], 1.0
	v_mul_f64 v[70:71], v[84:85], -v[68:69]
.LBB32_93:
	s_or_b64 exec, exec, s[16:17]
.LBB32_94:
	s_or_b64 exec, exec, s[0:1]
	v_cmp_ne_u32_e32 vcc, v81, v78
	s_and_saveexec_b64 s[0:1], vcc
	s_xor_b64 s[0:1], exec, s[0:1]
	s_cbranch_execz .LBB32_100
; %bb.95:
	v_cmp_eq_u32_e32 vcc, 4, v81
	s_and_saveexec_b64 s[16:17], vcc
	s_cbranch_execz .LBB32_99
; %bb.96:
	v_cmp_ne_u32_e32 vcc, 4, v78
	s_xor_b64 s[18:19], s[14:15], -1
	s_and_b64 s[22:23], s[18:19], vcc
	s_and_saveexec_b64 s[18:19], s[22:23]
	s_cbranch_execz .LBB32_98
; %bb.97:
	v_ashrrev_i32_e32 v79, 31, v78
	v_lshl_add_u64 v[84:85], v[78:79], 2, v[76:77]
	global_load_dword v79, v[84:85], off
	global_load_dword v81, v[76:77], off offset:16
	s_waitcnt vmcnt(1)
	global_store_dword v[76:77], v79, off offset:16
	s_waitcnt vmcnt(1)
	global_store_dword v[84:85], v81, off
.LBB32_98:
	s_or_b64 exec, exec, s[18:19]
	v_mov_b32_e32 v81, v78
	v_mov_b32_e32 v82, v78
.LBB32_99:
	s_or_b64 exec, exec, s[16:17]
.LBB32_100:
	s_andn2_saveexec_b64 s[0:1], s[0:1]
	s_cbranch_execz .LBB32_102
; %bb.101:
	v_mov_b32_e32 v81, 4
	s_waitcnt vmcnt(11)
	ds_write2_b64 v80, v[36:37], v[38:39] offset0:10 offset1:11
	s_waitcnt vmcnt(10)
	ds_write2_b64 v80, v[32:33], v[34:35] offset0:12 offset1:13
	;; [unrolled: 2-line block ×12, first 2 shown]
.LBB32_102:
	s_or_b64 exec, exec, s[0:1]
	v_cmp_lt_i32_e32 vcc, 4, v81
	s_waitcnt lgkmcnt(0)
	s_barrier
	s_and_saveexec_b64 s[0:1], vcc
	s_cbranch_execz .LBB32_104
; %bb.103:
	ds_read2_b64 v[84:87], v80 offset0:10 offset1:11
	v_mul_f64 v[78:79], v[68:69], v[50:51]
	v_mul_f64 v[50:51], v[70:71], v[50:51]
	v_fmac_f64_e32 v[78:79], v[70:71], v[48:49]
	v_fma_f64 v[48:49], v[68:69], v[48:49], -v[50:51]
	ds_read2_b64 v[68:71], v80 offset0:12 offset1:13
	s_waitcnt lgkmcnt(1)
	v_mul_f64 v[50:51], v[86:87], v[78:79]
	v_fma_f64 v[50:51], v[84:85], v[48:49], -v[50:51]
	v_mul_f64 v[84:85], v[84:85], v[78:79]
	v_fmac_f64_e32 v[84:85], v[86:87], v[48:49]
	s_waitcnt vmcnt(11)
	v_add_f64 v[36:37], v[36:37], -v[50:51]
	s_waitcnt lgkmcnt(0)
	v_mul_f64 v[50:51], v[70:71], v[78:79]
	v_add_f64 v[38:39], v[38:39], -v[84:85]
	v_fma_f64 v[50:51], v[68:69], v[48:49], -v[50:51]
	v_mul_f64 v[68:69], v[68:69], v[78:79]
	ds_read2_b64 v[84:87], v80 offset0:14 offset1:15
	v_fmac_f64_e32 v[68:69], v[70:71], v[48:49]
	s_waitcnt vmcnt(10)
	v_add_f64 v[34:35], v[34:35], -v[68:69]
	ds_read2_b64 v[68:71], v80 offset0:16 offset1:17
	v_add_f64 v[32:33], v[32:33], -v[50:51]
	s_waitcnt lgkmcnt(1)
	v_mul_f64 v[50:51], v[86:87], v[78:79]
	v_fma_f64 v[50:51], v[84:85], v[48:49], -v[50:51]
	v_mul_f64 v[84:85], v[84:85], v[78:79]
	v_fmac_f64_e32 v[84:85], v[86:87], v[48:49]
	s_waitcnt vmcnt(9)
	v_add_f64 v[24:25], v[24:25], -v[50:51]
	s_waitcnt lgkmcnt(0)
	v_mul_f64 v[50:51], v[70:71], v[78:79]
	v_add_f64 v[26:27], v[26:27], -v[84:85]
	v_fma_f64 v[50:51], v[68:69], v[48:49], -v[50:51]
	v_mul_f64 v[68:69], v[68:69], v[78:79]
	ds_read2_b64 v[84:87], v80 offset0:18 offset1:19
	v_fmac_f64_e32 v[68:69], v[70:71], v[48:49]
	s_waitcnt vmcnt(8)
	v_add_f64 v[46:47], v[46:47], -v[68:69]
	ds_read2_b64 v[68:71], v80 offset0:20 offset1:21
	v_add_f64 v[44:45], v[44:45], -v[50:51]
	;; [unrolled: 18-line block ×5, first 2 shown]
	s_waitcnt lgkmcnt(1)
	v_mul_f64 v[50:51], v[86:87], v[78:79]
	v_fma_f64 v[50:51], v[84:85], v[48:49], -v[50:51]
	s_waitcnt vmcnt(1)
	v_add_f64 v[0:1], v[0:1], -v[50:51]
	s_waitcnt lgkmcnt(0)
	v_mul_f64 v[50:51], v[70:71], v[78:79]
	v_mul_f64 v[84:85], v[84:85], v[78:79]
	v_fma_f64 v[50:51], v[68:69], v[48:49], -v[50:51]
	v_mul_f64 v[68:69], v[68:69], v[78:79]
	v_fmac_f64_e32 v[84:85], v[86:87], v[48:49]
	v_fmac_f64_e32 v[68:69], v[70:71], v[48:49]
	v_add_f64 v[2:3], v[2:3], -v[84:85]
	s_waitcnt vmcnt(0)
	v_add_f64 v[64:65], v[64:65], -v[50:51]
	v_add_f64 v[66:67], v[66:67], -v[68:69]
	v_mov_b64_e32 v[50:51], v[78:79]
.LBB32_104:
	s_or_b64 exec, exec, s[0:1]
	v_lshl_add_u32 v68, v81, 4, v80
	s_barrier
	s_waitcnt vmcnt(11)
	ds_write2_b64 v68, v[36:37], v[38:39] offset1:1
	s_waitcnt lgkmcnt(0)
	s_barrier
	ds_read2_b64 v[68:71], v80 offset0:10 offset1:11
	s_cmp_lt_i32 s20, 7
	v_mov_b32_e32 v78, 5
	s_cbranch_scc1 .LBB32_107
; %bb.105:
	v_add_u32_e32 v79, 0x60, v80
	s_mov_b32 s16, 6
	v_mov_b32_e32 v78, 5
.LBB32_106:                             ; =>This Inner Loop Header: Depth=1
	ds_read2_b64 v[84:87], v79 offset1:1
	s_waitcnt lgkmcnt(1)
	v_xor_b32_e32 v89, 0x80000000, v69
	v_xor_b32_e32 v91, 0x80000000, v71
	v_cmp_gt_f64_e32 vcc, 0, v[70:71]
	v_cmp_gt_f64_e64 s[0:1], 0, v[68:69]
	v_mov_b32_e32 v88, v68
	v_mov_b32_e32 v90, v70
	v_cndmask_b32_e64 v89, v69, v89, s[0:1]
	v_cndmask_b32_e32 v91, v71, v91, vcc
	v_add_f64 v[88:89], v[88:89], v[90:91]
	s_waitcnt lgkmcnt(0)
	v_xor_b32_e32 v91, 0x80000000, v85
	v_xor_b32_e32 v93, 0x80000000, v87
	v_cmp_gt_f64_e32 vcc, 0, v[86:87]
	v_cmp_gt_f64_e64 s[0:1], 0, v[84:85]
	v_mov_b32_e32 v90, v84
	v_mov_b32_e32 v92, v86
	v_cndmask_b32_e64 v91, v85, v91, s[0:1]
	v_cndmask_b32_e32 v93, v87, v93, vcc
	v_add_f64 v[90:91], v[90:91], v[92:93]
	v_mov_b32_e32 v94, s16
	s_add_i32 s16, s16, 1
	v_cmp_lt_f64_e32 vcc, v[88:89], v[90:91]
	v_add_u32_e32 v79, 16, v79
	s_cmp_lg_u32 s20, s16
	v_cndmask_b32_e32 v69, v69, v85, vcc
	v_cndmask_b32_e32 v68, v68, v84, vcc
	;; [unrolled: 1-line block ×5, first 2 shown]
	s_cbranch_scc1 .LBB32_106
.LBB32_107:
	s_waitcnt lgkmcnt(0)
	v_cmp_eq_f64_e32 vcc, 0, v[68:69]
	v_cmp_eq_f64_e64 s[0:1], 0, v[70:71]
	s_and_b64 s[0:1], vcc, s[0:1]
	s_and_saveexec_b64 s[16:17], s[0:1]
	s_xor_b64 s[0:1], exec, s[16:17]
; %bb.108:
	v_cmp_ne_u32_e32 vcc, 0, v83
	s_nop 1
	v_cndmask_b32_e32 v83, 6, v83, vcc
; %bb.109:
	s_andn2_saveexec_b64 s[0:1], s[0:1]
	s_cbranch_execz .LBB32_115
; %bb.110:
	v_cmp_ngt_f64_e64 s[16:17], |v[68:69]|, |v[70:71]|
	s_and_saveexec_b64 s[18:19], s[16:17]
	s_xor_b64 s[16:17], exec, s[18:19]
	s_cbranch_execz .LBB32_112
; %bb.111:
	v_div_scale_f64 v[84:85], s[18:19], v[70:71], v[70:71], v[68:69]
	v_rcp_f64_e32 v[86:87], v[84:85]
	v_div_scale_f64 v[88:89], vcc, v[68:69], v[70:71], v[68:69]
	v_fma_f64 v[90:91], -v[84:85], v[86:87], 1.0
	v_fmac_f64_e32 v[86:87], v[86:87], v[90:91]
	v_fma_f64 v[90:91], -v[84:85], v[86:87], 1.0
	v_fmac_f64_e32 v[86:87], v[86:87], v[90:91]
	v_mul_f64 v[90:91], v[88:89], v[86:87]
	v_fma_f64 v[84:85], -v[84:85], v[90:91], v[88:89]
	v_div_fmas_f64 v[84:85], v[84:85], v[86:87], v[90:91]
	v_div_fixup_f64 v[84:85], v[84:85], v[70:71], v[68:69]
	v_fmac_f64_e32 v[70:71], v[68:69], v[84:85]
	v_div_scale_f64 v[68:69], s[18:19], v[70:71], v[70:71], 1.0
	v_rcp_f64_e32 v[86:87], v[68:69]
	s_nop 0
	v_fma_f64 v[88:89], -v[68:69], v[86:87], 1.0
	v_fmac_f64_e32 v[86:87], v[86:87], v[88:89]
	v_fma_f64 v[88:89], -v[68:69], v[86:87], 1.0
	v_fmac_f64_e32 v[86:87], v[86:87], v[88:89]
	v_div_scale_f64 v[88:89], vcc, 1.0, v[70:71], 1.0
	v_mul_f64 v[90:91], v[88:89], v[86:87]
	v_fma_f64 v[68:69], -v[68:69], v[90:91], v[88:89]
	s_nop 1
	v_div_fmas_f64 v[68:69], v[68:69], v[86:87], v[90:91]
	v_div_fixup_f64 v[70:71], v[68:69], v[70:71], 1.0
	v_mul_f64 v[68:69], v[84:85], v[70:71]
	v_xor_b32_e32 v71, 0x80000000, v71
.LBB32_112:
	s_andn2_saveexec_b64 s[16:17], s[16:17]
	s_cbranch_execz .LBB32_114
; %bb.113:
	v_div_scale_f64 v[84:85], s[18:19], v[68:69], v[68:69], v[70:71]
	v_rcp_f64_e32 v[86:87], v[84:85]
	v_div_scale_f64 v[88:89], vcc, v[70:71], v[68:69], v[70:71]
	v_fma_f64 v[90:91], -v[84:85], v[86:87], 1.0
	v_fmac_f64_e32 v[86:87], v[86:87], v[90:91]
	v_fma_f64 v[90:91], -v[84:85], v[86:87], 1.0
	v_fmac_f64_e32 v[86:87], v[86:87], v[90:91]
	v_mul_f64 v[90:91], v[88:89], v[86:87]
	v_fma_f64 v[84:85], -v[84:85], v[90:91], v[88:89]
	v_div_fmas_f64 v[84:85], v[84:85], v[86:87], v[90:91]
	v_div_fixup_f64 v[84:85], v[84:85], v[68:69], v[70:71]
	v_fmac_f64_e32 v[68:69], v[70:71], v[84:85]
	v_div_scale_f64 v[70:71], s[18:19], v[68:69], v[68:69], 1.0
	v_rcp_f64_e32 v[86:87], v[70:71]
	s_nop 0
	v_fma_f64 v[88:89], -v[70:71], v[86:87], 1.0
	v_fmac_f64_e32 v[86:87], v[86:87], v[88:89]
	v_fma_f64 v[88:89], -v[70:71], v[86:87], 1.0
	v_fmac_f64_e32 v[86:87], v[86:87], v[88:89]
	v_div_scale_f64 v[88:89], vcc, 1.0, v[68:69], 1.0
	v_mul_f64 v[90:91], v[88:89], v[86:87]
	v_fma_f64 v[70:71], -v[70:71], v[90:91], v[88:89]
	s_nop 1
	v_div_fmas_f64 v[70:71], v[70:71], v[86:87], v[90:91]
	v_div_fixup_f64 v[68:69], v[70:71], v[68:69], 1.0
	v_mul_f64 v[70:71], v[84:85], -v[68:69]
.LBB32_114:
	s_or_b64 exec, exec, s[16:17]
.LBB32_115:
	s_or_b64 exec, exec, s[0:1]
	v_cmp_ne_u32_e32 vcc, v81, v78
	s_and_saveexec_b64 s[0:1], vcc
	s_xor_b64 s[0:1], exec, s[0:1]
	s_cbranch_execz .LBB32_121
; %bb.116:
	v_cmp_eq_u32_e32 vcc, 5, v81
	s_and_saveexec_b64 s[16:17], vcc
	s_cbranch_execz .LBB32_120
; %bb.117:
	v_cmp_ne_u32_e32 vcc, 5, v78
	s_xor_b64 s[18:19], s[14:15], -1
	s_and_b64 s[22:23], s[18:19], vcc
	s_and_saveexec_b64 s[18:19], s[22:23]
	s_cbranch_execz .LBB32_119
; %bb.118:
	v_ashrrev_i32_e32 v79, 31, v78
	v_lshl_add_u64 v[84:85], v[78:79], 2, v[76:77]
	global_load_dword v79, v[84:85], off
	global_load_dword v81, v[76:77], off offset:20
	s_waitcnt vmcnt(1)
	global_store_dword v[76:77], v79, off offset:20
	s_waitcnt vmcnt(1)
	global_store_dword v[84:85], v81, off
.LBB32_119:
	s_or_b64 exec, exec, s[18:19]
	v_mov_b32_e32 v81, v78
	v_mov_b32_e32 v82, v78
.LBB32_120:
	s_or_b64 exec, exec, s[16:17]
.LBB32_121:
	s_andn2_saveexec_b64 s[0:1], s[0:1]
	s_cbranch_execz .LBB32_123
; %bb.122:
	v_mov_b32_e32 v81, 5
	s_waitcnt vmcnt(10)
	ds_write2_b64 v80, v[32:33], v[34:35] offset0:12 offset1:13
	s_waitcnt vmcnt(9)
	ds_write2_b64 v80, v[24:25], v[26:27] offset0:14 offset1:15
	;; [unrolled: 2-line block ×11, first 2 shown]
.LBB32_123:
	s_or_b64 exec, exec, s[0:1]
	v_cmp_lt_i32_e32 vcc, 5, v81
	s_waitcnt lgkmcnt(0)
	s_barrier
	s_and_saveexec_b64 s[0:1], vcc
	s_cbranch_execz .LBB32_125
; %bb.124:
	ds_read2_b64 v[84:87], v80 offset0:12 offset1:13
	v_mul_f64 v[78:79], v[68:69], v[38:39]
	v_fmac_f64_e32 v[78:79], v[70:71], v[36:37]
	v_mul_f64 v[38:39], v[70:71], v[38:39]
	v_fma_f64 v[36:37], v[68:69], v[36:37], -v[38:39]
	ds_read2_b64 v[68:71], v80 offset0:14 offset1:15
	s_waitcnt lgkmcnt(1)
	v_mul_f64 v[38:39], v[86:87], v[78:79]
	v_fma_f64 v[38:39], v[84:85], v[36:37], -v[38:39]
	v_mul_f64 v[84:85], v[84:85], v[78:79]
	v_fmac_f64_e32 v[84:85], v[86:87], v[36:37]
	s_waitcnt vmcnt(10)
	v_add_f64 v[34:35], v[34:35], -v[84:85]
	ds_read2_b64 v[84:87], v80 offset0:16 offset1:17
	v_add_f64 v[32:33], v[32:33], -v[38:39]
	s_waitcnt lgkmcnt(1)
	v_mul_f64 v[38:39], v[70:71], v[78:79]
	v_fma_f64 v[38:39], v[68:69], v[36:37], -v[38:39]
	v_mul_f64 v[68:69], v[68:69], v[78:79]
	v_fmac_f64_e32 v[68:69], v[70:71], v[36:37]
	s_waitcnt vmcnt(9)
	v_add_f64 v[24:25], v[24:25], -v[38:39]
	v_add_f64 v[26:27], v[26:27], -v[68:69]
	ds_read2_b64 v[68:71], v80 offset0:18 offset1:19
	s_waitcnt lgkmcnt(1)
	v_mul_f64 v[38:39], v[86:87], v[78:79]
	v_fma_f64 v[38:39], v[84:85], v[36:37], -v[38:39]
	v_mul_f64 v[84:85], v[84:85], v[78:79]
	v_fmac_f64_e32 v[84:85], v[86:87], v[36:37]
	s_waitcnt vmcnt(8)
	v_add_f64 v[46:47], v[46:47], -v[84:85]
	ds_read2_b64 v[84:87], v80 offset0:20 offset1:21
	v_add_f64 v[44:45], v[44:45], -v[38:39]
	s_waitcnt lgkmcnt(1)
	v_mul_f64 v[38:39], v[70:71], v[78:79]
	v_fma_f64 v[38:39], v[68:69], v[36:37], -v[38:39]
	v_mul_f64 v[68:69], v[68:69], v[78:79]
	v_fmac_f64_e32 v[68:69], v[70:71], v[36:37]
	s_waitcnt vmcnt(7)
	v_add_f64 v[28:29], v[28:29], -v[38:39]
	v_add_f64 v[30:31], v[30:31], -v[68:69]
	ds_read2_b64 v[68:71], v80 offset0:22 offset1:23
	s_waitcnt lgkmcnt(1)
	v_mul_f64 v[38:39], v[86:87], v[78:79]
	v_fma_f64 v[38:39], v[84:85], v[36:37], -v[38:39]
	v_mul_f64 v[84:85], v[84:85], v[78:79]
	v_fmac_f64_e32 v[84:85], v[86:87], v[36:37]
	s_waitcnt vmcnt(6)
	v_add_f64 v[22:23], v[22:23], -v[84:85]
	ds_read2_b64 v[84:87], v80 offset0:24 offset1:25
	v_add_f64 v[20:21], v[20:21], -v[38:39]
	s_waitcnt lgkmcnt(1)
	v_mul_f64 v[38:39], v[70:71], v[78:79]
	v_fma_f64 v[38:39], v[68:69], v[36:37], -v[38:39]
	v_mul_f64 v[68:69], v[68:69], v[78:79]
	v_fmac_f64_e32 v[68:69], v[70:71], v[36:37]
	s_waitcnt vmcnt(5)
	v_add_f64 v[16:17], v[16:17], -v[38:39]
	v_add_f64 v[18:19], v[18:19], -v[68:69]
	ds_read2_b64 v[68:71], v80 offset0:26 offset1:27
	s_waitcnt lgkmcnt(1)
	v_mul_f64 v[38:39], v[86:87], v[78:79]
	v_fma_f64 v[38:39], v[84:85], v[36:37], -v[38:39]
	v_mul_f64 v[84:85], v[84:85], v[78:79]
	v_fmac_f64_e32 v[84:85], v[86:87], v[36:37]
	s_waitcnt vmcnt(4)
	v_add_f64 v[14:15], v[14:15], -v[84:85]
	ds_read2_b64 v[84:87], v80 offset0:28 offset1:29
	v_add_f64 v[12:13], v[12:13], -v[38:39]
	s_waitcnt lgkmcnt(1)
	v_mul_f64 v[38:39], v[70:71], v[78:79]
	v_fma_f64 v[38:39], v[68:69], v[36:37], -v[38:39]
	v_mul_f64 v[68:69], v[68:69], v[78:79]
	v_fmac_f64_e32 v[68:69], v[70:71], v[36:37]
	s_waitcnt vmcnt(3)
	v_add_f64 v[8:9], v[8:9], -v[38:39]
	v_add_f64 v[10:11], v[10:11], -v[68:69]
	ds_read2_b64 v[68:71], v80 offset0:30 offset1:31
	s_waitcnt lgkmcnt(1)
	v_mul_f64 v[38:39], v[86:87], v[78:79]
	v_fma_f64 v[38:39], v[84:85], v[36:37], -v[38:39]
	v_mul_f64 v[84:85], v[84:85], v[78:79]
	v_fmac_f64_e32 v[84:85], v[86:87], v[36:37]
	s_waitcnt vmcnt(2)
	v_add_f64 v[6:7], v[6:7], -v[84:85]
	ds_read2_b64 v[84:87], v80 offset0:32 offset1:33
	v_add_f64 v[4:5], v[4:5], -v[38:39]
	s_waitcnt lgkmcnt(1)
	v_mul_f64 v[38:39], v[70:71], v[78:79]
	v_fma_f64 v[38:39], v[68:69], v[36:37], -v[38:39]
	v_mul_f64 v[68:69], v[68:69], v[78:79]
	v_fmac_f64_e32 v[68:69], v[70:71], v[36:37]
	s_waitcnt vmcnt(1)
	v_add_f64 v[0:1], v[0:1], -v[38:39]
	v_add_f64 v[2:3], v[2:3], -v[68:69]
	s_waitcnt lgkmcnt(0)
	v_mul_f64 v[38:39], v[86:87], v[78:79]
	v_mul_f64 v[68:69], v[84:85], v[78:79]
	v_fma_f64 v[38:39], v[84:85], v[36:37], -v[38:39]
	v_fmac_f64_e32 v[68:69], v[86:87], v[36:37]
	s_waitcnt vmcnt(0)
	v_add_f64 v[64:65], v[64:65], -v[38:39]
	v_add_f64 v[66:67], v[66:67], -v[68:69]
	v_mov_b64_e32 v[38:39], v[78:79]
.LBB32_125:
	s_or_b64 exec, exec, s[0:1]
	v_lshl_add_u32 v68, v81, 4, v80
	s_barrier
	s_waitcnt vmcnt(10)
	ds_write2_b64 v68, v[32:33], v[34:35] offset1:1
	s_waitcnt lgkmcnt(0)
	s_barrier
	ds_read2_b64 v[68:71], v80 offset0:12 offset1:13
	s_cmp_lt_i32 s20, 8
	v_mov_b32_e32 v78, 6
	s_cbranch_scc1 .LBB32_128
; %bb.126:
	v_add_u32_e32 v79, 0x70, v80
	s_mov_b32 s16, 7
	v_mov_b32_e32 v78, 6
.LBB32_127:                             ; =>This Inner Loop Header: Depth=1
	ds_read2_b64 v[84:87], v79 offset1:1
	s_waitcnt lgkmcnt(1)
	v_xor_b32_e32 v89, 0x80000000, v69
	v_xor_b32_e32 v91, 0x80000000, v71
	v_cmp_gt_f64_e32 vcc, 0, v[70:71]
	v_cmp_gt_f64_e64 s[0:1], 0, v[68:69]
	v_mov_b32_e32 v88, v68
	v_mov_b32_e32 v90, v70
	v_cndmask_b32_e64 v89, v69, v89, s[0:1]
	v_cndmask_b32_e32 v91, v71, v91, vcc
	v_add_f64 v[88:89], v[88:89], v[90:91]
	s_waitcnt lgkmcnt(0)
	v_xor_b32_e32 v91, 0x80000000, v85
	v_xor_b32_e32 v93, 0x80000000, v87
	v_cmp_gt_f64_e32 vcc, 0, v[86:87]
	v_cmp_gt_f64_e64 s[0:1], 0, v[84:85]
	v_mov_b32_e32 v90, v84
	v_mov_b32_e32 v92, v86
	v_cndmask_b32_e64 v91, v85, v91, s[0:1]
	v_cndmask_b32_e32 v93, v87, v93, vcc
	v_add_f64 v[90:91], v[90:91], v[92:93]
	v_mov_b32_e32 v94, s16
	s_add_i32 s16, s16, 1
	v_cmp_lt_f64_e32 vcc, v[88:89], v[90:91]
	v_add_u32_e32 v79, 16, v79
	s_cmp_lg_u32 s20, s16
	v_cndmask_b32_e32 v69, v69, v85, vcc
	v_cndmask_b32_e32 v68, v68, v84, vcc
	;; [unrolled: 1-line block ×5, first 2 shown]
	s_cbranch_scc1 .LBB32_127
.LBB32_128:
	s_waitcnt lgkmcnt(0)
	v_cmp_eq_f64_e32 vcc, 0, v[68:69]
	v_cmp_eq_f64_e64 s[0:1], 0, v[70:71]
	s_and_b64 s[0:1], vcc, s[0:1]
	s_and_saveexec_b64 s[16:17], s[0:1]
	s_xor_b64 s[0:1], exec, s[16:17]
; %bb.129:
	v_cmp_ne_u32_e32 vcc, 0, v83
	s_nop 1
	v_cndmask_b32_e32 v83, 7, v83, vcc
; %bb.130:
	s_andn2_saveexec_b64 s[0:1], s[0:1]
	s_cbranch_execz .LBB32_136
; %bb.131:
	v_cmp_ngt_f64_e64 s[16:17], |v[68:69]|, |v[70:71]|
	s_and_saveexec_b64 s[18:19], s[16:17]
	s_xor_b64 s[16:17], exec, s[18:19]
	s_cbranch_execz .LBB32_133
; %bb.132:
	v_div_scale_f64 v[84:85], s[18:19], v[70:71], v[70:71], v[68:69]
	v_rcp_f64_e32 v[86:87], v[84:85]
	v_div_scale_f64 v[88:89], vcc, v[68:69], v[70:71], v[68:69]
	v_fma_f64 v[90:91], -v[84:85], v[86:87], 1.0
	v_fmac_f64_e32 v[86:87], v[86:87], v[90:91]
	v_fma_f64 v[90:91], -v[84:85], v[86:87], 1.0
	v_fmac_f64_e32 v[86:87], v[86:87], v[90:91]
	v_mul_f64 v[90:91], v[88:89], v[86:87]
	v_fma_f64 v[84:85], -v[84:85], v[90:91], v[88:89]
	v_div_fmas_f64 v[84:85], v[84:85], v[86:87], v[90:91]
	v_div_fixup_f64 v[84:85], v[84:85], v[70:71], v[68:69]
	v_fmac_f64_e32 v[70:71], v[68:69], v[84:85]
	v_div_scale_f64 v[68:69], s[18:19], v[70:71], v[70:71], 1.0
	v_rcp_f64_e32 v[86:87], v[68:69]
	s_nop 0
	v_fma_f64 v[88:89], -v[68:69], v[86:87], 1.0
	v_fmac_f64_e32 v[86:87], v[86:87], v[88:89]
	v_fma_f64 v[88:89], -v[68:69], v[86:87], 1.0
	v_fmac_f64_e32 v[86:87], v[86:87], v[88:89]
	v_div_scale_f64 v[88:89], vcc, 1.0, v[70:71], 1.0
	v_mul_f64 v[90:91], v[88:89], v[86:87]
	v_fma_f64 v[68:69], -v[68:69], v[90:91], v[88:89]
	s_nop 1
	v_div_fmas_f64 v[68:69], v[68:69], v[86:87], v[90:91]
	v_div_fixup_f64 v[70:71], v[68:69], v[70:71], 1.0
	v_mul_f64 v[68:69], v[84:85], v[70:71]
	v_xor_b32_e32 v71, 0x80000000, v71
.LBB32_133:
	s_andn2_saveexec_b64 s[16:17], s[16:17]
	s_cbranch_execz .LBB32_135
; %bb.134:
	v_div_scale_f64 v[84:85], s[18:19], v[68:69], v[68:69], v[70:71]
	v_rcp_f64_e32 v[86:87], v[84:85]
	v_div_scale_f64 v[88:89], vcc, v[70:71], v[68:69], v[70:71]
	v_fma_f64 v[90:91], -v[84:85], v[86:87], 1.0
	v_fmac_f64_e32 v[86:87], v[86:87], v[90:91]
	v_fma_f64 v[90:91], -v[84:85], v[86:87], 1.0
	v_fmac_f64_e32 v[86:87], v[86:87], v[90:91]
	v_mul_f64 v[90:91], v[88:89], v[86:87]
	v_fma_f64 v[84:85], -v[84:85], v[90:91], v[88:89]
	v_div_fmas_f64 v[84:85], v[84:85], v[86:87], v[90:91]
	v_div_fixup_f64 v[84:85], v[84:85], v[68:69], v[70:71]
	v_fmac_f64_e32 v[68:69], v[70:71], v[84:85]
	v_div_scale_f64 v[70:71], s[18:19], v[68:69], v[68:69], 1.0
	v_rcp_f64_e32 v[86:87], v[70:71]
	s_nop 0
	v_fma_f64 v[88:89], -v[70:71], v[86:87], 1.0
	v_fmac_f64_e32 v[86:87], v[86:87], v[88:89]
	v_fma_f64 v[88:89], -v[70:71], v[86:87], 1.0
	v_fmac_f64_e32 v[86:87], v[86:87], v[88:89]
	v_div_scale_f64 v[88:89], vcc, 1.0, v[68:69], 1.0
	v_mul_f64 v[90:91], v[88:89], v[86:87]
	v_fma_f64 v[70:71], -v[70:71], v[90:91], v[88:89]
	s_nop 1
	v_div_fmas_f64 v[70:71], v[70:71], v[86:87], v[90:91]
	v_div_fixup_f64 v[68:69], v[70:71], v[68:69], 1.0
	v_mul_f64 v[70:71], v[84:85], -v[68:69]
.LBB32_135:
	s_or_b64 exec, exec, s[16:17]
.LBB32_136:
	s_or_b64 exec, exec, s[0:1]
	v_cmp_ne_u32_e32 vcc, v81, v78
	s_and_saveexec_b64 s[0:1], vcc
	s_xor_b64 s[0:1], exec, s[0:1]
	s_cbranch_execz .LBB32_142
; %bb.137:
	v_cmp_eq_u32_e32 vcc, 6, v81
	s_and_saveexec_b64 s[16:17], vcc
	s_cbranch_execz .LBB32_141
; %bb.138:
	v_cmp_ne_u32_e32 vcc, 6, v78
	s_xor_b64 s[18:19], s[14:15], -1
	s_and_b64 s[22:23], s[18:19], vcc
	s_and_saveexec_b64 s[18:19], s[22:23]
	s_cbranch_execz .LBB32_140
; %bb.139:
	v_ashrrev_i32_e32 v79, 31, v78
	v_lshl_add_u64 v[84:85], v[78:79], 2, v[76:77]
	global_load_dword v79, v[84:85], off
	global_load_dword v81, v[76:77], off offset:24
	s_waitcnt vmcnt(1)
	global_store_dword v[76:77], v79, off offset:24
	s_waitcnt vmcnt(1)
	global_store_dword v[84:85], v81, off
.LBB32_140:
	s_or_b64 exec, exec, s[18:19]
	v_mov_b32_e32 v81, v78
	v_mov_b32_e32 v82, v78
.LBB32_141:
	s_or_b64 exec, exec, s[16:17]
.LBB32_142:
	s_andn2_saveexec_b64 s[0:1], s[0:1]
	s_cbranch_execz .LBB32_144
; %bb.143:
	v_mov_b32_e32 v81, 6
	s_waitcnt vmcnt(9)
	ds_write2_b64 v80, v[24:25], v[26:27] offset0:14 offset1:15
	s_waitcnt vmcnt(8)
	ds_write2_b64 v80, v[44:45], v[46:47] offset0:16 offset1:17
	s_waitcnt vmcnt(7)
	ds_write2_b64 v80, v[28:29], v[30:31] offset0:18 offset1:19
	s_waitcnt vmcnt(6)
	ds_write2_b64 v80, v[20:21], v[22:23] offset0:20 offset1:21
	s_waitcnt vmcnt(5)
	ds_write2_b64 v80, v[16:17], v[18:19] offset0:22 offset1:23
	s_waitcnt vmcnt(4)
	ds_write2_b64 v80, v[12:13], v[14:15] offset0:24 offset1:25
	s_waitcnt vmcnt(3)
	ds_write2_b64 v80, v[8:9], v[10:11] offset0:26 offset1:27
	s_waitcnt vmcnt(2)
	ds_write2_b64 v80, v[4:5], v[6:7] offset0:28 offset1:29
	s_waitcnt vmcnt(1)
	ds_write2_b64 v80, v[0:1], v[2:3] offset0:30 offset1:31
	s_waitcnt vmcnt(0)
	ds_write2_b64 v80, v[64:65], v[66:67] offset0:32 offset1:33
.LBB32_144:
	s_or_b64 exec, exec, s[0:1]
	v_cmp_lt_i32_e32 vcc, 6, v81
	s_waitcnt lgkmcnt(0)
	s_barrier
	s_and_saveexec_b64 s[0:1], vcc
	s_cbranch_execz .LBB32_146
; %bb.145:
	ds_read2_b64 v[84:87], v80 offset0:14 offset1:15
	v_mul_f64 v[78:79], v[68:69], v[34:35]
	v_mul_f64 v[34:35], v[70:71], v[34:35]
	v_fmac_f64_e32 v[78:79], v[70:71], v[32:33]
	v_fma_f64 v[32:33], v[68:69], v[32:33], -v[34:35]
	ds_read2_b64 v[68:71], v80 offset0:16 offset1:17
	s_waitcnt lgkmcnt(1)
	v_mul_f64 v[34:35], v[86:87], v[78:79]
	v_fma_f64 v[34:35], v[84:85], v[32:33], -v[34:35]
	v_mul_f64 v[84:85], v[84:85], v[78:79]
	v_fmac_f64_e32 v[84:85], v[86:87], v[32:33]
	s_waitcnt vmcnt(9)
	v_add_f64 v[24:25], v[24:25], -v[34:35]
	s_waitcnt lgkmcnt(0)
	v_mul_f64 v[34:35], v[70:71], v[78:79]
	v_add_f64 v[26:27], v[26:27], -v[84:85]
	v_fma_f64 v[34:35], v[68:69], v[32:33], -v[34:35]
	v_mul_f64 v[68:69], v[68:69], v[78:79]
	ds_read2_b64 v[84:87], v80 offset0:18 offset1:19
	v_fmac_f64_e32 v[68:69], v[70:71], v[32:33]
	s_waitcnt vmcnt(8)
	v_add_f64 v[46:47], v[46:47], -v[68:69]
	ds_read2_b64 v[68:71], v80 offset0:20 offset1:21
	v_add_f64 v[44:45], v[44:45], -v[34:35]
	s_waitcnt lgkmcnt(1)
	v_mul_f64 v[34:35], v[86:87], v[78:79]
	v_fma_f64 v[34:35], v[84:85], v[32:33], -v[34:35]
	v_mul_f64 v[84:85], v[84:85], v[78:79]
	v_fmac_f64_e32 v[84:85], v[86:87], v[32:33]
	s_waitcnt vmcnt(7)
	v_add_f64 v[28:29], v[28:29], -v[34:35]
	s_waitcnt lgkmcnt(0)
	v_mul_f64 v[34:35], v[70:71], v[78:79]
	v_add_f64 v[30:31], v[30:31], -v[84:85]
	v_fma_f64 v[34:35], v[68:69], v[32:33], -v[34:35]
	v_mul_f64 v[68:69], v[68:69], v[78:79]
	ds_read2_b64 v[84:87], v80 offset0:22 offset1:23
	v_fmac_f64_e32 v[68:69], v[70:71], v[32:33]
	s_waitcnt vmcnt(6)
	v_add_f64 v[22:23], v[22:23], -v[68:69]
	ds_read2_b64 v[68:71], v80 offset0:24 offset1:25
	v_add_f64 v[20:21], v[20:21], -v[34:35]
	;; [unrolled: 18-line block ×4, first 2 shown]
	s_waitcnt lgkmcnt(1)
	v_mul_f64 v[34:35], v[86:87], v[78:79]
	v_fma_f64 v[34:35], v[84:85], v[32:33], -v[34:35]
	s_waitcnt vmcnt(1)
	v_add_f64 v[0:1], v[0:1], -v[34:35]
	s_waitcnt lgkmcnt(0)
	v_mul_f64 v[34:35], v[70:71], v[78:79]
	v_mul_f64 v[84:85], v[84:85], v[78:79]
	v_fma_f64 v[34:35], v[68:69], v[32:33], -v[34:35]
	v_mul_f64 v[68:69], v[68:69], v[78:79]
	v_fmac_f64_e32 v[84:85], v[86:87], v[32:33]
	v_fmac_f64_e32 v[68:69], v[70:71], v[32:33]
	v_add_f64 v[2:3], v[2:3], -v[84:85]
	s_waitcnt vmcnt(0)
	v_add_f64 v[64:65], v[64:65], -v[34:35]
	v_add_f64 v[66:67], v[66:67], -v[68:69]
	v_mov_b64_e32 v[34:35], v[78:79]
.LBB32_146:
	s_or_b64 exec, exec, s[0:1]
	v_lshl_add_u32 v68, v81, 4, v80
	s_barrier
	s_waitcnt vmcnt(9)
	ds_write2_b64 v68, v[24:25], v[26:27] offset1:1
	s_waitcnt lgkmcnt(0)
	s_barrier
	ds_read2_b64 v[68:71], v80 offset0:14 offset1:15
	s_cmp_lt_i32 s20, 9
	v_mov_b32_e32 v78, 7
	s_cbranch_scc1 .LBB32_149
; %bb.147:
	v_add_u32_e32 v79, 0x80, v80
	s_mov_b32 s16, 8
	v_mov_b32_e32 v78, 7
.LBB32_148:                             ; =>This Inner Loop Header: Depth=1
	ds_read2_b64 v[84:87], v79 offset1:1
	s_waitcnt lgkmcnt(1)
	v_xor_b32_e32 v89, 0x80000000, v69
	v_xor_b32_e32 v91, 0x80000000, v71
	v_cmp_gt_f64_e32 vcc, 0, v[70:71]
	v_cmp_gt_f64_e64 s[0:1], 0, v[68:69]
	v_mov_b32_e32 v88, v68
	v_mov_b32_e32 v90, v70
	v_cndmask_b32_e64 v89, v69, v89, s[0:1]
	v_cndmask_b32_e32 v91, v71, v91, vcc
	v_add_f64 v[88:89], v[88:89], v[90:91]
	s_waitcnt lgkmcnt(0)
	v_xor_b32_e32 v91, 0x80000000, v85
	v_xor_b32_e32 v93, 0x80000000, v87
	v_cmp_gt_f64_e32 vcc, 0, v[86:87]
	v_cmp_gt_f64_e64 s[0:1], 0, v[84:85]
	v_mov_b32_e32 v90, v84
	v_mov_b32_e32 v92, v86
	v_cndmask_b32_e64 v91, v85, v91, s[0:1]
	v_cndmask_b32_e32 v93, v87, v93, vcc
	v_add_f64 v[90:91], v[90:91], v[92:93]
	v_mov_b32_e32 v94, s16
	s_add_i32 s16, s16, 1
	v_cmp_lt_f64_e32 vcc, v[88:89], v[90:91]
	v_add_u32_e32 v79, 16, v79
	s_cmp_lg_u32 s20, s16
	v_cndmask_b32_e32 v69, v69, v85, vcc
	v_cndmask_b32_e32 v68, v68, v84, vcc
	;; [unrolled: 1-line block ×5, first 2 shown]
	s_cbranch_scc1 .LBB32_148
.LBB32_149:
	s_waitcnt lgkmcnt(0)
	v_cmp_eq_f64_e32 vcc, 0, v[68:69]
	v_cmp_eq_f64_e64 s[0:1], 0, v[70:71]
	s_and_b64 s[0:1], vcc, s[0:1]
	s_and_saveexec_b64 s[16:17], s[0:1]
	s_xor_b64 s[0:1], exec, s[16:17]
; %bb.150:
	v_cmp_ne_u32_e32 vcc, 0, v83
	s_nop 1
	v_cndmask_b32_e32 v83, 8, v83, vcc
; %bb.151:
	s_andn2_saveexec_b64 s[0:1], s[0:1]
	s_cbranch_execz .LBB32_157
; %bb.152:
	v_cmp_ngt_f64_e64 s[16:17], |v[68:69]|, |v[70:71]|
	s_and_saveexec_b64 s[18:19], s[16:17]
	s_xor_b64 s[16:17], exec, s[18:19]
	s_cbranch_execz .LBB32_154
; %bb.153:
	v_div_scale_f64 v[84:85], s[18:19], v[70:71], v[70:71], v[68:69]
	v_rcp_f64_e32 v[86:87], v[84:85]
	v_div_scale_f64 v[88:89], vcc, v[68:69], v[70:71], v[68:69]
	v_fma_f64 v[90:91], -v[84:85], v[86:87], 1.0
	v_fmac_f64_e32 v[86:87], v[86:87], v[90:91]
	v_fma_f64 v[90:91], -v[84:85], v[86:87], 1.0
	v_fmac_f64_e32 v[86:87], v[86:87], v[90:91]
	v_mul_f64 v[90:91], v[88:89], v[86:87]
	v_fma_f64 v[84:85], -v[84:85], v[90:91], v[88:89]
	v_div_fmas_f64 v[84:85], v[84:85], v[86:87], v[90:91]
	v_div_fixup_f64 v[84:85], v[84:85], v[70:71], v[68:69]
	v_fmac_f64_e32 v[70:71], v[68:69], v[84:85]
	v_div_scale_f64 v[68:69], s[18:19], v[70:71], v[70:71], 1.0
	v_rcp_f64_e32 v[86:87], v[68:69]
	s_nop 0
	v_fma_f64 v[88:89], -v[68:69], v[86:87], 1.0
	v_fmac_f64_e32 v[86:87], v[86:87], v[88:89]
	v_fma_f64 v[88:89], -v[68:69], v[86:87], 1.0
	v_fmac_f64_e32 v[86:87], v[86:87], v[88:89]
	v_div_scale_f64 v[88:89], vcc, 1.0, v[70:71], 1.0
	v_mul_f64 v[90:91], v[88:89], v[86:87]
	v_fma_f64 v[68:69], -v[68:69], v[90:91], v[88:89]
	s_nop 1
	v_div_fmas_f64 v[68:69], v[68:69], v[86:87], v[90:91]
	v_div_fixup_f64 v[70:71], v[68:69], v[70:71], 1.0
	v_mul_f64 v[68:69], v[84:85], v[70:71]
	v_xor_b32_e32 v71, 0x80000000, v71
.LBB32_154:
	s_andn2_saveexec_b64 s[16:17], s[16:17]
	s_cbranch_execz .LBB32_156
; %bb.155:
	v_div_scale_f64 v[84:85], s[18:19], v[68:69], v[68:69], v[70:71]
	v_rcp_f64_e32 v[86:87], v[84:85]
	v_div_scale_f64 v[88:89], vcc, v[70:71], v[68:69], v[70:71]
	v_fma_f64 v[90:91], -v[84:85], v[86:87], 1.0
	v_fmac_f64_e32 v[86:87], v[86:87], v[90:91]
	v_fma_f64 v[90:91], -v[84:85], v[86:87], 1.0
	v_fmac_f64_e32 v[86:87], v[86:87], v[90:91]
	v_mul_f64 v[90:91], v[88:89], v[86:87]
	v_fma_f64 v[84:85], -v[84:85], v[90:91], v[88:89]
	v_div_fmas_f64 v[84:85], v[84:85], v[86:87], v[90:91]
	v_div_fixup_f64 v[84:85], v[84:85], v[68:69], v[70:71]
	v_fmac_f64_e32 v[68:69], v[70:71], v[84:85]
	v_div_scale_f64 v[70:71], s[18:19], v[68:69], v[68:69], 1.0
	v_rcp_f64_e32 v[86:87], v[70:71]
	s_nop 0
	v_fma_f64 v[88:89], -v[70:71], v[86:87], 1.0
	v_fmac_f64_e32 v[86:87], v[86:87], v[88:89]
	v_fma_f64 v[88:89], -v[70:71], v[86:87], 1.0
	v_fmac_f64_e32 v[86:87], v[86:87], v[88:89]
	v_div_scale_f64 v[88:89], vcc, 1.0, v[68:69], 1.0
	v_mul_f64 v[90:91], v[88:89], v[86:87]
	v_fma_f64 v[70:71], -v[70:71], v[90:91], v[88:89]
	s_nop 1
	v_div_fmas_f64 v[70:71], v[70:71], v[86:87], v[90:91]
	v_div_fixup_f64 v[68:69], v[70:71], v[68:69], 1.0
	v_mul_f64 v[70:71], v[84:85], -v[68:69]
.LBB32_156:
	s_or_b64 exec, exec, s[16:17]
.LBB32_157:
	s_or_b64 exec, exec, s[0:1]
	v_cmp_ne_u32_e32 vcc, v81, v78
	s_and_saveexec_b64 s[0:1], vcc
	s_xor_b64 s[0:1], exec, s[0:1]
	s_cbranch_execz .LBB32_163
; %bb.158:
	v_cmp_eq_u32_e32 vcc, 7, v81
	s_and_saveexec_b64 s[16:17], vcc
	s_cbranch_execz .LBB32_162
; %bb.159:
	v_cmp_ne_u32_e32 vcc, 7, v78
	s_xor_b64 s[18:19], s[14:15], -1
	s_and_b64 s[22:23], s[18:19], vcc
	s_and_saveexec_b64 s[18:19], s[22:23]
	s_cbranch_execz .LBB32_161
; %bb.160:
	v_ashrrev_i32_e32 v79, 31, v78
	v_lshl_add_u64 v[84:85], v[78:79], 2, v[76:77]
	global_load_dword v79, v[84:85], off
	global_load_dword v81, v[76:77], off offset:28
	s_waitcnt vmcnt(1)
	global_store_dword v[76:77], v79, off offset:28
	s_waitcnt vmcnt(1)
	global_store_dword v[84:85], v81, off
.LBB32_161:
	s_or_b64 exec, exec, s[18:19]
	v_mov_b32_e32 v81, v78
	v_mov_b32_e32 v82, v78
.LBB32_162:
	s_or_b64 exec, exec, s[16:17]
.LBB32_163:
	s_andn2_saveexec_b64 s[0:1], s[0:1]
	s_cbranch_execz .LBB32_165
; %bb.164:
	v_mov_b32_e32 v81, 7
	s_waitcnt vmcnt(8)
	ds_write2_b64 v80, v[44:45], v[46:47] offset0:16 offset1:17
	s_waitcnt vmcnt(7)
	ds_write2_b64 v80, v[28:29], v[30:31] offset0:18 offset1:19
	;; [unrolled: 2-line block ×9, first 2 shown]
.LBB32_165:
	s_or_b64 exec, exec, s[0:1]
	v_cmp_lt_i32_e32 vcc, 7, v81
	s_waitcnt lgkmcnt(0)
	s_barrier
	s_and_saveexec_b64 s[0:1], vcc
	s_cbranch_execz .LBB32_167
; %bb.166:
	ds_read2_b64 v[84:87], v80 offset0:16 offset1:17
	v_mul_f64 v[78:79], v[68:69], v[26:27]
	v_fmac_f64_e32 v[78:79], v[70:71], v[24:25]
	v_mul_f64 v[26:27], v[70:71], v[26:27]
	v_fma_f64 v[24:25], v[68:69], v[24:25], -v[26:27]
	ds_read2_b64 v[68:71], v80 offset0:18 offset1:19
	s_waitcnt lgkmcnt(1)
	v_mul_f64 v[26:27], v[86:87], v[78:79]
	v_fma_f64 v[26:27], v[84:85], v[24:25], -v[26:27]
	v_mul_f64 v[84:85], v[84:85], v[78:79]
	v_fmac_f64_e32 v[84:85], v[86:87], v[24:25]
	s_waitcnt vmcnt(8)
	v_add_f64 v[46:47], v[46:47], -v[84:85]
	ds_read2_b64 v[84:87], v80 offset0:20 offset1:21
	v_add_f64 v[44:45], v[44:45], -v[26:27]
	s_waitcnt lgkmcnt(1)
	v_mul_f64 v[26:27], v[70:71], v[78:79]
	v_fma_f64 v[26:27], v[68:69], v[24:25], -v[26:27]
	v_mul_f64 v[68:69], v[68:69], v[78:79]
	v_fmac_f64_e32 v[68:69], v[70:71], v[24:25]
	s_waitcnt vmcnt(7)
	v_add_f64 v[28:29], v[28:29], -v[26:27]
	v_add_f64 v[30:31], v[30:31], -v[68:69]
	ds_read2_b64 v[68:71], v80 offset0:22 offset1:23
	s_waitcnt lgkmcnt(1)
	v_mul_f64 v[26:27], v[86:87], v[78:79]
	v_fma_f64 v[26:27], v[84:85], v[24:25], -v[26:27]
	v_mul_f64 v[84:85], v[84:85], v[78:79]
	v_fmac_f64_e32 v[84:85], v[86:87], v[24:25]
	s_waitcnt vmcnt(6)
	v_add_f64 v[22:23], v[22:23], -v[84:85]
	ds_read2_b64 v[84:87], v80 offset0:24 offset1:25
	v_add_f64 v[20:21], v[20:21], -v[26:27]
	s_waitcnt lgkmcnt(1)
	v_mul_f64 v[26:27], v[70:71], v[78:79]
	v_fma_f64 v[26:27], v[68:69], v[24:25], -v[26:27]
	v_mul_f64 v[68:69], v[68:69], v[78:79]
	v_fmac_f64_e32 v[68:69], v[70:71], v[24:25]
	s_waitcnt vmcnt(5)
	v_add_f64 v[16:17], v[16:17], -v[26:27]
	v_add_f64 v[18:19], v[18:19], -v[68:69]
	;; [unrolled: 18-line block ×4, first 2 shown]
	s_waitcnt lgkmcnt(0)
	v_mul_f64 v[26:27], v[86:87], v[78:79]
	v_mul_f64 v[68:69], v[84:85], v[78:79]
	v_fma_f64 v[26:27], v[84:85], v[24:25], -v[26:27]
	v_fmac_f64_e32 v[68:69], v[86:87], v[24:25]
	s_waitcnt vmcnt(0)
	v_add_f64 v[64:65], v[64:65], -v[26:27]
	v_add_f64 v[66:67], v[66:67], -v[68:69]
	v_mov_b64_e32 v[26:27], v[78:79]
.LBB32_167:
	s_or_b64 exec, exec, s[0:1]
	v_lshl_add_u32 v68, v81, 4, v80
	s_barrier
	s_waitcnt vmcnt(8)
	ds_write2_b64 v68, v[44:45], v[46:47] offset1:1
	s_waitcnt lgkmcnt(0)
	s_barrier
	ds_read2_b64 v[68:71], v80 offset0:16 offset1:17
	s_cmp_lt_i32 s20, 10
	v_mov_b32_e32 v78, 8
	s_cbranch_scc1 .LBB32_170
; %bb.168:
	v_add_u32_e32 v79, 0x90, v80
	s_mov_b32 s16, 9
	v_mov_b32_e32 v78, 8
.LBB32_169:                             ; =>This Inner Loop Header: Depth=1
	ds_read2_b64 v[84:87], v79 offset1:1
	s_waitcnt lgkmcnt(1)
	v_xor_b32_e32 v89, 0x80000000, v69
	v_xor_b32_e32 v91, 0x80000000, v71
	v_cmp_gt_f64_e32 vcc, 0, v[70:71]
	v_cmp_gt_f64_e64 s[0:1], 0, v[68:69]
	v_mov_b32_e32 v88, v68
	v_mov_b32_e32 v90, v70
	v_cndmask_b32_e64 v89, v69, v89, s[0:1]
	v_cndmask_b32_e32 v91, v71, v91, vcc
	v_add_f64 v[88:89], v[88:89], v[90:91]
	s_waitcnt lgkmcnt(0)
	v_xor_b32_e32 v91, 0x80000000, v85
	v_xor_b32_e32 v93, 0x80000000, v87
	v_cmp_gt_f64_e32 vcc, 0, v[86:87]
	v_cmp_gt_f64_e64 s[0:1], 0, v[84:85]
	v_mov_b32_e32 v90, v84
	v_mov_b32_e32 v92, v86
	v_cndmask_b32_e64 v91, v85, v91, s[0:1]
	v_cndmask_b32_e32 v93, v87, v93, vcc
	v_add_f64 v[90:91], v[90:91], v[92:93]
	v_mov_b32_e32 v94, s16
	s_add_i32 s16, s16, 1
	v_cmp_lt_f64_e32 vcc, v[88:89], v[90:91]
	v_add_u32_e32 v79, 16, v79
	s_cmp_lg_u32 s20, s16
	v_cndmask_b32_e32 v69, v69, v85, vcc
	v_cndmask_b32_e32 v68, v68, v84, vcc
	;; [unrolled: 1-line block ×5, first 2 shown]
	s_cbranch_scc1 .LBB32_169
.LBB32_170:
	s_waitcnt lgkmcnt(0)
	v_cmp_eq_f64_e32 vcc, 0, v[68:69]
	v_cmp_eq_f64_e64 s[0:1], 0, v[70:71]
	s_and_b64 s[0:1], vcc, s[0:1]
	s_and_saveexec_b64 s[16:17], s[0:1]
	s_xor_b64 s[0:1], exec, s[16:17]
; %bb.171:
	v_cmp_ne_u32_e32 vcc, 0, v83
	s_nop 1
	v_cndmask_b32_e32 v83, 9, v83, vcc
; %bb.172:
	s_andn2_saveexec_b64 s[0:1], s[0:1]
	s_cbranch_execz .LBB32_178
; %bb.173:
	v_cmp_ngt_f64_e64 s[16:17], |v[68:69]|, |v[70:71]|
	s_and_saveexec_b64 s[18:19], s[16:17]
	s_xor_b64 s[16:17], exec, s[18:19]
	s_cbranch_execz .LBB32_175
; %bb.174:
	v_div_scale_f64 v[84:85], s[18:19], v[70:71], v[70:71], v[68:69]
	v_rcp_f64_e32 v[86:87], v[84:85]
	v_div_scale_f64 v[88:89], vcc, v[68:69], v[70:71], v[68:69]
	v_fma_f64 v[90:91], -v[84:85], v[86:87], 1.0
	v_fmac_f64_e32 v[86:87], v[86:87], v[90:91]
	v_fma_f64 v[90:91], -v[84:85], v[86:87], 1.0
	v_fmac_f64_e32 v[86:87], v[86:87], v[90:91]
	v_mul_f64 v[90:91], v[88:89], v[86:87]
	v_fma_f64 v[84:85], -v[84:85], v[90:91], v[88:89]
	v_div_fmas_f64 v[84:85], v[84:85], v[86:87], v[90:91]
	v_div_fixup_f64 v[84:85], v[84:85], v[70:71], v[68:69]
	v_fmac_f64_e32 v[70:71], v[68:69], v[84:85]
	v_div_scale_f64 v[68:69], s[18:19], v[70:71], v[70:71], 1.0
	v_rcp_f64_e32 v[86:87], v[68:69]
	s_nop 0
	v_fma_f64 v[88:89], -v[68:69], v[86:87], 1.0
	v_fmac_f64_e32 v[86:87], v[86:87], v[88:89]
	v_fma_f64 v[88:89], -v[68:69], v[86:87], 1.0
	v_fmac_f64_e32 v[86:87], v[86:87], v[88:89]
	v_div_scale_f64 v[88:89], vcc, 1.0, v[70:71], 1.0
	v_mul_f64 v[90:91], v[88:89], v[86:87]
	v_fma_f64 v[68:69], -v[68:69], v[90:91], v[88:89]
	s_nop 1
	v_div_fmas_f64 v[68:69], v[68:69], v[86:87], v[90:91]
	v_div_fixup_f64 v[70:71], v[68:69], v[70:71], 1.0
	v_mul_f64 v[68:69], v[84:85], v[70:71]
	v_xor_b32_e32 v71, 0x80000000, v71
.LBB32_175:
	s_andn2_saveexec_b64 s[16:17], s[16:17]
	s_cbranch_execz .LBB32_177
; %bb.176:
	v_div_scale_f64 v[84:85], s[18:19], v[68:69], v[68:69], v[70:71]
	v_rcp_f64_e32 v[86:87], v[84:85]
	v_div_scale_f64 v[88:89], vcc, v[70:71], v[68:69], v[70:71]
	v_fma_f64 v[90:91], -v[84:85], v[86:87], 1.0
	v_fmac_f64_e32 v[86:87], v[86:87], v[90:91]
	v_fma_f64 v[90:91], -v[84:85], v[86:87], 1.0
	v_fmac_f64_e32 v[86:87], v[86:87], v[90:91]
	v_mul_f64 v[90:91], v[88:89], v[86:87]
	v_fma_f64 v[84:85], -v[84:85], v[90:91], v[88:89]
	v_div_fmas_f64 v[84:85], v[84:85], v[86:87], v[90:91]
	v_div_fixup_f64 v[84:85], v[84:85], v[68:69], v[70:71]
	v_fmac_f64_e32 v[68:69], v[70:71], v[84:85]
	v_div_scale_f64 v[70:71], s[18:19], v[68:69], v[68:69], 1.0
	v_rcp_f64_e32 v[86:87], v[70:71]
	s_nop 0
	v_fma_f64 v[88:89], -v[70:71], v[86:87], 1.0
	v_fmac_f64_e32 v[86:87], v[86:87], v[88:89]
	v_fma_f64 v[88:89], -v[70:71], v[86:87], 1.0
	v_fmac_f64_e32 v[86:87], v[86:87], v[88:89]
	v_div_scale_f64 v[88:89], vcc, 1.0, v[68:69], 1.0
	v_mul_f64 v[90:91], v[88:89], v[86:87]
	v_fma_f64 v[70:71], -v[70:71], v[90:91], v[88:89]
	s_nop 1
	v_div_fmas_f64 v[70:71], v[70:71], v[86:87], v[90:91]
	v_div_fixup_f64 v[68:69], v[70:71], v[68:69], 1.0
	v_mul_f64 v[70:71], v[84:85], -v[68:69]
.LBB32_177:
	s_or_b64 exec, exec, s[16:17]
.LBB32_178:
	s_or_b64 exec, exec, s[0:1]
	v_cmp_ne_u32_e32 vcc, v81, v78
	s_and_saveexec_b64 s[0:1], vcc
	s_xor_b64 s[0:1], exec, s[0:1]
	s_cbranch_execz .LBB32_184
; %bb.179:
	v_cmp_eq_u32_e32 vcc, 8, v81
	s_and_saveexec_b64 s[16:17], vcc
	s_cbranch_execz .LBB32_183
; %bb.180:
	v_cmp_ne_u32_e32 vcc, 8, v78
	s_xor_b64 s[18:19], s[14:15], -1
	s_and_b64 s[22:23], s[18:19], vcc
	s_and_saveexec_b64 s[18:19], s[22:23]
	s_cbranch_execz .LBB32_182
; %bb.181:
	v_ashrrev_i32_e32 v79, 31, v78
	v_lshl_add_u64 v[84:85], v[78:79], 2, v[76:77]
	global_load_dword v79, v[84:85], off
	global_load_dword v81, v[76:77], off offset:32
	s_waitcnt vmcnt(1)
	global_store_dword v[76:77], v79, off offset:32
	s_waitcnt vmcnt(1)
	global_store_dword v[84:85], v81, off
.LBB32_182:
	s_or_b64 exec, exec, s[18:19]
	v_mov_b32_e32 v81, v78
	v_mov_b32_e32 v82, v78
.LBB32_183:
	s_or_b64 exec, exec, s[16:17]
.LBB32_184:
	s_andn2_saveexec_b64 s[0:1], s[0:1]
	s_cbranch_execz .LBB32_186
; %bb.185:
	v_mov_b32_e32 v81, 8
	s_waitcnt vmcnt(7)
	ds_write2_b64 v80, v[28:29], v[30:31] offset0:18 offset1:19
	s_waitcnt vmcnt(6)
	ds_write2_b64 v80, v[20:21], v[22:23] offset0:20 offset1:21
	;; [unrolled: 2-line block ×8, first 2 shown]
.LBB32_186:
	s_or_b64 exec, exec, s[0:1]
	v_cmp_lt_i32_e32 vcc, 8, v81
	s_waitcnt lgkmcnt(0)
	s_barrier
	s_and_saveexec_b64 s[0:1], vcc
	s_cbranch_execz .LBB32_188
; %bb.187:
	ds_read2_b64 v[84:87], v80 offset0:18 offset1:19
	v_mul_f64 v[78:79], v[68:69], v[46:47]
	v_mul_f64 v[46:47], v[70:71], v[46:47]
	v_fmac_f64_e32 v[78:79], v[70:71], v[44:45]
	v_fma_f64 v[44:45], v[68:69], v[44:45], -v[46:47]
	ds_read2_b64 v[68:71], v80 offset0:20 offset1:21
	s_waitcnt lgkmcnt(1)
	v_mul_f64 v[46:47], v[86:87], v[78:79]
	v_fma_f64 v[46:47], v[84:85], v[44:45], -v[46:47]
	v_mul_f64 v[84:85], v[84:85], v[78:79]
	v_fmac_f64_e32 v[84:85], v[86:87], v[44:45]
	s_waitcnt vmcnt(7)
	v_add_f64 v[28:29], v[28:29], -v[46:47]
	s_waitcnt lgkmcnt(0)
	v_mul_f64 v[46:47], v[70:71], v[78:79]
	v_add_f64 v[30:31], v[30:31], -v[84:85]
	v_fma_f64 v[46:47], v[68:69], v[44:45], -v[46:47]
	v_mul_f64 v[68:69], v[68:69], v[78:79]
	ds_read2_b64 v[84:87], v80 offset0:22 offset1:23
	v_fmac_f64_e32 v[68:69], v[70:71], v[44:45]
	s_waitcnt vmcnt(6)
	v_add_f64 v[22:23], v[22:23], -v[68:69]
	ds_read2_b64 v[68:71], v80 offset0:24 offset1:25
	v_add_f64 v[20:21], v[20:21], -v[46:47]
	s_waitcnt lgkmcnt(1)
	v_mul_f64 v[46:47], v[86:87], v[78:79]
	v_fma_f64 v[46:47], v[84:85], v[44:45], -v[46:47]
	v_mul_f64 v[84:85], v[84:85], v[78:79]
	v_fmac_f64_e32 v[84:85], v[86:87], v[44:45]
	s_waitcnt vmcnt(5)
	v_add_f64 v[16:17], v[16:17], -v[46:47]
	s_waitcnt lgkmcnt(0)
	v_mul_f64 v[46:47], v[70:71], v[78:79]
	v_add_f64 v[18:19], v[18:19], -v[84:85]
	v_fma_f64 v[46:47], v[68:69], v[44:45], -v[46:47]
	v_mul_f64 v[68:69], v[68:69], v[78:79]
	ds_read2_b64 v[84:87], v80 offset0:26 offset1:27
	v_fmac_f64_e32 v[68:69], v[70:71], v[44:45]
	s_waitcnt vmcnt(4)
	v_add_f64 v[14:15], v[14:15], -v[68:69]
	ds_read2_b64 v[68:71], v80 offset0:28 offset1:29
	v_add_f64 v[12:13], v[12:13], -v[46:47]
	;; [unrolled: 18-line block ×3, first 2 shown]
	s_waitcnt lgkmcnt(1)
	v_mul_f64 v[46:47], v[86:87], v[78:79]
	v_fma_f64 v[46:47], v[84:85], v[44:45], -v[46:47]
	s_waitcnt vmcnt(1)
	v_add_f64 v[0:1], v[0:1], -v[46:47]
	s_waitcnt lgkmcnt(0)
	v_mul_f64 v[46:47], v[70:71], v[78:79]
	v_mul_f64 v[84:85], v[84:85], v[78:79]
	v_fma_f64 v[46:47], v[68:69], v[44:45], -v[46:47]
	v_mul_f64 v[68:69], v[68:69], v[78:79]
	v_fmac_f64_e32 v[84:85], v[86:87], v[44:45]
	v_fmac_f64_e32 v[68:69], v[70:71], v[44:45]
	v_add_f64 v[2:3], v[2:3], -v[84:85]
	s_waitcnt vmcnt(0)
	v_add_f64 v[64:65], v[64:65], -v[46:47]
	v_add_f64 v[66:67], v[66:67], -v[68:69]
	v_mov_b64_e32 v[46:47], v[78:79]
.LBB32_188:
	s_or_b64 exec, exec, s[0:1]
	v_lshl_add_u32 v68, v81, 4, v80
	s_barrier
	s_waitcnt vmcnt(7)
	ds_write2_b64 v68, v[28:29], v[30:31] offset1:1
	s_waitcnt lgkmcnt(0)
	s_barrier
	ds_read2_b64 v[68:71], v80 offset0:18 offset1:19
	s_cmp_lt_i32 s20, 11
	v_mov_b32_e32 v78, 9
	s_cbranch_scc1 .LBB32_191
; %bb.189:
	v_add_u32_e32 v79, 0xa0, v80
	s_mov_b32 s16, 10
	v_mov_b32_e32 v78, 9
.LBB32_190:                             ; =>This Inner Loop Header: Depth=1
	ds_read2_b64 v[84:87], v79 offset1:1
	s_waitcnt lgkmcnt(1)
	v_xor_b32_e32 v89, 0x80000000, v69
	v_xor_b32_e32 v91, 0x80000000, v71
	v_cmp_gt_f64_e32 vcc, 0, v[70:71]
	v_cmp_gt_f64_e64 s[0:1], 0, v[68:69]
	v_mov_b32_e32 v88, v68
	v_mov_b32_e32 v90, v70
	v_cndmask_b32_e64 v89, v69, v89, s[0:1]
	v_cndmask_b32_e32 v91, v71, v91, vcc
	v_add_f64 v[88:89], v[88:89], v[90:91]
	s_waitcnt lgkmcnt(0)
	v_xor_b32_e32 v91, 0x80000000, v85
	v_xor_b32_e32 v93, 0x80000000, v87
	v_cmp_gt_f64_e32 vcc, 0, v[86:87]
	v_cmp_gt_f64_e64 s[0:1], 0, v[84:85]
	v_mov_b32_e32 v90, v84
	v_mov_b32_e32 v92, v86
	v_cndmask_b32_e64 v91, v85, v91, s[0:1]
	v_cndmask_b32_e32 v93, v87, v93, vcc
	v_add_f64 v[90:91], v[90:91], v[92:93]
	v_mov_b32_e32 v94, s16
	s_add_i32 s16, s16, 1
	v_cmp_lt_f64_e32 vcc, v[88:89], v[90:91]
	v_add_u32_e32 v79, 16, v79
	s_cmp_lg_u32 s20, s16
	v_cndmask_b32_e32 v69, v69, v85, vcc
	v_cndmask_b32_e32 v68, v68, v84, vcc
	;; [unrolled: 1-line block ×5, first 2 shown]
	s_cbranch_scc1 .LBB32_190
.LBB32_191:
	s_waitcnt lgkmcnt(0)
	v_cmp_eq_f64_e32 vcc, 0, v[68:69]
	v_cmp_eq_f64_e64 s[0:1], 0, v[70:71]
	s_and_b64 s[0:1], vcc, s[0:1]
	s_and_saveexec_b64 s[16:17], s[0:1]
	s_xor_b64 s[0:1], exec, s[16:17]
; %bb.192:
	v_cmp_ne_u32_e32 vcc, 0, v83
	s_nop 1
	v_cndmask_b32_e32 v83, 10, v83, vcc
; %bb.193:
	s_andn2_saveexec_b64 s[0:1], s[0:1]
	s_cbranch_execz .LBB32_199
; %bb.194:
	v_cmp_ngt_f64_e64 s[16:17], |v[68:69]|, |v[70:71]|
	s_and_saveexec_b64 s[18:19], s[16:17]
	s_xor_b64 s[16:17], exec, s[18:19]
	s_cbranch_execz .LBB32_196
; %bb.195:
	v_div_scale_f64 v[84:85], s[18:19], v[70:71], v[70:71], v[68:69]
	v_rcp_f64_e32 v[86:87], v[84:85]
	v_div_scale_f64 v[88:89], vcc, v[68:69], v[70:71], v[68:69]
	v_fma_f64 v[90:91], -v[84:85], v[86:87], 1.0
	v_fmac_f64_e32 v[86:87], v[86:87], v[90:91]
	v_fma_f64 v[90:91], -v[84:85], v[86:87], 1.0
	v_fmac_f64_e32 v[86:87], v[86:87], v[90:91]
	v_mul_f64 v[90:91], v[88:89], v[86:87]
	v_fma_f64 v[84:85], -v[84:85], v[90:91], v[88:89]
	v_div_fmas_f64 v[84:85], v[84:85], v[86:87], v[90:91]
	v_div_fixup_f64 v[84:85], v[84:85], v[70:71], v[68:69]
	v_fmac_f64_e32 v[70:71], v[68:69], v[84:85]
	v_div_scale_f64 v[68:69], s[18:19], v[70:71], v[70:71], 1.0
	v_rcp_f64_e32 v[86:87], v[68:69]
	s_nop 0
	v_fma_f64 v[88:89], -v[68:69], v[86:87], 1.0
	v_fmac_f64_e32 v[86:87], v[86:87], v[88:89]
	v_fma_f64 v[88:89], -v[68:69], v[86:87], 1.0
	v_fmac_f64_e32 v[86:87], v[86:87], v[88:89]
	v_div_scale_f64 v[88:89], vcc, 1.0, v[70:71], 1.0
	v_mul_f64 v[90:91], v[88:89], v[86:87]
	v_fma_f64 v[68:69], -v[68:69], v[90:91], v[88:89]
	s_nop 1
	v_div_fmas_f64 v[68:69], v[68:69], v[86:87], v[90:91]
	v_div_fixup_f64 v[70:71], v[68:69], v[70:71], 1.0
	v_mul_f64 v[68:69], v[84:85], v[70:71]
	v_xor_b32_e32 v71, 0x80000000, v71
.LBB32_196:
	s_andn2_saveexec_b64 s[16:17], s[16:17]
	s_cbranch_execz .LBB32_198
; %bb.197:
	v_div_scale_f64 v[84:85], s[18:19], v[68:69], v[68:69], v[70:71]
	v_rcp_f64_e32 v[86:87], v[84:85]
	v_div_scale_f64 v[88:89], vcc, v[70:71], v[68:69], v[70:71]
	v_fma_f64 v[90:91], -v[84:85], v[86:87], 1.0
	v_fmac_f64_e32 v[86:87], v[86:87], v[90:91]
	v_fma_f64 v[90:91], -v[84:85], v[86:87], 1.0
	v_fmac_f64_e32 v[86:87], v[86:87], v[90:91]
	v_mul_f64 v[90:91], v[88:89], v[86:87]
	v_fma_f64 v[84:85], -v[84:85], v[90:91], v[88:89]
	v_div_fmas_f64 v[84:85], v[84:85], v[86:87], v[90:91]
	v_div_fixup_f64 v[84:85], v[84:85], v[68:69], v[70:71]
	v_fmac_f64_e32 v[68:69], v[70:71], v[84:85]
	v_div_scale_f64 v[70:71], s[18:19], v[68:69], v[68:69], 1.0
	v_rcp_f64_e32 v[86:87], v[70:71]
	s_nop 0
	v_fma_f64 v[88:89], -v[70:71], v[86:87], 1.0
	v_fmac_f64_e32 v[86:87], v[86:87], v[88:89]
	v_fma_f64 v[88:89], -v[70:71], v[86:87], 1.0
	v_fmac_f64_e32 v[86:87], v[86:87], v[88:89]
	v_div_scale_f64 v[88:89], vcc, 1.0, v[68:69], 1.0
	v_mul_f64 v[90:91], v[88:89], v[86:87]
	v_fma_f64 v[70:71], -v[70:71], v[90:91], v[88:89]
	s_nop 1
	v_div_fmas_f64 v[70:71], v[70:71], v[86:87], v[90:91]
	v_div_fixup_f64 v[68:69], v[70:71], v[68:69], 1.0
	v_mul_f64 v[70:71], v[84:85], -v[68:69]
.LBB32_198:
	s_or_b64 exec, exec, s[16:17]
.LBB32_199:
	s_or_b64 exec, exec, s[0:1]
	v_cmp_ne_u32_e32 vcc, v81, v78
	s_and_saveexec_b64 s[0:1], vcc
	s_xor_b64 s[0:1], exec, s[0:1]
	s_cbranch_execz .LBB32_205
; %bb.200:
	v_cmp_eq_u32_e32 vcc, 9, v81
	s_and_saveexec_b64 s[16:17], vcc
	s_cbranch_execz .LBB32_204
; %bb.201:
	v_cmp_ne_u32_e32 vcc, 9, v78
	s_xor_b64 s[18:19], s[14:15], -1
	s_and_b64 s[22:23], s[18:19], vcc
	s_and_saveexec_b64 s[18:19], s[22:23]
	s_cbranch_execz .LBB32_203
; %bb.202:
	v_ashrrev_i32_e32 v79, 31, v78
	v_lshl_add_u64 v[84:85], v[78:79], 2, v[76:77]
	global_load_dword v79, v[84:85], off
	global_load_dword v81, v[76:77], off offset:36
	s_waitcnt vmcnt(1)
	global_store_dword v[76:77], v79, off offset:36
	s_waitcnt vmcnt(1)
	global_store_dword v[84:85], v81, off
.LBB32_203:
	s_or_b64 exec, exec, s[18:19]
	v_mov_b32_e32 v81, v78
	v_mov_b32_e32 v82, v78
.LBB32_204:
	s_or_b64 exec, exec, s[16:17]
.LBB32_205:
	s_andn2_saveexec_b64 s[0:1], s[0:1]
	s_cbranch_execz .LBB32_207
; %bb.206:
	v_mov_b32_e32 v81, 9
	s_waitcnt vmcnt(6)
	ds_write2_b64 v80, v[20:21], v[22:23] offset0:20 offset1:21
	s_waitcnt vmcnt(5)
	ds_write2_b64 v80, v[16:17], v[18:19] offset0:22 offset1:23
	;; [unrolled: 2-line block ×7, first 2 shown]
.LBB32_207:
	s_or_b64 exec, exec, s[0:1]
	v_cmp_lt_i32_e32 vcc, 9, v81
	s_waitcnt lgkmcnt(0)
	s_barrier
	s_and_saveexec_b64 s[0:1], vcc
	s_cbranch_execz .LBB32_209
; %bb.208:
	ds_read2_b64 v[84:87], v80 offset0:20 offset1:21
	v_mul_f64 v[78:79], v[68:69], v[30:31]
	v_fmac_f64_e32 v[78:79], v[70:71], v[28:29]
	v_mul_f64 v[30:31], v[70:71], v[30:31]
	v_fma_f64 v[28:29], v[68:69], v[28:29], -v[30:31]
	ds_read2_b64 v[68:71], v80 offset0:22 offset1:23
	s_waitcnt lgkmcnt(1)
	v_mul_f64 v[30:31], v[86:87], v[78:79]
	v_fma_f64 v[30:31], v[84:85], v[28:29], -v[30:31]
	v_mul_f64 v[84:85], v[84:85], v[78:79]
	v_fmac_f64_e32 v[84:85], v[86:87], v[28:29]
	s_waitcnt vmcnt(6)
	v_add_f64 v[22:23], v[22:23], -v[84:85]
	ds_read2_b64 v[84:87], v80 offset0:24 offset1:25
	v_add_f64 v[20:21], v[20:21], -v[30:31]
	s_waitcnt lgkmcnt(1)
	v_mul_f64 v[30:31], v[70:71], v[78:79]
	v_fma_f64 v[30:31], v[68:69], v[28:29], -v[30:31]
	v_mul_f64 v[68:69], v[68:69], v[78:79]
	v_fmac_f64_e32 v[68:69], v[70:71], v[28:29]
	s_waitcnt vmcnt(5)
	v_add_f64 v[16:17], v[16:17], -v[30:31]
	v_add_f64 v[18:19], v[18:19], -v[68:69]
	ds_read2_b64 v[68:71], v80 offset0:26 offset1:27
	s_waitcnt lgkmcnt(1)
	v_mul_f64 v[30:31], v[86:87], v[78:79]
	v_fma_f64 v[30:31], v[84:85], v[28:29], -v[30:31]
	v_mul_f64 v[84:85], v[84:85], v[78:79]
	v_fmac_f64_e32 v[84:85], v[86:87], v[28:29]
	s_waitcnt vmcnt(4)
	v_add_f64 v[14:15], v[14:15], -v[84:85]
	ds_read2_b64 v[84:87], v80 offset0:28 offset1:29
	v_add_f64 v[12:13], v[12:13], -v[30:31]
	s_waitcnt lgkmcnt(1)
	v_mul_f64 v[30:31], v[70:71], v[78:79]
	v_fma_f64 v[30:31], v[68:69], v[28:29], -v[30:31]
	v_mul_f64 v[68:69], v[68:69], v[78:79]
	v_fmac_f64_e32 v[68:69], v[70:71], v[28:29]
	s_waitcnt vmcnt(3)
	v_add_f64 v[8:9], v[8:9], -v[30:31]
	v_add_f64 v[10:11], v[10:11], -v[68:69]
	;; [unrolled: 18-line block ×3, first 2 shown]
	s_waitcnt lgkmcnt(0)
	v_mul_f64 v[30:31], v[86:87], v[78:79]
	v_mul_f64 v[68:69], v[84:85], v[78:79]
	v_fma_f64 v[30:31], v[84:85], v[28:29], -v[30:31]
	v_fmac_f64_e32 v[68:69], v[86:87], v[28:29]
	s_waitcnt vmcnt(0)
	v_add_f64 v[64:65], v[64:65], -v[30:31]
	v_add_f64 v[66:67], v[66:67], -v[68:69]
	v_mov_b64_e32 v[30:31], v[78:79]
.LBB32_209:
	s_or_b64 exec, exec, s[0:1]
	v_lshl_add_u32 v68, v81, 4, v80
	s_barrier
	s_waitcnt vmcnt(6)
	ds_write2_b64 v68, v[20:21], v[22:23] offset1:1
	s_waitcnt lgkmcnt(0)
	s_barrier
	ds_read2_b64 v[68:71], v80 offset0:20 offset1:21
	s_cmp_lt_i32 s20, 12
	v_mov_b32_e32 v78, 10
	s_cbranch_scc1 .LBB32_212
; %bb.210:
	v_add_u32_e32 v79, 0xb0, v80
	s_mov_b32 s16, 11
	v_mov_b32_e32 v78, 10
.LBB32_211:                             ; =>This Inner Loop Header: Depth=1
	ds_read2_b64 v[84:87], v79 offset1:1
	s_waitcnt lgkmcnt(1)
	v_xor_b32_e32 v89, 0x80000000, v69
	v_xor_b32_e32 v91, 0x80000000, v71
	v_cmp_gt_f64_e32 vcc, 0, v[70:71]
	v_cmp_gt_f64_e64 s[0:1], 0, v[68:69]
	v_mov_b32_e32 v88, v68
	v_mov_b32_e32 v90, v70
	v_cndmask_b32_e64 v89, v69, v89, s[0:1]
	v_cndmask_b32_e32 v91, v71, v91, vcc
	v_add_f64 v[88:89], v[88:89], v[90:91]
	s_waitcnt lgkmcnt(0)
	v_xor_b32_e32 v91, 0x80000000, v85
	v_xor_b32_e32 v93, 0x80000000, v87
	v_cmp_gt_f64_e32 vcc, 0, v[86:87]
	v_cmp_gt_f64_e64 s[0:1], 0, v[84:85]
	v_mov_b32_e32 v90, v84
	v_mov_b32_e32 v92, v86
	v_cndmask_b32_e64 v91, v85, v91, s[0:1]
	v_cndmask_b32_e32 v93, v87, v93, vcc
	v_add_f64 v[90:91], v[90:91], v[92:93]
	v_mov_b32_e32 v94, s16
	s_add_i32 s16, s16, 1
	v_cmp_lt_f64_e32 vcc, v[88:89], v[90:91]
	v_add_u32_e32 v79, 16, v79
	s_cmp_lg_u32 s20, s16
	v_cndmask_b32_e32 v69, v69, v85, vcc
	v_cndmask_b32_e32 v68, v68, v84, vcc
	;; [unrolled: 1-line block ×5, first 2 shown]
	s_cbranch_scc1 .LBB32_211
.LBB32_212:
	s_waitcnt lgkmcnt(0)
	v_cmp_eq_f64_e32 vcc, 0, v[68:69]
	v_cmp_eq_f64_e64 s[0:1], 0, v[70:71]
	s_and_b64 s[0:1], vcc, s[0:1]
	s_and_saveexec_b64 s[16:17], s[0:1]
	s_xor_b64 s[0:1], exec, s[16:17]
; %bb.213:
	v_cmp_ne_u32_e32 vcc, 0, v83
	s_nop 1
	v_cndmask_b32_e32 v83, 11, v83, vcc
; %bb.214:
	s_andn2_saveexec_b64 s[0:1], s[0:1]
	s_cbranch_execz .LBB32_220
; %bb.215:
	v_cmp_ngt_f64_e64 s[16:17], |v[68:69]|, |v[70:71]|
	s_and_saveexec_b64 s[18:19], s[16:17]
	s_xor_b64 s[16:17], exec, s[18:19]
	s_cbranch_execz .LBB32_217
; %bb.216:
	v_div_scale_f64 v[84:85], s[18:19], v[70:71], v[70:71], v[68:69]
	v_rcp_f64_e32 v[86:87], v[84:85]
	v_div_scale_f64 v[88:89], vcc, v[68:69], v[70:71], v[68:69]
	v_fma_f64 v[90:91], -v[84:85], v[86:87], 1.0
	v_fmac_f64_e32 v[86:87], v[86:87], v[90:91]
	v_fma_f64 v[90:91], -v[84:85], v[86:87], 1.0
	v_fmac_f64_e32 v[86:87], v[86:87], v[90:91]
	v_mul_f64 v[90:91], v[88:89], v[86:87]
	v_fma_f64 v[84:85], -v[84:85], v[90:91], v[88:89]
	v_div_fmas_f64 v[84:85], v[84:85], v[86:87], v[90:91]
	v_div_fixup_f64 v[84:85], v[84:85], v[70:71], v[68:69]
	v_fmac_f64_e32 v[70:71], v[68:69], v[84:85]
	v_div_scale_f64 v[68:69], s[18:19], v[70:71], v[70:71], 1.0
	v_rcp_f64_e32 v[86:87], v[68:69]
	s_nop 0
	v_fma_f64 v[88:89], -v[68:69], v[86:87], 1.0
	v_fmac_f64_e32 v[86:87], v[86:87], v[88:89]
	v_fma_f64 v[88:89], -v[68:69], v[86:87], 1.0
	v_fmac_f64_e32 v[86:87], v[86:87], v[88:89]
	v_div_scale_f64 v[88:89], vcc, 1.0, v[70:71], 1.0
	v_mul_f64 v[90:91], v[88:89], v[86:87]
	v_fma_f64 v[68:69], -v[68:69], v[90:91], v[88:89]
	s_nop 1
	v_div_fmas_f64 v[68:69], v[68:69], v[86:87], v[90:91]
	v_div_fixup_f64 v[70:71], v[68:69], v[70:71], 1.0
	v_mul_f64 v[68:69], v[84:85], v[70:71]
	v_xor_b32_e32 v71, 0x80000000, v71
.LBB32_217:
	s_andn2_saveexec_b64 s[16:17], s[16:17]
	s_cbranch_execz .LBB32_219
; %bb.218:
	v_div_scale_f64 v[84:85], s[18:19], v[68:69], v[68:69], v[70:71]
	v_rcp_f64_e32 v[86:87], v[84:85]
	v_div_scale_f64 v[88:89], vcc, v[70:71], v[68:69], v[70:71]
	v_fma_f64 v[90:91], -v[84:85], v[86:87], 1.0
	v_fmac_f64_e32 v[86:87], v[86:87], v[90:91]
	v_fma_f64 v[90:91], -v[84:85], v[86:87], 1.0
	v_fmac_f64_e32 v[86:87], v[86:87], v[90:91]
	v_mul_f64 v[90:91], v[88:89], v[86:87]
	v_fma_f64 v[84:85], -v[84:85], v[90:91], v[88:89]
	v_div_fmas_f64 v[84:85], v[84:85], v[86:87], v[90:91]
	v_div_fixup_f64 v[84:85], v[84:85], v[68:69], v[70:71]
	v_fmac_f64_e32 v[68:69], v[70:71], v[84:85]
	v_div_scale_f64 v[70:71], s[18:19], v[68:69], v[68:69], 1.0
	v_rcp_f64_e32 v[86:87], v[70:71]
	s_nop 0
	v_fma_f64 v[88:89], -v[70:71], v[86:87], 1.0
	v_fmac_f64_e32 v[86:87], v[86:87], v[88:89]
	v_fma_f64 v[88:89], -v[70:71], v[86:87], 1.0
	v_fmac_f64_e32 v[86:87], v[86:87], v[88:89]
	v_div_scale_f64 v[88:89], vcc, 1.0, v[68:69], 1.0
	v_mul_f64 v[90:91], v[88:89], v[86:87]
	v_fma_f64 v[70:71], -v[70:71], v[90:91], v[88:89]
	s_nop 1
	v_div_fmas_f64 v[70:71], v[70:71], v[86:87], v[90:91]
	v_div_fixup_f64 v[68:69], v[70:71], v[68:69], 1.0
	v_mul_f64 v[70:71], v[84:85], -v[68:69]
.LBB32_219:
	s_or_b64 exec, exec, s[16:17]
.LBB32_220:
	s_or_b64 exec, exec, s[0:1]
	v_cmp_ne_u32_e32 vcc, v81, v78
	s_and_saveexec_b64 s[0:1], vcc
	s_xor_b64 s[0:1], exec, s[0:1]
	s_cbranch_execz .LBB32_226
; %bb.221:
	v_cmp_eq_u32_e32 vcc, 10, v81
	s_and_saveexec_b64 s[16:17], vcc
	s_cbranch_execz .LBB32_225
; %bb.222:
	v_cmp_ne_u32_e32 vcc, 10, v78
	s_xor_b64 s[18:19], s[14:15], -1
	s_and_b64 s[22:23], s[18:19], vcc
	s_and_saveexec_b64 s[18:19], s[22:23]
	s_cbranch_execz .LBB32_224
; %bb.223:
	v_ashrrev_i32_e32 v79, 31, v78
	v_lshl_add_u64 v[84:85], v[78:79], 2, v[76:77]
	global_load_dword v79, v[84:85], off
	global_load_dword v81, v[76:77], off offset:40
	s_waitcnt vmcnt(1)
	global_store_dword v[76:77], v79, off offset:40
	s_waitcnt vmcnt(1)
	global_store_dword v[84:85], v81, off
.LBB32_224:
	s_or_b64 exec, exec, s[18:19]
	v_mov_b32_e32 v81, v78
	v_mov_b32_e32 v82, v78
.LBB32_225:
	s_or_b64 exec, exec, s[16:17]
.LBB32_226:
	s_andn2_saveexec_b64 s[0:1], s[0:1]
	s_cbranch_execz .LBB32_228
; %bb.227:
	v_mov_b32_e32 v81, 10
	s_waitcnt vmcnt(5)
	ds_write2_b64 v80, v[16:17], v[18:19] offset0:22 offset1:23
	s_waitcnt vmcnt(4)
	ds_write2_b64 v80, v[12:13], v[14:15] offset0:24 offset1:25
	;; [unrolled: 2-line block ×6, first 2 shown]
.LBB32_228:
	s_or_b64 exec, exec, s[0:1]
	v_cmp_lt_i32_e32 vcc, 10, v81
	s_waitcnt lgkmcnt(0)
	s_barrier
	s_and_saveexec_b64 s[0:1], vcc
	s_cbranch_execz .LBB32_230
; %bb.229:
	ds_read2_b64 v[84:87], v80 offset0:22 offset1:23
	v_mul_f64 v[78:79], v[68:69], v[22:23]
	v_mul_f64 v[22:23], v[70:71], v[22:23]
	v_fmac_f64_e32 v[78:79], v[70:71], v[20:21]
	v_fma_f64 v[20:21], v[68:69], v[20:21], -v[22:23]
	ds_read2_b64 v[68:71], v80 offset0:24 offset1:25
	s_waitcnt lgkmcnt(1)
	v_mul_f64 v[22:23], v[86:87], v[78:79]
	v_fma_f64 v[22:23], v[84:85], v[20:21], -v[22:23]
	v_mul_f64 v[84:85], v[84:85], v[78:79]
	v_fmac_f64_e32 v[84:85], v[86:87], v[20:21]
	s_waitcnt vmcnt(5)
	v_add_f64 v[16:17], v[16:17], -v[22:23]
	s_waitcnt lgkmcnt(0)
	v_mul_f64 v[22:23], v[70:71], v[78:79]
	v_add_f64 v[18:19], v[18:19], -v[84:85]
	v_fma_f64 v[22:23], v[68:69], v[20:21], -v[22:23]
	v_mul_f64 v[68:69], v[68:69], v[78:79]
	ds_read2_b64 v[84:87], v80 offset0:26 offset1:27
	v_fmac_f64_e32 v[68:69], v[70:71], v[20:21]
	s_waitcnt vmcnt(4)
	v_add_f64 v[14:15], v[14:15], -v[68:69]
	ds_read2_b64 v[68:71], v80 offset0:28 offset1:29
	v_add_f64 v[12:13], v[12:13], -v[22:23]
	s_waitcnt lgkmcnt(1)
	v_mul_f64 v[22:23], v[86:87], v[78:79]
	v_fma_f64 v[22:23], v[84:85], v[20:21], -v[22:23]
	v_mul_f64 v[84:85], v[84:85], v[78:79]
	v_fmac_f64_e32 v[84:85], v[86:87], v[20:21]
	s_waitcnt vmcnt(3)
	v_add_f64 v[8:9], v[8:9], -v[22:23]
	s_waitcnt lgkmcnt(0)
	v_mul_f64 v[22:23], v[70:71], v[78:79]
	v_add_f64 v[10:11], v[10:11], -v[84:85]
	v_fma_f64 v[22:23], v[68:69], v[20:21], -v[22:23]
	v_mul_f64 v[68:69], v[68:69], v[78:79]
	ds_read2_b64 v[84:87], v80 offset0:30 offset1:31
	v_fmac_f64_e32 v[68:69], v[70:71], v[20:21]
	s_waitcnt vmcnt(2)
	v_add_f64 v[6:7], v[6:7], -v[68:69]
	ds_read2_b64 v[68:71], v80 offset0:32 offset1:33
	v_add_f64 v[4:5], v[4:5], -v[22:23]
	s_waitcnt lgkmcnt(1)
	v_mul_f64 v[22:23], v[86:87], v[78:79]
	v_fma_f64 v[22:23], v[84:85], v[20:21], -v[22:23]
	s_waitcnt vmcnt(1)
	v_add_f64 v[0:1], v[0:1], -v[22:23]
	s_waitcnt lgkmcnt(0)
	v_mul_f64 v[22:23], v[70:71], v[78:79]
	v_mul_f64 v[84:85], v[84:85], v[78:79]
	v_fma_f64 v[22:23], v[68:69], v[20:21], -v[22:23]
	v_mul_f64 v[68:69], v[68:69], v[78:79]
	v_fmac_f64_e32 v[84:85], v[86:87], v[20:21]
	v_fmac_f64_e32 v[68:69], v[70:71], v[20:21]
	v_add_f64 v[2:3], v[2:3], -v[84:85]
	s_waitcnt vmcnt(0)
	v_add_f64 v[64:65], v[64:65], -v[22:23]
	v_add_f64 v[66:67], v[66:67], -v[68:69]
	v_mov_b64_e32 v[22:23], v[78:79]
.LBB32_230:
	s_or_b64 exec, exec, s[0:1]
	v_lshl_add_u32 v68, v81, 4, v80
	s_barrier
	s_waitcnt vmcnt(5)
	ds_write2_b64 v68, v[16:17], v[18:19] offset1:1
	s_waitcnt lgkmcnt(0)
	s_barrier
	ds_read2_b64 v[68:71], v80 offset0:22 offset1:23
	s_cmp_lt_i32 s20, 13
	v_mov_b32_e32 v78, 11
	s_cbranch_scc1 .LBB32_233
; %bb.231:
	v_add_u32_e32 v79, 0xc0, v80
	s_mov_b32 s16, 12
	v_mov_b32_e32 v78, 11
.LBB32_232:                             ; =>This Inner Loop Header: Depth=1
	ds_read2_b64 v[84:87], v79 offset1:1
	s_waitcnt lgkmcnt(1)
	v_xor_b32_e32 v89, 0x80000000, v69
	v_xor_b32_e32 v91, 0x80000000, v71
	v_cmp_gt_f64_e32 vcc, 0, v[70:71]
	v_cmp_gt_f64_e64 s[0:1], 0, v[68:69]
	v_mov_b32_e32 v88, v68
	v_mov_b32_e32 v90, v70
	v_cndmask_b32_e64 v89, v69, v89, s[0:1]
	v_cndmask_b32_e32 v91, v71, v91, vcc
	v_add_f64 v[88:89], v[88:89], v[90:91]
	s_waitcnt lgkmcnt(0)
	v_xor_b32_e32 v91, 0x80000000, v85
	v_xor_b32_e32 v93, 0x80000000, v87
	v_cmp_gt_f64_e32 vcc, 0, v[86:87]
	v_cmp_gt_f64_e64 s[0:1], 0, v[84:85]
	v_mov_b32_e32 v90, v84
	v_mov_b32_e32 v92, v86
	v_cndmask_b32_e64 v91, v85, v91, s[0:1]
	v_cndmask_b32_e32 v93, v87, v93, vcc
	v_add_f64 v[90:91], v[90:91], v[92:93]
	v_mov_b32_e32 v94, s16
	s_add_i32 s16, s16, 1
	v_cmp_lt_f64_e32 vcc, v[88:89], v[90:91]
	v_add_u32_e32 v79, 16, v79
	s_cmp_lg_u32 s20, s16
	v_cndmask_b32_e32 v69, v69, v85, vcc
	v_cndmask_b32_e32 v68, v68, v84, vcc
	;; [unrolled: 1-line block ×5, first 2 shown]
	s_cbranch_scc1 .LBB32_232
.LBB32_233:
	s_waitcnt lgkmcnt(0)
	v_cmp_eq_f64_e32 vcc, 0, v[68:69]
	v_cmp_eq_f64_e64 s[0:1], 0, v[70:71]
	s_and_b64 s[0:1], vcc, s[0:1]
	s_and_saveexec_b64 s[16:17], s[0:1]
	s_xor_b64 s[0:1], exec, s[16:17]
; %bb.234:
	v_cmp_ne_u32_e32 vcc, 0, v83
	s_nop 1
	v_cndmask_b32_e32 v83, 12, v83, vcc
; %bb.235:
	s_andn2_saveexec_b64 s[0:1], s[0:1]
	s_cbranch_execz .LBB32_241
; %bb.236:
	v_cmp_ngt_f64_e64 s[16:17], |v[68:69]|, |v[70:71]|
	s_and_saveexec_b64 s[18:19], s[16:17]
	s_xor_b64 s[16:17], exec, s[18:19]
	s_cbranch_execz .LBB32_238
; %bb.237:
	v_div_scale_f64 v[84:85], s[18:19], v[70:71], v[70:71], v[68:69]
	v_rcp_f64_e32 v[86:87], v[84:85]
	v_div_scale_f64 v[88:89], vcc, v[68:69], v[70:71], v[68:69]
	v_fma_f64 v[90:91], -v[84:85], v[86:87], 1.0
	v_fmac_f64_e32 v[86:87], v[86:87], v[90:91]
	v_fma_f64 v[90:91], -v[84:85], v[86:87], 1.0
	v_fmac_f64_e32 v[86:87], v[86:87], v[90:91]
	v_mul_f64 v[90:91], v[88:89], v[86:87]
	v_fma_f64 v[84:85], -v[84:85], v[90:91], v[88:89]
	v_div_fmas_f64 v[84:85], v[84:85], v[86:87], v[90:91]
	v_div_fixup_f64 v[84:85], v[84:85], v[70:71], v[68:69]
	v_fmac_f64_e32 v[70:71], v[68:69], v[84:85]
	v_div_scale_f64 v[68:69], s[18:19], v[70:71], v[70:71], 1.0
	v_rcp_f64_e32 v[86:87], v[68:69]
	s_nop 0
	v_fma_f64 v[88:89], -v[68:69], v[86:87], 1.0
	v_fmac_f64_e32 v[86:87], v[86:87], v[88:89]
	v_fma_f64 v[88:89], -v[68:69], v[86:87], 1.0
	v_fmac_f64_e32 v[86:87], v[86:87], v[88:89]
	v_div_scale_f64 v[88:89], vcc, 1.0, v[70:71], 1.0
	v_mul_f64 v[90:91], v[88:89], v[86:87]
	v_fma_f64 v[68:69], -v[68:69], v[90:91], v[88:89]
	s_nop 1
	v_div_fmas_f64 v[68:69], v[68:69], v[86:87], v[90:91]
	v_div_fixup_f64 v[70:71], v[68:69], v[70:71], 1.0
	v_mul_f64 v[68:69], v[84:85], v[70:71]
	v_xor_b32_e32 v71, 0x80000000, v71
.LBB32_238:
	s_andn2_saveexec_b64 s[16:17], s[16:17]
	s_cbranch_execz .LBB32_240
; %bb.239:
	v_div_scale_f64 v[84:85], s[18:19], v[68:69], v[68:69], v[70:71]
	v_rcp_f64_e32 v[86:87], v[84:85]
	v_div_scale_f64 v[88:89], vcc, v[70:71], v[68:69], v[70:71]
	v_fma_f64 v[90:91], -v[84:85], v[86:87], 1.0
	v_fmac_f64_e32 v[86:87], v[86:87], v[90:91]
	v_fma_f64 v[90:91], -v[84:85], v[86:87], 1.0
	v_fmac_f64_e32 v[86:87], v[86:87], v[90:91]
	v_mul_f64 v[90:91], v[88:89], v[86:87]
	v_fma_f64 v[84:85], -v[84:85], v[90:91], v[88:89]
	v_div_fmas_f64 v[84:85], v[84:85], v[86:87], v[90:91]
	v_div_fixup_f64 v[84:85], v[84:85], v[68:69], v[70:71]
	v_fmac_f64_e32 v[68:69], v[70:71], v[84:85]
	v_div_scale_f64 v[70:71], s[18:19], v[68:69], v[68:69], 1.0
	v_rcp_f64_e32 v[86:87], v[70:71]
	s_nop 0
	v_fma_f64 v[88:89], -v[70:71], v[86:87], 1.0
	v_fmac_f64_e32 v[86:87], v[86:87], v[88:89]
	v_fma_f64 v[88:89], -v[70:71], v[86:87], 1.0
	v_fmac_f64_e32 v[86:87], v[86:87], v[88:89]
	v_div_scale_f64 v[88:89], vcc, 1.0, v[68:69], 1.0
	v_mul_f64 v[90:91], v[88:89], v[86:87]
	v_fma_f64 v[70:71], -v[70:71], v[90:91], v[88:89]
	s_nop 1
	v_div_fmas_f64 v[70:71], v[70:71], v[86:87], v[90:91]
	v_div_fixup_f64 v[68:69], v[70:71], v[68:69], 1.0
	v_mul_f64 v[70:71], v[84:85], -v[68:69]
.LBB32_240:
	s_or_b64 exec, exec, s[16:17]
.LBB32_241:
	s_or_b64 exec, exec, s[0:1]
	v_cmp_ne_u32_e32 vcc, v81, v78
	s_and_saveexec_b64 s[0:1], vcc
	s_xor_b64 s[0:1], exec, s[0:1]
	s_cbranch_execz .LBB32_247
; %bb.242:
	v_cmp_eq_u32_e32 vcc, 11, v81
	s_and_saveexec_b64 s[16:17], vcc
	s_cbranch_execz .LBB32_246
; %bb.243:
	v_cmp_ne_u32_e32 vcc, 11, v78
	s_xor_b64 s[18:19], s[14:15], -1
	s_and_b64 s[22:23], s[18:19], vcc
	s_and_saveexec_b64 s[18:19], s[22:23]
	s_cbranch_execz .LBB32_245
; %bb.244:
	v_ashrrev_i32_e32 v79, 31, v78
	v_lshl_add_u64 v[84:85], v[78:79], 2, v[76:77]
	global_load_dword v79, v[84:85], off
	global_load_dword v81, v[76:77], off offset:44
	s_waitcnt vmcnt(1)
	global_store_dword v[76:77], v79, off offset:44
	s_waitcnt vmcnt(1)
	global_store_dword v[84:85], v81, off
.LBB32_245:
	s_or_b64 exec, exec, s[18:19]
	v_mov_b32_e32 v81, v78
	v_mov_b32_e32 v82, v78
.LBB32_246:
	s_or_b64 exec, exec, s[16:17]
.LBB32_247:
	s_andn2_saveexec_b64 s[0:1], s[0:1]
	s_cbranch_execz .LBB32_249
; %bb.248:
	v_mov_b32_e32 v81, 11
	s_waitcnt vmcnt(4)
	ds_write2_b64 v80, v[12:13], v[14:15] offset0:24 offset1:25
	s_waitcnt vmcnt(3)
	ds_write2_b64 v80, v[8:9], v[10:11] offset0:26 offset1:27
	;; [unrolled: 2-line block ×5, first 2 shown]
.LBB32_249:
	s_or_b64 exec, exec, s[0:1]
	v_cmp_lt_i32_e32 vcc, 11, v81
	s_waitcnt lgkmcnt(0)
	s_barrier
	s_and_saveexec_b64 s[0:1], vcc
	s_cbranch_execz .LBB32_251
; %bb.250:
	ds_read2_b64 v[84:87], v80 offset0:24 offset1:25
	v_mul_f64 v[78:79], v[68:69], v[18:19]
	v_fmac_f64_e32 v[78:79], v[70:71], v[16:17]
	v_mul_f64 v[18:19], v[70:71], v[18:19]
	v_fma_f64 v[16:17], v[68:69], v[16:17], -v[18:19]
	ds_read2_b64 v[68:71], v80 offset0:26 offset1:27
	s_waitcnt lgkmcnt(1)
	v_mul_f64 v[18:19], v[86:87], v[78:79]
	v_fma_f64 v[18:19], v[84:85], v[16:17], -v[18:19]
	v_mul_f64 v[84:85], v[84:85], v[78:79]
	v_fmac_f64_e32 v[84:85], v[86:87], v[16:17]
	s_waitcnt vmcnt(4)
	v_add_f64 v[14:15], v[14:15], -v[84:85]
	ds_read2_b64 v[84:87], v80 offset0:28 offset1:29
	v_add_f64 v[12:13], v[12:13], -v[18:19]
	s_waitcnt lgkmcnt(1)
	v_mul_f64 v[18:19], v[70:71], v[78:79]
	v_fma_f64 v[18:19], v[68:69], v[16:17], -v[18:19]
	v_mul_f64 v[68:69], v[68:69], v[78:79]
	v_fmac_f64_e32 v[68:69], v[70:71], v[16:17]
	s_waitcnt vmcnt(3)
	v_add_f64 v[8:9], v[8:9], -v[18:19]
	v_add_f64 v[10:11], v[10:11], -v[68:69]
	ds_read2_b64 v[68:71], v80 offset0:30 offset1:31
	s_waitcnt lgkmcnt(1)
	v_mul_f64 v[18:19], v[86:87], v[78:79]
	v_fma_f64 v[18:19], v[84:85], v[16:17], -v[18:19]
	v_mul_f64 v[84:85], v[84:85], v[78:79]
	v_fmac_f64_e32 v[84:85], v[86:87], v[16:17]
	s_waitcnt vmcnt(2)
	v_add_f64 v[6:7], v[6:7], -v[84:85]
	ds_read2_b64 v[84:87], v80 offset0:32 offset1:33
	v_add_f64 v[4:5], v[4:5], -v[18:19]
	s_waitcnt lgkmcnt(1)
	v_mul_f64 v[18:19], v[70:71], v[78:79]
	v_fma_f64 v[18:19], v[68:69], v[16:17], -v[18:19]
	v_mul_f64 v[68:69], v[68:69], v[78:79]
	v_fmac_f64_e32 v[68:69], v[70:71], v[16:17]
	s_waitcnt vmcnt(1)
	v_add_f64 v[0:1], v[0:1], -v[18:19]
	v_add_f64 v[2:3], v[2:3], -v[68:69]
	s_waitcnt lgkmcnt(0)
	v_mul_f64 v[18:19], v[86:87], v[78:79]
	v_mul_f64 v[68:69], v[84:85], v[78:79]
	v_fma_f64 v[18:19], v[84:85], v[16:17], -v[18:19]
	v_fmac_f64_e32 v[68:69], v[86:87], v[16:17]
	s_waitcnt vmcnt(0)
	v_add_f64 v[64:65], v[64:65], -v[18:19]
	v_add_f64 v[66:67], v[66:67], -v[68:69]
	v_mov_b64_e32 v[18:19], v[78:79]
.LBB32_251:
	s_or_b64 exec, exec, s[0:1]
	v_lshl_add_u32 v68, v81, 4, v80
	s_barrier
	s_waitcnt vmcnt(4)
	ds_write2_b64 v68, v[12:13], v[14:15] offset1:1
	s_waitcnt lgkmcnt(0)
	s_barrier
	ds_read2_b64 v[68:71], v80 offset0:24 offset1:25
	s_cmp_lt_i32 s20, 14
	v_mov_b32_e32 v78, 12
	s_cbranch_scc1 .LBB32_254
; %bb.252:
	v_add_u32_e32 v79, 0xd0, v80
	s_mov_b32 s16, 13
	v_mov_b32_e32 v78, 12
.LBB32_253:                             ; =>This Inner Loop Header: Depth=1
	ds_read2_b64 v[84:87], v79 offset1:1
	s_waitcnt lgkmcnt(1)
	v_xor_b32_e32 v89, 0x80000000, v69
	v_xor_b32_e32 v91, 0x80000000, v71
	v_cmp_gt_f64_e32 vcc, 0, v[70:71]
	v_cmp_gt_f64_e64 s[0:1], 0, v[68:69]
	v_mov_b32_e32 v88, v68
	v_mov_b32_e32 v90, v70
	v_cndmask_b32_e64 v89, v69, v89, s[0:1]
	v_cndmask_b32_e32 v91, v71, v91, vcc
	v_add_f64 v[88:89], v[88:89], v[90:91]
	s_waitcnt lgkmcnt(0)
	v_xor_b32_e32 v91, 0x80000000, v85
	v_xor_b32_e32 v93, 0x80000000, v87
	v_cmp_gt_f64_e32 vcc, 0, v[86:87]
	v_cmp_gt_f64_e64 s[0:1], 0, v[84:85]
	v_mov_b32_e32 v90, v84
	v_mov_b32_e32 v92, v86
	v_cndmask_b32_e64 v91, v85, v91, s[0:1]
	v_cndmask_b32_e32 v93, v87, v93, vcc
	v_add_f64 v[90:91], v[90:91], v[92:93]
	v_mov_b32_e32 v94, s16
	s_add_i32 s16, s16, 1
	v_cmp_lt_f64_e32 vcc, v[88:89], v[90:91]
	v_add_u32_e32 v79, 16, v79
	s_cmp_lg_u32 s20, s16
	v_cndmask_b32_e32 v69, v69, v85, vcc
	v_cndmask_b32_e32 v68, v68, v84, vcc
	;; [unrolled: 1-line block ×5, first 2 shown]
	s_cbranch_scc1 .LBB32_253
.LBB32_254:
	s_waitcnt lgkmcnt(0)
	v_cmp_eq_f64_e32 vcc, 0, v[68:69]
	v_cmp_eq_f64_e64 s[0:1], 0, v[70:71]
	s_and_b64 s[0:1], vcc, s[0:1]
	s_and_saveexec_b64 s[16:17], s[0:1]
	s_xor_b64 s[0:1], exec, s[16:17]
; %bb.255:
	v_cmp_ne_u32_e32 vcc, 0, v83
	s_nop 1
	v_cndmask_b32_e32 v83, 13, v83, vcc
; %bb.256:
	s_andn2_saveexec_b64 s[0:1], s[0:1]
	s_cbranch_execz .LBB32_262
; %bb.257:
	v_cmp_ngt_f64_e64 s[16:17], |v[68:69]|, |v[70:71]|
	s_and_saveexec_b64 s[18:19], s[16:17]
	s_xor_b64 s[16:17], exec, s[18:19]
	s_cbranch_execz .LBB32_259
; %bb.258:
	v_div_scale_f64 v[84:85], s[18:19], v[70:71], v[70:71], v[68:69]
	v_rcp_f64_e32 v[86:87], v[84:85]
	v_div_scale_f64 v[88:89], vcc, v[68:69], v[70:71], v[68:69]
	v_fma_f64 v[90:91], -v[84:85], v[86:87], 1.0
	v_fmac_f64_e32 v[86:87], v[86:87], v[90:91]
	v_fma_f64 v[90:91], -v[84:85], v[86:87], 1.0
	v_fmac_f64_e32 v[86:87], v[86:87], v[90:91]
	v_mul_f64 v[90:91], v[88:89], v[86:87]
	v_fma_f64 v[84:85], -v[84:85], v[90:91], v[88:89]
	v_div_fmas_f64 v[84:85], v[84:85], v[86:87], v[90:91]
	v_div_fixup_f64 v[84:85], v[84:85], v[70:71], v[68:69]
	v_fmac_f64_e32 v[70:71], v[68:69], v[84:85]
	v_div_scale_f64 v[68:69], s[18:19], v[70:71], v[70:71], 1.0
	v_rcp_f64_e32 v[86:87], v[68:69]
	s_nop 0
	v_fma_f64 v[88:89], -v[68:69], v[86:87], 1.0
	v_fmac_f64_e32 v[86:87], v[86:87], v[88:89]
	v_fma_f64 v[88:89], -v[68:69], v[86:87], 1.0
	v_fmac_f64_e32 v[86:87], v[86:87], v[88:89]
	v_div_scale_f64 v[88:89], vcc, 1.0, v[70:71], 1.0
	v_mul_f64 v[90:91], v[88:89], v[86:87]
	v_fma_f64 v[68:69], -v[68:69], v[90:91], v[88:89]
	s_nop 1
	v_div_fmas_f64 v[68:69], v[68:69], v[86:87], v[90:91]
	v_div_fixup_f64 v[70:71], v[68:69], v[70:71], 1.0
	v_mul_f64 v[68:69], v[84:85], v[70:71]
	v_xor_b32_e32 v71, 0x80000000, v71
.LBB32_259:
	s_andn2_saveexec_b64 s[16:17], s[16:17]
	s_cbranch_execz .LBB32_261
; %bb.260:
	v_div_scale_f64 v[84:85], s[18:19], v[68:69], v[68:69], v[70:71]
	v_rcp_f64_e32 v[86:87], v[84:85]
	v_div_scale_f64 v[88:89], vcc, v[70:71], v[68:69], v[70:71]
	v_fma_f64 v[90:91], -v[84:85], v[86:87], 1.0
	v_fmac_f64_e32 v[86:87], v[86:87], v[90:91]
	v_fma_f64 v[90:91], -v[84:85], v[86:87], 1.0
	v_fmac_f64_e32 v[86:87], v[86:87], v[90:91]
	v_mul_f64 v[90:91], v[88:89], v[86:87]
	v_fma_f64 v[84:85], -v[84:85], v[90:91], v[88:89]
	v_div_fmas_f64 v[84:85], v[84:85], v[86:87], v[90:91]
	v_div_fixup_f64 v[84:85], v[84:85], v[68:69], v[70:71]
	v_fmac_f64_e32 v[68:69], v[70:71], v[84:85]
	v_div_scale_f64 v[70:71], s[18:19], v[68:69], v[68:69], 1.0
	v_rcp_f64_e32 v[86:87], v[70:71]
	s_nop 0
	v_fma_f64 v[88:89], -v[70:71], v[86:87], 1.0
	v_fmac_f64_e32 v[86:87], v[86:87], v[88:89]
	v_fma_f64 v[88:89], -v[70:71], v[86:87], 1.0
	v_fmac_f64_e32 v[86:87], v[86:87], v[88:89]
	v_div_scale_f64 v[88:89], vcc, 1.0, v[68:69], 1.0
	v_mul_f64 v[90:91], v[88:89], v[86:87]
	v_fma_f64 v[70:71], -v[70:71], v[90:91], v[88:89]
	s_nop 1
	v_div_fmas_f64 v[70:71], v[70:71], v[86:87], v[90:91]
	v_div_fixup_f64 v[68:69], v[70:71], v[68:69], 1.0
	v_mul_f64 v[70:71], v[84:85], -v[68:69]
.LBB32_261:
	s_or_b64 exec, exec, s[16:17]
.LBB32_262:
	s_or_b64 exec, exec, s[0:1]
	v_cmp_ne_u32_e32 vcc, v81, v78
	s_and_saveexec_b64 s[0:1], vcc
	s_xor_b64 s[0:1], exec, s[0:1]
	s_cbranch_execz .LBB32_268
; %bb.263:
	v_cmp_eq_u32_e32 vcc, 12, v81
	s_and_saveexec_b64 s[16:17], vcc
	s_cbranch_execz .LBB32_267
; %bb.264:
	v_cmp_ne_u32_e32 vcc, 12, v78
	s_xor_b64 s[18:19], s[14:15], -1
	s_and_b64 s[22:23], s[18:19], vcc
	s_and_saveexec_b64 s[18:19], s[22:23]
	s_cbranch_execz .LBB32_266
; %bb.265:
	v_ashrrev_i32_e32 v79, 31, v78
	v_lshl_add_u64 v[84:85], v[78:79], 2, v[76:77]
	global_load_dword v79, v[84:85], off
	global_load_dword v81, v[76:77], off offset:48
	s_waitcnt vmcnt(1)
	global_store_dword v[76:77], v79, off offset:48
	s_waitcnt vmcnt(1)
	global_store_dword v[84:85], v81, off
.LBB32_266:
	s_or_b64 exec, exec, s[18:19]
	v_mov_b32_e32 v81, v78
	v_mov_b32_e32 v82, v78
.LBB32_267:
	s_or_b64 exec, exec, s[16:17]
.LBB32_268:
	s_andn2_saveexec_b64 s[0:1], s[0:1]
	s_cbranch_execz .LBB32_270
; %bb.269:
	v_mov_b32_e32 v81, 12
	s_waitcnt vmcnt(3)
	ds_write2_b64 v80, v[8:9], v[10:11] offset0:26 offset1:27
	s_waitcnt vmcnt(2)
	ds_write2_b64 v80, v[4:5], v[6:7] offset0:28 offset1:29
	;; [unrolled: 2-line block ×4, first 2 shown]
.LBB32_270:
	s_or_b64 exec, exec, s[0:1]
	v_cmp_lt_i32_e32 vcc, 12, v81
	s_waitcnt lgkmcnt(0)
	s_barrier
	s_and_saveexec_b64 s[0:1], vcc
	s_cbranch_execz .LBB32_272
; %bb.271:
	ds_read2_b64 v[84:87], v80 offset0:26 offset1:27
	v_mul_f64 v[78:79], v[68:69], v[14:15]
	v_mul_f64 v[14:15], v[70:71], v[14:15]
	v_fmac_f64_e32 v[78:79], v[70:71], v[12:13]
	v_fma_f64 v[12:13], v[68:69], v[12:13], -v[14:15]
	ds_read2_b64 v[68:71], v80 offset0:28 offset1:29
	s_waitcnt lgkmcnt(1)
	v_mul_f64 v[14:15], v[86:87], v[78:79]
	v_fma_f64 v[14:15], v[84:85], v[12:13], -v[14:15]
	v_mul_f64 v[84:85], v[84:85], v[78:79]
	v_fmac_f64_e32 v[84:85], v[86:87], v[12:13]
	s_waitcnt vmcnt(3)
	v_add_f64 v[8:9], v[8:9], -v[14:15]
	s_waitcnt lgkmcnt(0)
	v_mul_f64 v[14:15], v[70:71], v[78:79]
	v_add_f64 v[10:11], v[10:11], -v[84:85]
	v_fma_f64 v[14:15], v[68:69], v[12:13], -v[14:15]
	v_mul_f64 v[68:69], v[68:69], v[78:79]
	ds_read2_b64 v[84:87], v80 offset0:30 offset1:31
	v_fmac_f64_e32 v[68:69], v[70:71], v[12:13]
	s_waitcnt vmcnt(2)
	v_add_f64 v[6:7], v[6:7], -v[68:69]
	ds_read2_b64 v[68:71], v80 offset0:32 offset1:33
	v_add_f64 v[4:5], v[4:5], -v[14:15]
	s_waitcnt lgkmcnt(1)
	v_mul_f64 v[14:15], v[86:87], v[78:79]
	v_fma_f64 v[14:15], v[84:85], v[12:13], -v[14:15]
	s_waitcnt vmcnt(1)
	v_add_f64 v[0:1], v[0:1], -v[14:15]
	s_waitcnt lgkmcnt(0)
	v_mul_f64 v[14:15], v[70:71], v[78:79]
	v_mul_f64 v[84:85], v[84:85], v[78:79]
	v_fma_f64 v[14:15], v[68:69], v[12:13], -v[14:15]
	v_mul_f64 v[68:69], v[68:69], v[78:79]
	v_fmac_f64_e32 v[84:85], v[86:87], v[12:13]
	v_fmac_f64_e32 v[68:69], v[70:71], v[12:13]
	v_add_f64 v[2:3], v[2:3], -v[84:85]
	s_waitcnt vmcnt(0)
	v_add_f64 v[64:65], v[64:65], -v[14:15]
	v_add_f64 v[66:67], v[66:67], -v[68:69]
	v_mov_b64_e32 v[14:15], v[78:79]
.LBB32_272:
	s_or_b64 exec, exec, s[0:1]
	v_lshl_add_u32 v68, v81, 4, v80
	s_barrier
	s_waitcnt vmcnt(3)
	ds_write2_b64 v68, v[8:9], v[10:11] offset1:1
	s_waitcnt lgkmcnt(0)
	s_barrier
	ds_read2_b64 v[68:71], v80 offset0:26 offset1:27
	s_cmp_lt_i32 s20, 15
	v_mov_b32_e32 v78, 13
	s_cbranch_scc1 .LBB32_275
; %bb.273:
	v_add_u32_e32 v79, 0xe0, v80
	s_mov_b32 s16, 14
	v_mov_b32_e32 v78, 13
.LBB32_274:                             ; =>This Inner Loop Header: Depth=1
	ds_read2_b64 v[84:87], v79 offset1:1
	s_waitcnt lgkmcnt(1)
	v_xor_b32_e32 v89, 0x80000000, v69
	v_xor_b32_e32 v91, 0x80000000, v71
	v_cmp_gt_f64_e32 vcc, 0, v[70:71]
	v_cmp_gt_f64_e64 s[0:1], 0, v[68:69]
	v_mov_b32_e32 v88, v68
	v_mov_b32_e32 v90, v70
	v_cndmask_b32_e64 v89, v69, v89, s[0:1]
	v_cndmask_b32_e32 v91, v71, v91, vcc
	v_add_f64 v[88:89], v[88:89], v[90:91]
	s_waitcnt lgkmcnt(0)
	v_xor_b32_e32 v91, 0x80000000, v85
	v_xor_b32_e32 v93, 0x80000000, v87
	v_cmp_gt_f64_e32 vcc, 0, v[86:87]
	v_cmp_gt_f64_e64 s[0:1], 0, v[84:85]
	v_mov_b32_e32 v90, v84
	v_mov_b32_e32 v92, v86
	v_cndmask_b32_e64 v91, v85, v91, s[0:1]
	v_cndmask_b32_e32 v93, v87, v93, vcc
	v_add_f64 v[90:91], v[90:91], v[92:93]
	v_mov_b32_e32 v94, s16
	s_add_i32 s16, s16, 1
	v_cmp_lt_f64_e32 vcc, v[88:89], v[90:91]
	v_add_u32_e32 v79, 16, v79
	s_cmp_lg_u32 s20, s16
	v_cndmask_b32_e32 v69, v69, v85, vcc
	v_cndmask_b32_e32 v68, v68, v84, vcc
	;; [unrolled: 1-line block ×5, first 2 shown]
	s_cbranch_scc1 .LBB32_274
.LBB32_275:
	s_waitcnt lgkmcnt(0)
	v_cmp_eq_f64_e32 vcc, 0, v[68:69]
	v_cmp_eq_f64_e64 s[0:1], 0, v[70:71]
	s_and_b64 s[0:1], vcc, s[0:1]
	s_and_saveexec_b64 s[16:17], s[0:1]
	s_xor_b64 s[0:1], exec, s[16:17]
; %bb.276:
	v_cmp_ne_u32_e32 vcc, 0, v83
	s_nop 1
	v_cndmask_b32_e32 v83, 14, v83, vcc
; %bb.277:
	s_andn2_saveexec_b64 s[0:1], s[0:1]
	s_cbranch_execz .LBB32_283
; %bb.278:
	v_cmp_ngt_f64_e64 s[16:17], |v[68:69]|, |v[70:71]|
	s_and_saveexec_b64 s[18:19], s[16:17]
	s_xor_b64 s[16:17], exec, s[18:19]
	s_cbranch_execz .LBB32_280
; %bb.279:
	v_div_scale_f64 v[84:85], s[18:19], v[70:71], v[70:71], v[68:69]
	v_rcp_f64_e32 v[86:87], v[84:85]
	v_div_scale_f64 v[88:89], vcc, v[68:69], v[70:71], v[68:69]
	v_fma_f64 v[90:91], -v[84:85], v[86:87], 1.0
	v_fmac_f64_e32 v[86:87], v[86:87], v[90:91]
	v_fma_f64 v[90:91], -v[84:85], v[86:87], 1.0
	v_fmac_f64_e32 v[86:87], v[86:87], v[90:91]
	v_mul_f64 v[90:91], v[88:89], v[86:87]
	v_fma_f64 v[84:85], -v[84:85], v[90:91], v[88:89]
	v_div_fmas_f64 v[84:85], v[84:85], v[86:87], v[90:91]
	v_div_fixup_f64 v[84:85], v[84:85], v[70:71], v[68:69]
	v_fmac_f64_e32 v[70:71], v[68:69], v[84:85]
	v_div_scale_f64 v[68:69], s[18:19], v[70:71], v[70:71], 1.0
	v_rcp_f64_e32 v[86:87], v[68:69]
	s_nop 0
	v_fma_f64 v[88:89], -v[68:69], v[86:87], 1.0
	v_fmac_f64_e32 v[86:87], v[86:87], v[88:89]
	v_fma_f64 v[88:89], -v[68:69], v[86:87], 1.0
	v_fmac_f64_e32 v[86:87], v[86:87], v[88:89]
	v_div_scale_f64 v[88:89], vcc, 1.0, v[70:71], 1.0
	v_mul_f64 v[90:91], v[88:89], v[86:87]
	v_fma_f64 v[68:69], -v[68:69], v[90:91], v[88:89]
	s_nop 1
	v_div_fmas_f64 v[68:69], v[68:69], v[86:87], v[90:91]
	v_div_fixup_f64 v[70:71], v[68:69], v[70:71], 1.0
	v_mul_f64 v[68:69], v[84:85], v[70:71]
	v_xor_b32_e32 v71, 0x80000000, v71
.LBB32_280:
	s_andn2_saveexec_b64 s[16:17], s[16:17]
	s_cbranch_execz .LBB32_282
; %bb.281:
	v_div_scale_f64 v[84:85], s[18:19], v[68:69], v[68:69], v[70:71]
	v_rcp_f64_e32 v[86:87], v[84:85]
	v_div_scale_f64 v[88:89], vcc, v[70:71], v[68:69], v[70:71]
	v_fma_f64 v[90:91], -v[84:85], v[86:87], 1.0
	v_fmac_f64_e32 v[86:87], v[86:87], v[90:91]
	v_fma_f64 v[90:91], -v[84:85], v[86:87], 1.0
	v_fmac_f64_e32 v[86:87], v[86:87], v[90:91]
	v_mul_f64 v[90:91], v[88:89], v[86:87]
	v_fma_f64 v[84:85], -v[84:85], v[90:91], v[88:89]
	v_div_fmas_f64 v[84:85], v[84:85], v[86:87], v[90:91]
	v_div_fixup_f64 v[84:85], v[84:85], v[68:69], v[70:71]
	v_fmac_f64_e32 v[68:69], v[70:71], v[84:85]
	v_div_scale_f64 v[70:71], s[18:19], v[68:69], v[68:69], 1.0
	v_rcp_f64_e32 v[86:87], v[70:71]
	s_nop 0
	v_fma_f64 v[88:89], -v[70:71], v[86:87], 1.0
	v_fmac_f64_e32 v[86:87], v[86:87], v[88:89]
	v_fma_f64 v[88:89], -v[70:71], v[86:87], 1.0
	v_fmac_f64_e32 v[86:87], v[86:87], v[88:89]
	v_div_scale_f64 v[88:89], vcc, 1.0, v[68:69], 1.0
	v_mul_f64 v[90:91], v[88:89], v[86:87]
	v_fma_f64 v[70:71], -v[70:71], v[90:91], v[88:89]
	s_nop 1
	v_div_fmas_f64 v[70:71], v[70:71], v[86:87], v[90:91]
	v_div_fixup_f64 v[68:69], v[70:71], v[68:69], 1.0
	v_mul_f64 v[70:71], v[84:85], -v[68:69]
.LBB32_282:
	s_or_b64 exec, exec, s[16:17]
.LBB32_283:
	s_or_b64 exec, exec, s[0:1]
	v_cmp_ne_u32_e32 vcc, v81, v78
	s_and_saveexec_b64 s[0:1], vcc
	s_xor_b64 s[0:1], exec, s[0:1]
	s_cbranch_execz .LBB32_289
; %bb.284:
	v_cmp_eq_u32_e32 vcc, 13, v81
	s_and_saveexec_b64 s[16:17], vcc
	s_cbranch_execz .LBB32_288
; %bb.285:
	v_cmp_ne_u32_e32 vcc, 13, v78
	s_xor_b64 s[18:19], s[14:15], -1
	s_and_b64 s[22:23], s[18:19], vcc
	s_and_saveexec_b64 s[18:19], s[22:23]
	s_cbranch_execz .LBB32_287
; %bb.286:
	v_ashrrev_i32_e32 v79, 31, v78
	v_lshl_add_u64 v[84:85], v[78:79], 2, v[76:77]
	global_load_dword v79, v[84:85], off
	global_load_dword v81, v[76:77], off offset:52
	s_waitcnt vmcnt(1)
	global_store_dword v[76:77], v79, off offset:52
	s_waitcnt vmcnt(1)
	global_store_dword v[84:85], v81, off
.LBB32_287:
	s_or_b64 exec, exec, s[18:19]
	v_mov_b32_e32 v81, v78
	v_mov_b32_e32 v82, v78
.LBB32_288:
	s_or_b64 exec, exec, s[16:17]
.LBB32_289:
	s_andn2_saveexec_b64 s[0:1], s[0:1]
	s_cbranch_execz .LBB32_291
; %bb.290:
	v_mov_b32_e32 v81, 13
	s_waitcnt vmcnt(2)
	ds_write2_b64 v80, v[4:5], v[6:7] offset0:28 offset1:29
	s_waitcnt vmcnt(1)
	ds_write2_b64 v80, v[0:1], v[2:3] offset0:30 offset1:31
	;; [unrolled: 2-line block ×3, first 2 shown]
.LBB32_291:
	s_or_b64 exec, exec, s[0:1]
	v_cmp_lt_i32_e32 vcc, 13, v81
	s_waitcnt lgkmcnt(0)
	s_barrier
	s_and_saveexec_b64 s[0:1], vcc
	s_cbranch_execz .LBB32_293
; %bb.292:
	ds_read2_b64 v[84:87], v80 offset0:28 offset1:29
	v_mul_f64 v[78:79], v[68:69], v[10:11]
	v_fmac_f64_e32 v[78:79], v[70:71], v[8:9]
	v_mul_f64 v[10:11], v[70:71], v[10:11]
	v_fma_f64 v[8:9], v[68:69], v[8:9], -v[10:11]
	ds_read2_b64 v[68:71], v80 offset0:30 offset1:31
	s_waitcnt lgkmcnt(1)
	v_mul_f64 v[10:11], v[86:87], v[78:79]
	v_fma_f64 v[10:11], v[84:85], v[8:9], -v[10:11]
	v_mul_f64 v[84:85], v[84:85], v[78:79]
	v_fmac_f64_e32 v[84:85], v[86:87], v[8:9]
	s_waitcnt vmcnt(2)
	v_add_f64 v[6:7], v[6:7], -v[84:85]
	ds_read2_b64 v[84:87], v80 offset0:32 offset1:33
	v_add_f64 v[4:5], v[4:5], -v[10:11]
	s_waitcnt lgkmcnt(1)
	v_mul_f64 v[10:11], v[70:71], v[78:79]
	v_fma_f64 v[10:11], v[68:69], v[8:9], -v[10:11]
	v_mul_f64 v[68:69], v[68:69], v[78:79]
	v_fmac_f64_e32 v[68:69], v[70:71], v[8:9]
	s_waitcnt vmcnt(1)
	v_add_f64 v[0:1], v[0:1], -v[10:11]
	v_add_f64 v[2:3], v[2:3], -v[68:69]
	s_waitcnt lgkmcnt(0)
	v_mul_f64 v[10:11], v[86:87], v[78:79]
	v_mul_f64 v[68:69], v[84:85], v[78:79]
	v_fma_f64 v[10:11], v[84:85], v[8:9], -v[10:11]
	v_fmac_f64_e32 v[68:69], v[86:87], v[8:9]
	s_waitcnt vmcnt(0)
	v_add_f64 v[64:65], v[64:65], -v[10:11]
	v_add_f64 v[66:67], v[66:67], -v[68:69]
	v_mov_b64_e32 v[10:11], v[78:79]
.LBB32_293:
	s_or_b64 exec, exec, s[0:1]
	v_lshl_add_u32 v68, v81, 4, v80
	s_barrier
	s_waitcnt vmcnt(2)
	ds_write2_b64 v68, v[4:5], v[6:7] offset1:1
	s_waitcnt lgkmcnt(0)
	s_barrier
	ds_read2_b64 v[68:71], v80 offset0:28 offset1:29
	s_cmp_lt_i32 s20, 16
	v_mov_b32_e32 v78, 14
	s_cbranch_scc1 .LBB32_296
; %bb.294:
	v_add_u32_e32 v79, 0xf0, v80
	s_mov_b32 s16, 15
	v_mov_b32_e32 v78, 14
.LBB32_295:                             ; =>This Inner Loop Header: Depth=1
	ds_read2_b64 v[84:87], v79 offset1:1
	s_waitcnt lgkmcnt(1)
	v_xor_b32_e32 v89, 0x80000000, v69
	v_xor_b32_e32 v91, 0x80000000, v71
	v_cmp_gt_f64_e32 vcc, 0, v[70:71]
	v_cmp_gt_f64_e64 s[0:1], 0, v[68:69]
	v_mov_b32_e32 v88, v68
	v_mov_b32_e32 v90, v70
	v_cndmask_b32_e64 v89, v69, v89, s[0:1]
	v_cndmask_b32_e32 v91, v71, v91, vcc
	v_add_f64 v[88:89], v[88:89], v[90:91]
	s_waitcnt lgkmcnt(0)
	v_xor_b32_e32 v91, 0x80000000, v85
	v_xor_b32_e32 v93, 0x80000000, v87
	v_cmp_gt_f64_e32 vcc, 0, v[86:87]
	v_cmp_gt_f64_e64 s[0:1], 0, v[84:85]
	v_mov_b32_e32 v90, v84
	v_mov_b32_e32 v92, v86
	v_cndmask_b32_e64 v91, v85, v91, s[0:1]
	v_cndmask_b32_e32 v93, v87, v93, vcc
	v_add_f64 v[90:91], v[90:91], v[92:93]
	v_mov_b32_e32 v94, s16
	s_add_i32 s16, s16, 1
	v_cmp_lt_f64_e32 vcc, v[88:89], v[90:91]
	v_add_u32_e32 v79, 16, v79
	s_cmp_lg_u32 s20, s16
	v_cndmask_b32_e32 v69, v69, v85, vcc
	v_cndmask_b32_e32 v68, v68, v84, vcc
	;; [unrolled: 1-line block ×5, first 2 shown]
	s_cbranch_scc1 .LBB32_295
.LBB32_296:
	s_waitcnt lgkmcnt(0)
	v_cmp_eq_f64_e32 vcc, 0, v[68:69]
	v_cmp_eq_f64_e64 s[0:1], 0, v[70:71]
	s_and_b64 s[0:1], vcc, s[0:1]
	s_and_saveexec_b64 s[16:17], s[0:1]
	s_xor_b64 s[0:1], exec, s[16:17]
; %bb.297:
	v_cmp_ne_u32_e32 vcc, 0, v83
	s_nop 1
	v_cndmask_b32_e32 v83, 15, v83, vcc
; %bb.298:
	s_andn2_saveexec_b64 s[0:1], s[0:1]
	s_cbranch_execz .LBB32_304
; %bb.299:
	v_cmp_ngt_f64_e64 s[16:17], |v[68:69]|, |v[70:71]|
	s_and_saveexec_b64 s[18:19], s[16:17]
	s_xor_b64 s[16:17], exec, s[18:19]
	s_cbranch_execz .LBB32_301
; %bb.300:
	v_div_scale_f64 v[84:85], s[18:19], v[70:71], v[70:71], v[68:69]
	v_rcp_f64_e32 v[86:87], v[84:85]
	v_div_scale_f64 v[88:89], vcc, v[68:69], v[70:71], v[68:69]
	v_fma_f64 v[90:91], -v[84:85], v[86:87], 1.0
	v_fmac_f64_e32 v[86:87], v[86:87], v[90:91]
	v_fma_f64 v[90:91], -v[84:85], v[86:87], 1.0
	v_fmac_f64_e32 v[86:87], v[86:87], v[90:91]
	v_mul_f64 v[90:91], v[88:89], v[86:87]
	v_fma_f64 v[84:85], -v[84:85], v[90:91], v[88:89]
	v_div_fmas_f64 v[84:85], v[84:85], v[86:87], v[90:91]
	v_div_fixup_f64 v[84:85], v[84:85], v[70:71], v[68:69]
	v_fmac_f64_e32 v[70:71], v[68:69], v[84:85]
	v_div_scale_f64 v[68:69], s[18:19], v[70:71], v[70:71], 1.0
	v_rcp_f64_e32 v[86:87], v[68:69]
	s_nop 0
	v_fma_f64 v[88:89], -v[68:69], v[86:87], 1.0
	v_fmac_f64_e32 v[86:87], v[86:87], v[88:89]
	v_fma_f64 v[88:89], -v[68:69], v[86:87], 1.0
	v_fmac_f64_e32 v[86:87], v[86:87], v[88:89]
	v_div_scale_f64 v[88:89], vcc, 1.0, v[70:71], 1.0
	v_mul_f64 v[90:91], v[88:89], v[86:87]
	v_fma_f64 v[68:69], -v[68:69], v[90:91], v[88:89]
	s_nop 1
	v_div_fmas_f64 v[68:69], v[68:69], v[86:87], v[90:91]
	v_div_fixup_f64 v[70:71], v[68:69], v[70:71], 1.0
	v_mul_f64 v[68:69], v[84:85], v[70:71]
	v_xor_b32_e32 v71, 0x80000000, v71
.LBB32_301:
	s_andn2_saveexec_b64 s[16:17], s[16:17]
	s_cbranch_execz .LBB32_303
; %bb.302:
	v_div_scale_f64 v[84:85], s[18:19], v[68:69], v[68:69], v[70:71]
	v_rcp_f64_e32 v[86:87], v[84:85]
	v_div_scale_f64 v[88:89], vcc, v[70:71], v[68:69], v[70:71]
	v_fma_f64 v[90:91], -v[84:85], v[86:87], 1.0
	v_fmac_f64_e32 v[86:87], v[86:87], v[90:91]
	v_fma_f64 v[90:91], -v[84:85], v[86:87], 1.0
	v_fmac_f64_e32 v[86:87], v[86:87], v[90:91]
	v_mul_f64 v[90:91], v[88:89], v[86:87]
	v_fma_f64 v[84:85], -v[84:85], v[90:91], v[88:89]
	v_div_fmas_f64 v[84:85], v[84:85], v[86:87], v[90:91]
	v_div_fixup_f64 v[84:85], v[84:85], v[68:69], v[70:71]
	v_fmac_f64_e32 v[68:69], v[70:71], v[84:85]
	v_div_scale_f64 v[70:71], s[18:19], v[68:69], v[68:69], 1.0
	v_rcp_f64_e32 v[86:87], v[70:71]
	s_nop 0
	v_fma_f64 v[88:89], -v[70:71], v[86:87], 1.0
	v_fmac_f64_e32 v[86:87], v[86:87], v[88:89]
	v_fma_f64 v[88:89], -v[70:71], v[86:87], 1.0
	v_fmac_f64_e32 v[86:87], v[86:87], v[88:89]
	v_div_scale_f64 v[88:89], vcc, 1.0, v[68:69], 1.0
	v_mul_f64 v[90:91], v[88:89], v[86:87]
	v_fma_f64 v[70:71], -v[70:71], v[90:91], v[88:89]
	s_nop 1
	v_div_fmas_f64 v[70:71], v[70:71], v[86:87], v[90:91]
	v_div_fixup_f64 v[68:69], v[70:71], v[68:69], 1.0
	v_mul_f64 v[70:71], v[84:85], -v[68:69]
.LBB32_303:
	s_or_b64 exec, exec, s[16:17]
.LBB32_304:
	s_or_b64 exec, exec, s[0:1]
	v_cmp_ne_u32_e32 vcc, v81, v78
	s_and_saveexec_b64 s[0:1], vcc
	s_xor_b64 s[0:1], exec, s[0:1]
	s_cbranch_execz .LBB32_310
; %bb.305:
	v_cmp_eq_u32_e32 vcc, 14, v81
	s_and_saveexec_b64 s[16:17], vcc
	s_cbranch_execz .LBB32_309
; %bb.306:
	v_cmp_ne_u32_e32 vcc, 14, v78
	s_xor_b64 s[18:19], s[14:15], -1
	s_and_b64 s[22:23], s[18:19], vcc
	s_and_saveexec_b64 s[18:19], s[22:23]
	s_cbranch_execz .LBB32_308
; %bb.307:
	v_ashrrev_i32_e32 v79, 31, v78
	v_lshl_add_u64 v[84:85], v[78:79], 2, v[76:77]
	global_load_dword v79, v[84:85], off
	global_load_dword v81, v[76:77], off offset:56
	s_waitcnt vmcnt(1)
	global_store_dword v[76:77], v79, off offset:56
	s_waitcnt vmcnt(1)
	global_store_dword v[84:85], v81, off
.LBB32_308:
	s_or_b64 exec, exec, s[18:19]
	v_mov_b32_e32 v81, v78
	v_mov_b32_e32 v82, v78
.LBB32_309:
	s_or_b64 exec, exec, s[16:17]
.LBB32_310:
	s_andn2_saveexec_b64 s[0:1], s[0:1]
	s_cbranch_execz .LBB32_312
; %bb.311:
	v_mov_b32_e32 v81, 14
	s_waitcnt vmcnt(1)
	ds_write2_b64 v80, v[0:1], v[2:3] offset0:30 offset1:31
	s_waitcnt vmcnt(0)
	ds_write2_b64 v80, v[64:65], v[66:67] offset0:32 offset1:33
.LBB32_312:
	s_or_b64 exec, exec, s[0:1]
	v_cmp_lt_i32_e32 vcc, 14, v81
	s_waitcnt lgkmcnt(0)
	s_barrier
	s_and_saveexec_b64 s[0:1], vcc
	s_cbranch_execz .LBB32_314
; %bb.313:
	ds_read2_b64 v[84:87], v80 offset0:30 offset1:31
	v_mul_f64 v[78:79], v[68:69], v[6:7]
	v_mul_f64 v[6:7], v[70:71], v[6:7]
	v_fmac_f64_e32 v[78:79], v[70:71], v[4:5]
	v_fma_f64 v[4:5], v[68:69], v[4:5], -v[6:7]
	ds_read2_b64 v[68:71], v80 offset0:32 offset1:33
	s_waitcnt lgkmcnt(1)
	v_mul_f64 v[6:7], v[86:87], v[78:79]
	v_fma_f64 v[6:7], v[84:85], v[4:5], -v[6:7]
	s_waitcnt vmcnt(1)
	v_add_f64 v[0:1], v[0:1], -v[6:7]
	v_mul_f64 v[84:85], v[84:85], v[78:79]
	s_waitcnt lgkmcnt(0)
	v_mul_f64 v[6:7], v[70:71], v[78:79]
	v_fma_f64 v[6:7], v[68:69], v[4:5], -v[6:7]
	v_mul_f64 v[68:69], v[68:69], v[78:79]
	v_fmac_f64_e32 v[84:85], v[86:87], v[4:5]
	v_fmac_f64_e32 v[68:69], v[70:71], v[4:5]
	v_add_f64 v[2:3], v[2:3], -v[84:85]
	s_waitcnt vmcnt(0)
	v_add_f64 v[64:65], v[64:65], -v[6:7]
	v_add_f64 v[66:67], v[66:67], -v[68:69]
	v_mov_b64_e32 v[6:7], v[78:79]
.LBB32_314:
	s_or_b64 exec, exec, s[0:1]
	v_lshl_add_u32 v68, v81, 4, v80
	s_barrier
	s_waitcnt vmcnt(1)
	ds_write2_b64 v68, v[0:1], v[2:3] offset1:1
	s_waitcnt lgkmcnt(0)
	s_barrier
	ds_read2_b64 v[68:71], v80 offset0:30 offset1:31
	s_cmp_lt_i32 s20, 17
	v_mov_b32_e32 v78, 15
	s_cbranch_scc1 .LBB32_317
; %bb.315:
	v_add_u32_e32 v79, 0x100, v80
	s_mov_b32 s16, 16
	v_mov_b32_e32 v78, 15
.LBB32_316:                             ; =>This Inner Loop Header: Depth=1
	ds_read2_b64 v[84:87], v79 offset1:1
	s_waitcnt lgkmcnt(1)
	v_xor_b32_e32 v89, 0x80000000, v69
	v_xor_b32_e32 v91, 0x80000000, v71
	v_cmp_gt_f64_e32 vcc, 0, v[70:71]
	v_cmp_gt_f64_e64 s[0:1], 0, v[68:69]
	v_mov_b32_e32 v88, v68
	v_mov_b32_e32 v90, v70
	v_cndmask_b32_e64 v89, v69, v89, s[0:1]
	v_cndmask_b32_e32 v91, v71, v91, vcc
	v_add_f64 v[88:89], v[88:89], v[90:91]
	s_waitcnt lgkmcnt(0)
	v_xor_b32_e32 v91, 0x80000000, v85
	v_xor_b32_e32 v93, 0x80000000, v87
	v_cmp_gt_f64_e32 vcc, 0, v[86:87]
	v_cmp_gt_f64_e64 s[0:1], 0, v[84:85]
	v_mov_b32_e32 v90, v84
	v_mov_b32_e32 v92, v86
	v_cndmask_b32_e64 v91, v85, v91, s[0:1]
	v_cndmask_b32_e32 v93, v87, v93, vcc
	v_add_f64 v[90:91], v[90:91], v[92:93]
	v_mov_b32_e32 v94, s16
	s_add_i32 s16, s16, 1
	v_cmp_lt_f64_e32 vcc, v[88:89], v[90:91]
	v_add_u32_e32 v79, 16, v79
	s_cmp_lg_u32 s20, s16
	v_cndmask_b32_e32 v69, v69, v85, vcc
	v_cndmask_b32_e32 v68, v68, v84, vcc
	;; [unrolled: 1-line block ×5, first 2 shown]
	s_cbranch_scc1 .LBB32_316
.LBB32_317:
	s_waitcnt lgkmcnt(0)
	v_cmp_eq_f64_e32 vcc, 0, v[68:69]
	v_cmp_eq_f64_e64 s[0:1], 0, v[70:71]
	s_and_b64 s[0:1], vcc, s[0:1]
	s_and_saveexec_b64 s[16:17], s[0:1]
	s_xor_b64 s[0:1], exec, s[16:17]
; %bb.318:
	v_cmp_ne_u32_e32 vcc, 0, v83
	s_nop 1
	v_cndmask_b32_e32 v83, 16, v83, vcc
; %bb.319:
	s_andn2_saveexec_b64 s[0:1], s[0:1]
	s_cbranch_execz .LBB32_325
; %bb.320:
	v_cmp_ngt_f64_e64 s[16:17], |v[68:69]|, |v[70:71]|
	s_and_saveexec_b64 s[18:19], s[16:17]
	s_xor_b64 s[16:17], exec, s[18:19]
	s_cbranch_execz .LBB32_322
; %bb.321:
	v_div_scale_f64 v[84:85], s[18:19], v[70:71], v[70:71], v[68:69]
	v_rcp_f64_e32 v[86:87], v[84:85]
	v_div_scale_f64 v[88:89], vcc, v[68:69], v[70:71], v[68:69]
	v_fma_f64 v[90:91], -v[84:85], v[86:87], 1.0
	v_fmac_f64_e32 v[86:87], v[86:87], v[90:91]
	v_fma_f64 v[90:91], -v[84:85], v[86:87], 1.0
	v_fmac_f64_e32 v[86:87], v[86:87], v[90:91]
	v_mul_f64 v[90:91], v[88:89], v[86:87]
	v_fma_f64 v[84:85], -v[84:85], v[90:91], v[88:89]
	v_div_fmas_f64 v[84:85], v[84:85], v[86:87], v[90:91]
	v_div_fixup_f64 v[84:85], v[84:85], v[70:71], v[68:69]
	v_fmac_f64_e32 v[70:71], v[68:69], v[84:85]
	v_div_scale_f64 v[68:69], s[18:19], v[70:71], v[70:71], 1.0
	v_rcp_f64_e32 v[86:87], v[68:69]
	s_nop 0
	v_fma_f64 v[88:89], -v[68:69], v[86:87], 1.0
	v_fmac_f64_e32 v[86:87], v[86:87], v[88:89]
	v_fma_f64 v[88:89], -v[68:69], v[86:87], 1.0
	v_fmac_f64_e32 v[86:87], v[86:87], v[88:89]
	v_div_scale_f64 v[88:89], vcc, 1.0, v[70:71], 1.0
	v_mul_f64 v[90:91], v[88:89], v[86:87]
	v_fma_f64 v[68:69], -v[68:69], v[90:91], v[88:89]
	s_nop 1
	v_div_fmas_f64 v[68:69], v[68:69], v[86:87], v[90:91]
	v_div_fixup_f64 v[70:71], v[68:69], v[70:71], 1.0
	v_mul_f64 v[68:69], v[84:85], v[70:71]
	v_xor_b32_e32 v71, 0x80000000, v71
.LBB32_322:
	s_andn2_saveexec_b64 s[16:17], s[16:17]
	s_cbranch_execz .LBB32_324
; %bb.323:
	v_div_scale_f64 v[84:85], s[18:19], v[68:69], v[68:69], v[70:71]
	v_rcp_f64_e32 v[86:87], v[84:85]
	v_div_scale_f64 v[88:89], vcc, v[70:71], v[68:69], v[70:71]
	v_fma_f64 v[90:91], -v[84:85], v[86:87], 1.0
	v_fmac_f64_e32 v[86:87], v[86:87], v[90:91]
	v_fma_f64 v[90:91], -v[84:85], v[86:87], 1.0
	v_fmac_f64_e32 v[86:87], v[86:87], v[90:91]
	v_mul_f64 v[90:91], v[88:89], v[86:87]
	v_fma_f64 v[84:85], -v[84:85], v[90:91], v[88:89]
	v_div_fmas_f64 v[84:85], v[84:85], v[86:87], v[90:91]
	v_div_fixup_f64 v[84:85], v[84:85], v[68:69], v[70:71]
	v_fmac_f64_e32 v[68:69], v[70:71], v[84:85]
	v_div_scale_f64 v[70:71], s[18:19], v[68:69], v[68:69], 1.0
	v_rcp_f64_e32 v[86:87], v[70:71]
	s_nop 0
	v_fma_f64 v[88:89], -v[70:71], v[86:87], 1.0
	v_fmac_f64_e32 v[86:87], v[86:87], v[88:89]
	v_fma_f64 v[88:89], -v[70:71], v[86:87], 1.0
	v_fmac_f64_e32 v[86:87], v[86:87], v[88:89]
	v_div_scale_f64 v[88:89], vcc, 1.0, v[68:69], 1.0
	v_mul_f64 v[90:91], v[88:89], v[86:87]
	v_fma_f64 v[70:71], -v[70:71], v[90:91], v[88:89]
	s_nop 1
	v_div_fmas_f64 v[70:71], v[70:71], v[86:87], v[90:91]
	v_div_fixup_f64 v[68:69], v[70:71], v[68:69], 1.0
	v_mul_f64 v[70:71], v[84:85], -v[68:69]
.LBB32_324:
	s_or_b64 exec, exec, s[16:17]
.LBB32_325:
	s_or_b64 exec, exec, s[0:1]
	v_cmp_ne_u32_e32 vcc, v81, v78
	s_and_saveexec_b64 s[0:1], vcc
	s_xor_b64 s[0:1], exec, s[0:1]
	s_cbranch_execz .LBB32_331
; %bb.326:
	v_cmp_eq_u32_e32 vcc, 15, v81
	s_and_saveexec_b64 s[16:17], vcc
	s_cbranch_execz .LBB32_330
; %bb.327:
	v_cmp_ne_u32_e32 vcc, 15, v78
	s_xor_b64 s[18:19], s[14:15], -1
	s_and_b64 s[22:23], s[18:19], vcc
	s_and_saveexec_b64 s[18:19], s[22:23]
	s_cbranch_execz .LBB32_329
; %bb.328:
	v_ashrrev_i32_e32 v79, 31, v78
	v_lshl_add_u64 v[84:85], v[78:79], 2, v[76:77]
	global_load_dword v79, v[84:85], off
	global_load_dword v81, v[76:77], off offset:60
	s_waitcnt vmcnt(1)
	global_store_dword v[76:77], v79, off offset:60
	s_waitcnt vmcnt(1)
	global_store_dword v[84:85], v81, off
.LBB32_329:
	s_or_b64 exec, exec, s[18:19]
	v_mov_b32_e32 v81, v78
	v_mov_b32_e32 v82, v78
.LBB32_330:
	s_or_b64 exec, exec, s[16:17]
.LBB32_331:
	s_andn2_saveexec_b64 s[0:1], s[0:1]
	s_cbranch_execz .LBB32_333
; %bb.332:
	v_mov_b32_e32 v81, 15
	s_waitcnt vmcnt(0)
	ds_write2_b64 v80, v[64:65], v[66:67] offset0:32 offset1:33
.LBB32_333:
	s_or_b64 exec, exec, s[0:1]
	v_cmp_lt_i32_e32 vcc, 15, v81
	s_waitcnt lgkmcnt(0)
	s_barrier
	s_and_saveexec_b64 s[0:1], vcc
	s_cbranch_execz .LBB32_335
; %bb.334:
	ds_read2_b64 v[84:87], v80 offset0:32 offset1:33
	v_mul_f64 v[78:79], v[68:69], v[2:3]
	v_mul_f64 v[2:3], v[70:71], v[2:3]
	v_fmac_f64_e32 v[78:79], v[70:71], v[0:1]
	v_fma_f64 v[0:1], v[68:69], v[0:1], -v[2:3]
	s_waitcnt lgkmcnt(0)
	v_mul_f64 v[2:3], v[86:87], v[78:79]
	v_mul_f64 v[68:69], v[84:85], v[78:79]
	v_fma_f64 v[2:3], v[84:85], v[0:1], -v[2:3]
	v_fmac_f64_e32 v[68:69], v[86:87], v[0:1]
	s_waitcnt vmcnt(0)
	v_add_f64 v[64:65], v[64:65], -v[2:3]
	v_add_f64 v[66:67], v[66:67], -v[68:69]
	v_mov_b64_e32 v[2:3], v[78:79]
.LBB32_335:
	s_or_b64 exec, exec, s[0:1]
	v_lshl_add_u32 v68, v81, 4, v80
	s_barrier
	s_waitcnt vmcnt(0)
	ds_write2_b64 v68, v[64:65], v[66:67] offset1:1
	s_waitcnt lgkmcnt(0)
	s_barrier
	ds_read2_b64 v[68:71], v80 offset0:32 offset1:33
	s_cmp_lt_i32 s20, 18
	v_mov_b32_e32 v78, 16
	s_cbranch_scc1 .LBB32_338
; %bb.336:
	v_add_u32_e32 v79, 0x110, v80
	s_mov_b32 s16, 17
	v_mov_b32_e32 v78, 16
.LBB32_337:                             ; =>This Inner Loop Header: Depth=1
	ds_read2_b64 v[84:87], v79 offset1:1
	s_waitcnt lgkmcnt(1)
	v_xor_b32_e32 v80, 0x80000000, v69
	v_xor_b32_e32 v91, 0x80000000, v71
	v_cmp_gt_f64_e32 vcc, 0, v[70:71]
	v_cmp_gt_f64_e64 s[0:1], 0, v[68:69]
	v_mov_b32_e32 v88, v68
	v_mov_b32_e32 v90, v70
	v_cndmask_b32_e64 v89, v69, v80, s[0:1]
	v_cndmask_b32_e32 v91, v71, v91, vcc
	s_waitcnt lgkmcnt(0)
	v_xor_b32_e32 v80, 0x80000000, v85
	v_xor_b32_e32 v93, 0x80000000, v87
	v_cmp_gt_f64_e32 vcc, 0, v[86:87]
	v_cmp_gt_f64_e64 s[0:1], 0, v[84:85]
	v_add_f64 v[88:89], v[88:89], v[90:91]
	v_mov_b32_e32 v90, v84
	v_mov_b32_e32 v92, v86
	v_cndmask_b32_e64 v91, v85, v80, s[0:1]
	v_cndmask_b32_e32 v93, v87, v93, vcc
	v_add_f64 v[90:91], v[90:91], v[92:93]
	v_mov_b32_e32 v94, s16
	s_add_i32 s16, s16, 1
	v_cmp_lt_f64_e32 vcc, v[88:89], v[90:91]
	v_add_u32_e32 v79, 16, v79
	s_cmp_lg_u32 s20, s16
	v_cndmask_b32_e32 v69, v69, v85, vcc
	v_cndmask_b32_e32 v68, v68, v84, vcc
	;; [unrolled: 1-line block ×5, first 2 shown]
	s_cbranch_scc1 .LBB32_337
.LBB32_338:
	s_waitcnt lgkmcnt(0)
	v_cmp_eq_f64_e32 vcc, 0, v[68:69]
	v_cmp_eq_f64_e64 s[0:1], 0, v[70:71]
	s_and_b64 s[0:1], vcc, s[0:1]
	s_and_saveexec_b64 s[16:17], s[0:1]
	s_xor_b64 s[0:1], exec, s[16:17]
; %bb.339:
	v_cmp_ne_u32_e32 vcc, 0, v83
	s_nop 1
	v_cndmask_b32_e32 v83, 17, v83, vcc
; %bb.340:
	s_andn2_saveexec_b64 s[0:1], s[0:1]
	s_cbranch_execz .LBB32_346
; %bb.341:
	v_cmp_ngt_f64_e64 s[16:17], |v[68:69]|, |v[70:71]|
	s_and_saveexec_b64 s[18:19], s[16:17]
	s_xor_b64 s[16:17], exec, s[18:19]
	s_cbranch_execz .LBB32_343
; %bb.342:
	v_div_scale_f64 v[84:85], s[18:19], v[70:71], v[70:71], v[68:69]
	v_rcp_f64_e32 v[86:87], v[84:85]
	v_div_scale_f64 v[88:89], vcc, v[68:69], v[70:71], v[68:69]
	v_fma_f64 v[90:91], -v[84:85], v[86:87], 1.0
	v_fmac_f64_e32 v[86:87], v[86:87], v[90:91]
	v_fma_f64 v[90:91], -v[84:85], v[86:87], 1.0
	v_fmac_f64_e32 v[86:87], v[86:87], v[90:91]
	v_mul_f64 v[90:91], v[88:89], v[86:87]
	v_fma_f64 v[84:85], -v[84:85], v[90:91], v[88:89]
	v_div_fmas_f64 v[84:85], v[84:85], v[86:87], v[90:91]
	v_div_fixup_f64 v[84:85], v[84:85], v[70:71], v[68:69]
	v_fmac_f64_e32 v[70:71], v[68:69], v[84:85]
	v_div_scale_f64 v[68:69], s[18:19], v[70:71], v[70:71], 1.0
	v_rcp_f64_e32 v[86:87], v[68:69]
	s_nop 0
	v_fma_f64 v[88:89], -v[68:69], v[86:87], 1.0
	v_fmac_f64_e32 v[86:87], v[86:87], v[88:89]
	v_fma_f64 v[88:89], -v[68:69], v[86:87], 1.0
	v_fmac_f64_e32 v[86:87], v[86:87], v[88:89]
	v_div_scale_f64 v[88:89], vcc, 1.0, v[70:71], 1.0
	v_mul_f64 v[90:91], v[88:89], v[86:87]
	v_fma_f64 v[68:69], -v[68:69], v[90:91], v[88:89]
	s_nop 1
	v_div_fmas_f64 v[68:69], v[68:69], v[86:87], v[90:91]
	v_div_fixup_f64 v[70:71], v[68:69], v[70:71], 1.0
	v_mul_f64 v[68:69], v[84:85], v[70:71]
	v_xor_b32_e32 v71, 0x80000000, v71
.LBB32_343:
	s_andn2_saveexec_b64 s[16:17], s[16:17]
	s_cbranch_execz .LBB32_345
; %bb.344:
	v_div_scale_f64 v[84:85], s[18:19], v[68:69], v[68:69], v[70:71]
	v_rcp_f64_e32 v[86:87], v[84:85]
	v_div_scale_f64 v[88:89], vcc, v[70:71], v[68:69], v[70:71]
	v_fma_f64 v[90:91], -v[84:85], v[86:87], 1.0
	v_fmac_f64_e32 v[86:87], v[86:87], v[90:91]
	v_fma_f64 v[90:91], -v[84:85], v[86:87], 1.0
	v_fmac_f64_e32 v[86:87], v[86:87], v[90:91]
	v_mul_f64 v[90:91], v[88:89], v[86:87]
	v_fma_f64 v[84:85], -v[84:85], v[90:91], v[88:89]
	v_div_fmas_f64 v[84:85], v[84:85], v[86:87], v[90:91]
	v_div_fixup_f64 v[84:85], v[84:85], v[68:69], v[70:71]
	v_fmac_f64_e32 v[68:69], v[70:71], v[84:85]
	v_div_scale_f64 v[70:71], s[18:19], v[68:69], v[68:69], 1.0
	v_rcp_f64_e32 v[86:87], v[70:71]
	s_nop 0
	v_fma_f64 v[88:89], -v[70:71], v[86:87], 1.0
	v_fmac_f64_e32 v[86:87], v[86:87], v[88:89]
	v_fma_f64 v[88:89], -v[70:71], v[86:87], 1.0
	v_fmac_f64_e32 v[86:87], v[86:87], v[88:89]
	v_div_scale_f64 v[88:89], vcc, 1.0, v[68:69], 1.0
	v_mul_f64 v[90:91], v[88:89], v[86:87]
	v_fma_f64 v[70:71], -v[70:71], v[90:91], v[88:89]
	s_nop 1
	v_div_fmas_f64 v[70:71], v[70:71], v[86:87], v[90:91]
	v_div_fixup_f64 v[68:69], v[70:71], v[68:69], 1.0
	v_mul_f64 v[70:71], v[84:85], -v[68:69]
.LBB32_345:
	s_or_b64 exec, exec, s[16:17]
.LBB32_346:
	s_or_b64 exec, exec, s[0:1]
	v_cmp_ne_u32_e32 vcc, v81, v78
	v_mov_b32_e32 v80, 16
	s_and_saveexec_b64 s[0:1], vcc
	s_cbranch_execz .LBB32_352
; %bb.347:
	v_cmp_eq_u32_e32 vcc, 16, v81
	s_and_saveexec_b64 s[16:17], vcc
	s_cbranch_execz .LBB32_351
; %bb.348:
	v_cmp_ne_u32_e32 vcc, 16, v78
	s_xor_b64 s[14:15], s[14:15], -1
	s_and_b64 s[18:19], s[14:15], vcc
	s_and_saveexec_b64 s[14:15], s[18:19]
	s_cbranch_execz .LBB32_350
; %bb.349:
	v_ashrrev_i32_e32 v79, 31, v78
	v_lshl_add_u64 v[80:81], v[78:79], 2, v[76:77]
	global_load_dword v79, v[80:81], off
	global_load_dword v82, v[76:77], off offset:64
	s_waitcnt vmcnt(1)
	global_store_dword v[76:77], v79, off offset:64
	s_waitcnt vmcnt(1)
	global_store_dword v[80:81], v82, off
.LBB32_350:
	s_or_b64 exec, exec, s[14:15]
	v_mov_b32_e32 v81, v78
	v_mov_b32_e32 v82, v78
.LBB32_351:
	s_or_b64 exec, exec, s[16:17]
	v_mov_b32_e32 v80, v81
.LBB32_352:
	s_or_b64 exec, exec, s[0:1]
	v_cmp_gt_i32_e32 vcc, 17, v80
	v_ashrrev_i32_e32 v81, 31, v80
	s_barrier
	s_barrier
	s_and_saveexec_b64 s[0:1], vcc
	s_cbranch_execz .LBB32_354
; %bb.353:
	v_mov_b32_e32 v76, s6
	v_mov_b32_e32 v77, s7
	v_mul_lo_u32 v84, s11, v74
	v_mul_lo_u32 v85, s10, v75
	v_mad_u64_u32 v[78:79], s[6:7], s10, v74, 0
	v_add3_u32 v79, v79, v85, v84
	v_lshl_add_u64 v[76:77], v[78:79], 2, v[76:77]
	v_lshl_add_u64 v[76:77], s[8:9], 2, v[76:77]
	;; [unrolled: 1-line block ×3, first 2 shown]
	v_add3_u32 v78, v82, s13, 1
	global_store_dword v[76:77], v78, off
.LBB32_354:
	s_or_b64 exec, exec, s[0:1]
	v_cmp_eq_u32_e32 vcc, 0, v80
	s_and_saveexec_b64 s[6:7], vcc
	s_cbranch_execz .LBB32_357
; %bb.355:
	v_mov_b32_e32 v76, s4
	v_mov_b32_e32 v77, s5
	v_lshl_add_u64 v[74:75], v[74:75], 2, v[76:77]
	global_load_dword v76, v[74:75], off
	v_cmp_ne_u32_e64 s[0:1], 0, v83
	s_waitcnt vmcnt(0)
	v_cmp_eq_u32_e32 vcc, 0, v76
	s_and_b64 s[0:1], vcc, s[0:1]
	s_and_b64 exec, exec, s[0:1]
	s_cbranch_execz .LBB32_357
; %bb.356:
	v_add_u32_e32 v76, s13, v83
	global_store_dword v[74:75], v76, off
.LBB32_357:
	s_or_b64 exec, exec, s[6:7]
	v_mul_f64 v[74:75], v[70:71], v[66:67]
	v_fma_f64 v[74:75], v[68:69], v[64:65], -v[74:75]
	v_mul_f64 v[68:69], v[68:69], v[66:67]
	v_fmac_f64_e32 v[68:69], v[70:71], v[64:65]
	v_cmp_lt_i32_e32 vcc, 16, v80
	s_nop 1
	v_cndmask_b32_e32 v67, v67, v69, vcc
	v_cndmask_b32_e32 v66, v66, v68, vcc
	v_lshl_add_u64 v[68:69], v[80:81], 4, v[72:73]
	global_store_dwordx4 v[68:69], v[60:63], off
	v_cndmask_b32_e32 v65, v65, v75, vcc
	v_cndmask_b32_e32 v64, v64, v74, vcc
	v_lshl_add_u64 v[60:61], s[2:3], 4, v[68:69]
	global_store_dwordx4 v[60:61], v[56:59], off
	s_nop 1
	v_add_u32_e32 v56, s12, v80
	v_ashrrev_i32_e32 v57, 31, v56
	v_lshl_add_u64 v[58:59], v[56:57], 4, v[72:73]
	global_store_dwordx4 v[58:59], v[52:55], off
	s_nop 1
	v_add_u32_e32 v52, s2, v56
	v_ashrrev_i32_e32 v53, 31, v52
	;; [unrolled: 5-line block ×3, first 2 shown]
	v_lshl_add_u64 v[42:43], v[40:41], 4, v[72:73]
	v_add_u32_e32 v40, s2, v40
	v_ashrrev_i32_e32 v41, 31, v40
	global_store_dwordx4 v[42:43], v[48:51], off
	v_lshl_add_u64 v[42:43], v[40:41], 4, v[72:73]
	global_store_dwordx4 v[42:43], v[36:39], off
	s_nop 1
	v_add_u32_e32 v36, s2, v40
	v_ashrrev_i32_e32 v37, 31, v36
	v_lshl_add_u64 v[38:39], v[36:37], 4, v[72:73]
	global_store_dwordx4 v[38:39], v[32:35], off
	s_nop 1
	v_add_u32_e32 v32, s2, v36
	v_ashrrev_i32_e32 v33, 31, v32
	;; [unrolled: 5-line block ×3, first 2 shown]
	v_lshl_add_u64 v[26:27], v[24:25], 4, v[72:73]
	v_add_u32_e32 v24, s2, v24
	v_ashrrev_i32_e32 v25, 31, v24
	global_store_dwordx4 v[26:27], v[44:47], off
	v_lshl_add_u64 v[26:27], v[24:25], 4, v[72:73]
	v_add_u32_e32 v24, s2, v24
	v_ashrrev_i32_e32 v25, 31, v24
	global_store_dwordx4 v[26:27], v[28:31], off
	v_lshl_add_u64 v[26:27], v[24:25], 4, v[72:73]
	global_store_dwordx4 v[26:27], v[20:23], off
	s_nop 1
	v_add_u32_e32 v20, s2, v24
	v_ashrrev_i32_e32 v21, 31, v20
	v_lshl_add_u64 v[22:23], v[20:21], 4, v[72:73]
	global_store_dwordx4 v[22:23], v[16:19], off
	s_nop 1
	v_add_u32_e32 v16, s2, v20
	v_ashrrev_i32_e32 v17, 31, v16
	;; [unrolled: 5-line block ×6, first 2 shown]
	v_lshl_add_u64 v[0:1], v[0:1], 4, v[72:73]
	global_store_dwordx4 v[0:1], v[64:67], off
.LBB32_358:
	s_endpgm
	.section	.rodata,"a",@progbits
	.p2align	6, 0x0
	.amdhsa_kernel _ZN9rocsolver6v33100L18getf2_small_kernelILi17E19rocblas_complex_numIdEiiPS3_EEvT1_T3_lS5_lPS5_llPT2_S5_S5_S7_l
		.amdhsa_group_segment_fixed_size 0
		.amdhsa_private_segment_fixed_size 0
		.amdhsa_kernarg_size 352
		.amdhsa_user_sgpr_count 2
		.amdhsa_user_sgpr_dispatch_ptr 0
		.amdhsa_user_sgpr_queue_ptr 0
		.amdhsa_user_sgpr_kernarg_segment_ptr 1
		.amdhsa_user_sgpr_dispatch_id 0
		.amdhsa_user_sgpr_kernarg_preload_length 0
		.amdhsa_user_sgpr_kernarg_preload_offset 0
		.amdhsa_user_sgpr_private_segment_size 0
		.amdhsa_uses_dynamic_stack 0
		.amdhsa_enable_private_segment 0
		.amdhsa_system_sgpr_workgroup_id_x 1
		.amdhsa_system_sgpr_workgroup_id_y 1
		.amdhsa_system_sgpr_workgroup_id_z 0
		.amdhsa_system_sgpr_workgroup_info 0
		.amdhsa_system_vgpr_workitem_id 1
		.amdhsa_next_free_vgpr 98
		.amdhsa_next_free_sgpr 24
		.amdhsa_accum_offset 100
		.amdhsa_reserve_vcc 1
		.amdhsa_float_round_mode_32 0
		.amdhsa_float_round_mode_16_64 0
		.amdhsa_float_denorm_mode_32 3
		.amdhsa_float_denorm_mode_16_64 3
		.amdhsa_dx10_clamp 1
		.amdhsa_ieee_mode 1
		.amdhsa_fp16_overflow 0
		.amdhsa_tg_split 0
		.amdhsa_exception_fp_ieee_invalid_op 0
		.amdhsa_exception_fp_denorm_src 0
		.amdhsa_exception_fp_ieee_div_zero 0
		.amdhsa_exception_fp_ieee_overflow 0
		.amdhsa_exception_fp_ieee_underflow 0
		.amdhsa_exception_fp_ieee_inexact 0
		.amdhsa_exception_int_div_zero 0
	.end_amdhsa_kernel
	.section	.text._ZN9rocsolver6v33100L18getf2_small_kernelILi17E19rocblas_complex_numIdEiiPS3_EEvT1_T3_lS5_lPS5_llPT2_S5_S5_S7_l,"axG",@progbits,_ZN9rocsolver6v33100L18getf2_small_kernelILi17E19rocblas_complex_numIdEiiPS3_EEvT1_T3_lS5_lPS5_llPT2_S5_S5_S7_l,comdat
.Lfunc_end32:
	.size	_ZN9rocsolver6v33100L18getf2_small_kernelILi17E19rocblas_complex_numIdEiiPS3_EEvT1_T3_lS5_lPS5_llPT2_S5_S5_S7_l, .Lfunc_end32-_ZN9rocsolver6v33100L18getf2_small_kernelILi17E19rocblas_complex_numIdEiiPS3_EEvT1_T3_lS5_lPS5_llPT2_S5_S5_S7_l
                                        ; -- End function
	.set _ZN9rocsolver6v33100L18getf2_small_kernelILi17E19rocblas_complex_numIdEiiPS3_EEvT1_T3_lS5_lPS5_llPT2_S5_S5_S7_l.num_vgpr, 98
	.set _ZN9rocsolver6v33100L18getf2_small_kernelILi17E19rocblas_complex_numIdEiiPS3_EEvT1_T3_lS5_lPS5_llPT2_S5_S5_S7_l.num_agpr, 0
	.set _ZN9rocsolver6v33100L18getf2_small_kernelILi17E19rocblas_complex_numIdEiiPS3_EEvT1_T3_lS5_lPS5_llPT2_S5_S5_S7_l.numbered_sgpr, 24
	.set _ZN9rocsolver6v33100L18getf2_small_kernelILi17E19rocblas_complex_numIdEiiPS3_EEvT1_T3_lS5_lPS5_llPT2_S5_S5_S7_l.num_named_barrier, 0
	.set _ZN9rocsolver6v33100L18getf2_small_kernelILi17E19rocblas_complex_numIdEiiPS3_EEvT1_T3_lS5_lPS5_llPT2_S5_S5_S7_l.private_seg_size, 0
	.set _ZN9rocsolver6v33100L18getf2_small_kernelILi17E19rocblas_complex_numIdEiiPS3_EEvT1_T3_lS5_lPS5_llPT2_S5_S5_S7_l.uses_vcc, 1
	.set _ZN9rocsolver6v33100L18getf2_small_kernelILi17E19rocblas_complex_numIdEiiPS3_EEvT1_T3_lS5_lPS5_llPT2_S5_S5_S7_l.uses_flat_scratch, 0
	.set _ZN9rocsolver6v33100L18getf2_small_kernelILi17E19rocblas_complex_numIdEiiPS3_EEvT1_T3_lS5_lPS5_llPT2_S5_S5_S7_l.has_dyn_sized_stack, 0
	.set _ZN9rocsolver6v33100L18getf2_small_kernelILi17E19rocblas_complex_numIdEiiPS3_EEvT1_T3_lS5_lPS5_llPT2_S5_S5_S7_l.has_recursion, 0
	.set _ZN9rocsolver6v33100L18getf2_small_kernelILi17E19rocblas_complex_numIdEiiPS3_EEvT1_T3_lS5_lPS5_llPT2_S5_S5_S7_l.has_indirect_call, 0
	.section	.AMDGPU.csdata,"",@progbits
; Kernel info:
; codeLenInByte = 25696
; TotalNumSgprs: 30
; NumVgprs: 98
; NumAgprs: 0
; TotalNumVgprs: 98
; ScratchSize: 0
; MemoryBound: 0
; FloatMode: 240
; IeeeMode: 1
; LDSByteSize: 0 bytes/workgroup (compile time only)
; SGPRBlocks: 3
; VGPRBlocks: 12
; NumSGPRsForWavesPerEU: 30
; NumVGPRsForWavesPerEU: 98
; AccumOffset: 100
; Occupancy: 4
; WaveLimiterHint : 0
; COMPUTE_PGM_RSRC2:SCRATCH_EN: 0
; COMPUTE_PGM_RSRC2:USER_SGPR: 2
; COMPUTE_PGM_RSRC2:TRAP_HANDLER: 0
; COMPUTE_PGM_RSRC2:TGID_X_EN: 1
; COMPUTE_PGM_RSRC2:TGID_Y_EN: 1
; COMPUTE_PGM_RSRC2:TGID_Z_EN: 0
; COMPUTE_PGM_RSRC2:TIDIG_COMP_CNT: 1
; COMPUTE_PGM_RSRC3_GFX90A:ACCUM_OFFSET: 24
; COMPUTE_PGM_RSRC3_GFX90A:TG_SPLIT: 0
	.section	.text._ZN9rocsolver6v33100L23getf2_npvt_small_kernelILi17E19rocblas_complex_numIdEiiPS3_EEvT1_T3_lS5_lPT2_S5_S5_,"axG",@progbits,_ZN9rocsolver6v33100L23getf2_npvt_small_kernelILi17E19rocblas_complex_numIdEiiPS3_EEvT1_T3_lS5_lPT2_S5_S5_,comdat
	.globl	_ZN9rocsolver6v33100L23getf2_npvt_small_kernelILi17E19rocblas_complex_numIdEiiPS3_EEvT1_T3_lS5_lPT2_S5_S5_ ; -- Begin function _ZN9rocsolver6v33100L23getf2_npvt_small_kernelILi17E19rocblas_complex_numIdEiiPS3_EEvT1_T3_lS5_lPT2_S5_S5_
	.p2align	8
	.type	_ZN9rocsolver6v33100L23getf2_npvt_small_kernelILi17E19rocblas_complex_numIdEiiPS3_EEvT1_T3_lS5_lPT2_S5_S5_,@function
_ZN9rocsolver6v33100L23getf2_npvt_small_kernelILi17E19rocblas_complex_numIdEiiPS3_EEvT1_T3_lS5_lPT2_S5_S5_: ; @_ZN9rocsolver6v33100L23getf2_npvt_small_kernelILi17E19rocblas_complex_numIdEiiPS3_EEvT1_T3_lS5_lPT2_S5_S5_
; %bb.0:
	s_load_dword s2, s[0:1], 0x44
	s_load_dwordx2 s[8:9], s[0:1], 0x30
	v_bfe_u32 v68, v0, 10, 10
	s_waitcnt lgkmcnt(0)
	s_lshr_b32 s10, s2, 16
	s_mul_i32 s3, s3, s10
	v_add_u32_e32 v158, s3, v68
	v_cmp_gt_i32_e32 vcc, s8, v158
	s_and_saveexec_b64 s[2:3], vcc
	s_cbranch_execz .LBB33_156
; %bb.1:
	s_load_dwordx4 s[12:15], s[0:1], 0x8
	s_load_dword s2, s[0:1], 0x18
	s_load_dwordx4 s[4:7], s[0:1], 0x20
	v_and_b32_e32 v172, 0x3ff, v0
	v_ashrrev_i32_e32 v159, 31, v158
	s_waitcnt lgkmcnt(0)
	v_mov_b32_e32 v2, s12
	v_mov_b32_e32 v3, s13
	v_mad_u64_u32 v[0:1], s[0:1], s4, v158, 0
	v_mul_lo_u32 v4, s5, v158
	v_mul_lo_u32 v5, s4, v159
	s_add_i32 s0, s2, s2
	v_add3_u32 v1, v1, v5, v4
	v_add_u32_e32 v8, s0, v172
	v_lshl_add_u64 v[0:1], v[0:1], 4, v[2:3]
	v_add_u32_e32 v18, s2, v8
	v_lshl_add_u64 v[16:17], s[14:15], 4, v[0:1]
	v_ashrrev_i32_e32 v19, 31, v18
	v_lshl_add_u64 v[142:143], v[18:19], 4, v[16:17]
	v_add_u32_e32 v18, s2, v18
	v_ashrrev_i32_e32 v19, 31, v18
	v_lshl_add_u64 v[144:145], v[18:19], 4, v[16:17]
	v_add_u32_e32 v18, s2, v18
	;; [unrolled: 3-line block ×12, first 2 shown]
	v_ashrrev_i32_e32 v19, 31, v18
	v_lshlrev_b32_e32 v0, 4, v172
	v_mov_b32_e32 v1, 0
	v_ashrrev_i32_e32 v9, 31, v8
	v_lshl_add_u64 v[168:169], v[18:19], 4, v[16:17]
	v_add_u32_e32 v18, s2, v18
	s_ashr_i32 s3, s2, 31
	v_lshl_add_u64 v[136:137], v[16:17], 0, v[0:1]
	v_lshl_add_u64 v[140:141], v[8:9], 4, v[16:17]
	v_ashrrev_i32_e32 v19, 31, v18
	v_lshl_add_u64 v[138:139], s[2:3], 4, v[136:137]
	global_load_dwordx4 v[4:7], v[136:137], off
	global_load_dwordx4 v[0:3], v[138:139], off
	;; [unrolled: 1-line block ×4, first 2 shown]
	v_lshl_add_u64 v[170:171], v[18:19], 4, v[16:17]
	global_load_dwordx4 v[60:63], v[144:145], off
	global_load_dwordx4 v[56:59], v[146:147], off
	;; [unrolled: 1-line block ×13, first 2 shown]
	s_mulk_i32 s10, 0x110
	s_movk_i32 s0, 0x110
	s_add_i32 s1, s10, 0
	v_mad_u32_u24 v174, v68, s0, 0
	v_lshl_add_u32 v173, v68, 4, s1
	v_cmp_ne_u32_e64 s[2:3], 0, v172
	v_cmp_eq_u32_e64 s[0:1], 0, v172
	s_and_saveexec_b64 s[10:11], s[0:1]
	s_cbranch_execz .LBB33_8
; %bb.2:
	s_waitcnt vmcnt(16)
	ds_write2_b64 v173, v[4:5], v[6:7] offset1:1
	s_waitcnt vmcnt(15)
	ds_write2_b64 v174, v[0:1], v[2:3] offset0:2 offset1:3
	s_waitcnt vmcnt(14)
	ds_write2_b64 v174, v[12:13], v[14:15] offset0:4 offset1:5
	;; [unrolled: 2-line block ×16, first 2 shown]
	ds_read2_b64 v[68:71], v173 offset1:1
	s_waitcnt lgkmcnt(0)
	v_cmp_neq_f64_e32 vcc, 0, v[68:69]
	v_cmp_neq_f64_e64 s[4:5], 0, v[70:71]
	s_or_b64 s[4:5], vcc, s[4:5]
	s_and_b64 exec, exec, s[4:5]
	s_cbranch_execz .LBB33_8
; %bb.3:
	v_cmp_ngt_f64_e64 s[4:5], |v[68:69]|, |v[70:71]|
                                        ; implicit-def: $vgpr72_vgpr73
	s_and_saveexec_b64 s[12:13], s[4:5]
	s_xor_b64 s[4:5], exec, s[12:13]
                                        ; implicit-def: $vgpr74_vgpr75
	s_cbranch_execz .LBB33_5
; %bb.4:
	v_div_scale_f64 v[72:73], s[12:13], v[70:71], v[70:71], v[68:69]
	v_rcp_f64_e32 v[74:75], v[72:73]
	v_div_scale_f64 v[76:77], vcc, v[68:69], v[70:71], v[68:69]
	v_fma_f64 v[78:79], -v[72:73], v[74:75], 1.0
	v_fmac_f64_e32 v[74:75], v[74:75], v[78:79]
	v_fma_f64 v[78:79], -v[72:73], v[74:75], 1.0
	v_fmac_f64_e32 v[74:75], v[74:75], v[78:79]
	v_mul_f64 v[78:79], v[76:77], v[74:75]
	v_fma_f64 v[72:73], -v[72:73], v[78:79], v[76:77]
	v_div_fmas_f64 v[72:73], v[72:73], v[74:75], v[78:79]
	v_div_fixup_f64 v[72:73], v[72:73], v[70:71], v[68:69]
	v_fmac_f64_e32 v[70:71], v[68:69], v[72:73]
	v_div_scale_f64 v[68:69], s[12:13], v[70:71], v[70:71], 1.0
	v_rcp_f64_e32 v[74:75], v[68:69]
	s_nop 0
	v_fma_f64 v[76:77], -v[68:69], v[74:75], 1.0
	v_fmac_f64_e32 v[74:75], v[74:75], v[76:77]
	v_fma_f64 v[76:77], -v[68:69], v[74:75], 1.0
	v_fmac_f64_e32 v[74:75], v[74:75], v[76:77]
	v_div_scale_f64 v[76:77], vcc, 1.0, v[70:71], 1.0
	v_mul_f64 v[78:79], v[76:77], v[74:75]
	v_fma_f64 v[68:69], -v[68:69], v[78:79], v[76:77]
	s_nop 1
	v_div_fmas_f64 v[68:69], v[68:69], v[74:75], v[78:79]
	v_div_fixup_f64 v[74:75], v[68:69], v[70:71], 1.0
	v_mul_f64 v[72:73], v[72:73], v[74:75]
	v_xor_b32_e32 v75, 0x80000000, v75
                                        ; implicit-def: $vgpr68_vgpr69
.LBB33_5:
	s_andn2_saveexec_b64 s[4:5], s[4:5]
	s_cbranch_execz .LBB33_7
; %bb.6:
	v_div_scale_f64 v[72:73], s[12:13], v[68:69], v[68:69], v[70:71]
	v_rcp_f64_e32 v[74:75], v[72:73]
	v_div_scale_f64 v[76:77], vcc, v[70:71], v[68:69], v[70:71]
	v_fma_f64 v[78:79], -v[72:73], v[74:75], 1.0
	v_fmac_f64_e32 v[74:75], v[74:75], v[78:79]
	v_fma_f64 v[78:79], -v[72:73], v[74:75], 1.0
	v_fmac_f64_e32 v[74:75], v[74:75], v[78:79]
	v_mul_f64 v[78:79], v[76:77], v[74:75]
	v_fma_f64 v[72:73], -v[72:73], v[78:79], v[76:77]
	v_div_fmas_f64 v[72:73], v[72:73], v[74:75], v[78:79]
	v_div_fixup_f64 v[74:75], v[72:73], v[68:69], v[70:71]
	v_fmac_f64_e32 v[68:69], v[70:71], v[74:75]
	v_div_scale_f64 v[70:71], s[12:13], v[68:69], v[68:69], 1.0
	v_rcp_f64_e32 v[72:73], v[70:71]
	s_nop 0
	v_fma_f64 v[76:77], -v[70:71], v[72:73], 1.0
	v_fmac_f64_e32 v[72:73], v[72:73], v[76:77]
	v_fma_f64 v[76:77], -v[70:71], v[72:73], 1.0
	v_fmac_f64_e32 v[72:73], v[72:73], v[76:77]
	v_div_scale_f64 v[76:77], vcc, 1.0, v[68:69], 1.0
	v_mul_f64 v[78:79], v[76:77], v[72:73]
	v_fma_f64 v[70:71], -v[70:71], v[78:79], v[76:77]
	s_nop 1
	v_div_fmas_f64 v[70:71], v[70:71], v[72:73], v[78:79]
	v_div_fixup_f64 v[72:73], v[70:71], v[68:69], 1.0
	v_mul_f64 v[74:75], v[74:75], -v[72:73]
.LBB33_7:
	s_or_b64 exec, exec, s[4:5]
	ds_write2_b64 v173, v[72:73], v[74:75] offset1:1
.LBB33_8:
	s_or_b64 exec, exec, s[10:11]
	s_waitcnt lgkmcnt(0)
	s_barrier
	ds_read2_b64 v[68:71], v173 offset1:1
	s_and_saveexec_b64 s[4:5], s[2:3]
	s_cbranch_execz .LBB33_10
; %bb.9:
	ds_read2_b64 v[74:77], v174 offset0:2 offset1:3
	ds_read2_b64 v[78:81], v174 offset0:4 offset1:5
	s_waitcnt vmcnt(16) lgkmcnt(2)
	v_mul_f64 v[72:73], v[68:69], v[6:7]
	v_fmac_f64_e32 v[72:73], v[70:71], v[4:5]
	v_mul_f64 v[6:7], v[70:71], v[6:7]
	v_fma_f64 v[4:5], v[68:69], v[4:5], -v[6:7]
	s_waitcnt lgkmcnt(1)
	v_mul_f64 v[6:7], v[76:77], v[72:73]
	v_fma_f64 v[6:7], v[74:75], v[4:5], -v[6:7]
	v_mul_f64 v[74:75], v[74:75], v[72:73]
	v_fmac_f64_e32 v[74:75], v[76:77], v[4:5]
	s_waitcnt vmcnt(15)
	v_add_f64 v[0:1], v[0:1], -v[6:7]
	v_add_f64 v[2:3], v[2:3], -v[74:75]
	s_waitcnt lgkmcnt(0)
	v_mul_f64 v[6:7], v[80:81], v[72:73]
	ds_read2_b64 v[74:77], v174 offset0:6 offset1:7
	v_fma_f64 v[6:7], v[78:79], v[4:5], -v[6:7]
	v_mul_f64 v[78:79], v[78:79], v[72:73]
	v_fmac_f64_e32 v[78:79], v[80:81], v[4:5]
	s_waitcnt vmcnt(14)
	v_add_f64 v[14:15], v[14:15], -v[78:79]
	ds_read2_b64 v[78:81], v174 offset0:8 offset1:9
	v_add_f64 v[12:13], v[12:13], -v[6:7]
	s_waitcnt lgkmcnt(1)
	v_mul_f64 v[6:7], v[76:77], v[72:73]
	v_fma_f64 v[6:7], v[74:75], v[4:5], -v[6:7]
	v_mul_f64 v[74:75], v[74:75], v[72:73]
	v_fmac_f64_e32 v[74:75], v[76:77], v[4:5]
	s_waitcnt vmcnt(13)
	v_add_f64 v[8:9], v[8:9], -v[6:7]
	v_add_f64 v[10:11], v[10:11], -v[74:75]
	s_waitcnt lgkmcnt(0)
	v_mul_f64 v[6:7], v[80:81], v[72:73]
	ds_read2_b64 v[74:77], v174 offset0:10 offset1:11
	v_fma_f64 v[6:7], v[78:79], v[4:5], -v[6:7]
	v_mul_f64 v[78:79], v[78:79], v[72:73]
	v_fmac_f64_e32 v[78:79], v[80:81], v[4:5]
	s_waitcnt vmcnt(12)
	v_add_f64 v[62:63], v[62:63], -v[78:79]
	ds_read2_b64 v[78:81], v174 offset0:12 offset1:13
	v_add_f64 v[60:61], v[60:61], -v[6:7]
	;; [unrolled: 18-line block ×7, first 2 shown]
	s_waitcnt lgkmcnt(1)
	v_mul_f64 v[6:7], v[76:77], v[72:73]
	v_fma_f64 v[6:7], v[74:75], v[4:5], -v[6:7]
	v_mul_f64 v[74:75], v[74:75], v[72:73]
	v_fmac_f64_e32 v[74:75], v[76:77], v[4:5]
	s_waitcnt vmcnt(1)
	v_add_f64 v[16:17], v[16:17], -v[6:7]
	v_add_f64 v[18:19], v[18:19], -v[74:75]
	s_waitcnt lgkmcnt(0)
	v_mul_f64 v[6:7], v[80:81], v[72:73]
	v_mul_f64 v[74:75], v[78:79], v[72:73]
	v_fma_f64 v[6:7], v[78:79], v[4:5], -v[6:7]
	v_fmac_f64_e32 v[74:75], v[80:81], v[4:5]
	s_waitcnt vmcnt(0)
	v_add_f64 v[64:65], v[64:65], -v[6:7]
	v_add_f64 v[66:67], v[66:67], -v[74:75]
	v_mov_b64_e32 v[6:7], v[72:73]
.LBB33_10:
	s_or_b64 exec, exec, s[4:5]
	v_cmp_eq_u32_e32 vcc, 1, v172
	s_waitcnt lgkmcnt(0)
	s_barrier
	s_and_saveexec_b64 s[4:5], vcc
	s_cbranch_execz .LBB33_17
; %bb.11:
	s_waitcnt vmcnt(15)
	ds_write2_b64 v173, v[0:1], v[2:3] offset1:1
	s_waitcnt vmcnt(14)
	ds_write2_b64 v174, v[12:13], v[14:15] offset0:4 offset1:5
	s_waitcnt vmcnt(13)
	ds_write2_b64 v174, v[8:9], v[10:11] offset0:6 offset1:7
	;; [unrolled: 2-line block ×15, first 2 shown]
	ds_read2_b64 v[72:75], v173 offset1:1
	s_waitcnt lgkmcnt(0)
	v_cmp_neq_f64_e32 vcc, 0, v[72:73]
	v_cmp_neq_f64_e64 s[2:3], 0, v[74:75]
	s_or_b64 s[2:3], vcc, s[2:3]
	s_and_b64 exec, exec, s[2:3]
	s_cbranch_execz .LBB33_17
; %bb.12:
	v_cmp_ngt_f64_e64 s[2:3], |v[72:73]|, |v[74:75]|
                                        ; implicit-def: $vgpr76_vgpr77
	s_and_saveexec_b64 s[10:11], s[2:3]
	s_xor_b64 s[2:3], exec, s[10:11]
                                        ; implicit-def: $vgpr78_vgpr79
	s_cbranch_execz .LBB33_14
; %bb.13:
	v_div_scale_f64 v[76:77], s[10:11], v[74:75], v[74:75], v[72:73]
	v_rcp_f64_e32 v[78:79], v[76:77]
	v_div_scale_f64 v[80:81], vcc, v[72:73], v[74:75], v[72:73]
	v_fma_f64 v[82:83], -v[76:77], v[78:79], 1.0
	v_fmac_f64_e32 v[78:79], v[78:79], v[82:83]
	v_fma_f64 v[82:83], -v[76:77], v[78:79], 1.0
	v_fmac_f64_e32 v[78:79], v[78:79], v[82:83]
	v_mul_f64 v[82:83], v[80:81], v[78:79]
	v_fma_f64 v[76:77], -v[76:77], v[82:83], v[80:81]
	v_div_fmas_f64 v[76:77], v[76:77], v[78:79], v[82:83]
	v_div_fixup_f64 v[76:77], v[76:77], v[74:75], v[72:73]
	v_fmac_f64_e32 v[74:75], v[72:73], v[76:77]
	v_div_scale_f64 v[72:73], s[10:11], v[74:75], v[74:75], 1.0
	v_rcp_f64_e32 v[78:79], v[72:73]
	s_nop 0
	v_fma_f64 v[80:81], -v[72:73], v[78:79], 1.0
	v_fmac_f64_e32 v[78:79], v[78:79], v[80:81]
	v_fma_f64 v[80:81], -v[72:73], v[78:79], 1.0
	v_fmac_f64_e32 v[78:79], v[78:79], v[80:81]
	v_div_scale_f64 v[80:81], vcc, 1.0, v[74:75], 1.0
	v_mul_f64 v[82:83], v[80:81], v[78:79]
	v_fma_f64 v[72:73], -v[72:73], v[82:83], v[80:81]
	s_nop 1
	v_div_fmas_f64 v[72:73], v[72:73], v[78:79], v[82:83]
	v_div_fixup_f64 v[78:79], v[72:73], v[74:75], 1.0
	v_mul_f64 v[76:77], v[76:77], v[78:79]
	v_xor_b32_e32 v79, 0x80000000, v79
                                        ; implicit-def: $vgpr72_vgpr73
.LBB33_14:
	s_andn2_saveexec_b64 s[2:3], s[2:3]
	s_cbranch_execz .LBB33_16
; %bb.15:
	v_div_scale_f64 v[76:77], s[10:11], v[72:73], v[72:73], v[74:75]
	v_rcp_f64_e32 v[78:79], v[76:77]
	v_div_scale_f64 v[80:81], vcc, v[74:75], v[72:73], v[74:75]
	v_fma_f64 v[82:83], -v[76:77], v[78:79], 1.0
	v_fmac_f64_e32 v[78:79], v[78:79], v[82:83]
	v_fma_f64 v[82:83], -v[76:77], v[78:79], 1.0
	v_fmac_f64_e32 v[78:79], v[78:79], v[82:83]
	v_mul_f64 v[82:83], v[80:81], v[78:79]
	v_fma_f64 v[76:77], -v[76:77], v[82:83], v[80:81]
	v_div_fmas_f64 v[76:77], v[76:77], v[78:79], v[82:83]
	v_div_fixup_f64 v[78:79], v[76:77], v[72:73], v[74:75]
	v_fmac_f64_e32 v[72:73], v[74:75], v[78:79]
	v_div_scale_f64 v[74:75], s[10:11], v[72:73], v[72:73], 1.0
	v_rcp_f64_e32 v[76:77], v[74:75]
	s_nop 0
	v_fma_f64 v[80:81], -v[74:75], v[76:77], 1.0
	v_fmac_f64_e32 v[76:77], v[76:77], v[80:81]
	v_fma_f64 v[80:81], -v[74:75], v[76:77], 1.0
	v_fmac_f64_e32 v[76:77], v[76:77], v[80:81]
	v_div_scale_f64 v[80:81], vcc, 1.0, v[72:73], 1.0
	v_mul_f64 v[82:83], v[80:81], v[76:77]
	v_fma_f64 v[74:75], -v[74:75], v[82:83], v[80:81]
	s_nop 1
	v_div_fmas_f64 v[74:75], v[74:75], v[76:77], v[82:83]
	v_div_fixup_f64 v[76:77], v[74:75], v[72:73], 1.0
	v_mul_f64 v[78:79], v[78:79], -v[76:77]
.LBB33_16:
	s_or_b64 exec, exec, s[2:3]
	ds_write2_b64 v173, v[76:77], v[78:79] offset1:1
.LBB33_17:
	s_or_b64 exec, exec, s[4:5]
	s_waitcnt lgkmcnt(0)
	s_barrier
	ds_read2_b64 v[72:75], v173 offset1:1
	v_cmp_lt_u32_e32 vcc, 1, v172
	s_and_saveexec_b64 s[2:3], vcc
	s_cbranch_execz .LBB33_19
; %bb.18:
	ds_read2_b64 v[78:81], v174 offset0:4 offset1:5
	ds_read2_b64 v[82:85], v174 offset0:6 offset1:7
	s_waitcnt vmcnt(15) lgkmcnt(2)
	v_mul_f64 v[76:77], v[72:73], v[2:3]
	v_fmac_f64_e32 v[76:77], v[74:75], v[0:1]
	v_mul_f64 v[2:3], v[74:75], v[2:3]
	v_fma_f64 v[0:1], v[72:73], v[0:1], -v[2:3]
	s_waitcnt lgkmcnt(1)
	v_mul_f64 v[2:3], v[80:81], v[76:77]
	v_fma_f64 v[2:3], v[78:79], v[0:1], -v[2:3]
	v_mul_f64 v[78:79], v[78:79], v[76:77]
	v_fmac_f64_e32 v[78:79], v[80:81], v[0:1]
	s_waitcnt vmcnt(14)
	v_add_f64 v[14:15], v[14:15], -v[78:79]
	ds_read2_b64 v[78:81], v174 offset0:8 offset1:9
	v_add_f64 v[12:13], v[12:13], -v[2:3]
	s_waitcnt lgkmcnt(1)
	v_mul_f64 v[2:3], v[84:85], v[76:77]
	v_fma_f64 v[2:3], v[82:83], v[0:1], -v[2:3]
	v_mul_f64 v[82:83], v[82:83], v[76:77]
	v_fmac_f64_e32 v[82:83], v[84:85], v[0:1]
	s_waitcnt vmcnt(13)
	v_add_f64 v[8:9], v[8:9], -v[2:3]
	v_add_f64 v[10:11], v[10:11], -v[82:83]
	ds_read2_b64 v[82:85], v174 offset0:10 offset1:11
	s_waitcnt lgkmcnt(1)
	v_mul_f64 v[2:3], v[80:81], v[76:77]
	v_fma_f64 v[2:3], v[78:79], v[0:1], -v[2:3]
	v_mul_f64 v[78:79], v[78:79], v[76:77]
	v_fmac_f64_e32 v[78:79], v[80:81], v[0:1]
	s_waitcnt vmcnt(12)
	v_add_f64 v[62:63], v[62:63], -v[78:79]
	ds_read2_b64 v[78:81], v174 offset0:12 offset1:13
	v_add_f64 v[60:61], v[60:61], -v[2:3]
	s_waitcnt lgkmcnt(1)
	v_mul_f64 v[2:3], v[84:85], v[76:77]
	v_fma_f64 v[2:3], v[82:83], v[0:1], -v[2:3]
	v_mul_f64 v[82:83], v[82:83], v[76:77]
	v_fmac_f64_e32 v[82:83], v[84:85], v[0:1]
	s_waitcnt vmcnt(11)
	v_add_f64 v[56:57], v[56:57], -v[2:3]
	v_add_f64 v[58:59], v[58:59], -v[82:83]
	ds_read2_b64 v[82:85], v174 offset0:14 offset1:15
	;; [unrolled: 18-line block ×6, first 2 shown]
	s_waitcnt lgkmcnt(1)
	v_mul_f64 v[2:3], v[80:81], v[76:77]
	v_fma_f64 v[2:3], v[78:79], v[0:1], -v[2:3]
	v_mul_f64 v[78:79], v[78:79], v[76:77]
	v_fmac_f64_e32 v[78:79], v[80:81], v[0:1]
	s_waitcnt vmcnt(2)
	v_add_f64 v[22:23], v[22:23], -v[78:79]
	ds_read2_b64 v[78:81], v174 offset0:32 offset1:33
	v_add_f64 v[20:21], v[20:21], -v[2:3]
	s_waitcnt lgkmcnt(1)
	v_mul_f64 v[2:3], v[84:85], v[76:77]
	v_fma_f64 v[2:3], v[82:83], v[0:1], -v[2:3]
	s_waitcnt vmcnt(1)
	v_add_f64 v[16:17], v[16:17], -v[2:3]
	s_waitcnt lgkmcnt(0)
	v_mul_f64 v[2:3], v[80:81], v[76:77]
	v_mul_f64 v[82:83], v[82:83], v[76:77]
	v_fma_f64 v[2:3], v[78:79], v[0:1], -v[2:3]
	v_mul_f64 v[78:79], v[78:79], v[76:77]
	v_fmac_f64_e32 v[82:83], v[84:85], v[0:1]
	v_fmac_f64_e32 v[78:79], v[80:81], v[0:1]
	v_add_f64 v[18:19], v[18:19], -v[82:83]
	s_waitcnt vmcnt(0)
	v_add_f64 v[64:65], v[64:65], -v[2:3]
	v_add_f64 v[66:67], v[66:67], -v[78:79]
	v_mov_b64_e32 v[2:3], v[76:77]
.LBB33_19:
	s_or_b64 exec, exec, s[2:3]
	v_cmp_eq_u32_e32 vcc, 2, v172
	s_waitcnt lgkmcnt(0)
	s_barrier
	s_and_saveexec_b64 s[4:5], vcc
	s_cbranch_execz .LBB33_26
; %bb.20:
	s_waitcnt vmcnt(14)
	ds_write2_b64 v173, v[12:13], v[14:15] offset1:1
	s_waitcnt vmcnt(13)
	ds_write2_b64 v174, v[8:9], v[10:11] offset0:6 offset1:7
	s_waitcnt vmcnt(12)
	ds_write2_b64 v174, v[60:61], v[62:63] offset0:8 offset1:9
	;; [unrolled: 2-line block ×14, first 2 shown]
	ds_read2_b64 v[76:79], v173 offset1:1
	s_waitcnt lgkmcnt(0)
	v_cmp_neq_f64_e32 vcc, 0, v[76:77]
	v_cmp_neq_f64_e64 s[2:3], 0, v[78:79]
	s_or_b64 s[2:3], vcc, s[2:3]
	s_and_b64 exec, exec, s[2:3]
	s_cbranch_execz .LBB33_26
; %bb.21:
	v_cmp_ngt_f64_e64 s[2:3], |v[76:77]|, |v[78:79]|
                                        ; implicit-def: $vgpr80_vgpr81
	s_and_saveexec_b64 s[10:11], s[2:3]
	s_xor_b64 s[2:3], exec, s[10:11]
                                        ; implicit-def: $vgpr82_vgpr83
	s_cbranch_execz .LBB33_23
; %bb.22:
	v_div_scale_f64 v[80:81], s[10:11], v[78:79], v[78:79], v[76:77]
	v_rcp_f64_e32 v[82:83], v[80:81]
	v_div_scale_f64 v[84:85], vcc, v[76:77], v[78:79], v[76:77]
	v_fma_f64 v[86:87], -v[80:81], v[82:83], 1.0
	v_fmac_f64_e32 v[82:83], v[82:83], v[86:87]
	v_fma_f64 v[86:87], -v[80:81], v[82:83], 1.0
	v_fmac_f64_e32 v[82:83], v[82:83], v[86:87]
	v_mul_f64 v[86:87], v[84:85], v[82:83]
	v_fma_f64 v[80:81], -v[80:81], v[86:87], v[84:85]
	v_div_fmas_f64 v[80:81], v[80:81], v[82:83], v[86:87]
	v_div_fixup_f64 v[80:81], v[80:81], v[78:79], v[76:77]
	v_fmac_f64_e32 v[78:79], v[76:77], v[80:81]
	v_div_scale_f64 v[76:77], s[10:11], v[78:79], v[78:79], 1.0
	v_rcp_f64_e32 v[82:83], v[76:77]
	s_nop 0
	v_fma_f64 v[84:85], -v[76:77], v[82:83], 1.0
	v_fmac_f64_e32 v[82:83], v[82:83], v[84:85]
	v_fma_f64 v[84:85], -v[76:77], v[82:83], 1.0
	v_fmac_f64_e32 v[82:83], v[82:83], v[84:85]
	v_div_scale_f64 v[84:85], vcc, 1.0, v[78:79], 1.0
	v_mul_f64 v[86:87], v[84:85], v[82:83]
	v_fma_f64 v[76:77], -v[76:77], v[86:87], v[84:85]
	s_nop 1
	v_div_fmas_f64 v[76:77], v[76:77], v[82:83], v[86:87]
	v_div_fixup_f64 v[82:83], v[76:77], v[78:79], 1.0
	v_mul_f64 v[80:81], v[80:81], v[82:83]
	v_xor_b32_e32 v83, 0x80000000, v83
                                        ; implicit-def: $vgpr76_vgpr77
.LBB33_23:
	s_andn2_saveexec_b64 s[2:3], s[2:3]
	s_cbranch_execz .LBB33_25
; %bb.24:
	v_div_scale_f64 v[80:81], s[10:11], v[76:77], v[76:77], v[78:79]
	v_rcp_f64_e32 v[82:83], v[80:81]
	v_div_scale_f64 v[84:85], vcc, v[78:79], v[76:77], v[78:79]
	v_fma_f64 v[86:87], -v[80:81], v[82:83], 1.0
	v_fmac_f64_e32 v[82:83], v[82:83], v[86:87]
	v_fma_f64 v[86:87], -v[80:81], v[82:83], 1.0
	v_fmac_f64_e32 v[82:83], v[82:83], v[86:87]
	v_mul_f64 v[86:87], v[84:85], v[82:83]
	v_fma_f64 v[80:81], -v[80:81], v[86:87], v[84:85]
	v_div_fmas_f64 v[80:81], v[80:81], v[82:83], v[86:87]
	v_div_fixup_f64 v[82:83], v[80:81], v[76:77], v[78:79]
	v_fmac_f64_e32 v[76:77], v[78:79], v[82:83]
	v_div_scale_f64 v[78:79], s[10:11], v[76:77], v[76:77], 1.0
	v_rcp_f64_e32 v[80:81], v[78:79]
	s_nop 0
	v_fma_f64 v[84:85], -v[78:79], v[80:81], 1.0
	v_fmac_f64_e32 v[80:81], v[80:81], v[84:85]
	v_fma_f64 v[84:85], -v[78:79], v[80:81], 1.0
	v_fmac_f64_e32 v[80:81], v[80:81], v[84:85]
	v_div_scale_f64 v[84:85], vcc, 1.0, v[76:77], 1.0
	v_mul_f64 v[86:87], v[84:85], v[80:81]
	v_fma_f64 v[78:79], -v[78:79], v[86:87], v[84:85]
	s_nop 1
	v_div_fmas_f64 v[78:79], v[78:79], v[80:81], v[86:87]
	v_div_fixup_f64 v[80:81], v[78:79], v[76:77], 1.0
	v_mul_f64 v[82:83], v[82:83], -v[80:81]
.LBB33_25:
	s_or_b64 exec, exec, s[2:3]
	ds_write2_b64 v173, v[80:81], v[82:83] offset1:1
.LBB33_26:
	s_or_b64 exec, exec, s[4:5]
	s_waitcnt lgkmcnt(0)
	s_barrier
	ds_read2_b64 v[76:79], v173 offset1:1
	v_cmp_lt_u32_e32 vcc, 2, v172
	s_and_saveexec_b64 s[2:3], vcc
	s_cbranch_execz .LBB33_28
; %bb.27:
	ds_read2_b64 v[82:85], v174 offset0:6 offset1:7
	ds_read2_b64 v[86:89], v174 offset0:8 offset1:9
	s_waitcnt vmcnt(14) lgkmcnt(2)
	v_mul_f64 v[80:81], v[76:77], v[14:15]
	v_fmac_f64_e32 v[80:81], v[78:79], v[12:13]
	v_mul_f64 v[14:15], v[78:79], v[14:15]
	v_fma_f64 v[12:13], v[76:77], v[12:13], -v[14:15]
	s_waitcnt lgkmcnt(1)
	v_mul_f64 v[14:15], v[84:85], v[80:81]
	v_fma_f64 v[14:15], v[82:83], v[12:13], -v[14:15]
	v_mul_f64 v[82:83], v[82:83], v[80:81]
	v_fmac_f64_e32 v[82:83], v[84:85], v[12:13]
	s_waitcnt vmcnt(13)
	v_add_f64 v[8:9], v[8:9], -v[14:15]
	v_add_f64 v[10:11], v[10:11], -v[82:83]
	s_waitcnt lgkmcnt(0)
	v_mul_f64 v[14:15], v[88:89], v[80:81]
	ds_read2_b64 v[82:85], v174 offset0:10 offset1:11
	v_fma_f64 v[14:15], v[86:87], v[12:13], -v[14:15]
	v_mul_f64 v[86:87], v[86:87], v[80:81]
	v_fmac_f64_e32 v[86:87], v[88:89], v[12:13]
	s_waitcnt vmcnt(12)
	v_add_f64 v[62:63], v[62:63], -v[86:87]
	ds_read2_b64 v[86:89], v174 offset0:12 offset1:13
	v_add_f64 v[60:61], v[60:61], -v[14:15]
	s_waitcnt lgkmcnt(1)
	v_mul_f64 v[14:15], v[84:85], v[80:81]
	v_fma_f64 v[14:15], v[82:83], v[12:13], -v[14:15]
	v_mul_f64 v[82:83], v[82:83], v[80:81]
	v_fmac_f64_e32 v[82:83], v[84:85], v[12:13]
	s_waitcnt vmcnt(11)
	v_add_f64 v[56:57], v[56:57], -v[14:15]
	v_add_f64 v[58:59], v[58:59], -v[82:83]
	s_waitcnt lgkmcnt(0)
	v_mul_f64 v[14:15], v[88:89], v[80:81]
	ds_read2_b64 v[82:85], v174 offset0:14 offset1:15
	v_fma_f64 v[14:15], v[86:87], v[12:13], -v[14:15]
	v_mul_f64 v[86:87], v[86:87], v[80:81]
	v_fmac_f64_e32 v[86:87], v[88:89], v[12:13]
	s_waitcnt vmcnt(10)
	v_add_f64 v[54:55], v[54:55], -v[86:87]
	ds_read2_b64 v[86:89], v174 offset0:16 offset1:17
	v_add_f64 v[52:53], v[52:53], -v[14:15]
	;; [unrolled: 18-line block ×6, first 2 shown]
	s_waitcnt lgkmcnt(1)
	v_mul_f64 v[14:15], v[84:85], v[80:81]
	v_fma_f64 v[14:15], v[82:83], v[12:13], -v[14:15]
	v_mul_f64 v[82:83], v[82:83], v[80:81]
	v_fmac_f64_e32 v[82:83], v[84:85], v[12:13]
	s_waitcnt vmcnt(1)
	v_add_f64 v[16:17], v[16:17], -v[14:15]
	v_add_f64 v[18:19], v[18:19], -v[82:83]
	s_waitcnt lgkmcnt(0)
	v_mul_f64 v[14:15], v[88:89], v[80:81]
	v_mul_f64 v[82:83], v[86:87], v[80:81]
	v_fma_f64 v[14:15], v[86:87], v[12:13], -v[14:15]
	v_fmac_f64_e32 v[82:83], v[88:89], v[12:13]
	s_waitcnt vmcnt(0)
	v_add_f64 v[64:65], v[64:65], -v[14:15]
	v_add_f64 v[66:67], v[66:67], -v[82:83]
	v_mov_b64_e32 v[14:15], v[80:81]
.LBB33_28:
	s_or_b64 exec, exec, s[2:3]
	v_cmp_eq_u32_e32 vcc, 3, v172
	s_waitcnt lgkmcnt(0)
	s_barrier
	s_and_saveexec_b64 s[4:5], vcc
	s_cbranch_execz .LBB33_35
; %bb.29:
	s_waitcnt vmcnt(13)
	ds_write2_b64 v173, v[8:9], v[10:11] offset1:1
	s_waitcnt vmcnt(12)
	ds_write2_b64 v174, v[60:61], v[62:63] offset0:8 offset1:9
	s_waitcnt vmcnt(11)
	ds_write2_b64 v174, v[56:57], v[58:59] offset0:10 offset1:11
	s_waitcnt vmcnt(10)
	ds_write2_b64 v174, v[52:53], v[54:55] offset0:12 offset1:13
	s_waitcnt vmcnt(9)
	ds_write2_b64 v174, v[48:49], v[50:51] offset0:14 offset1:15
	s_waitcnt vmcnt(8)
	ds_write2_b64 v174, v[44:45], v[46:47] offset0:16 offset1:17
	s_waitcnt vmcnt(7)
	ds_write2_b64 v174, v[40:41], v[42:43] offset0:18 offset1:19
	s_waitcnt vmcnt(6)
	ds_write2_b64 v174, v[36:37], v[38:39] offset0:20 offset1:21
	s_waitcnt vmcnt(5)
	ds_write2_b64 v174, v[32:33], v[34:35] offset0:22 offset1:23
	s_waitcnt vmcnt(4)
	ds_write2_b64 v174, v[28:29], v[30:31] offset0:24 offset1:25
	s_waitcnt vmcnt(3)
	ds_write2_b64 v174, v[24:25], v[26:27] offset0:26 offset1:27
	s_waitcnt vmcnt(2)
	ds_write2_b64 v174, v[20:21], v[22:23] offset0:28 offset1:29
	s_waitcnt vmcnt(1)
	ds_write2_b64 v174, v[16:17], v[18:19] offset0:30 offset1:31
	s_waitcnt vmcnt(0)
	ds_write2_b64 v174, v[64:65], v[66:67] offset0:32 offset1:33
	ds_read2_b64 v[80:83], v173 offset1:1
	s_waitcnt lgkmcnt(0)
	v_cmp_neq_f64_e32 vcc, 0, v[80:81]
	v_cmp_neq_f64_e64 s[2:3], 0, v[82:83]
	s_or_b64 s[2:3], vcc, s[2:3]
	s_and_b64 exec, exec, s[2:3]
	s_cbranch_execz .LBB33_35
; %bb.30:
	v_cmp_ngt_f64_e64 s[2:3], |v[80:81]|, |v[82:83]|
                                        ; implicit-def: $vgpr84_vgpr85
	s_and_saveexec_b64 s[10:11], s[2:3]
	s_xor_b64 s[2:3], exec, s[10:11]
                                        ; implicit-def: $vgpr86_vgpr87
	s_cbranch_execz .LBB33_32
; %bb.31:
	v_div_scale_f64 v[84:85], s[10:11], v[82:83], v[82:83], v[80:81]
	v_rcp_f64_e32 v[86:87], v[84:85]
	v_div_scale_f64 v[88:89], vcc, v[80:81], v[82:83], v[80:81]
	v_fma_f64 v[90:91], -v[84:85], v[86:87], 1.0
	v_fmac_f64_e32 v[86:87], v[86:87], v[90:91]
	v_fma_f64 v[90:91], -v[84:85], v[86:87], 1.0
	v_fmac_f64_e32 v[86:87], v[86:87], v[90:91]
	v_mul_f64 v[90:91], v[88:89], v[86:87]
	v_fma_f64 v[84:85], -v[84:85], v[90:91], v[88:89]
	v_div_fmas_f64 v[84:85], v[84:85], v[86:87], v[90:91]
	v_div_fixup_f64 v[84:85], v[84:85], v[82:83], v[80:81]
	v_fmac_f64_e32 v[82:83], v[80:81], v[84:85]
	v_div_scale_f64 v[80:81], s[10:11], v[82:83], v[82:83], 1.0
	v_rcp_f64_e32 v[86:87], v[80:81]
	s_nop 0
	v_fma_f64 v[88:89], -v[80:81], v[86:87], 1.0
	v_fmac_f64_e32 v[86:87], v[86:87], v[88:89]
	v_fma_f64 v[88:89], -v[80:81], v[86:87], 1.0
	v_fmac_f64_e32 v[86:87], v[86:87], v[88:89]
	v_div_scale_f64 v[88:89], vcc, 1.0, v[82:83], 1.0
	v_mul_f64 v[90:91], v[88:89], v[86:87]
	v_fma_f64 v[80:81], -v[80:81], v[90:91], v[88:89]
	s_nop 1
	v_div_fmas_f64 v[80:81], v[80:81], v[86:87], v[90:91]
	v_div_fixup_f64 v[86:87], v[80:81], v[82:83], 1.0
	v_mul_f64 v[84:85], v[84:85], v[86:87]
	v_xor_b32_e32 v87, 0x80000000, v87
                                        ; implicit-def: $vgpr80_vgpr81
.LBB33_32:
	s_andn2_saveexec_b64 s[2:3], s[2:3]
	s_cbranch_execz .LBB33_34
; %bb.33:
	v_div_scale_f64 v[84:85], s[10:11], v[80:81], v[80:81], v[82:83]
	v_rcp_f64_e32 v[86:87], v[84:85]
	v_div_scale_f64 v[88:89], vcc, v[82:83], v[80:81], v[82:83]
	v_fma_f64 v[90:91], -v[84:85], v[86:87], 1.0
	v_fmac_f64_e32 v[86:87], v[86:87], v[90:91]
	v_fma_f64 v[90:91], -v[84:85], v[86:87], 1.0
	v_fmac_f64_e32 v[86:87], v[86:87], v[90:91]
	v_mul_f64 v[90:91], v[88:89], v[86:87]
	v_fma_f64 v[84:85], -v[84:85], v[90:91], v[88:89]
	v_div_fmas_f64 v[84:85], v[84:85], v[86:87], v[90:91]
	v_div_fixup_f64 v[86:87], v[84:85], v[80:81], v[82:83]
	v_fmac_f64_e32 v[80:81], v[82:83], v[86:87]
	v_div_scale_f64 v[82:83], s[10:11], v[80:81], v[80:81], 1.0
	v_rcp_f64_e32 v[84:85], v[82:83]
	s_nop 0
	v_fma_f64 v[88:89], -v[82:83], v[84:85], 1.0
	v_fmac_f64_e32 v[84:85], v[84:85], v[88:89]
	v_fma_f64 v[88:89], -v[82:83], v[84:85], 1.0
	v_fmac_f64_e32 v[84:85], v[84:85], v[88:89]
	v_div_scale_f64 v[88:89], vcc, 1.0, v[80:81], 1.0
	v_mul_f64 v[90:91], v[88:89], v[84:85]
	v_fma_f64 v[82:83], -v[82:83], v[90:91], v[88:89]
	s_nop 1
	v_div_fmas_f64 v[82:83], v[82:83], v[84:85], v[90:91]
	v_div_fixup_f64 v[84:85], v[82:83], v[80:81], 1.0
	v_mul_f64 v[86:87], v[86:87], -v[84:85]
.LBB33_34:
	s_or_b64 exec, exec, s[2:3]
	ds_write2_b64 v173, v[84:85], v[86:87] offset1:1
.LBB33_35:
	s_or_b64 exec, exec, s[4:5]
	s_waitcnt lgkmcnt(0)
	s_barrier
	ds_read2_b64 v[80:83], v173 offset1:1
	v_cmp_lt_u32_e32 vcc, 3, v172
	s_and_saveexec_b64 s[2:3], vcc
	s_cbranch_execz .LBB33_37
; %bb.36:
	ds_read2_b64 v[84:87], v174 offset0:8 offset1:9
	ds_read2_b64 v[88:91], v174 offset0:10 offset1:11
	s_waitcnt vmcnt(13) lgkmcnt(2)
	v_mul_f64 v[92:93], v[80:81], v[10:11]
	v_fmac_f64_e32 v[92:93], v[82:83], v[8:9]
	v_mul_f64 v[10:11], v[82:83], v[10:11]
	v_fma_f64 v[8:9], v[80:81], v[8:9], -v[10:11]
	s_waitcnt lgkmcnt(1)
	v_mul_f64 v[10:11], v[86:87], v[92:93]
	v_fma_f64 v[10:11], v[84:85], v[8:9], -v[10:11]
	v_mul_f64 v[84:85], v[84:85], v[92:93]
	v_fmac_f64_e32 v[84:85], v[86:87], v[8:9]
	s_waitcnt vmcnt(12)
	v_add_f64 v[62:63], v[62:63], -v[84:85]
	ds_read2_b64 v[84:87], v174 offset0:12 offset1:13
	v_add_f64 v[60:61], v[60:61], -v[10:11]
	s_waitcnt lgkmcnt(1)
	v_mul_f64 v[10:11], v[90:91], v[92:93]
	v_fma_f64 v[10:11], v[88:89], v[8:9], -v[10:11]
	v_mul_f64 v[88:89], v[88:89], v[92:93]
	v_fmac_f64_e32 v[88:89], v[90:91], v[8:9]
	s_waitcnt vmcnt(11)
	v_add_f64 v[56:57], v[56:57], -v[10:11]
	v_add_f64 v[58:59], v[58:59], -v[88:89]
	ds_read2_b64 v[88:91], v174 offset0:14 offset1:15
	s_waitcnt lgkmcnt(1)
	v_mul_f64 v[10:11], v[86:87], v[92:93]
	v_fma_f64 v[10:11], v[84:85], v[8:9], -v[10:11]
	v_mul_f64 v[84:85], v[84:85], v[92:93]
	v_fmac_f64_e32 v[84:85], v[86:87], v[8:9]
	s_waitcnt vmcnt(10)
	v_add_f64 v[54:55], v[54:55], -v[84:85]
	ds_read2_b64 v[84:87], v174 offset0:16 offset1:17
	v_add_f64 v[52:53], v[52:53], -v[10:11]
	s_waitcnt lgkmcnt(1)
	v_mul_f64 v[10:11], v[90:91], v[92:93]
	v_fma_f64 v[10:11], v[88:89], v[8:9], -v[10:11]
	v_mul_f64 v[88:89], v[88:89], v[92:93]
	v_fmac_f64_e32 v[88:89], v[90:91], v[8:9]
	s_waitcnt vmcnt(9)
	v_add_f64 v[48:49], v[48:49], -v[10:11]
	v_add_f64 v[50:51], v[50:51], -v[88:89]
	ds_read2_b64 v[88:91], v174 offset0:18 offset1:19
	;; [unrolled: 18-line block ×5, first 2 shown]
	s_waitcnt lgkmcnt(1)
	v_mul_f64 v[10:11], v[86:87], v[92:93]
	v_fma_f64 v[10:11], v[84:85], v[8:9], -v[10:11]
	v_mul_f64 v[84:85], v[84:85], v[92:93]
	v_fmac_f64_e32 v[84:85], v[86:87], v[8:9]
	s_waitcnt vmcnt(2)
	v_add_f64 v[22:23], v[22:23], -v[84:85]
	ds_read2_b64 v[84:87], v174 offset0:32 offset1:33
	v_add_f64 v[20:21], v[20:21], -v[10:11]
	s_waitcnt lgkmcnt(1)
	v_mul_f64 v[10:11], v[90:91], v[92:93]
	v_fma_f64 v[10:11], v[88:89], v[8:9], -v[10:11]
	s_waitcnt vmcnt(1)
	v_add_f64 v[16:17], v[16:17], -v[10:11]
	s_waitcnt lgkmcnt(0)
	v_mul_f64 v[10:11], v[86:87], v[92:93]
	v_mul_f64 v[88:89], v[88:89], v[92:93]
	v_fma_f64 v[10:11], v[84:85], v[8:9], -v[10:11]
	v_mul_f64 v[84:85], v[84:85], v[92:93]
	v_fmac_f64_e32 v[88:89], v[90:91], v[8:9]
	v_fmac_f64_e32 v[84:85], v[86:87], v[8:9]
	v_add_f64 v[18:19], v[18:19], -v[88:89]
	s_waitcnt vmcnt(0)
	v_add_f64 v[64:65], v[64:65], -v[10:11]
	v_add_f64 v[66:67], v[66:67], -v[84:85]
	v_mov_b64_e32 v[10:11], v[92:93]
.LBB33_37:
	s_or_b64 exec, exec, s[2:3]
	v_cmp_eq_u32_e32 vcc, 4, v172
	s_waitcnt lgkmcnt(0)
	s_barrier
	s_and_saveexec_b64 s[4:5], vcc
	s_cbranch_execz .LBB33_44
; %bb.38:
	s_waitcnt vmcnt(12)
	ds_write2_b64 v173, v[60:61], v[62:63] offset1:1
	s_waitcnt vmcnt(11)
	ds_write2_b64 v174, v[56:57], v[58:59] offset0:10 offset1:11
	s_waitcnt vmcnt(10)
	ds_write2_b64 v174, v[52:53], v[54:55] offset0:12 offset1:13
	;; [unrolled: 2-line block ×12, first 2 shown]
	ds_read2_b64 v[84:87], v173 offset1:1
	s_waitcnt lgkmcnt(0)
	v_cmp_neq_f64_e32 vcc, 0, v[84:85]
	v_cmp_neq_f64_e64 s[2:3], 0, v[86:87]
	s_or_b64 s[2:3], vcc, s[2:3]
	s_and_b64 exec, exec, s[2:3]
	s_cbranch_execz .LBB33_44
; %bb.39:
	v_cmp_ngt_f64_e64 s[2:3], |v[84:85]|, |v[86:87]|
                                        ; implicit-def: $vgpr88_vgpr89
	s_and_saveexec_b64 s[10:11], s[2:3]
	s_xor_b64 s[2:3], exec, s[10:11]
                                        ; implicit-def: $vgpr90_vgpr91
	s_cbranch_execz .LBB33_41
; %bb.40:
	v_div_scale_f64 v[88:89], s[10:11], v[86:87], v[86:87], v[84:85]
	v_rcp_f64_e32 v[90:91], v[88:89]
	v_div_scale_f64 v[92:93], vcc, v[84:85], v[86:87], v[84:85]
	v_fma_f64 v[94:95], -v[88:89], v[90:91], 1.0
	v_fmac_f64_e32 v[90:91], v[90:91], v[94:95]
	v_fma_f64 v[94:95], -v[88:89], v[90:91], 1.0
	v_fmac_f64_e32 v[90:91], v[90:91], v[94:95]
	v_mul_f64 v[94:95], v[92:93], v[90:91]
	v_fma_f64 v[88:89], -v[88:89], v[94:95], v[92:93]
	v_div_fmas_f64 v[88:89], v[88:89], v[90:91], v[94:95]
	v_div_fixup_f64 v[88:89], v[88:89], v[86:87], v[84:85]
	v_fmac_f64_e32 v[86:87], v[84:85], v[88:89]
	v_div_scale_f64 v[84:85], s[10:11], v[86:87], v[86:87], 1.0
	v_rcp_f64_e32 v[90:91], v[84:85]
	s_nop 0
	v_fma_f64 v[92:93], -v[84:85], v[90:91], 1.0
	v_fmac_f64_e32 v[90:91], v[90:91], v[92:93]
	v_fma_f64 v[92:93], -v[84:85], v[90:91], 1.0
	v_fmac_f64_e32 v[90:91], v[90:91], v[92:93]
	v_div_scale_f64 v[92:93], vcc, 1.0, v[86:87], 1.0
	v_mul_f64 v[94:95], v[92:93], v[90:91]
	v_fma_f64 v[84:85], -v[84:85], v[94:95], v[92:93]
	s_nop 1
	v_div_fmas_f64 v[84:85], v[84:85], v[90:91], v[94:95]
	v_div_fixup_f64 v[90:91], v[84:85], v[86:87], 1.0
	v_mul_f64 v[88:89], v[88:89], v[90:91]
	v_xor_b32_e32 v91, 0x80000000, v91
                                        ; implicit-def: $vgpr84_vgpr85
.LBB33_41:
	s_andn2_saveexec_b64 s[2:3], s[2:3]
	s_cbranch_execz .LBB33_43
; %bb.42:
	v_div_scale_f64 v[88:89], s[10:11], v[84:85], v[84:85], v[86:87]
	v_rcp_f64_e32 v[90:91], v[88:89]
	v_div_scale_f64 v[92:93], vcc, v[86:87], v[84:85], v[86:87]
	v_fma_f64 v[94:95], -v[88:89], v[90:91], 1.0
	v_fmac_f64_e32 v[90:91], v[90:91], v[94:95]
	v_fma_f64 v[94:95], -v[88:89], v[90:91], 1.0
	v_fmac_f64_e32 v[90:91], v[90:91], v[94:95]
	v_mul_f64 v[94:95], v[92:93], v[90:91]
	v_fma_f64 v[88:89], -v[88:89], v[94:95], v[92:93]
	v_div_fmas_f64 v[88:89], v[88:89], v[90:91], v[94:95]
	v_div_fixup_f64 v[90:91], v[88:89], v[84:85], v[86:87]
	v_fmac_f64_e32 v[84:85], v[86:87], v[90:91]
	v_div_scale_f64 v[86:87], s[10:11], v[84:85], v[84:85], 1.0
	v_rcp_f64_e32 v[88:89], v[86:87]
	s_nop 0
	v_fma_f64 v[92:93], -v[86:87], v[88:89], 1.0
	v_fmac_f64_e32 v[88:89], v[88:89], v[92:93]
	v_fma_f64 v[92:93], -v[86:87], v[88:89], 1.0
	v_fmac_f64_e32 v[88:89], v[88:89], v[92:93]
	v_div_scale_f64 v[92:93], vcc, 1.0, v[84:85], 1.0
	v_mul_f64 v[94:95], v[92:93], v[88:89]
	v_fma_f64 v[86:87], -v[86:87], v[94:95], v[92:93]
	s_nop 1
	v_div_fmas_f64 v[86:87], v[86:87], v[88:89], v[94:95]
	v_div_fixup_f64 v[88:89], v[86:87], v[84:85], 1.0
	v_mul_f64 v[90:91], v[90:91], -v[88:89]
.LBB33_43:
	s_or_b64 exec, exec, s[2:3]
	ds_write2_b64 v173, v[88:89], v[90:91] offset1:1
.LBB33_44:
	s_or_b64 exec, exec, s[4:5]
	s_waitcnt lgkmcnt(0)
	s_barrier
	ds_read2_b64 v[84:87], v173 offset1:1
	v_cmp_lt_u32_e32 vcc, 4, v172
	s_and_saveexec_b64 s[2:3], vcc
	s_cbranch_execz .LBB33_46
; %bb.45:
	ds_read2_b64 v[88:91], v174 offset0:10 offset1:11
	ds_read2_b64 v[92:95], v174 offset0:12 offset1:13
	s_waitcnt vmcnt(12) lgkmcnt(2)
	v_mul_f64 v[96:97], v[84:85], v[62:63]
	v_fmac_f64_e32 v[96:97], v[86:87], v[60:61]
	v_mul_f64 v[62:63], v[86:87], v[62:63]
	v_fma_f64 v[60:61], v[84:85], v[60:61], -v[62:63]
	s_waitcnt lgkmcnt(1)
	v_mul_f64 v[62:63], v[90:91], v[96:97]
	v_fma_f64 v[62:63], v[88:89], v[60:61], -v[62:63]
	v_mul_f64 v[88:89], v[88:89], v[96:97]
	v_fmac_f64_e32 v[88:89], v[90:91], v[60:61]
	s_waitcnt vmcnt(11)
	v_add_f64 v[56:57], v[56:57], -v[62:63]
	v_add_f64 v[58:59], v[58:59], -v[88:89]
	s_waitcnt lgkmcnt(0)
	v_mul_f64 v[62:63], v[94:95], v[96:97]
	ds_read2_b64 v[88:91], v174 offset0:14 offset1:15
	v_fma_f64 v[62:63], v[92:93], v[60:61], -v[62:63]
	v_mul_f64 v[92:93], v[92:93], v[96:97]
	v_fmac_f64_e32 v[92:93], v[94:95], v[60:61]
	s_waitcnt vmcnt(10)
	v_add_f64 v[54:55], v[54:55], -v[92:93]
	ds_read2_b64 v[92:95], v174 offset0:16 offset1:17
	v_add_f64 v[52:53], v[52:53], -v[62:63]
	s_waitcnt lgkmcnt(1)
	v_mul_f64 v[62:63], v[90:91], v[96:97]
	v_fma_f64 v[62:63], v[88:89], v[60:61], -v[62:63]
	v_mul_f64 v[88:89], v[88:89], v[96:97]
	v_fmac_f64_e32 v[88:89], v[90:91], v[60:61]
	s_waitcnt vmcnt(9)
	v_add_f64 v[48:49], v[48:49], -v[62:63]
	v_add_f64 v[50:51], v[50:51], -v[88:89]
	s_waitcnt lgkmcnt(0)
	v_mul_f64 v[62:63], v[94:95], v[96:97]
	ds_read2_b64 v[88:91], v174 offset0:18 offset1:19
	v_fma_f64 v[62:63], v[92:93], v[60:61], -v[62:63]
	v_mul_f64 v[92:93], v[92:93], v[96:97]
	v_fmac_f64_e32 v[92:93], v[94:95], v[60:61]
	s_waitcnt vmcnt(8)
	v_add_f64 v[46:47], v[46:47], -v[92:93]
	ds_read2_b64 v[92:95], v174 offset0:20 offset1:21
	v_add_f64 v[44:45], v[44:45], -v[62:63]
	;; [unrolled: 18-line block ×5, first 2 shown]
	s_waitcnt lgkmcnt(1)
	v_mul_f64 v[62:63], v[90:91], v[96:97]
	v_fma_f64 v[62:63], v[88:89], v[60:61], -v[62:63]
	v_mul_f64 v[88:89], v[88:89], v[96:97]
	v_fmac_f64_e32 v[88:89], v[90:91], v[60:61]
	s_waitcnt vmcnt(1)
	v_add_f64 v[16:17], v[16:17], -v[62:63]
	v_add_f64 v[18:19], v[18:19], -v[88:89]
	s_waitcnt lgkmcnt(0)
	v_mul_f64 v[62:63], v[94:95], v[96:97]
	v_mul_f64 v[88:89], v[92:93], v[96:97]
	v_fma_f64 v[62:63], v[92:93], v[60:61], -v[62:63]
	v_fmac_f64_e32 v[88:89], v[94:95], v[60:61]
	s_waitcnt vmcnt(0)
	v_add_f64 v[64:65], v[64:65], -v[62:63]
	v_add_f64 v[66:67], v[66:67], -v[88:89]
	v_mov_b64_e32 v[62:63], v[96:97]
.LBB33_46:
	s_or_b64 exec, exec, s[2:3]
	v_cmp_eq_u32_e32 vcc, 5, v172
	s_waitcnt lgkmcnt(0)
	s_barrier
	s_and_saveexec_b64 s[4:5], vcc
	s_cbranch_execz .LBB33_53
; %bb.47:
	s_waitcnt vmcnt(11)
	ds_write2_b64 v173, v[56:57], v[58:59] offset1:1
	s_waitcnt vmcnt(10)
	ds_write2_b64 v174, v[52:53], v[54:55] offset0:12 offset1:13
	s_waitcnt vmcnt(9)
	ds_write2_b64 v174, v[48:49], v[50:51] offset0:14 offset1:15
	;; [unrolled: 2-line block ×11, first 2 shown]
	ds_read2_b64 v[88:91], v173 offset1:1
	s_waitcnt lgkmcnt(0)
	v_cmp_neq_f64_e32 vcc, 0, v[88:89]
	v_cmp_neq_f64_e64 s[2:3], 0, v[90:91]
	s_or_b64 s[2:3], vcc, s[2:3]
	s_and_b64 exec, exec, s[2:3]
	s_cbranch_execz .LBB33_53
; %bb.48:
	v_cmp_ngt_f64_e64 s[2:3], |v[88:89]|, |v[90:91]|
                                        ; implicit-def: $vgpr92_vgpr93
	s_and_saveexec_b64 s[10:11], s[2:3]
	s_xor_b64 s[2:3], exec, s[10:11]
                                        ; implicit-def: $vgpr94_vgpr95
	s_cbranch_execz .LBB33_50
; %bb.49:
	v_div_scale_f64 v[92:93], s[10:11], v[90:91], v[90:91], v[88:89]
	v_rcp_f64_e32 v[94:95], v[92:93]
	v_div_scale_f64 v[96:97], vcc, v[88:89], v[90:91], v[88:89]
	v_fma_f64 v[98:99], -v[92:93], v[94:95], 1.0
	v_fmac_f64_e32 v[94:95], v[94:95], v[98:99]
	v_fma_f64 v[98:99], -v[92:93], v[94:95], 1.0
	v_fmac_f64_e32 v[94:95], v[94:95], v[98:99]
	v_mul_f64 v[98:99], v[96:97], v[94:95]
	v_fma_f64 v[92:93], -v[92:93], v[98:99], v[96:97]
	v_div_fmas_f64 v[92:93], v[92:93], v[94:95], v[98:99]
	v_div_fixup_f64 v[92:93], v[92:93], v[90:91], v[88:89]
	v_fmac_f64_e32 v[90:91], v[88:89], v[92:93]
	v_div_scale_f64 v[88:89], s[10:11], v[90:91], v[90:91], 1.0
	v_rcp_f64_e32 v[94:95], v[88:89]
	s_nop 0
	v_fma_f64 v[96:97], -v[88:89], v[94:95], 1.0
	v_fmac_f64_e32 v[94:95], v[94:95], v[96:97]
	v_fma_f64 v[96:97], -v[88:89], v[94:95], 1.0
	v_fmac_f64_e32 v[94:95], v[94:95], v[96:97]
	v_div_scale_f64 v[96:97], vcc, 1.0, v[90:91], 1.0
	v_mul_f64 v[98:99], v[96:97], v[94:95]
	v_fma_f64 v[88:89], -v[88:89], v[98:99], v[96:97]
	s_nop 1
	v_div_fmas_f64 v[88:89], v[88:89], v[94:95], v[98:99]
	v_div_fixup_f64 v[94:95], v[88:89], v[90:91], 1.0
	v_mul_f64 v[92:93], v[92:93], v[94:95]
	v_xor_b32_e32 v95, 0x80000000, v95
                                        ; implicit-def: $vgpr88_vgpr89
.LBB33_50:
	s_andn2_saveexec_b64 s[2:3], s[2:3]
	s_cbranch_execz .LBB33_52
; %bb.51:
	v_div_scale_f64 v[92:93], s[10:11], v[88:89], v[88:89], v[90:91]
	v_rcp_f64_e32 v[94:95], v[92:93]
	v_div_scale_f64 v[96:97], vcc, v[90:91], v[88:89], v[90:91]
	v_fma_f64 v[98:99], -v[92:93], v[94:95], 1.0
	v_fmac_f64_e32 v[94:95], v[94:95], v[98:99]
	v_fma_f64 v[98:99], -v[92:93], v[94:95], 1.0
	v_fmac_f64_e32 v[94:95], v[94:95], v[98:99]
	v_mul_f64 v[98:99], v[96:97], v[94:95]
	v_fma_f64 v[92:93], -v[92:93], v[98:99], v[96:97]
	v_div_fmas_f64 v[92:93], v[92:93], v[94:95], v[98:99]
	v_div_fixup_f64 v[94:95], v[92:93], v[88:89], v[90:91]
	v_fmac_f64_e32 v[88:89], v[90:91], v[94:95]
	v_div_scale_f64 v[90:91], s[10:11], v[88:89], v[88:89], 1.0
	v_rcp_f64_e32 v[92:93], v[90:91]
	s_nop 0
	v_fma_f64 v[96:97], -v[90:91], v[92:93], 1.0
	v_fmac_f64_e32 v[92:93], v[92:93], v[96:97]
	v_fma_f64 v[96:97], -v[90:91], v[92:93], 1.0
	v_fmac_f64_e32 v[92:93], v[92:93], v[96:97]
	v_div_scale_f64 v[96:97], vcc, 1.0, v[88:89], 1.0
	v_mul_f64 v[98:99], v[96:97], v[92:93]
	v_fma_f64 v[90:91], -v[90:91], v[98:99], v[96:97]
	s_nop 1
	v_div_fmas_f64 v[90:91], v[90:91], v[92:93], v[98:99]
	v_div_fixup_f64 v[92:93], v[90:91], v[88:89], 1.0
	v_mul_f64 v[94:95], v[94:95], -v[92:93]
.LBB33_52:
	s_or_b64 exec, exec, s[2:3]
	ds_write2_b64 v173, v[92:93], v[94:95] offset1:1
.LBB33_53:
	s_or_b64 exec, exec, s[4:5]
	s_waitcnt lgkmcnt(0)
	s_barrier
	ds_read2_b64 v[88:91], v173 offset1:1
	v_cmp_lt_u32_e32 vcc, 5, v172
	s_and_saveexec_b64 s[2:3], vcc
	s_cbranch_execz .LBB33_55
; %bb.54:
	ds_read2_b64 v[92:95], v174 offset0:12 offset1:13
	ds_read2_b64 v[96:99], v174 offset0:14 offset1:15
	s_waitcnt vmcnt(11) lgkmcnt(2)
	v_mul_f64 v[100:101], v[88:89], v[58:59]
	v_fmac_f64_e32 v[100:101], v[90:91], v[56:57]
	v_mul_f64 v[58:59], v[90:91], v[58:59]
	v_fma_f64 v[56:57], v[88:89], v[56:57], -v[58:59]
	s_waitcnt lgkmcnt(1)
	v_mul_f64 v[58:59], v[94:95], v[100:101]
	v_fma_f64 v[58:59], v[92:93], v[56:57], -v[58:59]
	v_mul_f64 v[92:93], v[92:93], v[100:101]
	v_fmac_f64_e32 v[92:93], v[94:95], v[56:57]
	s_waitcnt vmcnt(10)
	v_add_f64 v[54:55], v[54:55], -v[92:93]
	ds_read2_b64 v[92:95], v174 offset0:16 offset1:17
	v_add_f64 v[52:53], v[52:53], -v[58:59]
	s_waitcnt lgkmcnt(1)
	v_mul_f64 v[58:59], v[98:99], v[100:101]
	v_fma_f64 v[58:59], v[96:97], v[56:57], -v[58:59]
	v_mul_f64 v[96:97], v[96:97], v[100:101]
	v_fmac_f64_e32 v[96:97], v[98:99], v[56:57]
	s_waitcnt vmcnt(9)
	v_add_f64 v[48:49], v[48:49], -v[58:59]
	v_add_f64 v[50:51], v[50:51], -v[96:97]
	ds_read2_b64 v[96:99], v174 offset0:18 offset1:19
	s_waitcnt lgkmcnt(1)
	v_mul_f64 v[58:59], v[94:95], v[100:101]
	v_fma_f64 v[58:59], v[92:93], v[56:57], -v[58:59]
	v_mul_f64 v[92:93], v[92:93], v[100:101]
	v_fmac_f64_e32 v[92:93], v[94:95], v[56:57]
	s_waitcnt vmcnt(8)
	v_add_f64 v[46:47], v[46:47], -v[92:93]
	ds_read2_b64 v[92:95], v174 offset0:20 offset1:21
	v_add_f64 v[44:45], v[44:45], -v[58:59]
	s_waitcnt lgkmcnt(1)
	v_mul_f64 v[58:59], v[98:99], v[100:101]
	v_fma_f64 v[58:59], v[96:97], v[56:57], -v[58:59]
	v_mul_f64 v[96:97], v[96:97], v[100:101]
	v_fmac_f64_e32 v[96:97], v[98:99], v[56:57]
	s_waitcnt vmcnt(7)
	v_add_f64 v[40:41], v[40:41], -v[58:59]
	v_add_f64 v[42:43], v[42:43], -v[96:97]
	ds_read2_b64 v[96:99], v174 offset0:22 offset1:23
	;; [unrolled: 18-line block ×4, first 2 shown]
	s_waitcnt lgkmcnt(1)
	v_mul_f64 v[58:59], v[94:95], v[100:101]
	v_fma_f64 v[58:59], v[92:93], v[56:57], -v[58:59]
	v_mul_f64 v[92:93], v[92:93], v[100:101]
	v_fmac_f64_e32 v[92:93], v[94:95], v[56:57]
	s_waitcnt vmcnt(2)
	v_add_f64 v[22:23], v[22:23], -v[92:93]
	ds_read2_b64 v[92:95], v174 offset0:32 offset1:33
	v_add_f64 v[20:21], v[20:21], -v[58:59]
	s_waitcnt lgkmcnt(1)
	v_mul_f64 v[58:59], v[98:99], v[100:101]
	v_fma_f64 v[58:59], v[96:97], v[56:57], -v[58:59]
	s_waitcnt vmcnt(1)
	v_add_f64 v[16:17], v[16:17], -v[58:59]
	s_waitcnt lgkmcnt(0)
	v_mul_f64 v[58:59], v[94:95], v[100:101]
	v_mul_f64 v[96:97], v[96:97], v[100:101]
	v_fma_f64 v[58:59], v[92:93], v[56:57], -v[58:59]
	v_mul_f64 v[92:93], v[92:93], v[100:101]
	v_fmac_f64_e32 v[96:97], v[98:99], v[56:57]
	v_fmac_f64_e32 v[92:93], v[94:95], v[56:57]
	v_add_f64 v[18:19], v[18:19], -v[96:97]
	s_waitcnt vmcnt(0)
	v_add_f64 v[64:65], v[64:65], -v[58:59]
	v_add_f64 v[66:67], v[66:67], -v[92:93]
	v_mov_b64_e32 v[58:59], v[100:101]
.LBB33_55:
	s_or_b64 exec, exec, s[2:3]
	v_cmp_eq_u32_e32 vcc, 6, v172
	s_waitcnt lgkmcnt(0)
	s_barrier
	s_and_saveexec_b64 s[4:5], vcc
	s_cbranch_execz .LBB33_62
; %bb.56:
	s_waitcnt vmcnt(10)
	ds_write2_b64 v173, v[52:53], v[54:55] offset1:1
	s_waitcnt vmcnt(9)
	ds_write2_b64 v174, v[48:49], v[50:51] offset0:14 offset1:15
	s_waitcnt vmcnt(8)
	ds_write2_b64 v174, v[44:45], v[46:47] offset0:16 offset1:17
	;; [unrolled: 2-line block ×10, first 2 shown]
	ds_read2_b64 v[92:95], v173 offset1:1
	s_waitcnt lgkmcnt(0)
	v_cmp_neq_f64_e32 vcc, 0, v[92:93]
	v_cmp_neq_f64_e64 s[2:3], 0, v[94:95]
	s_or_b64 s[2:3], vcc, s[2:3]
	s_and_b64 exec, exec, s[2:3]
	s_cbranch_execz .LBB33_62
; %bb.57:
	v_cmp_ngt_f64_e64 s[2:3], |v[92:93]|, |v[94:95]|
                                        ; implicit-def: $vgpr96_vgpr97
	s_and_saveexec_b64 s[10:11], s[2:3]
	s_xor_b64 s[2:3], exec, s[10:11]
                                        ; implicit-def: $vgpr98_vgpr99
	s_cbranch_execz .LBB33_59
; %bb.58:
	v_div_scale_f64 v[96:97], s[10:11], v[94:95], v[94:95], v[92:93]
	v_rcp_f64_e32 v[98:99], v[96:97]
	v_div_scale_f64 v[100:101], vcc, v[92:93], v[94:95], v[92:93]
	v_fma_f64 v[102:103], -v[96:97], v[98:99], 1.0
	v_fmac_f64_e32 v[98:99], v[98:99], v[102:103]
	v_fma_f64 v[102:103], -v[96:97], v[98:99], 1.0
	v_fmac_f64_e32 v[98:99], v[98:99], v[102:103]
	v_mul_f64 v[102:103], v[100:101], v[98:99]
	v_fma_f64 v[96:97], -v[96:97], v[102:103], v[100:101]
	v_div_fmas_f64 v[96:97], v[96:97], v[98:99], v[102:103]
	v_div_fixup_f64 v[96:97], v[96:97], v[94:95], v[92:93]
	v_fmac_f64_e32 v[94:95], v[92:93], v[96:97]
	v_div_scale_f64 v[92:93], s[10:11], v[94:95], v[94:95], 1.0
	v_rcp_f64_e32 v[98:99], v[92:93]
	s_nop 0
	v_fma_f64 v[100:101], -v[92:93], v[98:99], 1.0
	v_fmac_f64_e32 v[98:99], v[98:99], v[100:101]
	v_fma_f64 v[100:101], -v[92:93], v[98:99], 1.0
	v_fmac_f64_e32 v[98:99], v[98:99], v[100:101]
	v_div_scale_f64 v[100:101], vcc, 1.0, v[94:95], 1.0
	v_mul_f64 v[102:103], v[100:101], v[98:99]
	v_fma_f64 v[92:93], -v[92:93], v[102:103], v[100:101]
	s_nop 1
	v_div_fmas_f64 v[92:93], v[92:93], v[98:99], v[102:103]
	v_div_fixup_f64 v[98:99], v[92:93], v[94:95], 1.0
	v_mul_f64 v[96:97], v[96:97], v[98:99]
	v_xor_b32_e32 v99, 0x80000000, v99
                                        ; implicit-def: $vgpr92_vgpr93
.LBB33_59:
	s_andn2_saveexec_b64 s[2:3], s[2:3]
	s_cbranch_execz .LBB33_61
; %bb.60:
	v_div_scale_f64 v[96:97], s[10:11], v[92:93], v[92:93], v[94:95]
	v_rcp_f64_e32 v[98:99], v[96:97]
	v_div_scale_f64 v[100:101], vcc, v[94:95], v[92:93], v[94:95]
	v_fma_f64 v[102:103], -v[96:97], v[98:99], 1.0
	v_fmac_f64_e32 v[98:99], v[98:99], v[102:103]
	v_fma_f64 v[102:103], -v[96:97], v[98:99], 1.0
	v_fmac_f64_e32 v[98:99], v[98:99], v[102:103]
	v_mul_f64 v[102:103], v[100:101], v[98:99]
	v_fma_f64 v[96:97], -v[96:97], v[102:103], v[100:101]
	v_div_fmas_f64 v[96:97], v[96:97], v[98:99], v[102:103]
	v_div_fixup_f64 v[98:99], v[96:97], v[92:93], v[94:95]
	v_fmac_f64_e32 v[92:93], v[94:95], v[98:99]
	v_div_scale_f64 v[94:95], s[10:11], v[92:93], v[92:93], 1.0
	v_rcp_f64_e32 v[96:97], v[94:95]
	s_nop 0
	v_fma_f64 v[100:101], -v[94:95], v[96:97], 1.0
	v_fmac_f64_e32 v[96:97], v[96:97], v[100:101]
	v_fma_f64 v[100:101], -v[94:95], v[96:97], 1.0
	v_fmac_f64_e32 v[96:97], v[96:97], v[100:101]
	v_div_scale_f64 v[100:101], vcc, 1.0, v[92:93], 1.0
	v_mul_f64 v[102:103], v[100:101], v[96:97]
	v_fma_f64 v[94:95], -v[94:95], v[102:103], v[100:101]
	s_nop 1
	v_div_fmas_f64 v[94:95], v[94:95], v[96:97], v[102:103]
	v_div_fixup_f64 v[96:97], v[94:95], v[92:93], 1.0
	v_mul_f64 v[98:99], v[98:99], -v[96:97]
.LBB33_61:
	s_or_b64 exec, exec, s[2:3]
	ds_write2_b64 v173, v[96:97], v[98:99] offset1:1
.LBB33_62:
	s_or_b64 exec, exec, s[4:5]
	s_waitcnt lgkmcnt(0)
	s_barrier
	ds_read2_b64 v[92:95], v173 offset1:1
	v_cmp_lt_u32_e32 vcc, 6, v172
	s_and_saveexec_b64 s[2:3], vcc
	s_cbranch_execz .LBB33_64
; %bb.63:
	ds_read2_b64 v[96:99], v174 offset0:14 offset1:15
	ds_read2_b64 v[100:103], v174 offset0:16 offset1:17
	s_waitcnt vmcnt(10) lgkmcnt(2)
	v_mul_f64 v[104:105], v[92:93], v[54:55]
	v_fmac_f64_e32 v[104:105], v[94:95], v[52:53]
	v_mul_f64 v[54:55], v[94:95], v[54:55]
	v_fma_f64 v[52:53], v[92:93], v[52:53], -v[54:55]
	s_waitcnt lgkmcnt(1)
	v_mul_f64 v[54:55], v[98:99], v[104:105]
	v_fma_f64 v[54:55], v[96:97], v[52:53], -v[54:55]
	v_mul_f64 v[96:97], v[96:97], v[104:105]
	v_fmac_f64_e32 v[96:97], v[98:99], v[52:53]
	s_waitcnt vmcnt(9)
	v_add_f64 v[48:49], v[48:49], -v[54:55]
	v_add_f64 v[50:51], v[50:51], -v[96:97]
	s_waitcnt lgkmcnt(0)
	v_mul_f64 v[54:55], v[102:103], v[104:105]
	ds_read2_b64 v[96:99], v174 offset0:18 offset1:19
	v_fma_f64 v[54:55], v[100:101], v[52:53], -v[54:55]
	v_mul_f64 v[100:101], v[100:101], v[104:105]
	v_fmac_f64_e32 v[100:101], v[102:103], v[52:53]
	s_waitcnt vmcnt(8)
	v_add_f64 v[46:47], v[46:47], -v[100:101]
	ds_read2_b64 v[100:103], v174 offset0:20 offset1:21
	v_add_f64 v[44:45], v[44:45], -v[54:55]
	s_waitcnt lgkmcnt(1)
	v_mul_f64 v[54:55], v[98:99], v[104:105]
	v_fma_f64 v[54:55], v[96:97], v[52:53], -v[54:55]
	v_mul_f64 v[96:97], v[96:97], v[104:105]
	v_fmac_f64_e32 v[96:97], v[98:99], v[52:53]
	s_waitcnt vmcnt(7)
	v_add_f64 v[40:41], v[40:41], -v[54:55]
	v_add_f64 v[42:43], v[42:43], -v[96:97]
	s_waitcnt lgkmcnt(0)
	v_mul_f64 v[54:55], v[102:103], v[104:105]
	ds_read2_b64 v[96:99], v174 offset0:22 offset1:23
	v_fma_f64 v[54:55], v[100:101], v[52:53], -v[54:55]
	v_mul_f64 v[100:101], v[100:101], v[104:105]
	v_fmac_f64_e32 v[100:101], v[102:103], v[52:53]
	s_waitcnt vmcnt(6)
	v_add_f64 v[38:39], v[38:39], -v[100:101]
	ds_read2_b64 v[100:103], v174 offset0:24 offset1:25
	v_add_f64 v[36:37], v[36:37], -v[54:55]
	;; [unrolled: 18-line block ×4, first 2 shown]
	s_waitcnt lgkmcnt(1)
	v_mul_f64 v[54:55], v[98:99], v[104:105]
	v_fma_f64 v[54:55], v[96:97], v[52:53], -v[54:55]
	v_mul_f64 v[96:97], v[96:97], v[104:105]
	v_fmac_f64_e32 v[96:97], v[98:99], v[52:53]
	s_waitcnt vmcnt(1)
	v_add_f64 v[16:17], v[16:17], -v[54:55]
	v_add_f64 v[18:19], v[18:19], -v[96:97]
	s_waitcnt lgkmcnt(0)
	v_mul_f64 v[54:55], v[102:103], v[104:105]
	v_mul_f64 v[96:97], v[100:101], v[104:105]
	v_fma_f64 v[54:55], v[100:101], v[52:53], -v[54:55]
	v_fmac_f64_e32 v[96:97], v[102:103], v[52:53]
	s_waitcnt vmcnt(0)
	v_add_f64 v[64:65], v[64:65], -v[54:55]
	v_add_f64 v[66:67], v[66:67], -v[96:97]
	v_mov_b64_e32 v[54:55], v[104:105]
.LBB33_64:
	s_or_b64 exec, exec, s[2:3]
	v_cmp_eq_u32_e32 vcc, 7, v172
	s_waitcnt lgkmcnt(0)
	s_barrier
	s_and_saveexec_b64 s[4:5], vcc
	s_cbranch_execz .LBB33_71
; %bb.65:
	s_waitcnt vmcnt(9)
	ds_write2_b64 v173, v[48:49], v[50:51] offset1:1
	s_waitcnt vmcnt(8)
	ds_write2_b64 v174, v[44:45], v[46:47] offset0:16 offset1:17
	s_waitcnt vmcnt(7)
	ds_write2_b64 v174, v[40:41], v[42:43] offset0:18 offset1:19
	;; [unrolled: 2-line block ×9, first 2 shown]
	ds_read2_b64 v[96:99], v173 offset1:1
	s_waitcnt lgkmcnt(0)
	v_cmp_neq_f64_e32 vcc, 0, v[96:97]
	v_cmp_neq_f64_e64 s[2:3], 0, v[98:99]
	s_or_b64 s[2:3], vcc, s[2:3]
	s_and_b64 exec, exec, s[2:3]
	s_cbranch_execz .LBB33_71
; %bb.66:
	v_cmp_ngt_f64_e64 s[2:3], |v[96:97]|, |v[98:99]|
                                        ; implicit-def: $vgpr100_vgpr101
	s_and_saveexec_b64 s[10:11], s[2:3]
	s_xor_b64 s[2:3], exec, s[10:11]
                                        ; implicit-def: $vgpr102_vgpr103
	s_cbranch_execz .LBB33_68
; %bb.67:
	v_div_scale_f64 v[100:101], s[10:11], v[98:99], v[98:99], v[96:97]
	v_rcp_f64_e32 v[102:103], v[100:101]
	v_div_scale_f64 v[104:105], vcc, v[96:97], v[98:99], v[96:97]
	v_fma_f64 v[106:107], -v[100:101], v[102:103], 1.0
	v_fmac_f64_e32 v[102:103], v[102:103], v[106:107]
	v_fma_f64 v[106:107], -v[100:101], v[102:103], 1.0
	v_fmac_f64_e32 v[102:103], v[102:103], v[106:107]
	v_mul_f64 v[106:107], v[104:105], v[102:103]
	v_fma_f64 v[100:101], -v[100:101], v[106:107], v[104:105]
	v_div_fmas_f64 v[100:101], v[100:101], v[102:103], v[106:107]
	v_div_fixup_f64 v[100:101], v[100:101], v[98:99], v[96:97]
	v_fmac_f64_e32 v[98:99], v[96:97], v[100:101]
	v_div_scale_f64 v[96:97], s[10:11], v[98:99], v[98:99], 1.0
	v_rcp_f64_e32 v[102:103], v[96:97]
	s_nop 0
	v_fma_f64 v[104:105], -v[96:97], v[102:103], 1.0
	v_fmac_f64_e32 v[102:103], v[102:103], v[104:105]
	v_fma_f64 v[104:105], -v[96:97], v[102:103], 1.0
	v_fmac_f64_e32 v[102:103], v[102:103], v[104:105]
	v_div_scale_f64 v[104:105], vcc, 1.0, v[98:99], 1.0
	v_mul_f64 v[106:107], v[104:105], v[102:103]
	v_fma_f64 v[96:97], -v[96:97], v[106:107], v[104:105]
	s_nop 1
	v_div_fmas_f64 v[96:97], v[96:97], v[102:103], v[106:107]
	v_div_fixup_f64 v[102:103], v[96:97], v[98:99], 1.0
	v_mul_f64 v[100:101], v[100:101], v[102:103]
	v_xor_b32_e32 v103, 0x80000000, v103
                                        ; implicit-def: $vgpr96_vgpr97
.LBB33_68:
	s_andn2_saveexec_b64 s[2:3], s[2:3]
	s_cbranch_execz .LBB33_70
; %bb.69:
	v_div_scale_f64 v[100:101], s[10:11], v[96:97], v[96:97], v[98:99]
	v_rcp_f64_e32 v[102:103], v[100:101]
	v_div_scale_f64 v[104:105], vcc, v[98:99], v[96:97], v[98:99]
	v_fma_f64 v[106:107], -v[100:101], v[102:103], 1.0
	v_fmac_f64_e32 v[102:103], v[102:103], v[106:107]
	v_fma_f64 v[106:107], -v[100:101], v[102:103], 1.0
	v_fmac_f64_e32 v[102:103], v[102:103], v[106:107]
	v_mul_f64 v[106:107], v[104:105], v[102:103]
	v_fma_f64 v[100:101], -v[100:101], v[106:107], v[104:105]
	v_div_fmas_f64 v[100:101], v[100:101], v[102:103], v[106:107]
	v_div_fixup_f64 v[102:103], v[100:101], v[96:97], v[98:99]
	v_fmac_f64_e32 v[96:97], v[98:99], v[102:103]
	v_div_scale_f64 v[98:99], s[10:11], v[96:97], v[96:97], 1.0
	v_rcp_f64_e32 v[100:101], v[98:99]
	s_nop 0
	v_fma_f64 v[104:105], -v[98:99], v[100:101], 1.0
	v_fmac_f64_e32 v[100:101], v[100:101], v[104:105]
	v_fma_f64 v[104:105], -v[98:99], v[100:101], 1.0
	v_fmac_f64_e32 v[100:101], v[100:101], v[104:105]
	v_div_scale_f64 v[104:105], vcc, 1.0, v[96:97], 1.0
	v_mul_f64 v[106:107], v[104:105], v[100:101]
	v_fma_f64 v[98:99], -v[98:99], v[106:107], v[104:105]
	s_nop 1
	v_div_fmas_f64 v[98:99], v[98:99], v[100:101], v[106:107]
	v_div_fixup_f64 v[100:101], v[98:99], v[96:97], 1.0
	v_mul_f64 v[102:103], v[102:103], -v[100:101]
.LBB33_70:
	s_or_b64 exec, exec, s[2:3]
	ds_write2_b64 v173, v[100:101], v[102:103] offset1:1
.LBB33_71:
	s_or_b64 exec, exec, s[4:5]
	s_waitcnt lgkmcnt(0)
	s_barrier
	ds_read2_b64 v[96:99], v173 offset1:1
	v_cmp_lt_u32_e32 vcc, 7, v172
	s_and_saveexec_b64 s[2:3], vcc
	s_cbranch_execz .LBB33_73
; %bb.72:
	ds_read2_b64 v[100:103], v174 offset0:16 offset1:17
	ds_read2_b64 v[104:107], v174 offset0:18 offset1:19
	s_waitcnt vmcnt(9) lgkmcnt(2)
	v_mul_f64 v[108:109], v[96:97], v[50:51]
	v_fmac_f64_e32 v[108:109], v[98:99], v[48:49]
	v_mul_f64 v[50:51], v[98:99], v[50:51]
	v_fma_f64 v[48:49], v[96:97], v[48:49], -v[50:51]
	s_waitcnt lgkmcnt(1)
	v_mul_f64 v[50:51], v[102:103], v[108:109]
	v_fma_f64 v[50:51], v[100:101], v[48:49], -v[50:51]
	v_mul_f64 v[100:101], v[100:101], v[108:109]
	v_fmac_f64_e32 v[100:101], v[102:103], v[48:49]
	s_waitcnt vmcnt(8)
	v_add_f64 v[46:47], v[46:47], -v[100:101]
	ds_read2_b64 v[100:103], v174 offset0:20 offset1:21
	v_add_f64 v[44:45], v[44:45], -v[50:51]
	s_waitcnt lgkmcnt(1)
	v_mul_f64 v[50:51], v[106:107], v[108:109]
	v_fma_f64 v[50:51], v[104:105], v[48:49], -v[50:51]
	v_mul_f64 v[104:105], v[104:105], v[108:109]
	v_fmac_f64_e32 v[104:105], v[106:107], v[48:49]
	s_waitcnt vmcnt(7)
	v_add_f64 v[40:41], v[40:41], -v[50:51]
	v_add_f64 v[42:43], v[42:43], -v[104:105]
	ds_read2_b64 v[104:107], v174 offset0:22 offset1:23
	s_waitcnt lgkmcnt(1)
	v_mul_f64 v[50:51], v[102:103], v[108:109]
	v_fma_f64 v[50:51], v[100:101], v[48:49], -v[50:51]
	v_mul_f64 v[100:101], v[100:101], v[108:109]
	v_fmac_f64_e32 v[100:101], v[102:103], v[48:49]
	s_waitcnt vmcnt(6)
	v_add_f64 v[38:39], v[38:39], -v[100:101]
	ds_read2_b64 v[100:103], v174 offset0:24 offset1:25
	v_add_f64 v[36:37], v[36:37], -v[50:51]
	s_waitcnt lgkmcnt(1)
	v_mul_f64 v[50:51], v[106:107], v[108:109]
	v_fma_f64 v[50:51], v[104:105], v[48:49], -v[50:51]
	v_mul_f64 v[104:105], v[104:105], v[108:109]
	v_fmac_f64_e32 v[104:105], v[106:107], v[48:49]
	s_waitcnt vmcnt(5)
	v_add_f64 v[32:33], v[32:33], -v[50:51]
	v_add_f64 v[34:35], v[34:35], -v[104:105]
	ds_read2_b64 v[104:107], v174 offset0:26 offset1:27
	;; [unrolled: 18-line block ×3, first 2 shown]
	s_waitcnt lgkmcnt(1)
	v_mul_f64 v[50:51], v[102:103], v[108:109]
	v_fma_f64 v[50:51], v[100:101], v[48:49], -v[50:51]
	v_mul_f64 v[100:101], v[100:101], v[108:109]
	v_fmac_f64_e32 v[100:101], v[102:103], v[48:49]
	s_waitcnt vmcnt(2)
	v_add_f64 v[22:23], v[22:23], -v[100:101]
	ds_read2_b64 v[100:103], v174 offset0:32 offset1:33
	v_add_f64 v[20:21], v[20:21], -v[50:51]
	s_waitcnt lgkmcnt(1)
	v_mul_f64 v[50:51], v[106:107], v[108:109]
	v_fma_f64 v[50:51], v[104:105], v[48:49], -v[50:51]
	s_waitcnt vmcnt(1)
	v_add_f64 v[16:17], v[16:17], -v[50:51]
	s_waitcnt lgkmcnt(0)
	v_mul_f64 v[50:51], v[102:103], v[108:109]
	v_mul_f64 v[104:105], v[104:105], v[108:109]
	v_fma_f64 v[50:51], v[100:101], v[48:49], -v[50:51]
	v_mul_f64 v[100:101], v[100:101], v[108:109]
	v_fmac_f64_e32 v[104:105], v[106:107], v[48:49]
	v_fmac_f64_e32 v[100:101], v[102:103], v[48:49]
	v_add_f64 v[18:19], v[18:19], -v[104:105]
	s_waitcnt vmcnt(0)
	v_add_f64 v[64:65], v[64:65], -v[50:51]
	v_add_f64 v[66:67], v[66:67], -v[100:101]
	v_mov_b64_e32 v[50:51], v[108:109]
.LBB33_73:
	s_or_b64 exec, exec, s[2:3]
	v_cmp_eq_u32_e32 vcc, 8, v172
	s_waitcnt lgkmcnt(0)
	s_barrier
	s_and_saveexec_b64 s[4:5], vcc
	s_cbranch_execz .LBB33_80
; %bb.74:
	s_waitcnt vmcnt(8)
	ds_write2_b64 v173, v[44:45], v[46:47] offset1:1
	s_waitcnt vmcnt(7)
	ds_write2_b64 v174, v[40:41], v[42:43] offset0:18 offset1:19
	s_waitcnt vmcnt(6)
	ds_write2_b64 v174, v[36:37], v[38:39] offset0:20 offset1:21
	;; [unrolled: 2-line block ×8, first 2 shown]
	ds_read2_b64 v[100:103], v173 offset1:1
	s_waitcnt lgkmcnt(0)
	v_cmp_neq_f64_e32 vcc, 0, v[100:101]
	v_cmp_neq_f64_e64 s[2:3], 0, v[102:103]
	s_or_b64 s[2:3], vcc, s[2:3]
	s_and_b64 exec, exec, s[2:3]
	s_cbranch_execz .LBB33_80
; %bb.75:
	v_cmp_ngt_f64_e64 s[2:3], |v[100:101]|, |v[102:103]|
                                        ; implicit-def: $vgpr104_vgpr105
	s_and_saveexec_b64 s[10:11], s[2:3]
	s_xor_b64 s[2:3], exec, s[10:11]
                                        ; implicit-def: $vgpr106_vgpr107
	s_cbranch_execz .LBB33_77
; %bb.76:
	v_div_scale_f64 v[104:105], s[10:11], v[102:103], v[102:103], v[100:101]
	v_rcp_f64_e32 v[106:107], v[104:105]
	v_div_scale_f64 v[108:109], vcc, v[100:101], v[102:103], v[100:101]
	v_fma_f64 v[110:111], -v[104:105], v[106:107], 1.0
	v_fmac_f64_e32 v[106:107], v[106:107], v[110:111]
	v_fma_f64 v[110:111], -v[104:105], v[106:107], 1.0
	v_fmac_f64_e32 v[106:107], v[106:107], v[110:111]
	v_mul_f64 v[110:111], v[108:109], v[106:107]
	v_fma_f64 v[104:105], -v[104:105], v[110:111], v[108:109]
	v_div_fmas_f64 v[104:105], v[104:105], v[106:107], v[110:111]
	v_div_fixup_f64 v[104:105], v[104:105], v[102:103], v[100:101]
	v_fmac_f64_e32 v[102:103], v[100:101], v[104:105]
	v_div_scale_f64 v[100:101], s[10:11], v[102:103], v[102:103], 1.0
	v_rcp_f64_e32 v[106:107], v[100:101]
	s_nop 0
	v_fma_f64 v[108:109], -v[100:101], v[106:107], 1.0
	v_fmac_f64_e32 v[106:107], v[106:107], v[108:109]
	v_fma_f64 v[108:109], -v[100:101], v[106:107], 1.0
	v_fmac_f64_e32 v[106:107], v[106:107], v[108:109]
	v_div_scale_f64 v[108:109], vcc, 1.0, v[102:103], 1.0
	v_mul_f64 v[110:111], v[108:109], v[106:107]
	v_fma_f64 v[100:101], -v[100:101], v[110:111], v[108:109]
	s_nop 1
	v_div_fmas_f64 v[100:101], v[100:101], v[106:107], v[110:111]
	v_div_fixup_f64 v[106:107], v[100:101], v[102:103], 1.0
	v_mul_f64 v[104:105], v[104:105], v[106:107]
	v_xor_b32_e32 v107, 0x80000000, v107
                                        ; implicit-def: $vgpr100_vgpr101
.LBB33_77:
	s_andn2_saveexec_b64 s[2:3], s[2:3]
	s_cbranch_execz .LBB33_79
; %bb.78:
	v_div_scale_f64 v[104:105], s[10:11], v[100:101], v[100:101], v[102:103]
	v_rcp_f64_e32 v[106:107], v[104:105]
	v_div_scale_f64 v[108:109], vcc, v[102:103], v[100:101], v[102:103]
	v_fma_f64 v[110:111], -v[104:105], v[106:107], 1.0
	v_fmac_f64_e32 v[106:107], v[106:107], v[110:111]
	v_fma_f64 v[110:111], -v[104:105], v[106:107], 1.0
	v_fmac_f64_e32 v[106:107], v[106:107], v[110:111]
	v_mul_f64 v[110:111], v[108:109], v[106:107]
	v_fma_f64 v[104:105], -v[104:105], v[110:111], v[108:109]
	v_div_fmas_f64 v[104:105], v[104:105], v[106:107], v[110:111]
	v_div_fixup_f64 v[106:107], v[104:105], v[100:101], v[102:103]
	v_fmac_f64_e32 v[100:101], v[102:103], v[106:107]
	v_div_scale_f64 v[102:103], s[10:11], v[100:101], v[100:101], 1.0
	v_rcp_f64_e32 v[104:105], v[102:103]
	s_nop 0
	v_fma_f64 v[108:109], -v[102:103], v[104:105], 1.0
	v_fmac_f64_e32 v[104:105], v[104:105], v[108:109]
	v_fma_f64 v[108:109], -v[102:103], v[104:105], 1.0
	v_fmac_f64_e32 v[104:105], v[104:105], v[108:109]
	v_div_scale_f64 v[108:109], vcc, 1.0, v[100:101], 1.0
	v_mul_f64 v[110:111], v[108:109], v[104:105]
	v_fma_f64 v[102:103], -v[102:103], v[110:111], v[108:109]
	s_nop 1
	v_div_fmas_f64 v[102:103], v[102:103], v[104:105], v[110:111]
	v_div_fixup_f64 v[104:105], v[102:103], v[100:101], 1.0
	v_mul_f64 v[106:107], v[106:107], -v[104:105]
.LBB33_79:
	s_or_b64 exec, exec, s[2:3]
	ds_write2_b64 v173, v[104:105], v[106:107] offset1:1
.LBB33_80:
	s_or_b64 exec, exec, s[4:5]
	s_waitcnt lgkmcnt(0)
	s_barrier
	ds_read2_b64 v[100:103], v173 offset1:1
	v_cmp_lt_u32_e32 vcc, 8, v172
	s_and_saveexec_b64 s[2:3], vcc
	s_cbranch_execz .LBB33_82
; %bb.81:
	ds_read2_b64 v[104:107], v174 offset0:18 offset1:19
	ds_read2_b64 v[108:111], v174 offset0:20 offset1:21
	s_waitcnt vmcnt(8) lgkmcnt(2)
	v_mul_f64 v[112:113], v[100:101], v[46:47]
	v_fmac_f64_e32 v[112:113], v[102:103], v[44:45]
	v_mul_f64 v[46:47], v[102:103], v[46:47]
	v_fma_f64 v[44:45], v[100:101], v[44:45], -v[46:47]
	s_waitcnt lgkmcnt(1)
	v_mul_f64 v[46:47], v[106:107], v[112:113]
	v_fma_f64 v[46:47], v[104:105], v[44:45], -v[46:47]
	v_mul_f64 v[104:105], v[104:105], v[112:113]
	v_fmac_f64_e32 v[104:105], v[106:107], v[44:45]
	s_waitcnt vmcnt(7)
	v_add_f64 v[40:41], v[40:41], -v[46:47]
	v_add_f64 v[42:43], v[42:43], -v[104:105]
	s_waitcnt lgkmcnt(0)
	v_mul_f64 v[46:47], v[110:111], v[112:113]
	ds_read2_b64 v[104:107], v174 offset0:22 offset1:23
	v_fma_f64 v[46:47], v[108:109], v[44:45], -v[46:47]
	v_mul_f64 v[108:109], v[108:109], v[112:113]
	v_fmac_f64_e32 v[108:109], v[110:111], v[44:45]
	s_waitcnt vmcnt(6)
	v_add_f64 v[38:39], v[38:39], -v[108:109]
	ds_read2_b64 v[108:111], v174 offset0:24 offset1:25
	v_add_f64 v[36:37], v[36:37], -v[46:47]
	s_waitcnt lgkmcnt(1)
	v_mul_f64 v[46:47], v[106:107], v[112:113]
	v_fma_f64 v[46:47], v[104:105], v[44:45], -v[46:47]
	v_mul_f64 v[104:105], v[104:105], v[112:113]
	v_fmac_f64_e32 v[104:105], v[106:107], v[44:45]
	s_waitcnt vmcnt(5)
	v_add_f64 v[32:33], v[32:33], -v[46:47]
	v_add_f64 v[34:35], v[34:35], -v[104:105]
	s_waitcnt lgkmcnt(0)
	v_mul_f64 v[46:47], v[110:111], v[112:113]
	ds_read2_b64 v[104:107], v174 offset0:26 offset1:27
	v_fma_f64 v[46:47], v[108:109], v[44:45], -v[46:47]
	v_mul_f64 v[108:109], v[108:109], v[112:113]
	v_fmac_f64_e32 v[108:109], v[110:111], v[44:45]
	s_waitcnt vmcnt(4)
	v_add_f64 v[30:31], v[30:31], -v[108:109]
	ds_read2_b64 v[108:111], v174 offset0:28 offset1:29
	v_add_f64 v[28:29], v[28:29], -v[46:47]
	s_waitcnt lgkmcnt(1)
	v_mul_f64 v[46:47], v[106:107], v[112:113]
	v_fma_f64 v[46:47], v[104:105], v[44:45], -v[46:47]
	v_mul_f64 v[104:105], v[104:105], v[112:113]
	v_fmac_f64_e32 v[104:105], v[106:107], v[44:45]
	s_waitcnt vmcnt(3)
	v_add_f64 v[24:25], v[24:25], -v[46:47]
	v_add_f64 v[26:27], v[26:27], -v[104:105]
	s_waitcnt lgkmcnt(0)
	v_mul_f64 v[46:47], v[110:111], v[112:113]
	ds_read2_b64 v[104:107], v174 offset0:30 offset1:31
	v_fma_f64 v[46:47], v[108:109], v[44:45], -v[46:47]
	v_mul_f64 v[108:109], v[108:109], v[112:113]
	v_fmac_f64_e32 v[108:109], v[110:111], v[44:45]
	s_waitcnt vmcnt(2)
	v_add_f64 v[22:23], v[22:23], -v[108:109]
	ds_read2_b64 v[108:111], v174 offset0:32 offset1:33
	v_add_f64 v[20:21], v[20:21], -v[46:47]
	s_waitcnt lgkmcnt(1)
	v_mul_f64 v[46:47], v[106:107], v[112:113]
	v_fma_f64 v[46:47], v[104:105], v[44:45], -v[46:47]
	v_mul_f64 v[104:105], v[104:105], v[112:113]
	v_fmac_f64_e32 v[104:105], v[106:107], v[44:45]
	s_waitcnt vmcnt(1)
	v_add_f64 v[16:17], v[16:17], -v[46:47]
	v_add_f64 v[18:19], v[18:19], -v[104:105]
	s_waitcnt lgkmcnt(0)
	v_mul_f64 v[46:47], v[110:111], v[112:113]
	v_mul_f64 v[104:105], v[108:109], v[112:113]
	v_fma_f64 v[46:47], v[108:109], v[44:45], -v[46:47]
	v_fmac_f64_e32 v[104:105], v[110:111], v[44:45]
	s_waitcnt vmcnt(0)
	v_add_f64 v[64:65], v[64:65], -v[46:47]
	v_add_f64 v[66:67], v[66:67], -v[104:105]
	v_mov_b64_e32 v[46:47], v[112:113]
.LBB33_82:
	s_or_b64 exec, exec, s[2:3]
	v_cmp_eq_u32_e32 vcc, 9, v172
	s_waitcnt lgkmcnt(0)
	s_barrier
	s_and_saveexec_b64 s[4:5], vcc
	s_cbranch_execz .LBB33_89
; %bb.83:
	s_waitcnt vmcnt(7)
	ds_write2_b64 v173, v[40:41], v[42:43] offset1:1
	s_waitcnt vmcnt(6)
	ds_write2_b64 v174, v[36:37], v[38:39] offset0:20 offset1:21
	s_waitcnt vmcnt(5)
	ds_write2_b64 v174, v[32:33], v[34:35] offset0:22 offset1:23
	;; [unrolled: 2-line block ×7, first 2 shown]
	ds_read2_b64 v[104:107], v173 offset1:1
	s_waitcnt lgkmcnt(0)
	v_cmp_neq_f64_e32 vcc, 0, v[104:105]
	v_cmp_neq_f64_e64 s[2:3], 0, v[106:107]
	s_or_b64 s[2:3], vcc, s[2:3]
	s_and_b64 exec, exec, s[2:3]
	s_cbranch_execz .LBB33_89
; %bb.84:
	v_cmp_ngt_f64_e64 s[2:3], |v[104:105]|, |v[106:107]|
                                        ; implicit-def: $vgpr108_vgpr109
	s_and_saveexec_b64 s[10:11], s[2:3]
	s_xor_b64 s[2:3], exec, s[10:11]
                                        ; implicit-def: $vgpr110_vgpr111
	s_cbranch_execz .LBB33_86
; %bb.85:
	v_div_scale_f64 v[108:109], s[10:11], v[106:107], v[106:107], v[104:105]
	v_rcp_f64_e32 v[110:111], v[108:109]
	v_div_scale_f64 v[112:113], vcc, v[104:105], v[106:107], v[104:105]
	v_fma_f64 v[114:115], -v[108:109], v[110:111], 1.0
	v_fmac_f64_e32 v[110:111], v[110:111], v[114:115]
	v_fma_f64 v[114:115], -v[108:109], v[110:111], 1.0
	v_fmac_f64_e32 v[110:111], v[110:111], v[114:115]
	v_mul_f64 v[114:115], v[112:113], v[110:111]
	v_fma_f64 v[108:109], -v[108:109], v[114:115], v[112:113]
	v_div_fmas_f64 v[108:109], v[108:109], v[110:111], v[114:115]
	v_div_fixup_f64 v[108:109], v[108:109], v[106:107], v[104:105]
	v_fmac_f64_e32 v[106:107], v[104:105], v[108:109]
	v_div_scale_f64 v[104:105], s[10:11], v[106:107], v[106:107], 1.0
	v_rcp_f64_e32 v[110:111], v[104:105]
	s_nop 0
	v_fma_f64 v[112:113], -v[104:105], v[110:111], 1.0
	v_fmac_f64_e32 v[110:111], v[110:111], v[112:113]
	v_fma_f64 v[112:113], -v[104:105], v[110:111], 1.0
	v_fmac_f64_e32 v[110:111], v[110:111], v[112:113]
	v_div_scale_f64 v[112:113], vcc, 1.0, v[106:107], 1.0
	v_mul_f64 v[114:115], v[112:113], v[110:111]
	v_fma_f64 v[104:105], -v[104:105], v[114:115], v[112:113]
	s_nop 1
	v_div_fmas_f64 v[104:105], v[104:105], v[110:111], v[114:115]
	v_div_fixup_f64 v[110:111], v[104:105], v[106:107], 1.0
	v_mul_f64 v[108:109], v[108:109], v[110:111]
	v_xor_b32_e32 v111, 0x80000000, v111
                                        ; implicit-def: $vgpr104_vgpr105
.LBB33_86:
	s_andn2_saveexec_b64 s[2:3], s[2:3]
	s_cbranch_execz .LBB33_88
; %bb.87:
	v_div_scale_f64 v[108:109], s[10:11], v[104:105], v[104:105], v[106:107]
	v_rcp_f64_e32 v[110:111], v[108:109]
	v_div_scale_f64 v[112:113], vcc, v[106:107], v[104:105], v[106:107]
	v_fma_f64 v[114:115], -v[108:109], v[110:111], 1.0
	v_fmac_f64_e32 v[110:111], v[110:111], v[114:115]
	v_fma_f64 v[114:115], -v[108:109], v[110:111], 1.0
	v_fmac_f64_e32 v[110:111], v[110:111], v[114:115]
	v_mul_f64 v[114:115], v[112:113], v[110:111]
	v_fma_f64 v[108:109], -v[108:109], v[114:115], v[112:113]
	v_div_fmas_f64 v[108:109], v[108:109], v[110:111], v[114:115]
	v_div_fixup_f64 v[110:111], v[108:109], v[104:105], v[106:107]
	v_fmac_f64_e32 v[104:105], v[106:107], v[110:111]
	v_div_scale_f64 v[106:107], s[10:11], v[104:105], v[104:105], 1.0
	v_rcp_f64_e32 v[108:109], v[106:107]
	s_nop 0
	v_fma_f64 v[112:113], -v[106:107], v[108:109], 1.0
	v_fmac_f64_e32 v[108:109], v[108:109], v[112:113]
	v_fma_f64 v[112:113], -v[106:107], v[108:109], 1.0
	v_fmac_f64_e32 v[108:109], v[108:109], v[112:113]
	v_div_scale_f64 v[112:113], vcc, 1.0, v[104:105], 1.0
	v_mul_f64 v[114:115], v[112:113], v[108:109]
	v_fma_f64 v[106:107], -v[106:107], v[114:115], v[112:113]
	s_nop 1
	v_div_fmas_f64 v[106:107], v[106:107], v[108:109], v[114:115]
	v_div_fixup_f64 v[108:109], v[106:107], v[104:105], 1.0
	v_mul_f64 v[110:111], v[110:111], -v[108:109]
.LBB33_88:
	s_or_b64 exec, exec, s[2:3]
	ds_write2_b64 v173, v[108:109], v[110:111] offset1:1
.LBB33_89:
	s_or_b64 exec, exec, s[4:5]
	s_waitcnt lgkmcnt(0)
	s_barrier
	ds_read2_b64 v[104:107], v173 offset1:1
	v_cmp_lt_u32_e32 vcc, 9, v172
	s_and_saveexec_b64 s[2:3], vcc
	s_cbranch_execz .LBB33_91
; %bb.90:
	ds_read2_b64 v[108:111], v174 offset0:20 offset1:21
	ds_read2_b64 v[112:115], v174 offset0:22 offset1:23
	s_waitcnt vmcnt(7) lgkmcnt(2)
	v_mul_f64 v[116:117], v[104:105], v[42:43]
	v_fmac_f64_e32 v[116:117], v[106:107], v[40:41]
	v_mul_f64 v[42:43], v[106:107], v[42:43]
	v_fma_f64 v[40:41], v[104:105], v[40:41], -v[42:43]
	s_waitcnt lgkmcnt(1)
	v_mul_f64 v[42:43], v[110:111], v[116:117]
	v_fma_f64 v[42:43], v[108:109], v[40:41], -v[42:43]
	v_mul_f64 v[108:109], v[108:109], v[116:117]
	v_fmac_f64_e32 v[108:109], v[110:111], v[40:41]
	s_waitcnt vmcnt(6)
	v_add_f64 v[38:39], v[38:39], -v[108:109]
	ds_read2_b64 v[108:111], v174 offset0:24 offset1:25
	v_add_f64 v[36:37], v[36:37], -v[42:43]
	s_waitcnt lgkmcnt(1)
	v_mul_f64 v[42:43], v[114:115], v[116:117]
	v_fma_f64 v[42:43], v[112:113], v[40:41], -v[42:43]
	v_mul_f64 v[112:113], v[112:113], v[116:117]
	v_fmac_f64_e32 v[112:113], v[114:115], v[40:41]
	s_waitcnt vmcnt(5)
	v_add_f64 v[32:33], v[32:33], -v[42:43]
	v_add_f64 v[34:35], v[34:35], -v[112:113]
	ds_read2_b64 v[112:115], v174 offset0:26 offset1:27
	s_waitcnt lgkmcnt(1)
	v_mul_f64 v[42:43], v[110:111], v[116:117]
	v_fma_f64 v[42:43], v[108:109], v[40:41], -v[42:43]
	v_mul_f64 v[108:109], v[108:109], v[116:117]
	v_fmac_f64_e32 v[108:109], v[110:111], v[40:41]
	s_waitcnt vmcnt(4)
	v_add_f64 v[30:31], v[30:31], -v[108:109]
	ds_read2_b64 v[108:111], v174 offset0:28 offset1:29
	v_add_f64 v[28:29], v[28:29], -v[42:43]
	s_waitcnt lgkmcnt(1)
	v_mul_f64 v[42:43], v[114:115], v[116:117]
	v_fma_f64 v[42:43], v[112:113], v[40:41], -v[42:43]
	v_mul_f64 v[112:113], v[112:113], v[116:117]
	v_fmac_f64_e32 v[112:113], v[114:115], v[40:41]
	s_waitcnt vmcnt(3)
	v_add_f64 v[24:25], v[24:25], -v[42:43]
	v_add_f64 v[26:27], v[26:27], -v[112:113]
	ds_read2_b64 v[112:115], v174 offset0:30 offset1:31
	s_waitcnt lgkmcnt(1)
	v_mul_f64 v[42:43], v[110:111], v[116:117]
	v_fma_f64 v[42:43], v[108:109], v[40:41], -v[42:43]
	v_mul_f64 v[108:109], v[108:109], v[116:117]
	v_fmac_f64_e32 v[108:109], v[110:111], v[40:41]
	s_waitcnt vmcnt(2)
	v_add_f64 v[22:23], v[22:23], -v[108:109]
	ds_read2_b64 v[108:111], v174 offset0:32 offset1:33
	v_add_f64 v[20:21], v[20:21], -v[42:43]
	s_waitcnt lgkmcnt(1)
	v_mul_f64 v[42:43], v[114:115], v[116:117]
	v_fma_f64 v[42:43], v[112:113], v[40:41], -v[42:43]
	s_waitcnt vmcnt(1)
	v_add_f64 v[16:17], v[16:17], -v[42:43]
	s_waitcnt lgkmcnt(0)
	v_mul_f64 v[42:43], v[110:111], v[116:117]
	v_mul_f64 v[112:113], v[112:113], v[116:117]
	v_fma_f64 v[42:43], v[108:109], v[40:41], -v[42:43]
	v_mul_f64 v[108:109], v[108:109], v[116:117]
	v_fmac_f64_e32 v[112:113], v[114:115], v[40:41]
	v_fmac_f64_e32 v[108:109], v[110:111], v[40:41]
	v_add_f64 v[18:19], v[18:19], -v[112:113]
	s_waitcnt vmcnt(0)
	v_add_f64 v[64:65], v[64:65], -v[42:43]
	v_add_f64 v[66:67], v[66:67], -v[108:109]
	v_mov_b64_e32 v[42:43], v[116:117]
.LBB33_91:
	s_or_b64 exec, exec, s[2:3]
	v_cmp_eq_u32_e32 vcc, 10, v172
	s_waitcnt lgkmcnt(0)
	s_barrier
	s_and_saveexec_b64 s[4:5], vcc
	s_cbranch_execz .LBB33_98
; %bb.92:
	s_waitcnt vmcnt(6)
	ds_write2_b64 v173, v[36:37], v[38:39] offset1:1
	s_waitcnt vmcnt(5)
	ds_write2_b64 v174, v[32:33], v[34:35] offset0:22 offset1:23
	s_waitcnt vmcnt(4)
	ds_write2_b64 v174, v[28:29], v[30:31] offset0:24 offset1:25
	;; [unrolled: 2-line block ×6, first 2 shown]
	ds_read2_b64 v[108:111], v173 offset1:1
	s_waitcnt lgkmcnt(0)
	v_cmp_neq_f64_e32 vcc, 0, v[108:109]
	v_cmp_neq_f64_e64 s[2:3], 0, v[110:111]
	s_or_b64 s[2:3], vcc, s[2:3]
	s_and_b64 exec, exec, s[2:3]
	s_cbranch_execz .LBB33_98
; %bb.93:
	v_cmp_ngt_f64_e64 s[2:3], |v[108:109]|, |v[110:111]|
                                        ; implicit-def: $vgpr112_vgpr113
	s_and_saveexec_b64 s[10:11], s[2:3]
	s_xor_b64 s[2:3], exec, s[10:11]
                                        ; implicit-def: $vgpr114_vgpr115
	s_cbranch_execz .LBB33_95
; %bb.94:
	v_div_scale_f64 v[112:113], s[10:11], v[110:111], v[110:111], v[108:109]
	v_rcp_f64_e32 v[114:115], v[112:113]
	v_div_scale_f64 v[116:117], vcc, v[108:109], v[110:111], v[108:109]
	v_fma_f64 v[118:119], -v[112:113], v[114:115], 1.0
	v_fmac_f64_e32 v[114:115], v[114:115], v[118:119]
	v_fma_f64 v[118:119], -v[112:113], v[114:115], 1.0
	v_fmac_f64_e32 v[114:115], v[114:115], v[118:119]
	v_mul_f64 v[118:119], v[116:117], v[114:115]
	v_fma_f64 v[112:113], -v[112:113], v[118:119], v[116:117]
	v_div_fmas_f64 v[112:113], v[112:113], v[114:115], v[118:119]
	v_div_fixup_f64 v[112:113], v[112:113], v[110:111], v[108:109]
	v_fmac_f64_e32 v[110:111], v[108:109], v[112:113]
	v_div_scale_f64 v[108:109], s[10:11], v[110:111], v[110:111], 1.0
	v_rcp_f64_e32 v[114:115], v[108:109]
	s_nop 0
	v_fma_f64 v[116:117], -v[108:109], v[114:115], 1.0
	v_fmac_f64_e32 v[114:115], v[114:115], v[116:117]
	v_fma_f64 v[116:117], -v[108:109], v[114:115], 1.0
	v_fmac_f64_e32 v[114:115], v[114:115], v[116:117]
	v_div_scale_f64 v[116:117], vcc, 1.0, v[110:111], 1.0
	v_mul_f64 v[118:119], v[116:117], v[114:115]
	v_fma_f64 v[108:109], -v[108:109], v[118:119], v[116:117]
	s_nop 1
	v_div_fmas_f64 v[108:109], v[108:109], v[114:115], v[118:119]
	v_div_fixup_f64 v[114:115], v[108:109], v[110:111], 1.0
	v_mul_f64 v[112:113], v[112:113], v[114:115]
	v_xor_b32_e32 v115, 0x80000000, v115
                                        ; implicit-def: $vgpr108_vgpr109
.LBB33_95:
	s_andn2_saveexec_b64 s[2:3], s[2:3]
	s_cbranch_execz .LBB33_97
; %bb.96:
	v_div_scale_f64 v[112:113], s[10:11], v[108:109], v[108:109], v[110:111]
	v_rcp_f64_e32 v[114:115], v[112:113]
	v_div_scale_f64 v[116:117], vcc, v[110:111], v[108:109], v[110:111]
	v_fma_f64 v[118:119], -v[112:113], v[114:115], 1.0
	v_fmac_f64_e32 v[114:115], v[114:115], v[118:119]
	v_fma_f64 v[118:119], -v[112:113], v[114:115], 1.0
	v_fmac_f64_e32 v[114:115], v[114:115], v[118:119]
	v_mul_f64 v[118:119], v[116:117], v[114:115]
	v_fma_f64 v[112:113], -v[112:113], v[118:119], v[116:117]
	v_div_fmas_f64 v[112:113], v[112:113], v[114:115], v[118:119]
	v_div_fixup_f64 v[114:115], v[112:113], v[108:109], v[110:111]
	v_fmac_f64_e32 v[108:109], v[110:111], v[114:115]
	v_div_scale_f64 v[110:111], s[10:11], v[108:109], v[108:109], 1.0
	v_rcp_f64_e32 v[112:113], v[110:111]
	s_nop 0
	v_fma_f64 v[116:117], -v[110:111], v[112:113], 1.0
	v_fmac_f64_e32 v[112:113], v[112:113], v[116:117]
	v_fma_f64 v[116:117], -v[110:111], v[112:113], 1.0
	v_fmac_f64_e32 v[112:113], v[112:113], v[116:117]
	v_div_scale_f64 v[116:117], vcc, 1.0, v[108:109], 1.0
	v_mul_f64 v[118:119], v[116:117], v[112:113]
	v_fma_f64 v[110:111], -v[110:111], v[118:119], v[116:117]
	s_nop 1
	v_div_fmas_f64 v[110:111], v[110:111], v[112:113], v[118:119]
	v_div_fixup_f64 v[112:113], v[110:111], v[108:109], 1.0
	v_mul_f64 v[114:115], v[114:115], -v[112:113]
.LBB33_97:
	s_or_b64 exec, exec, s[2:3]
	ds_write2_b64 v173, v[112:113], v[114:115] offset1:1
.LBB33_98:
	s_or_b64 exec, exec, s[4:5]
	s_waitcnt lgkmcnt(0)
	s_barrier
	ds_read2_b64 v[108:111], v173 offset1:1
	v_cmp_lt_u32_e32 vcc, 10, v172
	s_and_saveexec_b64 s[2:3], vcc
	s_cbranch_execz .LBB33_100
; %bb.99:
	ds_read2_b64 v[112:115], v174 offset0:22 offset1:23
	ds_read2_b64 v[116:119], v174 offset0:24 offset1:25
	s_waitcnt vmcnt(6) lgkmcnt(2)
	v_mul_f64 v[120:121], v[108:109], v[38:39]
	v_fmac_f64_e32 v[120:121], v[110:111], v[36:37]
	v_mul_f64 v[38:39], v[110:111], v[38:39]
	v_fma_f64 v[36:37], v[108:109], v[36:37], -v[38:39]
	s_waitcnt lgkmcnt(1)
	v_mul_f64 v[38:39], v[114:115], v[120:121]
	v_fma_f64 v[38:39], v[112:113], v[36:37], -v[38:39]
	v_mul_f64 v[112:113], v[112:113], v[120:121]
	v_fmac_f64_e32 v[112:113], v[114:115], v[36:37]
	s_waitcnt vmcnt(5)
	v_add_f64 v[32:33], v[32:33], -v[38:39]
	v_add_f64 v[34:35], v[34:35], -v[112:113]
	s_waitcnt lgkmcnt(0)
	v_mul_f64 v[38:39], v[118:119], v[120:121]
	ds_read2_b64 v[112:115], v174 offset0:26 offset1:27
	v_fma_f64 v[38:39], v[116:117], v[36:37], -v[38:39]
	v_mul_f64 v[116:117], v[116:117], v[120:121]
	v_fmac_f64_e32 v[116:117], v[118:119], v[36:37]
	s_waitcnt vmcnt(4)
	v_add_f64 v[30:31], v[30:31], -v[116:117]
	ds_read2_b64 v[116:119], v174 offset0:28 offset1:29
	v_add_f64 v[28:29], v[28:29], -v[38:39]
	s_waitcnt lgkmcnt(1)
	v_mul_f64 v[38:39], v[114:115], v[120:121]
	v_fma_f64 v[38:39], v[112:113], v[36:37], -v[38:39]
	v_mul_f64 v[112:113], v[112:113], v[120:121]
	v_fmac_f64_e32 v[112:113], v[114:115], v[36:37]
	s_waitcnt vmcnt(3)
	v_add_f64 v[24:25], v[24:25], -v[38:39]
	v_add_f64 v[26:27], v[26:27], -v[112:113]
	s_waitcnt lgkmcnt(0)
	v_mul_f64 v[38:39], v[118:119], v[120:121]
	ds_read2_b64 v[112:115], v174 offset0:30 offset1:31
	v_fma_f64 v[38:39], v[116:117], v[36:37], -v[38:39]
	v_mul_f64 v[116:117], v[116:117], v[120:121]
	v_fmac_f64_e32 v[116:117], v[118:119], v[36:37]
	s_waitcnt vmcnt(2)
	v_add_f64 v[22:23], v[22:23], -v[116:117]
	ds_read2_b64 v[116:119], v174 offset0:32 offset1:33
	v_add_f64 v[20:21], v[20:21], -v[38:39]
	s_waitcnt lgkmcnt(1)
	v_mul_f64 v[38:39], v[114:115], v[120:121]
	v_fma_f64 v[38:39], v[112:113], v[36:37], -v[38:39]
	v_mul_f64 v[112:113], v[112:113], v[120:121]
	v_fmac_f64_e32 v[112:113], v[114:115], v[36:37]
	s_waitcnt vmcnt(1)
	v_add_f64 v[16:17], v[16:17], -v[38:39]
	v_add_f64 v[18:19], v[18:19], -v[112:113]
	s_waitcnt lgkmcnt(0)
	v_mul_f64 v[38:39], v[118:119], v[120:121]
	v_mul_f64 v[112:113], v[116:117], v[120:121]
	v_fma_f64 v[38:39], v[116:117], v[36:37], -v[38:39]
	v_fmac_f64_e32 v[112:113], v[118:119], v[36:37]
	s_waitcnt vmcnt(0)
	v_add_f64 v[64:65], v[64:65], -v[38:39]
	v_add_f64 v[66:67], v[66:67], -v[112:113]
	v_mov_b64_e32 v[38:39], v[120:121]
.LBB33_100:
	s_or_b64 exec, exec, s[2:3]
	v_cmp_eq_u32_e32 vcc, 11, v172
	s_waitcnt lgkmcnt(0)
	s_barrier
	s_and_saveexec_b64 s[4:5], vcc
	s_cbranch_execz .LBB33_107
; %bb.101:
	s_waitcnt vmcnt(5)
	ds_write2_b64 v173, v[32:33], v[34:35] offset1:1
	s_waitcnt vmcnt(4)
	ds_write2_b64 v174, v[28:29], v[30:31] offset0:24 offset1:25
	s_waitcnt vmcnt(3)
	ds_write2_b64 v174, v[24:25], v[26:27] offset0:26 offset1:27
	s_waitcnt vmcnt(2)
	ds_write2_b64 v174, v[20:21], v[22:23] offset0:28 offset1:29
	s_waitcnt vmcnt(1)
	ds_write2_b64 v174, v[16:17], v[18:19] offset0:30 offset1:31
	s_waitcnt vmcnt(0)
	ds_write2_b64 v174, v[64:65], v[66:67] offset0:32 offset1:33
	ds_read2_b64 v[112:115], v173 offset1:1
	s_waitcnt lgkmcnt(0)
	v_cmp_neq_f64_e32 vcc, 0, v[112:113]
	v_cmp_neq_f64_e64 s[2:3], 0, v[114:115]
	s_or_b64 s[2:3], vcc, s[2:3]
	s_and_b64 exec, exec, s[2:3]
	s_cbranch_execz .LBB33_107
; %bb.102:
	v_cmp_ngt_f64_e64 s[2:3], |v[112:113]|, |v[114:115]|
                                        ; implicit-def: $vgpr116_vgpr117
	s_and_saveexec_b64 s[10:11], s[2:3]
	s_xor_b64 s[2:3], exec, s[10:11]
                                        ; implicit-def: $vgpr118_vgpr119
	s_cbranch_execz .LBB33_104
; %bb.103:
	v_div_scale_f64 v[116:117], s[10:11], v[114:115], v[114:115], v[112:113]
	v_rcp_f64_e32 v[118:119], v[116:117]
	v_div_scale_f64 v[120:121], vcc, v[112:113], v[114:115], v[112:113]
	v_fma_f64 v[122:123], -v[116:117], v[118:119], 1.0
	v_fmac_f64_e32 v[118:119], v[118:119], v[122:123]
	v_fma_f64 v[122:123], -v[116:117], v[118:119], 1.0
	v_fmac_f64_e32 v[118:119], v[118:119], v[122:123]
	v_mul_f64 v[122:123], v[120:121], v[118:119]
	v_fma_f64 v[116:117], -v[116:117], v[122:123], v[120:121]
	v_div_fmas_f64 v[116:117], v[116:117], v[118:119], v[122:123]
	v_div_fixup_f64 v[116:117], v[116:117], v[114:115], v[112:113]
	v_fmac_f64_e32 v[114:115], v[112:113], v[116:117]
	v_div_scale_f64 v[112:113], s[10:11], v[114:115], v[114:115], 1.0
	v_rcp_f64_e32 v[118:119], v[112:113]
	s_nop 0
	v_fma_f64 v[120:121], -v[112:113], v[118:119], 1.0
	v_fmac_f64_e32 v[118:119], v[118:119], v[120:121]
	v_fma_f64 v[120:121], -v[112:113], v[118:119], 1.0
	v_fmac_f64_e32 v[118:119], v[118:119], v[120:121]
	v_div_scale_f64 v[120:121], vcc, 1.0, v[114:115], 1.0
	v_mul_f64 v[122:123], v[120:121], v[118:119]
	v_fma_f64 v[112:113], -v[112:113], v[122:123], v[120:121]
	s_nop 1
	v_div_fmas_f64 v[112:113], v[112:113], v[118:119], v[122:123]
	v_div_fixup_f64 v[118:119], v[112:113], v[114:115], 1.0
	v_mul_f64 v[116:117], v[116:117], v[118:119]
	v_xor_b32_e32 v119, 0x80000000, v119
                                        ; implicit-def: $vgpr112_vgpr113
.LBB33_104:
	s_andn2_saveexec_b64 s[2:3], s[2:3]
	s_cbranch_execz .LBB33_106
; %bb.105:
	v_div_scale_f64 v[116:117], s[10:11], v[112:113], v[112:113], v[114:115]
	v_rcp_f64_e32 v[118:119], v[116:117]
	v_div_scale_f64 v[120:121], vcc, v[114:115], v[112:113], v[114:115]
	v_fma_f64 v[122:123], -v[116:117], v[118:119], 1.0
	v_fmac_f64_e32 v[118:119], v[118:119], v[122:123]
	v_fma_f64 v[122:123], -v[116:117], v[118:119], 1.0
	v_fmac_f64_e32 v[118:119], v[118:119], v[122:123]
	v_mul_f64 v[122:123], v[120:121], v[118:119]
	v_fma_f64 v[116:117], -v[116:117], v[122:123], v[120:121]
	v_div_fmas_f64 v[116:117], v[116:117], v[118:119], v[122:123]
	v_div_fixup_f64 v[118:119], v[116:117], v[112:113], v[114:115]
	v_fmac_f64_e32 v[112:113], v[114:115], v[118:119]
	v_div_scale_f64 v[114:115], s[10:11], v[112:113], v[112:113], 1.0
	v_rcp_f64_e32 v[116:117], v[114:115]
	s_nop 0
	v_fma_f64 v[120:121], -v[114:115], v[116:117], 1.0
	v_fmac_f64_e32 v[116:117], v[116:117], v[120:121]
	v_fma_f64 v[120:121], -v[114:115], v[116:117], 1.0
	v_fmac_f64_e32 v[116:117], v[116:117], v[120:121]
	v_div_scale_f64 v[120:121], vcc, 1.0, v[112:113], 1.0
	v_mul_f64 v[122:123], v[120:121], v[116:117]
	v_fma_f64 v[114:115], -v[114:115], v[122:123], v[120:121]
	s_nop 1
	v_div_fmas_f64 v[114:115], v[114:115], v[116:117], v[122:123]
	v_div_fixup_f64 v[116:117], v[114:115], v[112:113], 1.0
	v_mul_f64 v[118:119], v[118:119], -v[116:117]
.LBB33_106:
	s_or_b64 exec, exec, s[2:3]
	ds_write2_b64 v173, v[116:117], v[118:119] offset1:1
.LBB33_107:
	s_or_b64 exec, exec, s[4:5]
	s_waitcnt lgkmcnt(0)
	s_barrier
	ds_read2_b64 v[112:115], v173 offset1:1
	v_cmp_lt_u32_e32 vcc, 11, v172
	s_and_saveexec_b64 s[2:3], vcc
	s_cbranch_execz .LBB33_109
; %bb.108:
	ds_read2_b64 v[116:119], v174 offset0:24 offset1:25
	ds_read2_b64 v[120:123], v174 offset0:26 offset1:27
	s_waitcnt vmcnt(5) lgkmcnt(2)
	v_mul_f64 v[124:125], v[112:113], v[34:35]
	v_fmac_f64_e32 v[124:125], v[114:115], v[32:33]
	v_mul_f64 v[34:35], v[114:115], v[34:35]
	v_fma_f64 v[32:33], v[112:113], v[32:33], -v[34:35]
	s_waitcnt lgkmcnt(1)
	v_mul_f64 v[34:35], v[118:119], v[124:125]
	v_fma_f64 v[34:35], v[116:117], v[32:33], -v[34:35]
	v_mul_f64 v[116:117], v[116:117], v[124:125]
	v_fmac_f64_e32 v[116:117], v[118:119], v[32:33]
	s_waitcnt vmcnt(4)
	v_add_f64 v[30:31], v[30:31], -v[116:117]
	ds_read2_b64 v[116:119], v174 offset0:28 offset1:29
	v_add_f64 v[28:29], v[28:29], -v[34:35]
	s_waitcnt lgkmcnt(1)
	v_mul_f64 v[34:35], v[122:123], v[124:125]
	v_fma_f64 v[34:35], v[120:121], v[32:33], -v[34:35]
	v_mul_f64 v[120:121], v[120:121], v[124:125]
	v_fmac_f64_e32 v[120:121], v[122:123], v[32:33]
	s_waitcnt vmcnt(3)
	v_add_f64 v[24:25], v[24:25], -v[34:35]
	v_add_f64 v[26:27], v[26:27], -v[120:121]
	ds_read2_b64 v[120:123], v174 offset0:30 offset1:31
	s_waitcnt lgkmcnt(1)
	v_mul_f64 v[34:35], v[118:119], v[124:125]
	v_fma_f64 v[34:35], v[116:117], v[32:33], -v[34:35]
	v_mul_f64 v[116:117], v[116:117], v[124:125]
	v_fmac_f64_e32 v[116:117], v[118:119], v[32:33]
	s_waitcnt vmcnt(2)
	v_add_f64 v[22:23], v[22:23], -v[116:117]
	ds_read2_b64 v[116:119], v174 offset0:32 offset1:33
	v_add_f64 v[20:21], v[20:21], -v[34:35]
	s_waitcnt lgkmcnt(1)
	v_mul_f64 v[34:35], v[122:123], v[124:125]
	v_fma_f64 v[34:35], v[120:121], v[32:33], -v[34:35]
	s_waitcnt vmcnt(1)
	v_add_f64 v[16:17], v[16:17], -v[34:35]
	s_waitcnt lgkmcnt(0)
	v_mul_f64 v[34:35], v[118:119], v[124:125]
	v_mul_f64 v[120:121], v[120:121], v[124:125]
	v_fma_f64 v[34:35], v[116:117], v[32:33], -v[34:35]
	v_mul_f64 v[116:117], v[116:117], v[124:125]
	v_fmac_f64_e32 v[120:121], v[122:123], v[32:33]
	v_fmac_f64_e32 v[116:117], v[118:119], v[32:33]
	v_add_f64 v[18:19], v[18:19], -v[120:121]
	s_waitcnt vmcnt(0)
	v_add_f64 v[64:65], v[64:65], -v[34:35]
	v_add_f64 v[66:67], v[66:67], -v[116:117]
	v_mov_b64_e32 v[34:35], v[124:125]
.LBB33_109:
	s_or_b64 exec, exec, s[2:3]
	v_cmp_eq_u32_e32 vcc, 12, v172
	s_waitcnt lgkmcnt(0)
	s_barrier
	s_and_saveexec_b64 s[4:5], vcc
	s_cbranch_execz .LBB33_116
; %bb.110:
	s_waitcnt vmcnt(4)
	ds_write2_b64 v173, v[28:29], v[30:31] offset1:1
	s_waitcnt vmcnt(3)
	ds_write2_b64 v174, v[24:25], v[26:27] offset0:26 offset1:27
	s_waitcnt vmcnt(2)
	ds_write2_b64 v174, v[20:21], v[22:23] offset0:28 offset1:29
	;; [unrolled: 2-line block ×4, first 2 shown]
	ds_read2_b64 v[116:119], v173 offset1:1
	s_waitcnt lgkmcnt(0)
	v_cmp_neq_f64_e32 vcc, 0, v[116:117]
	v_cmp_neq_f64_e64 s[2:3], 0, v[118:119]
	s_or_b64 s[2:3], vcc, s[2:3]
	s_and_b64 exec, exec, s[2:3]
	s_cbranch_execz .LBB33_116
; %bb.111:
	v_cmp_ngt_f64_e64 s[2:3], |v[116:117]|, |v[118:119]|
                                        ; implicit-def: $vgpr120_vgpr121
	s_and_saveexec_b64 s[10:11], s[2:3]
	s_xor_b64 s[2:3], exec, s[10:11]
                                        ; implicit-def: $vgpr122_vgpr123
	s_cbranch_execz .LBB33_113
; %bb.112:
	v_div_scale_f64 v[120:121], s[10:11], v[118:119], v[118:119], v[116:117]
	v_rcp_f64_e32 v[122:123], v[120:121]
	v_div_scale_f64 v[124:125], vcc, v[116:117], v[118:119], v[116:117]
	v_fma_f64 v[126:127], -v[120:121], v[122:123], 1.0
	v_fmac_f64_e32 v[122:123], v[122:123], v[126:127]
	v_fma_f64 v[126:127], -v[120:121], v[122:123], 1.0
	v_fmac_f64_e32 v[122:123], v[122:123], v[126:127]
	v_mul_f64 v[126:127], v[124:125], v[122:123]
	v_fma_f64 v[120:121], -v[120:121], v[126:127], v[124:125]
	v_div_fmas_f64 v[120:121], v[120:121], v[122:123], v[126:127]
	v_div_fixup_f64 v[120:121], v[120:121], v[118:119], v[116:117]
	v_fmac_f64_e32 v[118:119], v[116:117], v[120:121]
	v_div_scale_f64 v[116:117], s[10:11], v[118:119], v[118:119], 1.0
	v_rcp_f64_e32 v[122:123], v[116:117]
	s_nop 0
	v_fma_f64 v[124:125], -v[116:117], v[122:123], 1.0
	v_fmac_f64_e32 v[122:123], v[122:123], v[124:125]
	v_fma_f64 v[124:125], -v[116:117], v[122:123], 1.0
	v_fmac_f64_e32 v[122:123], v[122:123], v[124:125]
	v_div_scale_f64 v[124:125], vcc, 1.0, v[118:119], 1.0
	v_mul_f64 v[126:127], v[124:125], v[122:123]
	v_fma_f64 v[116:117], -v[116:117], v[126:127], v[124:125]
	s_nop 1
	v_div_fmas_f64 v[116:117], v[116:117], v[122:123], v[126:127]
	v_div_fixup_f64 v[122:123], v[116:117], v[118:119], 1.0
	v_mul_f64 v[120:121], v[120:121], v[122:123]
	v_xor_b32_e32 v123, 0x80000000, v123
                                        ; implicit-def: $vgpr116_vgpr117
.LBB33_113:
	s_andn2_saveexec_b64 s[2:3], s[2:3]
	s_cbranch_execz .LBB33_115
; %bb.114:
	v_div_scale_f64 v[120:121], s[10:11], v[116:117], v[116:117], v[118:119]
	v_rcp_f64_e32 v[122:123], v[120:121]
	v_div_scale_f64 v[124:125], vcc, v[118:119], v[116:117], v[118:119]
	v_fma_f64 v[126:127], -v[120:121], v[122:123], 1.0
	v_fmac_f64_e32 v[122:123], v[122:123], v[126:127]
	v_fma_f64 v[126:127], -v[120:121], v[122:123], 1.0
	v_fmac_f64_e32 v[122:123], v[122:123], v[126:127]
	v_mul_f64 v[126:127], v[124:125], v[122:123]
	v_fma_f64 v[120:121], -v[120:121], v[126:127], v[124:125]
	v_div_fmas_f64 v[120:121], v[120:121], v[122:123], v[126:127]
	v_div_fixup_f64 v[122:123], v[120:121], v[116:117], v[118:119]
	v_fmac_f64_e32 v[116:117], v[118:119], v[122:123]
	v_div_scale_f64 v[118:119], s[10:11], v[116:117], v[116:117], 1.0
	v_rcp_f64_e32 v[120:121], v[118:119]
	s_nop 0
	v_fma_f64 v[124:125], -v[118:119], v[120:121], 1.0
	v_fmac_f64_e32 v[120:121], v[120:121], v[124:125]
	v_fma_f64 v[124:125], -v[118:119], v[120:121], 1.0
	v_fmac_f64_e32 v[120:121], v[120:121], v[124:125]
	v_div_scale_f64 v[124:125], vcc, 1.0, v[116:117], 1.0
	v_mul_f64 v[126:127], v[124:125], v[120:121]
	v_fma_f64 v[118:119], -v[118:119], v[126:127], v[124:125]
	s_nop 1
	v_div_fmas_f64 v[118:119], v[118:119], v[120:121], v[126:127]
	v_div_fixup_f64 v[120:121], v[118:119], v[116:117], 1.0
	v_mul_f64 v[122:123], v[122:123], -v[120:121]
.LBB33_115:
	s_or_b64 exec, exec, s[2:3]
	ds_write2_b64 v173, v[120:121], v[122:123] offset1:1
.LBB33_116:
	s_or_b64 exec, exec, s[4:5]
	s_waitcnt lgkmcnt(0)
	s_barrier
	ds_read2_b64 v[116:119], v173 offset1:1
	v_cmp_lt_u32_e32 vcc, 12, v172
	s_and_saveexec_b64 s[2:3], vcc
	s_cbranch_execz .LBB33_118
; %bb.117:
	ds_read2_b64 v[120:123], v174 offset0:26 offset1:27
	ds_read2_b64 v[124:127], v174 offset0:28 offset1:29
	s_waitcnt vmcnt(4) lgkmcnt(2)
	v_mul_f64 v[128:129], v[116:117], v[30:31]
	v_fmac_f64_e32 v[128:129], v[118:119], v[28:29]
	v_mul_f64 v[30:31], v[118:119], v[30:31]
	v_fma_f64 v[28:29], v[116:117], v[28:29], -v[30:31]
	s_waitcnt lgkmcnt(1)
	v_mul_f64 v[30:31], v[122:123], v[128:129]
	v_fma_f64 v[30:31], v[120:121], v[28:29], -v[30:31]
	v_mul_f64 v[120:121], v[120:121], v[128:129]
	v_fmac_f64_e32 v[120:121], v[122:123], v[28:29]
	s_waitcnt vmcnt(3)
	v_add_f64 v[24:25], v[24:25], -v[30:31]
	v_add_f64 v[26:27], v[26:27], -v[120:121]
	s_waitcnt lgkmcnt(0)
	v_mul_f64 v[30:31], v[126:127], v[128:129]
	ds_read2_b64 v[120:123], v174 offset0:30 offset1:31
	v_fma_f64 v[30:31], v[124:125], v[28:29], -v[30:31]
	v_mul_f64 v[124:125], v[124:125], v[128:129]
	v_fmac_f64_e32 v[124:125], v[126:127], v[28:29]
	s_waitcnt vmcnt(2)
	v_add_f64 v[22:23], v[22:23], -v[124:125]
	ds_read2_b64 v[124:127], v174 offset0:32 offset1:33
	v_add_f64 v[20:21], v[20:21], -v[30:31]
	s_waitcnt lgkmcnt(1)
	v_mul_f64 v[30:31], v[122:123], v[128:129]
	v_fma_f64 v[30:31], v[120:121], v[28:29], -v[30:31]
	v_mul_f64 v[120:121], v[120:121], v[128:129]
	v_fmac_f64_e32 v[120:121], v[122:123], v[28:29]
	s_waitcnt vmcnt(1)
	v_add_f64 v[16:17], v[16:17], -v[30:31]
	v_add_f64 v[18:19], v[18:19], -v[120:121]
	s_waitcnt lgkmcnt(0)
	v_mul_f64 v[30:31], v[126:127], v[128:129]
	v_mul_f64 v[120:121], v[124:125], v[128:129]
	v_fma_f64 v[30:31], v[124:125], v[28:29], -v[30:31]
	v_fmac_f64_e32 v[120:121], v[126:127], v[28:29]
	s_waitcnt vmcnt(0)
	v_add_f64 v[64:65], v[64:65], -v[30:31]
	v_add_f64 v[66:67], v[66:67], -v[120:121]
	v_mov_b64_e32 v[30:31], v[128:129]
.LBB33_118:
	s_or_b64 exec, exec, s[2:3]
	v_cmp_eq_u32_e32 vcc, 13, v172
	s_waitcnt lgkmcnt(0)
	s_barrier
	s_and_saveexec_b64 s[4:5], vcc
	s_cbranch_execz .LBB33_125
; %bb.119:
	s_waitcnt vmcnt(3)
	ds_write2_b64 v173, v[24:25], v[26:27] offset1:1
	s_waitcnt vmcnt(2)
	ds_write2_b64 v174, v[20:21], v[22:23] offset0:28 offset1:29
	s_waitcnt vmcnt(1)
	ds_write2_b64 v174, v[16:17], v[18:19] offset0:30 offset1:31
	;; [unrolled: 2-line block ×3, first 2 shown]
	ds_read2_b64 v[120:123], v173 offset1:1
	s_waitcnt lgkmcnt(0)
	v_cmp_neq_f64_e32 vcc, 0, v[120:121]
	v_cmp_neq_f64_e64 s[2:3], 0, v[122:123]
	s_or_b64 s[2:3], vcc, s[2:3]
	s_and_b64 exec, exec, s[2:3]
	s_cbranch_execz .LBB33_125
; %bb.120:
	v_cmp_ngt_f64_e64 s[2:3], |v[120:121]|, |v[122:123]|
                                        ; implicit-def: $vgpr124_vgpr125
	s_and_saveexec_b64 s[10:11], s[2:3]
	s_xor_b64 s[2:3], exec, s[10:11]
                                        ; implicit-def: $vgpr126_vgpr127
	s_cbranch_execz .LBB33_122
; %bb.121:
	v_div_scale_f64 v[124:125], s[10:11], v[122:123], v[122:123], v[120:121]
	v_rcp_f64_e32 v[126:127], v[124:125]
	v_div_scale_f64 v[128:129], vcc, v[120:121], v[122:123], v[120:121]
	v_fma_f64 v[130:131], -v[124:125], v[126:127], 1.0
	v_fmac_f64_e32 v[126:127], v[126:127], v[130:131]
	v_fma_f64 v[130:131], -v[124:125], v[126:127], 1.0
	v_fmac_f64_e32 v[126:127], v[126:127], v[130:131]
	v_mul_f64 v[130:131], v[128:129], v[126:127]
	v_fma_f64 v[124:125], -v[124:125], v[130:131], v[128:129]
	v_div_fmas_f64 v[124:125], v[124:125], v[126:127], v[130:131]
	v_div_fixup_f64 v[124:125], v[124:125], v[122:123], v[120:121]
	v_fmac_f64_e32 v[122:123], v[120:121], v[124:125]
	v_div_scale_f64 v[120:121], s[10:11], v[122:123], v[122:123], 1.0
	v_rcp_f64_e32 v[126:127], v[120:121]
	s_nop 0
	v_fma_f64 v[128:129], -v[120:121], v[126:127], 1.0
	v_fmac_f64_e32 v[126:127], v[126:127], v[128:129]
	v_fma_f64 v[128:129], -v[120:121], v[126:127], 1.0
	v_fmac_f64_e32 v[126:127], v[126:127], v[128:129]
	v_div_scale_f64 v[128:129], vcc, 1.0, v[122:123], 1.0
	v_mul_f64 v[130:131], v[128:129], v[126:127]
	v_fma_f64 v[120:121], -v[120:121], v[130:131], v[128:129]
	s_nop 1
	v_div_fmas_f64 v[120:121], v[120:121], v[126:127], v[130:131]
	v_div_fixup_f64 v[126:127], v[120:121], v[122:123], 1.0
	v_mul_f64 v[124:125], v[124:125], v[126:127]
	v_xor_b32_e32 v127, 0x80000000, v127
                                        ; implicit-def: $vgpr120_vgpr121
.LBB33_122:
	s_andn2_saveexec_b64 s[2:3], s[2:3]
	s_cbranch_execz .LBB33_124
; %bb.123:
	v_div_scale_f64 v[124:125], s[10:11], v[120:121], v[120:121], v[122:123]
	v_rcp_f64_e32 v[126:127], v[124:125]
	v_div_scale_f64 v[128:129], vcc, v[122:123], v[120:121], v[122:123]
	v_fma_f64 v[130:131], -v[124:125], v[126:127], 1.0
	v_fmac_f64_e32 v[126:127], v[126:127], v[130:131]
	v_fma_f64 v[130:131], -v[124:125], v[126:127], 1.0
	v_fmac_f64_e32 v[126:127], v[126:127], v[130:131]
	v_mul_f64 v[130:131], v[128:129], v[126:127]
	v_fma_f64 v[124:125], -v[124:125], v[130:131], v[128:129]
	v_div_fmas_f64 v[124:125], v[124:125], v[126:127], v[130:131]
	v_div_fixup_f64 v[126:127], v[124:125], v[120:121], v[122:123]
	v_fmac_f64_e32 v[120:121], v[122:123], v[126:127]
	v_div_scale_f64 v[122:123], s[10:11], v[120:121], v[120:121], 1.0
	v_rcp_f64_e32 v[124:125], v[122:123]
	s_nop 0
	v_fma_f64 v[128:129], -v[122:123], v[124:125], 1.0
	v_fmac_f64_e32 v[124:125], v[124:125], v[128:129]
	v_fma_f64 v[128:129], -v[122:123], v[124:125], 1.0
	v_fmac_f64_e32 v[124:125], v[124:125], v[128:129]
	v_div_scale_f64 v[128:129], vcc, 1.0, v[120:121], 1.0
	v_mul_f64 v[130:131], v[128:129], v[124:125]
	v_fma_f64 v[122:123], -v[122:123], v[130:131], v[128:129]
	s_nop 1
	v_div_fmas_f64 v[122:123], v[122:123], v[124:125], v[130:131]
	v_div_fixup_f64 v[124:125], v[122:123], v[120:121], 1.0
	v_mul_f64 v[126:127], v[126:127], -v[124:125]
.LBB33_124:
	s_or_b64 exec, exec, s[2:3]
	ds_write2_b64 v173, v[124:125], v[126:127] offset1:1
.LBB33_125:
	s_or_b64 exec, exec, s[4:5]
	s_waitcnt lgkmcnt(0)
	s_barrier
	ds_read2_b64 v[120:123], v173 offset1:1
	v_cmp_lt_u32_e32 vcc, 13, v172
	s_and_saveexec_b64 s[2:3], vcc
	s_cbranch_execz .LBB33_127
; %bb.126:
	ds_read2_b64 v[124:127], v174 offset0:28 offset1:29
	ds_read2_b64 v[128:131], v174 offset0:30 offset1:31
	s_waitcnt vmcnt(3) lgkmcnt(2)
	v_mul_f64 v[132:133], v[120:121], v[26:27]
	v_fmac_f64_e32 v[132:133], v[122:123], v[24:25]
	v_mul_f64 v[26:27], v[122:123], v[26:27]
	v_fma_f64 v[24:25], v[120:121], v[24:25], -v[26:27]
	s_waitcnt lgkmcnt(1)
	v_mul_f64 v[26:27], v[126:127], v[132:133]
	v_fma_f64 v[26:27], v[124:125], v[24:25], -v[26:27]
	v_mul_f64 v[124:125], v[124:125], v[132:133]
	v_fmac_f64_e32 v[124:125], v[126:127], v[24:25]
	s_waitcnt vmcnt(2)
	v_add_f64 v[22:23], v[22:23], -v[124:125]
	ds_read2_b64 v[124:127], v174 offset0:32 offset1:33
	v_add_f64 v[20:21], v[20:21], -v[26:27]
	s_waitcnt lgkmcnt(1)
	v_mul_f64 v[26:27], v[130:131], v[132:133]
	v_fma_f64 v[26:27], v[128:129], v[24:25], -v[26:27]
	s_waitcnt vmcnt(1)
	v_add_f64 v[16:17], v[16:17], -v[26:27]
	s_waitcnt lgkmcnt(0)
	v_mul_f64 v[26:27], v[126:127], v[132:133]
	v_mul_f64 v[128:129], v[128:129], v[132:133]
	v_fma_f64 v[26:27], v[124:125], v[24:25], -v[26:27]
	v_mul_f64 v[124:125], v[124:125], v[132:133]
	v_fmac_f64_e32 v[128:129], v[130:131], v[24:25]
	v_fmac_f64_e32 v[124:125], v[126:127], v[24:25]
	v_add_f64 v[18:19], v[18:19], -v[128:129]
	s_waitcnt vmcnt(0)
	v_add_f64 v[64:65], v[64:65], -v[26:27]
	v_add_f64 v[66:67], v[66:67], -v[124:125]
	v_mov_b64_e32 v[26:27], v[132:133]
.LBB33_127:
	s_or_b64 exec, exec, s[2:3]
	v_cmp_eq_u32_e32 vcc, 14, v172
	s_waitcnt lgkmcnt(0)
	s_barrier
	s_and_saveexec_b64 s[4:5], vcc
	s_cbranch_execz .LBB33_134
; %bb.128:
	s_waitcnt vmcnt(2)
	ds_write2_b64 v173, v[20:21], v[22:23] offset1:1
	s_waitcnt vmcnt(1)
	ds_write2_b64 v174, v[16:17], v[18:19] offset0:30 offset1:31
	s_waitcnt vmcnt(0)
	ds_write2_b64 v174, v[64:65], v[66:67] offset0:32 offset1:33
	ds_read2_b64 v[124:127], v173 offset1:1
	s_waitcnt lgkmcnt(0)
	v_cmp_neq_f64_e32 vcc, 0, v[124:125]
	v_cmp_neq_f64_e64 s[2:3], 0, v[126:127]
	s_or_b64 s[2:3], vcc, s[2:3]
	s_and_b64 exec, exec, s[2:3]
	s_cbranch_execz .LBB33_134
; %bb.129:
	v_cmp_ngt_f64_e64 s[2:3], |v[124:125]|, |v[126:127]|
                                        ; implicit-def: $vgpr128_vgpr129
	s_and_saveexec_b64 s[10:11], s[2:3]
	s_xor_b64 s[2:3], exec, s[10:11]
                                        ; implicit-def: $vgpr130_vgpr131
	s_cbranch_execz .LBB33_131
; %bb.130:
	v_div_scale_f64 v[128:129], s[10:11], v[126:127], v[126:127], v[124:125]
	v_rcp_f64_e32 v[130:131], v[128:129]
	v_div_scale_f64 v[132:133], vcc, v[124:125], v[126:127], v[124:125]
	v_fma_f64 v[134:135], -v[128:129], v[130:131], 1.0
	v_fmac_f64_e32 v[130:131], v[130:131], v[134:135]
	v_fma_f64 v[134:135], -v[128:129], v[130:131], 1.0
	v_fmac_f64_e32 v[130:131], v[130:131], v[134:135]
	v_mul_f64 v[134:135], v[132:133], v[130:131]
	v_fma_f64 v[128:129], -v[128:129], v[134:135], v[132:133]
	v_div_fmas_f64 v[128:129], v[128:129], v[130:131], v[134:135]
	v_div_fixup_f64 v[128:129], v[128:129], v[126:127], v[124:125]
	v_fmac_f64_e32 v[126:127], v[124:125], v[128:129]
	v_div_scale_f64 v[124:125], s[10:11], v[126:127], v[126:127], 1.0
	v_rcp_f64_e32 v[130:131], v[124:125]
	s_nop 0
	v_fma_f64 v[132:133], -v[124:125], v[130:131], 1.0
	v_fmac_f64_e32 v[130:131], v[130:131], v[132:133]
	v_fma_f64 v[132:133], -v[124:125], v[130:131], 1.0
	v_fmac_f64_e32 v[130:131], v[130:131], v[132:133]
	v_div_scale_f64 v[132:133], vcc, 1.0, v[126:127], 1.0
	v_mul_f64 v[134:135], v[132:133], v[130:131]
	v_fma_f64 v[124:125], -v[124:125], v[134:135], v[132:133]
	s_nop 1
	v_div_fmas_f64 v[124:125], v[124:125], v[130:131], v[134:135]
	v_div_fixup_f64 v[130:131], v[124:125], v[126:127], 1.0
	v_mul_f64 v[128:129], v[128:129], v[130:131]
	v_xor_b32_e32 v131, 0x80000000, v131
                                        ; implicit-def: $vgpr124_vgpr125
.LBB33_131:
	s_andn2_saveexec_b64 s[2:3], s[2:3]
	s_cbranch_execz .LBB33_133
; %bb.132:
	v_div_scale_f64 v[128:129], s[10:11], v[124:125], v[124:125], v[126:127]
	v_rcp_f64_e32 v[130:131], v[128:129]
	v_div_scale_f64 v[132:133], vcc, v[126:127], v[124:125], v[126:127]
	v_fma_f64 v[134:135], -v[128:129], v[130:131], 1.0
	v_fmac_f64_e32 v[130:131], v[130:131], v[134:135]
	v_fma_f64 v[134:135], -v[128:129], v[130:131], 1.0
	v_fmac_f64_e32 v[130:131], v[130:131], v[134:135]
	v_mul_f64 v[134:135], v[132:133], v[130:131]
	v_fma_f64 v[128:129], -v[128:129], v[134:135], v[132:133]
	v_div_fmas_f64 v[128:129], v[128:129], v[130:131], v[134:135]
	v_div_fixup_f64 v[130:131], v[128:129], v[124:125], v[126:127]
	v_fmac_f64_e32 v[124:125], v[126:127], v[130:131]
	v_div_scale_f64 v[126:127], s[10:11], v[124:125], v[124:125], 1.0
	v_rcp_f64_e32 v[128:129], v[126:127]
	s_nop 0
	v_fma_f64 v[132:133], -v[126:127], v[128:129], 1.0
	v_fmac_f64_e32 v[128:129], v[128:129], v[132:133]
	v_fma_f64 v[132:133], -v[126:127], v[128:129], 1.0
	v_fmac_f64_e32 v[128:129], v[128:129], v[132:133]
	v_div_scale_f64 v[132:133], vcc, 1.0, v[124:125], 1.0
	v_mul_f64 v[134:135], v[132:133], v[128:129]
	v_fma_f64 v[126:127], -v[126:127], v[134:135], v[132:133]
	s_nop 1
	v_div_fmas_f64 v[126:127], v[126:127], v[128:129], v[134:135]
	v_div_fixup_f64 v[128:129], v[126:127], v[124:125], 1.0
	v_mul_f64 v[130:131], v[130:131], -v[128:129]
.LBB33_133:
	s_or_b64 exec, exec, s[2:3]
	ds_write2_b64 v173, v[128:129], v[130:131] offset1:1
.LBB33_134:
	s_or_b64 exec, exec, s[4:5]
	s_waitcnt lgkmcnt(0)
	s_barrier
	ds_read2_b64 v[124:127], v173 offset1:1
	v_cmp_lt_u32_e32 vcc, 14, v172
	s_and_saveexec_b64 s[2:3], vcc
	s_cbranch_execz .LBB33_136
; %bb.135:
	ds_read2_b64 v[128:131], v174 offset0:30 offset1:31
	ds_read2_b64 v[132:135], v174 offset0:32 offset1:33
	s_waitcnt vmcnt(2) lgkmcnt(2)
	v_mul_f64 v[176:177], v[124:125], v[22:23]
	v_fmac_f64_e32 v[176:177], v[126:127], v[20:21]
	v_mul_f64 v[22:23], v[126:127], v[22:23]
	v_fma_f64 v[20:21], v[124:125], v[20:21], -v[22:23]
	s_waitcnt lgkmcnt(1)
	v_mul_f64 v[22:23], v[130:131], v[176:177]
	v_fma_f64 v[22:23], v[128:129], v[20:21], -v[22:23]
	v_mul_f64 v[128:129], v[128:129], v[176:177]
	v_fmac_f64_e32 v[128:129], v[130:131], v[20:21]
	s_waitcnt vmcnt(1)
	v_add_f64 v[16:17], v[16:17], -v[22:23]
	v_add_f64 v[18:19], v[18:19], -v[128:129]
	s_waitcnt lgkmcnt(0)
	v_mul_f64 v[22:23], v[134:135], v[176:177]
	v_mul_f64 v[128:129], v[132:133], v[176:177]
	v_fma_f64 v[22:23], v[132:133], v[20:21], -v[22:23]
	v_fmac_f64_e32 v[128:129], v[134:135], v[20:21]
	s_waitcnt vmcnt(0)
	v_add_f64 v[64:65], v[64:65], -v[22:23]
	v_add_f64 v[66:67], v[66:67], -v[128:129]
	v_mov_b64_e32 v[22:23], v[176:177]
.LBB33_136:
	s_or_b64 exec, exec, s[2:3]
	v_cmp_eq_u32_e32 vcc, 15, v172
	s_waitcnt lgkmcnt(0)
	s_barrier
	s_and_saveexec_b64 s[4:5], vcc
	s_cbranch_execz .LBB33_143
; %bb.137:
	s_waitcnt vmcnt(1)
	ds_write2_b64 v173, v[16:17], v[18:19] offset1:1
	s_waitcnt vmcnt(0)
	ds_write2_b64 v174, v[64:65], v[66:67] offset0:32 offset1:33
	ds_read2_b64 v[128:131], v173 offset1:1
	s_waitcnt lgkmcnt(0)
	v_cmp_neq_f64_e32 vcc, 0, v[128:129]
	v_cmp_neq_f64_e64 s[2:3], 0, v[130:131]
	s_or_b64 s[2:3], vcc, s[2:3]
	s_and_b64 exec, exec, s[2:3]
	s_cbranch_execz .LBB33_143
; %bb.138:
	v_cmp_ngt_f64_e64 s[2:3], |v[128:129]|, |v[130:131]|
                                        ; implicit-def: $vgpr132_vgpr133
	s_and_saveexec_b64 s[10:11], s[2:3]
	s_xor_b64 s[2:3], exec, s[10:11]
                                        ; implicit-def: $vgpr134_vgpr135
	s_cbranch_execz .LBB33_140
; %bb.139:
	v_div_scale_f64 v[132:133], s[10:11], v[130:131], v[130:131], v[128:129]
	v_rcp_f64_e32 v[134:135], v[132:133]
	v_div_scale_f64 v[176:177], vcc, v[128:129], v[130:131], v[128:129]
	v_fma_f64 v[178:179], -v[132:133], v[134:135], 1.0
	v_fmac_f64_e32 v[134:135], v[134:135], v[178:179]
	v_fma_f64 v[178:179], -v[132:133], v[134:135], 1.0
	v_fmac_f64_e32 v[134:135], v[134:135], v[178:179]
	v_mul_f64 v[178:179], v[176:177], v[134:135]
	v_fma_f64 v[132:133], -v[132:133], v[178:179], v[176:177]
	v_div_fmas_f64 v[132:133], v[132:133], v[134:135], v[178:179]
	v_div_fixup_f64 v[132:133], v[132:133], v[130:131], v[128:129]
	v_fmac_f64_e32 v[130:131], v[128:129], v[132:133]
	v_div_scale_f64 v[128:129], s[10:11], v[130:131], v[130:131], 1.0
	v_rcp_f64_e32 v[134:135], v[128:129]
	s_nop 0
	v_fma_f64 v[176:177], -v[128:129], v[134:135], 1.0
	v_fmac_f64_e32 v[134:135], v[134:135], v[176:177]
	v_fma_f64 v[176:177], -v[128:129], v[134:135], 1.0
	v_fmac_f64_e32 v[134:135], v[134:135], v[176:177]
	v_div_scale_f64 v[176:177], vcc, 1.0, v[130:131], 1.0
	v_mul_f64 v[178:179], v[176:177], v[134:135]
	v_fma_f64 v[128:129], -v[128:129], v[178:179], v[176:177]
	s_nop 1
	v_div_fmas_f64 v[128:129], v[128:129], v[134:135], v[178:179]
	v_div_fixup_f64 v[134:135], v[128:129], v[130:131], 1.0
	v_mul_f64 v[132:133], v[132:133], v[134:135]
	v_xor_b32_e32 v135, 0x80000000, v135
                                        ; implicit-def: $vgpr128_vgpr129
.LBB33_140:
	s_andn2_saveexec_b64 s[2:3], s[2:3]
	s_cbranch_execz .LBB33_142
; %bb.141:
	v_div_scale_f64 v[132:133], s[10:11], v[128:129], v[128:129], v[130:131]
	v_rcp_f64_e32 v[134:135], v[132:133]
	v_div_scale_f64 v[176:177], vcc, v[130:131], v[128:129], v[130:131]
	v_fma_f64 v[178:179], -v[132:133], v[134:135], 1.0
	v_fmac_f64_e32 v[134:135], v[134:135], v[178:179]
	v_fma_f64 v[178:179], -v[132:133], v[134:135], 1.0
	v_fmac_f64_e32 v[134:135], v[134:135], v[178:179]
	v_mul_f64 v[178:179], v[176:177], v[134:135]
	v_fma_f64 v[132:133], -v[132:133], v[178:179], v[176:177]
	v_div_fmas_f64 v[132:133], v[132:133], v[134:135], v[178:179]
	v_div_fixup_f64 v[134:135], v[132:133], v[128:129], v[130:131]
	v_fmac_f64_e32 v[128:129], v[130:131], v[134:135]
	v_div_scale_f64 v[130:131], s[10:11], v[128:129], v[128:129], 1.0
	v_rcp_f64_e32 v[132:133], v[130:131]
	s_nop 0
	v_fma_f64 v[176:177], -v[130:131], v[132:133], 1.0
	v_fmac_f64_e32 v[132:133], v[132:133], v[176:177]
	v_fma_f64 v[176:177], -v[130:131], v[132:133], 1.0
	v_fmac_f64_e32 v[132:133], v[132:133], v[176:177]
	v_div_scale_f64 v[176:177], vcc, 1.0, v[128:129], 1.0
	v_mul_f64 v[178:179], v[176:177], v[132:133]
	v_fma_f64 v[130:131], -v[130:131], v[178:179], v[176:177]
	s_nop 1
	v_div_fmas_f64 v[130:131], v[130:131], v[132:133], v[178:179]
	v_div_fixup_f64 v[132:133], v[130:131], v[128:129], 1.0
	v_mul_f64 v[134:135], v[134:135], -v[132:133]
.LBB33_142:
	s_or_b64 exec, exec, s[2:3]
	ds_write2_b64 v173, v[132:133], v[134:135] offset1:1
.LBB33_143:
	s_or_b64 exec, exec, s[4:5]
	s_waitcnt lgkmcnt(0)
	s_barrier
	ds_read2_b64 v[128:131], v173 offset1:1
	v_cmp_lt_u32_e32 vcc, 15, v172
	s_and_saveexec_b64 s[2:3], vcc
	s_cbranch_execz .LBB33_145
; %bb.144:
	ds_read2_b64 v[132:135], v174 offset0:32 offset1:33
	s_waitcnt vmcnt(1) lgkmcnt(1)
	v_mul_f64 v[174:175], v[128:129], v[18:19]
	v_mul_f64 v[18:19], v[130:131], v[18:19]
	v_fmac_f64_e32 v[174:175], v[130:131], v[16:17]
	v_fma_f64 v[16:17], v[128:129], v[16:17], -v[18:19]
	s_waitcnt lgkmcnt(0)
	v_mul_f64 v[18:19], v[134:135], v[174:175]
	v_fma_f64 v[18:19], v[132:133], v[16:17], -v[18:19]
	v_mul_f64 v[132:133], v[132:133], v[174:175]
	v_fmac_f64_e32 v[132:133], v[134:135], v[16:17]
	s_waitcnt vmcnt(0)
	v_add_f64 v[64:65], v[64:65], -v[18:19]
	v_add_f64 v[66:67], v[66:67], -v[132:133]
	v_mov_b64_e32 v[18:19], v[174:175]
.LBB33_145:
	s_or_b64 exec, exec, s[2:3]
	v_cmp_eq_u32_e32 vcc, 16, v172
	s_waitcnt lgkmcnt(0)
	s_barrier
	s_and_saveexec_b64 s[4:5], vcc
	s_cbranch_execz .LBB33_152
; %bb.146:
	s_waitcnt vmcnt(0)
	v_cmp_neq_f64_e32 vcc, 0, v[64:65]
	v_cmp_neq_f64_e64 s[2:3], 0, v[66:67]
	s_or_b64 s[2:3], vcc, s[2:3]
	ds_write2_b64 v173, v[64:65], v[66:67] offset1:1
	s_and_b64 exec, exec, s[2:3]
	s_cbranch_execz .LBB33_152
; %bb.147:
	v_cmp_ngt_f64_e64 s[2:3], |v[64:65]|, |v[66:67]|
                                        ; implicit-def: $vgpr132_vgpr133
	s_and_saveexec_b64 s[10:11], s[2:3]
	s_xor_b64 s[2:3], exec, s[10:11]
                                        ; implicit-def: $vgpr134_vgpr135
	s_cbranch_execz .LBB33_149
; %bb.148:
	v_div_scale_f64 v[132:133], s[10:11], v[66:67], v[66:67], v[64:65]
	v_rcp_f64_e32 v[134:135], v[132:133]
	v_div_scale_f64 v[174:175], vcc, v[64:65], v[66:67], v[64:65]
	v_fma_f64 v[176:177], -v[132:133], v[134:135], 1.0
	v_fmac_f64_e32 v[134:135], v[134:135], v[176:177]
	v_fma_f64 v[176:177], -v[132:133], v[134:135], 1.0
	v_fmac_f64_e32 v[134:135], v[134:135], v[176:177]
	v_mul_f64 v[176:177], v[174:175], v[134:135]
	v_fma_f64 v[132:133], -v[132:133], v[176:177], v[174:175]
	v_div_fmas_f64 v[132:133], v[132:133], v[134:135], v[176:177]
	v_div_fixup_f64 v[132:133], v[132:133], v[66:67], v[64:65]
	v_fma_f64 v[134:135], v[64:65], v[132:133], v[66:67]
	v_div_scale_f64 v[174:175], s[10:11], v[134:135], v[134:135], 1.0
	v_rcp_f64_e32 v[176:177], v[174:175]
	s_nop 0
	v_fma_f64 v[178:179], -v[174:175], v[176:177], 1.0
	v_fmac_f64_e32 v[176:177], v[176:177], v[178:179]
	v_fma_f64 v[178:179], -v[174:175], v[176:177], 1.0
	v_fmac_f64_e32 v[176:177], v[176:177], v[178:179]
	v_div_scale_f64 v[178:179], vcc, 1.0, v[134:135], 1.0
	v_mul_f64 v[180:181], v[178:179], v[176:177]
	v_fma_f64 v[174:175], -v[174:175], v[180:181], v[178:179]
	s_nop 1
	v_div_fmas_f64 v[174:175], v[174:175], v[176:177], v[180:181]
	v_div_fixup_f64 v[134:135], v[174:175], v[134:135], 1.0
	v_mul_f64 v[132:133], v[132:133], v[134:135]
	v_xor_b32_e32 v135, 0x80000000, v135
.LBB33_149:
	s_andn2_saveexec_b64 s[2:3], s[2:3]
	s_cbranch_execz .LBB33_151
; %bb.150:
	v_div_scale_f64 v[132:133], s[10:11], v[64:65], v[64:65], v[66:67]
	v_rcp_f64_e32 v[134:135], v[132:133]
	v_div_scale_f64 v[174:175], vcc, v[66:67], v[64:65], v[66:67]
	v_fma_f64 v[176:177], -v[132:133], v[134:135], 1.0
	v_fmac_f64_e32 v[134:135], v[134:135], v[176:177]
	v_fma_f64 v[176:177], -v[132:133], v[134:135], 1.0
	v_fmac_f64_e32 v[134:135], v[134:135], v[176:177]
	v_mul_f64 v[176:177], v[174:175], v[134:135]
	v_fma_f64 v[132:133], -v[132:133], v[176:177], v[174:175]
	v_div_fmas_f64 v[132:133], v[132:133], v[134:135], v[176:177]
	v_div_fixup_f64 v[134:135], v[132:133], v[64:65], v[66:67]
	v_fma_f64 v[132:133], v[66:67], v[134:135], v[64:65]
	v_div_scale_f64 v[174:175], s[10:11], v[132:133], v[132:133], 1.0
	v_rcp_f64_e32 v[176:177], v[174:175]
	s_nop 0
	v_fma_f64 v[178:179], -v[174:175], v[176:177], 1.0
	v_fmac_f64_e32 v[176:177], v[176:177], v[178:179]
	v_fma_f64 v[178:179], -v[174:175], v[176:177], 1.0
	v_fmac_f64_e32 v[176:177], v[176:177], v[178:179]
	v_div_scale_f64 v[178:179], vcc, 1.0, v[132:133], 1.0
	v_mul_f64 v[180:181], v[178:179], v[176:177]
	v_fma_f64 v[174:175], -v[174:175], v[180:181], v[178:179]
	s_nop 1
	v_div_fmas_f64 v[174:175], v[174:175], v[176:177], v[180:181]
	v_div_fixup_f64 v[132:133], v[174:175], v[132:133], 1.0
	v_mul_f64 v[134:135], v[134:135], -v[132:133]
.LBB33_151:
	s_or_b64 exec, exec, s[2:3]
	ds_write2_b64 v173, v[132:133], v[134:135] offset1:1
.LBB33_152:
	s_or_b64 exec, exec, s[4:5]
	s_waitcnt lgkmcnt(0)
	s_barrier
	ds_read2_b64 v[132:135], v173 offset1:1
	s_waitcnt lgkmcnt(0)
	s_barrier
	s_and_saveexec_b64 s[2:3], s[0:1]
	s_cbranch_execz .LBB33_155
; %bb.153:
	v_cmp_eq_f64_e32 vcc, 0, v[68:69]
	v_cmp_eq_f64_e64 s[0:1], 0, v[70:71]
	s_and_b64 s[4:5], vcc, s[0:1]
	v_cmp_neq_f64_e32 vcc, 0, v[72:73]
	v_cmp_neq_f64_e64 s[0:1], 0, v[74:75]
	s_or_b64 s[0:1], vcc, s[0:1]
	v_cndmask_b32_e64 v68, 0, 1, s[4:5]
	s_or_b64 vcc, s[0:1], s[4:5]
	v_cndmask_b32_e32 v68, 2, v68, vcc
	v_cmp_eq_f64_e32 vcc, 0, v[76:77]
	v_cmp_eq_f64_e64 s[0:1], 0, v[78:79]
	s_and_b64 s[0:1], vcc, s[0:1]
	v_cmp_eq_u32_e32 vcc, 0, v68
	s_and_b64 s[0:1], s[0:1], vcc
	v_cndmask_b32_e64 v70, v68, 3, s[0:1]
	v_mov_b32_e32 v68, s6
	v_mov_b32_e32 v69, s7
	v_lshl_add_u64 v[68:69], v[158:159], 2, v[68:69]
	global_load_dword v71, v[68:69], off
	v_cmp_eq_f64_e32 vcc, 0, v[80:81]
	v_cmp_eq_f64_e64 s[0:1], 0, v[82:83]
	s_and_b64 s[0:1], vcc, s[0:1]
	v_cmp_eq_u32_e32 vcc, 0, v70
	s_and_b64 s[0:1], s[0:1], vcc
	v_cndmask_b32_e64 v70, v70, 4, s[0:1]
	v_cmp_eq_f64_e32 vcc, 0, v[84:85]
	v_cmp_eq_f64_e64 s[0:1], 0, v[86:87]
	s_and_b64 s[0:1], vcc, s[0:1]
	v_cmp_eq_u32_e32 vcc, 0, v70
	s_and_b64 s[0:1], s[0:1], vcc
	v_cndmask_b32_e64 v70, v70, 5, s[0:1]
	;; [unrolled: 6-line block ×14, first 2 shown]
	s_waitcnt vmcnt(0)
	v_cmp_eq_u32_e32 vcc, 0, v71
	v_cmp_ne_u32_e64 s[0:1], 0, v70
	s_and_b64 s[0:1], vcc, s[0:1]
	s_and_b64 exec, exec, s[0:1]
	s_cbranch_execz .LBB33_155
; %bb.154:
	v_add_u32_e32 v70, s9, v70
	global_store_dword v[68:69], v70, off
.LBB33_155:
	s_or_b64 exec, exec, s[2:3]
	s_waitcnt vmcnt(0)
	v_mul_f64 v[68:69], v[134:135], v[66:67]
	v_mul_f64 v[70:71], v[132:133], v[66:67]
	v_fma_f64 v[68:69], v[132:133], v[64:65], -v[68:69]
	v_fmac_f64_e32 v[70:71], v[134:135], v[64:65]
	v_cmp_lt_u32_e32 vcc, 16, v172
	s_nop 1
	v_cndmask_b32_e32 v67, v67, v71, vcc
	v_cndmask_b32_e32 v66, v66, v70, vcc
	;; [unrolled: 1-line block ×4, first 2 shown]
	global_store_dwordx4 v[136:137], v[4:7], off
	global_store_dwordx4 v[138:139], v[0:3], off
	;; [unrolled: 1-line block ×17, first 2 shown]
.LBB33_156:
	s_endpgm
	.section	.rodata,"a",@progbits
	.p2align	6, 0x0
	.amdhsa_kernel _ZN9rocsolver6v33100L23getf2_npvt_small_kernelILi17E19rocblas_complex_numIdEiiPS3_EEvT1_T3_lS5_lPT2_S5_S5_
		.amdhsa_group_segment_fixed_size 0
		.amdhsa_private_segment_fixed_size 0
		.amdhsa_kernarg_size 312
		.amdhsa_user_sgpr_count 2
		.amdhsa_user_sgpr_dispatch_ptr 0
		.amdhsa_user_sgpr_queue_ptr 0
		.amdhsa_user_sgpr_kernarg_segment_ptr 1
		.amdhsa_user_sgpr_dispatch_id 0
		.amdhsa_user_sgpr_kernarg_preload_length 0
		.amdhsa_user_sgpr_kernarg_preload_offset 0
		.amdhsa_user_sgpr_private_segment_size 0
		.amdhsa_uses_dynamic_stack 0
		.amdhsa_enable_private_segment 0
		.amdhsa_system_sgpr_workgroup_id_x 1
		.amdhsa_system_sgpr_workgroup_id_y 1
		.amdhsa_system_sgpr_workgroup_id_z 0
		.amdhsa_system_sgpr_workgroup_info 0
		.amdhsa_system_vgpr_workitem_id 1
		.amdhsa_next_free_vgpr 182
		.amdhsa_next_free_sgpr 16
		.amdhsa_accum_offset 184
		.amdhsa_reserve_vcc 1
		.amdhsa_float_round_mode_32 0
		.amdhsa_float_round_mode_16_64 0
		.amdhsa_float_denorm_mode_32 3
		.amdhsa_float_denorm_mode_16_64 3
		.amdhsa_dx10_clamp 1
		.amdhsa_ieee_mode 1
		.amdhsa_fp16_overflow 0
		.amdhsa_tg_split 0
		.amdhsa_exception_fp_ieee_invalid_op 0
		.amdhsa_exception_fp_denorm_src 0
		.amdhsa_exception_fp_ieee_div_zero 0
		.amdhsa_exception_fp_ieee_overflow 0
		.amdhsa_exception_fp_ieee_underflow 0
		.amdhsa_exception_fp_ieee_inexact 0
		.amdhsa_exception_int_div_zero 0
	.end_amdhsa_kernel
	.section	.text._ZN9rocsolver6v33100L23getf2_npvt_small_kernelILi17E19rocblas_complex_numIdEiiPS3_EEvT1_T3_lS5_lPT2_S5_S5_,"axG",@progbits,_ZN9rocsolver6v33100L23getf2_npvt_small_kernelILi17E19rocblas_complex_numIdEiiPS3_EEvT1_T3_lS5_lPT2_S5_S5_,comdat
.Lfunc_end33:
	.size	_ZN9rocsolver6v33100L23getf2_npvt_small_kernelILi17E19rocblas_complex_numIdEiiPS3_EEvT1_T3_lS5_lPT2_S5_S5_, .Lfunc_end33-_ZN9rocsolver6v33100L23getf2_npvt_small_kernelILi17E19rocblas_complex_numIdEiiPS3_EEvT1_T3_lS5_lPT2_S5_S5_
                                        ; -- End function
	.set _ZN9rocsolver6v33100L23getf2_npvt_small_kernelILi17E19rocblas_complex_numIdEiiPS3_EEvT1_T3_lS5_lPT2_S5_S5_.num_vgpr, 182
	.set _ZN9rocsolver6v33100L23getf2_npvt_small_kernelILi17E19rocblas_complex_numIdEiiPS3_EEvT1_T3_lS5_lPT2_S5_S5_.num_agpr, 0
	.set _ZN9rocsolver6v33100L23getf2_npvt_small_kernelILi17E19rocblas_complex_numIdEiiPS3_EEvT1_T3_lS5_lPT2_S5_S5_.numbered_sgpr, 16
	.set _ZN9rocsolver6v33100L23getf2_npvt_small_kernelILi17E19rocblas_complex_numIdEiiPS3_EEvT1_T3_lS5_lPT2_S5_S5_.num_named_barrier, 0
	.set _ZN9rocsolver6v33100L23getf2_npvt_small_kernelILi17E19rocblas_complex_numIdEiiPS3_EEvT1_T3_lS5_lPT2_S5_S5_.private_seg_size, 0
	.set _ZN9rocsolver6v33100L23getf2_npvt_small_kernelILi17E19rocblas_complex_numIdEiiPS3_EEvT1_T3_lS5_lPT2_S5_S5_.uses_vcc, 1
	.set _ZN9rocsolver6v33100L23getf2_npvt_small_kernelILi17E19rocblas_complex_numIdEiiPS3_EEvT1_T3_lS5_lPT2_S5_S5_.uses_flat_scratch, 0
	.set _ZN9rocsolver6v33100L23getf2_npvt_small_kernelILi17E19rocblas_complex_numIdEiiPS3_EEvT1_T3_lS5_lPT2_S5_S5_.has_dyn_sized_stack, 0
	.set _ZN9rocsolver6v33100L23getf2_npvt_small_kernelILi17E19rocblas_complex_numIdEiiPS3_EEvT1_T3_lS5_lPT2_S5_S5_.has_recursion, 0
	.set _ZN9rocsolver6v33100L23getf2_npvt_small_kernelILi17E19rocblas_complex_numIdEiiPS3_EEvT1_T3_lS5_lPT2_S5_S5_.has_indirect_call, 0
	.section	.AMDGPU.csdata,"",@progbits
; Kernel info:
; codeLenInByte = 20172
; TotalNumSgprs: 22
; NumVgprs: 182
; NumAgprs: 0
; TotalNumVgprs: 182
; ScratchSize: 0
; MemoryBound: 1
; FloatMode: 240
; IeeeMode: 1
; LDSByteSize: 0 bytes/workgroup (compile time only)
; SGPRBlocks: 2
; VGPRBlocks: 22
; NumSGPRsForWavesPerEU: 22
; NumVGPRsForWavesPerEU: 182
; AccumOffset: 184
; Occupancy: 2
; WaveLimiterHint : 0
; COMPUTE_PGM_RSRC2:SCRATCH_EN: 0
; COMPUTE_PGM_RSRC2:USER_SGPR: 2
; COMPUTE_PGM_RSRC2:TRAP_HANDLER: 0
; COMPUTE_PGM_RSRC2:TGID_X_EN: 1
; COMPUTE_PGM_RSRC2:TGID_Y_EN: 1
; COMPUTE_PGM_RSRC2:TGID_Z_EN: 0
; COMPUTE_PGM_RSRC2:TIDIG_COMP_CNT: 1
; COMPUTE_PGM_RSRC3_GFX90A:ACCUM_OFFSET: 45
; COMPUTE_PGM_RSRC3_GFX90A:TG_SPLIT: 0
	.section	.text._ZN9rocsolver6v33100L18getf2_small_kernelILi18E19rocblas_complex_numIdEiiPS3_EEvT1_T3_lS5_lPS5_llPT2_S5_S5_S7_l,"axG",@progbits,_ZN9rocsolver6v33100L18getf2_small_kernelILi18E19rocblas_complex_numIdEiiPS3_EEvT1_T3_lS5_lPS5_llPT2_S5_S5_S7_l,comdat
	.globl	_ZN9rocsolver6v33100L18getf2_small_kernelILi18E19rocblas_complex_numIdEiiPS3_EEvT1_T3_lS5_lPS5_llPT2_S5_S5_S7_l ; -- Begin function _ZN9rocsolver6v33100L18getf2_small_kernelILi18E19rocblas_complex_numIdEiiPS3_EEvT1_T3_lS5_lPS5_llPT2_S5_S5_S7_l
	.p2align	8
	.type	_ZN9rocsolver6v33100L18getf2_small_kernelILi18E19rocblas_complex_numIdEiiPS3_EEvT1_T3_lS5_lPS5_llPT2_S5_S5_S7_l,@function
_ZN9rocsolver6v33100L18getf2_small_kernelILi18E19rocblas_complex_numIdEiiPS3_EEvT1_T3_lS5_lPS5_llPT2_S5_S5_S7_l: ; @_ZN9rocsolver6v33100L18getf2_small_kernelILi18E19rocblas_complex_numIdEiiPS3_EEvT1_T3_lS5_lPS5_llPT2_S5_S5_S7_l
; %bb.0:
	s_load_dword s2, s[0:1], 0x6c
	s_load_dwordx2 s[12:13], s[0:1], 0x48
	v_bfe_u32 v72, v0, 10, 10
	s_waitcnt lgkmcnt(0)
	s_lshr_b32 s2, s2, 16
	s_mul_i32 s3, s3, s2
	v_add_u32_e32 v78, s3, v72
	v_cmp_gt_i32_e32 vcc, s12, v78
	s_and_saveexec_b64 s[2:3], vcc
	s_cbranch_execz .LBB34_379
; %bb.1:
	s_load_dwordx4 s[4:7], s[0:1], 0x50
	v_ashrrev_i32_e32 v79, 31, v78
	v_mov_b64_e32 v[80:81], 0
	s_waitcnt lgkmcnt(0)
	s_cmp_eq_u64 s[4:5], 0
	s_cselect_b64 s[14:15], -1, 0
	s_and_b64 vcc, exec, s[14:15]
	s_cbranch_vccnz .LBB34_3
; %bb.2:
	v_mul_lo_u32 v1, s7, v78
	v_mul_lo_u32 v4, s6, v79
	v_mad_u64_u32 v[2:3], s[2:3], s6, v78, 0
	v_add3_u32 v3, v3, v4, v1
	v_lshl_add_u64 v[80:81], v[2:3], 2, s[4:5]
.LBB34_3:
	s_load_dwordx4 s[16:19], s[0:1], 0x8
	s_load_dwordx8 s[4:11], s[0:1], 0x20
	s_load_dword s2, s[0:1], 0x18
	s_load_dword s20, s[0:1], 0x0
	v_and_b32_e32 v86, 0x3ff, v0
	s_waitcnt lgkmcnt(0)
	v_mov_b32_e32 v2, s16
	v_mul_lo_u32 v1, s5, v78
	v_mul_lo_u32 v6, s4, v79
	v_mad_u64_u32 v[4:5], s[4:5], s4, v78, 0
	v_mov_b32_e32 v3, s17
	v_add3_u32 v5, v5, v6, v1
	v_lshl_add_u64 v[2:3], v[4:5], 4, v[2:3]
	s_add_i32 s12, s2, s2
	v_lshl_add_u64 v[76:77], s[18:19], 4, v[2:3]
	v_add_u32_e32 v2, s12, v86
	v_add_u32_e32 v4, s2, v2
	v_ashrrev_i32_e32 v3, 31, v2
	v_ashrrev_i32_e32 v5, 31, v4
	v_add_u32_e32 v6, s2, v4
	v_lshlrev_b32_e32 v82, 4, v86
	v_mov_b32_e32 v83, 0
	v_lshl_add_u64 v[2:3], v[2:3], 4, v[76:77]
	v_lshl_add_u64 v[4:5], v[4:5], 4, v[76:77]
	v_add_u32_e32 v8, s2, v6
	v_lshl_add_u64 v[0:1], v[76:77], 0, v[82:83]
	s_ashr_i32 s3, s2, 31
	v_ashrrev_i32_e32 v7, 31, v6
	global_load_dwordx4 v[48:51], v[2:3], off
	global_load_dwordx4 v[36:39], v[4:5], off
	v_ashrrev_i32_e32 v9, 31, v8
	v_add_u32_e32 v4, s2, v8
	v_lshl_add_u64 v[10:11], s[2:3], 4, v[0:1]
	v_lshl_add_u64 v[2:3], v[6:7], 4, v[76:77]
	global_load_dwordx4 v[64:67], v[0:1], off
	global_load_dwordx4 v[60:63], v[10:11], off
	v_lshl_add_u64 v[0:1], v[8:9], 4, v[76:77]
	v_add_u32_e32 v6, s2, v4
	global_load_dwordx4 v[44:47], v[2:3], off
	global_load_dwordx4 v[32:35], v[0:1], off
	v_add_u32_e32 v0, s2, v6
	v_ashrrev_i32_e32 v1, 31, v0
	v_add_u32_e32 v2, s2, v0
	v_lshl_add_u64 v[88:89], v[0:1], 4, v[76:77]
	v_ashrrev_i32_e32 v3, 31, v2
	v_add_u32_e32 v0, s2, v2
	v_lshl_add_u64 v[90:91], v[2:3], 4, v[76:77]
	;; [unrolled: 3-line block ×7, first 2 shown]
	v_ashrrev_i32_e32 v3, 31, v2
	v_add_u32_e32 v0, s2, v2
	v_ashrrev_i32_e32 v5, 31, v4
	v_lshl_add_u64 v[102:103], v[2:3], 4, v[76:77]
	v_add_u32_e32 v2, s2, v0
	v_lshl_add_u64 v[74:75], v[4:5], 4, v[76:77]
	v_ashrrev_i32_e32 v7, 31, v6
	v_ashrrev_i32_e32 v1, 31, v0
	;; [unrolled: 1-line block ×3, first 2 shown]
	v_lshl_add_u64 v[84:85], v[6:7], 4, v[76:77]
	v_lshl_add_u64 v[104:105], v[0:1], 4, v[76:77]
	;; [unrolled: 1-line block ×3, first 2 shown]
	global_load_dwordx4 v[56:59], v[74:75], off
	global_load_dwordx4 v[52:55], v[84:85], off
	;; [unrolled: 1-line block ×12, first 2 shown]
	s_load_dwordx2 s[4:5], s[0:1], 0x40
	s_max_i32 s0, s20, 18
	v_mul_lo_u32 v85, s0, v72
	v_lshl_add_u32 v84, v85, 4, 0
	v_add_u32_e32 v72, v84, v82
	s_cmp_lt_i32 s20, 2
	v_lshlrev_b32_e32 v88, 4, v85
	s_waitcnt vmcnt(15)
	ds_write2_b64 v72, v[64:65], v[66:67] offset1:1
	s_waitcnt lgkmcnt(0)
	s_barrier
	ds_read2_b64 v[72:75], v84 offset1:1
	s_cbranch_scc1 .LBB34_6
; %bb.4:
	v_add3_u32 v82, v88, 0, 16
	s_mov_b32 s16, 1
	v_mov_b32_e32 v83, 0
.LBB34_5:                               ; =>This Inner Loop Header: Depth=1
	ds_read2_b64 v[90:93], v82 offset1:1
	s_waitcnt lgkmcnt(1)
	v_xor_b32_e32 v85, 0x80000000, v73
	v_xor_b32_e32 v87, 0x80000000, v75
	v_cmp_gt_f64_e32 vcc, 0, v[74:75]
	v_cmp_gt_f64_e64 s[0:1], 0, v[72:73]
	v_mov_b32_e32 v94, v72
	v_mov_b32_e32 v96, v74
	v_cndmask_b32_e64 v95, v73, v85, s[0:1]
	v_cndmask_b32_e32 v97, v75, v87, vcc
	s_waitcnt lgkmcnt(0)
	v_xor_b32_e32 v85, 0x80000000, v91
	v_xor_b32_e32 v87, 0x80000000, v93
	v_cmp_gt_f64_e32 vcc, 0, v[92:93]
	v_cmp_gt_f64_e64 s[0:1], 0, v[90:91]
	v_add_f64 v[94:95], v[94:95], v[96:97]
	v_mov_b32_e32 v96, v90
	v_mov_b32_e32 v98, v92
	v_cndmask_b32_e64 v97, v91, v85, s[0:1]
	v_cndmask_b32_e32 v99, v93, v87, vcc
	v_add_f64 v[96:97], v[96:97], v[98:99]
	v_mov_b32_e32 v89, s16
	s_add_i32 s16, s16, 1
	v_cmp_lt_f64_e32 vcc, v[94:95], v[96:97]
	v_add_u32_e32 v82, 16, v82
	s_cmp_eq_u32 s20, s16
	v_cndmask_b32_e32 v73, v73, v91, vcc
	v_cndmask_b32_e32 v72, v72, v90, vcc
	;; [unrolled: 1-line block ×5, first 2 shown]
	s_cbranch_scc0 .LBB34_5
.LBB34_6:
	s_waitcnt lgkmcnt(0)
	v_cmp_neq_f64_e32 vcc, 0, v[72:73]
	v_cmp_neq_f64_e64 s[0:1], 0, v[74:75]
	s_or_b64 s[16:17], vcc, s[0:1]
	v_mov_b32_e32 v87, 1
	v_mov_b32_e32 v89, 1
	s_and_saveexec_b64 s[0:1], s[16:17]
	s_cbranch_execz .LBB34_12
; %bb.7:
	v_cmp_ngt_f64_e64 s[16:17], |v[72:73]|, |v[74:75]|
	s_and_saveexec_b64 s[18:19], s[16:17]
	s_xor_b64 s[16:17], exec, s[18:19]
	s_cbranch_execz .LBB34_9
; %bb.8:
	v_div_scale_f64 v[90:91], s[18:19], v[74:75], v[74:75], v[72:73]
	v_rcp_f64_e32 v[92:93], v[90:91]
	v_div_scale_f64 v[94:95], vcc, v[72:73], v[74:75], v[72:73]
	v_fma_f64 v[96:97], -v[90:91], v[92:93], 1.0
	v_fmac_f64_e32 v[92:93], v[92:93], v[96:97]
	v_fma_f64 v[96:97], -v[90:91], v[92:93], 1.0
	v_fmac_f64_e32 v[92:93], v[92:93], v[96:97]
	v_mul_f64 v[96:97], v[94:95], v[92:93]
	v_fma_f64 v[90:91], -v[90:91], v[96:97], v[94:95]
	v_div_fmas_f64 v[90:91], v[90:91], v[92:93], v[96:97]
	v_div_fixup_f64 v[90:91], v[90:91], v[74:75], v[72:73]
	v_fmac_f64_e32 v[74:75], v[72:73], v[90:91]
	v_div_scale_f64 v[72:73], s[18:19], v[74:75], v[74:75], 1.0
	v_rcp_f64_e32 v[92:93], v[72:73]
	s_nop 0
	v_fma_f64 v[94:95], -v[72:73], v[92:93], 1.0
	v_fmac_f64_e32 v[92:93], v[92:93], v[94:95]
	v_fma_f64 v[94:95], -v[72:73], v[92:93], 1.0
	v_fmac_f64_e32 v[92:93], v[92:93], v[94:95]
	v_div_scale_f64 v[94:95], vcc, 1.0, v[74:75], 1.0
	v_mul_f64 v[96:97], v[94:95], v[92:93]
	v_fma_f64 v[72:73], -v[72:73], v[96:97], v[94:95]
	s_nop 1
	v_div_fmas_f64 v[72:73], v[72:73], v[92:93], v[96:97]
	v_div_fixup_f64 v[74:75], v[72:73], v[74:75], 1.0
	v_mul_f64 v[72:73], v[90:91], v[74:75]
	v_xor_b32_e32 v75, 0x80000000, v75
.LBB34_9:
	s_andn2_saveexec_b64 s[16:17], s[16:17]
	s_cbranch_execz .LBB34_11
; %bb.10:
	v_div_scale_f64 v[90:91], s[18:19], v[72:73], v[72:73], v[74:75]
	v_rcp_f64_e32 v[92:93], v[90:91]
	v_div_scale_f64 v[94:95], vcc, v[74:75], v[72:73], v[74:75]
	v_fma_f64 v[96:97], -v[90:91], v[92:93], 1.0
	v_fmac_f64_e32 v[92:93], v[92:93], v[96:97]
	v_fma_f64 v[96:97], -v[90:91], v[92:93], 1.0
	v_fmac_f64_e32 v[92:93], v[92:93], v[96:97]
	v_mul_f64 v[96:97], v[94:95], v[92:93]
	v_fma_f64 v[90:91], -v[90:91], v[96:97], v[94:95]
	v_div_fmas_f64 v[90:91], v[90:91], v[92:93], v[96:97]
	v_div_fixup_f64 v[90:91], v[90:91], v[72:73], v[74:75]
	v_fmac_f64_e32 v[72:73], v[74:75], v[90:91]
	v_div_scale_f64 v[74:75], s[18:19], v[72:73], v[72:73], 1.0
	v_rcp_f64_e32 v[92:93], v[74:75]
	s_nop 0
	v_fma_f64 v[94:95], -v[74:75], v[92:93], 1.0
	v_fmac_f64_e32 v[92:93], v[92:93], v[94:95]
	v_fma_f64 v[94:95], -v[74:75], v[92:93], 1.0
	v_fmac_f64_e32 v[92:93], v[92:93], v[94:95]
	v_div_scale_f64 v[94:95], vcc, 1.0, v[72:73], 1.0
	v_mul_f64 v[96:97], v[94:95], v[92:93]
	v_fma_f64 v[74:75], -v[74:75], v[96:97], v[94:95]
	s_nop 1
	v_div_fmas_f64 v[74:75], v[74:75], v[92:93], v[96:97]
	v_div_fixup_f64 v[72:73], v[74:75], v[72:73], 1.0
	v_mul_f64 v[74:75], v[90:91], -v[72:73]
.LBB34_11:
	s_or_b64 exec, exec, s[16:17]
	v_mov_b32_e32 v89, 0
	v_mov_b32_e32 v87, 2
.LBB34_12:
	s_or_b64 exec, exec, s[0:1]
	v_cmp_ne_u32_e32 vcc, v86, v83
	s_and_saveexec_b64 s[0:1], vcc
	s_xor_b64 s[0:1], exec, s[0:1]
	s_cbranch_execz .LBB34_18
; %bb.13:
	v_cmp_eq_u32_e32 vcc, 0, v86
	s_and_saveexec_b64 s[16:17], vcc
	s_cbranch_execz .LBB34_17
; %bb.14:
	v_cmp_ne_u32_e32 vcc, 0, v83
	s_xor_b64 s[18:19], s[14:15], -1
	s_and_b64 s[22:23], s[18:19], vcc
	s_and_saveexec_b64 s[18:19], s[22:23]
	s_cbranch_execz .LBB34_16
; %bb.15:
	v_ashrrev_i32_e32 v91, 31, v83
	v_mov_b32_e32 v90, v83
	v_lshl_add_u64 v[90:91], v[90:91], 2, v[80:81]
	global_load_dword v82, v[90:91], off
	global_load_dword v85, v[80:81], off
	s_waitcnt vmcnt(1)
	global_store_dword v[80:81], v82, off
	s_waitcnt vmcnt(1)
	global_store_dword v[90:91], v85, off
.LBB34_16:
	s_or_b64 exec, exec, s[18:19]
	v_mov_b32_e32 v86, v83
.LBB34_17:
	s_or_b64 exec, exec, s[16:17]
.LBB34_18:
	s_or_saveexec_b64 s[0:1], s[0:1]
	v_mov_b32_e32 v85, v86
	s_xor_b64 exec, exec, s[0:1]
	s_cbranch_execz .LBB34_20
; %bb.19:
	v_mov_b32_e32 v85, 0
	s_waitcnt vmcnt(14)
	ds_write2_b64 v84, v[60:61], v[62:63] offset0:2 offset1:3
	ds_write2_b64 v84, v[48:49], v[50:51] offset0:4 offset1:5
	;; [unrolled: 1-line block ×3, first 2 shown]
	s_waitcnt vmcnt(13)
	ds_write2_b64 v84, v[44:45], v[46:47] offset0:8 offset1:9
	s_waitcnt vmcnt(12)
	ds_write2_b64 v84, v[32:33], v[34:35] offset0:10 offset1:11
	;; [unrolled: 2-line block ×14, first 2 shown]
.LBB34_20:
	s_or_b64 exec, exec, s[0:1]
	v_cmp_lt_i32_e32 vcc, 0, v85
	s_waitcnt lgkmcnt(0)
	s_barrier
	s_and_saveexec_b64 s[0:1], vcc
	s_cbranch_execz .LBB34_22
; %bb.21:
	ds_read2_b64 v[90:93], v84 offset0:2 offset1:3
	v_mul_f64 v[82:83], v[74:75], v[66:67]
	v_mul_f64 v[66:67], v[72:73], v[66:67]
	v_fmac_f64_e32 v[66:67], v[74:75], v[64:65]
	v_fma_f64 v[82:83], v[72:73], v[64:65], -v[82:83]
	ds_read2_b64 v[72:75], v84 offset0:4 offset1:5
	s_waitcnt lgkmcnt(1)
	v_mul_f64 v[64:65], v[92:93], v[66:67]
	v_fma_f64 v[64:65], v[90:91], v[82:83], -v[64:65]
	v_mul_f64 v[90:91], v[90:91], v[66:67]
	v_fmac_f64_e32 v[90:91], v[92:93], v[82:83]
	s_waitcnt vmcnt(14)
	v_add_f64 v[62:63], v[62:63], -v[90:91]
	ds_read2_b64 v[90:93], v84 offset0:6 offset1:7
	v_add_f64 v[60:61], v[60:61], -v[64:65]
	s_waitcnt lgkmcnt(1)
	v_mul_f64 v[64:65], v[74:75], v[66:67]
	v_fma_f64 v[64:65], v[72:73], v[82:83], -v[64:65]
	v_mul_f64 v[72:73], v[72:73], v[66:67]
	v_fmac_f64_e32 v[72:73], v[74:75], v[82:83]
	v_add_f64 v[48:49], v[48:49], -v[64:65]
	v_add_f64 v[50:51], v[50:51], -v[72:73]
	ds_read2_b64 v[72:75], v84 offset0:8 offset1:9
	s_waitcnt lgkmcnt(1)
	v_mul_f64 v[64:65], v[92:93], v[66:67]
	v_fma_f64 v[64:65], v[90:91], v[82:83], -v[64:65]
	v_mul_f64 v[90:91], v[90:91], v[66:67]
	v_fmac_f64_e32 v[90:91], v[92:93], v[82:83]
	v_add_f64 v[38:39], v[38:39], -v[90:91]
	ds_read2_b64 v[90:93], v84 offset0:10 offset1:11
	v_add_f64 v[36:37], v[36:37], -v[64:65]
	s_waitcnt lgkmcnt(1)
	v_mul_f64 v[64:65], v[74:75], v[66:67]
	v_fma_f64 v[64:65], v[72:73], v[82:83], -v[64:65]
	v_mul_f64 v[72:73], v[72:73], v[66:67]
	v_fmac_f64_e32 v[72:73], v[74:75], v[82:83]
	s_waitcnt vmcnt(13)
	v_add_f64 v[44:45], v[44:45], -v[64:65]
	v_add_f64 v[46:47], v[46:47], -v[72:73]
	ds_read2_b64 v[72:75], v84 offset0:12 offset1:13
	s_waitcnt lgkmcnt(1)
	v_mul_f64 v[64:65], v[92:93], v[66:67]
	v_fma_f64 v[64:65], v[90:91], v[82:83], -v[64:65]
	v_mul_f64 v[90:91], v[90:91], v[66:67]
	v_fmac_f64_e32 v[90:91], v[92:93], v[82:83]
	s_waitcnt vmcnt(12)
	v_add_f64 v[34:35], v[34:35], -v[90:91]
	ds_read2_b64 v[90:93], v84 offset0:14 offset1:15
	v_add_f64 v[32:33], v[32:33], -v[64:65]
	s_waitcnt lgkmcnt(1)
	v_mul_f64 v[64:65], v[74:75], v[66:67]
	v_fma_f64 v[64:65], v[72:73], v[82:83], -v[64:65]
	v_mul_f64 v[72:73], v[72:73], v[66:67]
	v_fmac_f64_e32 v[72:73], v[74:75], v[82:83]
	s_waitcnt vmcnt(11)
	v_add_f64 v[56:57], v[56:57], -v[64:65]
	v_add_f64 v[58:59], v[58:59], -v[72:73]
	ds_read2_b64 v[72:75], v84 offset0:16 offset1:17
	s_waitcnt lgkmcnt(1)
	v_mul_f64 v[64:65], v[92:93], v[66:67]
	v_fma_f64 v[64:65], v[90:91], v[82:83], -v[64:65]
	v_mul_f64 v[90:91], v[90:91], v[66:67]
	v_fmac_f64_e32 v[90:91], v[92:93], v[82:83]
	s_waitcnt vmcnt(10)
	;; [unrolled: 18-line block ×6, first 2 shown]
	v_add_f64 v[6:7], v[6:7], -v[90:91]
	ds_read2_b64 v[90:93], v84 offset0:34 offset1:35
	v_add_f64 v[4:5], v[4:5], -v[64:65]
	s_waitcnt lgkmcnt(1)
	v_mul_f64 v[64:65], v[74:75], v[66:67]
	v_fma_f64 v[64:65], v[72:73], v[82:83], -v[64:65]
	v_mul_f64 v[72:73], v[72:73], v[66:67]
	v_fmac_f64_e32 v[72:73], v[74:75], v[82:83]
	s_waitcnt vmcnt(1)
	v_add_f64 v[0:1], v[0:1], -v[64:65]
	v_add_f64 v[2:3], v[2:3], -v[72:73]
	s_waitcnt lgkmcnt(0)
	v_mul_f64 v[64:65], v[92:93], v[66:67]
	v_mul_f64 v[72:73], v[90:91], v[66:67]
	v_fma_f64 v[64:65], v[90:91], v[82:83], -v[64:65]
	v_fmac_f64_e32 v[72:73], v[92:93], v[82:83]
	s_waitcnt vmcnt(0)
	v_add_f64 v[68:69], v[68:69], -v[64:65]
	v_add_f64 v[70:71], v[70:71], -v[72:73]
	v_mov_b64_e32 v[64:65], v[82:83]
.LBB34_22:
	s_or_b64 exec, exec, s[0:1]
	v_lshl_add_u32 v72, v85, 4, v84
	s_barrier
	s_waitcnt vmcnt(14)
	ds_write2_b64 v72, v[60:61], v[62:63] offset1:1
	s_waitcnt lgkmcnt(0)
	s_barrier
	ds_read2_b64 v[72:75], v84 offset0:2 offset1:3
	s_cmp_lt_i32 s20, 3
	v_mov_b32_e32 v82, 1
	s_cbranch_scc1 .LBB34_25
; %bb.23:
	v_add3_u32 v83, v88, 0, 32
	s_mov_b32 s16, 2
	v_mov_b32_e32 v82, 1
.LBB34_24:                              ; =>This Inner Loop Header: Depth=1
	ds_read2_b64 v[90:93], v83 offset1:1
	s_waitcnt lgkmcnt(1)
	v_xor_b32_e32 v95, 0x80000000, v73
	v_xor_b32_e32 v97, 0x80000000, v75
	v_cmp_gt_f64_e32 vcc, 0, v[74:75]
	v_cmp_gt_f64_e64 s[0:1], 0, v[72:73]
	v_mov_b32_e32 v94, v72
	v_mov_b32_e32 v96, v74
	v_cndmask_b32_e64 v95, v73, v95, s[0:1]
	v_cndmask_b32_e32 v97, v75, v97, vcc
	v_add_f64 v[94:95], v[94:95], v[96:97]
	s_waitcnt lgkmcnt(0)
	v_xor_b32_e32 v97, 0x80000000, v91
	v_xor_b32_e32 v99, 0x80000000, v93
	v_cmp_gt_f64_e32 vcc, 0, v[92:93]
	v_cmp_gt_f64_e64 s[0:1], 0, v[90:91]
	v_mov_b32_e32 v96, v90
	v_mov_b32_e32 v98, v92
	v_cndmask_b32_e64 v97, v91, v97, s[0:1]
	v_cndmask_b32_e32 v99, v93, v99, vcc
	v_add_f64 v[96:97], v[96:97], v[98:99]
	v_mov_b32_e32 v100, s16
	s_add_i32 s16, s16, 1
	v_cmp_lt_f64_e32 vcc, v[94:95], v[96:97]
	v_add_u32_e32 v83, 16, v83
	s_cmp_lg_u32 s20, s16
	v_cndmask_b32_e32 v73, v73, v91, vcc
	v_cndmask_b32_e32 v72, v72, v90, vcc
	;; [unrolled: 1-line block ×5, first 2 shown]
	s_cbranch_scc1 .LBB34_24
.LBB34_25:
	s_waitcnt lgkmcnt(0)
	v_cmp_neq_f64_e32 vcc, 0, v[72:73]
	v_cmp_neq_f64_e64 s[0:1], 0, v[74:75]
	s_or_b64 s[16:17], vcc, s[0:1]
	s_and_saveexec_b64 s[0:1], s[16:17]
	s_cbranch_execz .LBB34_31
; %bb.26:
	v_cmp_ngt_f64_e64 s[16:17], |v[72:73]|, |v[74:75]|
	s_and_saveexec_b64 s[18:19], s[16:17]
	s_xor_b64 s[16:17], exec, s[18:19]
	s_cbranch_execz .LBB34_28
; %bb.27:
	v_div_scale_f64 v[90:91], s[18:19], v[74:75], v[74:75], v[72:73]
	v_rcp_f64_e32 v[92:93], v[90:91]
	v_div_scale_f64 v[94:95], vcc, v[72:73], v[74:75], v[72:73]
	v_fma_f64 v[96:97], -v[90:91], v[92:93], 1.0
	v_fmac_f64_e32 v[92:93], v[92:93], v[96:97]
	v_fma_f64 v[96:97], -v[90:91], v[92:93], 1.0
	v_fmac_f64_e32 v[92:93], v[92:93], v[96:97]
	v_mul_f64 v[96:97], v[94:95], v[92:93]
	v_fma_f64 v[90:91], -v[90:91], v[96:97], v[94:95]
	v_div_fmas_f64 v[90:91], v[90:91], v[92:93], v[96:97]
	v_div_fixup_f64 v[90:91], v[90:91], v[74:75], v[72:73]
	v_fmac_f64_e32 v[74:75], v[72:73], v[90:91]
	v_div_scale_f64 v[72:73], s[18:19], v[74:75], v[74:75], 1.0
	v_rcp_f64_e32 v[92:93], v[72:73]
	s_nop 0
	v_fma_f64 v[94:95], -v[72:73], v[92:93], 1.0
	v_fmac_f64_e32 v[92:93], v[92:93], v[94:95]
	v_fma_f64 v[94:95], -v[72:73], v[92:93], 1.0
	v_fmac_f64_e32 v[92:93], v[92:93], v[94:95]
	v_div_scale_f64 v[94:95], vcc, 1.0, v[74:75], 1.0
	v_mul_f64 v[96:97], v[94:95], v[92:93]
	v_fma_f64 v[72:73], -v[72:73], v[96:97], v[94:95]
	s_nop 1
	v_div_fmas_f64 v[72:73], v[72:73], v[92:93], v[96:97]
	v_div_fixup_f64 v[74:75], v[72:73], v[74:75], 1.0
	v_mul_f64 v[72:73], v[90:91], v[74:75]
	v_xor_b32_e32 v75, 0x80000000, v75
.LBB34_28:
	s_andn2_saveexec_b64 s[16:17], s[16:17]
	s_cbranch_execz .LBB34_30
; %bb.29:
	v_div_scale_f64 v[90:91], s[18:19], v[72:73], v[72:73], v[74:75]
	v_rcp_f64_e32 v[92:93], v[90:91]
	v_div_scale_f64 v[94:95], vcc, v[74:75], v[72:73], v[74:75]
	v_fma_f64 v[96:97], -v[90:91], v[92:93], 1.0
	v_fmac_f64_e32 v[92:93], v[92:93], v[96:97]
	v_fma_f64 v[96:97], -v[90:91], v[92:93], 1.0
	v_fmac_f64_e32 v[92:93], v[92:93], v[96:97]
	v_mul_f64 v[96:97], v[94:95], v[92:93]
	v_fma_f64 v[90:91], -v[90:91], v[96:97], v[94:95]
	v_div_fmas_f64 v[90:91], v[90:91], v[92:93], v[96:97]
	v_div_fixup_f64 v[90:91], v[90:91], v[72:73], v[74:75]
	v_fmac_f64_e32 v[72:73], v[74:75], v[90:91]
	v_div_scale_f64 v[74:75], s[18:19], v[72:73], v[72:73], 1.0
	v_rcp_f64_e32 v[92:93], v[74:75]
	s_nop 0
	v_fma_f64 v[94:95], -v[74:75], v[92:93], 1.0
	v_fmac_f64_e32 v[92:93], v[92:93], v[94:95]
	v_fma_f64 v[94:95], -v[74:75], v[92:93], 1.0
	v_fmac_f64_e32 v[92:93], v[92:93], v[94:95]
	v_div_scale_f64 v[94:95], vcc, 1.0, v[72:73], 1.0
	v_mul_f64 v[96:97], v[94:95], v[92:93]
	v_fma_f64 v[74:75], -v[74:75], v[96:97], v[94:95]
	s_nop 1
	v_div_fmas_f64 v[74:75], v[74:75], v[92:93], v[96:97]
	v_div_fixup_f64 v[72:73], v[74:75], v[72:73], 1.0
	v_mul_f64 v[74:75], v[90:91], -v[72:73]
.LBB34_30:
	s_or_b64 exec, exec, s[16:17]
	v_mov_b32_e32 v87, v89
.LBB34_31:
	s_or_b64 exec, exec, s[0:1]
	v_cmp_ne_u32_e32 vcc, v85, v82
	s_and_saveexec_b64 s[0:1], vcc
	s_xor_b64 s[0:1], exec, s[0:1]
	s_cbranch_execz .LBB34_37
; %bb.32:
	v_cmp_eq_u32_e32 vcc, 1, v85
	s_and_saveexec_b64 s[16:17], vcc
	s_cbranch_execz .LBB34_36
; %bb.33:
	v_cmp_ne_u32_e32 vcc, 1, v82
	s_xor_b64 s[18:19], s[14:15], -1
	s_and_b64 s[22:23], s[18:19], vcc
	s_and_saveexec_b64 s[18:19], s[22:23]
	s_cbranch_execz .LBB34_35
; %bb.34:
	v_ashrrev_i32_e32 v83, 31, v82
	v_lshl_add_u64 v[90:91], v[82:83], 2, v[80:81]
	global_load_dword v83, v[90:91], off
	global_load_dword v85, v[80:81], off offset:4
	s_waitcnt vmcnt(1)
	global_store_dword v[80:81], v83, off offset:4
	s_waitcnt vmcnt(1)
	global_store_dword v[90:91], v85, off
.LBB34_35:
	s_or_b64 exec, exec, s[18:19]
	v_mov_b32_e32 v85, v82
	v_mov_b32_e32 v86, v82
.LBB34_36:
	s_or_b64 exec, exec, s[16:17]
.LBB34_37:
	s_andn2_saveexec_b64 s[0:1], s[0:1]
	s_cbranch_execz .LBB34_39
; %bb.38:
	v_mov_b32_e32 v85, 1
	ds_write2_b64 v84, v[48:49], v[50:51] offset0:4 offset1:5
	ds_write2_b64 v84, v[36:37], v[38:39] offset0:6 offset1:7
	s_waitcnt vmcnt(13)
	ds_write2_b64 v84, v[44:45], v[46:47] offset0:8 offset1:9
	s_waitcnt vmcnt(12)
	;; [unrolled: 2-line block ×14, first 2 shown]
	ds_write2_b64 v84, v[68:69], v[70:71] offset0:34 offset1:35
.LBB34_39:
	s_or_b64 exec, exec, s[0:1]
	v_cmp_lt_i32_e32 vcc, 1, v85
	s_waitcnt lgkmcnt(0)
	s_barrier
	s_and_saveexec_b64 s[0:1], vcc
	s_cbranch_execz .LBB34_41
; %bb.40:
	ds_read2_b64 v[90:93], v84 offset0:4 offset1:5
	v_mul_f64 v[82:83], v[72:73], v[62:63]
	v_mul_f64 v[62:63], v[74:75], v[62:63]
	v_fmac_f64_e32 v[82:83], v[74:75], v[60:61]
	v_fma_f64 v[60:61], v[72:73], v[60:61], -v[62:63]
	ds_read2_b64 v[72:75], v84 offset0:6 offset1:7
	s_waitcnt lgkmcnt(1)
	v_mul_f64 v[62:63], v[92:93], v[82:83]
	v_fma_f64 v[62:63], v[90:91], v[60:61], -v[62:63]
	v_mul_f64 v[90:91], v[90:91], v[82:83]
	v_fmac_f64_e32 v[90:91], v[92:93], v[60:61]
	v_add_f64 v[48:49], v[48:49], -v[62:63]
	s_waitcnt lgkmcnt(0)
	v_mul_f64 v[62:63], v[74:75], v[82:83]
	v_add_f64 v[50:51], v[50:51], -v[90:91]
	v_fma_f64 v[62:63], v[72:73], v[60:61], -v[62:63]
	v_mul_f64 v[72:73], v[72:73], v[82:83]
	ds_read2_b64 v[90:93], v84 offset0:8 offset1:9
	v_fmac_f64_e32 v[72:73], v[74:75], v[60:61]
	v_add_f64 v[38:39], v[38:39], -v[72:73]
	ds_read2_b64 v[72:75], v84 offset0:10 offset1:11
	v_add_f64 v[36:37], v[36:37], -v[62:63]
	s_waitcnt lgkmcnt(1)
	v_mul_f64 v[62:63], v[92:93], v[82:83]
	v_fma_f64 v[62:63], v[90:91], v[60:61], -v[62:63]
	v_mul_f64 v[90:91], v[90:91], v[82:83]
	v_fmac_f64_e32 v[90:91], v[92:93], v[60:61]
	s_waitcnt vmcnt(13)
	v_add_f64 v[44:45], v[44:45], -v[62:63]
	s_waitcnt lgkmcnt(0)
	v_mul_f64 v[62:63], v[74:75], v[82:83]
	v_add_f64 v[46:47], v[46:47], -v[90:91]
	v_fma_f64 v[62:63], v[72:73], v[60:61], -v[62:63]
	v_mul_f64 v[72:73], v[72:73], v[82:83]
	ds_read2_b64 v[90:93], v84 offset0:12 offset1:13
	v_fmac_f64_e32 v[72:73], v[74:75], v[60:61]
	s_waitcnt vmcnt(12)
	v_add_f64 v[34:35], v[34:35], -v[72:73]
	ds_read2_b64 v[72:75], v84 offset0:14 offset1:15
	v_add_f64 v[32:33], v[32:33], -v[62:63]
	s_waitcnt lgkmcnt(1)
	v_mul_f64 v[62:63], v[92:93], v[82:83]
	v_fma_f64 v[62:63], v[90:91], v[60:61], -v[62:63]
	v_mul_f64 v[90:91], v[90:91], v[82:83]
	v_fmac_f64_e32 v[90:91], v[92:93], v[60:61]
	s_waitcnt vmcnt(11)
	v_add_f64 v[56:57], v[56:57], -v[62:63]
	s_waitcnt lgkmcnt(0)
	v_mul_f64 v[62:63], v[74:75], v[82:83]
	v_add_f64 v[58:59], v[58:59], -v[90:91]
	v_fma_f64 v[62:63], v[72:73], v[60:61], -v[62:63]
	v_mul_f64 v[72:73], v[72:73], v[82:83]
	ds_read2_b64 v[90:93], v84 offset0:16 offset1:17
	v_fmac_f64_e32 v[72:73], v[74:75], v[60:61]
	s_waitcnt vmcnt(10)
	;; [unrolled: 18-line block ×6, first 2 shown]
	v_add_f64 v[6:7], v[6:7], -v[72:73]
	ds_read2_b64 v[72:75], v84 offset0:34 offset1:35
	v_add_f64 v[4:5], v[4:5], -v[62:63]
	s_waitcnt lgkmcnt(1)
	v_mul_f64 v[62:63], v[92:93], v[82:83]
	v_fma_f64 v[62:63], v[90:91], v[60:61], -v[62:63]
	s_waitcnt vmcnt(1)
	v_add_f64 v[0:1], v[0:1], -v[62:63]
	s_waitcnt lgkmcnt(0)
	v_mul_f64 v[62:63], v[74:75], v[82:83]
	v_mul_f64 v[90:91], v[90:91], v[82:83]
	v_fma_f64 v[62:63], v[72:73], v[60:61], -v[62:63]
	v_mul_f64 v[72:73], v[72:73], v[82:83]
	v_fmac_f64_e32 v[90:91], v[92:93], v[60:61]
	v_fmac_f64_e32 v[72:73], v[74:75], v[60:61]
	v_add_f64 v[2:3], v[2:3], -v[90:91]
	s_waitcnt vmcnt(0)
	v_add_f64 v[68:69], v[68:69], -v[62:63]
	v_add_f64 v[70:71], v[70:71], -v[72:73]
	v_mov_b64_e32 v[62:63], v[82:83]
.LBB34_41:
	s_or_b64 exec, exec, s[0:1]
	v_lshl_add_u32 v72, v85, 4, v84
	s_barrier
	ds_write2_b64 v72, v[48:49], v[50:51] offset1:1
	s_waitcnt lgkmcnt(0)
	s_barrier
	ds_read2_b64 v[72:75], v84 offset0:4 offset1:5
	s_cmp_lt_i32 s20, 4
	v_mov_b32_e32 v82, 2
	s_cbranch_scc1 .LBB34_44
; %bb.42:
	v_add3_u32 v83, v88, 0, 48
	s_mov_b32 s16, 3
	v_mov_b32_e32 v82, 2
.LBB34_43:                              ; =>This Inner Loop Header: Depth=1
	ds_read2_b64 v[90:93], v83 offset1:1
	s_waitcnt lgkmcnt(1)
	v_xor_b32_e32 v89, 0x80000000, v73
	v_xor_b32_e32 v97, 0x80000000, v75
	v_cmp_gt_f64_e32 vcc, 0, v[74:75]
	v_cmp_gt_f64_e64 s[0:1], 0, v[72:73]
	v_mov_b32_e32 v94, v72
	v_mov_b32_e32 v96, v74
	v_cndmask_b32_e64 v95, v73, v89, s[0:1]
	v_cndmask_b32_e32 v97, v75, v97, vcc
	s_waitcnt lgkmcnt(0)
	v_xor_b32_e32 v89, 0x80000000, v91
	v_xor_b32_e32 v99, 0x80000000, v93
	v_cmp_gt_f64_e32 vcc, 0, v[92:93]
	v_cmp_gt_f64_e64 s[0:1], 0, v[90:91]
	v_add_f64 v[94:95], v[94:95], v[96:97]
	v_mov_b32_e32 v96, v90
	v_mov_b32_e32 v98, v92
	v_cndmask_b32_e64 v97, v91, v89, s[0:1]
	v_cndmask_b32_e32 v99, v93, v99, vcc
	v_add_f64 v[96:97], v[96:97], v[98:99]
	v_mov_b32_e32 v100, s16
	s_add_i32 s16, s16, 1
	v_cmp_lt_f64_e32 vcc, v[94:95], v[96:97]
	v_add_u32_e32 v83, 16, v83
	s_cmp_lg_u32 s20, s16
	v_cndmask_b32_e32 v73, v73, v91, vcc
	v_cndmask_b32_e32 v72, v72, v90, vcc
	;; [unrolled: 1-line block ×5, first 2 shown]
	s_cbranch_scc1 .LBB34_43
.LBB34_44:
	s_waitcnt lgkmcnt(0)
	v_cmp_eq_f64_e32 vcc, 0, v[72:73]
	v_cmp_eq_f64_e64 s[0:1], 0, v[74:75]
	s_and_b64 s[0:1], vcc, s[0:1]
	s_and_saveexec_b64 s[16:17], s[0:1]
	s_xor_b64 s[0:1], exec, s[16:17]
; %bb.45:
	v_cmp_ne_u32_e32 vcc, 0, v87
	s_nop 1
	v_cndmask_b32_e32 v87, 3, v87, vcc
; %bb.46:
	s_andn2_saveexec_b64 s[0:1], s[0:1]
	s_cbranch_execz .LBB34_52
; %bb.47:
	v_cmp_ngt_f64_e64 s[16:17], |v[72:73]|, |v[74:75]|
	s_and_saveexec_b64 s[18:19], s[16:17]
	s_xor_b64 s[16:17], exec, s[18:19]
	s_cbranch_execz .LBB34_49
; %bb.48:
	v_div_scale_f64 v[90:91], s[18:19], v[74:75], v[74:75], v[72:73]
	v_rcp_f64_e32 v[92:93], v[90:91]
	v_div_scale_f64 v[94:95], vcc, v[72:73], v[74:75], v[72:73]
	v_fma_f64 v[96:97], -v[90:91], v[92:93], 1.0
	v_fmac_f64_e32 v[92:93], v[92:93], v[96:97]
	v_fma_f64 v[96:97], -v[90:91], v[92:93], 1.0
	v_fmac_f64_e32 v[92:93], v[92:93], v[96:97]
	v_mul_f64 v[96:97], v[94:95], v[92:93]
	v_fma_f64 v[90:91], -v[90:91], v[96:97], v[94:95]
	v_div_fmas_f64 v[90:91], v[90:91], v[92:93], v[96:97]
	v_div_fixup_f64 v[90:91], v[90:91], v[74:75], v[72:73]
	v_fmac_f64_e32 v[74:75], v[72:73], v[90:91]
	v_div_scale_f64 v[72:73], s[18:19], v[74:75], v[74:75], 1.0
	v_rcp_f64_e32 v[92:93], v[72:73]
	s_nop 0
	v_fma_f64 v[94:95], -v[72:73], v[92:93], 1.0
	v_fmac_f64_e32 v[92:93], v[92:93], v[94:95]
	v_fma_f64 v[94:95], -v[72:73], v[92:93], 1.0
	v_fmac_f64_e32 v[92:93], v[92:93], v[94:95]
	v_div_scale_f64 v[94:95], vcc, 1.0, v[74:75], 1.0
	v_mul_f64 v[96:97], v[94:95], v[92:93]
	v_fma_f64 v[72:73], -v[72:73], v[96:97], v[94:95]
	s_nop 1
	v_div_fmas_f64 v[72:73], v[72:73], v[92:93], v[96:97]
	v_div_fixup_f64 v[74:75], v[72:73], v[74:75], 1.0
	v_mul_f64 v[72:73], v[90:91], v[74:75]
	v_xor_b32_e32 v75, 0x80000000, v75
.LBB34_49:
	s_andn2_saveexec_b64 s[16:17], s[16:17]
	s_cbranch_execz .LBB34_51
; %bb.50:
	v_div_scale_f64 v[90:91], s[18:19], v[72:73], v[72:73], v[74:75]
	v_rcp_f64_e32 v[92:93], v[90:91]
	v_div_scale_f64 v[94:95], vcc, v[74:75], v[72:73], v[74:75]
	v_fma_f64 v[96:97], -v[90:91], v[92:93], 1.0
	v_fmac_f64_e32 v[92:93], v[92:93], v[96:97]
	v_fma_f64 v[96:97], -v[90:91], v[92:93], 1.0
	v_fmac_f64_e32 v[92:93], v[92:93], v[96:97]
	v_mul_f64 v[96:97], v[94:95], v[92:93]
	v_fma_f64 v[90:91], -v[90:91], v[96:97], v[94:95]
	v_div_fmas_f64 v[90:91], v[90:91], v[92:93], v[96:97]
	v_div_fixup_f64 v[90:91], v[90:91], v[72:73], v[74:75]
	v_fmac_f64_e32 v[72:73], v[74:75], v[90:91]
	v_div_scale_f64 v[74:75], s[18:19], v[72:73], v[72:73], 1.0
	v_rcp_f64_e32 v[92:93], v[74:75]
	s_nop 0
	v_fma_f64 v[94:95], -v[74:75], v[92:93], 1.0
	v_fmac_f64_e32 v[92:93], v[92:93], v[94:95]
	v_fma_f64 v[94:95], -v[74:75], v[92:93], 1.0
	v_fmac_f64_e32 v[92:93], v[92:93], v[94:95]
	v_div_scale_f64 v[94:95], vcc, 1.0, v[72:73], 1.0
	v_mul_f64 v[96:97], v[94:95], v[92:93]
	v_fma_f64 v[74:75], -v[74:75], v[96:97], v[94:95]
	s_nop 1
	v_div_fmas_f64 v[74:75], v[74:75], v[92:93], v[96:97]
	v_div_fixup_f64 v[72:73], v[74:75], v[72:73], 1.0
	v_mul_f64 v[74:75], v[90:91], -v[72:73]
.LBB34_51:
	s_or_b64 exec, exec, s[16:17]
.LBB34_52:
	s_or_b64 exec, exec, s[0:1]
	v_cmp_ne_u32_e32 vcc, v85, v82
	s_and_saveexec_b64 s[0:1], vcc
	s_xor_b64 s[0:1], exec, s[0:1]
	s_cbranch_execz .LBB34_58
; %bb.53:
	v_cmp_eq_u32_e32 vcc, 2, v85
	s_and_saveexec_b64 s[16:17], vcc
	s_cbranch_execz .LBB34_57
; %bb.54:
	v_cmp_ne_u32_e32 vcc, 2, v82
	s_xor_b64 s[18:19], s[14:15], -1
	s_and_b64 s[22:23], s[18:19], vcc
	s_and_saveexec_b64 s[18:19], s[22:23]
	s_cbranch_execz .LBB34_56
; %bb.55:
	v_ashrrev_i32_e32 v83, 31, v82
	v_lshl_add_u64 v[90:91], v[82:83], 2, v[80:81]
	global_load_dword v83, v[90:91], off
	global_load_dword v85, v[80:81], off offset:8
	s_waitcnt vmcnt(1)
	global_store_dword v[80:81], v83, off offset:8
	s_waitcnt vmcnt(1)
	global_store_dword v[90:91], v85, off
.LBB34_56:
	s_or_b64 exec, exec, s[18:19]
	v_mov_b32_e32 v85, v82
	v_mov_b32_e32 v86, v82
.LBB34_57:
	s_or_b64 exec, exec, s[16:17]
.LBB34_58:
	s_andn2_saveexec_b64 s[0:1], s[0:1]
	s_cbranch_execz .LBB34_60
; %bb.59:
	v_mov_b32_e32 v85, 2
	ds_write2_b64 v84, v[36:37], v[38:39] offset0:6 offset1:7
	s_waitcnt vmcnt(13)
	ds_write2_b64 v84, v[44:45], v[46:47] offset0:8 offset1:9
	s_waitcnt vmcnt(12)
	;; [unrolled: 2-line block ×14, first 2 shown]
	ds_write2_b64 v84, v[68:69], v[70:71] offset0:34 offset1:35
.LBB34_60:
	s_or_b64 exec, exec, s[0:1]
	v_cmp_lt_i32_e32 vcc, 2, v85
	s_waitcnt lgkmcnt(0)
	s_barrier
	s_and_saveexec_b64 s[0:1], vcc
	s_cbranch_execz .LBB34_62
; %bb.61:
	ds_read2_b64 v[90:93], v84 offset0:6 offset1:7
	v_mul_f64 v[82:83], v[72:73], v[50:51]
	v_fmac_f64_e32 v[82:83], v[74:75], v[48:49]
	v_mul_f64 v[50:51], v[74:75], v[50:51]
	v_fma_f64 v[48:49], v[72:73], v[48:49], -v[50:51]
	ds_read2_b64 v[72:75], v84 offset0:8 offset1:9
	s_waitcnt lgkmcnt(1)
	v_mul_f64 v[50:51], v[92:93], v[82:83]
	v_fma_f64 v[50:51], v[90:91], v[48:49], -v[50:51]
	v_mul_f64 v[90:91], v[90:91], v[82:83]
	v_fmac_f64_e32 v[90:91], v[92:93], v[48:49]
	v_add_f64 v[38:39], v[38:39], -v[90:91]
	ds_read2_b64 v[90:93], v84 offset0:10 offset1:11
	v_add_f64 v[36:37], v[36:37], -v[50:51]
	s_waitcnt lgkmcnt(1)
	v_mul_f64 v[50:51], v[74:75], v[82:83]
	v_fma_f64 v[50:51], v[72:73], v[48:49], -v[50:51]
	v_mul_f64 v[72:73], v[72:73], v[82:83]
	v_fmac_f64_e32 v[72:73], v[74:75], v[48:49]
	s_waitcnt vmcnt(13)
	v_add_f64 v[44:45], v[44:45], -v[50:51]
	v_add_f64 v[46:47], v[46:47], -v[72:73]
	ds_read2_b64 v[72:75], v84 offset0:12 offset1:13
	s_waitcnt lgkmcnt(1)
	v_mul_f64 v[50:51], v[92:93], v[82:83]
	v_fma_f64 v[50:51], v[90:91], v[48:49], -v[50:51]
	v_mul_f64 v[90:91], v[90:91], v[82:83]
	v_fmac_f64_e32 v[90:91], v[92:93], v[48:49]
	s_waitcnt vmcnt(12)
	v_add_f64 v[34:35], v[34:35], -v[90:91]
	ds_read2_b64 v[90:93], v84 offset0:14 offset1:15
	v_add_f64 v[32:33], v[32:33], -v[50:51]
	s_waitcnt lgkmcnt(1)
	v_mul_f64 v[50:51], v[74:75], v[82:83]
	v_fma_f64 v[50:51], v[72:73], v[48:49], -v[50:51]
	v_mul_f64 v[72:73], v[72:73], v[82:83]
	v_fmac_f64_e32 v[72:73], v[74:75], v[48:49]
	s_waitcnt vmcnt(11)
	v_add_f64 v[56:57], v[56:57], -v[50:51]
	v_add_f64 v[58:59], v[58:59], -v[72:73]
	ds_read2_b64 v[72:75], v84 offset0:16 offset1:17
	s_waitcnt lgkmcnt(1)
	v_mul_f64 v[50:51], v[92:93], v[82:83]
	v_fma_f64 v[50:51], v[90:91], v[48:49], -v[50:51]
	v_mul_f64 v[90:91], v[90:91], v[82:83]
	v_fmac_f64_e32 v[90:91], v[92:93], v[48:49]
	s_waitcnt vmcnt(10)
	;; [unrolled: 18-line block ×6, first 2 shown]
	v_add_f64 v[6:7], v[6:7], -v[90:91]
	ds_read2_b64 v[90:93], v84 offset0:34 offset1:35
	v_add_f64 v[4:5], v[4:5], -v[50:51]
	s_waitcnt lgkmcnt(1)
	v_mul_f64 v[50:51], v[74:75], v[82:83]
	v_fma_f64 v[50:51], v[72:73], v[48:49], -v[50:51]
	v_mul_f64 v[72:73], v[72:73], v[82:83]
	v_fmac_f64_e32 v[72:73], v[74:75], v[48:49]
	s_waitcnt vmcnt(1)
	v_add_f64 v[0:1], v[0:1], -v[50:51]
	v_add_f64 v[2:3], v[2:3], -v[72:73]
	s_waitcnt lgkmcnt(0)
	v_mul_f64 v[50:51], v[92:93], v[82:83]
	v_mul_f64 v[72:73], v[90:91], v[82:83]
	v_fma_f64 v[50:51], v[90:91], v[48:49], -v[50:51]
	v_fmac_f64_e32 v[72:73], v[92:93], v[48:49]
	s_waitcnt vmcnt(0)
	v_add_f64 v[68:69], v[68:69], -v[50:51]
	v_add_f64 v[70:71], v[70:71], -v[72:73]
	v_mov_b64_e32 v[50:51], v[82:83]
.LBB34_62:
	s_or_b64 exec, exec, s[0:1]
	v_lshl_add_u32 v72, v85, 4, v84
	s_barrier
	ds_write2_b64 v72, v[36:37], v[38:39] offset1:1
	s_waitcnt lgkmcnt(0)
	s_barrier
	ds_read2_b64 v[72:75], v84 offset0:6 offset1:7
	s_mov_b32 s16, 4
	s_cmp_lt_i32 s20, 5
	v_mov_b32_e32 v82, 3
	s_cbranch_scc1 .LBB34_65
; %bb.63:
	v_add3_u32 v83, v88, 0, 64
	v_mov_b32_e32 v82, 3
.LBB34_64:                              ; =>This Inner Loop Header: Depth=1
	ds_read2_b64 v[88:91], v83 offset1:1
	s_waitcnt lgkmcnt(1)
	v_xor_b32_e32 v93, 0x80000000, v73
	v_xor_b32_e32 v95, 0x80000000, v75
	v_cmp_gt_f64_e32 vcc, 0, v[74:75]
	v_cmp_gt_f64_e64 s[0:1], 0, v[72:73]
	v_mov_b32_e32 v92, v72
	v_mov_b32_e32 v94, v74
	v_cndmask_b32_e64 v93, v73, v93, s[0:1]
	v_cndmask_b32_e32 v95, v75, v95, vcc
	v_add_f64 v[92:93], v[92:93], v[94:95]
	s_waitcnt lgkmcnt(0)
	v_xor_b32_e32 v95, 0x80000000, v89
	v_xor_b32_e32 v97, 0x80000000, v91
	v_cmp_gt_f64_e32 vcc, 0, v[90:91]
	v_cmp_gt_f64_e64 s[0:1], 0, v[88:89]
	v_mov_b32_e32 v94, v88
	v_mov_b32_e32 v96, v90
	v_cndmask_b32_e64 v95, v89, v95, s[0:1]
	v_cndmask_b32_e32 v97, v91, v97, vcc
	v_add_f64 v[94:95], v[94:95], v[96:97]
	v_mov_b32_e32 v98, s16
	s_add_i32 s16, s16, 1
	v_cmp_lt_f64_e32 vcc, v[92:93], v[94:95]
	v_add_u32_e32 v83, 16, v83
	s_cmp_lg_u32 s20, s16
	v_cndmask_b32_e32 v73, v73, v89, vcc
	v_cndmask_b32_e32 v72, v72, v88, vcc
	;; [unrolled: 1-line block ×5, first 2 shown]
	s_cbranch_scc1 .LBB34_64
.LBB34_65:
	s_waitcnt lgkmcnt(0)
	v_cmp_eq_f64_e32 vcc, 0, v[72:73]
	v_cmp_eq_f64_e64 s[0:1], 0, v[74:75]
	s_and_b64 s[0:1], vcc, s[0:1]
	s_and_saveexec_b64 s[16:17], s[0:1]
	s_xor_b64 s[0:1], exec, s[16:17]
; %bb.66:
	v_cmp_ne_u32_e32 vcc, 0, v87
	s_nop 1
	v_cndmask_b32_e32 v87, 4, v87, vcc
; %bb.67:
	s_andn2_saveexec_b64 s[0:1], s[0:1]
	s_cbranch_execz .LBB34_73
; %bb.68:
	v_cmp_ngt_f64_e64 s[16:17], |v[72:73]|, |v[74:75]|
	s_and_saveexec_b64 s[18:19], s[16:17]
	s_xor_b64 s[16:17], exec, s[18:19]
	s_cbranch_execz .LBB34_70
; %bb.69:
	v_div_scale_f64 v[88:89], s[18:19], v[74:75], v[74:75], v[72:73]
	v_rcp_f64_e32 v[90:91], v[88:89]
	v_div_scale_f64 v[92:93], vcc, v[72:73], v[74:75], v[72:73]
	v_fma_f64 v[94:95], -v[88:89], v[90:91], 1.0
	v_fmac_f64_e32 v[90:91], v[90:91], v[94:95]
	v_fma_f64 v[94:95], -v[88:89], v[90:91], 1.0
	v_fmac_f64_e32 v[90:91], v[90:91], v[94:95]
	v_mul_f64 v[94:95], v[92:93], v[90:91]
	v_fma_f64 v[88:89], -v[88:89], v[94:95], v[92:93]
	v_div_fmas_f64 v[88:89], v[88:89], v[90:91], v[94:95]
	v_div_fixup_f64 v[88:89], v[88:89], v[74:75], v[72:73]
	v_fmac_f64_e32 v[74:75], v[72:73], v[88:89]
	v_div_scale_f64 v[72:73], s[18:19], v[74:75], v[74:75], 1.0
	v_rcp_f64_e32 v[90:91], v[72:73]
	s_nop 0
	v_fma_f64 v[92:93], -v[72:73], v[90:91], 1.0
	v_fmac_f64_e32 v[90:91], v[90:91], v[92:93]
	v_fma_f64 v[92:93], -v[72:73], v[90:91], 1.0
	v_fmac_f64_e32 v[90:91], v[90:91], v[92:93]
	v_div_scale_f64 v[92:93], vcc, 1.0, v[74:75], 1.0
	v_mul_f64 v[94:95], v[92:93], v[90:91]
	v_fma_f64 v[72:73], -v[72:73], v[94:95], v[92:93]
	s_nop 1
	v_div_fmas_f64 v[72:73], v[72:73], v[90:91], v[94:95]
	v_div_fixup_f64 v[74:75], v[72:73], v[74:75], 1.0
	v_mul_f64 v[72:73], v[88:89], v[74:75]
	v_xor_b32_e32 v75, 0x80000000, v75
.LBB34_70:
	s_andn2_saveexec_b64 s[16:17], s[16:17]
	s_cbranch_execz .LBB34_72
; %bb.71:
	v_div_scale_f64 v[88:89], s[18:19], v[72:73], v[72:73], v[74:75]
	v_rcp_f64_e32 v[90:91], v[88:89]
	v_div_scale_f64 v[92:93], vcc, v[74:75], v[72:73], v[74:75]
	v_fma_f64 v[94:95], -v[88:89], v[90:91], 1.0
	v_fmac_f64_e32 v[90:91], v[90:91], v[94:95]
	v_fma_f64 v[94:95], -v[88:89], v[90:91], 1.0
	v_fmac_f64_e32 v[90:91], v[90:91], v[94:95]
	v_mul_f64 v[94:95], v[92:93], v[90:91]
	v_fma_f64 v[88:89], -v[88:89], v[94:95], v[92:93]
	v_div_fmas_f64 v[88:89], v[88:89], v[90:91], v[94:95]
	v_div_fixup_f64 v[88:89], v[88:89], v[72:73], v[74:75]
	v_fmac_f64_e32 v[72:73], v[74:75], v[88:89]
	v_div_scale_f64 v[74:75], s[18:19], v[72:73], v[72:73], 1.0
	v_rcp_f64_e32 v[90:91], v[74:75]
	s_nop 0
	v_fma_f64 v[92:93], -v[74:75], v[90:91], 1.0
	v_fmac_f64_e32 v[90:91], v[90:91], v[92:93]
	v_fma_f64 v[92:93], -v[74:75], v[90:91], 1.0
	v_fmac_f64_e32 v[90:91], v[90:91], v[92:93]
	v_div_scale_f64 v[92:93], vcc, 1.0, v[72:73], 1.0
	v_mul_f64 v[94:95], v[92:93], v[90:91]
	v_fma_f64 v[74:75], -v[74:75], v[94:95], v[92:93]
	s_nop 1
	v_div_fmas_f64 v[74:75], v[74:75], v[90:91], v[94:95]
	v_div_fixup_f64 v[72:73], v[74:75], v[72:73], 1.0
	v_mul_f64 v[74:75], v[88:89], -v[72:73]
.LBB34_72:
	s_or_b64 exec, exec, s[16:17]
.LBB34_73:
	s_or_b64 exec, exec, s[0:1]
	v_cmp_ne_u32_e32 vcc, v85, v82
	s_and_saveexec_b64 s[0:1], vcc
	s_xor_b64 s[0:1], exec, s[0:1]
	s_cbranch_execz .LBB34_79
; %bb.74:
	v_cmp_eq_u32_e32 vcc, 3, v85
	s_and_saveexec_b64 s[16:17], vcc
	s_cbranch_execz .LBB34_78
; %bb.75:
	v_cmp_ne_u32_e32 vcc, 3, v82
	s_xor_b64 s[18:19], s[14:15], -1
	s_and_b64 s[22:23], s[18:19], vcc
	s_and_saveexec_b64 s[18:19], s[22:23]
	s_cbranch_execz .LBB34_77
; %bb.76:
	v_ashrrev_i32_e32 v83, 31, v82
	v_lshl_add_u64 v[88:89], v[82:83], 2, v[80:81]
	global_load_dword v83, v[88:89], off
	global_load_dword v85, v[80:81], off offset:12
	s_waitcnt vmcnt(1)
	global_store_dword v[80:81], v83, off offset:12
	s_waitcnt vmcnt(1)
	global_store_dword v[88:89], v85, off
.LBB34_77:
	s_or_b64 exec, exec, s[18:19]
	v_mov_b32_e32 v85, v82
	v_mov_b32_e32 v86, v82
.LBB34_78:
	s_or_b64 exec, exec, s[16:17]
.LBB34_79:
	s_andn2_saveexec_b64 s[0:1], s[0:1]
	s_cbranch_execz .LBB34_81
; %bb.80:
	v_mov_b32_e32 v85, 3
	s_waitcnt vmcnt(13)
	ds_write2_b64 v84, v[44:45], v[46:47] offset0:8 offset1:9
	s_waitcnt vmcnt(12)
	ds_write2_b64 v84, v[32:33], v[34:35] offset0:10 offset1:11
	;; [unrolled: 2-line block ×14, first 2 shown]
.LBB34_81:
	s_or_b64 exec, exec, s[0:1]
	v_cmp_lt_i32_e32 vcc, 3, v85
	s_waitcnt lgkmcnt(0)
	s_barrier
	s_and_saveexec_b64 s[0:1], vcc
	s_cbranch_execz .LBB34_83
; %bb.82:
	ds_read2_b64 v[88:91], v84 offset0:8 offset1:9
	v_mul_f64 v[82:83], v[72:73], v[38:39]
	v_mul_f64 v[38:39], v[74:75], v[38:39]
	v_fmac_f64_e32 v[82:83], v[74:75], v[36:37]
	v_fma_f64 v[36:37], v[72:73], v[36:37], -v[38:39]
	ds_read2_b64 v[72:75], v84 offset0:10 offset1:11
	s_waitcnt lgkmcnt(1)
	v_mul_f64 v[38:39], v[90:91], v[82:83]
	v_fma_f64 v[38:39], v[88:89], v[36:37], -v[38:39]
	v_mul_f64 v[88:89], v[88:89], v[82:83]
	v_fmac_f64_e32 v[88:89], v[90:91], v[36:37]
	s_waitcnt vmcnt(13)
	v_add_f64 v[44:45], v[44:45], -v[38:39]
	s_waitcnt lgkmcnt(0)
	v_mul_f64 v[38:39], v[74:75], v[82:83]
	v_add_f64 v[46:47], v[46:47], -v[88:89]
	v_fma_f64 v[38:39], v[72:73], v[36:37], -v[38:39]
	v_mul_f64 v[72:73], v[72:73], v[82:83]
	ds_read2_b64 v[88:91], v84 offset0:12 offset1:13
	v_fmac_f64_e32 v[72:73], v[74:75], v[36:37]
	s_waitcnt vmcnt(12)
	v_add_f64 v[34:35], v[34:35], -v[72:73]
	ds_read2_b64 v[72:75], v84 offset0:14 offset1:15
	v_add_f64 v[32:33], v[32:33], -v[38:39]
	s_waitcnt lgkmcnt(1)
	v_mul_f64 v[38:39], v[90:91], v[82:83]
	v_fma_f64 v[38:39], v[88:89], v[36:37], -v[38:39]
	v_mul_f64 v[88:89], v[88:89], v[82:83]
	v_fmac_f64_e32 v[88:89], v[90:91], v[36:37]
	s_waitcnt vmcnt(11)
	v_add_f64 v[56:57], v[56:57], -v[38:39]
	s_waitcnt lgkmcnt(0)
	v_mul_f64 v[38:39], v[74:75], v[82:83]
	v_add_f64 v[58:59], v[58:59], -v[88:89]
	v_fma_f64 v[38:39], v[72:73], v[36:37], -v[38:39]
	v_mul_f64 v[72:73], v[72:73], v[82:83]
	ds_read2_b64 v[88:91], v84 offset0:16 offset1:17
	v_fmac_f64_e32 v[72:73], v[74:75], v[36:37]
	s_waitcnt vmcnt(10)
	v_add_f64 v[54:55], v[54:55], -v[72:73]
	ds_read2_b64 v[72:75], v84 offset0:18 offset1:19
	v_add_f64 v[52:53], v[52:53], -v[38:39]
	;; [unrolled: 18-line block ×6, first 2 shown]
	s_waitcnt lgkmcnt(1)
	v_mul_f64 v[38:39], v[90:91], v[82:83]
	v_fma_f64 v[38:39], v[88:89], v[36:37], -v[38:39]
	s_waitcnt vmcnt(1)
	v_add_f64 v[0:1], v[0:1], -v[38:39]
	s_waitcnt lgkmcnt(0)
	v_mul_f64 v[38:39], v[74:75], v[82:83]
	v_mul_f64 v[88:89], v[88:89], v[82:83]
	v_fma_f64 v[38:39], v[72:73], v[36:37], -v[38:39]
	v_mul_f64 v[72:73], v[72:73], v[82:83]
	v_fmac_f64_e32 v[88:89], v[90:91], v[36:37]
	v_fmac_f64_e32 v[72:73], v[74:75], v[36:37]
	v_add_f64 v[2:3], v[2:3], -v[88:89]
	s_waitcnt vmcnt(0)
	v_add_f64 v[68:69], v[68:69], -v[38:39]
	v_add_f64 v[70:71], v[70:71], -v[72:73]
	v_mov_b64_e32 v[38:39], v[82:83]
.LBB34_83:
	s_or_b64 exec, exec, s[0:1]
	v_lshl_add_u32 v72, v85, 4, v84
	s_barrier
	s_waitcnt vmcnt(13)
	ds_write2_b64 v72, v[44:45], v[46:47] offset1:1
	s_waitcnt lgkmcnt(0)
	s_barrier
	ds_read2_b64 v[72:75], v84 offset0:8 offset1:9
	s_cmp_lt_i32 s20, 6
	v_mov_b32_e32 v82, 4
	s_cbranch_scc1 .LBB34_86
; %bb.84:
	v_mov_b32_e32 v82, 4
	v_add_u32_e32 v83, 0x50, v84
	s_mov_b32 s16, 5
.LBB34_85:                              ; =>This Inner Loop Header: Depth=1
	ds_read2_b64 v[88:91], v83 offset1:1
	s_waitcnt lgkmcnt(1)
	v_xor_b32_e32 v93, 0x80000000, v73
	v_xor_b32_e32 v95, 0x80000000, v75
	v_cmp_gt_f64_e32 vcc, 0, v[74:75]
	v_cmp_gt_f64_e64 s[0:1], 0, v[72:73]
	v_mov_b32_e32 v92, v72
	v_mov_b32_e32 v94, v74
	v_cndmask_b32_e64 v93, v73, v93, s[0:1]
	v_cndmask_b32_e32 v95, v75, v95, vcc
	v_add_f64 v[92:93], v[92:93], v[94:95]
	s_waitcnt lgkmcnt(0)
	v_xor_b32_e32 v95, 0x80000000, v89
	v_xor_b32_e32 v97, 0x80000000, v91
	v_cmp_gt_f64_e32 vcc, 0, v[90:91]
	v_cmp_gt_f64_e64 s[0:1], 0, v[88:89]
	v_mov_b32_e32 v94, v88
	v_mov_b32_e32 v96, v90
	v_cndmask_b32_e64 v95, v89, v95, s[0:1]
	v_cndmask_b32_e32 v97, v91, v97, vcc
	v_add_f64 v[94:95], v[94:95], v[96:97]
	v_mov_b32_e32 v98, s16
	s_add_i32 s16, s16, 1
	v_cmp_lt_f64_e32 vcc, v[92:93], v[94:95]
	v_add_u32_e32 v83, 16, v83
	s_cmp_lg_u32 s20, s16
	v_cndmask_b32_e32 v73, v73, v89, vcc
	v_cndmask_b32_e32 v72, v72, v88, vcc
	;; [unrolled: 1-line block ×5, first 2 shown]
	s_cbranch_scc1 .LBB34_85
.LBB34_86:
	s_waitcnt lgkmcnt(0)
	v_cmp_eq_f64_e32 vcc, 0, v[72:73]
	v_cmp_eq_f64_e64 s[0:1], 0, v[74:75]
	s_and_b64 s[0:1], vcc, s[0:1]
	s_and_saveexec_b64 s[16:17], s[0:1]
	s_xor_b64 s[0:1], exec, s[16:17]
; %bb.87:
	v_cmp_ne_u32_e32 vcc, 0, v87
	s_nop 1
	v_cndmask_b32_e32 v87, 5, v87, vcc
; %bb.88:
	s_andn2_saveexec_b64 s[0:1], s[0:1]
	s_cbranch_execz .LBB34_94
; %bb.89:
	v_cmp_ngt_f64_e64 s[16:17], |v[72:73]|, |v[74:75]|
	s_and_saveexec_b64 s[18:19], s[16:17]
	s_xor_b64 s[16:17], exec, s[18:19]
	s_cbranch_execz .LBB34_91
; %bb.90:
	v_div_scale_f64 v[88:89], s[18:19], v[74:75], v[74:75], v[72:73]
	v_rcp_f64_e32 v[90:91], v[88:89]
	v_div_scale_f64 v[92:93], vcc, v[72:73], v[74:75], v[72:73]
	v_fma_f64 v[94:95], -v[88:89], v[90:91], 1.0
	v_fmac_f64_e32 v[90:91], v[90:91], v[94:95]
	v_fma_f64 v[94:95], -v[88:89], v[90:91], 1.0
	v_fmac_f64_e32 v[90:91], v[90:91], v[94:95]
	v_mul_f64 v[94:95], v[92:93], v[90:91]
	v_fma_f64 v[88:89], -v[88:89], v[94:95], v[92:93]
	v_div_fmas_f64 v[88:89], v[88:89], v[90:91], v[94:95]
	v_div_fixup_f64 v[88:89], v[88:89], v[74:75], v[72:73]
	v_fmac_f64_e32 v[74:75], v[72:73], v[88:89]
	v_div_scale_f64 v[72:73], s[18:19], v[74:75], v[74:75], 1.0
	v_rcp_f64_e32 v[90:91], v[72:73]
	s_nop 0
	v_fma_f64 v[92:93], -v[72:73], v[90:91], 1.0
	v_fmac_f64_e32 v[90:91], v[90:91], v[92:93]
	v_fma_f64 v[92:93], -v[72:73], v[90:91], 1.0
	v_fmac_f64_e32 v[90:91], v[90:91], v[92:93]
	v_div_scale_f64 v[92:93], vcc, 1.0, v[74:75], 1.0
	v_mul_f64 v[94:95], v[92:93], v[90:91]
	v_fma_f64 v[72:73], -v[72:73], v[94:95], v[92:93]
	s_nop 1
	v_div_fmas_f64 v[72:73], v[72:73], v[90:91], v[94:95]
	v_div_fixup_f64 v[74:75], v[72:73], v[74:75], 1.0
	v_mul_f64 v[72:73], v[88:89], v[74:75]
	v_xor_b32_e32 v75, 0x80000000, v75
.LBB34_91:
	s_andn2_saveexec_b64 s[16:17], s[16:17]
	s_cbranch_execz .LBB34_93
; %bb.92:
	v_div_scale_f64 v[88:89], s[18:19], v[72:73], v[72:73], v[74:75]
	v_rcp_f64_e32 v[90:91], v[88:89]
	v_div_scale_f64 v[92:93], vcc, v[74:75], v[72:73], v[74:75]
	v_fma_f64 v[94:95], -v[88:89], v[90:91], 1.0
	v_fmac_f64_e32 v[90:91], v[90:91], v[94:95]
	v_fma_f64 v[94:95], -v[88:89], v[90:91], 1.0
	v_fmac_f64_e32 v[90:91], v[90:91], v[94:95]
	v_mul_f64 v[94:95], v[92:93], v[90:91]
	v_fma_f64 v[88:89], -v[88:89], v[94:95], v[92:93]
	v_div_fmas_f64 v[88:89], v[88:89], v[90:91], v[94:95]
	v_div_fixup_f64 v[88:89], v[88:89], v[72:73], v[74:75]
	v_fmac_f64_e32 v[72:73], v[74:75], v[88:89]
	v_div_scale_f64 v[74:75], s[18:19], v[72:73], v[72:73], 1.0
	v_rcp_f64_e32 v[90:91], v[74:75]
	s_nop 0
	v_fma_f64 v[92:93], -v[74:75], v[90:91], 1.0
	v_fmac_f64_e32 v[90:91], v[90:91], v[92:93]
	v_fma_f64 v[92:93], -v[74:75], v[90:91], 1.0
	v_fmac_f64_e32 v[90:91], v[90:91], v[92:93]
	v_div_scale_f64 v[92:93], vcc, 1.0, v[72:73], 1.0
	v_mul_f64 v[94:95], v[92:93], v[90:91]
	v_fma_f64 v[74:75], -v[74:75], v[94:95], v[92:93]
	s_nop 1
	v_div_fmas_f64 v[74:75], v[74:75], v[90:91], v[94:95]
	v_div_fixup_f64 v[72:73], v[74:75], v[72:73], 1.0
	v_mul_f64 v[74:75], v[88:89], -v[72:73]
.LBB34_93:
	s_or_b64 exec, exec, s[16:17]
.LBB34_94:
	s_or_b64 exec, exec, s[0:1]
	v_cmp_ne_u32_e32 vcc, v85, v82
	s_and_saveexec_b64 s[0:1], vcc
	s_xor_b64 s[0:1], exec, s[0:1]
	s_cbranch_execz .LBB34_100
; %bb.95:
	v_cmp_eq_u32_e32 vcc, 4, v85
	s_and_saveexec_b64 s[16:17], vcc
	s_cbranch_execz .LBB34_99
; %bb.96:
	v_cmp_ne_u32_e32 vcc, 4, v82
	s_xor_b64 s[18:19], s[14:15], -1
	s_and_b64 s[22:23], s[18:19], vcc
	s_and_saveexec_b64 s[18:19], s[22:23]
	s_cbranch_execz .LBB34_98
; %bb.97:
	v_ashrrev_i32_e32 v83, 31, v82
	v_lshl_add_u64 v[88:89], v[82:83], 2, v[80:81]
	global_load_dword v83, v[88:89], off
	global_load_dword v85, v[80:81], off offset:16
	s_waitcnt vmcnt(1)
	global_store_dword v[80:81], v83, off offset:16
	s_waitcnt vmcnt(1)
	global_store_dword v[88:89], v85, off
.LBB34_98:
	s_or_b64 exec, exec, s[18:19]
	v_mov_b32_e32 v85, v82
	v_mov_b32_e32 v86, v82
.LBB34_99:
	s_or_b64 exec, exec, s[16:17]
.LBB34_100:
	s_andn2_saveexec_b64 s[0:1], s[0:1]
	s_cbranch_execz .LBB34_102
; %bb.101:
	v_mov_b32_e32 v85, 4
	s_waitcnt vmcnt(12)
	ds_write2_b64 v84, v[32:33], v[34:35] offset0:10 offset1:11
	s_waitcnt vmcnt(11)
	ds_write2_b64 v84, v[56:57], v[58:59] offset0:12 offset1:13
	;; [unrolled: 2-line block ×13, first 2 shown]
.LBB34_102:
	s_or_b64 exec, exec, s[0:1]
	v_cmp_lt_i32_e32 vcc, 4, v85
	s_waitcnt lgkmcnt(0)
	s_barrier
	s_and_saveexec_b64 s[0:1], vcc
	s_cbranch_execz .LBB34_104
; %bb.103:
	ds_read2_b64 v[88:91], v84 offset0:10 offset1:11
	v_mul_f64 v[82:83], v[72:73], v[46:47]
	v_fmac_f64_e32 v[82:83], v[74:75], v[44:45]
	v_mul_f64 v[46:47], v[74:75], v[46:47]
	v_fma_f64 v[44:45], v[72:73], v[44:45], -v[46:47]
	ds_read2_b64 v[72:75], v84 offset0:12 offset1:13
	s_waitcnt lgkmcnt(1)
	v_mul_f64 v[46:47], v[90:91], v[82:83]
	v_fma_f64 v[46:47], v[88:89], v[44:45], -v[46:47]
	v_mul_f64 v[88:89], v[88:89], v[82:83]
	v_fmac_f64_e32 v[88:89], v[90:91], v[44:45]
	s_waitcnt vmcnt(12)
	v_add_f64 v[34:35], v[34:35], -v[88:89]
	ds_read2_b64 v[88:91], v84 offset0:14 offset1:15
	v_add_f64 v[32:33], v[32:33], -v[46:47]
	s_waitcnt lgkmcnt(1)
	v_mul_f64 v[46:47], v[74:75], v[82:83]
	v_fma_f64 v[46:47], v[72:73], v[44:45], -v[46:47]
	v_mul_f64 v[72:73], v[72:73], v[82:83]
	v_fmac_f64_e32 v[72:73], v[74:75], v[44:45]
	s_waitcnt vmcnt(11)
	v_add_f64 v[56:57], v[56:57], -v[46:47]
	v_add_f64 v[58:59], v[58:59], -v[72:73]
	ds_read2_b64 v[72:75], v84 offset0:16 offset1:17
	s_waitcnt lgkmcnt(1)
	v_mul_f64 v[46:47], v[90:91], v[82:83]
	v_fma_f64 v[46:47], v[88:89], v[44:45], -v[46:47]
	v_mul_f64 v[88:89], v[88:89], v[82:83]
	v_fmac_f64_e32 v[88:89], v[90:91], v[44:45]
	s_waitcnt vmcnt(10)
	v_add_f64 v[54:55], v[54:55], -v[88:89]
	ds_read2_b64 v[88:91], v84 offset0:18 offset1:19
	v_add_f64 v[52:53], v[52:53], -v[46:47]
	s_waitcnt lgkmcnt(1)
	v_mul_f64 v[46:47], v[74:75], v[82:83]
	v_fma_f64 v[46:47], v[72:73], v[44:45], -v[46:47]
	v_mul_f64 v[72:73], v[72:73], v[82:83]
	v_fmac_f64_e32 v[72:73], v[74:75], v[44:45]
	s_waitcnt vmcnt(9)
	v_add_f64 v[40:41], v[40:41], -v[46:47]
	v_add_f64 v[42:43], v[42:43], -v[72:73]
	ds_read2_b64 v[72:75], v84 offset0:20 offset1:21
	s_waitcnt lgkmcnt(1)
	v_mul_f64 v[46:47], v[90:91], v[82:83]
	v_fma_f64 v[46:47], v[88:89], v[44:45], -v[46:47]
	v_mul_f64 v[88:89], v[88:89], v[82:83]
	v_fmac_f64_e32 v[88:89], v[90:91], v[44:45]
	s_waitcnt vmcnt(8)
	v_add_f64 v[30:31], v[30:31], -v[88:89]
	ds_read2_b64 v[88:91], v84 offset0:22 offset1:23
	v_add_f64 v[28:29], v[28:29], -v[46:47]
	s_waitcnt lgkmcnt(1)
	v_mul_f64 v[46:47], v[74:75], v[82:83]
	v_fma_f64 v[46:47], v[72:73], v[44:45], -v[46:47]
	v_mul_f64 v[72:73], v[72:73], v[82:83]
	v_fmac_f64_e32 v[72:73], v[74:75], v[44:45]
	s_waitcnt vmcnt(7)
	v_add_f64 v[24:25], v[24:25], -v[46:47]
	v_add_f64 v[26:27], v[26:27], -v[72:73]
	ds_read2_b64 v[72:75], v84 offset0:24 offset1:25
	s_waitcnt lgkmcnt(1)
	v_mul_f64 v[46:47], v[90:91], v[82:83]
	v_fma_f64 v[46:47], v[88:89], v[44:45], -v[46:47]
	v_mul_f64 v[88:89], v[88:89], v[82:83]
	v_fmac_f64_e32 v[88:89], v[90:91], v[44:45]
	s_waitcnt vmcnt(6)
	v_add_f64 v[22:23], v[22:23], -v[88:89]
	ds_read2_b64 v[88:91], v84 offset0:26 offset1:27
	v_add_f64 v[20:21], v[20:21], -v[46:47]
	s_waitcnt lgkmcnt(1)
	v_mul_f64 v[46:47], v[74:75], v[82:83]
	v_fma_f64 v[46:47], v[72:73], v[44:45], -v[46:47]
	v_mul_f64 v[72:73], v[72:73], v[82:83]
	v_fmac_f64_e32 v[72:73], v[74:75], v[44:45]
	s_waitcnt vmcnt(5)
	v_add_f64 v[16:17], v[16:17], -v[46:47]
	v_add_f64 v[18:19], v[18:19], -v[72:73]
	ds_read2_b64 v[72:75], v84 offset0:28 offset1:29
	s_waitcnt lgkmcnt(1)
	v_mul_f64 v[46:47], v[90:91], v[82:83]
	v_fma_f64 v[46:47], v[88:89], v[44:45], -v[46:47]
	v_mul_f64 v[88:89], v[88:89], v[82:83]
	v_fmac_f64_e32 v[88:89], v[90:91], v[44:45]
	s_waitcnt vmcnt(4)
	v_add_f64 v[14:15], v[14:15], -v[88:89]
	ds_read2_b64 v[88:91], v84 offset0:30 offset1:31
	v_add_f64 v[12:13], v[12:13], -v[46:47]
	s_waitcnt lgkmcnt(1)
	v_mul_f64 v[46:47], v[74:75], v[82:83]
	v_fma_f64 v[46:47], v[72:73], v[44:45], -v[46:47]
	v_mul_f64 v[72:73], v[72:73], v[82:83]
	v_fmac_f64_e32 v[72:73], v[74:75], v[44:45]
	s_waitcnt vmcnt(3)
	v_add_f64 v[8:9], v[8:9], -v[46:47]
	v_add_f64 v[10:11], v[10:11], -v[72:73]
	ds_read2_b64 v[72:75], v84 offset0:32 offset1:33
	s_waitcnt lgkmcnt(1)
	v_mul_f64 v[46:47], v[90:91], v[82:83]
	v_fma_f64 v[46:47], v[88:89], v[44:45], -v[46:47]
	v_mul_f64 v[88:89], v[88:89], v[82:83]
	v_fmac_f64_e32 v[88:89], v[90:91], v[44:45]
	s_waitcnt vmcnt(2)
	v_add_f64 v[6:7], v[6:7], -v[88:89]
	ds_read2_b64 v[88:91], v84 offset0:34 offset1:35
	v_add_f64 v[4:5], v[4:5], -v[46:47]
	s_waitcnt lgkmcnt(1)
	v_mul_f64 v[46:47], v[74:75], v[82:83]
	v_fma_f64 v[46:47], v[72:73], v[44:45], -v[46:47]
	v_mul_f64 v[72:73], v[72:73], v[82:83]
	v_fmac_f64_e32 v[72:73], v[74:75], v[44:45]
	s_waitcnt vmcnt(1)
	v_add_f64 v[0:1], v[0:1], -v[46:47]
	v_add_f64 v[2:3], v[2:3], -v[72:73]
	s_waitcnt lgkmcnt(0)
	v_mul_f64 v[46:47], v[90:91], v[82:83]
	v_mul_f64 v[72:73], v[88:89], v[82:83]
	v_fma_f64 v[46:47], v[88:89], v[44:45], -v[46:47]
	v_fmac_f64_e32 v[72:73], v[90:91], v[44:45]
	s_waitcnt vmcnt(0)
	v_add_f64 v[68:69], v[68:69], -v[46:47]
	v_add_f64 v[70:71], v[70:71], -v[72:73]
	v_mov_b64_e32 v[46:47], v[82:83]
.LBB34_104:
	s_or_b64 exec, exec, s[0:1]
	v_lshl_add_u32 v72, v85, 4, v84
	s_barrier
	s_waitcnt vmcnt(12)
	ds_write2_b64 v72, v[32:33], v[34:35] offset1:1
	s_waitcnt lgkmcnt(0)
	s_barrier
	ds_read2_b64 v[72:75], v84 offset0:10 offset1:11
	s_cmp_lt_i32 s20, 7
	v_mov_b32_e32 v82, 5
	s_cbranch_scc1 .LBB34_107
; %bb.105:
	v_add_u32_e32 v83, 0x60, v84
	s_mov_b32 s16, 6
	v_mov_b32_e32 v82, 5
.LBB34_106:                             ; =>This Inner Loop Header: Depth=1
	ds_read2_b64 v[88:91], v83 offset1:1
	s_waitcnt lgkmcnt(1)
	v_xor_b32_e32 v93, 0x80000000, v73
	v_xor_b32_e32 v95, 0x80000000, v75
	v_cmp_gt_f64_e32 vcc, 0, v[74:75]
	v_cmp_gt_f64_e64 s[0:1], 0, v[72:73]
	v_mov_b32_e32 v92, v72
	v_mov_b32_e32 v94, v74
	v_cndmask_b32_e64 v93, v73, v93, s[0:1]
	v_cndmask_b32_e32 v95, v75, v95, vcc
	v_add_f64 v[92:93], v[92:93], v[94:95]
	s_waitcnt lgkmcnt(0)
	v_xor_b32_e32 v95, 0x80000000, v89
	v_xor_b32_e32 v97, 0x80000000, v91
	v_cmp_gt_f64_e32 vcc, 0, v[90:91]
	v_cmp_gt_f64_e64 s[0:1], 0, v[88:89]
	v_mov_b32_e32 v94, v88
	v_mov_b32_e32 v96, v90
	v_cndmask_b32_e64 v95, v89, v95, s[0:1]
	v_cndmask_b32_e32 v97, v91, v97, vcc
	v_add_f64 v[94:95], v[94:95], v[96:97]
	v_mov_b32_e32 v98, s16
	s_add_i32 s16, s16, 1
	v_cmp_lt_f64_e32 vcc, v[92:93], v[94:95]
	v_add_u32_e32 v83, 16, v83
	s_cmp_lg_u32 s20, s16
	v_cndmask_b32_e32 v73, v73, v89, vcc
	v_cndmask_b32_e32 v72, v72, v88, vcc
	v_cndmask_b32_e32 v75, v75, v91, vcc
	v_cndmask_b32_e32 v74, v74, v90, vcc
	v_cndmask_b32_e32 v82, v82, v98, vcc
	s_cbranch_scc1 .LBB34_106
.LBB34_107:
	s_waitcnt lgkmcnt(0)
	v_cmp_eq_f64_e32 vcc, 0, v[72:73]
	v_cmp_eq_f64_e64 s[0:1], 0, v[74:75]
	s_and_b64 s[0:1], vcc, s[0:1]
	s_and_saveexec_b64 s[16:17], s[0:1]
	s_xor_b64 s[0:1], exec, s[16:17]
; %bb.108:
	v_cmp_ne_u32_e32 vcc, 0, v87
	s_nop 1
	v_cndmask_b32_e32 v87, 6, v87, vcc
; %bb.109:
	s_andn2_saveexec_b64 s[0:1], s[0:1]
	s_cbranch_execz .LBB34_115
; %bb.110:
	v_cmp_ngt_f64_e64 s[16:17], |v[72:73]|, |v[74:75]|
	s_and_saveexec_b64 s[18:19], s[16:17]
	s_xor_b64 s[16:17], exec, s[18:19]
	s_cbranch_execz .LBB34_112
; %bb.111:
	v_div_scale_f64 v[88:89], s[18:19], v[74:75], v[74:75], v[72:73]
	v_rcp_f64_e32 v[90:91], v[88:89]
	v_div_scale_f64 v[92:93], vcc, v[72:73], v[74:75], v[72:73]
	v_fma_f64 v[94:95], -v[88:89], v[90:91], 1.0
	v_fmac_f64_e32 v[90:91], v[90:91], v[94:95]
	v_fma_f64 v[94:95], -v[88:89], v[90:91], 1.0
	v_fmac_f64_e32 v[90:91], v[90:91], v[94:95]
	v_mul_f64 v[94:95], v[92:93], v[90:91]
	v_fma_f64 v[88:89], -v[88:89], v[94:95], v[92:93]
	v_div_fmas_f64 v[88:89], v[88:89], v[90:91], v[94:95]
	v_div_fixup_f64 v[88:89], v[88:89], v[74:75], v[72:73]
	v_fmac_f64_e32 v[74:75], v[72:73], v[88:89]
	v_div_scale_f64 v[72:73], s[18:19], v[74:75], v[74:75], 1.0
	v_rcp_f64_e32 v[90:91], v[72:73]
	s_nop 0
	v_fma_f64 v[92:93], -v[72:73], v[90:91], 1.0
	v_fmac_f64_e32 v[90:91], v[90:91], v[92:93]
	v_fma_f64 v[92:93], -v[72:73], v[90:91], 1.0
	v_fmac_f64_e32 v[90:91], v[90:91], v[92:93]
	v_div_scale_f64 v[92:93], vcc, 1.0, v[74:75], 1.0
	v_mul_f64 v[94:95], v[92:93], v[90:91]
	v_fma_f64 v[72:73], -v[72:73], v[94:95], v[92:93]
	s_nop 1
	v_div_fmas_f64 v[72:73], v[72:73], v[90:91], v[94:95]
	v_div_fixup_f64 v[74:75], v[72:73], v[74:75], 1.0
	v_mul_f64 v[72:73], v[88:89], v[74:75]
	v_xor_b32_e32 v75, 0x80000000, v75
.LBB34_112:
	s_andn2_saveexec_b64 s[16:17], s[16:17]
	s_cbranch_execz .LBB34_114
; %bb.113:
	v_div_scale_f64 v[88:89], s[18:19], v[72:73], v[72:73], v[74:75]
	v_rcp_f64_e32 v[90:91], v[88:89]
	v_div_scale_f64 v[92:93], vcc, v[74:75], v[72:73], v[74:75]
	v_fma_f64 v[94:95], -v[88:89], v[90:91], 1.0
	v_fmac_f64_e32 v[90:91], v[90:91], v[94:95]
	v_fma_f64 v[94:95], -v[88:89], v[90:91], 1.0
	v_fmac_f64_e32 v[90:91], v[90:91], v[94:95]
	v_mul_f64 v[94:95], v[92:93], v[90:91]
	v_fma_f64 v[88:89], -v[88:89], v[94:95], v[92:93]
	v_div_fmas_f64 v[88:89], v[88:89], v[90:91], v[94:95]
	v_div_fixup_f64 v[88:89], v[88:89], v[72:73], v[74:75]
	v_fmac_f64_e32 v[72:73], v[74:75], v[88:89]
	v_div_scale_f64 v[74:75], s[18:19], v[72:73], v[72:73], 1.0
	v_rcp_f64_e32 v[90:91], v[74:75]
	s_nop 0
	v_fma_f64 v[92:93], -v[74:75], v[90:91], 1.0
	v_fmac_f64_e32 v[90:91], v[90:91], v[92:93]
	v_fma_f64 v[92:93], -v[74:75], v[90:91], 1.0
	v_fmac_f64_e32 v[90:91], v[90:91], v[92:93]
	v_div_scale_f64 v[92:93], vcc, 1.0, v[72:73], 1.0
	v_mul_f64 v[94:95], v[92:93], v[90:91]
	v_fma_f64 v[74:75], -v[74:75], v[94:95], v[92:93]
	s_nop 1
	v_div_fmas_f64 v[74:75], v[74:75], v[90:91], v[94:95]
	v_div_fixup_f64 v[72:73], v[74:75], v[72:73], 1.0
	v_mul_f64 v[74:75], v[88:89], -v[72:73]
.LBB34_114:
	s_or_b64 exec, exec, s[16:17]
.LBB34_115:
	s_or_b64 exec, exec, s[0:1]
	v_cmp_ne_u32_e32 vcc, v85, v82
	s_and_saveexec_b64 s[0:1], vcc
	s_xor_b64 s[0:1], exec, s[0:1]
	s_cbranch_execz .LBB34_121
; %bb.116:
	v_cmp_eq_u32_e32 vcc, 5, v85
	s_and_saveexec_b64 s[16:17], vcc
	s_cbranch_execz .LBB34_120
; %bb.117:
	v_cmp_ne_u32_e32 vcc, 5, v82
	s_xor_b64 s[18:19], s[14:15], -1
	s_and_b64 s[22:23], s[18:19], vcc
	s_and_saveexec_b64 s[18:19], s[22:23]
	s_cbranch_execz .LBB34_119
; %bb.118:
	v_ashrrev_i32_e32 v83, 31, v82
	v_lshl_add_u64 v[88:89], v[82:83], 2, v[80:81]
	global_load_dword v83, v[88:89], off
	global_load_dword v85, v[80:81], off offset:20
	s_waitcnt vmcnt(1)
	global_store_dword v[80:81], v83, off offset:20
	s_waitcnt vmcnt(1)
	global_store_dword v[88:89], v85, off
.LBB34_119:
	s_or_b64 exec, exec, s[18:19]
	v_mov_b32_e32 v85, v82
	v_mov_b32_e32 v86, v82
.LBB34_120:
	s_or_b64 exec, exec, s[16:17]
.LBB34_121:
	s_andn2_saveexec_b64 s[0:1], s[0:1]
	s_cbranch_execz .LBB34_123
; %bb.122:
	v_mov_b32_e32 v85, 5
	s_waitcnt vmcnt(11)
	ds_write2_b64 v84, v[56:57], v[58:59] offset0:12 offset1:13
	s_waitcnt vmcnt(10)
	ds_write2_b64 v84, v[52:53], v[54:55] offset0:14 offset1:15
	;; [unrolled: 2-line block ×12, first 2 shown]
.LBB34_123:
	s_or_b64 exec, exec, s[0:1]
	v_cmp_lt_i32_e32 vcc, 5, v85
	s_waitcnt lgkmcnt(0)
	s_barrier
	s_and_saveexec_b64 s[0:1], vcc
	s_cbranch_execz .LBB34_125
; %bb.124:
	ds_read2_b64 v[88:91], v84 offset0:12 offset1:13
	v_mul_f64 v[82:83], v[72:73], v[34:35]
	v_mul_f64 v[34:35], v[74:75], v[34:35]
	v_fmac_f64_e32 v[82:83], v[74:75], v[32:33]
	v_fma_f64 v[32:33], v[72:73], v[32:33], -v[34:35]
	ds_read2_b64 v[72:75], v84 offset0:14 offset1:15
	s_waitcnt lgkmcnt(1)
	v_mul_f64 v[34:35], v[90:91], v[82:83]
	v_fma_f64 v[34:35], v[88:89], v[32:33], -v[34:35]
	v_mul_f64 v[88:89], v[88:89], v[82:83]
	v_fmac_f64_e32 v[88:89], v[90:91], v[32:33]
	s_waitcnt vmcnt(11)
	v_add_f64 v[56:57], v[56:57], -v[34:35]
	s_waitcnt lgkmcnt(0)
	v_mul_f64 v[34:35], v[74:75], v[82:83]
	v_add_f64 v[58:59], v[58:59], -v[88:89]
	v_fma_f64 v[34:35], v[72:73], v[32:33], -v[34:35]
	v_mul_f64 v[72:73], v[72:73], v[82:83]
	ds_read2_b64 v[88:91], v84 offset0:16 offset1:17
	v_fmac_f64_e32 v[72:73], v[74:75], v[32:33]
	s_waitcnt vmcnt(10)
	v_add_f64 v[54:55], v[54:55], -v[72:73]
	ds_read2_b64 v[72:75], v84 offset0:18 offset1:19
	v_add_f64 v[52:53], v[52:53], -v[34:35]
	s_waitcnt lgkmcnt(1)
	v_mul_f64 v[34:35], v[90:91], v[82:83]
	v_fma_f64 v[34:35], v[88:89], v[32:33], -v[34:35]
	v_mul_f64 v[88:89], v[88:89], v[82:83]
	v_fmac_f64_e32 v[88:89], v[90:91], v[32:33]
	s_waitcnt vmcnt(9)
	v_add_f64 v[40:41], v[40:41], -v[34:35]
	s_waitcnt lgkmcnt(0)
	v_mul_f64 v[34:35], v[74:75], v[82:83]
	v_add_f64 v[42:43], v[42:43], -v[88:89]
	v_fma_f64 v[34:35], v[72:73], v[32:33], -v[34:35]
	v_mul_f64 v[72:73], v[72:73], v[82:83]
	ds_read2_b64 v[88:91], v84 offset0:20 offset1:21
	v_fmac_f64_e32 v[72:73], v[74:75], v[32:33]
	s_waitcnt vmcnt(8)
	v_add_f64 v[30:31], v[30:31], -v[72:73]
	ds_read2_b64 v[72:75], v84 offset0:22 offset1:23
	v_add_f64 v[28:29], v[28:29], -v[34:35]
	;; [unrolled: 18-line block ×5, first 2 shown]
	s_waitcnt lgkmcnt(1)
	v_mul_f64 v[34:35], v[90:91], v[82:83]
	v_fma_f64 v[34:35], v[88:89], v[32:33], -v[34:35]
	s_waitcnt vmcnt(1)
	v_add_f64 v[0:1], v[0:1], -v[34:35]
	s_waitcnt lgkmcnt(0)
	v_mul_f64 v[34:35], v[74:75], v[82:83]
	v_mul_f64 v[88:89], v[88:89], v[82:83]
	v_fma_f64 v[34:35], v[72:73], v[32:33], -v[34:35]
	v_mul_f64 v[72:73], v[72:73], v[82:83]
	v_fmac_f64_e32 v[88:89], v[90:91], v[32:33]
	v_fmac_f64_e32 v[72:73], v[74:75], v[32:33]
	v_add_f64 v[2:3], v[2:3], -v[88:89]
	s_waitcnt vmcnt(0)
	v_add_f64 v[68:69], v[68:69], -v[34:35]
	v_add_f64 v[70:71], v[70:71], -v[72:73]
	v_mov_b64_e32 v[34:35], v[82:83]
.LBB34_125:
	s_or_b64 exec, exec, s[0:1]
	v_lshl_add_u32 v72, v85, 4, v84
	s_barrier
	s_waitcnt vmcnt(11)
	ds_write2_b64 v72, v[56:57], v[58:59] offset1:1
	s_waitcnt lgkmcnt(0)
	s_barrier
	ds_read2_b64 v[72:75], v84 offset0:12 offset1:13
	s_cmp_lt_i32 s20, 8
	v_mov_b32_e32 v82, 6
	s_cbranch_scc1 .LBB34_128
; %bb.126:
	v_add_u32_e32 v83, 0x70, v84
	s_mov_b32 s16, 7
	v_mov_b32_e32 v82, 6
.LBB34_127:                             ; =>This Inner Loop Header: Depth=1
	ds_read2_b64 v[88:91], v83 offset1:1
	s_waitcnt lgkmcnt(1)
	v_xor_b32_e32 v93, 0x80000000, v73
	v_xor_b32_e32 v95, 0x80000000, v75
	v_cmp_gt_f64_e32 vcc, 0, v[74:75]
	v_cmp_gt_f64_e64 s[0:1], 0, v[72:73]
	v_mov_b32_e32 v92, v72
	v_mov_b32_e32 v94, v74
	v_cndmask_b32_e64 v93, v73, v93, s[0:1]
	v_cndmask_b32_e32 v95, v75, v95, vcc
	v_add_f64 v[92:93], v[92:93], v[94:95]
	s_waitcnt lgkmcnt(0)
	v_xor_b32_e32 v95, 0x80000000, v89
	v_xor_b32_e32 v97, 0x80000000, v91
	v_cmp_gt_f64_e32 vcc, 0, v[90:91]
	v_cmp_gt_f64_e64 s[0:1], 0, v[88:89]
	v_mov_b32_e32 v94, v88
	v_mov_b32_e32 v96, v90
	v_cndmask_b32_e64 v95, v89, v95, s[0:1]
	v_cndmask_b32_e32 v97, v91, v97, vcc
	v_add_f64 v[94:95], v[94:95], v[96:97]
	v_mov_b32_e32 v98, s16
	s_add_i32 s16, s16, 1
	v_cmp_lt_f64_e32 vcc, v[92:93], v[94:95]
	v_add_u32_e32 v83, 16, v83
	s_cmp_lg_u32 s20, s16
	v_cndmask_b32_e32 v73, v73, v89, vcc
	v_cndmask_b32_e32 v72, v72, v88, vcc
	;; [unrolled: 1-line block ×5, first 2 shown]
	s_cbranch_scc1 .LBB34_127
.LBB34_128:
	s_waitcnt lgkmcnt(0)
	v_cmp_eq_f64_e32 vcc, 0, v[72:73]
	v_cmp_eq_f64_e64 s[0:1], 0, v[74:75]
	s_and_b64 s[0:1], vcc, s[0:1]
	s_and_saveexec_b64 s[16:17], s[0:1]
	s_xor_b64 s[0:1], exec, s[16:17]
; %bb.129:
	v_cmp_ne_u32_e32 vcc, 0, v87
	s_nop 1
	v_cndmask_b32_e32 v87, 7, v87, vcc
; %bb.130:
	s_andn2_saveexec_b64 s[0:1], s[0:1]
	s_cbranch_execz .LBB34_136
; %bb.131:
	v_cmp_ngt_f64_e64 s[16:17], |v[72:73]|, |v[74:75]|
	s_and_saveexec_b64 s[18:19], s[16:17]
	s_xor_b64 s[16:17], exec, s[18:19]
	s_cbranch_execz .LBB34_133
; %bb.132:
	v_div_scale_f64 v[88:89], s[18:19], v[74:75], v[74:75], v[72:73]
	v_rcp_f64_e32 v[90:91], v[88:89]
	v_div_scale_f64 v[92:93], vcc, v[72:73], v[74:75], v[72:73]
	v_fma_f64 v[94:95], -v[88:89], v[90:91], 1.0
	v_fmac_f64_e32 v[90:91], v[90:91], v[94:95]
	v_fma_f64 v[94:95], -v[88:89], v[90:91], 1.0
	v_fmac_f64_e32 v[90:91], v[90:91], v[94:95]
	v_mul_f64 v[94:95], v[92:93], v[90:91]
	v_fma_f64 v[88:89], -v[88:89], v[94:95], v[92:93]
	v_div_fmas_f64 v[88:89], v[88:89], v[90:91], v[94:95]
	v_div_fixup_f64 v[88:89], v[88:89], v[74:75], v[72:73]
	v_fmac_f64_e32 v[74:75], v[72:73], v[88:89]
	v_div_scale_f64 v[72:73], s[18:19], v[74:75], v[74:75], 1.0
	v_rcp_f64_e32 v[90:91], v[72:73]
	s_nop 0
	v_fma_f64 v[92:93], -v[72:73], v[90:91], 1.0
	v_fmac_f64_e32 v[90:91], v[90:91], v[92:93]
	v_fma_f64 v[92:93], -v[72:73], v[90:91], 1.0
	v_fmac_f64_e32 v[90:91], v[90:91], v[92:93]
	v_div_scale_f64 v[92:93], vcc, 1.0, v[74:75], 1.0
	v_mul_f64 v[94:95], v[92:93], v[90:91]
	v_fma_f64 v[72:73], -v[72:73], v[94:95], v[92:93]
	s_nop 1
	v_div_fmas_f64 v[72:73], v[72:73], v[90:91], v[94:95]
	v_div_fixup_f64 v[74:75], v[72:73], v[74:75], 1.0
	v_mul_f64 v[72:73], v[88:89], v[74:75]
	v_xor_b32_e32 v75, 0x80000000, v75
.LBB34_133:
	s_andn2_saveexec_b64 s[16:17], s[16:17]
	s_cbranch_execz .LBB34_135
; %bb.134:
	v_div_scale_f64 v[88:89], s[18:19], v[72:73], v[72:73], v[74:75]
	v_rcp_f64_e32 v[90:91], v[88:89]
	v_div_scale_f64 v[92:93], vcc, v[74:75], v[72:73], v[74:75]
	v_fma_f64 v[94:95], -v[88:89], v[90:91], 1.0
	v_fmac_f64_e32 v[90:91], v[90:91], v[94:95]
	v_fma_f64 v[94:95], -v[88:89], v[90:91], 1.0
	v_fmac_f64_e32 v[90:91], v[90:91], v[94:95]
	v_mul_f64 v[94:95], v[92:93], v[90:91]
	v_fma_f64 v[88:89], -v[88:89], v[94:95], v[92:93]
	v_div_fmas_f64 v[88:89], v[88:89], v[90:91], v[94:95]
	v_div_fixup_f64 v[88:89], v[88:89], v[72:73], v[74:75]
	v_fmac_f64_e32 v[72:73], v[74:75], v[88:89]
	v_div_scale_f64 v[74:75], s[18:19], v[72:73], v[72:73], 1.0
	v_rcp_f64_e32 v[90:91], v[74:75]
	s_nop 0
	v_fma_f64 v[92:93], -v[74:75], v[90:91], 1.0
	v_fmac_f64_e32 v[90:91], v[90:91], v[92:93]
	v_fma_f64 v[92:93], -v[74:75], v[90:91], 1.0
	v_fmac_f64_e32 v[90:91], v[90:91], v[92:93]
	v_div_scale_f64 v[92:93], vcc, 1.0, v[72:73], 1.0
	v_mul_f64 v[94:95], v[92:93], v[90:91]
	v_fma_f64 v[74:75], -v[74:75], v[94:95], v[92:93]
	s_nop 1
	v_div_fmas_f64 v[74:75], v[74:75], v[90:91], v[94:95]
	v_div_fixup_f64 v[72:73], v[74:75], v[72:73], 1.0
	v_mul_f64 v[74:75], v[88:89], -v[72:73]
.LBB34_135:
	s_or_b64 exec, exec, s[16:17]
.LBB34_136:
	s_or_b64 exec, exec, s[0:1]
	v_cmp_ne_u32_e32 vcc, v85, v82
	s_and_saveexec_b64 s[0:1], vcc
	s_xor_b64 s[0:1], exec, s[0:1]
	s_cbranch_execz .LBB34_142
; %bb.137:
	v_cmp_eq_u32_e32 vcc, 6, v85
	s_and_saveexec_b64 s[16:17], vcc
	s_cbranch_execz .LBB34_141
; %bb.138:
	v_cmp_ne_u32_e32 vcc, 6, v82
	s_xor_b64 s[18:19], s[14:15], -1
	s_and_b64 s[22:23], s[18:19], vcc
	s_and_saveexec_b64 s[18:19], s[22:23]
	s_cbranch_execz .LBB34_140
; %bb.139:
	v_ashrrev_i32_e32 v83, 31, v82
	v_lshl_add_u64 v[88:89], v[82:83], 2, v[80:81]
	global_load_dword v83, v[88:89], off
	global_load_dword v85, v[80:81], off offset:24
	s_waitcnt vmcnt(1)
	global_store_dword v[80:81], v83, off offset:24
	s_waitcnt vmcnt(1)
	global_store_dword v[88:89], v85, off
.LBB34_140:
	s_or_b64 exec, exec, s[18:19]
	v_mov_b32_e32 v85, v82
	v_mov_b32_e32 v86, v82
.LBB34_141:
	s_or_b64 exec, exec, s[16:17]
.LBB34_142:
	s_andn2_saveexec_b64 s[0:1], s[0:1]
	s_cbranch_execz .LBB34_144
; %bb.143:
	v_mov_b32_e32 v85, 6
	s_waitcnt vmcnt(10)
	ds_write2_b64 v84, v[52:53], v[54:55] offset0:14 offset1:15
	s_waitcnt vmcnt(9)
	ds_write2_b64 v84, v[40:41], v[42:43] offset0:16 offset1:17
	;; [unrolled: 2-line block ×11, first 2 shown]
.LBB34_144:
	s_or_b64 exec, exec, s[0:1]
	v_cmp_lt_i32_e32 vcc, 6, v85
	s_waitcnt lgkmcnt(0)
	s_barrier
	s_and_saveexec_b64 s[0:1], vcc
	s_cbranch_execz .LBB34_146
; %bb.145:
	ds_read2_b64 v[88:91], v84 offset0:14 offset1:15
	v_mul_f64 v[82:83], v[72:73], v[58:59]
	v_fmac_f64_e32 v[82:83], v[74:75], v[56:57]
	v_mul_f64 v[58:59], v[74:75], v[58:59]
	v_fma_f64 v[56:57], v[72:73], v[56:57], -v[58:59]
	ds_read2_b64 v[72:75], v84 offset0:16 offset1:17
	s_waitcnt lgkmcnt(1)
	v_mul_f64 v[58:59], v[90:91], v[82:83]
	v_fma_f64 v[58:59], v[88:89], v[56:57], -v[58:59]
	v_mul_f64 v[88:89], v[88:89], v[82:83]
	v_fmac_f64_e32 v[88:89], v[90:91], v[56:57]
	s_waitcnt vmcnt(10)
	v_add_f64 v[54:55], v[54:55], -v[88:89]
	ds_read2_b64 v[88:91], v84 offset0:18 offset1:19
	v_add_f64 v[52:53], v[52:53], -v[58:59]
	s_waitcnt lgkmcnt(1)
	v_mul_f64 v[58:59], v[74:75], v[82:83]
	v_fma_f64 v[58:59], v[72:73], v[56:57], -v[58:59]
	v_mul_f64 v[72:73], v[72:73], v[82:83]
	v_fmac_f64_e32 v[72:73], v[74:75], v[56:57]
	s_waitcnt vmcnt(9)
	v_add_f64 v[40:41], v[40:41], -v[58:59]
	v_add_f64 v[42:43], v[42:43], -v[72:73]
	ds_read2_b64 v[72:75], v84 offset0:20 offset1:21
	s_waitcnt lgkmcnt(1)
	v_mul_f64 v[58:59], v[90:91], v[82:83]
	v_fma_f64 v[58:59], v[88:89], v[56:57], -v[58:59]
	v_mul_f64 v[88:89], v[88:89], v[82:83]
	v_fmac_f64_e32 v[88:89], v[90:91], v[56:57]
	s_waitcnt vmcnt(8)
	v_add_f64 v[30:31], v[30:31], -v[88:89]
	ds_read2_b64 v[88:91], v84 offset0:22 offset1:23
	v_add_f64 v[28:29], v[28:29], -v[58:59]
	s_waitcnt lgkmcnt(1)
	v_mul_f64 v[58:59], v[74:75], v[82:83]
	v_fma_f64 v[58:59], v[72:73], v[56:57], -v[58:59]
	v_mul_f64 v[72:73], v[72:73], v[82:83]
	v_fmac_f64_e32 v[72:73], v[74:75], v[56:57]
	s_waitcnt vmcnt(7)
	v_add_f64 v[24:25], v[24:25], -v[58:59]
	v_add_f64 v[26:27], v[26:27], -v[72:73]
	ds_read2_b64 v[72:75], v84 offset0:24 offset1:25
	s_waitcnt lgkmcnt(1)
	v_mul_f64 v[58:59], v[90:91], v[82:83]
	v_fma_f64 v[58:59], v[88:89], v[56:57], -v[58:59]
	v_mul_f64 v[88:89], v[88:89], v[82:83]
	v_fmac_f64_e32 v[88:89], v[90:91], v[56:57]
	s_waitcnt vmcnt(6)
	v_add_f64 v[22:23], v[22:23], -v[88:89]
	ds_read2_b64 v[88:91], v84 offset0:26 offset1:27
	v_add_f64 v[20:21], v[20:21], -v[58:59]
	s_waitcnt lgkmcnt(1)
	v_mul_f64 v[58:59], v[74:75], v[82:83]
	v_fma_f64 v[58:59], v[72:73], v[56:57], -v[58:59]
	v_mul_f64 v[72:73], v[72:73], v[82:83]
	v_fmac_f64_e32 v[72:73], v[74:75], v[56:57]
	s_waitcnt vmcnt(5)
	v_add_f64 v[16:17], v[16:17], -v[58:59]
	v_add_f64 v[18:19], v[18:19], -v[72:73]
	ds_read2_b64 v[72:75], v84 offset0:28 offset1:29
	s_waitcnt lgkmcnt(1)
	v_mul_f64 v[58:59], v[90:91], v[82:83]
	v_fma_f64 v[58:59], v[88:89], v[56:57], -v[58:59]
	v_mul_f64 v[88:89], v[88:89], v[82:83]
	v_fmac_f64_e32 v[88:89], v[90:91], v[56:57]
	s_waitcnt vmcnt(4)
	v_add_f64 v[14:15], v[14:15], -v[88:89]
	ds_read2_b64 v[88:91], v84 offset0:30 offset1:31
	v_add_f64 v[12:13], v[12:13], -v[58:59]
	s_waitcnt lgkmcnt(1)
	v_mul_f64 v[58:59], v[74:75], v[82:83]
	v_fma_f64 v[58:59], v[72:73], v[56:57], -v[58:59]
	v_mul_f64 v[72:73], v[72:73], v[82:83]
	v_fmac_f64_e32 v[72:73], v[74:75], v[56:57]
	s_waitcnt vmcnt(3)
	v_add_f64 v[8:9], v[8:9], -v[58:59]
	v_add_f64 v[10:11], v[10:11], -v[72:73]
	ds_read2_b64 v[72:75], v84 offset0:32 offset1:33
	s_waitcnt lgkmcnt(1)
	v_mul_f64 v[58:59], v[90:91], v[82:83]
	v_fma_f64 v[58:59], v[88:89], v[56:57], -v[58:59]
	v_mul_f64 v[88:89], v[88:89], v[82:83]
	v_fmac_f64_e32 v[88:89], v[90:91], v[56:57]
	s_waitcnt vmcnt(2)
	v_add_f64 v[6:7], v[6:7], -v[88:89]
	ds_read2_b64 v[88:91], v84 offset0:34 offset1:35
	v_add_f64 v[4:5], v[4:5], -v[58:59]
	s_waitcnt lgkmcnt(1)
	v_mul_f64 v[58:59], v[74:75], v[82:83]
	v_fma_f64 v[58:59], v[72:73], v[56:57], -v[58:59]
	v_mul_f64 v[72:73], v[72:73], v[82:83]
	v_fmac_f64_e32 v[72:73], v[74:75], v[56:57]
	s_waitcnt vmcnt(1)
	v_add_f64 v[0:1], v[0:1], -v[58:59]
	v_add_f64 v[2:3], v[2:3], -v[72:73]
	s_waitcnt lgkmcnt(0)
	v_mul_f64 v[58:59], v[90:91], v[82:83]
	v_mul_f64 v[72:73], v[88:89], v[82:83]
	v_fma_f64 v[58:59], v[88:89], v[56:57], -v[58:59]
	v_fmac_f64_e32 v[72:73], v[90:91], v[56:57]
	s_waitcnt vmcnt(0)
	v_add_f64 v[68:69], v[68:69], -v[58:59]
	v_add_f64 v[70:71], v[70:71], -v[72:73]
	v_mov_b64_e32 v[58:59], v[82:83]
.LBB34_146:
	s_or_b64 exec, exec, s[0:1]
	v_lshl_add_u32 v72, v85, 4, v84
	s_barrier
	s_waitcnt vmcnt(10)
	ds_write2_b64 v72, v[52:53], v[54:55] offset1:1
	s_waitcnt lgkmcnt(0)
	s_barrier
	ds_read2_b64 v[72:75], v84 offset0:14 offset1:15
	s_cmp_lt_i32 s20, 9
	v_mov_b32_e32 v82, 7
	s_cbranch_scc1 .LBB34_149
; %bb.147:
	v_add_u32_e32 v83, 0x80, v84
	s_mov_b32 s16, 8
	v_mov_b32_e32 v82, 7
.LBB34_148:                             ; =>This Inner Loop Header: Depth=1
	ds_read2_b64 v[88:91], v83 offset1:1
	s_waitcnt lgkmcnt(1)
	v_xor_b32_e32 v93, 0x80000000, v73
	v_xor_b32_e32 v95, 0x80000000, v75
	v_cmp_gt_f64_e32 vcc, 0, v[74:75]
	v_cmp_gt_f64_e64 s[0:1], 0, v[72:73]
	v_mov_b32_e32 v92, v72
	v_mov_b32_e32 v94, v74
	v_cndmask_b32_e64 v93, v73, v93, s[0:1]
	v_cndmask_b32_e32 v95, v75, v95, vcc
	v_add_f64 v[92:93], v[92:93], v[94:95]
	s_waitcnt lgkmcnt(0)
	v_xor_b32_e32 v95, 0x80000000, v89
	v_xor_b32_e32 v97, 0x80000000, v91
	v_cmp_gt_f64_e32 vcc, 0, v[90:91]
	v_cmp_gt_f64_e64 s[0:1], 0, v[88:89]
	v_mov_b32_e32 v94, v88
	v_mov_b32_e32 v96, v90
	v_cndmask_b32_e64 v95, v89, v95, s[0:1]
	v_cndmask_b32_e32 v97, v91, v97, vcc
	v_add_f64 v[94:95], v[94:95], v[96:97]
	v_mov_b32_e32 v98, s16
	s_add_i32 s16, s16, 1
	v_cmp_lt_f64_e32 vcc, v[92:93], v[94:95]
	v_add_u32_e32 v83, 16, v83
	s_cmp_lg_u32 s20, s16
	v_cndmask_b32_e32 v73, v73, v89, vcc
	v_cndmask_b32_e32 v72, v72, v88, vcc
	v_cndmask_b32_e32 v75, v75, v91, vcc
	v_cndmask_b32_e32 v74, v74, v90, vcc
	v_cndmask_b32_e32 v82, v82, v98, vcc
	s_cbranch_scc1 .LBB34_148
.LBB34_149:
	s_waitcnt lgkmcnt(0)
	v_cmp_eq_f64_e32 vcc, 0, v[72:73]
	v_cmp_eq_f64_e64 s[0:1], 0, v[74:75]
	s_and_b64 s[0:1], vcc, s[0:1]
	s_and_saveexec_b64 s[16:17], s[0:1]
	s_xor_b64 s[0:1], exec, s[16:17]
; %bb.150:
	v_cmp_ne_u32_e32 vcc, 0, v87
	s_nop 1
	v_cndmask_b32_e32 v87, 8, v87, vcc
; %bb.151:
	s_andn2_saveexec_b64 s[0:1], s[0:1]
	s_cbranch_execz .LBB34_157
; %bb.152:
	v_cmp_ngt_f64_e64 s[16:17], |v[72:73]|, |v[74:75]|
	s_and_saveexec_b64 s[18:19], s[16:17]
	s_xor_b64 s[16:17], exec, s[18:19]
	s_cbranch_execz .LBB34_154
; %bb.153:
	v_div_scale_f64 v[88:89], s[18:19], v[74:75], v[74:75], v[72:73]
	v_rcp_f64_e32 v[90:91], v[88:89]
	v_div_scale_f64 v[92:93], vcc, v[72:73], v[74:75], v[72:73]
	v_fma_f64 v[94:95], -v[88:89], v[90:91], 1.0
	v_fmac_f64_e32 v[90:91], v[90:91], v[94:95]
	v_fma_f64 v[94:95], -v[88:89], v[90:91], 1.0
	v_fmac_f64_e32 v[90:91], v[90:91], v[94:95]
	v_mul_f64 v[94:95], v[92:93], v[90:91]
	v_fma_f64 v[88:89], -v[88:89], v[94:95], v[92:93]
	v_div_fmas_f64 v[88:89], v[88:89], v[90:91], v[94:95]
	v_div_fixup_f64 v[88:89], v[88:89], v[74:75], v[72:73]
	v_fmac_f64_e32 v[74:75], v[72:73], v[88:89]
	v_div_scale_f64 v[72:73], s[18:19], v[74:75], v[74:75], 1.0
	v_rcp_f64_e32 v[90:91], v[72:73]
	s_nop 0
	v_fma_f64 v[92:93], -v[72:73], v[90:91], 1.0
	v_fmac_f64_e32 v[90:91], v[90:91], v[92:93]
	v_fma_f64 v[92:93], -v[72:73], v[90:91], 1.0
	v_fmac_f64_e32 v[90:91], v[90:91], v[92:93]
	v_div_scale_f64 v[92:93], vcc, 1.0, v[74:75], 1.0
	v_mul_f64 v[94:95], v[92:93], v[90:91]
	v_fma_f64 v[72:73], -v[72:73], v[94:95], v[92:93]
	s_nop 1
	v_div_fmas_f64 v[72:73], v[72:73], v[90:91], v[94:95]
	v_div_fixup_f64 v[74:75], v[72:73], v[74:75], 1.0
	v_mul_f64 v[72:73], v[88:89], v[74:75]
	v_xor_b32_e32 v75, 0x80000000, v75
.LBB34_154:
	s_andn2_saveexec_b64 s[16:17], s[16:17]
	s_cbranch_execz .LBB34_156
; %bb.155:
	v_div_scale_f64 v[88:89], s[18:19], v[72:73], v[72:73], v[74:75]
	v_rcp_f64_e32 v[90:91], v[88:89]
	v_div_scale_f64 v[92:93], vcc, v[74:75], v[72:73], v[74:75]
	v_fma_f64 v[94:95], -v[88:89], v[90:91], 1.0
	v_fmac_f64_e32 v[90:91], v[90:91], v[94:95]
	v_fma_f64 v[94:95], -v[88:89], v[90:91], 1.0
	v_fmac_f64_e32 v[90:91], v[90:91], v[94:95]
	v_mul_f64 v[94:95], v[92:93], v[90:91]
	v_fma_f64 v[88:89], -v[88:89], v[94:95], v[92:93]
	v_div_fmas_f64 v[88:89], v[88:89], v[90:91], v[94:95]
	v_div_fixup_f64 v[88:89], v[88:89], v[72:73], v[74:75]
	v_fmac_f64_e32 v[72:73], v[74:75], v[88:89]
	v_div_scale_f64 v[74:75], s[18:19], v[72:73], v[72:73], 1.0
	v_rcp_f64_e32 v[90:91], v[74:75]
	s_nop 0
	v_fma_f64 v[92:93], -v[74:75], v[90:91], 1.0
	v_fmac_f64_e32 v[90:91], v[90:91], v[92:93]
	v_fma_f64 v[92:93], -v[74:75], v[90:91], 1.0
	v_fmac_f64_e32 v[90:91], v[90:91], v[92:93]
	v_div_scale_f64 v[92:93], vcc, 1.0, v[72:73], 1.0
	v_mul_f64 v[94:95], v[92:93], v[90:91]
	v_fma_f64 v[74:75], -v[74:75], v[94:95], v[92:93]
	s_nop 1
	v_div_fmas_f64 v[74:75], v[74:75], v[90:91], v[94:95]
	v_div_fixup_f64 v[72:73], v[74:75], v[72:73], 1.0
	v_mul_f64 v[74:75], v[88:89], -v[72:73]
.LBB34_156:
	s_or_b64 exec, exec, s[16:17]
.LBB34_157:
	s_or_b64 exec, exec, s[0:1]
	v_cmp_ne_u32_e32 vcc, v85, v82
	s_and_saveexec_b64 s[0:1], vcc
	s_xor_b64 s[0:1], exec, s[0:1]
	s_cbranch_execz .LBB34_163
; %bb.158:
	v_cmp_eq_u32_e32 vcc, 7, v85
	s_and_saveexec_b64 s[16:17], vcc
	s_cbranch_execz .LBB34_162
; %bb.159:
	v_cmp_ne_u32_e32 vcc, 7, v82
	s_xor_b64 s[18:19], s[14:15], -1
	s_and_b64 s[22:23], s[18:19], vcc
	s_and_saveexec_b64 s[18:19], s[22:23]
	s_cbranch_execz .LBB34_161
; %bb.160:
	v_ashrrev_i32_e32 v83, 31, v82
	v_lshl_add_u64 v[88:89], v[82:83], 2, v[80:81]
	global_load_dword v83, v[88:89], off
	global_load_dword v85, v[80:81], off offset:28
	s_waitcnt vmcnt(1)
	global_store_dword v[80:81], v83, off offset:28
	s_waitcnt vmcnt(1)
	global_store_dword v[88:89], v85, off
.LBB34_161:
	s_or_b64 exec, exec, s[18:19]
	v_mov_b32_e32 v85, v82
	v_mov_b32_e32 v86, v82
.LBB34_162:
	s_or_b64 exec, exec, s[16:17]
.LBB34_163:
	s_andn2_saveexec_b64 s[0:1], s[0:1]
	s_cbranch_execz .LBB34_165
; %bb.164:
	v_mov_b32_e32 v85, 7
	s_waitcnt vmcnt(9)
	ds_write2_b64 v84, v[40:41], v[42:43] offset0:16 offset1:17
	s_waitcnt vmcnt(8)
	ds_write2_b64 v84, v[28:29], v[30:31] offset0:18 offset1:19
	;; [unrolled: 2-line block ×10, first 2 shown]
.LBB34_165:
	s_or_b64 exec, exec, s[0:1]
	v_cmp_lt_i32_e32 vcc, 7, v85
	s_waitcnt lgkmcnt(0)
	s_barrier
	s_and_saveexec_b64 s[0:1], vcc
	s_cbranch_execz .LBB34_167
; %bb.166:
	ds_read2_b64 v[88:91], v84 offset0:16 offset1:17
	v_mul_f64 v[82:83], v[72:73], v[54:55]
	v_mul_f64 v[54:55], v[74:75], v[54:55]
	v_fmac_f64_e32 v[82:83], v[74:75], v[52:53]
	v_fma_f64 v[52:53], v[72:73], v[52:53], -v[54:55]
	ds_read2_b64 v[72:75], v84 offset0:18 offset1:19
	s_waitcnt lgkmcnt(1)
	v_mul_f64 v[54:55], v[90:91], v[82:83]
	v_fma_f64 v[54:55], v[88:89], v[52:53], -v[54:55]
	v_mul_f64 v[88:89], v[88:89], v[82:83]
	v_fmac_f64_e32 v[88:89], v[90:91], v[52:53]
	s_waitcnt vmcnt(9)
	v_add_f64 v[40:41], v[40:41], -v[54:55]
	s_waitcnt lgkmcnt(0)
	v_mul_f64 v[54:55], v[74:75], v[82:83]
	v_add_f64 v[42:43], v[42:43], -v[88:89]
	v_fma_f64 v[54:55], v[72:73], v[52:53], -v[54:55]
	v_mul_f64 v[72:73], v[72:73], v[82:83]
	ds_read2_b64 v[88:91], v84 offset0:20 offset1:21
	v_fmac_f64_e32 v[72:73], v[74:75], v[52:53]
	s_waitcnt vmcnt(8)
	v_add_f64 v[30:31], v[30:31], -v[72:73]
	ds_read2_b64 v[72:75], v84 offset0:22 offset1:23
	v_add_f64 v[28:29], v[28:29], -v[54:55]
	s_waitcnt lgkmcnt(1)
	v_mul_f64 v[54:55], v[90:91], v[82:83]
	v_fma_f64 v[54:55], v[88:89], v[52:53], -v[54:55]
	v_mul_f64 v[88:89], v[88:89], v[82:83]
	v_fmac_f64_e32 v[88:89], v[90:91], v[52:53]
	s_waitcnt vmcnt(7)
	v_add_f64 v[24:25], v[24:25], -v[54:55]
	s_waitcnt lgkmcnt(0)
	v_mul_f64 v[54:55], v[74:75], v[82:83]
	v_add_f64 v[26:27], v[26:27], -v[88:89]
	v_fma_f64 v[54:55], v[72:73], v[52:53], -v[54:55]
	v_mul_f64 v[72:73], v[72:73], v[82:83]
	ds_read2_b64 v[88:91], v84 offset0:24 offset1:25
	v_fmac_f64_e32 v[72:73], v[74:75], v[52:53]
	s_waitcnt vmcnt(6)
	v_add_f64 v[22:23], v[22:23], -v[72:73]
	ds_read2_b64 v[72:75], v84 offset0:26 offset1:27
	v_add_f64 v[20:21], v[20:21], -v[54:55]
	;; [unrolled: 18-line block ×4, first 2 shown]
	s_waitcnt lgkmcnt(1)
	v_mul_f64 v[54:55], v[90:91], v[82:83]
	v_fma_f64 v[54:55], v[88:89], v[52:53], -v[54:55]
	s_waitcnt vmcnt(1)
	v_add_f64 v[0:1], v[0:1], -v[54:55]
	s_waitcnt lgkmcnt(0)
	v_mul_f64 v[54:55], v[74:75], v[82:83]
	v_mul_f64 v[88:89], v[88:89], v[82:83]
	v_fma_f64 v[54:55], v[72:73], v[52:53], -v[54:55]
	v_mul_f64 v[72:73], v[72:73], v[82:83]
	v_fmac_f64_e32 v[88:89], v[90:91], v[52:53]
	v_fmac_f64_e32 v[72:73], v[74:75], v[52:53]
	v_add_f64 v[2:3], v[2:3], -v[88:89]
	s_waitcnt vmcnt(0)
	v_add_f64 v[68:69], v[68:69], -v[54:55]
	v_add_f64 v[70:71], v[70:71], -v[72:73]
	v_mov_b64_e32 v[54:55], v[82:83]
.LBB34_167:
	s_or_b64 exec, exec, s[0:1]
	v_lshl_add_u32 v72, v85, 4, v84
	s_barrier
	s_waitcnt vmcnt(9)
	ds_write2_b64 v72, v[40:41], v[42:43] offset1:1
	s_waitcnt lgkmcnt(0)
	s_barrier
	ds_read2_b64 v[72:75], v84 offset0:16 offset1:17
	s_cmp_lt_i32 s20, 10
	v_mov_b32_e32 v82, 8
	s_cbranch_scc1 .LBB34_170
; %bb.168:
	v_add_u32_e32 v83, 0x90, v84
	s_mov_b32 s16, 9
	v_mov_b32_e32 v82, 8
.LBB34_169:                             ; =>This Inner Loop Header: Depth=1
	ds_read2_b64 v[88:91], v83 offset1:1
	s_waitcnt lgkmcnt(1)
	v_xor_b32_e32 v93, 0x80000000, v73
	v_xor_b32_e32 v95, 0x80000000, v75
	v_cmp_gt_f64_e32 vcc, 0, v[74:75]
	v_cmp_gt_f64_e64 s[0:1], 0, v[72:73]
	v_mov_b32_e32 v92, v72
	v_mov_b32_e32 v94, v74
	v_cndmask_b32_e64 v93, v73, v93, s[0:1]
	v_cndmask_b32_e32 v95, v75, v95, vcc
	v_add_f64 v[92:93], v[92:93], v[94:95]
	s_waitcnt lgkmcnt(0)
	v_xor_b32_e32 v95, 0x80000000, v89
	v_xor_b32_e32 v97, 0x80000000, v91
	v_cmp_gt_f64_e32 vcc, 0, v[90:91]
	v_cmp_gt_f64_e64 s[0:1], 0, v[88:89]
	v_mov_b32_e32 v94, v88
	v_mov_b32_e32 v96, v90
	v_cndmask_b32_e64 v95, v89, v95, s[0:1]
	v_cndmask_b32_e32 v97, v91, v97, vcc
	v_add_f64 v[94:95], v[94:95], v[96:97]
	v_mov_b32_e32 v98, s16
	s_add_i32 s16, s16, 1
	v_cmp_lt_f64_e32 vcc, v[92:93], v[94:95]
	v_add_u32_e32 v83, 16, v83
	s_cmp_lg_u32 s20, s16
	v_cndmask_b32_e32 v73, v73, v89, vcc
	v_cndmask_b32_e32 v72, v72, v88, vcc
	;; [unrolled: 1-line block ×5, first 2 shown]
	s_cbranch_scc1 .LBB34_169
.LBB34_170:
	s_waitcnt lgkmcnt(0)
	v_cmp_eq_f64_e32 vcc, 0, v[72:73]
	v_cmp_eq_f64_e64 s[0:1], 0, v[74:75]
	s_and_b64 s[0:1], vcc, s[0:1]
	s_and_saveexec_b64 s[16:17], s[0:1]
	s_xor_b64 s[0:1], exec, s[16:17]
; %bb.171:
	v_cmp_ne_u32_e32 vcc, 0, v87
	s_nop 1
	v_cndmask_b32_e32 v87, 9, v87, vcc
; %bb.172:
	s_andn2_saveexec_b64 s[0:1], s[0:1]
	s_cbranch_execz .LBB34_178
; %bb.173:
	v_cmp_ngt_f64_e64 s[16:17], |v[72:73]|, |v[74:75]|
	s_and_saveexec_b64 s[18:19], s[16:17]
	s_xor_b64 s[16:17], exec, s[18:19]
	s_cbranch_execz .LBB34_175
; %bb.174:
	v_div_scale_f64 v[88:89], s[18:19], v[74:75], v[74:75], v[72:73]
	v_rcp_f64_e32 v[90:91], v[88:89]
	v_div_scale_f64 v[92:93], vcc, v[72:73], v[74:75], v[72:73]
	v_fma_f64 v[94:95], -v[88:89], v[90:91], 1.0
	v_fmac_f64_e32 v[90:91], v[90:91], v[94:95]
	v_fma_f64 v[94:95], -v[88:89], v[90:91], 1.0
	v_fmac_f64_e32 v[90:91], v[90:91], v[94:95]
	v_mul_f64 v[94:95], v[92:93], v[90:91]
	v_fma_f64 v[88:89], -v[88:89], v[94:95], v[92:93]
	v_div_fmas_f64 v[88:89], v[88:89], v[90:91], v[94:95]
	v_div_fixup_f64 v[88:89], v[88:89], v[74:75], v[72:73]
	v_fmac_f64_e32 v[74:75], v[72:73], v[88:89]
	v_div_scale_f64 v[72:73], s[18:19], v[74:75], v[74:75], 1.0
	v_rcp_f64_e32 v[90:91], v[72:73]
	s_nop 0
	v_fma_f64 v[92:93], -v[72:73], v[90:91], 1.0
	v_fmac_f64_e32 v[90:91], v[90:91], v[92:93]
	v_fma_f64 v[92:93], -v[72:73], v[90:91], 1.0
	v_fmac_f64_e32 v[90:91], v[90:91], v[92:93]
	v_div_scale_f64 v[92:93], vcc, 1.0, v[74:75], 1.0
	v_mul_f64 v[94:95], v[92:93], v[90:91]
	v_fma_f64 v[72:73], -v[72:73], v[94:95], v[92:93]
	s_nop 1
	v_div_fmas_f64 v[72:73], v[72:73], v[90:91], v[94:95]
	v_div_fixup_f64 v[74:75], v[72:73], v[74:75], 1.0
	v_mul_f64 v[72:73], v[88:89], v[74:75]
	v_xor_b32_e32 v75, 0x80000000, v75
.LBB34_175:
	s_andn2_saveexec_b64 s[16:17], s[16:17]
	s_cbranch_execz .LBB34_177
; %bb.176:
	v_div_scale_f64 v[88:89], s[18:19], v[72:73], v[72:73], v[74:75]
	v_rcp_f64_e32 v[90:91], v[88:89]
	v_div_scale_f64 v[92:93], vcc, v[74:75], v[72:73], v[74:75]
	v_fma_f64 v[94:95], -v[88:89], v[90:91], 1.0
	v_fmac_f64_e32 v[90:91], v[90:91], v[94:95]
	v_fma_f64 v[94:95], -v[88:89], v[90:91], 1.0
	v_fmac_f64_e32 v[90:91], v[90:91], v[94:95]
	v_mul_f64 v[94:95], v[92:93], v[90:91]
	v_fma_f64 v[88:89], -v[88:89], v[94:95], v[92:93]
	v_div_fmas_f64 v[88:89], v[88:89], v[90:91], v[94:95]
	v_div_fixup_f64 v[88:89], v[88:89], v[72:73], v[74:75]
	v_fmac_f64_e32 v[72:73], v[74:75], v[88:89]
	v_div_scale_f64 v[74:75], s[18:19], v[72:73], v[72:73], 1.0
	v_rcp_f64_e32 v[90:91], v[74:75]
	s_nop 0
	v_fma_f64 v[92:93], -v[74:75], v[90:91], 1.0
	v_fmac_f64_e32 v[90:91], v[90:91], v[92:93]
	v_fma_f64 v[92:93], -v[74:75], v[90:91], 1.0
	v_fmac_f64_e32 v[90:91], v[90:91], v[92:93]
	v_div_scale_f64 v[92:93], vcc, 1.0, v[72:73], 1.0
	v_mul_f64 v[94:95], v[92:93], v[90:91]
	v_fma_f64 v[74:75], -v[74:75], v[94:95], v[92:93]
	s_nop 1
	v_div_fmas_f64 v[74:75], v[74:75], v[90:91], v[94:95]
	v_div_fixup_f64 v[72:73], v[74:75], v[72:73], 1.0
	v_mul_f64 v[74:75], v[88:89], -v[72:73]
.LBB34_177:
	s_or_b64 exec, exec, s[16:17]
.LBB34_178:
	s_or_b64 exec, exec, s[0:1]
	v_cmp_ne_u32_e32 vcc, v85, v82
	s_and_saveexec_b64 s[0:1], vcc
	s_xor_b64 s[0:1], exec, s[0:1]
	s_cbranch_execz .LBB34_184
; %bb.179:
	v_cmp_eq_u32_e32 vcc, 8, v85
	s_and_saveexec_b64 s[16:17], vcc
	s_cbranch_execz .LBB34_183
; %bb.180:
	v_cmp_ne_u32_e32 vcc, 8, v82
	s_xor_b64 s[18:19], s[14:15], -1
	s_and_b64 s[22:23], s[18:19], vcc
	s_and_saveexec_b64 s[18:19], s[22:23]
	s_cbranch_execz .LBB34_182
; %bb.181:
	v_ashrrev_i32_e32 v83, 31, v82
	v_lshl_add_u64 v[88:89], v[82:83], 2, v[80:81]
	global_load_dword v83, v[88:89], off
	global_load_dword v85, v[80:81], off offset:32
	s_waitcnt vmcnt(1)
	global_store_dword v[80:81], v83, off offset:32
	s_waitcnt vmcnt(1)
	global_store_dword v[88:89], v85, off
.LBB34_182:
	s_or_b64 exec, exec, s[18:19]
	v_mov_b32_e32 v85, v82
	v_mov_b32_e32 v86, v82
.LBB34_183:
	s_or_b64 exec, exec, s[16:17]
.LBB34_184:
	s_andn2_saveexec_b64 s[0:1], s[0:1]
	s_cbranch_execz .LBB34_186
; %bb.185:
	v_mov_b32_e32 v85, 8
	s_waitcnt vmcnt(8)
	ds_write2_b64 v84, v[28:29], v[30:31] offset0:18 offset1:19
	s_waitcnt vmcnt(7)
	ds_write2_b64 v84, v[24:25], v[26:27] offset0:20 offset1:21
	;; [unrolled: 2-line block ×9, first 2 shown]
.LBB34_186:
	s_or_b64 exec, exec, s[0:1]
	v_cmp_lt_i32_e32 vcc, 8, v85
	s_waitcnt lgkmcnt(0)
	s_barrier
	s_and_saveexec_b64 s[0:1], vcc
	s_cbranch_execz .LBB34_188
; %bb.187:
	ds_read2_b64 v[88:91], v84 offset0:18 offset1:19
	v_mul_f64 v[82:83], v[72:73], v[42:43]
	v_fmac_f64_e32 v[82:83], v[74:75], v[40:41]
	v_mul_f64 v[42:43], v[74:75], v[42:43]
	v_fma_f64 v[40:41], v[72:73], v[40:41], -v[42:43]
	ds_read2_b64 v[72:75], v84 offset0:20 offset1:21
	s_waitcnt lgkmcnt(1)
	v_mul_f64 v[42:43], v[90:91], v[82:83]
	v_fma_f64 v[42:43], v[88:89], v[40:41], -v[42:43]
	v_mul_f64 v[88:89], v[88:89], v[82:83]
	v_fmac_f64_e32 v[88:89], v[90:91], v[40:41]
	s_waitcnt vmcnt(8)
	v_add_f64 v[30:31], v[30:31], -v[88:89]
	ds_read2_b64 v[88:91], v84 offset0:22 offset1:23
	v_add_f64 v[28:29], v[28:29], -v[42:43]
	s_waitcnt lgkmcnt(1)
	v_mul_f64 v[42:43], v[74:75], v[82:83]
	v_fma_f64 v[42:43], v[72:73], v[40:41], -v[42:43]
	v_mul_f64 v[72:73], v[72:73], v[82:83]
	v_fmac_f64_e32 v[72:73], v[74:75], v[40:41]
	s_waitcnt vmcnt(7)
	v_add_f64 v[24:25], v[24:25], -v[42:43]
	v_add_f64 v[26:27], v[26:27], -v[72:73]
	ds_read2_b64 v[72:75], v84 offset0:24 offset1:25
	s_waitcnt lgkmcnt(1)
	v_mul_f64 v[42:43], v[90:91], v[82:83]
	v_fma_f64 v[42:43], v[88:89], v[40:41], -v[42:43]
	v_mul_f64 v[88:89], v[88:89], v[82:83]
	v_fmac_f64_e32 v[88:89], v[90:91], v[40:41]
	s_waitcnt vmcnt(6)
	v_add_f64 v[22:23], v[22:23], -v[88:89]
	ds_read2_b64 v[88:91], v84 offset0:26 offset1:27
	v_add_f64 v[20:21], v[20:21], -v[42:43]
	s_waitcnt lgkmcnt(1)
	v_mul_f64 v[42:43], v[74:75], v[82:83]
	v_fma_f64 v[42:43], v[72:73], v[40:41], -v[42:43]
	v_mul_f64 v[72:73], v[72:73], v[82:83]
	v_fmac_f64_e32 v[72:73], v[74:75], v[40:41]
	s_waitcnt vmcnt(5)
	v_add_f64 v[16:17], v[16:17], -v[42:43]
	v_add_f64 v[18:19], v[18:19], -v[72:73]
	;; [unrolled: 18-line block ×4, first 2 shown]
	s_waitcnt lgkmcnt(0)
	v_mul_f64 v[42:43], v[90:91], v[82:83]
	v_mul_f64 v[72:73], v[88:89], v[82:83]
	v_fma_f64 v[42:43], v[88:89], v[40:41], -v[42:43]
	v_fmac_f64_e32 v[72:73], v[90:91], v[40:41]
	s_waitcnt vmcnt(0)
	v_add_f64 v[68:69], v[68:69], -v[42:43]
	v_add_f64 v[70:71], v[70:71], -v[72:73]
	v_mov_b64_e32 v[42:43], v[82:83]
.LBB34_188:
	s_or_b64 exec, exec, s[0:1]
	v_lshl_add_u32 v72, v85, 4, v84
	s_barrier
	s_waitcnt vmcnt(8)
	ds_write2_b64 v72, v[28:29], v[30:31] offset1:1
	s_waitcnt lgkmcnt(0)
	s_barrier
	ds_read2_b64 v[72:75], v84 offset0:18 offset1:19
	s_cmp_lt_i32 s20, 11
	v_mov_b32_e32 v82, 9
	s_cbranch_scc1 .LBB34_191
; %bb.189:
	v_add_u32_e32 v83, 0xa0, v84
	s_mov_b32 s16, 10
	v_mov_b32_e32 v82, 9
.LBB34_190:                             ; =>This Inner Loop Header: Depth=1
	ds_read2_b64 v[88:91], v83 offset1:1
	s_waitcnt lgkmcnt(1)
	v_xor_b32_e32 v93, 0x80000000, v73
	v_xor_b32_e32 v95, 0x80000000, v75
	v_cmp_gt_f64_e32 vcc, 0, v[74:75]
	v_cmp_gt_f64_e64 s[0:1], 0, v[72:73]
	v_mov_b32_e32 v92, v72
	v_mov_b32_e32 v94, v74
	v_cndmask_b32_e64 v93, v73, v93, s[0:1]
	v_cndmask_b32_e32 v95, v75, v95, vcc
	v_add_f64 v[92:93], v[92:93], v[94:95]
	s_waitcnt lgkmcnt(0)
	v_xor_b32_e32 v95, 0x80000000, v89
	v_xor_b32_e32 v97, 0x80000000, v91
	v_cmp_gt_f64_e32 vcc, 0, v[90:91]
	v_cmp_gt_f64_e64 s[0:1], 0, v[88:89]
	v_mov_b32_e32 v94, v88
	v_mov_b32_e32 v96, v90
	v_cndmask_b32_e64 v95, v89, v95, s[0:1]
	v_cndmask_b32_e32 v97, v91, v97, vcc
	v_add_f64 v[94:95], v[94:95], v[96:97]
	v_mov_b32_e32 v98, s16
	s_add_i32 s16, s16, 1
	v_cmp_lt_f64_e32 vcc, v[92:93], v[94:95]
	v_add_u32_e32 v83, 16, v83
	s_cmp_lg_u32 s20, s16
	v_cndmask_b32_e32 v73, v73, v89, vcc
	v_cndmask_b32_e32 v72, v72, v88, vcc
	;; [unrolled: 1-line block ×5, first 2 shown]
	s_cbranch_scc1 .LBB34_190
.LBB34_191:
	s_waitcnt lgkmcnt(0)
	v_cmp_eq_f64_e32 vcc, 0, v[72:73]
	v_cmp_eq_f64_e64 s[0:1], 0, v[74:75]
	s_and_b64 s[0:1], vcc, s[0:1]
	s_and_saveexec_b64 s[16:17], s[0:1]
	s_xor_b64 s[0:1], exec, s[16:17]
; %bb.192:
	v_cmp_ne_u32_e32 vcc, 0, v87
	s_nop 1
	v_cndmask_b32_e32 v87, 10, v87, vcc
; %bb.193:
	s_andn2_saveexec_b64 s[0:1], s[0:1]
	s_cbranch_execz .LBB34_199
; %bb.194:
	v_cmp_ngt_f64_e64 s[16:17], |v[72:73]|, |v[74:75]|
	s_and_saveexec_b64 s[18:19], s[16:17]
	s_xor_b64 s[16:17], exec, s[18:19]
	s_cbranch_execz .LBB34_196
; %bb.195:
	v_div_scale_f64 v[88:89], s[18:19], v[74:75], v[74:75], v[72:73]
	v_rcp_f64_e32 v[90:91], v[88:89]
	v_div_scale_f64 v[92:93], vcc, v[72:73], v[74:75], v[72:73]
	v_fma_f64 v[94:95], -v[88:89], v[90:91], 1.0
	v_fmac_f64_e32 v[90:91], v[90:91], v[94:95]
	v_fma_f64 v[94:95], -v[88:89], v[90:91], 1.0
	v_fmac_f64_e32 v[90:91], v[90:91], v[94:95]
	v_mul_f64 v[94:95], v[92:93], v[90:91]
	v_fma_f64 v[88:89], -v[88:89], v[94:95], v[92:93]
	v_div_fmas_f64 v[88:89], v[88:89], v[90:91], v[94:95]
	v_div_fixup_f64 v[88:89], v[88:89], v[74:75], v[72:73]
	v_fmac_f64_e32 v[74:75], v[72:73], v[88:89]
	v_div_scale_f64 v[72:73], s[18:19], v[74:75], v[74:75], 1.0
	v_rcp_f64_e32 v[90:91], v[72:73]
	s_nop 0
	v_fma_f64 v[92:93], -v[72:73], v[90:91], 1.0
	v_fmac_f64_e32 v[90:91], v[90:91], v[92:93]
	v_fma_f64 v[92:93], -v[72:73], v[90:91], 1.0
	v_fmac_f64_e32 v[90:91], v[90:91], v[92:93]
	v_div_scale_f64 v[92:93], vcc, 1.0, v[74:75], 1.0
	v_mul_f64 v[94:95], v[92:93], v[90:91]
	v_fma_f64 v[72:73], -v[72:73], v[94:95], v[92:93]
	s_nop 1
	v_div_fmas_f64 v[72:73], v[72:73], v[90:91], v[94:95]
	v_div_fixup_f64 v[74:75], v[72:73], v[74:75], 1.0
	v_mul_f64 v[72:73], v[88:89], v[74:75]
	v_xor_b32_e32 v75, 0x80000000, v75
.LBB34_196:
	s_andn2_saveexec_b64 s[16:17], s[16:17]
	s_cbranch_execz .LBB34_198
; %bb.197:
	v_div_scale_f64 v[88:89], s[18:19], v[72:73], v[72:73], v[74:75]
	v_rcp_f64_e32 v[90:91], v[88:89]
	v_div_scale_f64 v[92:93], vcc, v[74:75], v[72:73], v[74:75]
	v_fma_f64 v[94:95], -v[88:89], v[90:91], 1.0
	v_fmac_f64_e32 v[90:91], v[90:91], v[94:95]
	v_fma_f64 v[94:95], -v[88:89], v[90:91], 1.0
	v_fmac_f64_e32 v[90:91], v[90:91], v[94:95]
	v_mul_f64 v[94:95], v[92:93], v[90:91]
	v_fma_f64 v[88:89], -v[88:89], v[94:95], v[92:93]
	v_div_fmas_f64 v[88:89], v[88:89], v[90:91], v[94:95]
	v_div_fixup_f64 v[88:89], v[88:89], v[72:73], v[74:75]
	v_fmac_f64_e32 v[72:73], v[74:75], v[88:89]
	v_div_scale_f64 v[74:75], s[18:19], v[72:73], v[72:73], 1.0
	v_rcp_f64_e32 v[90:91], v[74:75]
	s_nop 0
	v_fma_f64 v[92:93], -v[74:75], v[90:91], 1.0
	v_fmac_f64_e32 v[90:91], v[90:91], v[92:93]
	v_fma_f64 v[92:93], -v[74:75], v[90:91], 1.0
	v_fmac_f64_e32 v[90:91], v[90:91], v[92:93]
	v_div_scale_f64 v[92:93], vcc, 1.0, v[72:73], 1.0
	v_mul_f64 v[94:95], v[92:93], v[90:91]
	v_fma_f64 v[74:75], -v[74:75], v[94:95], v[92:93]
	s_nop 1
	v_div_fmas_f64 v[74:75], v[74:75], v[90:91], v[94:95]
	v_div_fixup_f64 v[72:73], v[74:75], v[72:73], 1.0
	v_mul_f64 v[74:75], v[88:89], -v[72:73]
.LBB34_198:
	s_or_b64 exec, exec, s[16:17]
.LBB34_199:
	s_or_b64 exec, exec, s[0:1]
	v_cmp_ne_u32_e32 vcc, v85, v82
	s_and_saveexec_b64 s[0:1], vcc
	s_xor_b64 s[0:1], exec, s[0:1]
	s_cbranch_execz .LBB34_205
; %bb.200:
	v_cmp_eq_u32_e32 vcc, 9, v85
	s_and_saveexec_b64 s[16:17], vcc
	s_cbranch_execz .LBB34_204
; %bb.201:
	v_cmp_ne_u32_e32 vcc, 9, v82
	s_xor_b64 s[18:19], s[14:15], -1
	s_and_b64 s[22:23], s[18:19], vcc
	s_and_saveexec_b64 s[18:19], s[22:23]
	s_cbranch_execz .LBB34_203
; %bb.202:
	v_ashrrev_i32_e32 v83, 31, v82
	v_lshl_add_u64 v[88:89], v[82:83], 2, v[80:81]
	global_load_dword v83, v[88:89], off
	global_load_dword v85, v[80:81], off offset:36
	s_waitcnt vmcnt(1)
	global_store_dword v[80:81], v83, off offset:36
	s_waitcnt vmcnt(1)
	global_store_dword v[88:89], v85, off
.LBB34_203:
	s_or_b64 exec, exec, s[18:19]
	v_mov_b32_e32 v85, v82
	v_mov_b32_e32 v86, v82
.LBB34_204:
	s_or_b64 exec, exec, s[16:17]
.LBB34_205:
	s_andn2_saveexec_b64 s[0:1], s[0:1]
	s_cbranch_execz .LBB34_207
; %bb.206:
	v_mov_b32_e32 v85, 9
	s_waitcnt vmcnt(7)
	ds_write2_b64 v84, v[24:25], v[26:27] offset0:20 offset1:21
	s_waitcnt vmcnt(6)
	ds_write2_b64 v84, v[20:21], v[22:23] offset0:22 offset1:23
	;; [unrolled: 2-line block ×8, first 2 shown]
.LBB34_207:
	s_or_b64 exec, exec, s[0:1]
	v_cmp_lt_i32_e32 vcc, 9, v85
	s_waitcnt lgkmcnt(0)
	s_barrier
	s_and_saveexec_b64 s[0:1], vcc
	s_cbranch_execz .LBB34_209
; %bb.208:
	ds_read2_b64 v[88:91], v84 offset0:20 offset1:21
	v_mul_f64 v[82:83], v[72:73], v[30:31]
	v_mul_f64 v[30:31], v[74:75], v[30:31]
	v_fmac_f64_e32 v[82:83], v[74:75], v[28:29]
	v_fma_f64 v[28:29], v[72:73], v[28:29], -v[30:31]
	ds_read2_b64 v[72:75], v84 offset0:22 offset1:23
	s_waitcnt lgkmcnt(1)
	v_mul_f64 v[30:31], v[90:91], v[82:83]
	v_fma_f64 v[30:31], v[88:89], v[28:29], -v[30:31]
	v_mul_f64 v[88:89], v[88:89], v[82:83]
	v_fmac_f64_e32 v[88:89], v[90:91], v[28:29]
	s_waitcnt vmcnt(7)
	v_add_f64 v[24:25], v[24:25], -v[30:31]
	s_waitcnt lgkmcnt(0)
	v_mul_f64 v[30:31], v[74:75], v[82:83]
	v_add_f64 v[26:27], v[26:27], -v[88:89]
	v_fma_f64 v[30:31], v[72:73], v[28:29], -v[30:31]
	v_mul_f64 v[72:73], v[72:73], v[82:83]
	ds_read2_b64 v[88:91], v84 offset0:24 offset1:25
	v_fmac_f64_e32 v[72:73], v[74:75], v[28:29]
	s_waitcnt vmcnt(6)
	v_add_f64 v[22:23], v[22:23], -v[72:73]
	ds_read2_b64 v[72:75], v84 offset0:26 offset1:27
	v_add_f64 v[20:21], v[20:21], -v[30:31]
	s_waitcnt lgkmcnt(1)
	v_mul_f64 v[30:31], v[90:91], v[82:83]
	v_fma_f64 v[30:31], v[88:89], v[28:29], -v[30:31]
	v_mul_f64 v[88:89], v[88:89], v[82:83]
	v_fmac_f64_e32 v[88:89], v[90:91], v[28:29]
	s_waitcnt vmcnt(5)
	v_add_f64 v[16:17], v[16:17], -v[30:31]
	s_waitcnt lgkmcnt(0)
	v_mul_f64 v[30:31], v[74:75], v[82:83]
	v_add_f64 v[18:19], v[18:19], -v[88:89]
	v_fma_f64 v[30:31], v[72:73], v[28:29], -v[30:31]
	v_mul_f64 v[72:73], v[72:73], v[82:83]
	ds_read2_b64 v[88:91], v84 offset0:28 offset1:29
	v_fmac_f64_e32 v[72:73], v[74:75], v[28:29]
	s_waitcnt vmcnt(4)
	v_add_f64 v[14:15], v[14:15], -v[72:73]
	ds_read2_b64 v[72:75], v84 offset0:30 offset1:31
	v_add_f64 v[12:13], v[12:13], -v[30:31]
	;; [unrolled: 18-line block ×3, first 2 shown]
	s_waitcnt lgkmcnt(1)
	v_mul_f64 v[30:31], v[90:91], v[82:83]
	v_fma_f64 v[30:31], v[88:89], v[28:29], -v[30:31]
	s_waitcnt vmcnt(1)
	v_add_f64 v[0:1], v[0:1], -v[30:31]
	s_waitcnt lgkmcnt(0)
	v_mul_f64 v[30:31], v[74:75], v[82:83]
	v_mul_f64 v[88:89], v[88:89], v[82:83]
	v_fma_f64 v[30:31], v[72:73], v[28:29], -v[30:31]
	v_mul_f64 v[72:73], v[72:73], v[82:83]
	v_fmac_f64_e32 v[88:89], v[90:91], v[28:29]
	v_fmac_f64_e32 v[72:73], v[74:75], v[28:29]
	v_add_f64 v[2:3], v[2:3], -v[88:89]
	s_waitcnt vmcnt(0)
	v_add_f64 v[68:69], v[68:69], -v[30:31]
	v_add_f64 v[70:71], v[70:71], -v[72:73]
	v_mov_b64_e32 v[30:31], v[82:83]
.LBB34_209:
	s_or_b64 exec, exec, s[0:1]
	v_lshl_add_u32 v72, v85, 4, v84
	s_barrier
	s_waitcnt vmcnt(7)
	ds_write2_b64 v72, v[24:25], v[26:27] offset1:1
	s_waitcnt lgkmcnt(0)
	s_barrier
	ds_read2_b64 v[72:75], v84 offset0:20 offset1:21
	s_cmp_lt_i32 s20, 12
	v_mov_b32_e32 v82, 10
	s_cbranch_scc1 .LBB34_212
; %bb.210:
	v_add_u32_e32 v83, 0xb0, v84
	s_mov_b32 s16, 11
	v_mov_b32_e32 v82, 10
.LBB34_211:                             ; =>This Inner Loop Header: Depth=1
	ds_read2_b64 v[88:91], v83 offset1:1
	s_waitcnt lgkmcnt(1)
	v_xor_b32_e32 v93, 0x80000000, v73
	v_xor_b32_e32 v95, 0x80000000, v75
	v_cmp_gt_f64_e32 vcc, 0, v[74:75]
	v_cmp_gt_f64_e64 s[0:1], 0, v[72:73]
	v_mov_b32_e32 v92, v72
	v_mov_b32_e32 v94, v74
	v_cndmask_b32_e64 v93, v73, v93, s[0:1]
	v_cndmask_b32_e32 v95, v75, v95, vcc
	v_add_f64 v[92:93], v[92:93], v[94:95]
	s_waitcnt lgkmcnt(0)
	v_xor_b32_e32 v95, 0x80000000, v89
	v_xor_b32_e32 v97, 0x80000000, v91
	v_cmp_gt_f64_e32 vcc, 0, v[90:91]
	v_cmp_gt_f64_e64 s[0:1], 0, v[88:89]
	v_mov_b32_e32 v94, v88
	v_mov_b32_e32 v96, v90
	v_cndmask_b32_e64 v95, v89, v95, s[0:1]
	v_cndmask_b32_e32 v97, v91, v97, vcc
	v_add_f64 v[94:95], v[94:95], v[96:97]
	v_mov_b32_e32 v98, s16
	s_add_i32 s16, s16, 1
	v_cmp_lt_f64_e32 vcc, v[92:93], v[94:95]
	v_add_u32_e32 v83, 16, v83
	s_cmp_lg_u32 s20, s16
	v_cndmask_b32_e32 v73, v73, v89, vcc
	v_cndmask_b32_e32 v72, v72, v88, vcc
	;; [unrolled: 1-line block ×5, first 2 shown]
	s_cbranch_scc1 .LBB34_211
.LBB34_212:
	s_waitcnt lgkmcnt(0)
	v_cmp_eq_f64_e32 vcc, 0, v[72:73]
	v_cmp_eq_f64_e64 s[0:1], 0, v[74:75]
	s_and_b64 s[0:1], vcc, s[0:1]
	s_and_saveexec_b64 s[16:17], s[0:1]
	s_xor_b64 s[0:1], exec, s[16:17]
; %bb.213:
	v_cmp_ne_u32_e32 vcc, 0, v87
	s_nop 1
	v_cndmask_b32_e32 v87, 11, v87, vcc
; %bb.214:
	s_andn2_saveexec_b64 s[0:1], s[0:1]
	s_cbranch_execz .LBB34_220
; %bb.215:
	v_cmp_ngt_f64_e64 s[16:17], |v[72:73]|, |v[74:75]|
	s_and_saveexec_b64 s[18:19], s[16:17]
	s_xor_b64 s[16:17], exec, s[18:19]
	s_cbranch_execz .LBB34_217
; %bb.216:
	v_div_scale_f64 v[88:89], s[18:19], v[74:75], v[74:75], v[72:73]
	v_rcp_f64_e32 v[90:91], v[88:89]
	v_div_scale_f64 v[92:93], vcc, v[72:73], v[74:75], v[72:73]
	v_fma_f64 v[94:95], -v[88:89], v[90:91], 1.0
	v_fmac_f64_e32 v[90:91], v[90:91], v[94:95]
	v_fma_f64 v[94:95], -v[88:89], v[90:91], 1.0
	v_fmac_f64_e32 v[90:91], v[90:91], v[94:95]
	v_mul_f64 v[94:95], v[92:93], v[90:91]
	v_fma_f64 v[88:89], -v[88:89], v[94:95], v[92:93]
	v_div_fmas_f64 v[88:89], v[88:89], v[90:91], v[94:95]
	v_div_fixup_f64 v[88:89], v[88:89], v[74:75], v[72:73]
	v_fmac_f64_e32 v[74:75], v[72:73], v[88:89]
	v_div_scale_f64 v[72:73], s[18:19], v[74:75], v[74:75], 1.0
	v_rcp_f64_e32 v[90:91], v[72:73]
	s_nop 0
	v_fma_f64 v[92:93], -v[72:73], v[90:91], 1.0
	v_fmac_f64_e32 v[90:91], v[90:91], v[92:93]
	v_fma_f64 v[92:93], -v[72:73], v[90:91], 1.0
	v_fmac_f64_e32 v[90:91], v[90:91], v[92:93]
	v_div_scale_f64 v[92:93], vcc, 1.0, v[74:75], 1.0
	v_mul_f64 v[94:95], v[92:93], v[90:91]
	v_fma_f64 v[72:73], -v[72:73], v[94:95], v[92:93]
	s_nop 1
	v_div_fmas_f64 v[72:73], v[72:73], v[90:91], v[94:95]
	v_div_fixup_f64 v[74:75], v[72:73], v[74:75], 1.0
	v_mul_f64 v[72:73], v[88:89], v[74:75]
	v_xor_b32_e32 v75, 0x80000000, v75
.LBB34_217:
	s_andn2_saveexec_b64 s[16:17], s[16:17]
	s_cbranch_execz .LBB34_219
; %bb.218:
	v_div_scale_f64 v[88:89], s[18:19], v[72:73], v[72:73], v[74:75]
	v_rcp_f64_e32 v[90:91], v[88:89]
	v_div_scale_f64 v[92:93], vcc, v[74:75], v[72:73], v[74:75]
	v_fma_f64 v[94:95], -v[88:89], v[90:91], 1.0
	v_fmac_f64_e32 v[90:91], v[90:91], v[94:95]
	v_fma_f64 v[94:95], -v[88:89], v[90:91], 1.0
	v_fmac_f64_e32 v[90:91], v[90:91], v[94:95]
	v_mul_f64 v[94:95], v[92:93], v[90:91]
	v_fma_f64 v[88:89], -v[88:89], v[94:95], v[92:93]
	v_div_fmas_f64 v[88:89], v[88:89], v[90:91], v[94:95]
	v_div_fixup_f64 v[88:89], v[88:89], v[72:73], v[74:75]
	v_fmac_f64_e32 v[72:73], v[74:75], v[88:89]
	v_div_scale_f64 v[74:75], s[18:19], v[72:73], v[72:73], 1.0
	v_rcp_f64_e32 v[90:91], v[74:75]
	s_nop 0
	v_fma_f64 v[92:93], -v[74:75], v[90:91], 1.0
	v_fmac_f64_e32 v[90:91], v[90:91], v[92:93]
	v_fma_f64 v[92:93], -v[74:75], v[90:91], 1.0
	v_fmac_f64_e32 v[90:91], v[90:91], v[92:93]
	v_div_scale_f64 v[92:93], vcc, 1.0, v[72:73], 1.0
	v_mul_f64 v[94:95], v[92:93], v[90:91]
	v_fma_f64 v[74:75], -v[74:75], v[94:95], v[92:93]
	s_nop 1
	v_div_fmas_f64 v[74:75], v[74:75], v[90:91], v[94:95]
	v_div_fixup_f64 v[72:73], v[74:75], v[72:73], 1.0
	v_mul_f64 v[74:75], v[88:89], -v[72:73]
.LBB34_219:
	s_or_b64 exec, exec, s[16:17]
.LBB34_220:
	s_or_b64 exec, exec, s[0:1]
	v_cmp_ne_u32_e32 vcc, v85, v82
	s_and_saveexec_b64 s[0:1], vcc
	s_xor_b64 s[0:1], exec, s[0:1]
	s_cbranch_execz .LBB34_226
; %bb.221:
	v_cmp_eq_u32_e32 vcc, 10, v85
	s_and_saveexec_b64 s[16:17], vcc
	s_cbranch_execz .LBB34_225
; %bb.222:
	v_cmp_ne_u32_e32 vcc, 10, v82
	s_xor_b64 s[18:19], s[14:15], -1
	s_and_b64 s[22:23], s[18:19], vcc
	s_and_saveexec_b64 s[18:19], s[22:23]
	s_cbranch_execz .LBB34_224
; %bb.223:
	v_ashrrev_i32_e32 v83, 31, v82
	v_lshl_add_u64 v[88:89], v[82:83], 2, v[80:81]
	global_load_dword v83, v[88:89], off
	global_load_dword v85, v[80:81], off offset:40
	s_waitcnt vmcnt(1)
	global_store_dword v[80:81], v83, off offset:40
	s_waitcnt vmcnt(1)
	global_store_dword v[88:89], v85, off
.LBB34_224:
	s_or_b64 exec, exec, s[18:19]
	v_mov_b32_e32 v85, v82
	v_mov_b32_e32 v86, v82
.LBB34_225:
	s_or_b64 exec, exec, s[16:17]
.LBB34_226:
	s_andn2_saveexec_b64 s[0:1], s[0:1]
	s_cbranch_execz .LBB34_228
; %bb.227:
	v_mov_b32_e32 v85, 10
	s_waitcnt vmcnt(6)
	ds_write2_b64 v84, v[20:21], v[22:23] offset0:22 offset1:23
	s_waitcnt vmcnt(5)
	ds_write2_b64 v84, v[16:17], v[18:19] offset0:24 offset1:25
	;; [unrolled: 2-line block ×7, first 2 shown]
.LBB34_228:
	s_or_b64 exec, exec, s[0:1]
	v_cmp_lt_i32_e32 vcc, 10, v85
	s_waitcnt lgkmcnt(0)
	s_barrier
	s_and_saveexec_b64 s[0:1], vcc
	s_cbranch_execz .LBB34_230
; %bb.229:
	ds_read2_b64 v[88:91], v84 offset0:22 offset1:23
	v_mul_f64 v[82:83], v[72:73], v[26:27]
	v_fmac_f64_e32 v[82:83], v[74:75], v[24:25]
	v_mul_f64 v[26:27], v[74:75], v[26:27]
	v_fma_f64 v[24:25], v[72:73], v[24:25], -v[26:27]
	ds_read2_b64 v[72:75], v84 offset0:24 offset1:25
	s_waitcnt lgkmcnt(1)
	v_mul_f64 v[26:27], v[90:91], v[82:83]
	v_fma_f64 v[26:27], v[88:89], v[24:25], -v[26:27]
	v_mul_f64 v[88:89], v[88:89], v[82:83]
	v_fmac_f64_e32 v[88:89], v[90:91], v[24:25]
	s_waitcnt vmcnt(6)
	v_add_f64 v[22:23], v[22:23], -v[88:89]
	ds_read2_b64 v[88:91], v84 offset0:26 offset1:27
	v_add_f64 v[20:21], v[20:21], -v[26:27]
	s_waitcnt lgkmcnt(1)
	v_mul_f64 v[26:27], v[74:75], v[82:83]
	v_fma_f64 v[26:27], v[72:73], v[24:25], -v[26:27]
	v_mul_f64 v[72:73], v[72:73], v[82:83]
	v_fmac_f64_e32 v[72:73], v[74:75], v[24:25]
	s_waitcnt vmcnt(5)
	v_add_f64 v[16:17], v[16:17], -v[26:27]
	v_add_f64 v[18:19], v[18:19], -v[72:73]
	ds_read2_b64 v[72:75], v84 offset0:28 offset1:29
	s_waitcnt lgkmcnt(1)
	v_mul_f64 v[26:27], v[90:91], v[82:83]
	v_fma_f64 v[26:27], v[88:89], v[24:25], -v[26:27]
	v_mul_f64 v[88:89], v[88:89], v[82:83]
	v_fmac_f64_e32 v[88:89], v[90:91], v[24:25]
	s_waitcnt vmcnt(4)
	v_add_f64 v[14:15], v[14:15], -v[88:89]
	ds_read2_b64 v[88:91], v84 offset0:30 offset1:31
	v_add_f64 v[12:13], v[12:13], -v[26:27]
	s_waitcnt lgkmcnt(1)
	v_mul_f64 v[26:27], v[74:75], v[82:83]
	v_fma_f64 v[26:27], v[72:73], v[24:25], -v[26:27]
	v_mul_f64 v[72:73], v[72:73], v[82:83]
	v_fmac_f64_e32 v[72:73], v[74:75], v[24:25]
	s_waitcnt vmcnt(3)
	v_add_f64 v[8:9], v[8:9], -v[26:27]
	v_add_f64 v[10:11], v[10:11], -v[72:73]
	;; [unrolled: 18-line block ×3, first 2 shown]
	s_waitcnt lgkmcnt(0)
	v_mul_f64 v[26:27], v[90:91], v[82:83]
	v_mul_f64 v[72:73], v[88:89], v[82:83]
	v_fma_f64 v[26:27], v[88:89], v[24:25], -v[26:27]
	v_fmac_f64_e32 v[72:73], v[90:91], v[24:25]
	s_waitcnt vmcnt(0)
	v_add_f64 v[68:69], v[68:69], -v[26:27]
	v_add_f64 v[70:71], v[70:71], -v[72:73]
	v_mov_b64_e32 v[26:27], v[82:83]
.LBB34_230:
	s_or_b64 exec, exec, s[0:1]
	v_lshl_add_u32 v72, v85, 4, v84
	s_barrier
	s_waitcnt vmcnt(6)
	ds_write2_b64 v72, v[20:21], v[22:23] offset1:1
	s_waitcnt lgkmcnt(0)
	s_barrier
	ds_read2_b64 v[72:75], v84 offset0:22 offset1:23
	s_cmp_lt_i32 s20, 13
	v_mov_b32_e32 v82, 11
	s_cbranch_scc1 .LBB34_233
; %bb.231:
	v_add_u32_e32 v83, 0xc0, v84
	s_mov_b32 s16, 12
	v_mov_b32_e32 v82, 11
.LBB34_232:                             ; =>This Inner Loop Header: Depth=1
	ds_read2_b64 v[88:91], v83 offset1:1
	s_waitcnt lgkmcnt(1)
	v_xor_b32_e32 v93, 0x80000000, v73
	v_xor_b32_e32 v95, 0x80000000, v75
	v_cmp_gt_f64_e32 vcc, 0, v[74:75]
	v_cmp_gt_f64_e64 s[0:1], 0, v[72:73]
	v_mov_b32_e32 v92, v72
	v_mov_b32_e32 v94, v74
	v_cndmask_b32_e64 v93, v73, v93, s[0:1]
	v_cndmask_b32_e32 v95, v75, v95, vcc
	v_add_f64 v[92:93], v[92:93], v[94:95]
	s_waitcnt lgkmcnt(0)
	v_xor_b32_e32 v95, 0x80000000, v89
	v_xor_b32_e32 v97, 0x80000000, v91
	v_cmp_gt_f64_e32 vcc, 0, v[90:91]
	v_cmp_gt_f64_e64 s[0:1], 0, v[88:89]
	v_mov_b32_e32 v94, v88
	v_mov_b32_e32 v96, v90
	v_cndmask_b32_e64 v95, v89, v95, s[0:1]
	v_cndmask_b32_e32 v97, v91, v97, vcc
	v_add_f64 v[94:95], v[94:95], v[96:97]
	v_mov_b32_e32 v98, s16
	s_add_i32 s16, s16, 1
	v_cmp_lt_f64_e32 vcc, v[92:93], v[94:95]
	v_add_u32_e32 v83, 16, v83
	s_cmp_lg_u32 s20, s16
	v_cndmask_b32_e32 v73, v73, v89, vcc
	v_cndmask_b32_e32 v72, v72, v88, vcc
	;; [unrolled: 1-line block ×5, first 2 shown]
	s_cbranch_scc1 .LBB34_232
.LBB34_233:
	s_waitcnt lgkmcnt(0)
	v_cmp_eq_f64_e32 vcc, 0, v[72:73]
	v_cmp_eq_f64_e64 s[0:1], 0, v[74:75]
	s_and_b64 s[0:1], vcc, s[0:1]
	s_and_saveexec_b64 s[16:17], s[0:1]
	s_xor_b64 s[0:1], exec, s[16:17]
; %bb.234:
	v_cmp_ne_u32_e32 vcc, 0, v87
	s_nop 1
	v_cndmask_b32_e32 v87, 12, v87, vcc
; %bb.235:
	s_andn2_saveexec_b64 s[0:1], s[0:1]
	s_cbranch_execz .LBB34_241
; %bb.236:
	v_cmp_ngt_f64_e64 s[16:17], |v[72:73]|, |v[74:75]|
	s_and_saveexec_b64 s[18:19], s[16:17]
	s_xor_b64 s[16:17], exec, s[18:19]
	s_cbranch_execz .LBB34_238
; %bb.237:
	v_div_scale_f64 v[88:89], s[18:19], v[74:75], v[74:75], v[72:73]
	v_rcp_f64_e32 v[90:91], v[88:89]
	v_div_scale_f64 v[92:93], vcc, v[72:73], v[74:75], v[72:73]
	v_fma_f64 v[94:95], -v[88:89], v[90:91], 1.0
	v_fmac_f64_e32 v[90:91], v[90:91], v[94:95]
	v_fma_f64 v[94:95], -v[88:89], v[90:91], 1.0
	v_fmac_f64_e32 v[90:91], v[90:91], v[94:95]
	v_mul_f64 v[94:95], v[92:93], v[90:91]
	v_fma_f64 v[88:89], -v[88:89], v[94:95], v[92:93]
	v_div_fmas_f64 v[88:89], v[88:89], v[90:91], v[94:95]
	v_div_fixup_f64 v[88:89], v[88:89], v[74:75], v[72:73]
	v_fmac_f64_e32 v[74:75], v[72:73], v[88:89]
	v_div_scale_f64 v[72:73], s[18:19], v[74:75], v[74:75], 1.0
	v_rcp_f64_e32 v[90:91], v[72:73]
	s_nop 0
	v_fma_f64 v[92:93], -v[72:73], v[90:91], 1.0
	v_fmac_f64_e32 v[90:91], v[90:91], v[92:93]
	v_fma_f64 v[92:93], -v[72:73], v[90:91], 1.0
	v_fmac_f64_e32 v[90:91], v[90:91], v[92:93]
	v_div_scale_f64 v[92:93], vcc, 1.0, v[74:75], 1.0
	v_mul_f64 v[94:95], v[92:93], v[90:91]
	v_fma_f64 v[72:73], -v[72:73], v[94:95], v[92:93]
	s_nop 1
	v_div_fmas_f64 v[72:73], v[72:73], v[90:91], v[94:95]
	v_div_fixup_f64 v[74:75], v[72:73], v[74:75], 1.0
	v_mul_f64 v[72:73], v[88:89], v[74:75]
	v_xor_b32_e32 v75, 0x80000000, v75
.LBB34_238:
	s_andn2_saveexec_b64 s[16:17], s[16:17]
	s_cbranch_execz .LBB34_240
; %bb.239:
	v_div_scale_f64 v[88:89], s[18:19], v[72:73], v[72:73], v[74:75]
	v_rcp_f64_e32 v[90:91], v[88:89]
	v_div_scale_f64 v[92:93], vcc, v[74:75], v[72:73], v[74:75]
	v_fma_f64 v[94:95], -v[88:89], v[90:91], 1.0
	v_fmac_f64_e32 v[90:91], v[90:91], v[94:95]
	v_fma_f64 v[94:95], -v[88:89], v[90:91], 1.0
	v_fmac_f64_e32 v[90:91], v[90:91], v[94:95]
	v_mul_f64 v[94:95], v[92:93], v[90:91]
	v_fma_f64 v[88:89], -v[88:89], v[94:95], v[92:93]
	v_div_fmas_f64 v[88:89], v[88:89], v[90:91], v[94:95]
	v_div_fixup_f64 v[88:89], v[88:89], v[72:73], v[74:75]
	v_fmac_f64_e32 v[72:73], v[74:75], v[88:89]
	v_div_scale_f64 v[74:75], s[18:19], v[72:73], v[72:73], 1.0
	v_rcp_f64_e32 v[90:91], v[74:75]
	s_nop 0
	v_fma_f64 v[92:93], -v[74:75], v[90:91], 1.0
	v_fmac_f64_e32 v[90:91], v[90:91], v[92:93]
	v_fma_f64 v[92:93], -v[74:75], v[90:91], 1.0
	v_fmac_f64_e32 v[90:91], v[90:91], v[92:93]
	v_div_scale_f64 v[92:93], vcc, 1.0, v[72:73], 1.0
	v_mul_f64 v[94:95], v[92:93], v[90:91]
	v_fma_f64 v[74:75], -v[74:75], v[94:95], v[92:93]
	s_nop 1
	v_div_fmas_f64 v[74:75], v[74:75], v[90:91], v[94:95]
	v_div_fixup_f64 v[72:73], v[74:75], v[72:73], 1.0
	v_mul_f64 v[74:75], v[88:89], -v[72:73]
.LBB34_240:
	s_or_b64 exec, exec, s[16:17]
.LBB34_241:
	s_or_b64 exec, exec, s[0:1]
	v_cmp_ne_u32_e32 vcc, v85, v82
	s_and_saveexec_b64 s[0:1], vcc
	s_xor_b64 s[0:1], exec, s[0:1]
	s_cbranch_execz .LBB34_247
; %bb.242:
	v_cmp_eq_u32_e32 vcc, 11, v85
	s_and_saveexec_b64 s[16:17], vcc
	s_cbranch_execz .LBB34_246
; %bb.243:
	v_cmp_ne_u32_e32 vcc, 11, v82
	s_xor_b64 s[18:19], s[14:15], -1
	s_and_b64 s[22:23], s[18:19], vcc
	s_and_saveexec_b64 s[18:19], s[22:23]
	s_cbranch_execz .LBB34_245
; %bb.244:
	v_ashrrev_i32_e32 v83, 31, v82
	v_lshl_add_u64 v[88:89], v[82:83], 2, v[80:81]
	global_load_dword v83, v[88:89], off
	global_load_dword v85, v[80:81], off offset:44
	s_waitcnt vmcnt(1)
	global_store_dword v[80:81], v83, off offset:44
	s_waitcnt vmcnt(1)
	global_store_dword v[88:89], v85, off
.LBB34_245:
	s_or_b64 exec, exec, s[18:19]
	v_mov_b32_e32 v85, v82
	v_mov_b32_e32 v86, v82
.LBB34_246:
	s_or_b64 exec, exec, s[16:17]
.LBB34_247:
	s_andn2_saveexec_b64 s[0:1], s[0:1]
	s_cbranch_execz .LBB34_249
; %bb.248:
	v_mov_b32_e32 v85, 11
	s_waitcnt vmcnt(5)
	ds_write2_b64 v84, v[16:17], v[18:19] offset0:24 offset1:25
	s_waitcnt vmcnt(4)
	ds_write2_b64 v84, v[12:13], v[14:15] offset0:26 offset1:27
	;; [unrolled: 2-line block ×6, first 2 shown]
.LBB34_249:
	s_or_b64 exec, exec, s[0:1]
	v_cmp_lt_i32_e32 vcc, 11, v85
	s_waitcnt lgkmcnt(0)
	s_barrier
	s_and_saveexec_b64 s[0:1], vcc
	s_cbranch_execz .LBB34_251
; %bb.250:
	ds_read2_b64 v[88:91], v84 offset0:24 offset1:25
	v_mul_f64 v[82:83], v[72:73], v[22:23]
	v_mul_f64 v[22:23], v[74:75], v[22:23]
	v_fmac_f64_e32 v[82:83], v[74:75], v[20:21]
	v_fma_f64 v[20:21], v[72:73], v[20:21], -v[22:23]
	ds_read2_b64 v[72:75], v84 offset0:26 offset1:27
	s_waitcnt lgkmcnt(1)
	v_mul_f64 v[22:23], v[90:91], v[82:83]
	v_fma_f64 v[22:23], v[88:89], v[20:21], -v[22:23]
	v_mul_f64 v[88:89], v[88:89], v[82:83]
	v_fmac_f64_e32 v[88:89], v[90:91], v[20:21]
	s_waitcnt vmcnt(5)
	v_add_f64 v[16:17], v[16:17], -v[22:23]
	s_waitcnt lgkmcnt(0)
	v_mul_f64 v[22:23], v[74:75], v[82:83]
	v_add_f64 v[18:19], v[18:19], -v[88:89]
	v_fma_f64 v[22:23], v[72:73], v[20:21], -v[22:23]
	v_mul_f64 v[72:73], v[72:73], v[82:83]
	ds_read2_b64 v[88:91], v84 offset0:28 offset1:29
	v_fmac_f64_e32 v[72:73], v[74:75], v[20:21]
	s_waitcnt vmcnt(4)
	v_add_f64 v[14:15], v[14:15], -v[72:73]
	ds_read2_b64 v[72:75], v84 offset0:30 offset1:31
	v_add_f64 v[12:13], v[12:13], -v[22:23]
	s_waitcnt lgkmcnt(1)
	v_mul_f64 v[22:23], v[90:91], v[82:83]
	v_fma_f64 v[22:23], v[88:89], v[20:21], -v[22:23]
	v_mul_f64 v[88:89], v[88:89], v[82:83]
	v_fmac_f64_e32 v[88:89], v[90:91], v[20:21]
	s_waitcnt vmcnt(3)
	v_add_f64 v[8:9], v[8:9], -v[22:23]
	s_waitcnt lgkmcnt(0)
	v_mul_f64 v[22:23], v[74:75], v[82:83]
	v_add_f64 v[10:11], v[10:11], -v[88:89]
	v_fma_f64 v[22:23], v[72:73], v[20:21], -v[22:23]
	v_mul_f64 v[72:73], v[72:73], v[82:83]
	ds_read2_b64 v[88:91], v84 offset0:32 offset1:33
	v_fmac_f64_e32 v[72:73], v[74:75], v[20:21]
	s_waitcnt vmcnt(2)
	v_add_f64 v[6:7], v[6:7], -v[72:73]
	ds_read2_b64 v[72:75], v84 offset0:34 offset1:35
	v_add_f64 v[4:5], v[4:5], -v[22:23]
	s_waitcnt lgkmcnt(1)
	v_mul_f64 v[22:23], v[90:91], v[82:83]
	v_fma_f64 v[22:23], v[88:89], v[20:21], -v[22:23]
	s_waitcnt vmcnt(1)
	v_add_f64 v[0:1], v[0:1], -v[22:23]
	s_waitcnt lgkmcnt(0)
	v_mul_f64 v[22:23], v[74:75], v[82:83]
	v_mul_f64 v[88:89], v[88:89], v[82:83]
	v_fma_f64 v[22:23], v[72:73], v[20:21], -v[22:23]
	v_mul_f64 v[72:73], v[72:73], v[82:83]
	v_fmac_f64_e32 v[88:89], v[90:91], v[20:21]
	v_fmac_f64_e32 v[72:73], v[74:75], v[20:21]
	v_add_f64 v[2:3], v[2:3], -v[88:89]
	s_waitcnt vmcnt(0)
	v_add_f64 v[68:69], v[68:69], -v[22:23]
	v_add_f64 v[70:71], v[70:71], -v[72:73]
	v_mov_b64_e32 v[22:23], v[82:83]
.LBB34_251:
	s_or_b64 exec, exec, s[0:1]
	v_lshl_add_u32 v72, v85, 4, v84
	s_barrier
	s_waitcnt vmcnt(5)
	ds_write2_b64 v72, v[16:17], v[18:19] offset1:1
	s_waitcnt lgkmcnt(0)
	s_barrier
	ds_read2_b64 v[72:75], v84 offset0:24 offset1:25
	s_cmp_lt_i32 s20, 14
	v_mov_b32_e32 v82, 12
	s_cbranch_scc1 .LBB34_254
; %bb.252:
	v_add_u32_e32 v83, 0xd0, v84
	s_mov_b32 s16, 13
	v_mov_b32_e32 v82, 12
.LBB34_253:                             ; =>This Inner Loop Header: Depth=1
	ds_read2_b64 v[88:91], v83 offset1:1
	s_waitcnt lgkmcnt(1)
	v_xor_b32_e32 v93, 0x80000000, v73
	v_xor_b32_e32 v95, 0x80000000, v75
	v_cmp_gt_f64_e32 vcc, 0, v[74:75]
	v_cmp_gt_f64_e64 s[0:1], 0, v[72:73]
	v_mov_b32_e32 v92, v72
	v_mov_b32_e32 v94, v74
	v_cndmask_b32_e64 v93, v73, v93, s[0:1]
	v_cndmask_b32_e32 v95, v75, v95, vcc
	v_add_f64 v[92:93], v[92:93], v[94:95]
	s_waitcnt lgkmcnt(0)
	v_xor_b32_e32 v95, 0x80000000, v89
	v_xor_b32_e32 v97, 0x80000000, v91
	v_cmp_gt_f64_e32 vcc, 0, v[90:91]
	v_cmp_gt_f64_e64 s[0:1], 0, v[88:89]
	v_mov_b32_e32 v94, v88
	v_mov_b32_e32 v96, v90
	v_cndmask_b32_e64 v95, v89, v95, s[0:1]
	v_cndmask_b32_e32 v97, v91, v97, vcc
	v_add_f64 v[94:95], v[94:95], v[96:97]
	v_mov_b32_e32 v98, s16
	s_add_i32 s16, s16, 1
	v_cmp_lt_f64_e32 vcc, v[92:93], v[94:95]
	v_add_u32_e32 v83, 16, v83
	s_cmp_lg_u32 s20, s16
	v_cndmask_b32_e32 v73, v73, v89, vcc
	v_cndmask_b32_e32 v72, v72, v88, vcc
	;; [unrolled: 1-line block ×5, first 2 shown]
	s_cbranch_scc1 .LBB34_253
.LBB34_254:
	s_waitcnt lgkmcnt(0)
	v_cmp_eq_f64_e32 vcc, 0, v[72:73]
	v_cmp_eq_f64_e64 s[0:1], 0, v[74:75]
	s_and_b64 s[0:1], vcc, s[0:1]
	s_and_saveexec_b64 s[16:17], s[0:1]
	s_xor_b64 s[0:1], exec, s[16:17]
; %bb.255:
	v_cmp_ne_u32_e32 vcc, 0, v87
	s_nop 1
	v_cndmask_b32_e32 v87, 13, v87, vcc
; %bb.256:
	s_andn2_saveexec_b64 s[0:1], s[0:1]
	s_cbranch_execz .LBB34_262
; %bb.257:
	v_cmp_ngt_f64_e64 s[16:17], |v[72:73]|, |v[74:75]|
	s_and_saveexec_b64 s[18:19], s[16:17]
	s_xor_b64 s[16:17], exec, s[18:19]
	s_cbranch_execz .LBB34_259
; %bb.258:
	v_div_scale_f64 v[88:89], s[18:19], v[74:75], v[74:75], v[72:73]
	v_rcp_f64_e32 v[90:91], v[88:89]
	v_div_scale_f64 v[92:93], vcc, v[72:73], v[74:75], v[72:73]
	v_fma_f64 v[94:95], -v[88:89], v[90:91], 1.0
	v_fmac_f64_e32 v[90:91], v[90:91], v[94:95]
	v_fma_f64 v[94:95], -v[88:89], v[90:91], 1.0
	v_fmac_f64_e32 v[90:91], v[90:91], v[94:95]
	v_mul_f64 v[94:95], v[92:93], v[90:91]
	v_fma_f64 v[88:89], -v[88:89], v[94:95], v[92:93]
	v_div_fmas_f64 v[88:89], v[88:89], v[90:91], v[94:95]
	v_div_fixup_f64 v[88:89], v[88:89], v[74:75], v[72:73]
	v_fmac_f64_e32 v[74:75], v[72:73], v[88:89]
	v_div_scale_f64 v[72:73], s[18:19], v[74:75], v[74:75], 1.0
	v_rcp_f64_e32 v[90:91], v[72:73]
	s_nop 0
	v_fma_f64 v[92:93], -v[72:73], v[90:91], 1.0
	v_fmac_f64_e32 v[90:91], v[90:91], v[92:93]
	v_fma_f64 v[92:93], -v[72:73], v[90:91], 1.0
	v_fmac_f64_e32 v[90:91], v[90:91], v[92:93]
	v_div_scale_f64 v[92:93], vcc, 1.0, v[74:75], 1.0
	v_mul_f64 v[94:95], v[92:93], v[90:91]
	v_fma_f64 v[72:73], -v[72:73], v[94:95], v[92:93]
	s_nop 1
	v_div_fmas_f64 v[72:73], v[72:73], v[90:91], v[94:95]
	v_div_fixup_f64 v[74:75], v[72:73], v[74:75], 1.0
	v_mul_f64 v[72:73], v[88:89], v[74:75]
	v_xor_b32_e32 v75, 0x80000000, v75
.LBB34_259:
	s_andn2_saveexec_b64 s[16:17], s[16:17]
	s_cbranch_execz .LBB34_261
; %bb.260:
	v_div_scale_f64 v[88:89], s[18:19], v[72:73], v[72:73], v[74:75]
	v_rcp_f64_e32 v[90:91], v[88:89]
	v_div_scale_f64 v[92:93], vcc, v[74:75], v[72:73], v[74:75]
	v_fma_f64 v[94:95], -v[88:89], v[90:91], 1.0
	v_fmac_f64_e32 v[90:91], v[90:91], v[94:95]
	v_fma_f64 v[94:95], -v[88:89], v[90:91], 1.0
	v_fmac_f64_e32 v[90:91], v[90:91], v[94:95]
	v_mul_f64 v[94:95], v[92:93], v[90:91]
	v_fma_f64 v[88:89], -v[88:89], v[94:95], v[92:93]
	v_div_fmas_f64 v[88:89], v[88:89], v[90:91], v[94:95]
	v_div_fixup_f64 v[88:89], v[88:89], v[72:73], v[74:75]
	v_fmac_f64_e32 v[72:73], v[74:75], v[88:89]
	v_div_scale_f64 v[74:75], s[18:19], v[72:73], v[72:73], 1.0
	v_rcp_f64_e32 v[90:91], v[74:75]
	s_nop 0
	v_fma_f64 v[92:93], -v[74:75], v[90:91], 1.0
	v_fmac_f64_e32 v[90:91], v[90:91], v[92:93]
	v_fma_f64 v[92:93], -v[74:75], v[90:91], 1.0
	v_fmac_f64_e32 v[90:91], v[90:91], v[92:93]
	v_div_scale_f64 v[92:93], vcc, 1.0, v[72:73], 1.0
	v_mul_f64 v[94:95], v[92:93], v[90:91]
	v_fma_f64 v[74:75], -v[74:75], v[94:95], v[92:93]
	s_nop 1
	v_div_fmas_f64 v[74:75], v[74:75], v[90:91], v[94:95]
	v_div_fixup_f64 v[72:73], v[74:75], v[72:73], 1.0
	v_mul_f64 v[74:75], v[88:89], -v[72:73]
.LBB34_261:
	s_or_b64 exec, exec, s[16:17]
.LBB34_262:
	s_or_b64 exec, exec, s[0:1]
	v_cmp_ne_u32_e32 vcc, v85, v82
	s_and_saveexec_b64 s[0:1], vcc
	s_xor_b64 s[0:1], exec, s[0:1]
	s_cbranch_execz .LBB34_268
; %bb.263:
	v_cmp_eq_u32_e32 vcc, 12, v85
	s_and_saveexec_b64 s[16:17], vcc
	s_cbranch_execz .LBB34_267
; %bb.264:
	v_cmp_ne_u32_e32 vcc, 12, v82
	s_xor_b64 s[18:19], s[14:15], -1
	s_and_b64 s[22:23], s[18:19], vcc
	s_and_saveexec_b64 s[18:19], s[22:23]
	s_cbranch_execz .LBB34_266
; %bb.265:
	v_ashrrev_i32_e32 v83, 31, v82
	v_lshl_add_u64 v[88:89], v[82:83], 2, v[80:81]
	global_load_dword v83, v[88:89], off
	global_load_dword v85, v[80:81], off offset:48
	s_waitcnt vmcnt(1)
	global_store_dword v[80:81], v83, off offset:48
	s_waitcnt vmcnt(1)
	global_store_dword v[88:89], v85, off
.LBB34_266:
	s_or_b64 exec, exec, s[18:19]
	v_mov_b32_e32 v85, v82
	v_mov_b32_e32 v86, v82
.LBB34_267:
	s_or_b64 exec, exec, s[16:17]
.LBB34_268:
	s_andn2_saveexec_b64 s[0:1], s[0:1]
	s_cbranch_execz .LBB34_270
; %bb.269:
	v_mov_b32_e32 v85, 12
	s_waitcnt vmcnt(4)
	ds_write2_b64 v84, v[12:13], v[14:15] offset0:26 offset1:27
	s_waitcnt vmcnt(3)
	ds_write2_b64 v84, v[8:9], v[10:11] offset0:28 offset1:29
	;; [unrolled: 2-line block ×5, first 2 shown]
.LBB34_270:
	s_or_b64 exec, exec, s[0:1]
	v_cmp_lt_i32_e32 vcc, 12, v85
	s_waitcnt lgkmcnt(0)
	s_barrier
	s_and_saveexec_b64 s[0:1], vcc
	s_cbranch_execz .LBB34_272
; %bb.271:
	ds_read2_b64 v[88:91], v84 offset0:26 offset1:27
	v_mul_f64 v[82:83], v[72:73], v[18:19]
	v_fmac_f64_e32 v[82:83], v[74:75], v[16:17]
	v_mul_f64 v[18:19], v[74:75], v[18:19]
	v_fma_f64 v[16:17], v[72:73], v[16:17], -v[18:19]
	ds_read2_b64 v[72:75], v84 offset0:28 offset1:29
	s_waitcnt lgkmcnt(1)
	v_mul_f64 v[18:19], v[90:91], v[82:83]
	v_fma_f64 v[18:19], v[88:89], v[16:17], -v[18:19]
	v_mul_f64 v[88:89], v[88:89], v[82:83]
	v_fmac_f64_e32 v[88:89], v[90:91], v[16:17]
	s_waitcnt vmcnt(4)
	v_add_f64 v[14:15], v[14:15], -v[88:89]
	ds_read2_b64 v[88:91], v84 offset0:30 offset1:31
	v_add_f64 v[12:13], v[12:13], -v[18:19]
	s_waitcnt lgkmcnt(1)
	v_mul_f64 v[18:19], v[74:75], v[82:83]
	v_fma_f64 v[18:19], v[72:73], v[16:17], -v[18:19]
	v_mul_f64 v[72:73], v[72:73], v[82:83]
	v_fmac_f64_e32 v[72:73], v[74:75], v[16:17]
	s_waitcnt vmcnt(3)
	v_add_f64 v[8:9], v[8:9], -v[18:19]
	v_add_f64 v[10:11], v[10:11], -v[72:73]
	ds_read2_b64 v[72:75], v84 offset0:32 offset1:33
	s_waitcnt lgkmcnt(1)
	v_mul_f64 v[18:19], v[90:91], v[82:83]
	v_fma_f64 v[18:19], v[88:89], v[16:17], -v[18:19]
	v_mul_f64 v[88:89], v[88:89], v[82:83]
	v_fmac_f64_e32 v[88:89], v[90:91], v[16:17]
	s_waitcnt vmcnt(2)
	v_add_f64 v[6:7], v[6:7], -v[88:89]
	ds_read2_b64 v[88:91], v84 offset0:34 offset1:35
	v_add_f64 v[4:5], v[4:5], -v[18:19]
	s_waitcnt lgkmcnt(1)
	v_mul_f64 v[18:19], v[74:75], v[82:83]
	v_fma_f64 v[18:19], v[72:73], v[16:17], -v[18:19]
	v_mul_f64 v[72:73], v[72:73], v[82:83]
	v_fmac_f64_e32 v[72:73], v[74:75], v[16:17]
	s_waitcnt vmcnt(1)
	v_add_f64 v[0:1], v[0:1], -v[18:19]
	v_add_f64 v[2:3], v[2:3], -v[72:73]
	s_waitcnt lgkmcnt(0)
	v_mul_f64 v[18:19], v[90:91], v[82:83]
	v_mul_f64 v[72:73], v[88:89], v[82:83]
	v_fma_f64 v[18:19], v[88:89], v[16:17], -v[18:19]
	v_fmac_f64_e32 v[72:73], v[90:91], v[16:17]
	s_waitcnt vmcnt(0)
	v_add_f64 v[68:69], v[68:69], -v[18:19]
	v_add_f64 v[70:71], v[70:71], -v[72:73]
	v_mov_b64_e32 v[18:19], v[82:83]
.LBB34_272:
	s_or_b64 exec, exec, s[0:1]
	v_lshl_add_u32 v72, v85, 4, v84
	s_barrier
	s_waitcnt vmcnt(4)
	ds_write2_b64 v72, v[12:13], v[14:15] offset1:1
	s_waitcnt lgkmcnt(0)
	s_barrier
	ds_read2_b64 v[72:75], v84 offset0:26 offset1:27
	s_cmp_lt_i32 s20, 15
	v_mov_b32_e32 v82, 13
	s_cbranch_scc1 .LBB34_275
; %bb.273:
	v_add_u32_e32 v83, 0xe0, v84
	s_mov_b32 s16, 14
	v_mov_b32_e32 v82, 13
.LBB34_274:                             ; =>This Inner Loop Header: Depth=1
	ds_read2_b64 v[88:91], v83 offset1:1
	s_waitcnt lgkmcnt(1)
	v_xor_b32_e32 v93, 0x80000000, v73
	v_xor_b32_e32 v95, 0x80000000, v75
	v_cmp_gt_f64_e32 vcc, 0, v[74:75]
	v_cmp_gt_f64_e64 s[0:1], 0, v[72:73]
	v_mov_b32_e32 v92, v72
	v_mov_b32_e32 v94, v74
	v_cndmask_b32_e64 v93, v73, v93, s[0:1]
	v_cndmask_b32_e32 v95, v75, v95, vcc
	v_add_f64 v[92:93], v[92:93], v[94:95]
	s_waitcnt lgkmcnt(0)
	v_xor_b32_e32 v95, 0x80000000, v89
	v_xor_b32_e32 v97, 0x80000000, v91
	v_cmp_gt_f64_e32 vcc, 0, v[90:91]
	v_cmp_gt_f64_e64 s[0:1], 0, v[88:89]
	v_mov_b32_e32 v94, v88
	v_mov_b32_e32 v96, v90
	v_cndmask_b32_e64 v95, v89, v95, s[0:1]
	v_cndmask_b32_e32 v97, v91, v97, vcc
	v_add_f64 v[94:95], v[94:95], v[96:97]
	v_mov_b32_e32 v98, s16
	s_add_i32 s16, s16, 1
	v_cmp_lt_f64_e32 vcc, v[92:93], v[94:95]
	v_add_u32_e32 v83, 16, v83
	s_cmp_lg_u32 s20, s16
	v_cndmask_b32_e32 v73, v73, v89, vcc
	v_cndmask_b32_e32 v72, v72, v88, vcc
	;; [unrolled: 1-line block ×5, first 2 shown]
	s_cbranch_scc1 .LBB34_274
.LBB34_275:
	s_waitcnt lgkmcnt(0)
	v_cmp_eq_f64_e32 vcc, 0, v[72:73]
	v_cmp_eq_f64_e64 s[0:1], 0, v[74:75]
	s_and_b64 s[0:1], vcc, s[0:1]
	s_and_saveexec_b64 s[16:17], s[0:1]
	s_xor_b64 s[0:1], exec, s[16:17]
; %bb.276:
	v_cmp_ne_u32_e32 vcc, 0, v87
	s_nop 1
	v_cndmask_b32_e32 v87, 14, v87, vcc
; %bb.277:
	s_andn2_saveexec_b64 s[0:1], s[0:1]
	s_cbranch_execz .LBB34_283
; %bb.278:
	v_cmp_ngt_f64_e64 s[16:17], |v[72:73]|, |v[74:75]|
	s_and_saveexec_b64 s[18:19], s[16:17]
	s_xor_b64 s[16:17], exec, s[18:19]
	s_cbranch_execz .LBB34_280
; %bb.279:
	v_div_scale_f64 v[88:89], s[18:19], v[74:75], v[74:75], v[72:73]
	v_rcp_f64_e32 v[90:91], v[88:89]
	v_div_scale_f64 v[92:93], vcc, v[72:73], v[74:75], v[72:73]
	v_fma_f64 v[94:95], -v[88:89], v[90:91], 1.0
	v_fmac_f64_e32 v[90:91], v[90:91], v[94:95]
	v_fma_f64 v[94:95], -v[88:89], v[90:91], 1.0
	v_fmac_f64_e32 v[90:91], v[90:91], v[94:95]
	v_mul_f64 v[94:95], v[92:93], v[90:91]
	v_fma_f64 v[88:89], -v[88:89], v[94:95], v[92:93]
	v_div_fmas_f64 v[88:89], v[88:89], v[90:91], v[94:95]
	v_div_fixup_f64 v[88:89], v[88:89], v[74:75], v[72:73]
	v_fmac_f64_e32 v[74:75], v[72:73], v[88:89]
	v_div_scale_f64 v[72:73], s[18:19], v[74:75], v[74:75], 1.0
	v_rcp_f64_e32 v[90:91], v[72:73]
	s_nop 0
	v_fma_f64 v[92:93], -v[72:73], v[90:91], 1.0
	v_fmac_f64_e32 v[90:91], v[90:91], v[92:93]
	v_fma_f64 v[92:93], -v[72:73], v[90:91], 1.0
	v_fmac_f64_e32 v[90:91], v[90:91], v[92:93]
	v_div_scale_f64 v[92:93], vcc, 1.0, v[74:75], 1.0
	v_mul_f64 v[94:95], v[92:93], v[90:91]
	v_fma_f64 v[72:73], -v[72:73], v[94:95], v[92:93]
	s_nop 1
	v_div_fmas_f64 v[72:73], v[72:73], v[90:91], v[94:95]
	v_div_fixup_f64 v[74:75], v[72:73], v[74:75], 1.0
	v_mul_f64 v[72:73], v[88:89], v[74:75]
	v_xor_b32_e32 v75, 0x80000000, v75
.LBB34_280:
	s_andn2_saveexec_b64 s[16:17], s[16:17]
	s_cbranch_execz .LBB34_282
; %bb.281:
	v_div_scale_f64 v[88:89], s[18:19], v[72:73], v[72:73], v[74:75]
	v_rcp_f64_e32 v[90:91], v[88:89]
	v_div_scale_f64 v[92:93], vcc, v[74:75], v[72:73], v[74:75]
	v_fma_f64 v[94:95], -v[88:89], v[90:91], 1.0
	v_fmac_f64_e32 v[90:91], v[90:91], v[94:95]
	v_fma_f64 v[94:95], -v[88:89], v[90:91], 1.0
	v_fmac_f64_e32 v[90:91], v[90:91], v[94:95]
	v_mul_f64 v[94:95], v[92:93], v[90:91]
	v_fma_f64 v[88:89], -v[88:89], v[94:95], v[92:93]
	v_div_fmas_f64 v[88:89], v[88:89], v[90:91], v[94:95]
	v_div_fixup_f64 v[88:89], v[88:89], v[72:73], v[74:75]
	v_fmac_f64_e32 v[72:73], v[74:75], v[88:89]
	v_div_scale_f64 v[74:75], s[18:19], v[72:73], v[72:73], 1.0
	v_rcp_f64_e32 v[90:91], v[74:75]
	s_nop 0
	v_fma_f64 v[92:93], -v[74:75], v[90:91], 1.0
	v_fmac_f64_e32 v[90:91], v[90:91], v[92:93]
	v_fma_f64 v[92:93], -v[74:75], v[90:91], 1.0
	v_fmac_f64_e32 v[90:91], v[90:91], v[92:93]
	v_div_scale_f64 v[92:93], vcc, 1.0, v[72:73], 1.0
	v_mul_f64 v[94:95], v[92:93], v[90:91]
	v_fma_f64 v[74:75], -v[74:75], v[94:95], v[92:93]
	s_nop 1
	v_div_fmas_f64 v[74:75], v[74:75], v[90:91], v[94:95]
	v_div_fixup_f64 v[72:73], v[74:75], v[72:73], 1.0
	v_mul_f64 v[74:75], v[88:89], -v[72:73]
.LBB34_282:
	s_or_b64 exec, exec, s[16:17]
.LBB34_283:
	s_or_b64 exec, exec, s[0:1]
	v_cmp_ne_u32_e32 vcc, v85, v82
	s_and_saveexec_b64 s[0:1], vcc
	s_xor_b64 s[0:1], exec, s[0:1]
	s_cbranch_execz .LBB34_289
; %bb.284:
	v_cmp_eq_u32_e32 vcc, 13, v85
	s_and_saveexec_b64 s[16:17], vcc
	s_cbranch_execz .LBB34_288
; %bb.285:
	v_cmp_ne_u32_e32 vcc, 13, v82
	s_xor_b64 s[18:19], s[14:15], -1
	s_and_b64 s[22:23], s[18:19], vcc
	s_and_saveexec_b64 s[18:19], s[22:23]
	s_cbranch_execz .LBB34_287
; %bb.286:
	v_ashrrev_i32_e32 v83, 31, v82
	v_lshl_add_u64 v[88:89], v[82:83], 2, v[80:81]
	global_load_dword v83, v[88:89], off
	global_load_dword v85, v[80:81], off offset:52
	s_waitcnt vmcnt(1)
	global_store_dword v[80:81], v83, off offset:52
	s_waitcnt vmcnt(1)
	global_store_dword v[88:89], v85, off
.LBB34_287:
	s_or_b64 exec, exec, s[18:19]
	v_mov_b32_e32 v85, v82
	v_mov_b32_e32 v86, v82
.LBB34_288:
	s_or_b64 exec, exec, s[16:17]
.LBB34_289:
	s_andn2_saveexec_b64 s[0:1], s[0:1]
	s_cbranch_execz .LBB34_291
; %bb.290:
	v_mov_b32_e32 v85, 13
	s_waitcnt vmcnt(3)
	ds_write2_b64 v84, v[8:9], v[10:11] offset0:28 offset1:29
	s_waitcnt vmcnt(2)
	ds_write2_b64 v84, v[4:5], v[6:7] offset0:30 offset1:31
	;; [unrolled: 2-line block ×4, first 2 shown]
.LBB34_291:
	s_or_b64 exec, exec, s[0:1]
	v_cmp_lt_i32_e32 vcc, 13, v85
	s_waitcnt lgkmcnt(0)
	s_barrier
	s_and_saveexec_b64 s[0:1], vcc
	s_cbranch_execz .LBB34_293
; %bb.292:
	ds_read2_b64 v[88:91], v84 offset0:28 offset1:29
	v_mul_f64 v[82:83], v[72:73], v[14:15]
	v_mul_f64 v[14:15], v[74:75], v[14:15]
	v_fmac_f64_e32 v[82:83], v[74:75], v[12:13]
	v_fma_f64 v[12:13], v[72:73], v[12:13], -v[14:15]
	ds_read2_b64 v[72:75], v84 offset0:30 offset1:31
	s_waitcnt lgkmcnt(1)
	v_mul_f64 v[14:15], v[90:91], v[82:83]
	v_fma_f64 v[14:15], v[88:89], v[12:13], -v[14:15]
	v_mul_f64 v[88:89], v[88:89], v[82:83]
	v_fmac_f64_e32 v[88:89], v[90:91], v[12:13]
	s_waitcnt vmcnt(3)
	v_add_f64 v[8:9], v[8:9], -v[14:15]
	s_waitcnt lgkmcnt(0)
	v_mul_f64 v[14:15], v[74:75], v[82:83]
	v_add_f64 v[10:11], v[10:11], -v[88:89]
	v_fma_f64 v[14:15], v[72:73], v[12:13], -v[14:15]
	v_mul_f64 v[72:73], v[72:73], v[82:83]
	ds_read2_b64 v[88:91], v84 offset0:32 offset1:33
	v_fmac_f64_e32 v[72:73], v[74:75], v[12:13]
	s_waitcnt vmcnt(2)
	v_add_f64 v[6:7], v[6:7], -v[72:73]
	ds_read2_b64 v[72:75], v84 offset0:34 offset1:35
	v_add_f64 v[4:5], v[4:5], -v[14:15]
	s_waitcnt lgkmcnt(1)
	v_mul_f64 v[14:15], v[90:91], v[82:83]
	v_fma_f64 v[14:15], v[88:89], v[12:13], -v[14:15]
	s_waitcnt vmcnt(1)
	v_add_f64 v[0:1], v[0:1], -v[14:15]
	s_waitcnt lgkmcnt(0)
	v_mul_f64 v[14:15], v[74:75], v[82:83]
	v_mul_f64 v[88:89], v[88:89], v[82:83]
	v_fma_f64 v[14:15], v[72:73], v[12:13], -v[14:15]
	v_mul_f64 v[72:73], v[72:73], v[82:83]
	v_fmac_f64_e32 v[88:89], v[90:91], v[12:13]
	v_fmac_f64_e32 v[72:73], v[74:75], v[12:13]
	v_add_f64 v[2:3], v[2:3], -v[88:89]
	s_waitcnt vmcnt(0)
	v_add_f64 v[68:69], v[68:69], -v[14:15]
	v_add_f64 v[70:71], v[70:71], -v[72:73]
	v_mov_b64_e32 v[14:15], v[82:83]
.LBB34_293:
	s_or_b64 exec, exec, s[0:1]
	v_lshl_add_u32 v72, v85, 4, v84
	s_barrier
	s_waitcnt vmcnt(3)
	ds_write2_b64 v72, v[8:9], v[10:11] offset1:1
	s_waitcnt lgkmcnt(0)
	s_barrier
	ds_read2_b64 v[72:75], v84 offset0:28 offset1:29
	s_cmp_lt_i32 s20, 16
	v_mov_b32_e32 v82, 14
	s_cbranch_scc1 .LBB34_296
; %bb.294:
	v_add_u32_e32 v83, 0xf0, v84
	s_mov_b32 s16, 15
	v_mov_b32_e32 v82, 14
.LBB34_295:                             ; =>This Inner Loop Header: Depth=1
	ds_read2_b64 v[88:91], v83 offset1:1
	s_waitcnt lgkmcnt(1)
	v_xor_b32_e32 v93, 0x80000000, v73
	v_xor_b32_e32 v95, 0x80000000, v75
	v_cmp_gt_f64_e32 vcc, 0, v[74:75]
	v_cmp_gt_f64_e64 s[0:1], 0, v[72:73]
	v_mov_b32_e32 v92, v72
	v_mov_b32_e32 v94, v74
	v_cndmask_b32_e64 v93, v73, v93, s[0:1]
	v_cndmask_b32_e32 v95, v75, v95, vcc
	v_add_f64 v[92:93], v[92:93], v[94:95]
	s_waitcnt lgkmcnt(0)
	v_xor_b32_e32 v95, 0x80000000, v89
	v_xor_b32_e32 v97, 0x80000000, v91
	v_cmp_gt_f64_e32 vcc, 0, v[90:91]
	v_cmp_gt_f64_e64 s[0:1], 0, v[88:89]
	v_mov_b32_e32 v94, v88
	v_mov_b32_e32 v96, v90
	v_cndmask_b32_e64 v95, v89, v95, s[0:1]
	v_cndmask_b32_e32 v97, v91, v97, vcc
	v_add_f64 v[94:95], v[94:95], v[96:97]
	v_mov_b32_e32 v98, s16
	s_add_i32 s16, s16, 1
	v_cmp_lt_f64_e32 vcc, v[92:93], v[94:95]
	v_add_u32_e32 v83, 16, v83
	s_cmp_lg_u32 s20, s16
	v_cndmask_b32_e32 v73, v73, v89, vcc
	v_cndmask_b32_e32 v72, v72, v88, vcc
	;; [unrolled: 1-line block ×5, first 2 shown]
	s_cbranch_scc1 .LBB34_295
.LBB34_296:
	s_waitcnt lgkmcnt(0)
	v_cmp_eq_f64_e32 vcc, 0, v[72:73]
	v_cmp_eq_f64_e64 s[0:1], 0, v[74:75]
	s_and_b64 s[0:1], vcc, s[0:1]
	s_and_saveexec_b64 s[16:17], s[0:1]
	s_xor_b64 s[0:1], exec, s[16:17]
; %bb.297:
	v_cmp_ne_u32_e32 vcc, 0, v87
	s_nop 1
	v_cndmask_b32_e32 v87, 15, v87, vcc
; %bb.298:
	s_andn2_saveexec_b64 s[0:1], s[0:1]
	s_cbranch_execz .LBB34_304
; %bb.299:
	v_cmp_ngt_f64_e64 s[16:17], |v[72:73]|, |v[74:75]|
	s_and_saveexec_b64 s[18:19], s[16:17]
	s_xor_b64 s[16:17], exec, s[18:19]
	s_cbranch_execz .LBB34_301
; %bb.300:
	v_div_scale_f64 v[88:89], s[18:19], v[74:75], v[74:75], v[72:73]
	v_rcp_f64_e32 v[90:91], v[88:89]
	v_div_scale_f64 v[92:93], vcc, v[72:73], v[74:75], v[72:73]
	v_fma_f64 v[94:95], -v[88:89], v[90:91], 1.0
	v_fmac_f64_e32 v[90:91], v[90:91], v[94:95]
	v_fma_f64 v[94:95], -v[88:89], v[90:91], 1.0
	v_fmac_f64_e32 v[90:91], v[90:91], v[94:95]
	v_mul_f64 v[94:95], v[92:93], v[90:91]
	v_fma_f64 v[88:89], -v[88:89], v[94:95], v[92:93]
	v_div_fmas_f64 v[88:89], v[88:89], v[90:91], v[94:95]
	v_div_fixup_f64 v[88:89], v[88:89], v[74:75], v[72:73]
	v_fmac_f64_e32 v[74:75], v[72:73], v[88:89]
	v_div_scale_f64 v[72:73], s[18:19], v[74:75], v[74:75], 1.0
	v_rcp_f64_e32 v[90:91], v[72:73]
	s_nop 0
	v_fma_f64 v[92:93], -v[72:73], v[90:91], 1.0
	v_fmac_f64_e32 v[90:91], v[90:91], v[92:93]
	v_fma_f64 v[92:93], -v[72:73], v[90:91], 1.0
	v_fmac_f64_e32 v[90:91], v[90:91], v[92:93]
	v_div_scale_f64 v[92:93], vcc, 1.0, v[74:75], 1.0
	v_mul_f64 v[94:95], v[92:93], v[90:91]
	v_fma_f64 v[72:73], -v[72:73], v[94:95], v[92:93]
	s_nop 1
	v_div_fmas_f64 v[72:73], v[72:73], v[90:91], v[94:95]
	v_div_fixup_f64 v[74:75], v[72:73], v[74:75], 1.0
	v_mul_f64 v[72:73], v[88:89], v[74:75]
	v_xor_b32_e32 v75, 0x80000000, v75
.LBB34_301:
	s_andn2_saveexec_b64 s[16:17], s[16:17]
	s_cbranch_execz .LBB34_303
; %bb.302:
	v_div_scale_f64 v[88:89], s[18:19], v[72:73], v[72:73], v[74:75]
	v_rcp_f64_e32 v[90:91], v[88:89]
	v_div_scale_f64 v[92:93], vcc, v[74:75], v[72:73], v[74:75]
	v_fma_f64 v[94:95], -v[88:89], v[90:91], 1.0
	v_fmac_f64_e32 v[90:91], v[90:91], v[94:95]
	v_fma_f64 v[94:95], -v[88:89], v[90:91], 1.0
	v_fmac_f64_e32 v[90:91], v[90:91], v[94:95]
	v_mul_f64 v[94:95], v[92:93], v[90:91]
	v_fma_f64 v[88:89], -v[88:89], v[94:95], v[92:93]
	v_div_fmas_f64 v[88:89], v[88:89], v[90:91], v[94:95]
	v_div_fixup_f64 v[88:89], v[88:89], v[72:73], v[74:75]
	v_fmac_f64_e32 v[72:73], v[74:75], v[88:89]
	v_div_scale_f64 v[74:75], s[18:19], v[72:73], v[72:73], 1.0
	v_rcp_f64_e32 v[90:91], v[74:75]
	s_nop 0
	v_fma_f64 v[92:93], -v[74:75], v[90:91], 1.0
	v_fmac_f64_e32 v[90:91], v[90:91], v[92:93]
	v_fma_f64 v[92:93], -v[74:75], v[90:91], 1.0
	v_fmac_f64_e32 v[90:91], v[90:91], v[92:93]
	v_div_scale_f64 v[92:93], vcc, 1.0, v[72:73], 1.0
	v_mul_f64 v[94:95], v[92:93], v[90:91]
	v_fma_f64 v[74:75], -v[74:75], v[94:95], v[92:93]
	s_nop 1
	v_div_fmas_f64 v[74:75], v[74:75], v[90:91], v[94:95]
	v_div_fixup_f64 v[72:73], v[74:75], v[72:73], 1.0
	v_mul_f64 v[74:75], v[88:89], -v[72:73]
.LBB34_303:
	s_or_b64 exec, exec, s[16:17]
.LBB34_304:
	s_or_b64 exec, exec, s[0:1]
	v_cmp_ne_u32_e32 vcc, v85, v82
	s_and_saveexec_b64 s[0:1], vcc
	s_xor_b64 s[0:1], exec, s[0:1]
	s_cbranch_execz .LBB34_310
; %bb.305:
	v_cmp_eq_u32_e32 vcc, 14, v85
	s_and_saveexec_b64 s[16:17], vcc
	s_cbranch_execz .LBB34_309
; %bb.306:
	v_cmp_ne_u32_e32 vcc, 14, v82
	s_xor_b64 s[18:19], s[14:15], -1
	s_and_b64 s[22:23], s[18:19], vcc
	s_and_saveexec_b64 s[18:19], s[22:23]
	s_cbranch_execz .LBB34_308
; %bb.307:
	v_ashrrev_i32_e32 v83, 31, v82
	v_lshl_add_u64 v[88:89], v[82:83], 2, v[80:81]
	global_load_dword v83, v[88:89], off
	global_load_dword v85, v[80:81], off offset:56
	s_waitcnt vmcnt(1)
	global_store_dword v[80:81], v83, off offset:56
	s_waitcnt vmcnt(1)
	global_store_dword v[88:89], v85, off
.LBB34_308:
	s_or_b64 exec, exec, s[18:19]
	v_mov_b32_e32 v85, v82
	v_mov_b32_e32 v86, v82
.LBB34_309:
	s_or_b64 exec, exec, s[16:17]
.LBB34_310:
	s_andn2_saveexec_b64 s[0:1], s[0:1]
	s_cbranch_execz .LBB34_312
; %bb.311:
	v_mov_b32_e32 v85, 14
	s_waitcnt vmcnt(2)
	ds_write2_b64 v84, v[4:5], v[6:7] offset0:30 offset1:31
	s_waitcnt vmcnt(1)
	ds_write2_b64 v84, v[0:1], v[2:3] offset0:32 offset1:33
	;; [unrolled: 2-line block ×3, first 2 shown]
.LBB34_312:
	s_or_b64 exec, exec, s[0:1]
	v_cmp_lt_i32_e32 vcc, 14, v85
	s_waitcnt lgkmcnt(0)
	s_barrier
	s_and_saveexec_b64 s[0:1], vcc
	s_cbranch_execz .LBB34_314
; %bb.313:
	ds_read2_b64 v[88:91], v84 offset0:30 offset1:31
	v_mul_f64 v[82:83], v[72:73], v[10:11]
	v_fmac_f64_e32 v[82:83], v[74:75], v[8:9]
	v_mul_f64 v[10:11], v[74:75], v[10:11]
	v_fma_f64 v[8:9], v[72:73], v[8:9], -v[10:11]
	ds_read2_b64 v[72:75], v84 offset0:32 offset1:33
	s_waitcnt lgkmcnt(1)
	v_mul_f64 v[10:11], v[90:91], v[82:83]
	v_fma_f64 v[10:11], v[88:89], v[8:9], -v[10:11]
	v_mul_f64 v[88:89], v[88:89], v[82:83]
	v_fmac_f64_e32 v[88:89], v[90:91], v[8:9]
	s_waitcnt vmcnt(2)
	v_add_f64 v[6:7], v[6:7], -v[88:89]
	ds_read2_b64 v[88:91], v84 offset0:34 offset1:35
	v_add_f64 v[4:5], v[4:5], -v[10:11]
	s_waitcnt lgkmcnt(1)
	v_mul_f64 v[10:11], v[74:75], v[82:83]
	v_fma_f64 v[10:11], v[72:73], v[8:9], -v[10:11]
	v_mul_f64 v[72:73], v[72:73], v[82:83]
	v_fmac_f64_e32 v[72:73], v[74:75], v[8:9]
	s_waitcnt vmcnt(1)
	v_add_f64 v[0:1], v[0:1], -v[10:11]
	v_add_f64 v[2:3], v[2:3], -v[72:73]
	s_waitcnt lgkmcnt(0)
	v_mul_f64 v[10:11], v[90:91], v[82:83]
	v_mul_f64 v[72:73], v[88:89], v[82:83]
	v_fma_f64 v[10:11], v[88:89], v[8:9], -v[10:11]
	v_fmac_f64_e32 v[72:73], v[90:91], v[8:9]
	s_waitcnt vmcnt(0)
	v_add_f64 v[68:69], v[68:69], -v[10:11]
	v_add_f64 v[70:71], v[70:71], -v[72:73]
	v_mov_b64_e32 v[10:11], v[82:83]
.LBB34_314:
	s_or_b64 exec, exec, s[0:1]
	v_lshl_add_u32 v72, v85, 4, v84
	s_barrier
	s_waitcnt vmcnt(2)
	ds_write2_b64 v72, v[4:5], v[6:7] offset1:1
	s_waitcnt lgkmcnt(0)
	s_barrier
	ds_read2_b64 v[72:75], v84 offset0:30 offset1:31
	s_cmp_lt_i32 s20, 17
	v_mov_b32_e32 v82, 15
	s_cbranch_scc1 .LBB34_317
; %bb.315:
	v_add_u32_e32 v83, 0x100, v84
	s_mov_b32 s16, 16
	v_mov_b32_e32 v82, 15
.LBB34_316:                             ; =>This Inner Loop Header: Depth=1
	ds_read2_b64 v[88:91], v83 offset1:1
	s_waitcnt lgkmcnt(1)
	v_xor_b32_e32 v93, 0x80000000, v73
	v_xor_b32_e32 v95, 0x80000000, v75
	v_cmp_gt_f64_e32 vcc, 0, v[74:75]
	v_cmp_gt_f64_e64 s[0:1], 0, v[72:73]
	v_mov_b32_e32 v92, v72
	v_mov_b32_e32 v94, v74
	v_cndmask_b32_e64 v93, v73, v93, s[0:1]
	v_cndmask_b32_e32 v95, v75, v95, vcc
	v_add_f64 v[92:93], v[92:93], v[94:95]
	s_waitcnt lgkmcnt(0)
	v_xor_b32_e32 v95, 0x80000000, v89
	v_xor_b32_e32 v97, 0x80000000, v91
	v_cmp_gt_f64_e32 vcc, 0, v[90:91]
	v_cmp_gt_f64_e64 s[0:1], 0, v[88:89]
	v_mov_b32_e32 v94, v88
	v_mov_b32_e32 v96, v90
	v_cndmask_b32_e64 v95, v89, v95, s[0:1]
	v_cndmask_b32_e32 v97, v91, v97, vcc
	v_add_f64 v[94:95], v[94:95], v[96:97]
	v_mov_b32_e32 v98, s16
	s_add_i32 s16, s16, 1
	v_cmp_lt_f64_e32 vcc, v[92:93], v[94:95]
	v_add_u32_e32 v83, 16, v83
	s_cmp_lg_u32 s20, s16
	v_cndmask_b32_e32 v73, v73, v89, vcc
	v_cndmask_b32_e32 v72, v72, v88, vcc
	;; [unrolled: 1-line block ×5, first 2 shown]
	s_cbranch_scc1 .LBB34_316
.LBB34_317:
	s_waitcnt lgkmcnt(0)
	v_cmp_eq_f64_e32 vcc, 0, v[72:73]
	v_cmp_eq_f64_e64 s[0:1], 0, v[74:75]
	s_and_b64 s[0:1], vcc, s[0:1]
	s_and_saveexec_b64 s[16:17], s[0:1]
	s_xor_b64 s[0:1], exec, s[16:17]
; %bb.318:
	v_cmp_ne_u32_e32 vcc, 0, v87
	s_nop 1
	v_cndmask_b32_e32 v87, 16, v87, vcc
; %bb.319:
	s_andn2_saveexec_b64 s[0:1], s[0:1]
	s_cbranch_execz .LBB34_325
; %bb.320:
	v_cmp_ngt_f64_e64 s[16:17], |v[72:73]|, |v[74:75]|
	s_and_saveexec_b64 s[18:19], s[16:17]
	s_xor_b64 s[16:17], exec, s[18:19]
	s_cbranch_execz .LBB34_322
; %bb.321:
	v_div_scale_f64 v[88:89], s[18:19], v[74:75], v[74:75], v[72:73]
	v_rcp_f64_e32 v[90:91], v[88:89]
	v_div_scale_f64 v[92:93], vcc, v[72:73], v[74:75], v[72:73]
	v_fma_f64 v[94:95], -v[88:89], v[90:91], 1.0
	v_fmac_f64_e32 v[90:91], v[90:91], v[94:95]
	v_fma_f64 v[94:95], -v[88:89], v[90:91], 1.0
	v_fmac_f64_e32 v[90:91], v[90:91], v[94:95]
	v_mul_f64 v[94:95], v[92:93], v[90:91]
	v_fma_f64 v[88:89], -v[88:89], v[94:95], v[92:93]
	v_div_fmas_f64 v[88:89], v[88:89], v[90:91], v[94:95]
	v_div_fixup_f64 v[88:89], v[88:89], v[74:75], v[72:73]
	v_fmac_f64_e32 v[74:75], v[72:73], v[88:89]
	v_div_scale_f64 v[72:73], s[18:19], v[74:75], v[74:75], 1.0
	v_rcp_f64_e32 v[90:91], v[72:73]
	s_nop 0
	v_fma_f64 v[92:93], -v[72:73], v[90:91], 1.0
	v_fmac_f64_e32 v[90:91], v[90:91], v[92:93]
	v_fma_f64 v[92:93], -v[72:73], v[90:91], 1.0
	v_fmac_f64_e32 v[90:91], v[90:91], v[92:93]
	v_div_scale_f64 v[92:93], vcc, 1.0, v[74:75], 1.0
	v_mul_f64 v[94:95], v[92:93], v[90:91]
	v_fma_f64 v[72:73], -v[72:73], v[94:95], v[92:93]
	s_nop 1
	v_div_fmas_f64 v[72:73], v[72:73], v[90:91], v[94:95]
	v_div_fixup_f64 v[74:75], v[72:73], v[74:75], 1.0
	v_mul_f64 v[72:73], v[88:89], v[74:75]
	v_xor_b32_e32 v75, 0x80000000, v75
.LBB34_322:
	s_andn2_saveexec_b64 s[16:17], s[16:17]
	s_cbranch_execz .LBB34_324
; %bb.323:
	v_div_scale_f64 v[88:89], s[18:19], v[72:73], v[72:73], v[74:75]
	v_rcp_f64_e32 v[90:91], v[88:89]
	v_div_scale_f64 v[92:93], vcc, v[74:75], v[72:73], v[74:75]
	v_fma_f64 v[94:95], -v[88:89], v[90:91], 1.0
	v_fmac_f64_e32 v[90:91], v[90:91], v[94:95]
	v_fma_f64 v[94:95], -v[88:89], v[90:91], 1.0
	v_fmac_f64_e32 v[90:91], v[90:91], v[94:95]
	v_mul_f64 v[94:95], v[92:93], v[90:91]
	v_fma_f64 v[88:89], -v[88:89], v[94:95], v[92:93]
	v_div_fmas_f64 v[88:89], v[88:89], v[90:91], v[94:95]
	v_div_fixup_f64 v[88:89], v[88:89], v[72:73], v[74:75]
	v_fmac_f64_e32 v[72:73], v[74:75], v[88:89]
	v_div_scale_f64 v[74:75], s[18:19], v[72:73], v[72:73], 1.0
	v_rcp_f64_e32 v[90:91], v[74:75]
	s_nop 0
	v_fma_f64 v[92:93], -v[74:75], v[90:91], 1.0
	v_fmac_f64_e32 v[90:91], v[90:91], v[92:93]
	v_fma_f64 v[92:93], -v[74:75], v[90:91], 1.0
	v_fmac_f64_e32 v[90:91], v[90:91], v[92:93]
	v_div_scale_f64 v[92:93], vcc, 1.0, v[72:73], 1.0
	v_mul_f64 v[94:95], v[92:93], v[90:91]
	v_fma_f64 v[74:75], -v[74:75], v[94:95], v[92:93]
	s_nop 1
	v_div_fmas_f64 v[74:75], v[74:75], v[90:91], v[94:95]
	v_div_fixup_f64 v[72:73], v[74:75], v[72:73], 1.0
	v_mul_f64 v[74:75], v[88:89], -v[72:73]
.LBB34_324:
	s_or_b64 exec, exec, s[16:17]
.LBB34_325:
	s_or_b64 exec, exec, s[0:1]
	v_cmp_ne_u32_e32 vcc, v85, v82
	s_and_saveexec_b64 s[0:1], vcc
	s_xor_b64 s[0:1], exec, s[0:1]
	s_cbranch_execz .LBB34_331
; %bb.326:
	v_cmp_eq_u32_e32 vcc, 15, v85
	s_and_saveexec_b64 s[16:17], vcc
	s_cbranch_execz .LBB34_330
; %bb.327:
	v_cmp_ne_u32_e32 vcc, 15, v82
	s_xor_b64 s[18:19], s[14:15], -1
	s_and_b64 s[22:23], s[18:19], vcc
	s_and_saveexec_b64 s[18:19], s[22:23]
	s_cbranch_execz .LBB34_329
; %bb.328:
	v_ashrrev_i32_e32 v83, 31, v82
	v_lshl_add_u64 v[88:89], v[82:83], 2, v[80:81]
	global_load_dword v83, v[88:89], off
	global_load_dword v85, v[80:81], off offset:60
	s_waitcnt vmcnt(1)
	global_store_dword v[80:81], v83, off offset:60
	s_waitcnt vmcnt(1)
	global_store_dword v[88:89], v85, off
.LBB34_329:
	s_or_b64 exec, exec, s[18:19]
	v_mov_b32_e32 v85, v82
	v_mov_b32_e32 v86, v82
.LBB34_330:
	s_or_b64 exec, exec, s[16:17]
.LBB34_331:
	s_andn2_saveexec_b64 s[0:1], s[0:1]
	s_cbranch_execz .LBB34_333
; %bb.332:
	v_mov_b32_e32 v85, 15
	s_waitcnt vmcnt(1)
	ds_write2_b64 v84, v[0:1], v[2:3] offset0:32 offset1:33
	s_waitcnt vmcnt(0)
	ds_write2_b64 v84, v[68:69], v[70:71] offset0:34 offset1:35
.LBB34_333:
	s_or_b64 exec, exec, s[0:1]
	v_cmp_lt_i32_e32 vcc, 15, v85
	s_waitcnt lgkmcnt(0)
	s_barrier
	s_and_saveexec_b64 s[0:1], vcc
	s_cbranch_execz .LBB34_335
; %bb.334:
	ds_read2_b64 v[88:91], v84 offset0:32 offset1:33
	v_mul_f64 v[82:83], v[72:73], v[6:7]
	v_mul_f64 v[6:7], v[74:75], v[6:7]
	v_fmac_f64_e32 v[82:83], v[74:75], v[4:5]
	v_fma_f64 v[4:5], v[72:73], v[4:5], -v[6:7]
	ds_read2_b64 v[72:75], v84 offset0:34 offset1:35
	s_waitcnt lgkmcnt(1)
	v_mul_f64 v[6:7], v[90:91], v[82:83]
	v_fma_f64 v[6:7], v[88:89], v[4:5], -v[6:7]
	s_waitcnt vmcnt(1)
	v_add_f64 v[0:1], v[0:1], -v[6:7]
	v_mul_f64 v[88:89], v[88:89], v[82:83]
	s_waitcnt lgkmcnt(0)
	v_mul_f64 v[6:7], v[74:75], v[82:83]
	v_fma_f64 v[6:7], v[72:73], v[4:5], -v[6:7]
	v_mul_f64 v[72:73], v[72:73], v[82:83]
	v_fmac_f64_e32 v[88:89], v[90:91], v[4:5]
	v_fmac_f64_e32 v[72:73], v[74:75], v[4:5]
	v_add_f64 v[2:3], v[2:3], -v[88:89]
	s_waitcnt vmcnt(0)
	v_add_f64 v[68:69], v[68:69], -v[6:7]
	v_add_f64 v[70:71], v[70:71], -v[72:73]
	v_mov_b64_e32 v[6:7], v[82:83]
.LBB34_335:
	s_or_b64 exec, exec, s[0:1]
	v_lshl_add_u32 v72, v85, 4, v84
	s_barrier
	s_waitcnt vmcnt(1)
	ds_write2_b64 v72, v[0:1], v[2:3] offset1:1
	s_waitcnt lgkmcnt(0)
	s_barrier
	ds_read2_b64 v[72:75], v84 offset0:32 offset1:33
	s_cmp_lt_i32 s20, 18
	v_mov_b32_e32 v82, 16
	s_cbranch_scc1 .LBB34_338
; %bb.336:
	v_add_u32_e32 v83, 0x110, v84
	s_mov_b32 s16, 17
	v_mov_b32_e32 v82, 16
.LBB34_337:                             ; =>This Inner Loop Header: Depth=1
	ds_read2_b64 v[88:91], v83 offset1:1
	s_waitcnt lgkmcnt(1)
	v_xor_b32_e32 v93, 0x80000000, v73
	v_xor_b32_e32 v95, 0x80000000, v75
	v_cmp_gt_f64_e32 vcc, 0, v[74:75]
	v_cmp_gt_f64_e64 s[0:1], 0, v[72:73]
	v_mov_b32_e32 v92, v72
	v_mov_b32_e32 v94, v74
	v_cndmask_b32_e64 v93, v73, v93, s[0:1]
	v_cndmask_b32_e32 v95, v75, v95, vcc
	v_add_f64 v[92:93], v[92:93], v[94:95]
	s_waitcnt lgkmcnt(0)
	v_xor_b32_e32 v95, 0x80000000, v89
	v_xor_b32_e32 v97, 0x80000000, v91
	v_cmp_gt_f64_e32 vcc, 0, v[90:91]
	v_cmp_gt_f64_e64 s[0:1], 0, v[88:89]
	v_mov_b32_e32 v94, v88
	v_mov_b32_e32 v96, v90
	v_cndmask_b32_e64 v95, v89, v95, s[0:1]
	v_cndmask_b32_e32 v97, v91, v97, vcc
	v_add_f64 v[94:95], v[94:95], v[96:97]
	v_mov_b32_e32 v98, s16
	s_add_i32 s16, s16, 1
	v_cmp_lt_f64_e32 vcc, v[92:93], v[94:95]
	v_add_u32_e32 v83, 16, v83
	s_cmp_lg_u32 s20, s16
	v_cndmask_b32_e32 v73, v73, v89, vcc
	v_cndmask_b32_e32 v72, v72, v88, vcc
	;; [unrolled: 1-line block ×5, first 2 shown]
	s_cbranch_scc1 .LBB34_337
.LBB34_338:
	s_waitcnt lgkmcnt(0)
	v_cmp_eq_f64_e32 vcc, 0, v[72:73]
	v_cmp_eq_f64_e64 s[0:1], 0, v[74:75]
	s_and_b64 s[0:1], vcc, s[0:1]
	s_and_saveexec_b64 s[16:17], s[0:1]
	s_xor_b64 s[0:1], exec, s[16:17]
; %bb.339:
	v_cmp_ne_u32_e32 vcc, 0, v87
	s_nop 1
	v_cndmask_b32_e32 v87, 17, v87, vcc
; %bb.340:
	s_andn2_saveexec_b64 s[0:1], s[0:1]
	s_cbranch_execz .LBB34_346
; %bb.341:
	v_cmp_ngt_f64_e64 s[16:17], |v[72:73]|, |v[74:75]|
	s_and_saveexec_b64 s[18:19], s[16:17]
	s_xor_b64 s[16:17], exec, s[18:19]
	s_cbranch_execz .LBB34_343
; %bb.342:
	v_div_scale_f64 v[88:89], s[18:19], v[74:75], v[74:75], v[72:73]
	v_rcp_f64_e32 v[90:91], v[88:89]
	v_div_scale_f64 v[92:93], vcc, v[72:73], v[74:75], v[72:73]
	v_fma_f64 v[94:95], -v[88:89], v[90:91], 1.0
	v_fmac_f64_e32 v[90:91], v[90:91], v[94:95]
	v_fma_f64 v[94:95], -v[88:89], v[90:91], 1.0
	v_fmac_f64_e32 v[90:91], v[90:91], v[94:95]
	v_mul_f64 v[94:95], v[92:93], v[90:91]
	v_fma_f64 v[88:89], -v[88:89], v[94:95], v[92:93]
	v_div_fmas_f64 v[88:89], v[88:89], v[90:91], v[94:95]
	v_div_fixup_f64 v[88:89], v[88:89], v[74:75], v[72:73]
	v_fmac_f64_e32 v[74:75], v[72:73], v[88:89]
	v_div_scale_f64 v[72:73], s[18:19], v[74:75], v[74:75], 1.0
	v_rcp_f64_e32 v[90:91], v[72:73]
	s_nop 0
	v_fma_f64 v[92:93], -v[72:73], v[90:91], 1.0
	v_fmac_f64_e32 v[90:91], v[90:91], v[92:93]
	v_fma_f64 v[92:93], -v[72:73], v[90:91], 1.0
	v_fmac_f64_e32 v[90:91], v[90:91], v[92:93]
	v_div_scale_f64 v[92:93], vcc, 1.0, v[74:75], 1.0
	v_mul_f64 v[94:95], v[92:93], v[90:91]
	v_fma_f64 v[72:73], -v[72:73], v[94:95], v[92:93]
	s_nop 1
	v_div_fmas_f64 v[72:73], v[72:73], v[90:91], v[94:95]
	v_div_fixup_f64 v[74:75], v[72:73], v[74:75], 1.0
	v_mul_f64 v[72:73], v[88:89], v[74:75]
	v_xor_b32_e32 v75, 0x80000000, v75
.LBB34_343:
	s_andn2_saveexec_b64 s[16:17], s[16:17]
	s_cbranch_execz .LBB34_345
; %bb.344:
	v_div_scale_f64 v[88:89], s[18:19], v[72:73], v[72:73], v[74:75]
	v_rcp_f64_e32 v[90:91], v[88:89]
	v_div_scale_f64 v[92:93], vcc, v[74:75], v[72:73], v[74:75]
	v_fma_f64 v[94:95], -v[88:89], v[90:91], 1.0
	v_fmac_f64_e32 v[90:91], v[90:91], v[94:95]
	v_fma_f64 v[94:95], -v[88:89], v[90:91], 1.0
	v_fmac_f64_e32 v[90:91], v[90:91], v[94:95]
	v_mul_f64 v[94:95], v[92:93], v[90:91]
	v_fma_f64 v[88:89], -v[88:89], v[94:95], v[92:93]
	v_div_fmas_f64 v[88:89], v[88:89], v[90:91], v[94:95]
	v_div_fixup_f64 v[88:89], v[88:89], v[72:73], v[74:75]
	v_fmac_f64_e32 v[72:73], v[74:75], v[88:89]
	v_div_scale_f64 v[74:75], s[18:19], v[72:73], v[72:73], 1.0
	v_rcp_f64_e32 v[90:91], v[74:75]
	s_nop 0
	v_fma_f64 v[92:93], -v[74:75], v[90:91], 1.0
	v_fmac_f64_e32 v[90:91], v[90:91], v[92:93]
	v_fma_f64 v[92:93], -v[74:75], v[90:91], 1.0
	v_fmac_f64_e32 v[90:91], v[90:91], v[92:93]
	v_div_scale_f64 v[92:93], vcc, 1.0, v[72:73], 1.0
	v_mul_f64 v[94:95], v[92:93], v[90:91]
	v_fma_f64 v[74:75], -v[74:75], v[94:95], v[92:93]
	s_nop 1
	v_div_fmas_f64 v[74:75], v[74:75], v[90:91], v[94:95]
	v_div_fixup_f64 v[72:73], v[74:75], v[72:73], 1.0
	v_mul_f64 v[74:75], v[88:89], -v[72:73]
.LBB34_345:
	s_or_b64 exec, exec, s[16:17]
.LBB34_346:
	s_or_b64 exec, exec, s[0:1]
	v_cmp_ne_u32_e32 vcc, v85, v82
	s_and_saveexec_b64 s[0:1], vcc
	s_xor_b64 s[0:1], exec, s[0:1]
	s_cbranch_execz .LBB34_352
; %bb.347:
	v_cmp_eq_u32_e32 vcc, 16, v85
	s_and_saveexec_b64 s[16:17], vcc
	s_cbranch_execz .LBB34_351
; %bb.348:
	v_cmp_ne_u32_e32 vcc, 16, v82
	s_xor_b64 s[18:19], s[14:15], -1
	s_and_b64 s[22:23], s[18:19], vcc
	s_and_saveexec_b64 s[18:19], s[22:23]
	s_cbranch_execz .LBB34_350
; %bb.349:
	v_ashrrev_i32_e32 v83, 31, v82
	v_lshl_add_u64 v[88:89], v[82:83], 2, v[80:81]
	global_load_dword v83, v[88:89], off
	global_load_dword v85, v[80:81], off offset:64
	s_waitcnt vmcnt(1)
	global_store_dword v[80:81], v83, off offset:64
	s_waitcnt vmcnt(1)
	global_store_dword v[88:89], v85, off
.LBB34_350:
	s_or_b64 exec, exec, s[18:19]
	v_mov_b32_e32 v85, v82
	v_mov_b32_e32 v86, v82
.LBB34_351:
	s_or_b64 exec, exec, s[16:17]
.LBB34_352:
	s_andn2_saveexec_b64 s[0:1], s[0:1]
	s_cbranch_execz .LBB34_354
; %bb.353:
	v_mov_b32_e32 v85, 16
	s_waitcnt vmcnt(0)
	ds_write2_b64 v84, v[68:69], v[70:71] offset0:34 offset1:35
.LBB34_354:
	s_or_b64 exec, exec, s[0:1]
	v_cmp_lt_i32_e32 vcc, 16, v85
	s_waitcnt lgkmcnt(0)
	s_barrier
	s_and_saveexec_b64 s[0:1], vcc
	s_cbranch_execz .LBB34_356
; %bb.355:
	ds_read2_b64 v[88:91], v84 offset0:34 offset1:35
	v_mul_f64 v[82:83], v[72:73], v[2:3]
	v_mul_f64 v[2:3], v[74:75], v[2:3]
	v_fmac_f64_e32 v[82:83], v[74:75], v[0:1]
	v_fma_f64 v[0:1], v[72:73], v[0:1], -v[2:3]
	s_waitcnt lgkmcnt(0)
	v_mul_f64 v[2:3], v[90:91], v[82:83]
	v_mul_f64 v[72:73], v[88:89], v[82:83]
	v_fma_f64 v[2:3], v[88:89], v[0:1], -v[2:3]
	v_fmac_f64_e32 v[72:73], v[90:91], v[0:1]
	s_waitcnt vmcnt(0)
	v_add_f64 v[68:69], v[68:69], -v[2:3]
	v_add_f64 v[70:71], v[70:71], -v[72:73]
	v_mov_b64_e32 v[2:3], v[82:83]
.LBB34_356:
	s_or_b64 exec, exec, s[0:1]
	v_lshl_add_u32 v72, v85, 4, v84
	s_barrier
	s_waitcnt vmcnt(0)
	ds_write2_b64 v72, v[68:69], v[70:71] offset1:1
	s_waitcnt lgkmcnt(0)
	s_barrier
	ds_read2_b64 v[72:75], v84 offset0:34 offset1:35
	s_cmp_lt_i32 s20, 19
	v_mov_b32_e32 v82, 17
	s_cbranch_scc1 .LBB34_359
; %bb.357:
	v_add_u32_e32 v83, 0x120, v84
	s_mov_b32 s16, 18
	v_mov_b32_e32 v82, 17
.LBB34_358:                             ; =>This Inner Loop Header: Depth=1
	ds_read2_b64 v[88:91], v83 offset1:1
	s_waitcnt lgkmcnt(1)
	v_xor_b32_e32 v84, 0x80000000, v73
	v_xor_b32_e32 v95, 0x80000000, v75
	v_cmp_gt_f64_e32 vcc, 0, v[74:75]
	v_cmp_gt_f64_e64 s[0:1], 0, v[72:73]
	v_mov_b32_e32 v92, v72
	v_mov_b32_e32 v94, v74
	v_cndmask_b32_e64 v93, v73, v84, s[0:1]
	v_cndmask_b32_e32 v95, v75, v95, vcc
	s_waitcnt lgkmcnt(0)
	v_xor_b32_e32 v84, 0x80000000, v89
	v_xor_b32_e32 v97, 0x80000000, v91
	v_cmp_gt_f64_e32 vcc, 0, v[90:91]
	v_cmp_gt_f64_e64 s[0:1], 0, v[88:89]
	v_add_f64 v[92:93], v[92:93], v[94:95]
	v_mov_b32_e32 v94, v88
	v_mov_b32_e32 v96, v90
	v_cndmask_b32_e64 v95, v89, v84, s[0:1]
	v_cndmask_b32_e32 v97, v91, v97, vcc
	v_add_f64 v[94:95], v[94:95], v[96:97]
	v_mov_b32_e32 v98, s16
	s_add_i32 s16, s16, 1
	v_cmp_lt_f64_e32 vcc, v[92:93], v[94:95]
	v_add_u32_e32 v83, 16, v83
	s_cmp_lg_u32 s20, s16
	v_cndmask_b32_e32 v73, v73, v89, vcc
	v_cndmask_b32_e32 v72, v72, v88, vcc
	;; [unrolled: 1-line block ×5, first 2 shown]
	s_cbranch_scc1 .LBB34_358
.LBB34_359:
	s_waitcnt lgkmcnt(0)
	v_cmp_eq_f64_e32 vcc, 0, v[72:73]
	v_cmp_eq_f64_e64 s[0:1], 0, v[74:75]
	s_and_b64 s[0:1], vcc, s[0:1]
	s_and_saveexec_b64 s[16:17], s[0:1]
	s_xor_b64 s[0:1], exec, s[16:17]
; %bb.360:
	v_cmp_ne_u32_e32 vcc, 0, v87
	s_nop 1
	v_cndmask_b32_e32 v87, 18, v87, vcc
; %bb.361:
	s_andn2_saveexec_b64 s[0:1], s[0:1]
	s_cbranch_execz .LBB34_367
; %bb.362:
	v_cmp_ngt_f64_e64 s[16:17], |v[72:73]|, |v[74:75]|
	s_and_saveexec_b64 s[18:19], s[16:17]
	s_xor_b64 s[16:17], exec, s[18:19]
	s_cbranch_execz .LBB34_364
; %bb.363:
	v_div_scale_f64 v[88:89], s[18:19], v[74:75], v[74:75], v[72:73]
	v_rcp_f64_e32 v[90:91], v[88:89]
	v_div_scale_f64 v[92:93], vcc, v[72:73], v[74:75], v[72:73]
	v_fma_f64 v[94:95], -v[88:89], v[90:91], 1.0
	v_fmac_f64_e32 v[90:91], v[90:91], v[94:95]
	v_fma_f64 v[94:95], -v[88:89], v[90:91], 1.0
	v_fmac_f64_e32 v[90:91], v[90:91], v[94:95]
	v_mul_f64 v[94:95], v[92:93], v[90:91]
	v_fma_f64 v[88:89], -v[88:89], v[94:95], v[92:93]
	v_div_fmas_f64 v[88:89], v[88:89], v[90:91], v[94:95]
	v_div_fixup_f64 v[88:89], v[88:89], v[74:75], v[72:73]
	v_fmac_f64_e32 v[74:75], v[72:73], v[88:89]
	v_div_scale_f64 v[72:73], s[18:19], v[74:75], v[74:75], 1.0
	v_rcp_f64_e32 v[90:91], v[72:73]
	s_nop 0
	v_fma_f64 v[92:93], -v[72:73], v[90:91], 1.0
	v_fmac_f64_e32 v[90:91], v[90:91], v[92:93]
	v_fma_f64 v[92:93], -v[72:73], v[90:91], 1.0
	v_fmac_f64_e32 v[90:91], v[90:91], v[92:93]
	v_div_scale_f64 v[92:93], vcc, 1.0, v[74:75], 1.0
	v_mul_f64 v[94:95], v[92:93], v[90:91]
	v_fma_f64 v[72:73], -v[72:73], v[94:95], v[92:93]
	s_nop 1
	v_div_fmas_f64 v[72:73], v[72:73], v[90:91], v[94:95]
	v_div_fixup_f64 v[74:75], v[72:73], v[74:75], 1.0
	v_mul_f64 v[72:73], v[88:89], v[74:75]
	v_xor_b32_e32 v75, 0x80000000, v75
.LBB34_364:
	s_andn2_saveexec_b64 s[16:17], s[16:17]
	s_cbranch_execz .LBB34_366
; %bb.365:
	v_div_scale_f64 v[88:89], s[18:19], v[72:73], v[72:73], v[74:75]
	v_rcp_f64_e32 v[90:91], v[88:89]
	v_div_scale_f64 v[92:93], vcc, v[74:75], v[72:73], v[74:75]
	v_fma_f64 v[94:95], -v[88:89], v[90:91], 1.0
	v_fmac_f64_e32 v[90:91], v[90:91], v[94:95]
	v_fma_f64 v[94:95], -v[88:89], v[90:91], 1.0
	v_fmac_f64_e32 v[90:91], v[90:91], v[94:95]
	v_mul_f64 v[94:95], v[92:93], v[90:91]
	v_fma_f64 v[88:89], -v[88:89], v[94:95], v[92:93]
	v_div_fmas_f64 v[88:89], v[88:89], v[90:91], v[94:95]
	v_div_fixup_f64 v[88:89], v[88:89], v[72:73], v[74:75]
	v_fmac_f64_e32 v[72:73], v[74:75], v[88:89]
	v_div_scale_f64 v[74:75], s[18:19], v[72:73], v[72:73], 1.0
	v_rcp_f64_e32 v[90:91], v[74:75]
	s_nop 0
	v_fma_f64 v[92:93], -v[74:75], v[90:91], 1.0
	v_fmac_f64_e32 v[90:91], v[90:91], v[92:93]
	v_fma_f64 v[92:93], -v[74:75], v[90:91], 1.0
	v_fmac_f64_e32 v[90:91], v[90:91], v[92:93]
	v_div_scale_f64 v[92:93], vcc, 1.0, v[72:73], 1.0
	v_mul_f64 v[94:95], v[92:93], v[90:91]
	v_fma_f64 v[74:75], -v[74:75], v[94:95], v[92:93]
	s_nop 1
	v_div_fmas_f64 v[74:75], v[74:75], v[90:91], v[94:95]
	v_div_fixup_f64 v[72:73], v[74:75], v[72:73], 1.0
	v_mul_f64 v[74:75], v[88:89], -v[72:73]
.LBB34_366:
	s_or_b64 exec, exec, s[16:17]
.LBB34_367:
	s_or_b64 exec, exec, s[0:1]
	v_cmp_ne_u32_e32 vcc, v85, v82
	v_mov_b32_e32 v84, 17
	s_and_saveexec_b64 s[0:1], vcc
	s_cbranch_execz .LBB34_373
; %bb.368:
	v_cmp_eq_u32_e32 vcc, 17, v85
	s_and_saveexec_b64 s[16:17], vcc
	s_cbranch_execz .LBB34_372
; %bb.369:
	v_cmp_ne_u32_e32 vcc, 17, v82
	s_xor_b64 s[14:15], s[14:15], -1
	s_and_b64 s[18:19], s[14:15], vcc
	s_and_saveexec_b64 s[14:15], s[18:19]
	s_cbranch_execz .LBB34_371
; %bb.370:
	v_ashrrev_i32_e32 v83, 31, v82
	v_lshl_add_u64 v[84:85], v[82:83], 2, v[80:81]
	global_load_dword v83, v[84:85], off
	global_load_dword v86, v[80:81], off offset:68
	s_waitcnt vmcnt(1)
	global_store_dword v[80:81], v83, off offset:68
	s_waitcnt vmcnt(1)
	global_store_dword v[84:85], v86, off
.LBB34_371:
	s_or_b64 exec, exec, s[14:15]
	v_mov_b32_e32 v85, v82
	v_mov_b32_e32 v86, v82
.LBB34_372:
	s_or_b64 exec, exec, s[16:17]
	v_mov_b32_e32 v84, v85
.LBB34_373:
	s_or_b64 exec, exec, s[0:1]
	v_cmp_gt_i32_e32 vcc, 18, v84
	v_ashrrev_i32_e32 v85, 31, v84
	s_barrier
	s_barrier
	s_and_saveexec_b64 s[0:1], vcc
	s_cbranch_execz .LBB34_375
; %bb.374:
	v_mov_b32_e32 v80, s6
	v_mov_b32_e32 v81, s7
	v_mul_lo_u32 v88, s11, v78
	v_mul_lo_u32 v89, s10, v79
	v_mad_u64_u32 v[82:83], s[6:7], s10, v78, 0
	v_add3_u32 v83, v83, v89, v88
	v_lshl_add_u64 v[80:81], v[82:83], 2, v[80:81]
	v_lshl_add_u64 v[80:81], s[8:9], 2, v[80:81]
	;; [unrolled: 1-line block ×3, first 2 shown]
	v_add3_u32 v82, v86, s13, 1
	global_store_dword v[80:81], v82, off
.LBB34_375:
	s_or_b64 exec, exec, s[0:1]
	v_cmp_eq_u32_e32 vcc, 0, v84
	s_and_saveexec_b64 s[6:7], vcc
	s_cbranch_execz .LBB34_378
; %bb.376:
	v_mov_b32_e32 v80, s4
	v_mov_b32_e32 v81, s5
	v_lshl_add_u64 v[78:79], v[78:79], 2, v[80:81]
	global_load_dword v80, v[78:79], off
	v_cmp_ne_u32_e64 s[0:1], 0, v87
	s_waitcnt vmcnt(0)
	v_cmp_eq_u32_e32 vcc, 0, v80
	s_and_b64 s[0:1], vcc, s[0:1]
	s_and_b64 exec, exec, s[0:1]
	s_cbranch_execz .LBB34_378
; %bb.377:
	v_add_u32_e32 v80, s13, v87
	global_store_dword v[78:79], v80, off
.LBB34_378:
	s_or_b64 exec, exec, s[6:7]
	v_mul_f64 v[78:79], v[74:75], v[70:71]
	v_fma_f64 v[78:79], v[72:73], v[68:69], -v[78:79]
	v_mul_f64 v[72:73], v[72:73], v[70:71]
	v_fmac_f64_e32 v[72:73], v[74:75], v[68:69]
	v_cmp_lt_i32_e32 vcc, 17, v84
	s_nop 1
	v_cndmask_b32_e32 v71, v71, v73, vcc
	v_cndmask_b32_e32 v70, v70, v72, vcc
	v_lshl_add_u64 v[72:73], v[84:85], 4, v[76:77]
	global_store_dwordx4 v[72:73], v[64:67], off
	v_cndmask_b32_e32 v69, v69, v79, vcc
	v_cndmask_b32_e32 v68, v68, v78, vcc
	v_lshl_add_u64 v[64:65], s[2:3], 4, v[72:73]
	global_store_dwordx4 v[64:65], v[60:63], off
	s_nop 1
	v_add_u32_e32 v60, s12, v84
	v_ashrrev_i32_e32 v61, 31, v60
	v_lshl_add_u64 v[62:63], v[60:61], 4, v[76:77]
	global_store_dwordx4 v[62:63], v[48:51], off
	s_nop 1
	v_add_u32_e32 v48, s2, v60
	v_ashrrev_i32_e32 v49, 31, v48
	;; [unrolled: 5-line block ×3, first 2 shown]
	v_lshl_add_u64 v[38:39], v[36:37], 4, v[76:77]
	v_add_u32_e32 v36, s2, v36
	v_ashrrev_i32_e32 v37, 31, v36
	global_store_dwordx4 v[38:39], v[44:47], off
	v_lshl_add_u64 v[38:39], v[36:37], 4, v[76:77]
	global_store_dwordx4 v[38:39], v[32:35], off
	s_nop 1
	v_add_u32_e32 v32, s2, v36
	v_ashrrev_i32_e32 v33, 31, v32
	v_lshl_add_u64 v[34:35], v[32:33], 4, v[76:77]
	v_add_u32_e32 v32, s2, v32
	v_ashrrev_i32_e32 v33, 31, v32
	global_store_dwordx4 v[34:35], v[56:59], off
	v_lshl_add_u64 v[34:35], v[32:33], 4, v[76:77]
	v_add_u32_e32 v32, s2, v32
	v_ashrrev_i32_e32 v33, 31, v32
	global_store_dwordx4 v[34:35], v[52:55], off
	;; [unrolled: 4-line block ×3, first 2 shown]
	v_lshl_add_u64 v[34:35], v[32:33], 4, v[76:77]
	global_store_dwordx4 v[34:35], v[28:31], off
	s_nop 1
	v_add_u32_e32 v28, s2, v32
	v_ashrrev_i32_e32 v29, 31, v28
	v_lshl_add_u64 v[30:31], v[28:29], 4, v[76:77]
	global_store_dwordx4 v[30:31], v[24:27], off
	s_nop 1
	v_add_u32_e32 v24, s2, v28
	v_ashrrev_i32_e32 v25, 31, v24
	;; [unrolled: 5-line block ×8, first 2 shown]
	v_lshl_add_u64 v[0:1], v[0:1], 4, v[76:77]
	global_store_dwordx4 v[0:1], v[68:71], off
.LBB34_379:
	s_endpgm
	.section	.rodata,"a",@progbits
	.p2align	6, 0x0
	.amdhsa_kernel _ZN9rocsolver6v33100L18getf2_small_kernelILi18E19rocblas_complex_numIdEiiPS3_EEvT1_T3_lS5_lPS5_llPT2_S5_S5_S7_l
		.amdhsa_group_segment_fixed_size 0
		.amdhsa_private_segment_fixed_size 0
		.amdhsa_kernarg_size 352
		.amdhsa_user_sgpr_count 2
		.amdhsa_user_sgpr_dispatch_ptr 0
		.amdhsa_user_sgpr_queue_ptr 0
		.amdhsa_user_sgpr_kernarg_segment_ptr 1
		.amdhsa_user_sgpr_dispatch_id 0
		.amdhsa_user_sgpr_kernarg_preload_length 0
		.amdhsa_user_sgpr_kernarg_preload_offset 0
		.amdhsa_user_sgpr_private_segment_size 0
		.amdhsa_uses_dynamic_stack 0
		.amdhsa_enable_private_segment 0
		.amdhsa_system_sgpr_workgroup_id_x 1
		.amdhsa_system_sgpr_workgroup_id_y 1
		.amdhsa_system_sgpr_workgroup_id_z 0
		.amdhsa_system_sgpr_workgroup_info 0
		.amdhsa_system_vgpr_workitem_id 1
		.amdhsa_next_free_vgpr 108
		.amdhsa_next_free_sgpr 24
		.amdhsa_accum_offset 108
		.amdhsa_reserve_vcc 1
		.amdhsa_float_round_mode_32 0
		.amdhsa_float_round_mode_16_64 0
		.amdhsa_float_denorm_mode_32 3
		.amdhsa_float_denorm_mode_16_64 3
		.amdhsa_dx10_clamp 1
		.amdhsa_ieee_mode 1
		.amdhsa_fp16_overflow 0
		.amdhsa_tg_split 0
		.amdhsa_exception_fp_ieee_invalid_op 0
		.amdhsa_exception_fp_denorm_src 0
		.amdhsa_exception_fp_ieee_div_zero 0
		.amdhsa_exception_fp_ieee_overflow 0
		.amdhsa_exception_fp_ieee_underflow 0
		.amdhsa_exception_fp_ieee_inexact 0
		.amdhsa_exception_int_div_zero 0
	.end_amdhsa_kernel
	.section	.text._ZN9rocsolver6v33100L18getf2_small_kernelILi18E19rocblas_complex_numIdEiiPS3_EEvT1_T3_lS5_lPS5_llPT2_S5_S5_S7_l,"axG",@progbits,_ZN9rocsolver6v33100L18getf2_small_kernelILi18E19rocblas_complex_numIdEiiPS3_EEvT1_T3_lS5_lPS5_llPT2_S5_S5_S7_l,comdat
.Lfunc_end34:
	.size	_ZN9rocsolver6v33100L18getf2_small_kernelILi18E19rocblas_complex_numIdEiiPS3_EEvT1_T3_lS5_lPS5_llPT2_S5_S5_S7_l, .Lfunc_end34-_ZN9rocsolver6v33100L18getf2_small_kernelILi18E19rocblas_complex_numIdEiiPS3_EEvT1_T3_lS5_lPS5_llPT2_S5_S5_S7_l
                                        ; -- End function
	.set _ZN9rocsolver6v33100L18getf2_small_kernelILi18E19rocblas_complex_numIdEiiPS3_EEvT1_T3_lS5_lPS5_llPT2_S5_S5_S7_l.num_vgpr, 108
	.set _ZN9rocsolver6v33100L18getf2_small_kernelILi18E19rocblas_complex_numIdEiiPS3_EEvT1_T3_lS5_lPS5_llPT2_S5_S5_S7_l.num_agpr, 0
	.set _ZN9rocsolver6v33100L18getf2_small_kernelILi18E19rocblas_complex_numIdEiiPS3_EEvT1_T3_lS5_lPS5_llPT2_S5_S5_S7_l.numbered_sgpr, 24
	.set _ZN9rocsolver6v33100L18getf2_small_kernelILi18E19rocblas_complex_numIdEiiPS3_EEvT1_T3_lS5_lPS5_llPT2_S5_S5_S7_l.num_named_barrier, 0
	.set _ZN9rocsolver6v33100L18getf2_small_kernelILi18E19rocblas_complex_numIdEiiPS3_EEvT1_T3_lS5_lPS5_llPT2_S5_S5_S7_l.private_seg_size, 0
	.set _ZN9rocsolver6v33100L18getf2_small_kernelILi18E19rocblas_complex_numIdEiiPS3_EEvT1_T3_lS5_lPS5_llPT2_S5_S5_S7_l.uses_vcc, 1
	.set _ZN9rocsolver6v33100L18getf2_small_kernelILi18E19rocblas_complex_numIdEiiPS3_EEvT1_T3_lS5_lPS5_llPT2_S5_S5_S7_l.uses_flat_scratch, 0
	.set _ZN9rocsolver6v33100L18getf2_small_kernelILi18E19rocblas_complex_numIdEiiPS3_EEvT1_T3_lS5_lPS5_llPT2_S5_S5_S7_l.has_dyn_sized_stack, 0
	.set _ZN9rocsolver6v33100L18getf2_small_kernelILi18E19rocblas_complex_numIdEiiPS3_EEvT1_T3_lS5_lPS5_llPT2_S5_S5_S7_l.has_recursion, 0
	.set _ZN9rocsolver6v33100L18getf2_small_kernelILi18E19rocblas_complex_numIdEiiPS3_EEvT1_T3_lS5_lPS5_llPT2_S5_S5_S7_l.has_indirect_call, 0
	.section	.AMDGPU.csdata,"",@progbits
; Kernel info:
; codeLenInByte = 27832
; TotalNumSgprs: 30
; NumVgprs: 108
; NumAgprs: 0
; TotalNumVgprs: 108
; ScratchSize: 0
; MemoryBound: 0
; FloatMode: 240
; IeeeMode: 1
; LDSByteSize: 0 bytes/workgroup (compile time only)
; SGPRBlocks: 3
; VGPRBlocks: 13
; NumSGPRsForWavesPerEU: 30
; NumVGPRsForWavesPerEU: 108
; AccumOffset: 108
; Occupancy: 4
; WaveLimiterHint : 0
; COMPUTE_PGM_RSRC2:SCRATCH_EN: 0
; COMPUTE_PGM_RSRC2:USER_SGPR: 2
; COMPUTE_PGM_RSRC2:TRAP_HANDLER: 0
; COMPUTE_PGM_RSRC2:TGID_X_EN: 1
; COMPUTE_PGM_RSRC2:TGID_Y_EN: 1
; COMPUTE_PGM_RSRC2:TGID_Z_EN: 0
; COMPUTE_PGM_RSRC2:TIDIG_COMP_CNT: 1
; COMPUTE_PGM_RSRC3_GFX90A:ACCUM_OFFSET: 26
; COMPUTE_PGM_RSRC3_GFX90A:TG_SPLIT: 0
	.section	.text._ZN9rocsolver6v33100L23getf2_npvt_small_kernelILi18E19rocblas_complex_numIdEiiPS3_EEvT1_T3_lS5_lPT2_S5_S5_,"axG",@progbits,_ZN9rocsolver6v33100L23getf2_npvt_small_kernelILi18E19rocblas_complex_numIdEiiPS3_EEvT1_T3_lS5_lPT2_S5_S5_,comdat
	.globl	_ZN9rocsolver6v33100L23getf2_npvt_small_kernelILi18E19rocblas_complex_numIdEiiPS3_EEvT1_T3_lS5_lPT2_S5_S5_ ; -- Begin function _ZN9rocsolver6v33100L23getf2_npvt_small_kernelILi18E19rocblas_complex_numIdEiiPS3_EEvT1_T3_lS5_lPT2_S5_S5_
	.p2align	8
	.type	_ZN9rocsolver6v33100L23getf2_npvt_small_kernelILi18E19rocblas_complex_numIdEiiPS3_EEvT1_T3_lS5_lPT2_S5_S5_,@function
_ZN9rocsolver6v33100L23getf2_npvt_small_kernelILi18E19rocblas_complex_numIdEiiPS3_EEvT1_T3_lS5_lPT2_S5_S5_: ; @_ZN9rocsolver6v33100L23getf2_npvt_small_kernelILi18E19rocblas_complex_numIdEiiPS3_EEvT1_T3_lS5_lPT2_S5_S5_
; %bb.0:
	s_load_dword s2, s[0:1], 0x44
	s_load_dwordx2 s[8:9], s[0:1], 0x30
	v_bfe_u32 v72, v0, 10, 10
	s_waitcnt lgkmcnt(0)
	s_lshr_b32 s10, s2, 16
	s_mul_i32 s3, s3, s10
	v_add_u32_e32 v166, s3, v72
	v_cmp_gt_i32_e32 vcc, s8, v166
	s_and_saveexec_b64 s[2:3], vcc
	s_cbranch_execz .LBB35_165
; %bb.1:
	s_load_dwordx4 s[12:15], s[0:1], 0x8
	s_load_dword s2, s[0:1], 0x18
	s_load_dwordx4 s[4:7], s[0:1], 0x20
	v_and_b32_e32 v182, 0x3ff, v0
	v_ashrrev_i32_e32 v167, 31, v166
	s_waitcnt lgkmcnt(0)
	v_mov_b32_e32 v2, s12
	v_mov_b32_e32 v3, s13
	v_mad_u64_u32 v[0:1], s[0:1], s4, v166, 0
	v_mul_lo_u32 v4, s5, v166
	v_mul_lo_u32 v5, s4, v167
	s_add_i32 s0, s2, s2
	v_add3_u32 v1, v1, v5, v4
	v_add_u32_e32 v8, s0, v182
	v_lshl_add_u64 v[0:1], v[0:1], 4, v[2:3]
	v_add_u32_e32 v18, s2, v8
	v_lshl_add_u64 v[16:17], s[14:15], 4, v[0:1]
	v_ashrrev_i32_e32 v19, 31, v18
	v_lshl_add_u64 v[150:151], v[18:19], 4, v[16:17]
	v_add_u32_e32 v18, s2, v18
	v_ashrrev_i32_e32 v19, 31, v18
	v_lshl_add_u64 v[152:153], v[18:19], 4, v[16:17]
	v_add_u32_e32 v18, s2, v18
	;; [unrolled: 3-line block ×13, first 2 shown]
	v_ashrrev_i32_e32 v19, 31, v18
	v_lshlrev_b32_e32 v0, 4, v182
	v_mov_b32_e32 v1, 0
	v_ashrrev_i32_e32 v9, 31, v8
	v_lshl_add_u64 v[178:179], v[18:19], 4, v[16:17]
	v_add_u32_e32 v18, s2, v18
	s_ashr_i32 s3, s2, 31
	v_lshl_add_u64 v[144:145], v[16:17], 0, v[0:1]
	v_lshl_add_u64 v[148:149], v[8:9], 4, v[16:17]
	v_ashrrev_i32_e32 v19, 31, v18
	v_lshl_add_u64 v[146:147], s[2:3], 4, v[144:145]
	global_load_dwordx4 v[4:7], v[144:145], off
	global_load_dwordx4 v[0:3], v[146:147], off
	;; [unrolled: 1-line block ×4, first 2 shown]
	v_lshl_add_u64 v[180:181], v[18:19], 4, v[16:17]
	global_load_dwordx4 v[64:67], v[152:153], off
	global_load_dwordx4 v[60:63], v[154:155], off
	;; [unrolled: 1-line block ×14, first 2 shown]
	s_mulk_i32 s10, 0x120
	s_movk_i32 s0, 0x120
	s_add_i32 s1, s10, 0
	v_mad_u32_u24 v184, v72, s0, 0
	v_lshl_add_u32 v183, v72, 4, s1
	v_cmp_ne_u32_e64 s[2:3], 0, v182
	v_cmp_eq_u32_e64 s[0:1], 0, v182
	s_and_saveexec_b64 s[10:11], s[0:1]
	s_cbranch_execz .LBB35_8
; %bb.2:
	s_waitcnt vmcnt(17)
	ds_write2_b64 v183, v[4:5], v[6:7] offset1:1
	s_waitcnt vmcnt(16)
	ds_write2_b64 v184, v[0:1], v[2:3] offset0:2 offset1:3
	s_waitcnt vmcnt(15)
	ds_write2_b64 v184, v[12:13], v[14:15] offset0:4 offset1:5
	;; [unrolled: 2-line block ×17, first 2 shown]
	ds_read2_b64 v[72:75], v183 offset1:1
	s_waitcnt lgkmcnt(0)
	v_cmp_neq_f64_e32 vcc, 0, v[72:73]
	v_cmp_neq_f64_e64 s[4:5], 0, v[74:75]
	s_or_b64 s[4:5], vcc, s[4:5]
	s_and_b64 exec, exec, s[4:5]
	s_cbranch_execz .LBB35_8
; %bb.3:
	v_cmp_ngt_f64_e64 s[4:5], |v[72:73]|, |v[74:75]|
                                        ; implicit-def: $vgpr76_vgpr77
	s_and_saveexec_b64 s[12:13], s[4:5]
	s_xor_b64 s[4:5], exec, s[12:13]
                                        ; implicit-def: $vgpr78_vgpr79
	s_cbranch_execz .LBB35_5
; %bb.4:
	v_div_scale_f64 v[76:77], s[12:13], v[74:75], v[74:75], v[72:73]
	v_rcp_f64_e32 v[78:79], v[76:77]
	v_div_scale_f64 v[80:81], vcc, v[72:73], v[74:75], v[72:73]
	v_fma_f64 v[82:83], -v[76:77], v[78:79], 1.0
	v_fmac_f64_e32 v[78:79], v[78:79], v[82:83]
	v_fma_f64 v[82:83], -v[76:77], v[78:79], 1.0
	v_fmac_f64_e32 v[78:79], v[78:79], v[82:83]
	v_mul_f64 v[82:83], v[80:81], v[78:79]
	v_fma_f64 v[76:77], -v[76:77], v[82:83], v[80:81]
	v_div_fmas_f64 v[76:77], v[76:77], v[78:79], v[82:83]
	v_div_fixup_f64 v[76:77], v[76:77], v[74:75], v[72:73]
	v_fmac_f64_e32 v[74:75], v[72:73], v[76:77]
	v_div_scale_f64 v[72:73], s[12:13], v[74:75], v[74:75], 1.0
	v_rcp_f64_e32 v[78:79], v[72:73]
	s_nop 0
	v_fma_f64 v[80:81], -v[72:73], v[78:79], 1.0
	v_fmac_f64_e32 v[78:79], v[78:79], v[80:81]
	v_fma_f64 v[80:81], -v[72:73], v[78:79], 1.0
	v_fmac_f64_e32 v[78:79], v[78:79], v[80:81]
	v_div_scale_f64 v[80:81], vcc, 1.0, v[74:75], 1.0
	v_mul_f64 v[82:83], v[80:81], v[78:79]
	v_fma_f64 v[72:73], -v[72:73], v[82:83], v[80:81]
	s_nop 1
	v_div_fmas_f64 v[72:73], v[72:73], v[78:79], v[82:83]
	v_div_fixup_f64 v[78:79], v[72:73], v[74:75], 1.0
	v_mul_f64 v[76:77], v[76:77], v[78:79]
	v_xor_b32_e32 v79, 0x80000000, v79
                                        ; implicit-def: $vgpr72_vgpr73
.LBB35_5:
	s_andn2_saveexec_b64 s[4:5], s[4:5]
	s_cbranch_execz .LBB35_7
; %bb.6:
	v_div_scale_f64 v[76:77], s[12:13], v[72:73], v[72:73], v[74:75]
	v_rcp_f64_e32 v[78:79], v[76:77]
	v_div_scale_f64 v[80:81], vcc, v[74:75], v[72:73], v[74:75]
	v_fma_f64 v[82:83], -v[76:77], v[78:79], 1.0
	v_fmac_f64_e32 v[78:79], v[78:79], v[82:83]
	v_fma_f64 v[82:83], -v[76:77], v[78:79], 1.0
	v_fmac_f64_e32 v[78:79], v[78:79], v[82:83]
	v_mul_f64 v[82:83], v[80:81], v[78:79]
	v_fma_f64 v[76:77], -v[76:77], v[82:83], v[80:81]
	v_div_fmas_f64 v[76:77], v[76:77], v[78:79], v[82:83]
	v_div_fixup_f64 v[78:79], v[76:77], v[72:73], v[74:75]
	v_fmac_f64_e32 v[72:73], v[74:75], v[78:79]
	v_div_scale_f64 v[74:75], s[12:13], v[72:73], v[72:73], 1.0
	v_rcp_f64_e32 v[76:77], v[74:75]
	s_nop 0
	v_fma_f64 v[80:81], -v[74:75], v[76:77], 1.0
	v_fmac_f64_e32 v[76:77], v[76:77], v[80:81]
	v_fma_f64 v[80:81], -v[74:75], v[76:77], 1.0
	v_fmac_f64_e32 v[76:77], v[76:77], v[80:81]
	v_div_scale_f64 v[80:81], vcc, 1.0, v[72:73], 1.0
	v_mul_f64 v[82:83], v[80:81], v[76:77]
	v_fma_f64 v[74:75], -v[74:75], v[82:83], v[80:81]
	s_nop 1
	v_div_fmas_f64 v[74:75], v[74:75], v[76:77], v[82:83]
	v_div_fixup_f64 v[76:77], v[74:75], v[72:73], 1.0
	v_mul_f64 v[78:79], v[78:79], -v[76:77]
.LBB35_7:
	s_or_b64 exec, exec, s[4:5]
	ds_write2_b64 v183, v[76:77], v[78:79] offset1:1
.LBB35_8:
	s_or_b64 exec, exec, s[10:11]
	s_waitcnt lgkmcnt(0)
	s_barrier
	ds_read2_b64 v[72:75], v183 offset1:1
	s_and_saveexec_b64 s[4:5], s[2:3]
	s_cbranch_execz .LBB35_10
; %bb.9:
	ds_read2_b64 v[78:81], v184 offset0:2 offset1:3
	s_waitcnt vmcnt(17) lgkmcnt(1)
	v_mul_f64 v[76:77], v[74:75], v[6:7]
	v_mul_f64 v[6:7], v[72:73], v[6:7]
	v_fmac_f64_e32 v[6:7], v[74:75], v[4:5]
	v_fma_f64 v[76:77], v[72:73], v[4:5], -v[76:77]
	s_waitcnt lgkmcnt(0)
	v_mul_f64 v[4:5], v[80:81], v[6:7]
	v_fma_f64 v[4:5], v[78:79], v[76:77], -v[4:5]
	v_mul_f64 v[78:79], v[78:79], v[6:7]
	v_fmac_f64_e32 v[78:79], v[80:81], v[76:77]
	s_waitcnt vmcnt(16)
	v_add_f64 v[2:3], v[2:3], -v[78:79]
	ds_read2_b64 v[78:81], v184 offset0:4 offset1:5
	v_add_f64 v[0:1], v[0:1], -v[4:5]
	s_waitcnt lgkmcnt(0)
	v_mul_f64 v[4:5], v[80:81], v[6:7]
	v_fma_f64 v[4:5], v[78:79], v[76:77], -v[4:5]
	v_mul_f64 v[78:79], v[78:79], v[6:7]
	v_fmac_f64_e32 v[78:79], v[80:81], v[76:77]
	s_waitcnt vmcnt(15)
	v_add_f64 v[14:15], v[14:15], -v[78:79]
	ds_read2_b64 v[78:81], v184 offset0:6 offset1:7
	v_add_f64 v[12:13], v[12:13], -v[4:5]
	;; [unrolled: 9-line block ×16, first 2 shown]
	s_waitcnt lgkmcnt(0)
	v_mul_f64 v[4:5], v[80:81], v[6:7]
	v_fma_f64 v[4:5], v[78:79], v[76:77], -v[4:5]
	v_mul_f64 v[78:79], v[78:79], v[6:7]
	v_fmac_f64_e32 v[78:79], v[80:81], v[76:77]
	s_waitcnt vmcnt(0)
	v_add_f64 v[68:69], v[68:69], -v[4:5]
	v_add_f64 v[70:71], v[70:71], -v[78:79]
	v_mov_b64_e32 v[4:5], v[76:77]
.LBB35_10:
	s_or_b64 exec, exec, s[4:5]
	v_cmp_eq_u32_e32 vcc, 1, v182
	s_waitcnt lgkmcnt(0)
	s_barrier
	s_and_saveexec_b64 s[4:5], vcc
	s_cbranch_execz .LBB35_17
; %bb.11:
	s_waitcnt vmcnt(16)
	ds_write2_b64 v183, v[0:1], v[2:3] offset1:1
	s_waitcnt vmcnt(15)
	ds_write2_b64 v184, v[12:13], v[14:15] offset0:4 offset1:5
	s_waitcnt vmcnt(14)
	ds_write2_b64 v184, v[8:9], v[10:11] offset0:6 offset1:7
	;; [unrolled: 2-line block ×16, first 2 shown]
	ds_read2_b64 v[76:79], v183 offset1:1
	s_waitcnt lgkmcnt(0)
	v_cmp_neq_f64_e32 vcc, 0, v[76:77]
	v_cmp_neq_f64_e64 s[2:3], 0, v[78:79]
	s_or_b64 s[2:3], vcc, s[2:3]
	s_and_b64 exec, exec, s[2:3]
	s_cbranch_execz .LBB35_17
; %bb.12:
	v_cmp_ngt_f64_e64 s[2:3], |v[76:77]|, |v[78:79]|
                                        ; implicit-def: $vgpr80_vgpr81
	s_and_saveexec_b64 s[10:11], s[2:3]
	s_xor_b64 s[2:3], exec, s[10:11]
                                        ; implicit-def: $vgpr82_vgpr83
	s_cbranch_execz .LBB35_14
; %bb.13:
	v_div_scale_f64 v[80:81], s[10:11], v[78:79], v[78:79], v[76:77]
	v_rcp_f64_e32 v[82:83], v[80:81]
	v_div_scale_f64 v[84:85], vcc, v[76:77], v[78:79], v[76:77]
	v_fma_f64 v[86:87], -v[80:81], v[82:83], 1.0
	v_fmac_f64_e32 v[82:83], v[82:83], v[86:87]
	v_fma_f64 v[86:87], -v[80:81], v[82:83], 1.0
	v_fmac_f64_e32 v[82:83], v[82:83], v[86:87]
	v_mul_f64 v[86:87], v[84:85], v[82:83]
	v_fma_f64 v[80:81], -v[80:81], v[86:87], v[84:85]
	v_div_fmas_f64 v[80:81], v[80:81], v[82:83], v[86:87]
	v_div_fixup_f64 v[80:81], v[80:81], v[78:79], v[76:77]
	v_fmac_f64_e32 v[78:79], v[76:77], v[80:81]
	v_div_scale_f64 v[76:77], s[10:11], v[78:79], v[78:79], 1.0
	v_rcp_f64_e32 v[82:83], v[76:77]
	s_nop 0
	v_fma_f64 v[84:85], -v[76:77], v[82:83], 1.0
	v_fmac_f64_e32 v[82:83], v[82:83], v[84:85]
	v_fma_f64 v[84:85], -v[76:77], v[82:83], 1.0
	v_fmac_f64_e32 v[82:83], v[82:83], v[84:85]
	v_div_scale_f64 v[84:85], vcc, 1.0, v[78:79], 1.0
	v_mul_f64 v[86:87], v[84:85], v[82:83]
	v_fma_f64 v[76:77], -v[76:77], v[86:87], v[84:85]
	s_nop 1
	v_div_fmas_f64 v[76:77], v[76:77], v[82:83], v[86:87]
	v_div_fixup_f64 v[82:83], v[76:77], v[78:79], 1.0
	v_mul_f64 v[80:81], v[80:81], v[82:83]
	v_xor_b32_e32 v83, 0x80000000, v83
                                        ; implicit-def: $vgpr76_vgpr77
.LBB35_14:
	s_andn2_saveexec_b64 s[2:3], s[2:3]
	s_cbranch_execz .LBB35_16
; %bb.15:
	v_div_scale_f64 v[80:81], s[10:11], v[76:77], v[76:77], v[78:79]
	v_rcp_f64_e32 v[82:83], v[80:81]
	v_div_scale_f64 v[84:85], vcc, v[78:79], v[76:77], v[78:79]
	v_fma_f64 v[86:87], -v[80:81], v[82:83], 1.0
	v_fmac_f64_e32 v[82:83], v[82:83], v[86:87]
	v_fma_f64 v[86:87], -v[80:81], v[82:83], 1.0
	v_fmac_f64_e32 v[82:83], v[82:83], v[86:87]
	v_mul_f64 v[86:87], v[84:85], v[82:83]
	v_fma_f64 v[80:81], -v[80:81], v[86:87], v[84:85]
	v_div_fmas_f64 v[80:81], v[80:81], v[82:83], v[86:87]
	v_div_fixup_f64 v[82:83], v[80:81], v[76:77], v[78:79]
	v_fmac_f64_e32 v[76:77], v[78:79], v[82:83]
	v_div_scale_f64 v[78:79], s[10:11], v[76:77], v[76:77], 1.0
	v_rcp_f64_e32 v[80:81], v[78:79]
	s_nop 0
	v_fma_f64 v[84:85], -v[78:79], v[80:81], 1.0
	v_fmac_f64_e32 v[80:81], v[80:81], v[84:85]
	v_fma_f64 v[84:85], -v[78:79], v[80:81], 1.0
	v_fmac_f64_e32 v[80:81], v[80:81], v[84:85]
	v_div_scale_f64 v[84:85], vcc, 1.0, v[76:77], 1.0
	v_mul_f64 v[86:87], v[84:85], v[80:81]
	v_fma_f64 v[78:79], -v[78:79], v[86:87], v[84:85]
	s_nop 1
	v_div_fmas_f64 v[78:79], v[78:79], v[80:81], v[86:87]
	v_div_fixup_f64 v[80:81], v[78:79], v[76:77], 1.0
	v_mul_f64 v[82:83], v[82:83], -v[80:81]
.LBB35_16:
	s_or_b64 exec, exec, s[2:3]
	ds_write2_b64 v183, v[80:81], v[82:83] offset1:1
.LBB35_17:
	s_or_b64 exec, exec, s[4:5]
	s_waitcnt lgkmcnt(0)
	s_barrier
	ds_read2_b64 v[76:79], v183 offset1:1
	v_cmp_lt_u32_e32 vcc, 1, v182
	s_and_saveexec_b64 s[2:3], vcc
	s_cbranch_execz .LBB35_19
; %bb.18:
	ds_read2_b64 v[82:85], v184 offset0:4 offset1:5
	ds_read2_b64 v[86:89], v184 offset0:6 offset1:7
	s_waitcnt vmcnt(16) lgkmcnt(2)
	v_mul_f64 v[80:81], v[76:77], v[2:3]
	v_fmac_f64_e32 v[80:81], v[78:79], v[0:1]
	v_mul_f64 v[2:3], v[78:79], v[2:3]
	v_fma_f64 v[0:1], v[76:77], v[0:1], -v[2:3]
	s_waitcnt lgkmcnt(1)
	v_mul_f64 v[2:3], v[84:85], v[80:81]
	v_fma_f64 v[2:3], v[82:83], v[0:1], -v[2:3]
	v_mul_f64 v[82:83], v[82:83], v[80:81]
	v_fmac_f64_e32 v[82:83], v[84:85], v[0:1]
	s_waitcnt vmcnt(15)
	v_add_f64 v[12:13], v[12:13], -v[2:3]
	v_add_f64 v[14:15], v[14:15], -v[82:83]
	s_waitcnt lgkmcnt(0)
	v_mul_f64 v[2:3], v[88:89], v[80:81]
	ds_read2_b64 v[82:85], v184 offset0:8 offset1:9
	v_fma_f64 v[2:3], v[86:87], v[0:1], -v[2:3]
	v_mul_f64 v[86:87], v[86:87], v[80:81]
	v_fmac_f64_e32 v[86:87], v[88:89], v[0:1]
	s_waitcnt vmcnt(14)
	v_add_f64 v[10:11], v[10:11], -v[86:87]
	ds_read2_b64 v[86:89], v184 offset0:10 offset1:11
	v_add_f64 v[8:9], v[8:9], -v[2:3]
	s_waitcnt lgkmcnt(1)
	v_mul_f64 v[2:3], v[84:85], v[80:81]
	v_fma_f64 v[2:3], v[82:83], v[0:1], -v[2:3]
	v_mul_f64 v[82:83], v[82:83], v[80:81]
	v_fmac_f64_e32 v[82:83], v[84:85], v[0:1]
	s_waitcnt vmcnt(13)
	v_add_f64 v[64:65], v[64:65], -v[2:3]
	v_add_f64 v[66:67], v[66:67], -v[82:83]
	s_waitcnt lgkmcnt(0)
	v_mul_f64 v[2:3], v[88:89], v[80:81]
	ds_read2_b64 v[82:85], v184 offset0:12 offset1:13
	v_fma_f64 v[2:3], v[86:87], v[0:1], -v[2:3]
	v_mul_f64 v[86:87], v[86:87], v[80:81]
	v_fmac_f64_e32 v[86:87], v[88:89], v[0:1]
	s_waitcnt vmcnt(12)
	v_add_f64 v[62:63], v[62:63], -v[86:87]
	ds_read2_b64 v[86:89], v184 offset0:14 offset1:15
	v_add_f64 v[60:61], v[60:61], -v[2:3]
	;; [unrolled: 18-line block ×7, first 2 shown]
	s_waitcnt lgkmcnt(1)
	v_mul_f64 v[2:3], v[84:85], v[80:81]
	v_fma_f64 v[2:3], v[82:83], v[0:1], -v[2:3]
	v_mul_f64 v[82:83], v[82:83], v[80:81]
	v_fmac_f64_e32 v[82:83], v[84:85], v[0:1]
	s_waitcnt vmcnt(1)
	v_add_f64 v[16:17], v[16:17], -v[2:3]
	v_add_f64 v[18:19], v[18:19], -v[82:83]
	s_waitcnt lgkmcnt(0)
	v_mul_f64 v[2:3], v[88:89], v[80:81]
	v_mul_f64 v[82:83], v[86:87], v[80:81]
	v_fma_f64 v[2:3], v[86:87], v[0:1], -v[2:3]
	v_fmac_f64_e32 v[82:83], v[88:89], v[0:1]
	s_waitcnt vmcnt(0)
	v_add_f64 v[68:69], v[68:69], -v[2:3]
	v_add_f64 v[70:71], v[70:71], -v[82:83]
	v_mov_b64_e32 v[2:3], v[80:81]
.LBB35_19:
	s_or_b64 exec, exec, s[2:3]
	v_cmp_eq_u32_e32 vcc, 2, v182
	s_waitcnt lgkmcnt(0)
	s_barrier
	s_and_saveexec_b64 s[4:5], vcc
	s_cbranch_execz .LBB35_26
; %bb.20:
	s_waitcnt vmcnt(15)
	ds_write2_b64 v183, v[12:13], v[14:15] offset1:1
	s_waitcnt vmcnt(14)
	ds_write2_b64 v184, v[8:9], v[10:11] offset0:6 offset1:7
	s_waitcnt vmcnt(13)
	ds_write2_b64 v184, v[64:65], v[66:67] offset0:8 offset1:9
	;; [unrolled: 2-line block ×15, first 2 shown]
	ds_read2_b64 v[80:83], v183 offset1:1
	s_waitcnt lgkmcnt(0)
	v_cmp_neq_f64_e32 vcc, 0, v[80:81]
	v_cmp_neq_f64_e64 s[2:3], 0, v[82:83]
	s_or_b64 s[2:3], vcc, s[2:3]
	s_and_b64 exec, exec, s[2:3]
	s_cbranch_execz .LBB35_26
; %bb.21:
	v_cmp_ngt_f64_e64 s[2:3], |v[80:81]|, |v[82:83]|
                                        ; implicit-def: $vgpr84_vgpr85
	s_and_saveexec_b64 s[10:11], s[2:3]
	s_xor_b64 s[2:3], exec, s[10:11]
                                        ; implicit-def: $vgpr86_vgpr87
	s_cbranch_execz .LBB35_23
; %bb.22:
	v_div_scale_f64 v[84:85], s[10:11], v[82:83], v[82:83], v[80:81]
	v_rcp_f64_e32 v[86:87], v[84:85]
	v_div_scale_f64 v[88:89], vcc, v[80:81], v[82:83], v[80:81]
	v_fma_f64 v[90:91], -v[84:85], v[86:87], 1.0
	v_fmac_f64_e32 v[86:87], v[86:87], v[90:91]
	v_fma_f64 v[90:91], -v[84:85], v[86:87], 1.0
	v_fmac_f64_e32 v[86:87], v[86:87], v[90:91]
	v_mul_f64 v[90:91], v[88:89], v[86:87]
	v_fma_f64 v[84:85], -v[84:85], v[90:91], v[88:89]
	v_div_fmas_f64 v[84:85], v[84:85], v[86:87], v[90:91]
	v_div_fixup_f64 v[84:85], v[84:85], v[82:83], v[80:81]
	v_fmac_f64_e32 v[82:83], v[80:81], v[84:85]
	v_div_scale_f64 v[80:81], s[10:11], v[82:83], v[82:83], 1.0
	v_rcp_f64_e32 v[86:87], v[80:81]
	s_nop 0
	v_fma_f64 v[88:89], -v[80:81], v[86:87], 1.0
	v_fmac_f64_e32 v[86:87], v[86:87], v[88:89]
	v_fma_f64 v[88:89], -v[80:81], v[86:87], 1.0
	v_fmac_f64_e32 v[86:87], v[86:87], v[88:89]
	v_div_scale_f64 v[88:89], vcc, 1.0, v[82:83], 1.0
	v_mul_f64 v[90:91], v[88:89], v[86:87]
	v_fma_f64 v[80:81], -v[80:81], v[90:91], v[88:89]
	s_nop 1
	v_div_fmas_f64 v[80:81], v[80:81], v[86:87], v[90:91]
	v_div_fixup_f64 v[86:87], v[80:81], v[82:83], 1.0
	v_mul_f64 v[84:85], v[84:85], v[86:87]
	v_xor_b32_e32 v87, 0x80000000, v87
                                        ; implicit-def: $vgpr80_vgpr81
.LBB35_23:
	s_andn2_saveexec_b64 s[2:3], s[2:3]
	s_cbranch_execz .LBB35_25
; %bb.24:
	v_div_scale_f64 v[84:85], s[10:11], v[80:81], v[80:81], v[82:83]
	v_rcp_f64_e32 v[86:87], v[84:85]
	v_div_scale_f64 v[88:89], vcc, v[82:83], v[80:81], v[82:83]
	v_fma_f64 v[90:91], -v[84:85], v[86:87], 1.0
	v_fmac_f64_e32 v[86:87], v[86:87], v[90:91]
	v_fma_f64 v[90:91], -v[84:85], v[86:87], 1.0
	v_fmac_f64_e32 v[86:87], v[86:87], v[90:91]
	v_mul_f64 v[90:91], v[88:89], v[86:87]
	v_fma_f64 v[84:85], -v[84:85], v[90:91], v[88:89]
	v_div_fmas_f64 v[84:85], v[84:85], v[86:87], v[90:91]
	v_div_fixup_f64 v[86:87], v[84:85], v[80:81], v[82:83]
	v_fmac_f64_e32 v[80:81], v[82:83], v[86:87]
	v_div_scale_f64 v[82:83], s[10:11], v[80:81], v[80:81], 1.0
	v_rcp_f64_e32 v[84:85], v[82:83]
	s_nop 0
	v_fma_f64 v[88:89], -v[82:83], v[84:85], 1.0
	v_fmac_f64_e32 v[84:85], v[84:85], v[88:89]
	v_fma_f64 v[88:89], -v[82:83], v[84:85], 1.0
	v_fmac_f64_e32 v[84:85], v[84:85], v[88:89]
	v_div_scale_f64 v[88:89], vcc, 1.0, v[80:81], 1.0
	v_mul_f64 v[90:91], v[88:89], v[84:85]
	v_fma_f64 v[82:83], -v[82:83], v[90:91], v[88:89]
	s_nop 1
	v_div_fmas_f64 v[82:83], v[82:83], v[84:85], v[90:91]
	v_div_fixup_f64 v[84:85], v[82:83], v[80:81], 1.0
	v_mul_f64 v[86:87], v[86:87], -v[84:85]
.LBB35_25:
	s_or_b64 exec, exec, s[2:3]
	ds_write2_b64 v183, v[84:85], v[86:87] offset1:1
.LBB35_26:
	s_or_b64 exec, exec, s[4:5]
	s_waitcnt lgkmcnt(0)
	s_barrier
	ds_read2_b64 v[80:83], v183 offset1:1
	v_cmp_lt_u32_e32 vcc, 2, v182
	s_and_saveexec_b64 s[2:3], vcc
	s_cbranch_execz .LBB35_28
; %bb.27:
	ds_read2_b64 v[86:89], v184 offset0:6 offset1:7
	ds_read2_b64 v[90:93], v184 offset0:8 offset1:9
	s_waitcnt vmcnt(15) lgkmcnt(2)
	v_mul_f64 v[84:85], v[80:81], v[14:15]
	v_fmac_f64_e32 v[84:85], v[82:83], v[12:13]
	v_mul_f64 v[14:15], v[82:83], v[14:15]
	v_fma_f64 v[12:13], v[80:81], v[12:13], -v[14:15]
	s_waitcnt lgkmcnt(1)
	v_mul_f64 v[14:15], v[88:89], v[84:85]
	v_fma_f64 v[14:15], v[86:87], v[12:13], -v[14:15]
	v_mul_f64 v[86:87], v[86:87], v[84:85]
	v_fmac_f64_e32 v[86:87], v[88:89], v[12:13]
	s_waitcnt vmcnt(14)
	v_add_f64 v[10:11], v[10:11], -v[86:87]
	ds_read2_b64 v[86:89], v184 offset0:10 offset1:11
	v_add_f64 v[8:9], v[8:9], -v[14:15]
	s_waitcnt lgkmcnt(1)
	v_mul_f64 v[14:15], v[92:93], v[84:85]
	v_fma_f64 v[14:15], v[90:91], v[12:13], -v[14:15]
	v_mul_f64 v[90:91], v[90:91], v[84:85]
	v_fmac_f64_e32 v[90:91], v[92:93], v[12:13]
	s_waitcnt vmcnt(13)
	v_add_f64 v[64:65], v[64:65], -v[14:15]
	v_add_f64 v[66:67], v[66:67], -v[90:91]
	ds_read2_b64 v[90:93], v184 offset0:12 offset1:13
	s_waitcnt lgkmcnt(1)
	v_mul_f64 v[14:15], v[88:89], v[84:85]
	v_fma_f64 v[14:15], v[86:87], v[12:13], -v[14:15]
	v_mul_f64 v[86:87], v[86:87], v[84:85]
	v_fmac_f64_e32 v[86:87], v[88:89], v[12:13]
	s_waitcnt vmcnt(12)
	v_add_f64 v[62:63], v[62:63], -v[86:87]
	ds_read2_b64 v[86:89], v184 offset0:14 offset1:15
	v_add_f64 v[60:61], v[60:61], -v[14:15]
	s_waitcnt lgkmcnt(1)
	v_mul_f64 v[14:15], v[92:93], v[84:85]
	v_fma_f64 v[14:15], v[90:91], v[12:13], -v[14:15]
	v_mul_f64 v[90:91], v[90:91], v[84:85]
	v_fmac_f64_e32 v[90:91], v[92:93], v[12:13]
	s_waitcnt vmcnt(11)
	v_add_f64 v[56:57], v[56:57], -v[14:15]
	v_add_f64 v[58:59], v[58:59], -v[90:91]
	ds_read2_b64 v[90:93], v184 offset0:16 offset1:17
	;; [unrolled: 18-line block ×6, first 2 shown]
	s_waitcnt lgkmcnt(1)
	v_mul_f64 v[14:15], v[88:89], v[84:85]
	v_fma_f64 v[14:15], v[86:87], v[12:13], -v[14:15]
	v_mul_f64 v[86:87], v[86:87], v[84:85]
	v_fmac_f64_e32 v[86:87], v[88:89], v[12:13]
	s_waitcnt vmcnt(2)
	v_add_f64 v[22:23], v[22:23], -v[86:87]
	ds_read2_b64 v[86:89], v184 offset0:34 offset1:35
	v_add_f64 v[20:21], v[20:21], -v[14:15]
	s_waitcnt lgkmcnt(1)
	v_mul_f64 v[14:15], v[92:93], v[84:85]
	v_fma_f64 v[14:15], v[90:91], v[12:13], -v[14:15]
	s_waitcnt vmcnt(1)
	v_add_f64 v[16:17], v[16:17], -v[14:15]
	s_waitcnt lgkmcnt(0)
	v_mul_f64 v[14:15], v[88:89], v[84:85]
	v_mul_f64 v[90:91], v[90:91], v[84:85]
	v_fma_f64 v[14:15], v[86:87], v[12:13], -v[14:15]
	v_mul_f64 v[86:87], v[86:87], v[84:85]
	v_fmac_f64_e32 v[90:91], v[92:93], v[12:13]
	v_fmac_f64_e32 v[86:87], v[88:89], v[12:13]
	v_add_f64 v[18:19], v[18:19], -v[90:91]
	s_waitcnt vmcnt(0)
	v_add_f64 v[68:69], v[68:69], -v[14:15]
	v_add_f64 v[70:71], v[70:71], -v[86:87]
	v_mov_b64_e32 v[14:15], v[84:85]
.LBB35_28:
	s_or_b64 exec, exec, s[2:3]
	v_cmp_eq_u32_e32 vcc, 3, v182
	s_waitcnt lgkmcnt(0)
	s_barrier
	s_and_saveexec_b64 s[4:5], vcc
	s_cbranch_execz .LBB35_35
; %bb.29:
	s_waitcnt vmcnt(14)
	ds_write2_b64 v183, v[8:9], v[10:11] offset1:1
	s_waitcnt vmcnt(13)
	ds_write2_b64 v184, v[64:65], v[66:67] offset0:8 offset1:9
	s_waitcnt vmcnt(12)
	ds_write2_b64 v184, v[60:61], v[62:63] offset0:10 offset1:11
	;; [unrolled: 2-line block ×14, first 2 shown]
	ds_read2_b64 v[84:87], v183 offset1:1
	s_waitcnt lgkmcnt(0)
	v_cmp_neq_f64_e32 vcc, 0, v[84:85]
	v_cmp_neq_f64_e64 s[2:3], 0, v[86:87]
	s_or_b64 s[2:3], vcc, s[2:3]
	s_and_b64 exec, exec, s[2:3]
	s_cbranch_execz .LBB35_35
; %bb.30:
	v_cmp_ngt_f64_e64 s[2:3], |v[84:85]|, |v[86:87]|
                                        ; implicit-def: $vgpr88_vgpr89
	s_and_saveexec_b64 s[10:11], s[2:3]
	s_xor_b64 s[2:3], exec, s[10:11]
                                        ; implicit-def: $vgpr90_vgpr91
	s_cbranch_execz .LBB35_32
; %bb.31:
	v_div_scale_f64 v[88:89], s[10:11], v[86:87], v[86:87], v[84:85]
	v_rcp_f64_e32 v[90:91], v[88:89]
	v_div_scale_f64 v[92:93], vcc, v[84:85], v[86:87], v[84:85]
	v_fma_f64 v[94:95], -v[88:89], v[90:91], 1.0
	v_fmac_f64_e32 v[90:91], v[90:91], v[94:95]
	v_fma_f64 v[94:95], -v[88:89], v[90:91], 1.0
	v_fmac_f64_e32 v[90:91], v[90:91], v[94:95]
	v_mul_f64 v[94:95], v[92:93], v[90:91]
	v_fma_f64 v[88:89], -v[88:89], v[94:95], v[92:93]
	v_div_fmas_f64 v[88:89], v[88:89], v[90:91], v[94:95]
	v_div_fixup_f64 v[88:89], v[88:89], v[86:87], v[84:85]
	v_fmac_f64_e32 v[86:87], v[84:85], v[88:89]
	v_div_scale_f64 v[84:85], s[10:11], v[86:87], v[86:87], 1.0
	v_rcp_f64_e32 v[90:91], v[84:85]
	s_nop 0
	v_fma_f64 v[92:93], -v[84:85], v[90:91], 1.0
	v_fmac_f64_e32 v[90:91], v[90:91], v[92:93]
	v_fma_f64 v[92:93], -v[84:85], v[90:91], 1.0
	v_fmac_f64_e32 v[90:91], v[90:91], v[92:93]
	v_div_scale_f64 v[92:93], vcc, 1.0, v[86:87], 1.0
	v_mul_f64 v[94:95], v[92:93], v[90:91]
	v_fma_f64 v[84:85], -v[84:85], v[94:95], v[92:93]
	s_nop 1
	v_div_fmas_f64 v[84:85], v[84:85], v[90:91], v[94:95]
	v_div_fixup_f64 v[90:91], v[84:85], v[86:87], 1.0
	v_mul_f64 v[88:89], v[88:89], v[90:91]
	v_xor_b32_e32 v91, 0x80000000, v91
                                        ; implicit-def: $vgpr84_vgpr85
.LBB35_32:
	s_andn2_saveexec_b64 s[2:3], s[2:3]
	s_cbranch_execz .LBB35_34
; %bb.33:
	v_div_scale_f64 v[88:89], s[10:11], v[84:85], v[84:85], v[86:87]
	v_rcp_f64_e32 v[90:91], v[88:89]
	v_div_scale_f64 v[92:93], vcc, v[86:87], v[84:85], v[86:87]
	v_fma_f64 v[94:95], -v[88:89], v[90:91], 1.0
	v_fmac_f64_e32 v[90:91], v[90:91], v[94:95]
	v_fma_f64 v[94:95], -v[88:89], v[90:91], 1.0
	v_fmac_f64_e32 v[90:91], v[90:91], v[94:95]
	v_mul_f64 v[94:95], v[92:93], v[90:91]
	v_fma_f64 v[88:89], -v[88:89], v[94:95], v[92:93]
	v_div_fmas_f64 v[88:89], v[88:89], v[90:91], v[94:95]
	v_div_fixup_f64 v[90:91], v[88:89], v[84:85], v[86:87]
	v_fmac_f64_e32 v[84:85], v[86:87], v[90:91]
	v_div_scale_f64 v[86:87], s[10:11], v[84:85], v[84:85], 1.0
	v_rcp_f64_e32 v[88:89], v[86:87]
	s_nop 0
	v_fma_f64 v[92:93], -v[86:87], v[88:89], 1.0
	v_fmac_f64_e32 v[88:89], v[88:89], v[92:93]
	v_fma_f64 v[92:93], -v[86:87], v[88:89], 1.0
	v_fmac_f64_e32 v[88:89], v[88:89], v[92:93]
	v_div_scale_f64 v[92:93], vcc, 1.0, v[84:85], 1.0
	v_mul_f64 v[94:95], v[92:93], v[88:89]
	v_fma_f64 v[86:87], -v[86:87], v[94:95], v[92:93]
	s_nop 1
	v_div_fmas_f64 v[86:87], v[86:87], v[88:89], v[94:95]
	v_div_fixup_f64 v[88:89], v[86:87], v[84:85], 1.0
	v_mul_f64 v[90:91], v[90:91], -v[88:89]
.LBB35_34:
	s_or_b64 exec, exec, s[2:3]
	ds_write2_b64 v183, v[88:89], v[90:91] offset1:1
.LBB35_35:
	s_or_b64 exec, exec, s[4:5]
	s_waitcnt lgkmcnt(0)
	s_barrier
	ds_read2_b64 v[84:87], v183 offset1:1
	v_cmp_lt_u32_e32 vcc, 3, v182
	s_and_saveexec_b64 s[2:3], vcc
	s_cbranch_execz .LBB35_37
; %bb.36:
	ds_read2_b64 v[90:93], v184 offset0:8 offset1:9
	ds_read2_b64 v[94:97], v184 offset0:10 offset1:11
	s_waitcnt vmcnt(14) lgkmcnt(2)
	v_mul_f64 v[88:89], v[84:85], v[10:11]
	v_fmac_f64_e32 v[88:89], v[86:87], v[8:9]
	v_mul_f64 v[10:11], v[86:87], v[10:11]
	v_fma_f64 v[8:9], v[84:85], v[8:9], -v[10:11]
	s_waitcnt lgkmcnt(1)
	v_mul_f64 v[10:11], v[92:93], v[88:89]
	v_fma_f64 v[10:11], v[90:91], v[8:9], -v[10:11]
	v_mul_f64 v[90:91], v[90:91], v[88:89]
	v_fmac_f64_e32 v[90:91], v[92:93], v[8:9]
	s_waitcnt vmcnt(13)
	v_add_f64 v[64:65], v[64:65], -v[10:11]
	v_add_f64 v[66:67], v[66:67], -v[90:91]
	s_waitcnt lgkmcnt(0)
	v_mul_f64 v[10:11], v[96:97], v[88:89]
	ds_read2_b64 v[90:93], v184 offset0:12 offset1:13
	v_fma_f64 v[10:11], v[94:95], v[8:9], -v[10:11]
	v_mul_f64 v[94:95], v[94:95], v[88:89]
	v_fmac_f64_e32 v[94:95], v[96:97], v[8:9]
	s_waitcnt vmcnt(12)
	v_add_f64 v[62:63], v[62:63], -v[94:95]
	ds_read2_b64 v[94:97], v184 offset0:14 offset1:15
	v_add_f64 v[60:61], v[60:61], -v[10:11]
	s_waitcnt lgkmcnt(1)
	v_mul_f64 v[10:11], v[92:93], v[88:89]
	v_fma_f64 v[10:11], v[90:91], v[8:9], -v[10:11]
	v_mul_f64 v[90:91], v[90:91], v[88:89]
	v_fmac_f64_e32 v[90:91], v[92:93], v[8:9]
	s_waitcnt vmcnt(11)
	v_add_f64 v[56:57], v[56:57], -v[10:11]
	v_add_f64 v[58:59], v[58:59], -v[90:91]
	s_waitcnt lgkmcnt(0)
	v_mul_f64 v[10:11], v[96:97], v[88:89]
	ds_read2_b64 v[90:93], v184 offset0:16 offset1:17
	v_fma_f64 v[10:11], v[94:95], v[8:9], -v[10:11]
	v_mul_f64 v[94:95], v[94:95], v[88:89]
	v_fmac_f64_e32 v[94:95], v[96:97], v[8:9]
	s_waitcnt vmcnt(10)
	v_add_f64 v[54:55], v[54:55], -v[94:95]
	ds_read2_b64 v[94:97], v184 offset0:18 offset1:19
	v_add_f64 v[52:53], v[52:53], -v[10:11]
	;; [unrolled: 18-line block ×6, first 2 shown]
	s_waitcnt lgkmcnt(1)
	v_mul_f64 v[10:11], v[92:93], v[88:89]
	v_fma_f64 v[10:11], v[90:91], v[8:9], -v[10:11]
	v_mul_f64 v[90:91], v[90:91], v[88:89]
	v_fmac_f64_e32 v[90:91], v[92:93], v[8:9]
	s_waitcnt vmcnt(1)
	v_add_f64 v[16:17], v[16:17], -v[10:11]
	v_add_f64 v[18:19], v[18:19], -v[90:91]
	s_waitcnt lgkmcnt(0)
	v_mul_f64 v[10:11], v[96:97], v[88:89]
	v_mul_f64 v[90:91], v[94:95], v[88:89]
	v_fma_f64 v[10:11], v[94:95], v[8:9], -v[10:11]
	v_fmac_f64_e32 v[90:91], v[96:97], v[8:9]
	s_waitcnt vmcnt(0)
	v_add_f64 v[68:69], v[68:69], -v[10:11]
	v_add_f64 v[70:71], v[70:71], -v[90:91]
	v_mov_b64_e32 v[10:11], v[88:89]
.LBB35_37:
	s_or_b64 exec, exec, s[2:3]
	v_cmp_eq_u32_e32 vcc, 4, v182
	s_waitcnt lgkmcnt(0)
	s_barrier
	s_and_saveexec_b64 s[4:5], vcc
	s_cbranch_execz .LBB35_44
; %bb.38:
	s_waitcnt vmcnt(13)
	ds_write2_b64 v183, v[64:65], v[66:67] offset1:1
	s_waitcnt vmcnt(12)
	ds_write2_b64 v184, v[60:61], v[62:63] offset0:10 offset1:11
	s_waitcnt vmcnt(11)
	ds_write2_b64 v184, v[56:57], v[58:59] offset0:12 offset1:13
	;; [unrolled: 2-line block ×13, first 2 shown]
	ds_read2_b64 v[88:91], v183 offset1:1
	s_waitcnt lgkmcnt(0)
	v_cmp_neq_f64_e32 vcc, 0, v[88:89]
	v_cmp_neq_f64_e64 s[2:3], 0, v[90:91]
	s_or_b64 s[2:3], vcc, s[2:3]
	s_and_b64 exec, exec, s[2:3]
	s_cbranch_execz .LBB35_44
; %bb.39:
	v_cmp_ngt_f64_e64 s[2:3], |v[88:89]|, |v[90:91]|
                                        ; implicit-def: $vgpr92_vgpr93
	s_and_saveexec_b64 s[10:11], s[2:3]
	s_xor_b64 s[2:3], exec, s[10:11]
                                        ; implicit-def: $vgpr94_vgpr95
	s_cbranch_execz .LBB35_41
; %bb.40:
	v_div_scale_f64 v[92:93], s[10:11], v[90:91], v[90:91], v[88:89]
	v_rcp_f64_e32 v[94:95], v[92:93]
	v_div_scale_f64 v[96:97], vcc, v[88:89], v[90:91], v[88:89]
	v_fma_f64 v[98:99], -v[92:93], v[94:95], 1.0
	v_fmac_f64_e32 v[94:95], v[94:95], v[98:99]
	v_fma_f64 v[98:99], -v[92:93], v[94:95], 1.0
	v_fmac_f64_e32 v[94:95], v[94:95], v[98:99]
	v_mul_f64 v[98:99], v[96:97], v[94:95]
	v_fma_f64 v[92:93], -v[92:93], v[98:99], v[96:97]
	v_div_fmas_f64 v[92:93], v[92:93], v[94:95], v[98:99]
	v_div_fixup_f64 v[92:93], v[92:93], v[90:91], v[88:89]
	v_fmac_f64_e32 v[90:91], v[88:89], v[92:93]
	v_div_scale_f64 v[88:89], s[10:11], v[90:91], v[90:91], 1.0
	v_rcp_f64_e32 v[94:95], v[88:89]
	s_nop 0
	v_fma_f64 v[96:97], -v[88:89], v[94:95], 1.0
	v_fmac_f64_e32 v[94:95], v[94:95], v[96:97]
	v_fma_f64 v[96:97], -v[88:89], v[94:95], 1.0
	v_fmac_f64_e32 v[94:95], v[94:95], v[96:97]
	v_div_scale_f64 v[96:97], vcc, 1.0, v[90:91], 1.0
	v_mul_f64 v[98:99], v[96:97], v[94:95]
	v_fma_f64 v[88:89], -v[88:89], v[98:99], v[96:97]
	s_nop 1
	v_div_fmas_f64 v[88:89], v[88:89], v[94:95], v[98:99]
	v_div_fixup_f64 v[94:95], v[88:89], v[90:91], 1.0
	v_mul_f64 v[92:93], v[92:93], v[94:95]
	v_xor_b32_e32 v95, 0x80000000, v95
                                        ; implicit-def: $vgpr88_vgpr89
.LBB35_41:
	s_andn2_saveexec_b64 s[2:3], s[2:3]
	s_cbranch_execz .LBB35_43
; %bb.42:
	v_div_scale_f64 v[92:93], s[10:11], v[88:89], v[88:89], v[90:91]
	v_rcp_f64_e32 v[94:95], v[92:93]
	v_div_scale_f64 v[96:97], vcc, v[90:91], v[88:89], v[90:91]
	v_fma_f64 v[98:99], -v[92:93], v[94:95], 1.0
	v_fmac_f64_e32 v[94:95], v[94:95], v[98:99]
	v_fma_f64 v[98:99], -v[92:93], v[94:95], 1.0
	v_fmac_f64_e32 v[94:95], v[94:95], v[98:99]
	v_mul_f64 v[98:99], v[96:97], v[94:95]
	v_fma_f64 v[92:93], -v[92:93], v[98:99], v[96:97]
	v_div_fmas_f64 v[92:93], v[92:93], v[94:95], v[98:99]
	v_div_fixup_f64 v[94:95], v[92:93], v[88:89], v[90:91]
	v_fmac_f64_e32 v[88:89], v[90:91], v[94:95]
	v_div_scale_f64 v[90:91], s[10:11], v[88:89], v[88:89], 1.0
	v_rcp_f64_e32 v[92:93], v[90:91]
	s_nop 0
	v_fma_f64 v[96:97], -v[90:91], v[92:93], 1.0
	v_fmac_f64_e32 v[92:93], v[92:93], v[96:97]
	v_fma_f64 v[96:97], -v[90:91], v[92:93], 1.0
	v_fmac_f64_e32 v[92:93], v[92:93], v[96:97]
	v_div_scale_f64 v[96:97], vcc, 1.0, v[88:89], 1.0
	v_mul_f64 v[98:99], v[96:97], v[92:93]
	v_fma_f64 v[90:91], -v[90:91], v[98:99], v[96:97]
	s_nop 1
	v_div_fmas_f64 v[90:91], v[90:91], v[92:93], v[98:99]
	v_div_fixup_f64 v[92:93], v[90:91], v[88:89], 1.0
	v_mul_f64 v[94:95], v[94:95], -v[92:93]
.LBB35_43:
	s_or_b64 exec, exec, s[2:3]
	ds_write2_b64 v183, v[92:93], v[94:95] offset1:1
.LBB35_44:
	s_or_b64 exec, exec, s[4:5]
	s_waitcnt lgkmcnt(0)
	s_barrier
	ds_read2_b64 v[88:91], v183 offset1:1
	v_cmp_lt_u32_e32 vcc, 4, v182
	s_and_saveexec_b64 s[2:3], vcc
	s_cbranch_execz .LBB35_46
; %bb.45:
	ds_read2_b64 v[92:95], v184 offset0:10 offset1:11
	ds_read2_b64 v[96:99], v184 offset0:12 offset1:13
	s_waitcnt vmcnt(13) lgkmcnt(2)
	v_mul_f64 v[100:101], v[88:89], v[66:67]
	v_fmac_f64_e32 v[100:101], v[90:91], v[64:65]
	v_mul_f64 v[66:67], v[90:91], v[66:67]
	v_fma_f64 v[64:65], v[88:89], v[64:65], -v[66:67]
	s_waitcnt lgkmcnt(1)
	v_mul_f64 v[66:67], v[94:95], v[100:101]
	v_fma_f64 v[66:67], v[92:93], v[64:65], -v[66:67]
	v_mul_f64 v[92:93], v[92:93], v[100:101]
	v_fmac_f64_e32 v[92:93], v[94:95], v[64:65]
	s_waitcnt vmcnt(12)
	v_add_f64 v[62:63], v[62:63], -v[92:93]
	ds_read2_b64 v[92:95], v184 offset0:14 offset1:15
	v_add_f64 v[60:61], v[60:61], -v[66:67]
	s_waitcnt lgkmcnt(1)
	v_mul_f64 v[66:67], v[98:99], v[100:101]
	v_fma_f64 v[66:67], v[96:97], v[64:65], -v[66:67]
	v_mul_f64 v[96:97], v[96:97], v[100:101]
	v_fmac_f64_e32 v[96:97], v[98:99], v[64:65]
	s_waitcnt vmcnt(11)
	v_add_f64 v[56:57], v[56:57], -v[66:67]
	v_add_f64 v[58:59], v[58:59], -v[96:97]
	ds_read2_b64 v[96:99], v184 offset0:16 offset1:17
	s_waitcnt lgkmcnt(1)
	v_mul_f64 v[66:67], v[94:95], v[100:101]
	v_fma_f64 v[66:67], v[92:93], v[64:65], -v[66:67]
	v_mul_f64 v[92:93], v[92:93], v[100:101]
	v_fmac_f64_e32 v[92:93], v[94:95], v[64:65]
	s_waitcnt vmcnt(10)
	v_add_f64 v[54:55], v[54:55], -v[92:93]
	ds_read2_b64 v[92:95], v184 offset0:18 offset1:19
	v_add_f64 v[52:53], v[52:53], -v[66:67]
	s_waitcnt lgkmcnt(1)
	v_mul_f64 v[66:67], v[98:99], v[100:101]
	v_fma_f64 v[66:67], v[96:97], v[64:65], -v[66:67]
	v_mul_f64 v[96:97], v[96:97], v[100:101]
	v_fmac_f64_e32 v[96:97], v[98:99], v[64:65]
	s_waitcnt vmcnt(9)
	v_add_f64 v[48:49], v[48:49], -v[66:67]
	v_add_f64 v[50:51], v[50:51], -v[96:97]
	ds_read2_b64 v[96:99], v184 offset0:20 offset1:21
	;; [unrolled: 18-line block ×5, first 2 shown]
	s_waitcnt lgkmcnt(1)
	v_mul_f64 v[66:67], v[94:95], v[100:101]
	v_fma_f64 v[66:67], v[92:93], v[64:65], -v[66:67]
	v_mul_f64 v[92:93], v[92:93], v[100:101]
	v_fmac_f64_e32 v[92:93], v[94:95], v[64:65]
	s_waitcnt vmcnt(2)
	v_add_f64 v[22:23], v[22:23], -v[92:93]
	ds_read2_b64 v[92:95], v184 offset0:34 offset1:35
	v_add_f64 v[20:21], v[20:21], -v[66:67]
	s_waitcnt lgkmcnt(1)
	v_mul_f64 v[66:67], v[98:99], v[100:101]
	v_fma_f64 v[66:67], v[96:97], v[64:65], -v[66:67]
	s_waitcnt vmcnt(1)
	v_add_f64 v[16:17], v[16:17], -v[66:67]
	s_waitcnt lgkmcnt(0)
	v_mul_f64 v[66:67], v[94:95], v[100:101]
	v_mul_f64 v[96:97], v[96:97], v[100:101]
	v_fma_f64 v[66:67], v[92:93], v[64:65], -v[66:67]
	v_mul_f64 v[92:93], v[92:93], v[100:101]
	v_fmac_f64_e32 v[96:97], v[98:99], v[64:65]
	v_fmac_f64_e32 v[92:93], v[94:95], v[64:65]
	v_add_f64 v[18:19], v[18:19], -v[96:97]
	s_waitcnt vmcnt(0)
	v_add_f64 v[68:69], v[68:69], -v[66:67]
	v_add_f64 v[70:71], v[70:71], -v[92:93]
	v_mov_b64_e32 v[66:67], v[100:101]
.LBB35_46:
	s_or_b64 exec, exec, s[2:3]
	v_cmp_eq_u32_e32 vcc, 5, v182
	s_waitcnt lgkmcnt(0)
	s_barrier
	s_and_saveexec_b64 s[4:5], vcc
	s_cbranch_execz .LBB35_53
; %bb.47:
	s_waitcnt vmcnt(12)
	ds_write2_b64 v183, v[60:61], v[62:63] offset1:1
	s_waitcnt vmcnt(11)
	ds_write2_b64 v184, v[56:57], v[58:59] offset0:12 offset1:13
	s_waitcnt vmcnt(10)
	ds_write2_b64 v184, v[52:53], v[54:55] offset0:14 offset1:15
	;; [unrolled: 2-line block ×12, first 2 shown]
	ds_read2_b64 v[92:95], v183 offset1:1
	s_waitcnt lgkmcnt(0)
	v_cmp_neq_f64_e32 vcc, 0, v[92:93]
	v_cmp_neq_f64_e64 s[2:3], 0, v[94:95]
	s_or_b64 s[2:3], vcc, s[2:3]
	s_and_b64 exec, exec, s[2:3]
	s_cbranch_execz .LBB35_53
; %bb.48:
	v_cmp_ngt_f64_e64 s[2:3], |v[92:93]|, |v[94:95]|
                                        ; implicit-def: $vgpr96_vgpr97
	s_and_saveexec_b64 s[10:11], s[2:3]
	s_xor_b64 s[2:3], exec, s[10:11]
                                        ; implicit-def: $vgpr98_vgpr99
	s_cbranch_execz .LBB35_50
; %bb.49:
	v_div_scale_f64 v[96:97], s[10:11], v[94:95], v[94:95], v[92:93]
	v_rcp_f64_e32 v[98:99], v[96:97]
	v_div_scale_f64 v[100:101], vcc, v[92:93], v[94:95], v[92:93]
	v_fma_f64 v[102:103], -v[96:97], v[98:99], 1.0
	v_fmac_f64_e32 v[98:99], v[98:99], v[102:103]
	v_fma_f64 v[102:103], -v[96:97], v[98:99], 1.0
	v_fmac_f64_e32 v[98:99], v[98:99], v[102:103]
	v_mul_f64 v[102:103], v[100:101], v[98:99]
	v_fma_f64 v[96:97], -v[96:97], v[102:103], v[100:101]
	v_div_fmas_f64 v[96:97], v[96:97], v[98:99], v[102:103]
	v_div_fixup_f64 v[96:97], v[96:97], v[94:95], v[92:93]
	v_fmac_f64_e32 v[94:95], v[92:93], v[96:97]
	v_div_scale_f64 v[92:93], s[10:11], v[94:95], v[94:95], 1.0
	v_rcp_f64_e32 v[98:99], v[92:93]
	s_nop 0
	v_fma_f64 v[100:101], -v[92:93], v[98:99], 1.0
	v_fmac_f64_e32 v[98:99], v[98:99], v[100:101]
	v_fma_f64 v[100:101], -v[92:93], v[98:99], 1.0
	v_fmac_f64_e32 v[98:99], v[98:99], v[100:101]
	v_div_scale_f64 v[100:101], vcc, 1.0, v[94:95], 1.0
	v_mul_f64 v[102:103], v[100:101], v[98:99]
	v_fma_f64 v[92:93], -v[92:93], v[102:103], v[100:101]
	s_nop 1
	v_div_fmas_f64 v[92:93], v[92:93], v[98:99], v[102:103]
	v_div_fixup_f64 v[98:99], v[92:93], v[94:95], 1.0
	v_mul_f64 v[96:97], v[96:97], v[98:99]
	v_xor_b32_e32 v99, 0x80000000, v99
                                        ; implicit-def: $vgpr92_vgpr93
.LBB35_50:
	s_andn2_saveexec_b64 s[2:3], s[2:3]
	s_cbranch_execz .LBB35_52
; %bb.51:
	v_div_scale_f64 v[96:97], s[10:11], v[92:93], v[92:93], v[94:95]
	v_rcp_f64_e32 v[98:99], v[96:97]
	v_div_scale_f64 v[100:101], vcc, v[94:95], v[92:93], v[94:95]
	v_fma_f64 v[102:103], -v[96:97], v[98:99], 1.0
	v_fmac_f64_e32 v[98:99], v[98:99], v[102:103]
	v_fma_f64 v[102:103], -v[96:97], v[98:99], 1.0
	v_fmac_f64_e32 v[98:99], v[98:99], v[102:103]
	v_mul_f64 v[102:103], v[100:101], v[98:99]
	v_fma_f64 v[96:97], -v[96:97], v[102:103], v[100:101]
	v_div_fmas_f64 v[96:97], v[96:97], v[98:99], v[102:103]
	v_div_fixup_f64 v[98:99], v[96:97], v[92:93], v[94:95]
	v_fmac_f64_e32 v[92:93], v[94:95], v[98:99]
	v_div_scale_f64 v[94:95], s[10:11], v[92:93], v[92:93], 1.0
	v_rcp_f64_e32 v[96:97], v[94:95]
	s_nop 0
	v_fma_f64 v[100:101], -v[94:95], v[96:97], 1.0
	v_fmac_f64_e32 v[96:97], v[96:97], v[100:101]
	v_fma_f64 v[100:101], -v[94:95], v[96:97], 1.0
	v_fmac_f64_e32 v[96:97], v[96:97], v[100:101]
	v_div_scale_f64 v[100:101], vcc, 1.0, v[92:93], 1.0
	v_mul_f64 v[102:103], v[100:101], v[96:97]
	v_fma_f64 v[94:95], -v[94:95], v[102:103], v[100:101]
	s_nop 1
	v_div_fmas_f64 v[94:95], v[94:95], v[96:97], v[102:103]
	v_div_fixup_f64 v[96:97], v[94:95], v[92:93], 1.0
	v_mul_f64 v[98:99], v[98:99], -v[96:97]
.LBB35_52:
	s_or_b64 exec, exec, s[2:3]
	ds_write2_b64 v183, v[96:97], v[98:99] offset1:1
.LBB35_53:
	s_or_b64 exec, exec, s[4:5]
	s_waitcnt lgkmcnt(0)
	s_barrier
	ds_read2_b64 v[92:95], v183 offset1:1
	v_cmp_lt_u32_e32 vcc, 5, v182
	s_and_saveexec_b64 s[2:3], vcc
	s_cbranch_execz .LBB35_55
; %bb.54:
	ds_read2_b64 v[96:99], v184 offset0:12 offset1:13
	ds_read2_b64 v[100:103], v184 offset0:14 offset1:15
	s_waitcnt vmcnt(12) lgkmcnt(2)
	v_mul_f64 v[104:105], v[92:93], v[62:63]
	v_fmac_f64_e32 v[104:105], v[94:95], v[60:61]
	v_mul_f64 v[62:63], v[94:95], v[62:63]
	v_fma_f64 v[60:61], v[92:93], v[60:61], -v[62:63]
	s_waitcnt lgkmcnt(1)
	v_mul_f64 v[62:63], v[98:99], v[104:105]
	v_fma_f64 v[62:63], v[96:97], v[60:61], -v[62:63]
	v_mul_f64 v[96:97], v[96:97], v[104:105]
	v_fmac_f64_e32 v[96:97], v[98:99], v[60:61]
	s_waitcnt vmcnt(11)
	v_add_f64 v[56:57], v[56:57], -v[62:63]
	v_add_f64 v[58:59], v[58:59], -v[96:97]
	s_waitcnt lgkmcnt(0)
	v_mul_f64 v[62:63], v[102:103], v[104:105]
	ds_read2_b64 v[96:99], v184 offset0:16 offset1:17
	v_fma_f64 v[62:63], v[100:101], v[60:61], -v[62:63]
	v_mul_f64 v[100:101], v[100:101], v[104:105]
	v_fmac_f64_e32 v[100:101], v[102:103], v[60:61]
	s_waitcnt vmcnt(10)
	v_add_f64 v[54:55], v[54:55], -v[100:101]
	ds_read2_b64 v[100:103], v184 offset0:18 offset1:19
	v_add_f64 v[52:53], v[52:53], -v[62:63]
	s_waitcnt lgkmcnt(1)
	v_mul_f64 v[62:63], v[98:99], v[104:105]
	v_fma_f64 v[62:63], v[96:97], v[60:61], -v[62:63]
	v_mul_f64 v[96:97], v[96:97], v[104:105]
	v_fmac_f64_e32 v[96:97], v[98:99], v[60:61]
	s_waitcnt vmcnt(9)
	v_add_f64 v[48:49], v[48:49], -v[62:63]
	v_add_f64 v[50:51], v[50:51], -v[96:97]
	s_waitcnt lgkmcnt(0)
	v_mul_f64 v[62:63], v[102:103], v[104:105]
	ds_read2_b64 v[96:99], v184 offset0:20 offset1:21
	v_fma_f64 v[62:63], v[100:101], v[60:61], -v[62:63]
	v_mul_f64 v[100:101], v[100:101], v[104:105]
	v_fmac_f64_e32 v[100:101], v[102:103], v[60:61]
	s_waitcnt vmcnt(8)
	v_add_f64 v[46:47], v[46:47], -v[100:101]
	ds_read2_b64 v[100:103], v184 offset0:22 offset1:23
	v_add_f64 v[44:45], v[44:45], -v[62:63]
	;; [unrolled: 18-line block ×5, first 2 shown]
	s_waitcnt lgkmcnt(1)
	v_mul_f64 v[62:63], v[98:99], v[104:105]
	v_fma_f64 v[62:63], v[96:97], v[60:61], -v[62:63]
	v_mul_f64 v[96:97], v[96:97], v[104:105]
	v_fmac_f64_e32 v[96:97], v[98:99], v[60:61]
	s_waitcnt vmcnt(1)
	v_add_f64 v[16:17], v[16:17], -v[62:63]
	v_add_f64 v[18:19], v[18:19], -v[96:97]
	s_waitcnt lgkmcnt(0)
	v_mul_f64 v[62:63], v[102:103], v[104:105]
	v_mul_f64 v[96:97], v[100:101], v[104:105]
	v_fma_f64 v[62:63], v[100:101], v[60:61], -v[62:63]
	v_fmac_f64_e32 v[96:97], v[102:103], v[60:61]
	s_waitcnt vmcnt(0)
	v_add_f64 v[68:69], v[68:69], -v[62:63]
	v_add_f64 v[70:71], v[70:71], -v[96:97]
	v_mov_b64_e32 v[62:63], v[104:105]
.LBB35_55:
	s_or_b64 exec, exec, s[2:3]
	v_cmp_eq_u32_e32 vcc, 6, v182
	s_waitcnt lgkmcnt(0)
	s_barrier
	s_and_saveexec_b64 s[4:5], vcc
	s_cbranch_execz .LBB35_62
; %bb.56:
	s_waitcnt vmcnt(11)
	ds_write2_b64 v183, v[56:57], v[58:59] offset1:1
	s_waitcnt vmcnt(10)
	ds_write2_b64 v184, v[52:53], v[54:55] offset0:14 offset1:15
	s_waitcnt vmcnt(9)
	ds_write2_b64 v184, v[48:49], v[50:51] offset0:16 offset1:17
	;; [unrolled: 2-line block ×11, first 2 shown]
	ds_read2_b64 v[96:99], v183 offset1:1
	s_waitcnt lgkmcnt(0)
	v_cmp_neq_f64_e32 vcc, 0, v[96:97]
	v_cmp_neq_f64_e64 s[2:3], 0, v[98:99]
	s_or_b64 s[2:3], vcc, s[2:3]
	s_and_b64 exec, exec, s[2:3]
	s_cbranch_execz .LBB35_62
; %bb.57:
	v_cmp_ngt_f64_e64 s[2:3], |v[96:97]|, |v[98:99]|
                                        ; implicit-def: $vgpr100_vgpr101
	s_and_saveexec_b64 s[10:11], s[2:3]
	s_xor_b64 s[2:3], exec, s[10:11]
                                        ; implicit-def: $vgpr102_vgpr103
	s_cbranch_execz .LBB35_59
; %bb.58:
	v_div_scale_f64 v[100:101], s[10:11], v[98:99], v[98:99], v[96:97]
	v_rcp_f64_e32 v[102:103], v[100:101]
	v_div_scale_f64 v[104:105], vcc, v[96:97], v[98:99], v[96:97]
	v_fma_f64 v[106:107], -v[100:101], v[102:103], 1.0
	v_fmac_f64_e32 v[102:103], v[102:103], v[106:107]
	v_fma_f64 v[106:107], -v[100:101], v[102:103], 1.0
	v_fmac_f64_e32 v[102:103], v[102:103], v[106:107]
	v_mul_f64 v[106:107], v[104:105], v[102:103]
	v_fma_f64 v[100:101], -v[100:101], v[106:107], v[104:105]
	v_div_fmas_f64 v[100:101], v[100:101], v[102:103], v[106:107]
	v_div_fixup_f64 v[100:101], v[100:101], v[98:99], v[96:97]
	v_fmac_f64_e32 v[98:99], v[96:97], v[100:101]
	v_div_scale_f64 v[96:97], s[10:11], v[98:99], v[98:99], 1.0
	v_rcp_f64_e32 v[102:103], v[96:97]
	s_nop 0
	v_fma_f64 v[104:105], -v[96:97], v[102:103], 1.0
	v_fmac_f64_e32 v[102:103], v[102:103], v[104:105]
	v_fma_f64 v[104:105], -v[96:97], v[102:103], 1.0
	v_fmac_f64_e32 v[102:103], v[102:103], v[104:105]
	v_div_scale_f64 v[104:105], vcc, 1.0, v[98:99], 1.0
	v_mul_f64 v[106:107], v[104:105], v[102:103]
	v_fma_f64 v[96:97], -v[96:97], v[106:107], v[104:105]
	s_nop 1
	v_div_fmas_f64 v[96:97], v[96:97], v[102:103], v[106:107]
	v_div_fixup_f64 v[102:103], v[96:97], v[98:99], 1.0
	v_mul_f64 v[100:101], v[100:101], v[102:103]
	v_xor_b32_e32 v103, 0x80000000, v103
                                        ; implicit-def: $vgpr96_vgpr97
.LBB35_59:
	s_andn2_saveexec_b64 s[2:3], s[2:3]
	s_cbranch_execz .LBB35_61
; %bb.60:
	v_div_scale_f64 v[100:101], s[10:11], v[96:97], v[96:97], v[98:99]
	v_rcp_f64_e32 v[102:103], v[100:101]
	v_div_scale_f64 v[104:105], vcc, v[98:99], v[96:97], v[98:99]
	v_fma_f64 v[106:107], -v[100:101], v[102:103], 1.0
	v_fmac_f64_e32 v[102:103], v[102:103], v[106:107]
	v_fma_f64 v[106:107], -v[100:101], v[102:103], 1.0
	v_fmac_f64_e32 v[102:103], v[102:103], v[106:107]
	v_mul_f64 v[106:107], v[104:105], v[102:103]
	v_fma_f64 v[100:101], -v[100:101], v[106:107], v[104:105]
	v_div_fmas_f64 v[100:101], v[100:101], v[102:103], v[106:107]
	v_div_fixup_f64 v[102:103], v[100:101], v[96:97], v[98:99]
	v_fmac_f64_e32 v[96:97], v[98:99], v[102:103]
	v_div_scale_f64 v[98:99], s[10:11], v[96:97], v[96:97], 1.0
	v_rcp_f64_e32 v[100:101], v[98:99]
	s_nop 0
	v_fma_f64 v[104:105], -v[98:99], v[100:101], 1.0
	v_fmac_f64_e32 v[100:101], v[100:101], v[104:105]
	v_fma_f64 v[104:105], -v[98:99], v[100:101], 1.0
	v_fmac_f64_e32 v[100:101], v[100:101], v[104:105]
	v_div_scale_f64 v[104:105], vcc, 1.0, v[96:97], 1.0
	v_mul_f64 v[106:107], v[104:105], v[100:101]
	v_fma_f64 v[98:99], -v[98:99], v[106:107], v[104:105]
	s_nop 1
	v_div_fmas_f64 v[98:99], v[98:99], v[100:101], v[106:107]
	v_div_fixup_f64 v[100:101], v[98:99], v[96:97], 1.0
	v_mul_f64 v[102:103], v[102:103], -v[100:101]
.LBB35_61:
	s_or_b64 exec, exec, s[2:3]
	ds_write2_b64 v183, v[100:101], v[102:103] offset1:1
.LBB35_62:
	s_or_b64 exec, exec, s[4:5]
	s_waitcnt lgkmcnt(0)
	s_barrier
	ds_read2_b64 v[96:99], v183 offset1:1
	v_cmp_lt_u32_e32 vcc, 6, v182
	s_and_saveexec_b64 s[2:3], vcc
	s_cbranch_execz .LBB35_64
; %bb.63:
	ds_read2_b64 v[100:103], v184 offset0:14 offset1:15
	ds_read2_b64 v[104:107], v184 offset0:16 offset1:17
	s_waitcnt vmcnt(11) lgkmcnt(2)
	v_mul_f64 v[108:109], v[96:97], v[58:59]
	v_fmac_f64_e32 v[108:109], v[98:99], v[56:57]
	v_mul_f64 v[58:59], v[98:99], v[58:59]
	v_fma_f64 v[56:57], v[96:97], v[56:57], -v[58:59]
	s_waitcnt lgkmcnt(1)
	v_mul_f64 v[58:59], v[102:103], v[108:109]
	v_fma_f64 v[58:59], v[100:101], v[56:57], -v[58:59]
	v_mul_f64 v[100:101], v[100:101], v[108:109]
	v_fmac_f64_e32 v[100:101], v[102:103], v[56:57]
	s_waitcnt vmcnt(10)
	v_add_f64 v[54:55], v[54:55], -v[100:101]
	ds_read2_b64 v[100:103], v184 offset0:18 offset1:19
	v_add_f64 v[52:53], v[52:53], -v[58:59]
	s_waitcnt lgkmcnt(1)
	v_mul_f64 v[58:59], v[106:107], v[108:109]
	v_fma_f64 v[58:59], v[104:105], v[56:57], -v[58:59]
	v_mul_f64 v[104:105], v[104:105], v[108:109]
	v_fmac_f64_e32 v[104:105], v[106:107], v[56:57]
	s_waitcnt vmcnt(9)
	v_add_f64 v[48:49], v[48:49], -v[58:59]
	v_add_f64 v[50:51], v[50:51], -v[104:105]
	ds_read2_b64 v[104:107], v184 offset0:20 offset1:21
	s_waitcnt lgkmcnt(1)
	v_mul_f64 v[58:59], v[102:103], v[108:109]
	v_fma_f64 v[58:59], v[100:101], v[56:57], -v[58:59]
	v_mul_f64 v[100:101], v[100:101], v[108:109]
	v_fmac_f64_e32 v[100:101], v[102:103], v[56:57]
	s_waitcnt vmcnt(8)
	v_add_f64 v[46:47], v[46:47], -v[100:101]
	ds_read2_b64 v[100:103], v184 offset0:22 offset1:23
	v_add_f64 v[44:45], v[44:45], -v[58:59]
	s_waitcnt lgkmcnt(1)
	v_mul_f64 v[58:59], v[106:107], v[108:109]
	v_fma_f64 v[58:59], v[104:105], v[56:57], -v[58:59]
	v_mul_f64 v[104:105], v[104:105], v[108:109]
	v_fmac_f64_e32 v[104:105], v[106:107], v[56:57]
	s_waitcnt vmcnt(7)
	v_add_f64 v[40:41], v[40:41], -v[58:59]
	v_add_f64 v[42:43], v[42:43], -v[104:105]
	ds_read2_b64 v[104:107], v184 offset0:24 offset1:25
	;; [unrolled: 18-line block ×4, first 2 shown]
	s_waitcnt lgkmcnt(1)
	v_mul_f64 v[58:59], v[102:103], v[108:109]
	v_fma_f64 v[58:59], v[100:101], v[56:57], -v[58:59]
	v_mul_f64 v[100:101], v[100:101], v[108:109]
	v_fmac_f64_e32 v[100:101], v[102:103], v[56:57]
	s_waitcnt vmcnt(2)
	v_add_f64 v[22:23], v[22:23], -v[100:101]
	ds_read2_b64 v[100:103], v184 offset0:34 offset1:35
	v_add_f64 v[20:21], v[20:21], -v[58:59]
	s_waitcnt lgkmcnt(1)
	v_mul_f64 v[58:59], v[106:107], v[108:109]
	v_fma_f64 v[58:59], v[104:105], v[56:57], -v[58:59]
	s_waitcnt vmcnt(1)
	v_add_f64 v[16:17], v[16:17], -v[58:59]
	s_waitcnt lgkmcnt(0)
	v_mul_f64 v[58:59], v[102:103], v[108:109]
	v_mul_f64 v[104:105], v[104:105], v[108:109]
	v_fma_f64 v[58:59], v[100:101], v[56:57], -v[58:59]
	v_mul_f64 v[100:101], v[100:101], v[108:109]
	v_fmac_f64_e32 v[104:105], v[106:107], v[56:57]
	v_fmac_f64_e32 v[100:101], v[102:103], v[56:57]
	v_add_f64 v[18:19], v[18:19], -v[104:105]
	s_waitcnt vmcnt(0)
	v_add_f64 v[68:69], v[68:69], -v[58:59]
	v_add_f64 v[70:71], v[70:71], -v[100:101]
	v_mov_b64_e32 v[58:59], v[108:109]
.LBB35_64:
	s_or_b64 exec, exec, s[2:3]
	v_cmp_eq_u32_e32 vcc, 7, v182
	s_waitcnt lgkmcnt(0)
	s_barrier
	s_and_saveexec_b64 s[4:5], vcc
	s_cbranch_execz .LBB35_71
; %bb.65:
	s_waitcnt vmcnt(10)
	ds_write2_b64 v183, v[52:53], v[54:55] offset1:1
	s_waitcnt vmcnt(9)
	ds_write2_b64 v184, v[48:49], v[50:51] offset0:16 offset1:17
	s_waitcnt vmcnt(8)
	ds_write2_b64 v184, v[44:45], v[46:47] offset0:18 offset1:19
	;; [unrolled: 2-line block ×10, first 2 shown]
	ds_read2_b64 v[100:103], v183 offset1:1
	s_waitcnt lgkmcnt(0)
	v_cmp_neq_f64_e32 vcc, 0, v[100:101]
	v_cmp_neq_f64_e64 s[2:3], 0, v[102:103]
	s_or_b64 s[2:3], vcc, s[2:3]
	s_and_b64 exec, exec, s[2:3]
	s_cbranch_execz .LBB35_71
; %bb.66:
	v_cmp_ngt_f64_e64 s[2:3], |v[100:101]|, |v[102:103]|
                                        ; implicit-def: $vgpr104_vgpr105
	s_and_saveexec_b64 s[10:11], s[2:3]
	s_xor_b64 s[2:3], exec, s[10:11]
                                        ; implicit-def: $vgpr106_vgpr107
	s_cbranch_execz .LBB35_68
; %bb.67:
	v_div_scale_f64 v[104:105], s[10:11], v[102:103], v[102:103], v[100:101]
	v_rcp_f64_e32 v[106:107], v[104:105]
	v_div_scale_f64 v[108:109], vcc, v[100:101], v[102:103], v[100:101]
	v_fma_f64 v[110:111], -v[104:105], v[106:107], 1.0
	v_fmac_f64_e32 v[106:107], v[106:107], v[110:111]
	v_fma_f64 v[110:111], -v[104:105], v[106:107], 1.0
	v_fmac_f64_e32 v[106:107], v[106:107], v[110:111]
	v_mul_f64 v[110:111], v[108:109], v[106:107]
	v_fma_f64 v[104:105], -v[104:105], v[110:111], v[108:109]
	v_div_fmas_f64 v[104:105], v[104:105], v[106:107], v[110:111]
	v_div_fixup_f64 v[104:105], v[104:105], v[102:103], v[100:101]
	v_fmac_f64_e32 v[102:103], v[100:101], v[104:105]
	v_div_scale_f64 v[100:101], s[10:11], v[102:103], v[102:103], 1.0
	v_rcp_f64_e32 v[106:107], v[100:101]
	s_nop 0
	v_fma_f64 v[108:109], -v[100:101], v[106:107], 1.0
	v_fmac_f64_e32 v[106:107], v[106:107], v[108:109]
	v_fma_f64 v[108:109], -v[100:101], v[106:107], 1.0
	v_fmac_f64_e32 v[106:107], v[106:107], v[108:109]
	v_div_scale_f64 v[108:109], vcc, 1.0, v[102:103], 1.0
	v_mul_f64 v[110:111], v[108:109], v[106:107]
	v_fma_f64 v[100:101], -v[100:101], v[110:111], v[108:109]
	s_nop 1
	v_div_fmas_f64 v[100:101], v[100:101], v[106:107], v[110:111]
	v_div_fixup_f64 v[106:107], v[100:101], v[102:103], 1.0
	v_mul_f64 v[104:105], v[104:105], v[106:107]
	v_xor_b32_e32 v107, 0x80000000, v107
                                        ; implicit-def: $vgpr100_vgpr101
.LBB35_68:
	s_andn2_saveexec_b64 s[2:3], s[2:3]
	s_cbranch_execz .LBB35_70
; %bb.69:
	v_div_scale_f64 v[104:105], s[10:11], v[100:101], v[100:101], v[102:103]
	v_rcp_f64_e32 v[106:107], v[104:105]
	v_div_scale_f64 v[108:109], vcc, v[102:103], v[100:101], v[102:103]
	v_fma_f64 v[110:111], -v[104:105], v[106:107], 1.0
	v_fmac_f64_e32 v[106:107], v[106:107], v[110:111]
	v_fma_f64 v[110:111], -v[104:105], v[106:107], 1.0
	v_fmac_f64_e32 v[106:107], v[106:107], v[110:111]
	v_mul_f64 v[110:111], v[108:109], v[106:107]
	v_fma_f64 v[104:105], -v[104:105], v[110:111], v[108:109]
	v_div_fmas_f64 v[104:105], v[104:105], v[106:107], v[110:111]
	v_div_fixup_f64 v[106:107], v[104:105], v[100:101], v[102:103]
	v_fmac_f64_e32 v[100:101], v[102:103], v[106:107]
	v_div_scale_f64 v[102:103], s[10:11], v[100:101], v[100:101], 1.0
	v_rcp_f64_e32 v[104:105], v[102:103]
	s_nop 0
	v_fma_f64 v[108:109], -v[102:103], v[104:105], 1.0
	v_fmac_f64_e32 v[104:105], v[104:105], v[108:109]
	v_fma_f64 v[108:109], -v[102:103], v[104:105], 1.0
	v_fmac_f64_e32 v[104:105], v[104:105], v[108:109]
	v_div_scale_f64 v[108:109], vcc, 1.0, v[100:101], 1.0
	v_mul_f64 v[110:111], v[108:109], v[104:105]
	v_fma_f64 v[102:103], -v[102:103], v[110:111], v[108:109]
	s_nop 1
	v_div_fmas_f64 v[102:103], v[102:103], v[104:105], v[110:111]
	v_div_fixup_f64 v[104:105], v[102:103], v[100:101], 1.0
	v_mul_f64 v[106:107], v[106:107], -v[104:105]
.LBB35_70:
	s_or_b64 exec, exec, s[2:3]
	ds_write2_b64 v183, v[104:105], v[106:107] offset1:1
.LBB35_71:
	s_or_b64 exec, exec, s[4:5]
	s_waitcnt lgkmcnt(0)
	s_barrier
	ds_read2_b64 v[100:103], v183 offset1:1
	v_cmp_lt_u32_e32 vcc, 7, v182
	s_and_saveexec_b64 s[2:3], vcc
	s_cbranch_execz .LBB35_73
; %bb.72:
	ds_read2_b64 v[104:107], v184 offset0:16 offset1:17
	ds_read2_b64 v[108:111], v184 offset0:18 offset1:19
	s_waitcnt vmcnt(10) lgkmcnt(2)
	v_mul_f64 v[112:113], v[100:101], v[54:55]
	v_fmac_f64_e32 v[112:113], v[102:103], v[52:53]
	v_mul_f64 v[54:55], v[102:103], v[54:55]
	v_fma_f64 v[52:53], v[100:101], v[52:53], -v[54:55]
	s_waitcnt lgkmcnt(1)
	v_mul_f64 v[54:55], v[106:107], v[112:113]
	v_fma_f64 v[54:55], v[104:105], v[52:53], -v[54:55]
	v_mul_f64 v[104:105], v[104:105], v[112:113]
	v_fmac_f64_e32 v[104:105], v[106:107], v[52:53]
	s_waitcnt vmcnt(9)
	v_add_f64 v[48:49], v[48:49], -v[54:55]
	v_add_f64 v[50:51], v[50:51], -v[104:105]
	s_waitcnt lgkmcnt(0)
	v_mul_f64 v[54:55], v[110:111], v[112:113]
	ds_read2_b64 v[104:107], v184 offset0:20 offset1:21
	v_fma_f64 v[54:55], v[108:109], v[52:53], -v[54:55]
	v_mul_f64 v[108:109], v[108:109], v[112:113]
	v_fmac_f64_e32 v[108:109], v[110:111], v[52:53]
	s_waitcnt vmcnt(8)
	v_add_f64 v[46:47], v[46:47], -v[108:109]
	ds_read2_b64 v[108:111], v184 offset0:22 offset1:23
	v_add_f64 v[44:45], v[44:45], -v[54:55]
	s_waitcnt lgkmcnt(1)
	v_mul_f64 v[54:55], v[106:107], v[112:113]
	v_fma_f64 v[54:55], v[104:105], v[52:53], -v[54:55]
	v_mul_f64 v[104:105], v[104:105], v[112:113]
	v_fmac_f64_e32 v[104:105], v[106:107], v[52:53]
	s_waitcnt vmcnt(7)
	v_add_f64 v[40:41], v[40:41], -v[54:55]
	v_add_f64 v[42:43], v[42:43], -v[104:105]
	s_waitcnt lgkmcnt(0)
	v_mul_f64 v[54:55], v[110:111], v[112:113]
	ds_read2_b64 v[104:107], v184 offset0:24 offset1:25
	v_fma_f64 v[54:55], v[108:109], v[52:53], -v[54:55]
	v_mul_f64 v[108:109], v[108:109], v[112:113]
	v_fmac_f64_e32 v[108:109], v[110:111], v[52:53]
	s_waitcnt vmcnt(6)
	v_add_f64 v[38:39], v[38:39], -v[108:109]
	ds_read2_b64 v[108:111], v184 offset0:26 offset1:27
	v_add_f64 v[36:37], v[36:37], -v[54:55]
	;; [unrolled: 18-line block ×4, first 2 shown]
	s_waitcnt lgkmcnt(1)
	v_mul_f64 v[54:55], v[106:107], v[112:113]
	v_fma_f64 v[54:55], v[104:105], v[52:53], -v[54:55]
	v_mul_f64 v[104:105], v[104:105], v[112:113]
	v_fmac_f64_e32 v[104:105], v[106:107], v[52:53]
	s_waitcnt vmcnt(1)
	v_add_f64 v[16:17], v[16:17], -v[54:55]
	v_add_f64 v[18:19], v[18:19], -v[104:105]
	s_waitcnt lgkmcnt(0)
	v_mul_f64 v[54:55], v[110:111], v[112:113]
	v_mul_f64 v[104:105], v[108:109], v[112:113]
	v_fma_f64 v[54:55], v[108:109], v[52:53], -v[54:55]
	v_fmac_f64_e32 v[104:105], v[110:111], v[52:53]
	s_waitcnt vmcnt(0)
	v_add_f64 v[68:69], v[68:69], -v[54:55]
	v_add_f64 v[70:71], v[70:71], -v[104:105]
	v_mov_b64_e32 v[54:55], v[112:113]
.LBB35_73:
	s_or_b64 exec, exec, s[2:3]
	v_cmp_eq_u32_e32 vcc, 8, v182
	s_waitcnt lgkmcnt(0)
	s_barrier
	s_and_saveexec_b64 s[4:5], vcc
	s_cbranch_execz .LBB35_80
; %bb.74:
	s_waitcnt vmcnt(9)
	ds_write2_b64 v183, v[48:49], v[50:51] offset1:1
	s_waitcnt vmcnt(8)
	ds_write2_b64 v184, v[44:45], v[46:47] offset0:18 offset1:19
	s_waitcnt vmcnt(7)
	ds_write2_b64 v184, v[40:41], v[42:43] offset0:20 offset1:21
	;; [unrolled: 2-line block ×9, first 2 shown]
	ds_read2_b64 v[104:107], v183 offset1:1
	s_waitcnt lgkmcnt(0)
	v_cmp_neq_f64_e32 vcc, 0, v[104:105]
	v_cmp_neq_f64_e64 s[2:3], 0, v[106:107]
	s_or_b64 s[2:3], vcc, s[2:3]
	s_and_b64 exec, exec, s[2:3]
	s_cbranch_execz .LBB35_80
; %bb.75:
	v_cmp_ngt_f64_e64 s[2:3], |v[104:105]|, |v[106:107]|
                                        ; implicit-def: $vgpr108_vgpr109
	s_and_saveexec_b64 s[10:11], s[2:3]
	s_xor_b64 s[2:3], exec, s[10:11]
                                        ; implicit-def: $vgpr110_vgpr111
	s_cbranch_execz .LBB35_77
; %bb.76:
	v_div_scale_f64 v[108:109], s[10:11], v[106:107], v[106:107], v[104:105]
	v_rcp_f64_e32 v[110:111], v[108:109]
	v_div_scale_f64 v[112:113], vcc, v[104:105], v[106:107], v[104:105]
	v_fma_f64 v[114:115], -v[108:109], v[110:111], 1.0
	v_fmac_f64_e32 v[110:111], v[110:111], v[114:115]
	v_fma_f64 v[114:115], -v[108:109], v[110:111], 1.0
	v_fmac_f64_e32 v[110:111], v[110:111], v[114:115]
	v_mul_f64 v[114:115], v[112:113], v[110:111]
	v_fma_f64 v[108:109], -v[108:109], v[114:115], v[112:113]
	v_div_fmas_f64 v[108:109], v[108:109], v[110:111], v[114:115]
	v_div_fixup_f64 v[108:109], v[108:109], v[106:107], v[104:105]
	v_fmac_f64_e32 v[106:107], v[104:105], v[108:109]
	v_div_scale_f64 v[104:105], s[10:11], v[106:107], v[106:107], 1.0
	v_rcp_f64_e32 v[110:111], v[104:105]
	s_nop 0
	v_fma_f64 v[112:113], -v[104:105], v[110:111], 1.0
	v_fmac_f64_e32 v[110:111], v[110:111], v[112:113]
	v_fma_f64 v[112:113], -v[104:105], v[110:111], 1.0
	v_fmac_f64_e32 v[110:111], v[110:111], v[112:113]
	v_div_scale_f64 v[112:113], vcc, 1.0, v[106:107], 1.0
	v_mul_f64 v[114:115], v[112:113], v[110:111]
	v_fma_f64 v[104:105], -v[104:105], v[114:115], v[112:113]
	s_nop 1
	v_div_fmas_f64 v[104:105], v[104:105], v[110:111], v[114:115]
	v_div_fixup_f64 v[110:111], v[104:105], v[106:107], 1.0
	v_mul_f64 v[108:109], v[108:109], v[110:111]
	v_xor_b32_e32 v111, 0x80000000, v111
                                        ; implicit-def: $vgpr104_vgpr105
.LBB35_77:
	s_andn2_saveexec_b64 s[2:3], s[2:3]
	s_cbranch_execz .LBB35_79
; %bb.78:
	v_div_scale_f64 v[108:109], s[10:11], v[104:105], v[104:105], v[106:107]
	v_rcp_f64_e32 v[110:111], v[108:109]
	v_div_scale_f64 v[112:113], vcc, v[106:107], v[104:105], v[106:107]
	v_fma_f64 v[114:115], -v[108:109], v[110:111], 1.0
	v_fmac_f64_e32 v[110:111], v[110:111], v[114:115]
	v_fma_f64 v[114:115], -v[108:109], v[110:111], 1.0
	v_fmac_f64_e32 v[110:111], v[110:111], v[114:115]
	v_mul_f64 v[114:115], v[112:113], v[110:111]
	v_fma_f64 v[108:109], -v[108:109], v[114:115], v[112:113]
	v_div_fmas_f64 v[108:109], v[108:109], v[110:111], v[114:115]
	v_div_fixup_f64 v[110:111], v[108:109], v[104:105], v[106:107]
	v_fmac_f64_e32 v[104:105], v[106:107], v[110:111]
	v_div_scale_f64 v[106:107], s[10:11], v[104:105], v[104:105], 1.0
	v_rcp_f64_e32 v[108:109], v[106:107]
	s_nop 0
	v_fma_f64 v[112:113], -v[106:107], v[108:109], 1.0
	v_fmac_f64_e32 v[108:109], v[108:109], v[112:113]
	v_fma_f64 v[112:113], -v[106:107], v[108:109], 1.0
	v_fmac_f64_e32 v[108:109], v[108:109], v[112:113]
	v_div_scale_f64 v[112:113], vcc, 1.0, v[104:105], 1.0
	v_mul_f64 v[114:115], v[112:113], v[108:109]
	v_fma_f64 v[106:107], -v[106:107], v[114:115], v[112:113]
	s_nop 1
	v_div_fmas_f64 v[106:107], v[106:107], v[108:109], v[114:115]
	v_div_fixup_f64 v[108:109], v[106:107], v[104:105], 1.0
	v_mul_f64 v[110:111], v[110:111], -v[108:109]
.LBB35_79:
	s_or_b64 exec, exec, s[2:3]
	ds_write2_b64 v183, v[108:109], v[110:111] offset1:1
.LBB35_80:
	s_or_b64 exec, exec, s[4:5]
	s_waitcnt lgkmcnt(0)
	s_barrier
	ds_read2_b64 v[104:107], v183 offset1:1
	v_cmp_lt_u32_e32 vcc, 8, v182
	s_and_saveexec_b64 s[2:3], vcc
	s_cbranch_execz .LBB35_82
; %bb.81:
	ds_read2_b64 v[108:111], v184 offset0:18 offset1:19
	ds_read2_b64 v[112:115], v184 offset0:20 offset1:21
	s_waitcnt vmcnt(9) lgkmcnt(2)
	v_mul_f64 v[116:117], v[104:105], v[50:51]
	v_fmac_f64_e32 v[116:117], v[106:107], v[48:49]
	v_mul_f64 v[50:51], v[106:107], v[50:51]
	v_fma_f64 v[48:49], v[104:105], v[48:49], -v[50:51]
	s_waitcnt lgkmcnt(1)
	v_mul_f64 v[50:51], v[110:111], v[116:117]
	v_fma_f64 v[50:51], v[108:109], v[48:49], -v[50:51]
	v_mul_f64 v[108:109], v[108:109], v[116:117]
	v_fmac_f64_e32 v[108:109], v[110:111], v[48:49]
	s_waitcnt vmcnt(8)
	v_add_f64 v[46:47], v[46:47], -v[108:109]
	ds_read2_b64 v[108:111], v184 offset0:22 offset1:23
	v_add_f64 v[44:45], v[44:45], -v[50:51]
	s_waitcnt lgkmcnt(1)
	v_mul_f64 v[50:51], v[114:115], v[116:117]
	v_fma_f64 v[50:51], v[112:113], v[48:49], -v[50:51]
	v_mul_f64 v[112:113], v[112:113], v[116:117]
	v_fmac_f64_e32 v[112:113], v[114:115], v[48:49]
	s_waitcnt vmcnt(7)
	v_add_f64 v[40:41], v[40:41], -v[50:51]
	v_add_f64 v[42:43], v[42:43], -v[112:113]
	ds_read2_b64 v[112:115], v184 offset0:24 offset1:25
	s_waitcnt lgkmcnt(1)
	v_mul_f64 v[50:51], v[110:111], v[116:117]
	v_fma_f64 v[50:51], v[108:109], v[48:49], -v[50:51]
	v_mul_f64 v[108:109], v[108:109], v[116:117]
	v_fmac_f64_e32 v[108:109], v[110:111], v[48:49]
	s_waitcnt vmcnt(6)
	v_add_f64 v[38:39], v[38:39], -v[108:109]
	ds_read2_b64 v[108:111], v184 offset0:26 offset1:27
	v_add_f64 v[36:37], v[36:37], -v[50:51]
	s_waitcnt lgkmcnt(1)
	v_mul_f64 v[50:51], v[114:115], v[116:117]
	v_fma_f64 v[50:51], v[112:113], v[48:49], -v[50:51]
	v_mul_f64 v[112:113], v[112:113], v[116:117]
	v_fmac_f64_e32 v[112:113], v[114:115], v[48:49]
	s_waitcnt vmcnt(5)
	v_add_f64 v[32:33], v[32:33], -v[50:51]
	v_add_f64 v[34:35], v[34:35], -v[112:113]
	ds_read2_b64 v[112:115], v184 offset0:28 offset1:29
	;; [unrolled: 18-line block ×3, first 2 shown]
	s_waitcnt lgkmcnt(1)
	v_mul_f64 v[50:51], v[110:111], v[116:117]
	v_fma_f64 v[50:51], v[108:109], v[48:49], -v[50:51]
	v_mul_f64 v[108:109], v[108:109], v[116:117]
	v_fmac_f64_e32 v[108:109], v[110:111], v[48:49]
	s_waitcnt vmcnt(2)
	v_add_f64 v[22:23], v[22:23], -v[108:109]
	ds_read2_b64 v[108:111], v184 offset0:34 offset1:35
	v_add_f64 v[20:21], v[20:21], -v[50:51]
	s_waitcnt lgkmcnt(1)
	v_mul_f64 v[50:51], v[114:115], v[116:117]
	v_fma_f64 v[50:51], v[112:113], v[48:49], -v[50:51]
	s_waitcnt vmcnt(1)
	v_add_f64 v[16:17], v[16:17], -v[50:51]
	s_waitcnt lgkmcnt(0)
	v_mul_f64 v[50:51], v[110:111], v[116:117]
	v_mul_f64 v[112:113], v[112:113], v[116:117]
	v_fma_f64 v[50:51], v[108:109], v[48:49], -v[50:51]
	v_mul_f64 v[108:109], v[108:109], v[116:117]
	v_fmac_f64_e32 v[112:113], v[114:115], v[48:49]
	v_fmac_f64_e32 v[108:109], v[110:111], v[48:49]
	v_add_f64 v[18:19], v[18:19], -v[112:113]
	s_waitcnt vmcnt(0)
	v_add_f64 v[68:69], v[68:69], -v[50:51]
	v_add_f64 v[70:71], v[70:71], -v[108:109]
	v_mov_b64_e32 v[50:51], v[116:117]
.LBB35_82:
	s_or_b64 exec, exec, s[2:3]
	v_cmp_eq_u32_e32 vcc, 9, v182
	s_waitcnt lgkmcnt(0)
	s_barrier
	s_and_saveexec_b64 s[4:5], vcc
	s_cbranch_execz .LBB35_89
; %bb.83:
	s_waitcnt vmcnt(8)
	ds_write2_b64 v183, v[44:45], v[46:47] offset1:1
	s_waitcnt vmcnt(7)
	ds_write2_b64 v184, v[40:41], v[42:43] offset0:20 offset1:21
	s_waitcnt vmcnt(6)
	ds_write2_b64 v184, v[36:37], v[38:39] offset0:22 offset1:23
	;; [unrolled: 2-line block ×8, first 2 shown]
	ds_read2_b64 v[108:111], v183 offset1:1
	s_waitcnt lgkmcnt(0)
	v_cmp_neq_f64_e32 vcc, 0, v[108:109]
	v_cmp_neq_f64_e64 s[2:3], 0, v[110:111]
	s_or_b64 s[2:3], vcc, s[2:3]
	s_and_b64 exec, exec, s[2:3]
	s_cbranch_execz .LBB35_89
; %bb.84:
	v_cmp_ngt_f64_e64 s[2:3], |v[108:109]|, |v[110:111]|
                                        ; implicit-def: $vgpr112_vgpr113
	s_and_saveexec_b64 s[10:11], s[2:3]
	s_xor_b64 s[2:3], exec, s[10:11]
                                        ; implicit-def: $vgpr114_vgpr115
	s_cbranch_execz .LBB35_86
; %bb.85:
	v_div_scale_f64 v[112:113], s[10:11], v[110:111], v[110:111], v[108:109]
	v_rcp_f64_e32 v[114:115], v[112:113]
	v_div_scale_f64 v[116:117], vcc, v[108:109], v[110:111], v[108:109]
	v_fma_f64 v[118:119], -v[112:113], v[114:115], 1.0
	v_fmac_f64_e32 v[114:115], v[114:115], v[118:119]
	v_fma_f64 v[118:119], -v[112:113], v[114:115], 1.0
	v_fmac_f64_e32 v[114:115], v[114:115], v[118:119]
	v_mul_f64 v[118:119], v[116:117], v[114:115]
	v_fma_f64 v[112:113], -v[112:113], v[118:119], v[116:117]
	v_div_fmas_f64 v[112:113], v[112:113], v[114:115], v[118:119]
	v_div_fixup_f64 v[112:113], v[112:113], v[110:111], v[108:109]
	v_fmac_f64_e32 v[110:111], v[108:109], v[112:113]
	v_div_scale_f64 v[108:109], s[10:11], v[110:111], v[110:111], 1.0
	v_rcp_f64_e32 v[114:115], v[108:109]
	s_nop 0
	v_fma_f64 v[116:117], -v[108:109], v[114:115], 1.0
	v_fmac_f64_e32 v[114:115], v[114:115], v[116:117]
	v_fma_f64 v[116:117], -v[108:109], v[114:115], 1.0
	v_fmac_f64_e32 v[114:115], v[114:115], v[116:117]
	v_div_scale_f64 v[116:117], vcc, 1.0, v[110:111], 1.0
	v_mul_f64 v[118:119], v[116:117], v[114:115]
	v_fma_f64 v[108:109], -v[108:109], v[118:119], v[116:117]
	s_nop 1
	v_div_fmas_f64 v[108:109], v[108:109], v[114:115], v[118:119]
	v_div_fixup_f64 v[114:115], v[108:109], v[110:111], 1.0
	v_mul_f64 v[112:113], v[112:113], v[114:115]
	v_xor_b32_e32 v115, 0x80000000, v115
                                        ; implicit-def: $vgpr108_vgpr109
.LBB35_86:
	s_andn2_saveexec_b64 s[2:3], s[2:3]
	s_cbranch_execz .LBB35_88
; %bb.87:
	v_div_scale_f64 v[112:113], s[10:11], v[108:109], v[108:109], v[110:111]
	v_rcp_f64_e32 v[114:115], v[112:113]
	v_div_scale_f64 v[116:117], vcc, v[110:111], v[108:109], v[110:111]
	v_fma_f64 v[118:119], -v[112:113], v[114:115], 1.0
	v_fmac_f64_e32 v[114:115], v[114:115], v[118:119]
	v_fma_f64 v[118:119], -v[112:113], v[114:115], 1.0
	v_fmac_f64_e32 v[114:115], v[114:115], v[118:119]
	v_mul_f64 v[118:119], v[116:117], v[114:115]
	v_fma_f64 v[112:113], -v[112:113], v[118:119], v[116:117]
	v_div_fmas_f64 v[112:113], v[112:113], v[114:115], v[118:119]
	v_div_fixup_f64 v[114:115], v[112:113], v[108:109], v[110:111]
	v_fmac_f64_e32 v[108:109], v[110:111], v[114:115]
	v_div_scale_f64 v[110:111], s[10:11], v[108:109], v[108:109], 1.0
	v_rcp_f64_e32 v[112:113], v[110:111]
	s_nop 0
	v_fma_f64 v[116:117], -v[110:111], v[112:113], 1.0
	v_fmac_f64_e32 v[112:113], v[112:113], v[116:117]
	v_fma_f64 v[116:117], -v[110:111], v[112:113], 1.0
	v_fmac_f64_e32 v[112:113], v[112:113], v[116:117]
	v_div_scale_f64 v[116:117], vcc, 1.0, v[108:109], 1.0
	v_mul_f64 v[118:119], v[116:117], v[112:113]
	v_fma_f64 v[110:111], -v[110:111], v[118:119], v[116:117]
	s_nop 1
	v_div_fmas_f64 v[110:111], v[110:111], v[112:113], v[118:119]
	v_div_fixup_f64 v[112:113], v[110:111], v[108:109], 1.0
	v_mul_f64 v[114:115], v[114:115], -v[112:113]
.LBB35_88:
	s_or_b64 exec, exec, s[2:3]
	ds_write2_b64 v183, v[112:113], v[114:115] offset1:1
.LBB35_89:
	s_or_b64 exec, exec, s[4:5]
	s_waitcnt lgkmcnt(0)
	s_barrier
	ds_read2_b64 v[108:111], v183 offset1:1
	v_cmp_lt_u32_e32 vcc, 9, v182
	s_and_saveexec_b64 s[2:3], vcc
	s_cbranch_execz .LBB35_91
; %bb.90:
	ds_read2_b64 v[112:115], v184 offset0:20 offset1:21
	ds_read2_b64 v[116:119], v184 offset0:22 offset1:23
	s_waitcnt vmcnt(8) lgkmcnt(2)
	v_mul_f64 v[120:121], v[108:109], v[46:47]
	v_fmac_f64_e32 v[120:121], v[110:111], v[44:45]
	v_mul_f64 v[46:47], v[110:111], v[46:47]
	v_fma_f64 v[44:45], v[108:109], v[44:45], -v[46:47]
	s_waitcnt lgkmcnt(1)
	v_mul_f64 v[46:47], v[114:115], v[120:121]
	v_fma_f64 v[46:47], v[112:113], v[44:45], -v[46:47]
	v_mul_f64 v[112:113], v[112:113], v[120:121]
	v_fmac_f64_e32 v[112:113], v[114:115], v[44:45]
	s_waitcnt vmcnt(7)
	v_add_f64 v[40:41], v[40:41], -v[46:47]
	v_add_f64 v[42:43], v[42:43], -v[112:113]
	s_waitcnt lgkmcnt(0)
	v_mul_f64 v[46:47], v[118:119], v[120:121]
	ds_read2_b64 v[112:115], v184 offset0:24 offset1:25
	v_fma_f64 v[46:47], v[116:117], v[44:45], -v[46:47]
	v_mul_f64 v[116:117], v[116:117], v[120:121]
	v_fmac_f64_e32 v[116:117], v[118:119], v[44:45]
	s_waitcnt vmcnt(6)
	v_add_f64 v[38:39], v[38:39], -v[116:117]
	ds_read2_b64 v[116:119], v184 offset0:26 offset1:27
	v_add_f64 v[36:37], v[36:37], -v[46:47]
	s_waitcnt lgkmcnt(1)
	v_mul_f64 v[46:47], v[114:115], v[120:121]
	v_fma_f64 v[46:47], v[112:113], v[44:45], -v[46:47]
	v_mul_f64 v[112:113], v[112:113], v[120:121]
	v_fmac_f64_e32 v[112:113], v[114:115], v[44:45]
	s_waitcnt vmcnt(5)
	v_add_f64 v[32:33], v[32:33], -v[46:47]
	v_add_f64 v[34:35], v[34:35], -v[112:113]
	s_waitcnt lgkmcnt(0)
	v_mul_f64 v[46:47], v[118:119], v[120:121]
	ds_read2_b64 v[112:115], v184 offset0:28 offset1:29
	v_fma_f64 v[46:47], v[116:117], v[44:45], -v[46:47]
	v_mul_f64 v[116:117], v[116:117], v[120:121]
	v_fmac_f64_e32 v[116:117], v[118:119], v[44:45]
	s_waitcnt vmcnt(4)
	v_add_f64 v[30:31], v[30:31], -v[116:117]
	ds_read2_b64 v[116:119], v184 offset0:30 offset1:31
	v_add_f64 v[28:29], v[28:29], -v[46:47]
	;; [unrolled: 18-line block ×3, first 2 shown]
	s_waitcnt lgkmcnt(1)
	v_mul_f64 v[46:47], v[114:115], v[120:121]
	v_fma_f64 v[46:47], v[112:113], v[44:45], -v[46:47]
	v_mul_f64 v[112:113], v[112:113], v[120:121]
	v_fmac_f64_e32 v[112:113], v[114:115], v[44:45]
	s_waitcnt vmcnt(1)
	v_add_f64 v[16:17], v[16:17], -v[46:47]
	v_add_f64 v[18:19], v[18:19], -v[112:113]
	s_waitcnt lgkmcnt(0)
	v_mul_f64 v[46:47], v[118:119], v[120:121]
	v_mul_f64 v[112:113], v[116:117], v[120:121]
	v_fma_f64 v[46:47], v[116:117], v[44:45], -v[46:47]
	v_fmac_f64_e32 v[112:113], v[118:119], v[44:45]
	s_waitcnt vmcnt(0)
	v_add_f64 v[68:69], v[68:69], -v[46:47]
	v_add_f64 v[70:71], v[70:71], -v[112:113]
	v_mov_b64_e32 v[46:47], v[120:121]
.LBB35_91:
	s_or_b64 exec, exec, s[2:3]
	v_cmp_eq_u32_e32 vcc, 10, v182
	s_waitcnt lgkmcnt(0)
	s_barrier
	s_and_saveexec_b64 s[4:5], vcc
	s_cbranch_execz .LBB35_98
; %bb.92:
	s_waitcnt vmcnt(7)
	ds_write2_b64 v183, v[40:41], v[42:43] offset1:1
	s_waitcnt vmcnt(6)
	ds_write2_b64 v184, v[36:37], v[38:39] offset0:22 offset1:23
	s_waitcnt vmcnt(5)
	ds_write2_b64 v184, v[32:33], v[34:35] offset0:24 offset1:25
	;; [unrolled: 2-line block ×7, first 2 shown]
	ds_read2_b64 v[112:115], v183 offset1:1
	s_waitcnt lgkmcnt(0)
	v_cmp_neq_f64_e32 vcc, 0, v[112:113]
	v_cmp_neq_f64_e64 s[2:3], 0, v[114:115]
	s_or_b64 s[2:3], vcc, s[2:3]
	s_and_b64 exec, exec, s[2:3]
	s_cbranch_execz .LBB35_98
; %bb.93:
	v_cmp_ngt_f64_e64 s[2:3], |v[112:113]|, |v[114:115]|
                                        ; implicit-def: $vgpr116_vgpr117
	s_and_saveexec_b64 s[10:11], s[2:3]
	s_xor_b64 s[2:3], exec, s[10:11]
                                        ; implicit-def: $vgpr118_vgpr119
	s_cbranch_execz .LBB35_95
; %bb.94:
	v_div_scale_f64 v[116:117], s[10:11], v[114:115], v[114:115], v[112:113]
	v_rcp_f64_e32 v[118:119], v[116:117]
	v_div_scale_f64 v[120:121], vcc, v[112:113], v[114:115], v[112:113]
	v_fma_f64 v[122:123], -v[116:117], v[118:119], 1.0
	v_fmac_f64_e32 v[118:119], v[118:119], v[122:123]
	v_fma_f64 v[122:123], -v[116:117], v[118:119], 1.0
	v_fmac_f64_e32 v[118:119], v[118:119], v[122:123]
	v_mul_f64 v[122:123], v[120:121], v[118:119]
	v_fma_f64 v[116:117], -v[116:117], v[122:123], v[120:121]
	v_div_fmas_f64 v[116:117], v[116:117], v[118:119], v[122:123]
	v_div_fixup_f64 v[116:117], v[116:117], v[114:115], v[112:113]
	v_fmac_f64_e32 v[114:115], v[112:113], v[116:117]
	v_div_scale_f64 v[112:113], s[10:11], v[114:115], v[114:115], 1.0
	v_rcp_f64_e32 v[118:119], v[112:113]
	s_nop 0
	v_fma_f64 v[120:121], -v[112:113], v[118:119], 1.0
	v_fmac_f64_e32 v[118:119], v[118:119], v[120:121]
	v_fma_f64 v[120:121], -v[112:113], v[118:119], 1.0
	v_fmac_f64_e32 v[118:119], v[118:119], v[120:121]
	v_div_scale_f64 v[120:121], vcc, 1.0, v[114:115], 1.0
	v_mul_f64 v[122:123], v[120:121], v[118:119]
	v_fma_f64 v[112:113], -v[112:113], v[122:123], v[120:121]
	s_nop 1
	v_div_fmas_f64 v[112:113], v[112:113], v[118:119], v[122:123]
	v_div_fixup_f64 v[118:119], v[112:113], v[114:115], 1.0
	v_mul_f64 v[116:117], v[116:117], v[118:119]
	v_xor_b32_e32 v119, 0x80000000, v119
                                        ; implicit-def: $vgpr112_vgpr113
.LBB35_95:
	s_andn2_saveexec_b64 s[2:3], s[2:3]
	s_cbranch_execz .LBB35_97
; %bb.96:
	v_div_scale_f64 v[116:117], s[10:11], v[112:113], v[112:113], v[114:115]
	v_rcp_f64_e32 v[118:119], v[116:117]
	v_div_scale_f64 v[120:121], vcc, v[114:115], v[112:113], v[114:115]
	v_fma_f64 v[122:123], -v[116:117], v[118:119], 1.0
	v_fmac_f64_e32 v[118:119], v[118:119], v[122:123]
	v_fma_f64 v[122:123], -v[116:117], v[118:119], 1.0
	v_fmac_f64_e32 v[118:119], v[118:119], v[122:123]
	v_mul_f64 v[122:123], v[120:121], v[118:119]
	v_fma_f64 v[116:117], -v[116:117], v[122:123], v[120:121]
	v_div_fmas_f64 v[116:117], v[116:117], v[118:119], v[122:123]
	v_div_fixup_f64 v[118:119], v[116:117], v[112:113], v[114:115]
	v_fmac_f64_e32 v[112:113], v[114:115], v[118:119]
	v_div_scale_f64 v[114:115], s[10:11], v[112:113], v[112:113], 1.0
	v_rcp_f64_e32 v[116:117], v[114:115]
	s_nop 0
	v_fma_f64 v[120:121], -v[114:115], v[116:117], 1.0
	v_fmac_f64_e32 v[116:117], v[116:117], v[120:121]
	v_fma_f64 v[120:121], -v[114:115], v[116:117], 1.0
	v_fmac_f64_e32 v[116:117], v[116:117], v[120:121]
	v_div_scale_f64 v[120:121], vcc, 1.0, v[112:113], 1.0
	v_mul_f64 v[122:123], v[120:121], v[116:117]
	v_fma_f64 v[114:115], -v[114:115], v[122:123], v[120:121]
	s_nop 1
	v_div_fmas_f64 v[114:115], v[114:115], v[116:117], v[122:123]
	v_div_fixup_f64 v[116:117], v[114:115], v[112:113], 1.0
	v_mul_f64 v[118:119], v[118:119], -v[116:117]
.LBB35_97:
	s_or_b64 exec, exec, s[2:3]
	ds_write2_b64 v183, v[116:117], v[118:119] offset1:1
.LBB35_98:
	s_or_b64 exec, exec, s[4:5]
	s_waitcnt lgkmcnt(0)
	s_barrier
	ds_read2_b64 v[112:115], v183 offset1:1
	v_cmp_lt_u32_e32 vcc, 10, v182
	s_and_saveexec_b64 s[2:3], vcc
	s_cbranch_execz .LBB35_100
; %bb.99:
	ds_read2_b64 v[116:119], v184 offset0:22 offset1:23
	s_waitcnt vmcnt(7) lgkmcnt(1)
	v_mul_f64 v[120:121], v[112:113], v[42:43]
	v_fmac_f64_e32 v[120:121], v[114:115], v[40:41]
	v_mul_f64 v[42:43], v[114:115], v[42:43]
	v_fma_f64 v[40:41], v[112:113], v[40:41], -v[42:43]
	s_waitcnt lgkmcnt(0)
	v_mul_f64 v[42:43], v[118:119], v[120:121]
	v_fma_f64 v[42:43], v[116:117], v[40:41], -v[42:43]
	v_mul_f64 v[116:117], v[116:117], v[120:121]
	v_fmac_f64_e32 v[116:117], v[118:119], v[40:41]
	s_waitcnt vmcnt(6)
	v_add_f64 v[38:39], v[38:39], -v[116:117]
	ds_read2_b64 v[116:119], v184 offset0:24 offset1:25
	v_add_f64 v[36:37], v[36:37], -v[42:43]
	s_waitcnt lgkmcnt(0)
	v_mul_f64 v[42:43], v[118:119], v[120:121]
	v_fma_f64 v[42:43], v[116:117], v[40:41], -v[42:43]
	v_mul_f64 v[116:117], v[116:117], v[120:121]
	v_fmac_f64_e32 v[116:117], v[118:119], v[40:41]
	s_waitcnt vmcnt(5)
	v_add_f64 v[34:35], v[34:35], -v[116:117]
	ds_read2_b64 v[116:119], v184 offset0:26 offset1:27
	v_add_f64 v[32:33], v[32:33], -v[42:43]
	;; [unrolled: 9-line block ×6, first 2 shown]
	s_waitcnt lgkmcnt(0)
	v_mul_f64 v[42:43], v[118:119], v[120:121]
	v_fma_f64 v[42:43], v[116:117], v[40:41], -v[42:43]
	v_mul_f64 v[116:117], v[116:117], v[120:121]
	v_fmac_f64_e32 v[116:117], v[118:119], v[40:41]
	s_waitcnt vmcnt(0)
	v_add_f64 v[68:69], v[68:69], -v[42:43]
	v_add_f64 v[70:71], v[70:71], -v[116:117]
	v_mov_b64_e32 v[42:43], v[120:121]
.LBB35_100:
	s_or_b64 exec, exec, s[2:3]
	v_cmp_eq_u32_e32 vcc, 11, v182
	s_waitcnt lgkmcnt(0)
	s_barrier
	s_and_saveexec_b64 s[4:5], vcc
	s_cbranch_execz .LBB35_107
; %bb.101:
	s_waitcnt vmcnt(6)
	ds_write2_b64 v183, v[36:37], v[38:39] offset1:1
	s_waitcnt vmcnt(5)
	ds_write2_b64 v184, v[32:33], v[34:35] offset0:24 offset1:25
	s_waitcnt vmcnt(4)
	ds_write2_b64 v184, v[28:29], v[30:31] offset0:26 offset1:27
	;; [unrolled: 2-line block ×6, first 2 shown]
	ds_read2_b64 v[116:119], v183 offset1:1
	s_waitcnt lgkmcnt(0)
	v_cmp_neq_f64_e32 vcc, 0, v[116:117]
	v_cmp_neq_f64_e64 s[2:3], 0, v[118:119]
	s_or_b64 s[2:3], vcc, s[2:3]
	s_and_b64 exec, exec, s[2:3]
	s_cbranch_execz .LBB35_107
; %bb.102:
	v_cmp_ngt_f64_e64 s[2:3], |v[116:117]|, |v[118:119]|
                                        ; implicit-def: $vgpr120_vgpr121
	s_and_saveexec_b64 s[10:11], s[2:3]
	s_xor_b64 s[2:3], exec, s[10:11]
                                        ; implicit-def: $vgpr122_vgpr123
	s_cbranch_execz .LBB35_104
; %bb.103:
	v_div_scale_f64 v[120:121], s[10:11], v[118:119], v[118:119], v[116:117]
	v_rcp_f64_e32 v[122:123], v[120:121]
	v_div_scale_f64 v[124:125], vcc, v[116:117], v[118:119], v[116:117]
	v_fma_f64 v[126:127], -v[120:121], v[122:123], 1.0
	v_fmac_f64_e32 v[122:123], v[122:123], v[126:127]
	v_fma_f64 v[126:127], -v[120:121], v[122:123], 1.0
	v_fmac_f64_e32 v[122:123], v[122:123], v[126:127]
	v_mul_f64 v[126:127], v[124:125], v[122:123]
	v_fma_f64 v[120:121], -v[120:121], v[126:127], v[124:125]
	v_div_fmas_f64 v[120:121], v[120:121], v[122:123], v[126:127]
	v_div_fixup_f64 v[120:121], v[120:121], v[118:119], v[116:117]
	v_fmac_f64_e32 v[118:119], v[116:117], v[120:121]
	v_div_scale_f64 v[116:117], s[10:11], v[118:119], v[118:119], 1.0
	v_rcp_f64_e32 v[122:123], v[116:117]
	s_nop 0
	v_fma_f64 v[124:125], -v[116:117], v[122:123], 1.0
	v_fmac_f64_e32 v[122:123], v[122:123], v[124:125]
	v_fma_f64 v[124:125], -v[116:117], v[122:123], 1.0
	v_fmac_f64_e32 v[122:123], v[122:123], v[124:125]
	v_div_scale_f64 v[124:125], vcc, 1.0, v[118:119], 1.0
	v_mul_f64 v[126:127], v[124:125], v[122:123]
	v_fma_f64 v[116:117], -v[116:117], v[126:127], v[124:125]
	s_nop 1
	v_div_fmas_f64 v[116:117], v[116:117], v[122:123], v[126:127]
	v_div_fixup_f64 v[122:123], v[116:117], v[118:119], 1.0
	v_mul_f64 v[120:121], v[120:121], v[122:123]
	v_xor_b32_e32 v123, 0x80000000, v123
                                        ; implicit-def: $vgpr116_vgpr117
.LBB35_104:
	s_andn2_saveexec_b64 s[2:3], s[2:3]
	s_cbranch_execz .LBB35_106
; %bb.105:
	v_div_scale_f64 v[120:121], s[10:11], v[116:117], v[116:117], v[118:119]
	v_rcp_f64_e32 v[122:123], v[120:121]
	v_div_scale_f64 v[124:125], vcc, v[118:119], v[116:117], v[118:119]
	v_fma_f64 v[126:127], -v[120:121], v[122:123], 1.0
	v_fmac_f64_e32 v[122:123], v[122:123], v[126:127]
	v_fma_f64 v[126:127], -v[120:121], v[122:123], 1.0
	v_fmac_f64_e32 v[122:123], v[122:123], v[126:127]
	v_mul_f64 v[126:127], v[124:125], v[122:123]
	v_fma_f64 v[120:121], -v[120:121], v[126:127], v[124:125]
	v_div_fmas_f64 v[120:121], v[120:121], v[122:123], v[126:127]
	v_div_fixup_f64 v[122:123], v[120:121], v[116:117], v[118:119]
	v_fmac_f64_e32 v[116:117], v[118:119], v[122:123]
	v_div_scale_f64 v[118:119], s[10:11], v[116:117], v[116:117], 1.0
	v_rcp_f64_e32 v[120:121], v[118:119]
	s_nop 0
	v_fma_f64 v[124:125], -v[118:119], v[120:121], 1.0
	v_fmac_f64_e32 v[120:121], v[120:121], v[124:125]
	v_fma_f64 v[124:125], -v[118:119], v[120:121], 1.0
	v_fmac_f64_e32 v[120:121], v[120:121], v[124:125]
	v_div_scale_f64 v[124:125], vcc, 1.0, v[116:117], 1.0
	v_mul_f64 v[126:127], v[124:125], v[120:121]
	v_fma_f64 v[118:119], -v[118:119], v[126:127], v[124:125]
	s_nop 1
	v_div_fmas_f64 v[118:119], v[118:119], v[120:121], v[126:127]
	v_div_fixup_f64 v[120:121], v[118:119], v[116:117], 1.0
	v_mul_f64 v[122:123], v[122:123], -v[120:121]
.LBB35_106:
	s_or_b64 exec, exec, s[2:3]
	ds_write2_b64 v183, v[120:121], v[122:123] offset1:1
.LBB35_107:
	s_or_b64 exec, exec, s[4:5]
	s_waitcnt lgkmcnt(0)
	s_barrier
	ds_read2_b64 v[116:119], v183 offset1:1
	v_cmp_lt_u32_e32 vcc, 11, v182
	s_and_saveexec_b64 s[2:3], vcc
	s_cbranch_execz .LBB35_109
; %bb.108:
	ds_read2_b64 v[120:123], v184 offset0:24 offset1:25
	ds_read2_b64 v[124:127], v184 offset0:26 offset1:27
	s_waitcnt vmcnt(6) lgkmcnt(2)
	v_mul_f64 v[128:129], v[116:117], v[38:39]
	v_fmac_f64_e32 v[128:129], v[118:119], v[36:37]
	v_mul_f64 v[38:39], v[118:119], v[38:39]
	v_fma_f64 v[36:37], v[116:117], v[36:37], -v[38:39]
	s_waitcnt lgkmcnt(1)
	v_mul_f64 v[38:39], v[122:123], v[128:129]
	v_fma_f64 v[38:39], v[120:121], v[36:37], -v[38:39]
	v_mul_f64 v[120:121], v[120:121], v[128:129]
	v_fmac_f64_e32 v[120:121], v[122:123], v[36:37]
	s_waitcnt vmcnt(5)
	v_add_f64 v[32:33], v[32:33], -v[38:39]
	v_add_f64 v[34:35], v[34:35], -v[120:121]
	s_waitcnt lgkmcnt(0)
	v_mul_f64 v[38:39], v[126:127], v[128:129]
	ds_read2_b64 v[120:123], v184 offset0:28 offset1:29
	v_fma_f64 v[38:39], v[124:125], v[36:37], -v[38:39]
	v_mul_f64 v[124:125], v[124:125], v[128:129]
	v_fmac_f64_e32 v[124:125], v[126:127], v[36:37]
	s_waitcnt vmcnt(4)
	v_add_f64 v[30:31], v[30:31], -v[124:125]
	ds_read2_b64 v[124:127], v184 offset0:30 offset1:31
	v_add_f64 v[28:29], v[28:29], -v[38:39]
	s_waitcnt lgkmcnt(1)
	v_mul_f64 v[38:39], v[122:123], v[128:129]
	v_fma_f64 v[38:39], v[120:121], v[36:37], -v[38:39]
	v_mul_f64 v[120:121], v[120:121], v[128:129]
	v_fmac_f64_e32 v[120:121], v[122:123], v[36:37]
	s_waitcnt vmcnt(3)
	v_add_f64 v[24:25], v[24:25], -v[38:39]
	v_add_f64 v[26:27], v[26:27], -v[120:121]
	s_waitcnt lgkmcnt(0)
	v_mul_f64 v[38:39], v[126:127], v[128:129]
	ds_read2_b64 v[120:123], v184 offset0:32 offset1:33
	v_fma_f64 v[38:39], v[124:125], v[36:37], -v[38:39]
	v_mul_f64 v[124:125], v[124:125], v[128:129]
	v_fmac_f64_e32 v[124:125], v[126:127], v[36:37]
	s_waitcnt vmcnt(2)
	v_add_f64 v[22:23], v[22:23], -v[124:125]
	ds_read2_b64 v[124:127], v184 offset0:34 offset1:35
	v_add_f64 v[20:21], v[20:21], -v[38:39]
	s_waitcnt lgkmcnt(1)
	v_mul_f64 v[38:39], v[122:123], v[128:129]
	v_fma_f64 v[38:39], v[120:121], v[36:37], -v[38:39]
	v_mul_f64 v[120:121], v[120:121], v[128:129]
	v_fmac_f64_e32 v[120:121], v[122:123], v[36:37]
	s_waitcnt vmcnt(1)
	v_add_f64 v[16:17], v[16:17], -v[38:39]
	v_add_f64 v[18:19], v[18:19], -v[120:121]
	s_waitcnt lgkmcnt(0)
	v_mul_f64 v[38:39], v[126:127], v[128:129]
	v_mul_f64 v[120:121], v[124:125], v[128:129]
	v_fma_f64 v[38:39], v[124:125], v[36:37], -v[38:39]
	v_fmac_f64_e32 v[120:121], v[126:127], v[36:37]
	s_waitcnt vmcnt(0)
	v_add_f64 v[68:69], v[68:69], -v[38:39]
	v_add_f64 v[70:71], v[70:71], -v[120:121]
	v_mov_b64_e32 v[38:39], v[128:129]
.LBB35_109:
	s_or_b64 exec, exec, s[2:3]
	v_cmp_eq_u32_e32 vcc, 12, v182
	s_waitcnt lgkmcnt(0)
	s_barrier
	s_and_saveexec_b64 s[4:5], vcc
	s_cbranch_execz .LBB35_116
; %bb.110:
	s_waitcnt vmcnt(5)
	ds_write2_b64 v183, v[32:33], v[34:35] offset1:1
	s_waitcnt vmcnt(4)
	ds_write2_b64 v184, v[28:29], v[30:31] offset0:26 offset1:27
	s_waitcnt vmcnt(3)
	ds_write2_b64 v184, v[24:25], v[26:27] offset0:28 offset1:29
	;; [unrolled: 2-line block ×5, first 2 shown]
	ds_read2_b64 v[120:123], v183 offset1:1
	s_waitcnt lgkmcnt(0)
	v_cmp_neq_f64_e32 vcc, 0, v[120:121]
	v_cmp_neq_f64_e64 s[2:3], 0, v[122:123]
	s_or_b64 s[2:3], vcc, s[2:3]
	s_and_b64 exec, exec, s[2:3]
	s_cbranch_execz .LBB35_116
; %bb.111:
	v_cmp_ngt_f64_e64 s[2:3], |v[120:121]|, |v[122:123]|
                                        ; implicit-def: $vgpr124_vgpr125
	s_and_saveexec_b64 s[10:11], s[2:3]
	s_xor_b64 s[2:3], exec, s[10:11]
                                        ; implicit-def: $vgpr126_vgpr127
	s_cbranch_execz .LBB35_113
; %bb.112:
	v_div_scale_f64 v[124:125], s[10:11], v[122:123], v[122:123], v[120:121]
	v_rcp_f64_e32 v[126:127], v[124:125]
	v_div_scale_f64 v[128:129], vcc, v[120:121], v[122:123], v[120:121]
	v_fma_f64 v[130:131], -v[124:125], v[126:127], 1.0
	v_fmac_f64_e32 v[126:127], v[126:127], v[130:131]
	v_fma_f64 v[130:131], -v[124:125], v[126:127], 1.0
	v_fmac_f64_e32 v[126:127], v[126:127], v[130:131]
	v_mul_f64 v[130:131], v[128:129], v[126:127]
	v_fma_f64 v[124:125], -v[124:125], v[130:131], v[128:129]
	v_div_fmas_f64 v[124:125], v[124:125], v[126:127], v[130:131]
	v_div_fixup_f64 v[124:125], v[124:125], v[122:123], v[120:121]
	v_fmac_f64_e32 v[122:123], v[120:121], v[124:125]
	v_div_scale_f64 v[120:121], s[10:11], v[122:123], v[122:123], 1.0
	v_rcp_f64_e32 v[126:127], v[120:121]
	s_nop 0
	v_fma_f64 v[128:129], -v[120:121], v[126:127], 1.0
	v_fmac_f64_e32 v[126:127], v[126:127], v[128:129]
	v_fma_f64 v[128:129], -v[120:121], v[126:127], 1.0
	v_fmac_f64_e32 v[126:127], v[126:127], v[128:129]
	v_div_scale_f64 v[128:129], vcc, 1.0, v[122:123], 1.0
	v_mul_f64 v[130:131], v[128:129], v[126:127]
	v_fma_f64 v[120:121], -v[120:121], v[130:131], v[128:129]
	s_nop 1
	v_div_fmas_f64 v[120:121], v[120:121], v[126:127], v[130:131]
	v_div_fixup_f64 v[126:127], v[120:121], v[122:123], 1.0
	v_mul_f64 v[124:125], v[124:125], v[126:127]
	v_xor_b32_e32 v127, 0x80000000, v127
                                        ; implicit-def: $vgpr120_vgpr121
.LBB35_113:
	s_andn2_saveexec_b64 s[2:3], s[2:3]
	s_cbranch_execz .LBB35_115
; %bb.114:
	v_div_scale_f64 v[124:125], s[10:11], v[120:121], v[120:121], v[122:123]
	v_rcp_f64_e32 v[126:127], v[124:125]
	v_div_scale_f64 v[128:129], vcc, v[122:123], v[120:121], v[122:123]
	v_fma_f64 v[130:131], -v[124:125], v[126:127], 1.0
	v_fmac_f64_e32 v[126:127], v[126:127], v[130:131]
	v_fma_f64 v[130:131], -v[124:125], v[126:127], 1.0
	v_fmac_f64_e32 v[126:127], v[126:127], v[130:131]
	v_mul_f64 v[130:131], v[128:129], v[126:127]
	v_fma_f64 v[124:125], -v[124:125], v[130:131], v[128:129]
	v_div_fmas_f64 v[124:125], v[124:125], v[126:127], v[130:131]
	v_div_fixup_f64 v[126:127], v[124:125], v[120:121], v[122:123]
	v_fmac_f64_e32 v[120:121], v[122:123], v[126:127]
	v_div_scale_f64 v[122:123], s[10:11], v[120:121], v[120:121], 1.0
	v_rcp_f64_e32 v[124:125], v[122:123]
	s_nop 0
	v_fma_f64 v[128:129], -v[122:123], v[124:125], 1.0
	v_fmac_f64_e32 v[124:125], v[124:125], v[128:129]
	v_fma_f64 v[128:129], -v[122:123], v[124:125], 1.0
	v_fmac_f64_e32 v[124:125], v[124:125], v[128:129]
	v_div_scale_f64 v[128:129], vcc, 1.0, v[120:121], 1.0
	v_mul_f64 v[130:131], v[128:129], v[124:125]
	v_fma_f64 v[122:123], -v[122:123], v[130:131], v[128:129]
	s_nop 1
	v_div_fmas_f64 v[122:123], v[122:123], v[124:125], v[130:131]
	v_div_fixup_f64 v[124:125], v[122:123], v[120:121], 1.0
	v_mul_f64 v[126:127], v[126:127], -v[124:125]
.LBB35_115:
	s_or_b64 exec, exec, s[2:3]
	ds_write2_b64 v183, v[124:125], v[126:127] offset1:1
.LBB35_116:
	s_or_b64 exec, exec, s[4:5]
	s_waitcnt lgkmcnt(0)
	s_barrier
	ds_read2_b64 v[120:123], v183 offset1:1
	v_cmp_lt_u32_e32 vcc, 12, v182
	s_and_saveexec_b64 s[2:3], vcc
	s_cbranch_execz .LBB35_118
; %bb.117:
	ds_read2_b64 v[124:127], v184 offset0:26 offset1:27
	ds_read2_b64 v[128:131], v184 offset0:28 offset1:29
	s_waitcnt vmcnt(5) lgkmcnt(2)
	v_mul_f64 v[132:133], v[120:121], v[34:35]
	v_fmac_f64_e32 v[132:133], v[122:123], v[32:33]
	v_mul_f64 v[34:35], v[122:123], v[34:35]
	v_fma_f64 v[32:33], v[120:121], v[32:33], -v[34:35]
	s_waitcnt lgkmcnt(1)
	v_mul_f64 v[34:35], v[126:127], v[132:133]
	v_fma_f64 v[34:35], v[124:125], v[32:33], -v[34:35]
	v_mul_f64 v[124:125], v[124:125], v[132:133]
	v_fmac_f64_e32 v[124:125], v[126:127], v[32:33]
	s_waitcnt vmcnt(4)
	v_add_f64 v[30:31], v[30:31], -v[124:125]
	ds_read2_b64 v[124:127], v184 offset0:30 offset1:31
	v_add_f64 v[28:29], v[28:29], -v[34:35]
	s_waitcnt lgkmcnt(1)
	v_mul_f64 v[34:35], v[130:131], v[132:133]
	v_fma_f64 v[34:35], v[128:129], v[32:33], -v[34:35]
	v_mul_f64 v[128:129], v[128:129], v[132:133]
	v_fmac_f64_e32 v[128:129], v[130:131], v[32:33]
	s_waitcnt vmcnt(3)
	v_add_f64 v[24:25], v[24:25], -v[34:35]
	v_add_f64 v[26:27], v[26:27], -v[128:129]
	ds_read2_b64 v[128:131], v184 offset0:32 offset1:33
	s_waitcnt lgkmcnt(1)
	v_mul_f64 v[34:35], v[126:127], v[132:133]
	v_fma_f64 v[34:35], v[124:125], v[32:33], -v[34:35]
	v_mul_f64 v[124:125], v[124:125], v[132:133]
	v_fmac_f64_e32 v[124:125], v[126:127], v[32:33]
	s_waitcnt vmcnt(2)
	v_add_f64 v[22:23], v[22:23], -v[124:125]
	ds_read2_b64 v[124:127], v184 offset0:34 offset1:35
	v_add_f64 v[20:21], v[20:21], -v[34:35]
	s_waitcnt lgkmcnt(1)
	v_mul_f64 v[34:35], v[130:131], v[132:133]
	v_fma_f64 v[34:35], v[128:129], v[32:33], -v[34:35]
	s_waitcnt vmcnt(1)
	v_add_f64 v[16:17], v[16:17], -v[34:35]
	s_waitcnt lgkmcnt(0)
	v_mul_f64 v[34:35], v[126:127], v[132:133]
	v_mul_f64 v[128:129], v[128:129], v[132:133]
	v_fma_f64 v[34:35], v[124:125], v[32:33], -v[34:35]
	v_mul_f64 v[124:125], v[124:125], v[132:133]
	v_fmac_f64_e32 v[128:129], v[130:131], v[32:33]
	v_fmac_f64_e32 v[124:125], v[126:127], v[32:33]
	v_add_f64 v[18:19], v[18:19], -v[128:129]
	s_waitcnt vmcnt(0)
	v_add_f64 v[68:69], v[68:69], -v[34:35]
	v_add_f64 v[70:71], v[70:71], -v[124:125]
	v_mov_b64_e32 v[34:35], v[132:133]
.LBB35_118:
	s_or_b64 exec, exec, s[2:3]
	v_cmp_eq_u32_e32 vcc, 13, v182
	s_waitcnt lgkmcnt(0)
	s_barrier
	s_and_saveexec_b64 s[4:5], vcc
	s_cbranch_execz .LBB35_125
; %bb.119:
	s_waitcnt vmcnt(4)
	ds_write2_b64 v183, v[28:29], v[30:31] offset1:1
	s_waitcnt vmcnt(3)
	ds_write2_b64 v184, v[24:25], v[26:27] offset0:28 offset1:29
	s_waitcnt vmcnt(2)
	ds_write2_b64 v184, v[20:21], v[22:23] offset0:30 offset1:31
	;; [unrolled: 2-line block ×4, first 2 shown]
	ds_read2_b64 v[124:127], v183 offset1:1
	s_waitcnt lgkmcnt(0)
	v_cmp_neq_f64_e32 vcc, 0, v[124:125]
	v_cmp_neq_f64_e64 s[2:3], 0, v[126:127]
	s_or_b64 s[2:3], vcc, s[2:3]
	s_and_b64 exec, exec, s[2:3]
	s_cbranch_execz .LBB35_125
; %bb.120:
	v_cmp_ngt_f64_e64 s[2:3], |v[124:125]|, |v[126:127]|
                                        ; implicit-def: $vgpr128_vgpr129
	s_and_saveexec_b64 s[10:11], s[2:3]
	s_xor_b64 s[2:3], exec, s[10:11]
                                        ; implicit-def: $vgpr130_vgpr131
	s_cbranch_execz .LBB35_122
; %bb.121:
	v_div_scale_f64 v[128:129], s[10:11], v[126:127], v[126:127], v[124:125]
	v_rcp_f64_e32 v[130:131], v[128:129]
	v_div_scale_f64 v[132:133], vcc, v[124:125], v[126:127], v[124:125]
	v_fma_f64 v[134:135], -v[128:129], v[130:131], 1.0
	v_fmac_f64_e32 v[130:131], v[130:131], v[134:135]
	v_fma_f64 v[134:135], -v[128:129], v[130:131], 1.0
	v_fmac_f64_e32 v[130:131], v[130:131], v[134:135]
	v_mul_f64 v[134:135], v[132:133], v[130:131]
	v_fma_f64 v[128:129], -v[128:129], v[134:135], v[132:133]
	v_div_fmas_f64 v[128:129], v[128:129], v[130:131], v[134:135]
	v_div_fixup_f64 v[128:129], v[128:129], v[126:127], v[124:125]
	v_fmac_f64_e32 v[126:127], v[124:125], v[128:129]
	v_div_scale_f64 v[124:125], s[10:11], v[126:127], v[126:127], 1.0
	v_rcp_f64_e32 v[130:131], v[124:125]
	s_nop 0
	v_fma_f64 v[132:133], -v[124:125], v[130:131], 1.0
	v_fmac_f64_e32 v[130:131], v[130:131], v[132:133]
	v_fma_f64 v[132:133], -v[124:125], v[130:131], 1.0
	v_fmac_f64_e32 v[130:131], v[130:131], v[132:133]
	v_div_scale_f64 v[132:133], vcc, 1.0, v[126:127], 1.0
	v_mul_f64 v[134:135], v[132:133], v[130:131]
	v_fma_f64 v[124:125], -v[124:125], v[134:135], v[132:133]
	s_nop 1
	v_div_fmas_f64 v[124:125], v[124:125], v[130:131], v[134:135]
	v_div_fixup_f64 v[130:131], v[124:125], v[126:127], 1.0
	v_mul_f64 v[128:129], v[128:129], v[130:131]
	v_xor_b32_e32 v131, 0x80000000, v131
                                        ; implicit-def: $vgpr124_vgpr125
.LBB35_122:
	s_andn2_saveexec_b64 s[2:3], s[2:3]
	s_cbranch_execz .LBB35_124
; %bb.123:
	v_div_scale_f64 v[128:129], s[10:11], v[124:125], v[124:125], v[126:127]
	v_rcp_f64_e32 v[130:131], v[128:129]
	v_div_scale_f64 v[132:133], vcc, v[126:127], v[124:125], v[126:127]
	v_fma_f64 v[134:135], -v[128:129], v[130:131], 1.0
	v_fmac_f64_e32 v[130:131], v[130:131], v[134:135]
	v_fma_f64 v[134:135], -v[128:129], v[130:131], 1.0
	v_fmac_f64_e32 v[130:131], v[130:131], v[134:135]
	v_mul_f64 v[134:135], v[132:133], v[130:131]
	v_fma_f64 v[128:129], -v[128:129], v[134:135], v[132:133]
	v_div_fmas_f64 v[128:129], v[128:129], v[130:131], v[134:135]
	v_div_fixup_f64 v[130:131], v[128:129], v[124:125], v[126:127]
	v_fmac_f64_e32 v[124:125], v[126:127], v[130:131]
	v_div_scale_f64 v[126:127], s[10:11], v[124:125], v[124:125], 1.0
	v_rcp_f64_e32 v[128:129], v[126:127]
	s_nop 0
	v_fma_f64 v[132:133], -v[126:127], v[128:129], 1.0
	v_fmac_f64_e32 v[128:129], v[128:129], v[132:133]
	v_fma_f64 v[132:133], -v[126:127], v[128:129], 1.0
	v_fmac_f64_e32 v[128:129], v[128:129], v[132:133]
	v_div_scale_f64 v[132:133], vcc, 1.0, v[124:125], 1.0
	v_mul_f64 v[134:135], v[132:133], v[128:129]
	v_fma_f64 v[126:127], -v[126:127], v[134:135], v[132:133]
	s_nop 1
	v_div_fmas_f64 v[126:127], v[126:127], v[128:129], v[134:135]
	v_div_fixup_f64 v[128:129], v[126:127], v[124:125], 1.0
	v_mul_f64 v[130:131], v[130:131], -v[128:129]
.LBB35_124:
	s_or_b64 exec, exec, s[2:3]
	ds_write2_b64 v183, v[128:129], v[130:131] offset1:1
.LBB35_125:
	s_or_b64 exec, exec, s[4:5]
	s_waitcnt lgkmcnt(0)
	s_barrier
	ds_read2_b64 v[124:127], v183 offset1:1
	v_cmp_lt_u32_e32 vcc, 13, v182
	s_and_saveexec_b64 s[2:3], vcc
	s_cbranch_execz .LBB35_127
; %bb.126:
	ds_read2_b64 v[128:131], v184 offset0:28 offset1:29
	ds_read2_b64 v[132:135], v184 offset0:30 offset1:31
	s_waitcnt vmcnt(4) lgkmcnt(2)
	v_mul_f64 v[136:137], v[124:125], v[30:31]
	v_fmac_f64_e32 v[136:137], v[126:127], v[28:29]
	v_mul_f64 v[30:31], v[126:127], v[30:31]
	v_fma_f64 v[28:29], v[124:125], v[28:29], -v[30:31]
	s_waitcnt lgkmcnt(1)
	v_mul_f64 v[30:31], v[130:131], v[136:137]
	v_fma_f64 v[30:31], v[128:129], v[28:29], -v[30:31]
	v_mul_f64 v[128:129], v[128:129], v[136:137]
	v_fmac_f64_e32 v[128:129], v[130:131], v[28:29]
	s_waitcnt vmcnt(3)
	v_add_f64 v[24:25], v[24:25], -v[30:31]
	v_add_f64 v[26:27], v[26:27], -v[128:129]
	s_waitcnt lgkmcnt(0)
	v_mul_f64 v[30:31], v[134:135], v[136:137]
	ds_read2_b64 v[128:131], v184 offset0:32 offset1:33
	v_fma_f64 v[30:31], v[132:133], v[28:29], -v[30:31]
	v_mul_f64 v[132:133], v[132:133], v[136:137]
	v_fmac_f64_e32 v[132:133], v[134:135], v[28:29]
	s_waitcnt vmcnt(2)
	v_add_f64 v[22:23], v[22:23], -v[132:133]
	ds_read2_b64 v[132:135], v184 offset0:34 offset1:35
	v_add_f64 v[20:21], v[20:21], -v[30:31]
	s_waitcnt lgkmcnt(1)
	v_mul_f64 v[30:31], v[130:131], v[136:137]
	v_fma_f64 v[30:31], v[128:129], v[28:29], -v[30:31]
	v_mul_f64 v[128:129], v[128:129], v[136:137]
	v_fmac_f64_e32 v[128:129], v[130:131], v[28:29]
	s_waitcnt vmcnt(1)
	v_add_f64 v[16:17], v[16:17], -v[30:31]
	v_add_f64 v[18:19], v[18:19], -v[128:129]
	s_waitcnt lgkmcnt(0)
	v_mul_f64 v[30:31], v[134:135], v[136:137]
	v_mul_f64 v[128:129], v[132:133], v[136:137]
	v_fma_f64 v[30:31], v[132:133], v[28:29], -v[30:31]
	v_fmac_f64_e32 v[128:129], v[134:135], v[28:29]
	s_waitcnt vmcnt(0)
	v_add_f64 v[68:69], v[68:69], -v[30:31]
	v_add_f64 v[70:71], v[70:71], -v[128:129]
	v_mov_b64_e32 v[30:31], v[136:137]
.LBB35_127:
	s_or_b64 exec, exec, s[2:3]
	v_cmp_eq_u32_e32 vcc, 14, v182
	s_waitcnt lgkmcnt(0)
	s_barrier
	s_and_saveexec_b64 s[4:5], vcc
	s_cbranch_execz .LBB35_134
; %bb.128:
	s_waitcnt vmcnt(3)
	ds_write2_b64 v183, v[24:25], v[26:27] offset1:1
	s_waitcnt vmcnt(2)
	ds_write2_b64 v184, v[20:21], v[22:23] offset0:30 offset1:31
	s_waitcnt vmcnt(1)
	ds_write2_b64 v184, v[16:17], v[18:19] offset0:32 offset1:33
	;; [unrolled: 2-line block ×3, first 2 shown]
	ds_read2_b64 v[128:131], v183 offset1:1
	s_waitcnt lgkmcnt(0)
	v_cmp_neq_f64_e32 vcc, 0, v[128:129]
	v_cmp_neq_f64_e64 s[2:3], 0, v[130:131]
	s_or_b64 s[2:3], vcc, s[2:3]
	s_and_b64 exec, exec, s[2:3]
	s_cbranch_execz .LBB35_134
; %bb.129:
	v_cmp_ngt_f64_e64 s[2:3], |v[128:129]|, |v[130:131]|
                                        ; implicit-def: $vgpr132_vgpr133
	s_and_saveexec_b64 s[10:11], s[2:3]
	s_xor_b64 s[2:3], exec, s[10:11]
                                        ; implicit-def: $vgpr134_vgpr135
	s_cbranch_execz .LBB35_131
; %bb.130:
	v_div_scale_f64 v[132:133], s[10:11], v[130:131], v[130:131], v[128:129]
	v_rcp_f64_e32 v[134:135], v[132:133]
	v_div_scale_f64 v[136:137], vcc, v[128:129], v[130:131], v[128:129]
	v_fma_f64 v[138:139], -v[132:133], v[134:135], 1.0
	v_fmac_f64_e32 v[134:135], v[134:135], v[138:139]
	v_fma_f64 v[138:139], -v[132:133], v[134:135], 1.0
	v_fmac_f64_e32 v[134:135], v[134:135], v[138:139]
	v_mul_f64 v[138:139], v[136:137], v[134:135]
	v_fma_f64 v[132:133], -v[132:133], v[138:139], v[136:137]
	v_div_fmas_f64 v[132:133], v[132:133], v[134:135], v[138:139]
	v_div_fixup_f64 v[132:133], v[132:133], v[130:131], v[128:129]
	v_fmac_f64_e32 v[130:131], v[128:129], v[132:133]
	v_div_scale_f64 v[128:129], s[10:11], v[130:131], v[130:131], 1.0
	v_rcp_f64_e32 v[134:135], v[128:129]
	s_nop 0
	v_fma_f64 v[136:137], -v[128:129], v[134:135], 1.0
	v_fmac_f64_e32 v[134:135], v[134:135], v[136:137]
	v_fma_f64 v[136:137], -v[128:129], v[134:135], 1.0
	v_fmac_f64_e32 v[134:135], v[134:135], v[136:137]
	v_div_scale_f64 v[136:137], vcc, 1.0, v[130:131], 1.0
	v_mul_f64 v[138:139], v[136:137], v[134:135]
	v_fma_f64 v[128:129], -v[128:129], v[138:139], v[136:137]
	s_nop 1
	v_div_fmas_f64 v[128:129], v[128:129], v[134:135], v[138:139]
	v_div_fixup_f64 v[134:135], v[128:129], v[130:131], 1.0
	v_mul_f64 v[132:133], v[132:133], v[134:135]
	v_xor_b32_e32 v135, 0x80000000, v135
                                        ; implicit-def: $vgpr128_vgpr129
.LBB35_131:
	s_andn2_saveexec_b64 s[2:3], s[2:3]
	s_cbranch_execz .LBB35_133
; %bb.132:
	v_div_scale_f64 v[132:133], s[10:11], v[128:129], v[128:129], v[130:131]
	v_rcp_f64_e32 v[134:135], v[132:133]
	v_div_scale_f64 v[136:137], vcc, v[130:131], v[128:129], v[130:131]
	v_fma_f64 v[138:139], -v[132:133], v[134:135], 1.0
	v_fmac_f64_e32 v[134:135], v[134:135], v[138:139]
	v_fma_f64 v[138:139], -v[132:133], v[134:135], 1.0
	v_fmac_f64_e32 v[134:135], v[134:135], v[138:139]
	v_mul_f64 v[138:139], v[136:137], v[134:135]
	v_fma_f64 v[132:133], -v[132:133], v[138:139], v[136:137]
	v_div_fmas_f64 v[132:133], v[132:133], v[134:135], v[138:139]
	v_div_fixup_f64 v[134:135], v[132:133], v[128:129], v[130:131]
	v_fmac_f64_e32 v[128:129], v[130:131], v[134:135]
	v_div_scale_f64 v[130:131], s[10:11], v[128:129], v[128:129], 1.0
	v_rcp_f64_e32 v[132:133], v[130:131]
	s_nop 0
	v_fma_f64 v[136:137], -v[130:131], v[132:133], 1.0
	v_fmac_f64_e32 v[132:133], v[132:133], v[136:137]
	v_fma_f64 v[136:137], -v[130:131], v[132:133], 1.0
	v_fmac_f64_e32 v[132:133], v[132:133], v[136:137]
	v_div_scale_f64 v[136:137], vcc, 1.0, v[128:129], 1.0
	v_mul_f64 v[138:139], v[136:137], v[132:133]
	v_fma_f64 v[130:131], -v[130:131], v[138:139], v[136:137]
	s_nop 1
	v_div_fmas_f64 v[130:131], v[130:131], v[132:133], v[138:139]
	v_div_fixup_f64 v[132:133], v[130:131], v[128:129], 1.0
	v_mul_f64 v[134:135], v[134:135], -v[132:133]
.LBB35_133:
	s_or_b64 exec, exec, s[2:3]
	ds_write2_b64 v183, v[132:133], v[134:135] offset1:1
.LBB35_134:
	s_or_b64 exec, exec, s[4:5]
	s_waitcnt lgkmcnt(0)
	s_barrier
	ds_read2_b64 v[128:131], v183 offset1:1
	v_cmp_lt_u32_e32 vcc, 14, v182
	s_and_saveexec_b64 s[2:3], vcc
	s_cbranch_execz .LBB35_136
; %bb.135:
	ds_read2_b64 v[132:135], v184 offset0:30 offset1:31
	ds_read2_b64 v[136:139], v184 offset0:32 offset1:33
	s_waitcnt vmcnt(3) lgkmcnt(2)
	v_mul_f64 v[140:141], v[128:129], v[26:27]
	v_fmac_f64_e32 v[140:141], v[130:131], v[24:25]
	v_mul_f64 v[26:27], v[130:131], v[26:27]
	v_fma_f64 v[24:25], v[128:129], v[24:25], -v[26:27]
	s_waitcnt lgkmcnt(1)
	v_mul_f64 v[26:27], v[134:135], v[140:141]
	v_fma_f64 v[26:27], v[132:133], v[24:25], -v[26:27]
	v_mul_f64 v[132:133], v[132:133], v[140:141]
	v_fmac_f64_e32 v[132:133], v[134:135], v[24:25]
	s_waitcnt vmcnt(2)
	v_add_f64 v[22:23], v[22:23], -v[132:133]
	ds_read2_b64 v[132:135], v184 offset0:34 offset1:35
	v_add_f64 v[20:21], v[20:21], -v[26:27]
	s_waitcnt lgkmcnt(1)
	v_mul_f64 v[26:27], v[138:139], v[140:141]
	v_fma_f64 v[26:27], v[136:137], v[24:25], -v[26:27]
	s_waitcnt vmcnt(1)
	v_add_f64 v[16:17], v[16:17], -v[26:27]
	s_waitcnt lgkmcnt(0)
	v_mul_f64 v[26:27], v[134:135], v[140:141]
	v_mul_f64 v[136:137], v[136:137], v[140:141]
	v_fma_f64 v[26:27], v[132:133], v[24:25], -v[26:27]
	v_mul_f64 v[132:133], v[132:133], v[140:141]
	v_fmac_f64_e32 v[136:137], v[138:139], v[24:25]
	v_fmac_f64_e32 v[132:133], v[134:135], v[24:25]
	v_add_f64 v[18:19], v[18:19], -v[136:137]
	s_waitcnt vmcnt(0)
	v_add_f64 v[68:69], v[68:69], -v[26:27]
	v_add_f64 v[70:71], v[70:71], -v[132:133]
	v_mov_b64_e32 v[26:27], v[140:141]
.LBB35_136:
	s_or_b64 exec, exec, s[2:3]
	v_cmp_eq_u32_e32 vcc, 15, v182
	s_waitcnt lgkmcnt(0)
	s_barrier
	s_and_saveexec_b64 s[4:5], vcc
	s_cbranch_execz .LBB35_143
; %bb.137:
	s_waitcnt vmcnt(2)
	ds_write2_b64 v183, v[20:21], v[22:23] offset1:1
	s_waitcnt vmcnt(1)
	ds_write2_b64 v184, v[16:17], v[18:19] offset0:32 offset1:33
	s_waitcnt vmcnt(0)
	ds_write2_b64 v184, v[68:69], v[70:71] offset0:34 offset1:35
	ds_read2_b64 v[132:135], v183 offset1:1
	s_waitcnt lgkmcnt(0)
	v_cmp_neq_f64_e32 vcc, 0, v[132:133]
	v_cmp_neq_f64_e64 s[2:3], 0, v[134:135]
	s_or_b64 s[2:3], vcc, s[2:3]
	s_and_b64 exec, exec, s[2:3]
	s_cbranch_execz .LBB35_143
; %bb.138:
	v_cmp_ngt_f64_e64 s[2:3], |v[132:133]|, |v[134:135]|
                                        ; implicit-def: $vgpr136_vgpr137
	s_and_saveexec_b64 s[10:11], s[2:3]
	s_xor_b64 s[2:3], exec, s[10:11]
                                        ; implicit-def: $vgpr138_vgpr139
	s_cbranch_execz .LBB35_140
; %bb.139:
	v_div_scale_f64 v[136:137], s[10:11], v[134:135], v[134:135], v[132:133]
	v_rcp_f64_e32 v[138:139], v[136:137]
	v_div_scale_f64 v[140:141], vcc, v[132:133], v[134:135], v[132:133]
	v_fma_f64 v[142:143], -v[136:137], v[138:139], 1.0
	v_fmac_f64_e32 v[138:139], v[138:139], v[142:143]
	v_fma_f64 v[142:143], -v[136:137], v[138:139], 1.0
	v_fmac_f64_e32 v[138:139], v[138:139], v[142:143]
	v_mul_f64 v[142:143], v[140:141], v[138:139]
	v_fma_f64 v[136:137], -v[136:137], v[142:143], v[140:141]
	v_div_fmas_f64 v[136:137], v[136:137], v[138:139], v[142:143]
	v_div_fixup_f64 v[136:137], v[136:137], v[134:135], v[132:133]
	v_fmac_f64_e32 v[134:135], v[132:133], v[136:137]
	v_div_scale_f64 v[132:133], s[10:11], v[134:135], v[134:135], 1.0
	v_rcp_f64_e32 v[138:139], v[132:133]
	s_nop 0
	v_fma_f64 v[140:141], -v[132:133], v[138:139], 1.0
	v_fmac_f64_e32 v[138:139], v[138:139], v[140:141]
	v_fma_f64 v[140:141], -v[132:133], v[138:139], 1.0
	v_fmac_f64_e32 v[138:139], v[138:139], v[140:141]
	v_div_scale_f64 v[140:141], vcc, 1.0, v[134:135], 1.0
	v_mul_f64 v[142:143], v[140:141], v[138:139]
	v_fma_f64 v[132:133], -v[132:133], v[142:143], v[140:141]
	s_nop 1
	v_div_fmas_f64 v[132:133], v[132:133], v[138:139], v[142:143]
	v_div_fixup_f64 v[138:139], v[132:133], v[134:135], 1.0
	v_mul_f64 v[136:137], v[136:137], v[138:139]
	v_xor_b32_e32 v139, 0x80000000, v139
                                        ; implicit-def: $vgpr132_vgpr133
.LBB35_140:
	s_andn2_saveexec_b64 s[2:3], s[2:3]
	s_cbranch_execz .LBB35_142
; %bb.141:
	v_div_scale_f64 v[136:137], s[10:11], v[132:133], v[132:133], v[134:135]
	v_rcp_f64_e32 v[138:139], v[136:137]
	v_div_scale_f64 v[140:141], vcc, v[134:135], v[132:133], v[134:135]
	v_fma_f64 v[142:143], -v[136:137], v[138:139], 1.0
	v_fmac_f64_e32 v[138:139], v[138:139], v[142:143]
	v_fma_f64 v[142:143], -v[136:137], v[138:139], 1.0
	v_fmac_f64_e32 v[138:139], v[138:139], v[142:143]
	v_mul_f64 v[142:143], v[140:141], v[138:139]
	v_fma_f64 v[136:137], -v[136:137], v[142:143], v[140:141]
	v_div_fmas_f64 v[136:137], v[136:137], v[138:139], v[142:143]
	v_div_fixup_f64 v[138:139], v[136:137], v[132:133], v[134:135]
	v_fmac_f64_e32 v[132:133], v[134:135], v[138:139]
	v_div_scale_f64 v[134:135], s[10:11], v[132:133], v[132:133], 1.0
	v_rcp_f64_e32 v[136:137], v[134:135]
	s_nop 0
	v_fma_f64 v[140:141], -v[134:135], v[136:137], 1.0
	v_fmac_f64_e32 v[136:137], v[136:137], v[140:141]
	v_fma_f64 v[140:141], -v[134:135], v[136:137], 1.0
	v_fmac_f64_e32 v[136:137], v[136:137], v[140:141]
	v_div_scale_f64 v[140:141], vcc, 1.0, v[132:133], 1.0
	v_mul_f64 v[142:143], v[140:141], v[136:137]
	v_fma_f64 v[134:135], -v[134:135], v[142:143], v[140:141]
	s_nop 1
	v_div_fmas_f64 v[134:135], v[134:135], v[136:137], v[142:143]
	v_div_fixup_f64 v[136:137], v[134:135], v[132:133], 1.0
	v_mul_f64 v[138:139], v[138:139], -v[136:137]
.LBB35_142:
	s_or_b64 exec, exec, s[2:3]
	ds_write2_b64 v183, v[136:137], v[138:139] offset1:1
.LBB35_143:
	s_or_b64 exec, exec, s[4:5]
	s_waitcnt lgkmcnt(0)
	s_barrier
	ds_read2_b64 v[132:135], v183 offset1:1
	v_cmp_lt_u32_e32 vcc, 15, v182
	s_and_saveexec_b64 s[2:3], vcc
	s_cbranch_execz .LBB35_145
; %bb.144:
	ds_read2_b64 v[136:139], v184 offset0:32 offset1:33
	ds_read2_b64 v[140:143], v184 offset0:34 offset1:35
	s_waitcnt vmcnt(2) lgkmcnt(2)
	v_mul_f64 v[186:187], v[132:133], v[22:23]
	v_fmac_f64_e32 v[186:187], v[134:135], v[20:21]
	v_mul_f64 v[22:23], v[134:135], v[22:23]
	v_fma_f64 v[20:21], v[132:133], v[20:21], -v[22:23]
	s_waitcnt lgkmcnt(1)
	v_mul_f64 v[22:23], v[138:139], v[186:187]
	v_fma_f64 v[22:23], v[136:137], v[20:21], -v[22:23]
	v_mul_f64 v[136:137], v[136:137], v[186:187]
	v_fmac_f64_e32 v[136:137], v[138:139], v[20:21]
	s_waitcnt vmcnt(1)
	v_add_f64 v[16:17], v[16:17], -v[22:23]
	v_add_f64 v[18:19], v[18:19], -v[136:137]
	s_waitcnt lgkmcnt(0)
	v_mul_f64 v[22:23], v[142:143], v[186:187]
	v_mul_f64 v[136:137], v[140:141], v[186:187]
	v_fma_f64 v[22:23], v[140:141], v[20:21], -v[22:23]
	v_fmac_f64_e32 v[136:137], v[142:143], v[20:21]
	s_waitcnt vmcnt(0)
	v_add_f64 v[68:69], v[68:69], -v[22:23]
	v_add_f64 v[70:71], v[70:71], -v[136:137]
	v_mov_b64_e32 v[22:23], v[186:187]
.LBB35_145:
	s_or_b64 exec, exec, s[2:3]
	v_cmp_eq_u32_e32 vcc, 16, v182
	s_waitcnt lgkmcnt(0)
	s_barrier
	s_and_saveexec_b64 s[4:5], vcc
	s_cbranch_execz .LBB35_152
; %bb.146:
	s_waitcnt vmcnt(1)
	ds_write2_b64 v183, v[16:17], v[18:19] offset1:1
	s_waitcnt vmcnt(0)
	ds_write2_b64 v184, v[68:69], v[70:71] offset0:34 offset1:35
	ds_read2_b64 v[136:139], v183 offset1:1
	s_waitcnt lgkmcnt(0)
	v_cmp_neq_f64_e32 vcc, 0, v[136:137]
	v_cmp_neq_f64_e64 s[2:3], 0, v[138:139]
	s_or_b64 s[2:3], vcc, s[2:3]
	s_and_b64 exec, exec, s[2:3]
	s_cbranch_execz .LBB35_152
; %bb.147:
	v_cmp_ngt_f64_e64 s[2:3], |v[136:137]|, |v[138:139]|
                                        ; implicit-def: $vgpr140_vgpr141
	s_and_saveexec_b64 s[10:11], s[2:3]
	s_xor_b64 s[2:3], exec, s[10:11]
                                        ; implicit-def: $vgpr142_vgpr143
	s_cbranch_execz .LBB35_149
; %bb.148:
	v_div_scale_f64 v[140:141], s[10:11], v[138:139], v[138:139], v[136:137]
	v_rcp_f64_e32 v[142:143], v[140:141]
	v_div_scale_f64 v[186:187], vcc, v[136:137], v[138:139], v[136:137]
	v_fma_f64 v[188:189], -v[140:141], v[142:143], 1.0
	v_fmac_f64_e32 v[142:143], v[142:143], v[188:189]
	v_fma_f64 v[188:189], -v[140:141], v[142:143], 1.0
	v_fmac_f64_e32 v[142:143], v[142:143], v[188:189]
	v_mul_f64 v[188:189], v[186:187], v[142:143]
	v_fma_f64 v[140:141], -v[140:141], v[188:189], v[186:187]
	v_div_fmas_f64 v[140:141], v[140:141], v[142:143], v[188:189]
	v_div_fixup_f64 v[140:141], v[140:141], v[138:139], v[136:137]
	v_fmac_f64_e32 v[138:139], v[136:137], v[140:141]
	v_div_scale_f64 v[136:137], s[10:11], v[138:139], v[138:139], 1.0
	v_rcp_f64_e32 v[142:143], v[136:137]
	s_nop 0
	v_fma_f64 v[186:187], -v[136:137], v[142:143], 1.0
	v_fmac_f64_e32 v[142:143], v[142:143], v[186:187]
	v_fma_f64 v[186:187], -v[136:137], v[142:143], 1.0
	v_fmac_f64_e32 v[142:143], v[142:143], v[186:187]
	v_div_scale_f64 v[186:187], vcc, 1.0, v[138:139], 1.0
	v_mul_f64 v[188:189], v[186:187], v[142:143]
	v_fma_f64 v[136:137], -v[136:137], v[188:189], v[186:187]
	s_nop 1
	v_div_fmas_f64 v[136:137], v[136:137], v[142:143], v[188:189]
	v_div_fixup_f64 v[142:143], v[136:137], v[138:139], 1.0
	v_mul_f64 v[140:141], v[140:141], v[142:143]
	v_xor_b32_e32 v143, 0x80000000, v143
                                        ; implicit-def: $vgpr136_vgpr137
.LBB35_149:
	s_andn2_saveexec_b64 s[2:3], s[2:3]
	s_cbranch_execz .LBB35_151
; %bb.150:
	v_div_scale_f64 v[140:141], s[10:11], v[136:137], v[136:137], v[138:139]
	v_rcp_f64_e32 v[142:143], v[140:141]
	v_div_scale_f64 v[186:187], vcc, v[138:139], v[136:137], v[138:139]
	v_fma_f64 v[188:189], -v[140:141], v[142:143], 1.0
	v_fmac_f64_e32 v[142:143], v[142:143], v[188:189]
	v_fma_f64 v[188:189], -v[140:141], v[142:143], 1.0
	v_fmac_f64_e32 v[142:143], v[142:143], v[188:189]
	v_mul_f64 v[188:189], v[186:187], v[142:143]
	v_fma_f64 v[140:141], -v[140:141], v[188:189], v[186:187]
	v_div_fmas_f64 v[140:141], v[140:141], v[142:143], v[188:189]
	v_div_fixup_f64 v[142:143], v[140:141], v[136:137], v[138:139]
	v_fmac_f64_e32 v[136:137], v[138:139], v[142:143]
	v_div_scale_f64 v[138:139], s[10:11], v[136:137], v[136:137], 1.0
	v_rcp_f64_e32 v[140:141], v[138:139]
	s_nop 0
	v_fma_f64 v[186:187], -v[138:139], v[140:141], 1.0
	v_fmac_f64_e32 v[140:141], v[140:141], v[186:187]
	v_fma_f64 v[186:187], -v[138:139], v[140:141], 1.0
	v_fmac_f64_e32 v[140:141], v[140:141], v[186:187]
	v_div_scale_f64 v[186:187], vcc, 1.0, v[136:137], 1.0
	v_mul_f64 v[188:189], v[186:187], v[140:141]
	v_fma_f64 v[138:139], -v[138:139], v[188:189], v[186:187]
	s_nop 1
	v_div_fmas_f64 v[138:139], v[138:139], v[140:141], v[188:189]
	v_div_fixup_f64 v[140:141], v[138:139], v[136:137], 1.0
	v_mul_f64 v[142:143], v[142:143], -v[140:141]
.LBB35_151:
	s_or_b64 exec, exec, s[2:3]
	ds_write2_b64 v183, v[140:141], v[142:143] offset1:1
.LBB35_152:
	s_or_b64 exec, exec, s[4:5]
	s_waitcnt lgkmcnt(0)
	s_barrier
	ds_read2_b64 v[136:139], v183 offset1:1
	v_cmp_lt_u32_e32 vcc, 16, v182
	s_and_saveexec_b64 s[2:3], vcc
	s_cbranch_execz .LBB35_154
; %bb.153:
	ds_read2_b64 v[140:143], v184 offset0:34 offset1:35
	s_waitcnt vmcnt(1) lgkmcnt(1)
	v_mul_f64 v[184:185], v[136:137], v[18:19]
	v_mul_f64 v[18:19], v[138:139], v[18:19]
	v_fmac_f64_e32 v[184:185], v[138:139], v[16:17]
	v_fma_f64 v[16:17], v[136:137], v[16:17], -v[18:19]
	s_waitcnt lgkmcnt(0)
	v_mul_f64 v[18:19], v[142:143], v[184:185]
	v_fma_f64 v[18:19], v[140:141], v[16:17], -v[18:19]
	v_mul_f64 v[140:141], v[140:141], v[184:185]
	v_fmac_f64_e32 v[140:141], v[142:143], v[16:17]
	s_waitcnt vmcnt(0)
	v_add_f64 v[68:69], v[68:69], -v[18:19]
	v_add_f64 v[70:71], v[70:71], -v[140:141]
	v_mov_b64_e32 v[18:19], v[184:185]
.LBB35_154:
	s_or_b64 exec, exec, s[2:3]
	v_cmp_eq_u32_e32 vcc, 17, v182
	s_waitcnt lgkmcnt(0)
	s_barrier
	s_and_saveexec_b64 s[4:5], vcc
	s_cbranch_execz .LBB35_161
; %bb.155:
	s_waitcnt vmcnt(0)
	v_cmp_neq_f64_e32 vcc, 0, v[68:69]
	v_cmp_neq_f64_e64 s[2:3], 0, v[70:71]
	s_or_b64 s[2:3], vcc, s[2:3]
	ds_write2_b64 v183, v[68:69], v[70:71] offset1:1
	s_and_b64 exec, exec, s[2:3]
	s_cbranch_execz .LBB35_161
; %bb.156:
	v_cmp_ngt_f64_e64 s[2:3], |v[68:69]|, |v[70:71]|
                                        ; implicit-def: $vgpr140_vgpr141
	s_and_saveexec_b64 s[10:11], s[2:3]
	s_xor_b64 s[2:3], exec, s[10:11]
                                        ; implicit-def: $vgpr142_vgpr143
	s_cbranch_execz .LBB35_158
; %bb.157:
	v_div_scale_f64 v[140:141], s[10:11], v[70:71], v[70:71], v[68:69]
	v_rcp_f64_e32 v[142:143], v[140:141]
	v_div_scale_f64 v[184:185], vcc, v[68:69], v[70:71], v[68:69]
	v_fma_f64 v[186:187], -v[140:141], v[142:143], 1.0
	v_fmac_f64_e32 v[142:143], v[142:143], v[186:187]
	v_fma_f64 v[186:187], -v[140:141], v[142:143], 1.0
	v_fmac_f64_e32 v[142:143], v[142:143], v[186:187]
	v_mul_f64 v[186:187], v[184:185], v[142:143]
	v_fma_f64 v[140:141], -v[140:141], v[186:187], v[184:185]
	v_div_fmas_f64 v[140:141], v[140:141], v[142:143], v[186:187]
	v_div_fixup_f64 v[140:141], v[140:141], v[70:71], v[68:69]
	v_fma_f64 v[142:143], v[68:69], v[140:141], v[70:71]
	v_div_scale_f64 v[184:185], s[10:11], v[142:143], v[142:143], 1.0
	v_rcp_f64_e32 v[186:187], v[184:185]
	s_nop 0
	v_fma_f64 v[188:189], -v[184:185], v[186:187], 1.0
	v_fmac_f64_e32 v[186:187], v[186:187], v[188:189]
	v_fma_f64 v[188:189], -v[184:185], v[186:187], 1.0
	v_fmac_f64_e32 v[186:187], v[186:187], v[188:189]
	v_div_scale_f64 v[188:189], vcc, 1.0, v[142:143], 1.0
	v_mul_f64 v[190:191], v[188:189], v[186:187]
	v_fma_f64 v[184:185], -v[184:185], v[190:191], v[188:189]
	s_nop 1
	v_div_fmas_f64 v[184:185], v[184:185], v[186:187], v[190:191]
	v_div_fixup_f64 v[142:143], v[184:185], v[142:143], 1.0
	v_mul_f64 v[140:141], v[140:141], v[142:143]
	v_xor_b32_e32 v143, 0x80000000, v143
.LBB35_158:
	s_andn2_saveexec_b64 s[2:3], s[2:3]
	s_cbranch_execz .LBB35_160
; %bb.159:
	v_div_scale_f64 v[140:141], s[10:11], v[68:69], v[68:69], v[70:71]
	v_rcp_f64_e32 v[142:143], v[140:141]
	v_div_scale_f64 v[184:185], vcc, v[70:71], v[68:69], v[70:71]
	v_fma_f64 v[186:187], -v[140:141], v[142:143], 1.0
	v_fmac_f64_e32 v[142:143], v[142:143], v[186:187]
	v_fma_f64 v[186:187], -v[140:141], v[142:143], 1.0
	v_fmac_f64_e32 v[142:143], v[142:143], v[186:187]
	v_mul_f64 v[186:187], v[184:185], v[142:143]
	v_fma_f64 v[140:141], -v[140:141], v[186:187], v[184:185]
	v_div_fmas_f64 v[140:141], v[140:141], v[142:143], v[186:187]
	v_div_fixup_f64 v[142:143], v[140:141], v[68:69], v[70:71]
	v_fma_f64 v[140:141], v[70:71], v[142:143], v[68:69]
	v_div_scale_f64 v[184:185], s[10:11], v[140:141], v[140:141], 1.0
	v_rcp_f64_e32 v[186:187], v[184:185]
	s_nop 0
	v_fma_f64 v[188:189], -v[184:185], v[186:187], 1.0
	v_fmac_f64_e32 v[186:187], v[186:187], v[188:189]
	v_fma_f64 v[188:189], -v[184:185], v[186:187], 1.0
	v_fmac_f64_e32 v[186:187], v[186:187], v[188:189]
	v_div_scale_f64 v[188:189], vcc, 1.0, v[140:141], 1.0
	v_mul_f64 v[190:191], v[188:189], v[186:187]
	v_fma_f64 v[184:185], -v[184:185], v[190:191], v[188:189]
	s_nop 1
	v_div_fmas_f64 v[184:185], v[184:185], v[186:187], v[190:191]
	v_div_fixup_f64 v[140:141], v[184:185], v[140:141], 1.0
	v_mul_f64 v[142:143], v[142:143], -v[140:141]
.LBB35_160:
	s_or_b64 exec, exec, s[2:3]
	ds_write2_b64 v183, v[140:141], v[142:143] offset1:1
.LBB35_161:
	s_or_b64 exec, exec, s[4:5]
	s_waitcnt lgkmcnt(0)
	s_barrier
	ds_read2_b64 v[140:143], v183 offset1:1
	s_waitcnt lgkmcnt(0)
	s_barrier
	s_and_saveexec_b64 s[2:3], s[0:1]
	s_cbranch_execz .LBB35_164
; %bb.162:
	v_cmp_eq_f64_e32 vcc, 0, v[72:73]
	v_cmp_eq_f64_e64 s[0:1], 0, v[74:75]
	s_and_b64 s[4:5], vcc, s[0:1]
	v_cmp_neq_f64_e32 vcc, 0, v[76:77]
	v_cmp_neq_f64_e64 s[0:1], 0, v[78:79]
	s_or_b64 s[0:1], vcc, s[0:1]
	v_cndmask_b32_e64 v72, 0, 1, s[4:5]
	s_or_b64 vcc, s[0:1], s[4:5]
	v_cndmask_b32_e32 v72, 2, v72, vcc
	v_cmp_eq_f64_e32 vcc, 0, v[80:81]
	v_cmp_eq_f64_e64 s[0:1], 0, v[82:83]
	s_and_b64 s[0:1], vcc, s[0:1]
	v_cmp_eq_u32_e32 vcc, 0, v72
	s_and_b64 s[0:1], s[0:1], vcc
	v_cndmask_b32_e64 v72, v72, 3, s[0:1]
	v_cmp_eq_f64_e32 vcc, 0, v[84:85]
	v_cmp_eq_f64_e64 s[0:1], 0, v[86:87]
	s_and_b64 s[0:1], vcc, s[0:1]
	v_cmp_eq_u32_e32 vcc, 0, v72
	s_and_b64 s[0:1], s[0:1], vcc
	v_cndmask_b32_e64 v74, v72, 4, s[0:1]
	v_mov_b32_e32 v72, s6
	v_mov_b32_e32 v73, s7
	v_lshl_add_u64 v[72:73], v[166:167], 2, v[72:73]
	global_load_dword v75, v[72:73], off
	v_cmp_eq_f64_e32 vcc, 0, v[88:89]
	v_cmp_eq_f64_e64 s[0:1], 0, v[90:91]
	s_and_b64 s[0:1], vcc, s[0:1]
	v_cmp_eq_u32_e32 vcc, 0, v74
	s_and_b64 s[0:1], s[0:1], vcc
	v_cndmask_b32_e64 v74, v74, 5, s[0:1]
	v_cmp_eq_f64_e32 vcc, 0, v[92:93]
	v_cmp_eq_f64_e64 s[0:1], 0, v[94:95]
	s_and_b64 s[0:1], vcc, s[0:1]
	v_cmp_eq_u32_e32 vcc, 0, v74
	s_and_b64 s[0:1], s[0:1], vcc
	v_cndmask_b32_e64 v74, v74, 6, s[0:1]
	;; [unrolled: 6-line block ×14, first 2 shown]
	s_waitcnt vmcnt(0)
	v_cmp_eq_u32_e32 vcc, 0, v75
	v_cmp_ne_u32_e64 s[0:1], 0, v74
	s_and_b64 s[0:1], vcc, s[0:1]
	s_and_b64 exec, exec, s[0:1]
	s_cbranch_execz .LBB35_164
; %bb.163:
	v_add_u32_e32 v74, s9, v74
	global_store_dword v[72:73], v74, off
.LBB35_164:
	s_or_b64 exec, exec, s[2:3]
	s_waitcnt vmcnt(0)
	v_mul_f64 v[72:73], v[142:143], v[70:71]
	v_mul_f64 v[74:75], v[140:141], v[70:71]
	v_fma_f64 v[72:73], v[140:141], v[68:69], -v[72:73]
	v_fmac_f64_e32 v[74:75], v[142:143], v[68:69]
	v_cmp_lt_u32_e32 vcc, 17, v182
	s_nop 1
	v_cndmask_b32_e32 v71, v71, v75, vcc
	v_cndmask_b32_e32 v70, v70, v74, vcc
	;; [unrolled: 1-line block ×4, first 2 shown]
	global_store_dwordx4 v[144:145], v[4:7], off
	global_store_dwordx4 v[146:147], v[0:3], off
	;; [unrolled: 1-line block ×18, first 2 shown]
.LBB35_165:
	s_endpgm
	.section	.rodata,"a",@progbits
	.p2align	6, 0x0
	.amdhsa_kernel _ZN9rocsolver6v33100L23getf2_npvt_small_kernelILi18E19rocblas_complex_numIdEiiPS3_EEvT1_T3_lS5_lPT2_S5_S5_
		.amdhsa_group_segment_fixed_size 0
		.amdhsa_private_segment_fixed_size 0
		.amdhsa_kernarg_size 312
		.amdhsa_user_sgpr_count 2
		.amdhsa_user_sgpr_dispatch_ptr 0
		.amdhsa_user_sgpr_queue_ptr 0
		.amdhsa_user_sgpr_kernarg_segment_ptr 1
		.amdhsa_user_sgpr_dispatch_id 0
		.amdhsa_user_sgpr_kernarg_preload_length 0
		.amdhsa_user_sgpr_kernarg_preload_offset 0
		.amdhsa_user_sgpr_private_segment_size 0
		.amdhsa_uses_dynamic_stack 0
		.amdhsa_enable_private_segment 0
		.amdhsa_system_sgpr_workgroup_id_x 1
		.amdhsa_system_sgpr_workgroup_id_y 1
		.amdhsa_system_sgpr_workgroup_id_z 0
		.amdhsa_system_sgpr_workgroup_info 0
		.amdhsa_system_vgpr_workitem_id 1
		.amdhsa_next_free_vgpr 192
		.amdhsa_next_free_sgpr 16
		.amdhsa_accum_offset 192
		.amdhsa_reserve_vcc 1
		.amdhsa_float_round_mode_32 0
		.amdhsa_float_round_mode_16_64 0
		.amdhsa_float_denorm_mode_32 3
		.amdhsa_float_denorm_mode_16_64 3
		.amdhsa_dx10_clamp 1
		.amdhsa_ieee_mode 1
		.amdhsa_fp16_overflow 0
		.amdhsa_tg_split 0
		.amdhsa_exception_fp_ieee_invalid_op 0
		.amdhsa_exception_fp_denorm_src 0
		.amdhsa_exception_fp_ieee_div_zero 0
		.amdhsa_exception_fp_ieee_overflow 0
		.amdhsa_exception_fp_ieee_underflow 0
		.amdhsa_exception_fp_ieee_inexact 0
		.amdhsa_exception_int_div_zero 0
	.end_amdhsa_kernel
	.section	.text._ZN9rocsolver6v33100L23getf2_npvt_small_kernelILi18E19rocblas_complex_numIdEiiPS3_EEvT1_T3_lS5_lPT2_S5_S5_,"axG",@progbits,_ZN9rocsolver6v33100L23getf2_npvt_small_kernelILi18E19rocblas_complex_numIdEiiPS3_EEvT1_T3_lS5_lPT2_S5_S5_,comdat
.Lfunc_end35:
	.size	_ZN9rocsolver6v33100L23getf2_npvt_small_kernelILi18E19rocblas_complex_numIdEiiPS3_EEvT1_T3_lS5_lPT2_S5_S5_, .Lfunc_end35-_ZN9rocsolver6v33100L23getf2_npvt_small_kernelILi18E19rocblas_complex_numIdEiiPS3_EEvT1_T3_lS5_lPT2_S5_S5_
                                        ; -- End function
	.set _ZN9rocsolver6v33100L23getf2_npvt_small_kernelILi18E19rocblas_complex_numIdEiiPS3_EEvT1_T3_lS5_lPT2_S5_S5_.num_vgpr, 192
	.set _ZN9rocsolver6v33100L23getf2_npvt_small_kernelILi18E19rocblas_complex_numIdEiiPS3_EEvT1_T3_lS5_lPT2_S5_S5_.num_agpr, 0
	.set _ZN9rocsolver6v33100L23getf2_npvt_small_kernelILi18E19rocblas_complex_numIdEiiPS3_EEvT1_T3_lS5_lPT2_S5_S5_.numbered_sgpr, 16
	.set _ZN9rocsolver6v33100L23getf2_npvt_small_kernelILi18E19rocblas_complex_numIdEiiPS3_EEvT1_T3_lS5_lPT2_S5_S5_.num_named_barrier, 0
	.set _ZN9rocsolver6v33100L23getf2_npvt_small_kernelILi18E19rocblas_complex_numIdEiiPS3_EEvT1_T3_lS5_lPT2_S5_S5_.private_seg_size, 0
	.set _ZN9rocsolver6v33100L23getf2_npvt_small_kernelILi18E19rocblas_complex_numIdEiiPS3_EEvT1_T3_lS5_lPT2_S5_S5_.uses_vcc, 1
	.set _ZN9rocsolver6v33100L23getf2_npvt_small_kernelILi18E19rocblas_complex_numIdEiiPS3_EEvT1_T3_lS5_lPT2_S5_S5_.uses_flat_scratch, 0
	.set _ZN9rocsolver6v33100L23getf2_npvt_small_kernelILi18E19rocblas_complex_numIdEiiPS3_EEvT1_T3_lS5_lPT2_S5_S5_.has_dyn_sized_stack, 0
	.set _ZN9rocsolver6v33100L23getf2_npvt_small_kernelILi18E19rocblas_complex_numIdEiiPS3_EEvT1_T3_lS5_lPT2_S5_S5_.has_recursion, 0
	.set _ZN9rocsolver6v33100L23getf2_npvt_small_kernelILi18E19rocblas_complex_numIdEiiPS3_EEvT1_T3_lS5_lPT2_S5_S5_.has_indirect_call, 0
	.section	.AMDGPU.csdata,"",@progbits
; Kernel info:
; codeLenInByte = 21992
; TotalNumSgprs: 22
; NumVgprs: 192
; NumAgprs: 0
; TotalNumVgprs: 192
; ScratchSize: 0
; MemoryBound: 1
; FloatMode: 240
; IeeeMode: 1
; LDSByteSize: 0 bytes/workgroup (compile time only)
; SGPRBlocks: 2
; VGPRBlocks: 23
; NumSGPRsForWavesPerEU: 22
; NumVGPRsForWavesPerEU: 192
; AccumOffset: 192
; Occupancy: 2
; WaveLimiterHint : 0
; COMPUTE_PGM_RSRC2:SCRATCH_EN: 0
; COMPUTE_PGM_RSRC2:USER_SGPR: 2
; COMPUTE_PGM_RSRC2:TRAP_HANDLER: 0
; COMPUTE_PGM_RSRC2:TGID_X_EN: 1
; COMPUTE_PGM_RSRC2:TGID_Y_EN: 1
; COMPUTE_PGM_RSRC2:TGID_Z_EN: 0
; COMPUTE_PGM_RSRC2:TIDIG_COMP_CNT: 1
; COMPUTE_PGM_RSRC3_GFX90A:ACCUM_OFFSET: 47
; COMPUTE_PGM_RSRC3_GFX90A:TG_SPLIT: 0
	.section	.text._ZN9rocsolver6v33100L18getf2_small_kernelILi19E19rocblas_complex_numIdEiiPS3_EEvT1_T3_lS5_lPS5_llPT2_S5_S5_S7_l,"axG",@progbits,_ZN9rocsolver6v33100L18getf2_small_kernelILi19E19rocblas_complex_numIdEiiPS3_EEvT1_T3_lS5_lPS5_llPT2_S5_S5_S7_l,comdat
	.globl	_ZN9rocsolver6v33100L18getf2_small_kernelILi19E19rocblas_complex_numIdEiiPS3_EEvT1_T3_lS5_lPS5_llPT2_S5_S5_S7_l ; -- Begin function _ZN9rocsolver6v33100L18getf2_small_kernelILi19E19rocblas_complex_numIdEiiPS3_EEvT1_T3_lS5_lPS5_llPT2_S5_S5_S7_l
	.p2align	8
	.type	_ZN9rocsolver6v33100L18getf2_small_kernelILi19E19rocblas_complex_numIdEiiPS3_EEvT1_T3_lS5_lPS5_llPT2_S5_S5_S7_l,@function
_ZN9rocsolver6v33100L18getf2_small_kernelILi19E19rocblas_complex_numIdEiiPS3_EEvT1_T3_lS5_lPS5_llPT2_S5_S5_S7_l: ; @_ZN9rocsolver6v33100L18getf2_small_kernelILi19E19rocblas_complex_numIdEiiPS3_EEvT1_T3_lS5_lPS5_llPT2_S5_S5_S7_l
; %bb.0:
	s_load_dword s2, s[0:1], 0x6c
	s_load_dwordx2 s[12:13], s[0:1], 0x48
	v_bfe_u32 v76, v0, 10, 10
	s_waitcnt lgkmcnt(0)
	s_lshr_b32 s2, s2, 16
	s_mul_i32 s3, s3, s2
	v_add_u32_e32 v82, s3, v76
	v_cmp_gt_i32_e32 vcc, s12, v82
	s_and_saveexec_b64 s[2:3], vcc
	s_cbranch_execz .LBB36_400
; %bb.1:
	s_load_dwordx4 s[4:7], s[0:1], 0x50
	v_ashrrev_i32_e32 v83, 31, v82
	v_mov_b64_e32 v[84:85], 0
	s_waitcnt lgkmcnt(0)
	s_cmp_eq_u64 s[4:5], 0
	s_cselect_b64 s[14:15], -1, 0
	s_and_b64 vcc, exec, s[14:15]
	s_cbranch_vccnz .LBB36_3
; %bb.2:
	v_mul_lo_u32 v1, s7, v82
	v_mul_lo_u32 v4, s6, v83
	v_mad_u64_u32 v[2:3], s[2:3], s6, v82, 0
	v_add3_u32 v3, v3, v4, v1
	v_lshl_add_u64 v[84:85], v[2:3], 2, s[4:5]
.LBB36_3:
	s_load_dwordx4 s[16:19], s[0:1], 0x8
	s_load_dwordx8 s[4:11], s[0:1], 0x20
	s_load_dword s2, s[0:1], 0x18
	s_load_dword s20, s[0:1], 0x0
	v_and_b32_e32 v90, 0x3ff, v0
	s_waitcnt lgkmcnt(0)
	v_mov_b32_e32 v2, s16
	v_mul_lo_u32 v1, s5, v82
	v_mul_lo_u32 v6, s4, v83
	v_mad_u64_u32 v[4:5], s[4:5], s4, v82, 0
	v_mov_b32_e32 v3, s17
	v_add3_u32 v5, v5, v6, v1
	v_lshl_add_u64 v[2:3], v[4:5], 4, v[2:3]
	s_add_i32 s12, s2, s2
	v_lshl_add_u64 v[80:81], s[18:19], 4, v[2:3]
	v_add_u32_e32 v2, s12, v90
	v_add_u32_e32 v4, s2, v2
	v_ashrrev_i32_e32 v3, 31, v2
	v_ashrrev_i32_e32 v5, 31, v4
	v_add_u32_e32 v6, s2, v4
	v_lshlrev_b32_e32 v86, 4, v90
	v_mov_b32_e32 v87, 0
	v_lshl_add_u64 v[2:3], v[2:3], 4, v[80:81]
	v_lshl_add_u64 v[4:5], v[4:5], 4, v[80:81]
	v_add_u32_e32 v8, s2, v6
	v_lshl_add_u64 v[0:1], v[80:81], 0, v[86:87]
	s_ashr_i32 s3, s2, 31
	v_ashrrev_i32_e32 v7, 31, v6
	global_load_dwordx4 v[52:55], v[2:3], off
	global_load_dwordx4 v[40:43], v[4:5], off
	v_ashrrev_i32_e32 v9, 31, v8
	v_add_u32_e32 v4, s2, v8
	v_lshl_add_u64 v[10:11], s[2:3], 4, v[0:1]
	v_lshl_add_u64 v[2:3], v[6:7], 4, v[80:81]
	global_load_dwordx4 v[68:71], v[0:1], off
	global_load_dwordx4 v[64:67], v[10:11], off
	v_lshl_add_u64 v[0:1], v[8:9], 4, v[80:81]
	v_add_u32_e32 v6, s2, v4
	global_load_dwordx4 v[44:47], v[2:3], off
	global_load_dwordx4 v[32:35], v[0:1], off
	v_add_u32_e32 v0, s2, v6
	v_ashrrev_i32_e32 v1, 31, v0
	v_add_u32_e32 v2, s2, v0
	v_lshl_add_u64 v[92:93], v[0:1], 4, v[80:81]
	v_ashrrev_i32_e32 v3, 31, v2
	v_add_u32_e32 v0, s2, v2
	v_lshl_add_u64 v[94:95], v[2:3], 4, v[80:81]
	;; [unrolled: 3-line block ×8, first 2 shown]
	v_ashrrev_i32_e32 v1, 31, v0
	v_add_u32_e32 v2, s2, v0
	v_ashrrev_i32_e32 v5, 31, v4
	v_lshl_add_u64 v[108:109], v[0:1], 4, v[80:81]
	v_add_u32_e32 v0, s2, v2
	v_lshl_add_u64 v[78:79], v[4:5], 4, v[80:81]
	v_ashrrev_i32_e32 v7, 31, v6
	v_ashrrev_i32_e32 v3, 31, v2
	;; [unrolled: 1-line block ×3, first 2 shown]
	v_lshl_add_u64 v[88:89], v[6:7], 4, v[80:81]
	v_lshl_add_u64 v[110:111], v[2:3], 4, v[80:81]
	;; [unrolled: 1-line block ×3, first 2 shown]
	global_load_dwordx4 v[60:63], v[78:79], off
	global_load_dwordx4 v[56:59], v[88:89], off
	;; [unrolled: 1-line block ×13, first 2 shown]
	s_load_dwordx2 s[4:5], s[0:1], 0x40
	s_max_i32 s0, s20, 19
	v_mul_lo_u32 v89, s0, v76
	v_lshl_add_u32 v88, v89, 4, 0
	v_add_u32_e32 v76, v88, v86
	s_cmp_lt_i32 s20, 2
	v_lshlrev_b32_e32 v92, 4, v89
	s_waitcnt vmcnt(16)
	ds_write2_b64 v76, v[68:69], v[70:71] offset1:1
	s_waitcnt lgkmcnt(0)
	s_barrier
	ds_read2_b64 v[76:79], v88 offset1:1
	s_cbranch_scc1 .LBB36_6
; %bb.4:
	v_add3_u32 v86, v92, 0, 16
	s_mov_b32 s16, 1
	v_mov_b32_e32 v87, 0
.LBB36_5:                               ; =>This Inner Loop Header: Depth=1
	ds_read2_b64 v[94:97], v86 offset1:1
	s_waitcnt lgkmcnt(1)
	v_xor_b32_e32 v89, 0x80000000, v77
	v_xor_b32_e32 v91, 0x80000000, v79
	v_cmp_gt_f64_e32 vcc, 0, v[78:79]
	v_cmp_gt_f64_e64 s[0:1], 0, v[76:77]
	v_mov_b32_e32 v98, v76
	v_mov_b32_e32 v100, v78
	v_cndmask_b32_e64 v99, v77, v89, s[0:1]
	v_cndmask_b32_e32 v101, v79, v91, vcc
	s_waitcnt lgkmcnt(0)
	v_xor_b32_e32 v89, 0x80000000, v95
	v_xor_b32_e32 v91, 0x80000000, v97
	v_cmp_gt_f64_e32 vcc, 0, v[96:97]
	v_cmp_gt_f64_e64 s[0:1], 0, v[94:95]
	v_add_f64 v[98:99], v[98:99], v[100:101]
	v_mov_b32_e32 v100, v94
	v_mov_b32_e32 v102, v96
	v_cndmask_b32_e64 v101, v95, v89, s[0:1]
	v_cndmask_b32_e32 v103, v97, v91, vcc
	v_add_f64 v[100:101], v[100:101], v[102:103]
	v_mov_b32_e32 v93, s16
	s_add_i32 s16, s16, 1
	v_cmp_lt_f64_e32 vcc, v[98:99], v[100:101]
	v_add_u32_e32 v86, 16, v86
	s_cmp_eq_u32 s20, s16
	v_cndmask_b32_e32 v77, v77, v95, vcc
	v_cndmask_b32_e32 v76, v76, v94, vcc
	;; [unrolled: 1-line block ×5, first 2 shown]
	s_cbranch_scc0 .LBB36_5
.LBB36_6:
	s_waitcnt lgkmcnt(0)
	v_cmp_neq_f64_e32 vcc, 0, v[76:77]
	v_cmp_neq_f64_e64 s[0:1], 0, v[78:79]
	s_or_b64 s[16:17], vcc, s[0:1]
	v_mov_b32_e32 v91, 1
	v_mov_b32_e32 v93, 1
	s_and_saveexec_b64 s[0:1], s[16:17]
	s_cbranch_execz .LBB36_12
; %bb.7:
	v_cmp_ngt_f64_e64 s[16:17], |v[76:77]|, |v[78:79]|
	s_and_saveexec_b64 s[18:19], s[16:17]
	s_xor_b64 s[16:17], exec, s[18:19]
	s_cbranch_execz .LBB36_9
; %bb.8:
	v_div_scale_f64 v[94:95], s[18:19], v[78:79], v[78:79], v[76:77]
	v_rcp_f64_e32 v[96:97], v[94:95]
	v_div_scale_f64 v[98:99], vcc, v[76:77], v[78:79], v[76:77]
	v_fma_f64 v[100:101], -v[94:95], v[96:97], 1.0
	v_fmac_f64_e32 v[96:97], v[96:97], v[100:101]
	v_fma_f64 v[100:101], -v[94:95], v[96:97], 1.0
	v_fmac_f64_e32 v[96:97], v[96:97], v[100:101]
	v_mul_f64 v[100:101], v[98:99], v[96:97]
	v_fma_f64 v[94:95], -v[94:95], v[100:101], v[98:99]
	v_div_fmas_f64 v[94:95], v[94:95], v[96:97], v[100:101]
	v_div_fixup_f64 v[94:95], v[94:95], v[78:79], v[76:77]
	v_fmac_f64_e32 v[78:79], v[76:77], v[94:95]
	v_div_scale_f64 v[76:77], s[18:19], v[78:79], v[78:79], 1.0
	v_rcp_f64_e32 v[96:97], v[76:77]
	s_nop 0
	v_fma_f64 v[98:99], -v[76:77], v[96:97], 1.0
	v_fmac_f64_e32 v[96:97], v[96:97], v[98:99]
	v_fma_f64 v[98:99], -v[76:77], v[96:97], 1.0
	v_fmac_f64_e32 v[96:97], v[96:97], v[98:99]
	v_div_scale_f64 v[98:99], vcc, 1.0, v[78:79], 1.0
	v_mul_f64 v[100:101], v[98:99], v[96:97]
	v_fma_f64 v[76:77], -v[76:77], v[100:101], v[98:99]
	s_nop 1
	v_div_fmas_f64 v[76:77], v[76:77], v[96:97], v[100:101]
	v_div_fixup_f64 v[78:79], v[76:77], v[78:79], 1.0
	v_mul_f64 v[76:77], v[94:95], v[78:79]
	v_xor_b32_e32 v79, 0x80000000, v79
.LBB36_9:
	s_andn2_saveexec_b64 s[16:17], s[16:17]
	s_cbranch_execz .LBB36_11
; %bb.10:
	v_div_scale_f64 v[94:95], s[18:19], v[76:77], v[76:77], v[78:79]
	v_rcp_f64_e32 v[96:97], v[94:95]
	v_div_scale_f64 v[98:99], vcc, v[78:79], v[76:77], v[78:79]
	v_fma_f64 v[100:101], -v[94:95], v[96:97], 1.0
	v_fmac_f64_e32 v[96:97], v[96:97], v[100:101]
	v_fma_f64 v[100:101], -v[94:95], v[96:97], 1.0
	v_fmac_f64_e32 v[96:97], v[96:97], v[100:101]
	v_mul_f64 v[100:101], v[98:99], v[96:97]
	v_fma_f64 v[94:95], -v[94:95], v[100:101], v[98:99]
	v_div_fmas_f64 v[94:95], v[94:95], v[96:97], v[100:101]
	v_div_fixup_f64 v[94:95], v[94:95], v[76:77], v[78:79]
	v_fmac_f64_e32 v[76:77], v[78:79], v[94:95]
	v_div_scale_f64 v[78:79], s[18:19], v[76:77], v[76:77], 1.0
	v_rcp_f64_e32 v[96:97], v[78:79]
	s_nop 0
	v_fma_f64 v[98:99], -v[78:79], v[96:97], 1.0
	v_fmac_f64_e32 v[96:97], v[96:97], v[98:99]
	v_fma_f64 v[98:99], -v[78:79], v[96:97], 1.0
	v_fmac_f64_e32 v[96:97], v[96:97], v[98:99]
	v_div_scale_f64 v[98:99], vcc, 1.0, v[76:77], 1.0
	v_mul_f64 v[100:101], v[98:99], v[96:97]
	v_fma_f64 v[78:79], -v[78:79], v[100:101], v[98:99]
	s_nop 1
	v_div_fmas_f64 v[78:79], v[78:79], v[96:97], v[100:101]
	v_div_fixup_f64 v[76:77], v[78:79], v[76:77], 1.0
	v_mul_f64 v[78:79], v[94:95], -v[76:77]
.LBB36_11:
	s_or_b64 exec, exec, s[16:17]
	v_mov_b32_e32 v93, 0
	v_mov_b32_e32 v91, 2
.LBB36_12:
	s_or_b64 exec, exec, s[0:1]
	v_cmp_ne_u32_e32 vcc, v90, v87
	s_and_saveexec_b64 s[0:1], vcc
	s_xor_b64 s[0:1], exec, s[0:1]
	s_cbranch_execz .LBB36_18
; %bb.13:
	v_cmp_eq_u32_e32 vcc, 0, v90
	s_and_saveexec_b64 s[16:17], vcc
	s_cbranch_execz .LBB36_17
; %bb.14:
	v_cmp_ne_u32_e32 vcc, 0, v87
	s_xor_b64 s[18:19], s[14:15], -1
	s_and_b64 s[22:23], s[18:19], vcc
	s_and_saveexec_b64 s[18:19], s[22:23]
	s_cbranch_execz .LBB36_16
; %bb.15:
	v_ashrrev_i32_e32 v95, 31, v87
	v_mov_b32_e32 v94, v87
	v_lshl_add_u64 v[94:95], v[94:95], 2, v[84:85]
	global_load_dword v86, v[94:95], off
	global_load_dword v89, v[84:85], off
	s_waitcnt vmcnt(1)
	global_store_dword v[84:85], v86, off
	s_waitcnt vmcnt(1)
	global_store_dword v[94:95], v89, off
.LBB36_16:
	s_or_b64 exec, exec, s[18:19]
	v_mov_b32_e32 v90, v87
.LBB36_17:
	s_or_b64 exec, exec, s[16:17]
.LBB36_18:
	s_or_saveexec_b64 s[0:1], s[0:1]
	v_mov_b32_e32 v89, v90
	s_xor_b64 exec, exec, s[0:1]
	s_cbranch_execz .LBB36_20
; %bb.19:
	v_mov_b32_e32 v89, 0
	s_waitcnt vmcnt(15)
	ds_write2_b64 v88, v[64:65], v[66:67] offset0:2 offset1:3
	ds_write2_b64 v88, v[52:53], v[54:55] offset0:4 offset1:5
	;; [unrolled: 1-line block ×3, first 2 shown]
	s_waitcnt vmcnt(14)
	ds_write2_b64 v88, v[44:45], v[46:47] offset0:8 offset1:9
	s_waitcnt vmcnt(13)
	ds_write2_b64 v88, v[32:33], v[34:35] offset0:10 offset1:11
	;; [unrolled: 2-line block ×15, first 2 shown]
.LBB36_20:
	s_or_b64 exec, exec, s[0:1]
	v_cmp_lt_i32_e32 vcc, 0, v89
	s_waitcnt lgkmcnt(0)
	s_barrier
	s_and_saveexec_b64 s[0:1], vcc
	s_cbranch_execz .LBB36_22
; %bb.21:
	ds_read2_b64 v[94:97], v88 offset0:2 offset1:3
	v_mul_f64 v[86:87], v[78:79], v[70:71]
	v_mul_f64 v[70:71], v[76:77], v[70:71]
	v_fma_f64 v[86:87], v[76:77], v[68:69], -v[86:87]
	v_fmac_f64_e32 v[70:71], v[78:79], v[68:69]
	ds_read2_b64 v[76:79], v88 offset0:4 offset1:5
	s_waitcnt lgkmcnt(1)
	v_mul_f64 v[68:69], v[96:97], v[70:71]
	v_fma_f64 v[68:69], v[94:95], v[86:87], -v[68:69]
	v_mul_f64 v[94:95], v[94:95], v[70:71]
	v_fmac_f64_e32 v[94:95], v[96:97], v[86:87]
	s_waitcnt vmcnt(15)
	v_add_f64 v[64:65], v[64:65], -v[68:69]
	s_waitcnt lgkmcnt(0)
	v_mul_f64 v[68:69], v[78:79], v[70:71]
	v_add_f64 v[66:67], v[66:67], -v[94:95]
	v_fma_f64 v[68:69], v[76:77], v[86:87], -v[68:69]
	v_mul_f64 v[76:77], v[76:77], v[70:71]
	ds_read2_b64 v[94:97], v88 offset0:6 offset1:7
	v_fmac_f64_e32 v[76:77], v[78:79], v[86:87]
	v_add_f64 v[54:55], v[54:55], -v[76:77]
	ds_read2_b64 v[76:79], v88 offset0:8 offset1:9
	v_add_f64 v[52:53], v[52:53], -v[68:69]
	s_waitcnt lgkmcnt(1)
	v_mul_f64 v[68:69], v[96:97], v[70:71]
	v_fma_f64 v[68:69], v[94:95], v[86:87], -v[68:69]
	v_mul_f64 v[94:95], v[94:95], v[70:71]
	v_fmac_f64_e32 v[94:95], v[96:97], v[86:87]
	v_add_f64 v[40:41], v[40:41], -v[68:69]
	s_waitcnt lgkmcnt(0)
	v_mul_f64 v[68:69], v[78:79], v[70:71]
	v_add_f64 v[42:43], v[42:43], -v[94:95]
	v_fma_f64 v[68:69], v[76:77], v[86:87], -v[68:69]
	v_mul_f64 v[76:77], v[76:77], v[70:71]
	ds_read2_b64 v[94:97], v88 offset0:10 offset1:11
	v_fmac_f64_e32 v[76:77], v[78:79], v[86:87]
	s_waitcnt vmcnt(14)
	v_add_f64 v[46:47], v[46:47], -v[76:77]
	ds_read2_b64 v[76:79], v88 offset0:12 offset1:13
	v_add_f64 v[44:45], v[44:45], -v[68:69]
	s_waitcnt lgkmcnt(1)
	v_mul_f64 v[68:69], v[96:97], v[70:71]
	v_fma_f64 v[68:69], v[94:95], v[86:87], -v[68:69]
	v_mul_f64 v[94:95], v[94:95], v[70:71]
	v_fmac_f64_e32 v[94:95], v[96:97], v[86:87]
	s_waitcnt vmcnt(13)
	v_add_f64 v[32:33], v[32:33], -v[68:69]
	s_waitcnt lgkmcnt(0)
	v_mul_f64 v[68:69], v[78:79], v[70:71]
	v_add_f64 v[34:35], v[34:35], -v[94:95]
	v_fma_f64 v[68:69], v[76:77], v[86:87], -v[68:69]
	v_mul_f64 v[76:77], v[76:77], v[70:71]
	ds_read2_b64 v[94:97], v88 offset0:14 offset1:15
	v_fmac_f64_e32 v[76:77], v[78:79], v[86:87]
	s_waitcnt vmcnt(12)
	v_add_f64 v[62:63], v[62:63], -v[76:77]
	ds_read2_b64 v[76:79], v88 offset0:16 offset1:17
	v_add_f64 v[60:61], v[60:61], -v[68:69]
	s_waitcnt lgkmcnt(1)
	v_mul_f64 v[68:69], v[96:97], v[70:71]
	v_fma_f64 v[68:69], v[94:95], v[86:87], -v[68:69]
	v_mul_f64 v[94:95], v[94:95], v[70:71]
	v_fmac_f64_e32 v[94:95], v[96:97], v[86:87]
	s_waitcnt vmcnt(11)
	;; [unrolled: 18-line block ×6, first 2 shown]
	v_add_f64 v[8:9], v[8:9], -v[68:69]
	s_waitcnt lgkmcnt(0)
	v_mul_f64 v[68:69], v[78:79], v[70:71]
	v_add_f64 v[10:11], v[10:11], -v[94:95]
	v_fma_f64 v[68:69], v[76:77], v[86:87], -v[68:69]
	v_mul_f64 v[76:77], v[76:77], v[70:71]
	ds_read2_b64 v[94:97], v88 offset0:34 offset1:35
	v_fmac_f64_e32 v[76:77], v[78:79], v[86:87]
	s_waitcnt vmcnt(2)
	v_add_f64 v[6:7], v[6:7], -v[76:77]
	ds_read2_b64 v[76:79], v88 offset0:36 offset1:37
	v_add_f64 v[4:5], v[4:5], -v[68:69]
	s_waitcnt lgkmcnt(1)
	v_mul_f64 v[68:69], v[96:97], v[70:71]
	v_fma_f64 v[68:69], v[94:95], v[86:87], -v[68:69]
	s_waitcnt vmcnt(1)
	v_add_f64 v[0:1], v[0:1], -v[68:69]
	s_waitcnt lgkmcnt(0)
	v_mul_f64 v[68:69], v[78:79], v[70:71]
	v_mul_f64 v[94:95], v[94:95], v[70:71]
	v_fma_f64 v[68:69], v[76:77], v[86:87], -v[68:69]
	v_mul_f64 v[76:77], v[76:77], v[70:71]
	v_fmac_f64_e32 v[94:95], v[96:97], v[86:87]
	v_fmac_f64_e32 v[76:77], v[78:79], v[86:87]
	v_add_f64 v[2:3], v[2:3], -v[94:95]
	s_waitcnt vmcnt(0)
	v_add_f64 v[72:73], v[72:73], -v[68:69]
	v_add_f64 v[74:75], v[74:75], -v[76:77]
	v_mov_b64_e32 v[68:69], v[86:87]
.LBB36_22:
	s_or_b64 exec, exec, s[0:1]
	v_lshl_add_u32 v76, v89, 4, v88
	s_barrier
	s_waitcnt vmcnt(15)
	ds_write2_b64 v76, v[64:65], v[66:67] offset1:1
	s_waitcnt lgkmcnt(0)
	s_barrier
	ds_read2_b64 v[76:79], v88 offset0:2 offset1:3
	s_cmp_lt_i32 s20, 3
	v_mov_b32_e32 v86, 1
	s_cbranch_scc1 .LBB36_25
; %bb.23:
	v_add3_u32 v87, v92, 0, 32
	s_mov_b32 s16, 2
	v_mov_b32_e32 v86, 1
.LBB36_24:                              ; =>This Inner Loop Header: Depth=1
	ds_read2_b64 v[94:97], v87 offset1:1
	s_waitcnt lgkmcnt(1)
	v_xor_b32_e32 v99, 0x80000000, v77
	v_xor_b32_e32 v101, 0x80000000, v79
	v_cmp_gt_f64_e32 vcc, 0, v[78:79]
	v_cmp_gt_f64_e64 s[0:1], 0, v[76:77]
	v_mov_b32_e32 v98, v76
	v_mov_b32_e32 v100, v78
	v_cndmask_b32_e64 v99, v77, v99, s[0:1]
	v_cndmask_b32_e32 v101, v79, v101, vcc
	v_add_f64 v[98:99], v[98:99], v[100:101]
	s_waitcnt lgkmcnt(0)
	v_xor_b32_e32 v101, 0x80000000, v95
	v_xor_b32_e32 v103, 0x80000000, v97
	v_cmp_gt_f64_e32 vcc, 0, v[96:97]
	v_cmp_gt_f64_e64 s[0:1], 0, v[94:95]
	v_mov_b32_e32 v100, v94
	v_mov_b32_e32 v102, v96
	v_cndmask_b32_e64 v101, v95, v101, s[0:1]
	v_cndmask_b32_e32 v103, v97, v103, vcc
	v_add_f64 v[100:101], v[100:101], v[102:103]
	v_mov_b32_e32 v104, s16
	s_add_i32 s16, s16, 1
	v_cmp_lt_f64_e32 vcc, v[98:99], v[100:101]
	v_add_u32_e32 v87, 16, v87
	s_cmp_lg_u32 s20, s16
	v_cndmask_b32_e32 v77, v77, v95, vcc
	v_cndmask_b32_e32 v76, v76, v94, vcc
	;; [unrolled: 1-line block ×5, first 2 shown]
	s_cbranch_scc1 .LBB36_24
.LBB36_25:
	s_waitcnt lgkmcnt(0)
	v_cmp_neq_f64_e32 vcc, 0, v[76:77]
	v_cmp_neq_f64_e64 s[0:1], 0, v[78:79]
	s_or_b64 s[16:17], vcc, s[0:1]
	s_and_saveexec_b64 s[0:1], s[16:17]
	s_cbranch_execz .LBB36_31
; %bb.26:
	v_cmp_ngt_f64_e64 s[16:17], |v[76:77]|, |v[78:79]|
	s_and_saveexec_b64 s[18:19], s[16:17]
	s_xor_b64 s[16:17], exec, s[18:19]
	s_cbranch_execz .LBB36_28
; %bb.27:
	v_div_scale_f64 v[94:95], s[18:19], v[78:79], v[78:79], v[76:77]
	v_rcp_f64_e32 v[96:97], v[94:95]
	v_div_scale_f64 v[98:99], vcc, v[76:77], v[78:79], v[76:77]
	v_fma_f64 v[100:101], -v[94:95], v[96:97], 1.0
	v_fmac_f64_e32 v[96:97], v[96:97], v[100:101]
	v_fma_f64 v[100:101], -v[94:95], v[96:97], 1.0
	v_fmac_f64_e32 v[96:97], v[96:97], v[100:101]
	v_mul_f64 v[100:101], v[98:99], v[96:97]
	v_fma_f64 v[94:95], -v[94:95], v[100:101], v[98:99]
	v_div_fmas_f64 v[94:95], v[94:95], v[96:97], v[100:101]
	v_div_fixup_f64 v[94:95], v[94:95], v[78:79], v[76:77]
	v_fmac_f64_e32 v[78:79], v[76:77], v[94:95]
	v_div_scale_f64 v[76:77], s[18:19], v[78:79], v[78:79], 1.0
	v_rcp_f64_e32 v[96:97], v[76:77]
	s_nop 0
	v_fma_f64 v[98:99], -v[76:77], v[96:97], 1.0
	v_fmac_f64_e32 v[96:97], v[96:97], v[98:99]
	v_fma_f64 v[98:99], -v[76:77], v[96:97], 1.0
	v_fmac_f64_e32 v[96:97], v[96:97], v[98:99]
	v_div_scale_f64 v[98:99], vcc, 1.0, v[78:79], 1.0
	v_mul_f64 v[100:101], v[98:99], v[96:97]
	v_fma_f64 v[76:77], -v[76:77], v[100:101], v[98:99]
	s_nop 1
	v_div_fmas_f64 v[76:77], v[76:77], v[96:97], v[100:101]
	v_div_fixup_f64 v[78:79], v[76:77], v[78:79], 1.0
	v_mul_f64 v[76:77], v[94:95], v[78:79]
	v_xor_b32_e32 v79, 0x80000000, v79
.LBB36_28:
	s_andn2_saveexec_b64 s[16:17], s[16:17]
	s_cbranch_execz .LBB36_30
; %bb.29:
	v_div_scale_f64 v[94:95], s[18:19], v[76:77], v[76:77], v[78:79]
	v_rcp_f64_e32 v[96:97], v[94:95]
	v_div_scale_f64 v[98:99], vcc, v[78:79], v[76:77], v[78:79]
	v_fma_f64 v[100:101], -v[94:95], v[96:97], 1.0
	v_fmac_f64_e32 v[96:97], v[96:97], v[100:101]
	v_fma_f64 v[100:101], -v[94:95], v[96:97], 1.0
	v_fmac_f64_e32 v[96:97], v[96:97], v[100:101]
	v_mul_f64 v[100:101], v[98:99], v[96:97]
	v_fma_f64 v[94:95], -v[94:95], v[100:101], v[98:99]
	v_div_fmas_f64 v[94:95], v[94:95], v[96:97], v[100:101]
	v_div_fixup_f64 v[94:95], v[94:95], v[76:77], v[78:79]
	v_fmac_f64_e32 v[76:77], v[78:79], v[94:95]
	v_div_scale_f64 v[78:79], s[18:19], v[76:77], v[76:77], 1.0
	v_rcp_f64_e32 v[96:97], v[78:79]
	s_nop 0
	v_fma_f64 v[98:99], -v[78:79], v[96:97], 1.0
	v_fmac_f64_e32 v[96:97], v[96:97], v[98:99]
	v_fma_f64 v[98:99], -v[78:79], v[96:97], 1.0
	v_fmac_f64_e32 v[96:97], v[96:97], v[98:99]
	v_div_scale_f64 v[98:99], vcc, 1.0, v[76:77], 1.0
	v_mul_f64 v[100:101], v[98:99], v[96:97]
	v_fma_f64 v[78:79], -v[78:79], v[100:101], v[98:99]
	s_nop 1
	v_div_fmas_f64 v[78:79], v[78:79], v[96:97], v[100:101]
	v_div_fixup_f64 v[76:77], v[78:79], v[76:77], 1.0
	v_mul_f64 v[78:79], v[94:95], -v[76:77]
.LBB36_30:
	s_or_b64 exec, exec, s[16:17]
	v_mov_b32_e32 v91, v93
.LBB36_31:
	s_or_b64 exec, exec, s[0:1]
	v_cmp_ne_u32_e32 vcc, v89, v86
	s_and_saveexec_b64 s[0:1], vcc
	s_xor_b64 s[0:1], exec, s[0:1]
	s_cbranch_execz .LBB36_37
; %bb.32:
	v_cmp_eq_u32_e32 vcc, 1, v89
	s_and_saveexec_b64 s[16:17], vcc
	s_cbranch_execz .LBB36_36
; %bb.33:
	v_cmp_ne_u32_e32 vcc, 1, v86
	s_xor_b64 s[18:19], s[14:15], -1
	s_and_b64 s[22:23], s[18:19], vcc
	s_and_saveexec_b64 s[18:19], s[22:23]
	s_cbranch_execz .LBB36_35
; %bb.34:
	v_ashrrev_i32_e32 v87, 31, v86
	v_lshl_add_u64 v[94:95], v[86:87], 2, v[84:85]
	global_load_dword v87, v[94:95], off
	global_load_dword v89, v[84:85], off offset:4
	s_waitcnt vmcnt(1)
	global_store_dword v[84:85], v87, off offset:4
	s_waitcnt vmcnt(1)
	global_store_dword v[94:95], v89, off
.LBB36_35:
	s_or_b64 exec, exec, s[18:19]
	v_mov_b32_e32 v89, v86
	v_mov_b32_e32 v90, v86
.LBB36_36:
	s_or_b64 exec, exec, s[16:17]
.LBB36_37:
	s_andn2_saveexec_b64 s[0:1], s[0:1]
	s_cbranch_execz .LBB36_39
; %bb.38:
	v_mov_b32_e32 v89, 1
	ds_write2_b64 v88, v[52:53], v[54:55] offset0:4 offset1:5
	ds_write2_b64 v88, v[40:41], v[42:43] offset0:6 offset1:7
	s_waitcnt vmcnt(14)
	ds_write2_b64 v88, v[44:45], v[46:47] offset0:8 offset1:9
	s_waitcnt vmcnt(13)
	;; [unrolled: 2-line block ×15, first 2 shown]
	ds_write2_b64 v88, v[72:73], v[74:75] offset0:36 offset1:37
.LBB36_39:
	s_or_b64 exec, exec, s[0:1]
	v_cmp_lt_i32_e32 vcc, 1, v89
	s_waitcnt lgkmcnt(0)
	s_barrier
	s_and_saveexec_b64 s[0:1], vcc
	s_cbranch_execz .LBB36_41
; %bb.40:
	ds_read2_b64 v[94:97], v88 offset0:4 offset1:5
	v_mul_f64 v[86:87], v[78:79], v[66:67]
	v_mul_f64 v[66:67], v[76:77], v[66:67]
	v_fmac_f64_e32 v[66:67], v[78:79], v[64:65]
	v_fma_f64 v[86:87], v[76:77], v[64:65], -v[86:87]
	ds_read2_b64 v[76:79], v88 offset0:6 offset1:7
	s_waitcnt lgkmcnt(1)
	v_mul_f64 v[64:65], v[96:97], v[66:67]
	v_fma_f64 v[64:65], v[94:95], v[86:87], -v[64:65]
	v_mul_f64 v[94:95], v[94:95], v[66:67]
	v_fmac_f64_e32 v[94:95], v[96:97], v[86:87]
	v_add_f64 v[54:55], v[54:55], -v[94:95]
	ds_read2_b64 v[94:97], v88 offset0:8 offset1:9
	v_add_f64 v[52:53], v[52:53], -v[64:65]
	s_waitcnt lgkmcnt(1)
	v_mul_f64 v[64:65], v[78:79], v[66:67]
	v_fma_f64 v[64:65], v[76:77], v[86:87], -v[64:65]
	v_mul_f64 v[76:77], v[76:77], v[66:67]
	v_fmac_f64_e32 v[76:77], v[78:79], v[86:87]
	v_add_f64 v[40:41], v[40:41], -v[64:65]
	v_add_f64 v[42:43], v[42:43], -v[76:77]
	ds_read2_b64 v[76:79], v88 offset0:10 offset1:11
	s_waitcnt lgkmcnt(1)
	v_mul_f64 v[64:65], v[96:97], v[66:67]
	v_fma_f64 v[64:65], v[94:95], v[86:87], -v[64:65]
	v_mul_f64 v[94:95], v[94:95], v[66:67]
	v_fmac_f64_e32 v[94:95], v[96:97], v[86:87]
	s_waitcnt vmcnt(14)
	v_add_f64 v[46:47], v[46:47], -v[94:95]
	ds_read2_b64 v[94:97], v88 offset0:12 offset1:13
	v_add_f64 v[44:45], v[44:45], -v[64:65]
	s_waitcnt lgkmcnt(1)
	v_mul_f64 v[64:65], v[78:79], v[66:67]
	v_fma_f64 v[64:65], v[76:77], v[86:87], -v[64:65]
	v_mul_f64 v[76:77], v[76:77], v[66:67]
	v_fmac_f64_e32 v[76:77], v[78:79], v[86:87]
	s_waitcnt vmcnt(13)
	v_add_f64 v[32:33], v[32:33], -v[64:65]
	v_add_f64 v[34:35], v[34:35], -v[76:77]
	ds_read2_b64 v[76:79], v88 offset0:14 offset1:15
	s_waitcnt lgkmcnt(1)
	v_mul_f64 v[64:65], v[96:97], v[66:67]
	v_fma_f64 v[64:65], v[94:95], v[86:87], -v[64:65]
	v_mul_f64 v[94:95], v[94:95], v[66:67]
	v_fmac_f64_e32 v[94:95], v[96:97], v[86:87]
	s_waitcnt vmcnt(12)
	v_add_f64 v[62:63], v[62:63], -v[94:95]
	ds_read2_b64 v[94:97], v88 offset0:16 offset1:17
	v_add_f64 v[60:61], v[60:61], -v[64:65]
	s_waitcnt lgkmcnt(1)
	v_mul_f64 v[64:65], v[78:79], v[66:67]
	v_fma_f64 v[64:65], v[76:77], v[86:87], -v[64:65]
	v_mul_f64 v[76:77], v[76:77], v[66:67]
	v_fmac_f64_e32 v[76:77], v[78:79], v[86:87]
	s_waitcnt vmcnt(11)
	;; [unrolled: 18-line block ×7, first 2 shown]
	v_add_f64 v[0:1], v[0:1], -v[64:65]
	v_add_f64 v[2:3], v[2:3], -v[76:77]
	s_waitcnt lgkmcnt(0)
	v_mul_f64 v[64:65], v[96:97], v[66:67]
	v_mul_f64 v[76:77], v[94:95], v[66:67]
	v_fma_f64 v[64:65], v[94:95], v[86:87], -v[64:65]
	v_fmac_f64_e32 v[76:77], v[96:97], v[86:87]
	s_waitcnt vmcnt(0)
	v_add_f64 v[72:73], v[72:73], -v[64:65]
	v_add_f64 v[74:75], v[74:75], -v[76:77]
	v_mov_b64_e32 v[64:65], v[86:87]
.LBB36_41:
	s_or_b64 exec, exec, s[0:1]
	v_lshl_add_u32 v76, v89, 4, v88
	s_barrier
	ds_write2_b64 v76, v[52:53], v[54:55] offset1:1
	s_waitcnt lgkmcnt(0)
	s_barrier
	ds_read2_b64 v[76:79], v88 offset0:4 offset1:5
	s_cmp_lt_i32 s20, 4
	v_mov_b32_e32 v86, 2
	s_cbranch_scc1 .LBB36_44
; %bb.42:
	v_add3_u32 v87, v92, 0, 48
	s_mov_b32 s16, 3
	v_mov_b32_e32 v86, 2
.LBB36_43:                              ; =>This Inner Loop Header: Depth=1
	ds_read2_b64 v[94:97], v87 offset1:1
	s_waitcnt lgkmcnt(1)
	v_xor_b32_e32 v93, 0x80000000, v77
	v_xor_b32_e32 v101, 0x80000000, v79
	v_cmp_gt_f64_e32 vcc, 0, v[78:79]
	v_cmp_gt_f64_e64 s[0:1], 0, v[76:77]
	v_mov_b32_e32 v98, v76
	v_mov_b32_e32 v100, v78
	v_cndmask_b32_e64 v99, v77, v93, s[0:1]
	v_cndmask_b32_e32 v101, v79, v101, vcc
	s_waitcnt lgkmcnt(0)
	v_xor_b32_e32 v93, 0x80000000, v95
	v_xor_b32_e32 v103, 0x80000000, v97
	v_cmp_gt_f64_e32 vcc, 0, v[96:97]
	v_cmp_gt_f64_e64 s[0:1], 0, v[94:95]
	v_add_f64 v[98:99], v[98:99], v[100:101]
	v_mov_b32_e32 v100, v94
	v_mov_b32_e32 v102, v96
	v_cndmask_b32_e64 v101, v95, v93, s[0:1]
	v_cndmask_b32_e32 v103, v97, v103, vcc
	v_add_f64 v[100:101], v[100:101], v[102:103]
	v_mov_b32_e32 v104, s16
	s_add_i32 s16, s16, 1
	v_cmp_lt_f64_e32 vcc, v[98:99], v[100:101]
	v_add_u32_e32 v87, 16, v87
	s_cmp_lg_u32 s20, s16
	v_cndmask_b32_e32 v77, v77, v95, vcc
	v_cndmask_b32_e32 v76, v76, v94, vcc
	v_cndmask_b32_e32 v79, v79, v97, vcc
	v_cndmask_b32_e32 v78, v78, v96, vcc
	v_cndmask_b32_e32 v86, v86, v104, vcc
	s_cbranch_scc1 .LBB36_43
.LBB36_44:
	s_waitcnt lgkmcnt(0)
	v_cmp_eq_f64_e32 vcc, 0, v[76:77]
	v_cmp_eq_f64_e64 s[0:1], 0, v[78:79]
	s_and_b64 s[0:1], vcc, s[0:1]
	s_and_saveexec_b64 s[16:17], s[0:1]
	s_xor_b64 s[0:1], exec, s[16:17]
; %bb.45:
	v_cmp_ne_u32_e32 vcc, 0, v91
	s_nop 1
	v_cndmask_b32_e32 v91, 3, v91, vcc
; %bb.46:
	s_andn2_saveexec_b64 s[0:1], s[0:1]
	s_cbranch_execz .LBB36_52
; %bb.47:
	v_cmp_ngt_f64_e64 s[16:17], |v[76:77]|, |v[78:79]|
	s_and_saveexec_b64 s[18:19], s[16:17]
	s_xor_b64 s[16:17], exec, s[18:19]
	s_cbranch_execz .LBB36_49
; %bb.48:
	v_div_scale_f64 v[94:95], s[18:19], v[78:79], v[78:79], v[76:77]
	v_rcp_f64_e32 v[96:97], v[94:95]
	v_div_scale_f64 v[98:99], vcc, v[76:77], v[78:79], v[76:77]
	v_fma_f64 v[100:101], -v[94:95], v[96:97], 1.0
	v_fmac_f64_e32 v[96:97], v[96:97], v[100:101]
	v_fma_f64 v[100:101], -v[94:95], v[96:97], 1.0
	v_fmac_f64_e32 v[96:97], v[96:97], v[100:101]
	v_mul_f64 v[100:101], v[98:99], v[96:97]
	v_fma_f64 v[94:95], -v[94:95], v[100:101], v[98:99]
	v_div_fmas_f64 v[94:95], v[94:95], v[96:97], v[100:101]
	v_div_fixup_f64 v[94:95], v[94:95], v[78:79], v[76:77]
	v_fmac_f64_e32 v[78:79], v[76:77], v[94:95]
	v_div_scale_f64 v[76:77], s[18:19], v[78:79], v[78:79], 1.0
	v_rcp_f64_e32 v[96:97], v[76:77]
	s_nop 0
	v_fma_f64 v[98:99], -v[76:77], v[96:97], 1.0
	v_fmac_f64_e32 v[96:97], v[96:97], v[98:99]
	v_fma_f64 v[98:99], -v[76:77], v[96:97], 1.0
	v_fmac_f64_e32 v[96:97], v[96:97], v[98:99]
	v_div_scale_f64 v[98:99], vcc, 1.0, v[78:79], 1.0
	v_mul_f64 v[100:101], v[98:99], v[96:97]
	v_fma_f64 v[76:77], -v[76:77], v[100:101], v[98:99]
	s_nop 1
	v_div_fmas_f64 v[76:77], v[76:77], v[96:97], v[100:101]
	v_div_fixup_f64 v[78:79], v[76:77], v[78:79], 1.0
	v_mul_f64 v[76:77], v[94:95], v[78:79]
	v_xor_b32_e32 v79, 0x80000000, v79
.LBB36_49:
	s_andn2_saveexec_b64 s[16:17], s[16:17]
	s_cbranch_execz .LBB36_51
; %bb.50:
	v_div_scale_f64 v[94:95], s[18:19], v[76:77], v[76:77], v[78:79]
	v_rcp_f64_e32 v[96:97], v[94:95]
	v_div_scale_f64 v[98:99], vcc, v[78:79], v[76:77], v[78:79]
	v_fma_f64 v[100:101], -v[94:95], v[96:97], 1.0
	v_fmac_f64_e32 v[96:97], v[96:97], v[100:101]
	v_fma_f64 v[100:101], -v[94:95], v[96:97], 1.0
	v_fmac_f64_e32 v[96:97], v[96:97], v[100:101]
	v_mul_f64 v[100:101], v[98:99], v[96:97]
	v_fma_f64 v[94:95], -v[94:95], v[100:101], v[98:99]
	v_div_fmas_f64 v[94:95], v[94:95], v[96:97], v[100:101]
	v_div_fixup_f64 v[94:95], v[94:95], v[76:77], v[78:79]
	v_fmac_f64_e32 v[76:77], v[78:79], v[94:95]
	v_div_scale_f64 v[78:79], s[18:19], v[76:77], v[76:77], 1.0
	v_rcp_f64_e32 v[96:97], v[78:79]
	s_nop 0
	v_fma_f64 v[98:99], -v[78:79], v[96:97], 1.0
	v_fmac_f64_e32 v[96:97], v[96:97], v[98:99]
	v_fma_f64 v[98:99], -v[78:79], v[96:97], 1.0
	v_fmac_f64_e32 v[96:97], v[96:97], v[98:99]
	v_div_scale_f64 v[98:99], vcc, 1.0, v[76:77], 1.0
	v_mul_f64 v[100:101], v[98:99], v[96:97]
	v_fma_f64 v[78:79], -v[78:79], v[100:101], v[98:99]
	s_nop 1
	v_div_fmas_f64 v[78:79], v[78:79], v[96:97], v[100:101]
	v_div_fixup_f64 v[76:77], v[78:79], v[76:77], 1.0
	v_mul_f64 v[78:79], v[94:95], -v[76:77]
.LBB36_51:
	s_or_b64 exec, exec, s[16:17]
.LBB36_52:
	s_or_b64 exec, exec, s[0:1]
	v_cmp_ne_u32_e32 vcc, v89, v86
	s_and_saveexec_b64 s[0:1], vcc
	s_xor_b64 s[0:1], exec, s[0:1]
	s_cbranch_execz .LBB36_58
; %bb.53:
	v_cmp_eq_u32_e32 vcc, 2, v89
	s_and_saveexec_b64 s[16:17], vcc
	s_cbranch_execz .LBB36_57
; %bb.54:
	v_cmp_ne_u32_e32 vcc, 2, v86
	s_xor_b64 s[18:19], s[14:15], -1
	s_and_b64 s[22:23], s[18:19], vcc
	s_and_saveexec_b64 s[18:19], s[22:23]
	s_cbranch_execz .LBB36_56
; %bb.55:
	v_ashrrev_i32_e32 v87, 31, v86
	v_lshl_add_u64 v[94:95], v[86:87], 2, v[84:85]
	global_load_dword v87, v[94:95], off
	global_load_dword v89, v[84:85], off offset:8
	s_waitcnt vmcnt(1)
	global_store_dword v[84:85], v87, off offset:8
	s_waitcnt vmcnt(1)
	global_store_dword v[94:95], v89, off
.LBB36_56:
	s_or_b64 exec, exec, s[18:19]
	v_mov_b32_e32 v89, v86
	v_mov_b32_e32 v90, v86
.LBB36_57:
	s_or_b64 exec, exec, s[16:17]
.LBB36_58:
	s_andn2_saveexec_b64 s[0:1], s[0:1]
	s_cbranch_execz .LBB36_60
; %bb.59:
	v_mov_b32_e32 v89, 2
	ds_write2_b64 v88, v[40:41], v[42:43] offset0:6 offset1:7
	s_waitcnt vmcnt(14)
	ds_write2_b64 v88, v[44:45], v[46:47] offset0:8 offset1:9
	s_waitcnt vmcnt(13)
	;; [unrolled: 2-line block ×15, first 2 shown]
	ds_write2_b64 v88, v[72:73], v[74:75] offset0:36 offset1:37
.LBB36_60:
	s_or_b64 exec, exec, s[0:1]
	v_cmp_lt_i32_e32 vcc, 2, v89
	s_waitcnt lgkmcnt(0)
	s_barrier
	s_and_saveexec_b64 s[0:1], vcc
	s_cbranch_execz .LBB36_62
; %bb.61:
	ds_read2_b64 v[94:97], v88 offset0:6 offset1:7
	v_mul_f64 v[86:87], v[76:77], v[54:55]
	v_mul_f64 v[54:55], v[78:79], v[54:55]
	v_fmac_f64_e32 v[86:87], v[78:79], v[52:53]
	v_fma_f64 v[52:53], v[76:77], v[52:53], -v[54:55]
	ds_read2_b64 v[76:79], v88 offset0:8 offset1:9
	s_waitcnt lgkmcnt(1)
	v_mul_f64 v[54:55], v[96:97], v[86:87]
	v_fma_f64 v[54:55], v[94:95], v[52:53], -v[54:55]
	v_mul_f64 v[94:95], v[94:95], v[86:87]
	v_fmac_f64_e32 v[94:95], v[96:97], v[52:53]
	v_add_f64 v[40:41], v[40:41], -v[54:55]
	s_waitcnt lgkmcnt(0)
	v_mul_f64 v[54:55], v[78:79], v[86:87]
	v_add_f64 v[42:43], v[42:43], -v[94:95]
	v_fma_f64 v[54:55], v[76:77], v[52:53], -v[54:55]
	v_mul_f64 v[76:77], v[76:77], v[86:87]
	ds_read2_b64 v[94:97], v88 offset0:10 offset1:11
	v_fmac_f64_e32 v[76:77], v[78:79], v[52:53]
	s_waitcnt vmcnt(14)
	v_add_f64 v[46:47], v[46:47], -v[76:77]
	ds_read2_b64 v[76:79], v88 offset0:12 offset1:13
	v_add_f64 v[44:45], v[44:45], -v[54:55]
	s_waitcnt lgkmcnt(1)
	v_mul_f64 v[54:55], v[96:97], v[86:87]
	v_fma_f64 v[54:55], v[94:95], v[52:53], -v[54:55]
	v_mul_f64 v[94:95], v[94:95], v[86:87]
	v_fmac_f64_e32 v[94:95], v[96:97], v[52:53]
	s_waitcnt vmcnt(13)
	v_add_f64 v[32:33], v[32:33], -v[54:55]
	s_waitcnt lgkmcnt(0)
	v_mul_f64 v[54:55], v[78:79], v[86:87]
	v_add_f64 v[34:35], v[34:35], -v[94:95]
	v_fma_f64 v[54:55], v[76:77], v[52:53], -v[54:55]
	v_mul_f64 v[76:77], v[76:77], v[86:87]
	ds_read2_b64 v[94:97], v88 offset0:14 offset1:15
	v_fmac_f64_e32 v[76:77], v[78:79], v[52:53]
	s_waitcnt vmcnt(12)
	v_add_f64 v[62:63], v[62:63], -v[76:77]
	ds_read2_b64 v[76:79], v88 offset0:16 offset1:17
	v_add_f64 v[60:61], v[60:61], -v[54:55]
	s_waitcnt lgkmcnt(1)
	v_mul_f64 v[54:55], v[96:97], v[86:87]
	v_fma_f64 v[54:55], v[94:95], v[52:53], -v[54:55]
	v_mul_f64 v[94:95], v[94:95], v[86:87]
	v_fmac_f64_e32 v[94:95], v[96:97], v[52:53]
	s_waitcnt vmcnt(11)
	;; [unrolled: 18-line block ×6, first 2 shown]
	v_add_f64 v[8:9], v[8:9], -v[54:55]
	s_waitcnt lgkmcnt(0)
	v_mul_f64 v[54:55], v[78:79], v[86:87]
	v_add_f64 v[10:11], v[10:11], -v[94:95]
	v_fma_f64 v[54:55], v[76:77], v[52:53], -v[54:55]
	v_mul_f64 v[76:77], v[76:77], v[86:87]
	ds_read2_b64 v[94:97], v88 offset0:34 offset1:35
	v_fmac_f64_e32 v[76:77], v[78:79], v[52:53]
	s_waitcnt vmcnt(2)
	v_add_f64 v[6:7], v[6:7], -v[76:77]
	ds_read2_b64 v[76:79], v88 offset0:36 offset1:37
	v_add_f64 v[4:5], v[4:5], -v[54:55]
	s_waitcnt lgkmcnt(1)
	v_mul_f64 v[54:55], v[96:97], v[86:87]
	v_fma_f64 v[54:55], v[94:95], v[52:53], -v[54:55]
	s_waitcnt vmcnt(1)
	v_add_f64 v[0:1], v[0:1], -v[54:55]
	s_waitcnt lgkmcnt(0)
	v_mul_f64 v[54:55], v[78:79], v[86:87]
	v_mul_f64 v[94:95], v[94:95], v[86:87]
	v_fma_f64 v[54:55], v[76:77], v[52:53], -v[54:55]
	v_mul_f64 v[76:77], v[76:77], v[86:87]
	v_fmac_f64_e32 v[94:95], v[96:97], v[52:53]
	v_fmac_f64_e32 v[76:77], v[78:79], v[52:53]
	v_add_f64 v[2:3], v[2:3], -v[94:95]
	s_waitcnt vmcnt(0)
	v_add_f64 v[72:73], v[72:73], -v[54:55]
	v_add_f64 v[74:75], v[74:75], -v[76:77]
	v_mov_b64_e32 v[54:55], v[86:87]
.LBB36_62:
	s_or_b64 exec, exec, s[0:1]
	v_lshl_add_u32 v76, v89, 4, v88
	s_barrier
	ds_write2_b64 v76, v[40:41], v[42:43] offset1:1
	s_waitcnt lgkmcnt(0)
	s_barrier
	ds_read2_b64 v[76:79], v88 offset0:6 offset1:7
	s_mov_b32 s16, 4
	s_cmp_lt_i32 s20, 5
	v_mov_b32_e32 v86, 3
	s_cbranch_scc1 .LBB36_65
; %bb.63:
	v_add3_u32 v87, v92, 0, 64
	v_mov_b32_e32 v86, 3
.LBB36_64:                              ; =>This Inner Loop Header: Depth=1
	ds_read2_b64 v[92:95], v87 offset1:1
	s_waitcnt lgkmcnt(1)
	v_xor_b32_e32 v97, 0x80000000, v77
	v_xor_b32_e32 v99, 0x80000000, v79
	v_cmp_gt_f64_e32 vcc, 0, v[78:79]
	v_cmp_gt_f64_e64 s[0:1], 0, v[76:77]
	v_mov_b32_e32 v96, v76
	v_mov_b32_e32 v98, v78
	v_cndmask_b32_e64 v97, v77, v97, s[0:1]
	v_cndmask_b32_e32 v99, v79, v99, vcc
	v_add_f64 v[96:97], v[96:97], v[98:99]
	s_waitcnt lgkmcnt(0)
	v_xor_b32_e32 v99, 0x80000000, v93
	v_xor_b32_e32 v101, 0x80000000, v95
	v_cmp_gt_f64_e32 vcc, 0, v[94:95]
	v_cmp_gt_f64_e64 s[0:1], 0, v[92:93]
	v_mov_b32_e32 v98, v92
	v_mov_b32_e32 v100, v94
	v_cndmask_b32_e64 v99, v93, v99, s[0:1]
	v_cndmask_b32_e32 v101, v95, v101, vcc
	v_add_f64 v[98:99], v[98:99], v[100:101]
	v_mov_b32_e32 v102, s16
	s_add_i32 s16, s16, 1
	v_cmp_lt_f64_e32 vcc, v[96:97], v[98:99]
	v_add_u32_e32 v87, 16, v87
	s_cmp_lg_u32 s20, s16
	v_cndmask_b32_e32 v77, v77, v93, vcc
	v_cndmask_b32_e32 v76, v76, v92, vcc
	;; [unrolled: 1-line block ×5, first 2 shown]
	s_cbranch_scc1 .LBB36_64
.LBB36_65:
	s_waitcnt lgkmcnt(0)
	v_cmp_eq_f64_e32 vcc, 0, v[76:77]
	v_cmp_eq_f64_e64 s[0:1], 0, v[78:79]
	s_and_b64 s[0:1], vcc, s[0:1]
	s_and_saveexec_b64 s[16:17], s[0:1]
	s_xor_b64 s[0:1], exec, s[16:17]
; %bb.66:
	v_cmp_ne_u32_e32 vcc, 0, v91
	s_nop 1
	v_cndmask_b32_e32 v91, 4, v91, vcc
; %bb.67:
	s_andn2_saveexec_b64 s[0:1], s[0:1]
	s_cbranch_execz .LBB36_73
; %bb.68:
	v_cmp_ngt_f64_e64 s[16:17], |v[76:77]|, |v[78:79]|
	s_and_saveexec_b64 s[18:19], s[16:17]
	s_xor_b64 s[16:17], exec, s[18:19]
	s_cbranch_execz .LBB36_70
; %bb.69:
	v_div_scale_f64 v[92:93], s[18:19], v[78:79], v[78:79], v[76:77]
	v_rcp_f64_e32 v[94:95], v[92:93]
	v_div_scale_f64 v[96:97], vcc, v[76:77], v[78:79], v[76:77]
	v_fma_f64 v[98:99], -v[92:93], v[94:95], 1.0
	v_fmac_f64_e32 v[94:95], v[94:95], v[98:99]
	v_fma_f64 v[98:99], -v[92:93], v[94:95], 1.0
	v_fmac_f64_e32 v[94:95], v[94:95], v[98:99]
	v_mul_f64 v[98:99], v[96:97], v[94:95]
	v_fma_f64 v[92:93], -v[92:93], v[98:99], v[96:97]
	v_div_fmas_f64 v[92:93], v[92:93], v[94:95], v[98:99]
	v_div_fixup_f64 v[92:93], v[92:93], v[78:79], v[76:77]
	v_fmac_f64_e32 v[78:79], v[76:77], v[92:93]
	v_div_scale_f64 v[76:77], s[18:19], v[78:79], v[78:79], 1.0
	v_rcp_f64_e32 v[94:95], v[76:77]
	s_nop 0
	v_fma_f64 v[96:97], -v[76:77], v[94:95], 1.0
	v_fmac_f64_e32 v[94:95], v[94:95], v[96:97]
	v_fma_f64 v[96:97], -v[76:77], v[94:95], 1.0
	v_fmac_f64_e32 v[94:95], v[94:95], v[96:97]
	v_div_scale_f64 v[96:97], vcc, 1.0, v[78:79], 1.0
	v_mul_f64 v[98:99], v[96:97], v[94:95]
	v_fma_f64 v[76:77], -v[76:77], v[98:99], v[96:97]
	s_nop 1
	v_div_fmas_f64 v[76:77], v[76:77], v[94:95], v[98:99]
	v_div_fixup_f64 v[78:79], v[76:77], v[78:79], 1.0
	v_mul_f64 v[76:77], v[92:93], v[78:79]
	v_xor_b32_e32 v79, 0x80000000, v79
.LBB36_70:
	s_andn2_saveexec_b64 s[16:17], s[16:17]
	s_cbranch_execz .LBB36_72
; %bb.71:
	v_div_scale_f64 v[92:93], s[18:19], v[76:77], v[76:77], v[78:79]
	v_rcp_f64_e32 v[94:95], v[92:93]
	v_div_scale_f64 v[96:97], vcc, v[78:79], v[76:77], v[78:79]
	v_fma_f64 v[98:99], -v[92:93], v[94:95], 1.0
	v_fmac_f64_e32 v[94:95], v[94:95], v[98:99]
	v_fma_f64 v[98:99], -v[92:93], v[94:95], 1.0
	v_fmac_f64_e32 v[94:95], v[94:95], v[98:99]
	v_mul_f64 v[98:99], v[96:97], v[94:95]
	v_fma_f64 v[92:93], -v[92:93], v[98:99], v[96:97]
	v_div_fmas_f64 v[92:93], v[92:93], v[94:95], v[98:99]
	v_div_fixup_f64 v[92:93], v[92:93], v[76:77], v[78:79]
	v_fmac_f64_e32 v[76:77], v[78:79], v[92:93]
	v_div_scale_f64 v[78:79], s[18:19], v[76:77], v[76:77], 1.0
	v_rcp_f64_e32 v[94:95], v[78:79]
	s_nop 0
	v_fma_f64 v[96:97], -v[78:79], v[94:95], 1.0
	v_fmac_f64_e32 v[94:95], v[94:95], v[96:97]
	v_fma_f64 v[96:97], -v[78:79], v[94:95], 1.0
	v_fmac_f64_e32 v[94:95], v[94:95], v[96:97]
	v_div_scale_f64 v[96:97], vcc, 1.0, v[76:77], 1.0
	v_mul_f64 v[98:99], v[96:97], v[94:95]
	v_fma_f64 v[78:79], -v[78:79], v[98:99], v[96:97]
	s_nop 1
	v_div_fmas_f64 v[78:79], v[78:79], v[94:95], v[98:99]
	v_div_fixup_f64 v[76:77], v[78:79], v[76:77], 1.0
	v_mul_f64 v[78:79], v[92:93], -v[76:77]
.LBB36_72:
	s_or_b64 exec, exec, s[16:17]
.LBB36_73:
	s_or_b64 exec, exec, s[0:1]
	v_cmp_ne_u32_e32 vcc, v89, v86
	s_and_saveexec_b64 s[0:1], vcc
	s_xor_b64 s[0:1], exec, s[0:1]
	s_cbranch_execz .LBB36_79
; %bb.74:
	v_cmp_eq_u32_e32 vcc, 3, v89
	s_and_saveexec_b64 s[16:17], vcc
	s_cbranch_execz .LBB36_78
; %bb.75:
	v_cmp_ne_u32_e32 vcc, 3, v86
	s_xor_b64 s[18:19], s[14:15], -1
	s_and_b64 s[22:23], s[18:19], vcc
	s_and_saveexec_b64 s[18:19], s[22:23]
	s_cbranch_execz .LBB36_77
; %bb.76:
	v_ashrrev_i32_e32 v87, 31, v86
	v_lshl_add_u64 v[92:93], v[86:87], 2, v[84:85]
	global_load_dword v87, v[92:93], off
	global_load_dword v89, v[84:85], off offset:12
	s_waitcnt vmcnt(1)
	global_store_dword v[84:85], v87, off offset:12
	s_waitcnt vmcnt(1)
	global_store_dword v[92:93], v89, off
.LBB36_77:
	s_or_b64 exec, exec, s[18:19]
	v_mov_b32_e32 v89, v86
	v_mov_b32_e32 v90, v86
.LBB36_78:
	s_or_b64 exec, exec, s[16:17]
.LBB36_79:
	s_andn2_saveexec_b64 s[0:1], s[0:1]
	s_cbranch_execz .LBB36_81
; %bb.80:
	v_mov_b32_e32 v89, 3
	s_waitcnt vmcnt(14)
	ds_write2_b64 v88, v[44:45], v[46:47] offset0:8 offset1:9
	s_waitcnt vmcnt(13)
	ds_write2_b64 v88, v[32:33], v[34:35] offset0:10 offset1:11
	;; [unrolled: 2-line block ×15, first 2 shown]
.LBB36_81:
	s_or_b64 exec, exec, s[0:1]
	v_cmp_lt_i32_e32 vcc, 3, v89
	s_waitcnt lgkmcnt(0)
	s_barrier
	s_and_saveexec_b64 s[0:1], vcc
	s_cbranch_execz .LBB36_83
; %bb.82:
	ds_read2_b64 v[92:95], v88 offset0:8 offset1:9
	v_mul_f64 v[86:87], v[76:77], v[42:43]
	v_fmac_f64_e32 v[86:87], v[78:79], v[40:41]
	v_mul_f64 v[42:43], v[78:79], v[42:43]
	v_fma_f64 v[40:41], v[76:77], v[40:41], -v[42:43]
	ds_read2_b64 v[76:79], v88 offset0:10 offset1:11
	s_waitcnt lgkmcnt(1)
	v_mul_f64 v[42:43], v[94:95], v[86:87]
	v_fma_f64 v[42:43], v[92:93], v[40:41], -v[42:43]
	v_mul_f64 v[92:93], v[92:93], v[86:87]
	v_fmac_f64_e32 v[92:93], v[94:95], v[40:41]
	s_waitcnt vmcnt(14)
	v_add_f64 v[46:47], v[46:47], -v[92:93]
	ds_read2_b64 v[92:95], v88 offset0:12 offset1:13
	v_add_f64 v[44:45], v[44:45], -v[42:43]
	s_waitcnt lgkmcnt(1)
	v_mul_f64 v[42:43], v[78:79], v[86:87]
	v_fma_f64 v[42:43], v[76:77], v[40:41], -v[42:43]
	v_mul_f64 v[76:77], v[76:77], v[86:87]
	v_fmac_f64_e32 v[76:77], v[78:79], v[40:41]
	s_waitcnt vmcnt(13)
	v_add_f64 v[32:33], v[32:33], -v[42:43]
	v_add_f64 v[34:35], v[34:35], -v[76:77]
	ds_read2_b64 v[76:79], v88 offset0:14 offset1:15
	s_waitcnt lgkmcnt(1)
	v_mul_f64 v[42:43], v[94:95], v[86:87]
	v_fma_f64 v[42:43], v[92:93], v[40:41], -v[42:43]
	v_mul_f64 v[92:93], v[92:93], v[86:87]
	v_fmac_f64_e32 v[92:93], v[94:95], v[40:41]
	s_waitcnt vmcnt(12)
	v_add_f64 v[62:63], v[62:63], -v[92:93]
	ds_read2_b64 v[92:95], v88 offset0:16 offset1:17
	v_add_f64 v[60:61], v[60:61], -v[42:43]
	s_waitcnt lgkmcnt(1)
	v_mul_f64 v[42:43], v[78:79], v[86:87]
	v_fma_f64 v[42:43], v[76:77], v[40:41], -v[42:43]
	v_mul_f64 v[76:77], v[76:77], v[86:87]
	v_fmac_f64_e32 v[76:77], v[78:79], v[40:41]
	s_waitcnt vmcnt(11)
	v_add_f64 v[56:57], v[56:57], -v[42:43]
	v_add_f64 v[58:59], v[58:59], -v[76:77]
	;; [unrolled: 18-line block ×7, first 2 shown]
	s_waitcnt lgkmcnt(0)
	v_mul_f64 v[42:43], v[94:95], v[86:87]
	v_mul_f64 v[76:77], v[92:93], v[86:87]
	v_fma_f64 v[42:43], v[92:93], v[40:41], -v[42:43]
	v_fmac_f64_e32 v[76:77], v[94:95], v[40:41]
	s_waitcnt vmcnt(0)
	v_add_f64 v[72:73], v[72:73], -v[42:43]
	v_add_f64 v[74:75], v[74:75], -v[76:77]
	v_mov_b64_e32 v[42:43], v[86:87]
.LBB36_83:
	s_or_b64 exec, exec, s[0:1]
	v_lshl_add_u32 v76, v89, 4, v88
	s_barrier
	s_waitcnt vmcnt(14)
	ds_write2_b64 v76, v[44:45], v[46:47] offset1:1
	s_waitcnt lgkmcnt(0)
	s_barrier
	ds_read2_b64 v[76:79], v88 offset0:8 offset1:9
	s_cmp_lt_i32 s20, 6
	v_mov_b32_e32 v86, 4
	s_cbranch_scc1 .LBB36_86
; %bb.84:
	v_mov_b32_e32 v86, 4
	v_add_u32_e32 v87, 0x50, v88
	s_mov_b32 s16, 5
.LBB36_85:                              ; =>This Inner Loop Header: Depth=1
	ds_read2_b64 v[92:95], v87 offset1:1
	s_waitcnt lgkmcnt(1)
	v_xor_b32_e32 v97, 0x80000000, v77
	v_xor_b32_e32 v99, 0x80000000, v79
	v_cmp_gt_f64_e32 vcc, 0, v[78:79]
	v_cmp_gt_f64_e64 s[0:1], 0, v[76:77]
	v_mov_b32_e32 v96, v76
	v_mov_b32_e32 v98, v78
	v_cndmask_b32_e64 v97, v77, v97, s[0:1]
	v_cndmask_b32_e32 v99, v79, v99, vcc
	v_add_f64 v[96:97], v[96:97], v[98:99]
	s_waitcnt lgkmcnt(0)
	v_xor_b32_e32 v99, 0x80000000, v93
	v_xor_b32_e32 v101, 0x80000000, v95
	v_cmp_gt_f64_e32 vcc, 0, v[94:95]
	v_cmp_gt_f64_e64 s[0:1], 0, v[92:93]
	v_mov_b32_e32 v98, v92
	v_mov_b32_e32 v100, v94
	v_cndmask_b32_e64 v99, v93, v99, s[0:1]
	v_cndmask_b32_e32 v101, v95, v101, vcc
	v_add_f64 v[98:99], v[98:99], v[100:101]
	v_mov_b32_e32 v102, s16
	s_add_i32 s16, s16, 1
	v_cmp_lt_f64_e32 vcc, v[96:97], v[98:99]
	v_add_u32_e32 v87, 16, v87
	s_cmp_lg_u32 s20, s16
	v_cndmask_b32_e32 v77, v77, v93, vcc
	v_cndmask_b32_e32 v76, v76, v92, vcc
	;; [unrolled: 1-line block ×5, first 2 shown]
	s_cbranch_scc1 .LBB36_85
.LBB36_86:
	s_waitcnt lgkmcnt(0)
	v_cmp_eq_f64_e32 vcc, 0, v[76:77]
	v_cmp_eq_f64_e64 s[0:1], 0, v[78:79]
	s_and_b64 s[0:1], vcc, s[0:1]
	s_and_saveexec_b64 s[16:17], s[0:1]
	s_xor_b64 s[0:1], exec, s[16:17]
; %bb.87:
	v_cmp_ne_u32_e32 vcc, 0, v91
	s_nop 1
	v_cndmask_b32_e32 v91, 5, v91, vcc
; %bb.88:
	s_andn2_saveexec_b64 s[0:1], s[0:1]
	s_cbranch_execz .LBB36_94
; %bb.89:
	v_cmp_ngt_f64_e64 s[16:17], |v[76:77]|, |v[78:79]|
	s_and_saveexec_b64 s[18:19], s[16:17]
	s_xor_b64 s[16:17], exec, s[18:19]
	s_cbranch_execz .LBB36_91
; %bb.90:
	v_div_scale_f64 v[92:93], s[18:19], v[78:79], v[78:79], v[76:77]
	v_rcp_f64_e32 v[94:95], v[92:93]
	v_div_scale_f64 v[96:97], vcc, v[76:77], v[78:79], v[76:77]
	v_fma_f64 v[98:99], -v[92:93], v[94:95], 1.0
	v_fmac_f64_e32 v[94:95], v[94:95], v[98:99]
	v_fma_f64 v[98:99], -v[92:93], v[94:95], 1.0
	v_fmac_f64_e32 v[94:95], v[94:95], v[98:99]
	v_mul_f64 v[98:99], v[96:97], v[94:95]
	v_fma_f64 v[92:93], -v[92:93], v[98:99], v[96:97]
	v_div_fmas_f64 v[92:93], v[92:93], v[94:95], v[98:99]
	v_div_fixup_f64 v[92:93], v[92:93], v[78:79], v[76:77]
	v_fmac_f64_e32 v[78:79], v[76:77], v[92:93]
	v_div_scale_f64 v[76:77], s[18:19], v[78:79], v[78:79], 1.0
	v_rcp_f64_e32 v[94:95], v[76:77]
	s_nop 0
	v_fma_f64 v[96:97], -v[76:77], v[94:95], 1.0
	v_fmac_f64_e32 v[94:95], v[94:95], v[96:97]
	v_fma_f64 v[96:97], -v[76:77], v[94:95], 1.0
	v_fmac_f64_e32 v[94:95], v[94:95], v[96:97]
	v_div_scale_f64 v[96:97], vcc, 1.0, v[78:79], 1.0
	v_mul_f64 v[98:99], v[96:97], v[94:95]
	v_fma_f64 v[76:77], -v[76:77], v[98:99], v[96:97]
	s_nop 1
	v_div_fmas_f64 v[76:77], v[76:77], v[94:95], v[98:99]
	v_div_fixup_f64 v[78:79], v[76:77], v[78:79], 1.0
	v_mul_f64 v[76:77], v[92:93], v[78:79]
	v_xor_b32_e32 v79, 0x80000000, v79
.LBB36_91:
	s_andn2_saveexec_b64 s[16:17], s[16:17]
	s_cbranch_execz .LBB36_93
; %bb.92:
	v_div_scale_f64 v[92:93], s[18:19], v[76:77], v[76:77], v[78:79]
	v_rcp_f64_e32 v[94:95], v[92:93]
	v_div_scale_f64 v[96:97], vcc, v[78:79], v[76:77], v[78:79]
	v_fma_f64 v[98:99], -v[92:93], v[94:95], 1.0
	v_fmac_f64_e32 v[94:95], v[94:95], v[98:99]
	v_fma_f64 v[98:99], -v[92:93], v[94:95], 1.0
	v_fmac_f64_e32 v[94:95], v[94:95], v[98:99]
	v_mul_f64 v[98:99], v[96:97], v[94:95]
	v_fma_f64 v[92:93], -v[92:93], v[98:99], v[96:97]
	v_div_fmas_f64 v[92:93], v[92:93], v[94:95], v[98:99]
	v_div_fixup_f64 v[92:93], v[92:93], v[76:77], v[78:79]
	v_fmac_f64_e32 v[76:77], v[78:79], v[92:93]
	v_div_scale_f64 v[78:79], s[18:19], v[76:77], v[76:77], 1.0
	v_rcp_f64_e32 v[94:95], v[78:79]
	s_nop 0
	v_fma_f64 v[96:97], -v[78:79], v[94:95], 1.0
	v_fmac_f64_e32 v[94:95], v[94:95], v[96:97]
	v_fma_f64 v[96:97], -v[78:79], v[94:95], 1.0
	v_fmac_f64_e32 v[94:95], v[94:95], v[96:97]
	v_div_scale_f64 v[96:97], vcc, 1.0, v[76:77], 1.0
	v_mul_f64 v[98:99], v[96:97], v[94:95]
	v_fma_f64 v[78:79], -v[78:79], v[98:99], v[96:97]
	s_nop 1
	v_div_fmas_f64 v[78:79], v[78:79], v[94:95], v[98:99]
	v_div_fixup_f64 v[76:77], v[78:79], v[76:77], 1.0
	v_mul_f64 v[78:79], v[92:93], -v[76:77]
.LBB36_93:
	s_or_b64 exec, exec, s[16:17]
.LBB36_94:
	s_or_b64 exec, exec, s[0:1]
	v_cmp_ne_u32_e32 vcc, v89, v86
	s_and_saveexec_b64 s[0:1], vcc
	s_xor_b64 s[0:1], exec, s[0:1]
	s_cbranch_execz .LBB36_100
; %bb.95:
	v_cmp_eq_u32_e32 vcc, 4, v89
	s_and_saveexec_b64 s[16:17], vcc
	s_cbranch_execz .LBB36_99
; %bb.96:
	v_cmp_ne_u32_e32 vcc, 4, v86
	s_xor_b64 s[18:19], s[14:15], -1
	s_and_b64 s[22:23], s[18:19], vcc
	s_and_saveexec_b64 s[18:19], s[22:23]
	s_cbranch_execz .LBB36_98
; %bb.97:
	v_ashrrev_i32_e32 v87, 31, v86
	v_lshl_add_u64 v[92:93], v[86:87], 2, v[84:85]
	global_load_dword v87, v[92:93], off
	global_load_dword v89, v[84:85], off offset:16
	s_waitcnt vmcnt(1)
	global_store_dword v[84:85], v87, off offset:16
	s_waitcnt vmcnt(1)
	global_store_dword v[92:93], v89, off
.LBB36_98:
	s_or_b64 exec, exec, s[18:19]
	v_mov_b32_e32 v89, v86
	v_mov_b32_e32 v90, v86
.LBB36_99:
	s_or_b64 exec, exec, s[16:17]
.LBB36_100:
	s_andn2_saveexec_b64 s[0:1], s[0:1]
	s_cbranch_execz .LBB36_102
; %bb.101:
	v_mov_b32_e32 v89, 4
	s_waitcnt vmcnt(13)
	ds_write2_b64 v88, v[32:33], v[34:35] offset0:10 offset1:11
	s_waitcnt vmcnt(12)
	ds_write2_b64 v88, v[60:61], v[62:63] offset0:12 offset1:13
	;; [unrolled: 2-line block ×14, first 2 shown]
.LBB36_102:
	s_or_b64 exec, exec, s[0:1]
	v_cmp_lt_i32_e32 vcc, 4, v89
	s_waitcnt lgkmcnt(0)
	s_barrier
	s_and_saveexec_b64 s[0:1], vcc
	s_cbranch_execz .LBB36_104
; %bb.103:
	ds_read2_b64 v[92:95], v88 offset0:10 offset1:11
	v_mul_f64 v[86:87], v[76:77], v[46:47]
	v_mul_f64 v[46:47], v[78:79], v[46:47]
	v_fmac_f64_e32 v[86:87], v[78:79], v[44:45]
	v_fma_f64 v[44:45], v[76:77], v[44:45], -v[46:47]
	ds_read2_b64 v[76:79], v88 offset0:12 offset1:13
	s_waitcnt lgkmcnt(1)
	v_mul_f64 v[46:47], v[94:95], v[86:87]
	v_fma_f64 v[46:47], v[92:93], v[44:45], -v[46:47]
	v_mul_f64 v[92:93], v[92:93], v[86:87]
	v_fmac_f64_e32 v[92:93], v[94:95], v[44:45]
	s_waitcnt vmcnt(13)
	v_add_f64 v[32:33], v[32:33], -v[46:47]
	s_waitcnt lgkmcnt(0)
	v_mul_f64 v[46:47], v[78:79], v[86:87]
	v_add_f64 v[34:35], v[34:35], -v[92:93]
	v_fma_f64 v[46:47], v[76:77], v[44:45], -v[46:47]
	v_mul_f64 v[76:77], v[76:77], v[86:87]
	ds_read2_b64 v[92:95], v88 offset0:14 offset1:15
	v_fmac_f64_e32 v[76:77], v[78:79], v[44:45]
	s_waitcnt vmcnt(12)
	v_add_f64 v[62:63], v[62:63], -v[76:77]
	ds_read2_b64 v[76:79], v88 offset0:16 offset1:17
	v_add_f64 v[60:61], v[60:61], -v[46:47]
	s_waitcnt lgkmcnt(1)
	v_mul_f64 v[46:47], v[94:95], v[86:87]
	v_fma_f64 v[46:47], v[92:93], v[44:45], -v[46:47]
	v_mul_f64 v[92:93], v[92:93], v[86:87]
	v_fmac_f64_e32 v[92:93], v[94:95], v[44:45]
	s_waitcnt vmcnt(11)
	v_add_f64 v[56:57], v[56:57], -v[46:47]
	s_waitcnt lgkmcnt(0)
	v_mul_f64 v[46:47], v[78:79], v[86:87]
	v_add_f64 v[58:59], v[58:59], -v[92:93]
	v_fma_f64 v[46:47], v[76:77], v[44:45], -v[46:47]
	v_mul_f64 v[76:77], v[76:77], v[86:87]
	ds_read2_b64 v[92:95], v88 offset0:18 offset1:19
	v_fmac_f64_e32 v[76:77], v[78:79], v[44:45]
	s_waitcnt vmcnt(10)
	v_add_f64 v[50:51], v[50:51], -v[76:77]
	ds_read2_b64 v[76:79], v88 offset0:20 offset1:21
	v_add_f64 v[48:49], v[48:49], -v[46:47]
	;; [unrolled: 18-line block ×6, first 2 shown]
	s_waitcnt lgkmcnt(1)
	v_mul_f64 v[46:47], v[94:95], v[86:87]
	v_fma_f64 v[46:47], v[92:93], v[44:45], -v[46:47]
	s_waitcnt vmcnt(1)
	v_add_f64 v[0:1], v[0:1], -v[46:47]
	s_waitcnt lgkmcnt(0)
	v_mul_f64 v[46:47], v[78:79], v[86:87]
	v_mul_f64 v[92:93], v[92:93], v[86:87]
	v_fma_f64 v[46:47], v[76:77], v[44:45], -v[46:47]
	v_mul_f64 v[76:77], v[76:77], v[86:87]
	v_fmac_f64_e32 v[92:93], v[94:95], v[44:45]
	v_fmac_f64_e32 v[76:77], v[78:79], v[44:45]
	v_add_f64 v[2:3], v[2:3], -v[92:93]
	s_waitcnt vmcnt(0)
	v_add_f64 v[72:73], v[72:73], -v[46:47]
	v_add_f64 v[74:75], v[74:75], -v[76:77]
	v_mov_b64_e32 v[46:47], v[86:87]
.LBB36_104:
	s_or_b64 exec, exec, s[0:1]
	v_lshl_add_u32 v76, v89, 4, v88
	s_barrier
	s_waitcnt vmcnt(13)
	ds_write2_b64 v76, v[32:33], v[34:35] offset1:1
	s_waitcnt lgkmcnt(0)
	s_barrier
	ds_read2_b64 v[76:79], v88 offset0:10 offset1:11
	s_cmp_lt_i32 s20, 7
	v_mov_b32_e32 v86, 5
	s_cbranch_scc1 .LBB36_107
; %bb.105:
	v_add_u32_e32 v87, 0x60, v88
	s_mov_b32 s16, 6
	v_mov_b32_e32 v86, 5
.LBB36_106:                             ; =>This Inner Loop Header: Depth=1
	ds_read2_b64 v[92:95], v87 offset1:1
	s_waitcnt lgkmcnt(1)
	v_xor_b32_e32 v97, 0x80000000, v77
	v_xor_b32_e32 v99, 0x80000000, v79
	v_cmp_gt_f64_e32 vcc, 0, v[78:79]
	v_cmp_gt_f64_e64 s[0:1], 0, v[76:77]
	v_mov_b32_e32 v96, v76
	v_mov_b32_e32 v98, v78
	v_cndmask_b32_e64 v97, v77, v97, s[0:1]
	v_cndmask_b32_e32 v99, v79, v99, vcc
	v_add_f64 v[96:97], v[96:97], v[98:99]
	s_waitcnt lgkmcnt(0)
	v_xor_b32_e32 v99, 0x80000000, v93
	v_xor_b32_e32 v101, 0x80000000, v95
	v_cmp_gt_f64_e32 vcc, 0, v[94:95]
	v_cmp_gt_f64_e64 s[0:1], 0, v[92:93]
	v_mov_b32_e32 v98, v92
	v_mov_b32_e32 v100, v94
	v_cndmask_b32_e64 v99, v93, v99, s[0:1]
	v_cndmask_b32_e32 v101, v95, v101, vcc
	v_add_f64 v[98:99], v[98:99], v[100:101]
	v_mov_b32_e32 v102, s16
	s_add_i32 s16, s16, 1
	v_cmp_lt_f64_e32 vcc, v[96:97], v[98:99]
	v_add_u32_e32 v87, 16, v87
	s_cmp_lg_u32 s20, s16
	v_cndmask_b32_e32 v77, v77, v93, vcc
	v_cndmask_b32_e32 v76, v76, v92, vcc
	;; [unrolled: 1-line block ×5, first 2 shown]
	s_cbranch_scc1 .LBB36_106
.LBB36_107:
	s_waitcnt lgkmcnt(0)
	v_cmp_eq_f64_e32 vcc, 0, v[76:77]
	v_cmp_eq_f64_e64 s[0:1], 0, v[78:79]
	s_and_b64 s[0:1], vcc, s[0:1]
	s_and_saveexec_b64 s[16:17], s[0:1]
	s_xor_b64 s[0:1], exec, s[16:17]
; %bb.108:
	v_cmp_ne_u32_e32 vcc, 0, v91
	s_nop 1
	v_cndmask_b32_e32 v91, 6, v91, vcc
; %bb.109:
	s_andn2_saveexec_b64 s[0:1], s[0:1]
	s_cbranch_execz .LBB36_115
; %bb.110:
	v_cmp_ngt_f64_e64 s[16:17], |v[76:77]|, |v[78:79]|
	s_and_saveexec_b64 s[18:19], s[16:17]
	s_xor_b64 s[16:17], exec, s[18:19]
	s_cbranch_execz .LBB36_112
; %bb.111:
	v_div_scale_f64 v[92:93], s[18:19], v[78:79], v[78:79], v[76:77]
	v_rcp_f64_e32 v[94:95], v[92:93]
	v_div_scale_f64 v[96:97], vcc, v[76:77], v[78:79], v[76:77]
	v_fma_f64 v[98:99], -v[92:93], v[94:95], 1.0
	v_fmac_f64_e32 v[94:95], v[94:95], v[98:99]
	v_fma_f64 v[98:99], -v[92:93], v[94:95], 1.0
	v_fmac_f64_e32 v[94:95], v[94:95], v[98:99]
	v_mul_f64 v[98:99], v[96:97], v[94:95]
	v_fma_f64 v[92:93], -v[92:93], v[98:99], v[96:97]
	v_div_fmas_f64 v[92:93], v[92:93], v[94:95], v[98:99]
	v_div_fixup_f64 v[92:93], v[92:93], v[78:79], v[76:77]
	v_fmac_f64_e32 v[78:79], v[76:77], v[92:93]
	v_div_scale_f64 v[76:77], s[18:19], v[78:79], v[78:79], 1.0
	v_rcp_f64_e32 v[94:95], v[76:77]
	s_nop 0
	v_fma_f64 v[96:97], -v[76:77], v[94:95], 1.0
	v_fmac_f64_e32 v[94:95], v[94:95], v[96:97]
	v_fma_f64 v[96:97], -v[76:77], v[94:95], 1.0
	v_fmac_f64_e32 v[94:95], v[94:95], v[96:97]
	v_div_scale_f64 v[96:97], vcc, 1.0, v[78:79], 1.0
	v_mul_f64 v[98:99], v[96:97], v[94:95]
	v_fma_f64 v[76:77], -v[76:77], v[98:99], v[96:97]
	s_nop 1
	v_div_fmas_f64 v[76:77], v[76:77], v[94:95], v[98:99]
	v_div_fixup_f64 v[78:79], v[76:77], v[78:79], 1.0
	v_mul_f64 v[76:77], v[92:93], v[78:79]
	v_xor_b32_e32 v79, 0x80000000, v79
.LBB36_112:
	s_andn2_saveexec_b64 s[16:17], s[16:17]
	s_cbranch_execz .LBB36_114
; %bb.113:
	v_div_scale_f64 v[92:93], s[18:19], v[76:77], v[76:77], v[78:79]
	v_rcp_f64_e32 v[94:95], v[92:93]
	v_div_scale_f64 v[96:97], vcc, v[78:79], v[76:77], v[78:79]
	v_fma_f64 v[98:99], -v[92:93], v[94:95], 1.0
	v_fmac_f64_e32 v[94:95], v[94:95], v[98:99]
	v_fma_f64 v[98:99], -v[92:93], v[94:95], 1.0
	v_fmac_f64_e32 v[94:95], v[94:95], v[98:99]
	v_mul_f64 v[98:99], v[96:97], v[94:95]
	v_fma_f64 v[92:93], -v[92:93], v[98:99], v[96:97]
	v_div_fmas_f64 v[92:93], v[92:93], v[94:95], v[98:99]
	v_div_fixup_f64 v[92:93], v[92:93], v[76:77], v[78:79]
	v_fmac_f64_e32 v[76:77], v[78:79], v[92:93]
	v_div_scale_f64 v[78:79], s[18:19], v[76:77], v[76:77], 1.0
	v_rcp_f64_e32 v[94:95], v[78:79]
	s_nop 0
	v_fma_f64 v[96:97], -v[78:79], v[94:95], 1.0
	v_fmac_f64_e32 v[94:95], v[94:95], v[96:97]
	v_fma_f64 v[96:97], -v[78:79], v[94:95], 1.0
	v_fmac_f64_e32 v[94:95], v[94:95], v[96:97]
	v_div_scale_f64 v[96:97], vcc, 1.0, v[76:77], 1.0
	v_mul_f64 v[98:99], v[96:97], v[94:95]
	v_fma_f64 v[78:79], -v[78:79], v[98:99], v[96:97]
	s_nop 1
	v_div_fmas_f64 v[78:79], v[78:79], v[94:95], v[98:99]
	v_div_fixup_f64 v[76:77], v[78:79], v[76:77], 1.0
	v_mul_f64 v[78:79], v[92:93], -v[76:77]
.LBB36_114:
	s_or_b64 exec, exec, s[16:17]
.LBB36_115:
	s_or_b64 exec, exec, s[0:1]
	v_cmp_ne_u32_e32 vcc, v89, v86
	s_and_saveexec_b64 s[0:1], vcc
	s_xor_b64 s[0:1], exec, s[0:1]
	s_cbranch_execz .LBB36_121
; %bb.116:
	v_cmp_eq_u32_e32 vcc, 5, v89
	s_and_saveexec_b64 s[16:17], vcc
	s_cbranch_execz .LBB36_120
; %bb.117:
	v_cmp_ne_u32_e32 vcc, 5, v86
	s_xor_b64 s[18:19], s[14:15], -1
	s_and_b64 s[22:23], s[18:19], vcc
	s_and_saveexec_b64 s[18:19], s[22:23]
	s_cbranch_execz .LBB36_119
; %bb.118:
	v_ashrrev_i32_e32 v87, 31, v86
	v_lshl_add_u64 v[92:93], v[86:87], 2, v[84:85]
	global_load_dword v87, v[92:93], off
	global_load_dword v89, v[84:85], off offset:20
	s_waitcnt vmcnt(1)
	global_store_dword v[84:85], v87, off offset:20
	s_waitcnt vmcnt(1)
	global_store_dword v[92:93], v89, off
.LBB36_119:
	s_or_b64 exec, exec, s[18:19]
	v_mov_b32_e32 v89, v86
	v_mov_b32_e32 v90, v86
.LBB36_120:
	s_or_b64 exec, exec, s[16:17]
.LBB36_121:
	s_andn2_saveexec_b64 s[0:1], s[0:1]
	s_cbranch_execz .LBB36_123
; %bb.122:
	v_mov_b32_e32 v89, 5
	s_waitcnt vmcnt(12)
	ds_write2_b64 v88, v[60:61], v[62:63] offset0:12 offset1:13
	s_waitcnt vmcnt(11)
	ds_write2_b64 v88, v[56:57], v[58:59] offset0:14 offset1:15
	;; [unrolled: 2-line block ×13, first 2 shown]
.LBB36_123:
	s_or_b64 exec, exec, s[0:1]
	v_cmp_lt_i32_e32 vcc, 5, v89
	s_waitcnt lgkmcnt(0)
	s_barrier
	s_and_saveexec_b64 s[0:1], vcc
	s_cbranch_execz .LBB36_125
; %bb.124:
	ds_read2_b64 v[92:95], v88 offset0:12 offset1:13
	v_mul_f64 v[86:87], v[76:77], v[34:35]
	v_fmac_f64_e32 v[86:87], v[78:79], v[32:33]
	v_mul_f64 v[34:35], v[78:79], v[34:35]
	v_fma_f64 v[32:33], v[76:77], v[32:33], -v[34:35]
	ds_read2_b64 v[76:79], v88 offset0:14 offset1:15
	s_waitcnt lgkmcnt(1)
	v_mul_f64 v[34:35], v[94:95], v[86:87]
	v_fma_f64 v[34:35], v[92:93], v[32:33], -v[34:35]
	v_mul_f64 v[92:93], v[92:93], v[86:87]
	v_fmac_f64_e32 v[92:93], v[94:95], v[32:33]
	s_waitcnt vmcnt(12)
	v_add_f64 v[62:63], v[62:63], -v[92:93]
	ds_read2_b64 v[92:95], v88 offset0:16 offset1:17
	v_add_f64 v[60:61], v[60:61], -v[34:35]
	s_waitcnt lgkmcnt(1)
	v_mul_f64 v[34:35], v[78:79], v[86:87]
	v_fma_f64 v[34:35], v[76:77], v[32:33], -v[34:35]
	v_mul_f64 v[76:77], v[76:77], v[86:87]
	v_fmac_f64_e32 v[76:77], v[78:79], v[32:33]
	s_waitcnt vmcnt(11)
	v_add_f64 v[56:57], v[56:57], -v[34:35]
	v_add_f64 v[58:59], v[58:59], -v[76:77]
	ds_read2_b64 v[76:79], v88 offset0:18 offset1:19
	s_waitcnt lgkmcnt(1)
	v_mul_f64 v[34:35], v[94:95], v[86:87]
	v_fma_f64 v[34:35], v[92:93], v[32:33], -v[34:35]
	v_mul_f64 v[92:93], v[92:93], v[86:87]
	v_fmac_f64_e32 v[92:93], v[94:95], v[32:33]
	s_waitcnt vmcnt(10)
	v_add_f64 v[50:51], v[50:51], -v[92:93]
	ds_read2_b64 v[92:95], v88 offset0:20 offset1:21
	v_add_f64 v[48:49], v[48:49], -v[34:35]
	s_waitcnt lgkmcnt(1)
	v_mul_f64 v[34:35], v[78:79], v[86:87]
	v_fma_f64 v[34:35], v[76:77], v[32:33], -v[34:35]
	v_mul_f64 v[76:77], v[76:77], v[86:87]
	v_fmac_f64_e32 v[76:77], v[78:79], v[32:33]
	s_waitcnt vmcnt(9)
	v_add_f64 v[36:37], v[36:37], -v[34:35]
	v_add_f64 v[38:39], v[38:39], -v[76:77]
	;; [unrolled: 18-line block ×6, first 2 shown]
	s_waitcnt lgkmcnt(0)
	v_mul_f64 v[34:35], v[94:95], v[86:87]
	v_mul_f64 v[76:77], v[92:93], v[86:87]
	v_fma_f64 v[34:35], v[92:93], v[32:33], -v[34:35]
	v_fmac_f64_e32 v[76:77], v[94:95], v[32:33]
	s_waitcnt vmcnt(0)
	v_add_f64 v[72:73], v[72:73], -v[34:35]
	v_add_f64 v[74:75], v[74:75], -v[76:77]
	v_mov_b64_e32 v[34:35], v[86:87]
.LBB36_125:
	s_or_b64 exec, exec, s[0:1]
	v_lshl_add_u32 v76, v89, 4, v88
	s_barrier
	s_waitcnt vmcnt(12)
	ds_write2_b64 v76, v[60:61], v[62:63] offset1:1
	s_waitcnt lgkmcnt(0)
	s_barrier
	ds_read2_b64 v[76:79], v88 offset0:12 offset1:13
	s_cmp_lt_i32 s20, 8
	v_mov_b32_e32 v86, 6
	s_cbranch_scc1 .LBB36_128
; %bb.126:
	v_add_u32_e32 v87, 0x70, v88
	s_mov_b32 s16, 7
	v_mov_b32_e32 v86, 6
.LBB36_127:                             ; =>This Inner Loop Header: Depth=1
	ds_read2_b64 v[92:95], v87 offset1:1
	s_waitcnt lgkmcnt(1)
	v_xor_b32_e32 v97, 0x80000000, v77
	v_xor_b32_e32 v99, 0x80000000, v79
	v_cmp_gt_f64_e32 vcc, 0, v[78:79]
	v_cmp_gt_f64_e64 s[0:1], 0, v[76:77]
	v_mov_b32_e32 v96, v76
	v_mov_b32_e32 v98, v78
	v_cndmask_b32_e64 v97, v77, v97, s[0:1]
	v_cndmask_b32_e32 v99, v79, v99, vcc
	v_add_f64 v[96:97], v[96:97], v[98:99]
	s_waitcnt lgkmcnt(0)
	v_xor_b32_e32 v99, 0x80000000, v93
	v_xor_b32_e32 v101, 0x80000000, v95
	v_cmp_gt_f64_e32 vcc, 0, v[94:95]
	v_cmp_gt_f64_e64 s[0:1], 0, v[92:93]
	v_mov_b32_e32 v98, v92
	v_mov_b32_e32 v100, v94
	v_cndmask_b32_e64 v99, v93, v99, s[0:1]
	v_cndmask_b32_e32 v101, v95, v101, vcc
	v_add_f64 v[98:99], v[98:99], v[100:101]
	v_mov_b32_e32 v102, s16
	s_add_i32 s16, s16, 1
	v_cmp_lt_f64_e32 vcc, v[96:97], v[98:99]
	v_add_u32_e32 v87, 16, v87
	s_cmp_lg_u32 s20, s16
	v_cndmask_b32_e32 v77, v77, v93, vcc
	v_cndmask_b32_e32 v76, v76, v92, vcc
	v_cndmask_b32_e32 v79, v79, v95, vcc
	v_cndmask_b32_e32 v78, v78, v94, vcc
	v_cndmask_b32_e32 v86, v86, v102, vcc
	s_cbranch_scc1 .LBB36_127
.LBB36_128:
	s_waitcnt lgkmcnt(0)
	v_cmp_eq_f64_e32 vcc, 0, v[76:77]
	v_cmp_eq_f64_e64 s[0:1], 0, v[78:79]
	s_and_b64 s[0:1], vcc, s[0:1]
	s_and_saveexec_b64 s[16:17], s[0:1]
	s_xor_b64 s[0:1], exec, s[16:17]
; %bb.129:
	v_cmp_ne_u32_e32 vcc, 0, v91
	s_nop 1
	v_cndmask_b32_e32 v91, 7, v91, vcc
; %bb.130:
	s_andn2_saveexec_b64 s[0:1], s[0:1]
	s_cbranch_execz .LBB36_136
; %bb.131:
	v_cmp_ngt_f64_e64 s[16:17], |v[76:77]|, |v[78:79]|
	s_and_saveexec_b64 s[18:19], s[16:17]
	s_xor_b64 s[16:17], exec, s[18:19]
	s_cbranch_execz .LBB36_133
; %bb.132:
	v_div_scale_f64 v[92:93], s[18:19], v[78:79], v[78:79], v[76:77]
	v_rcp_f64_e32 v[94:95], v[92:93]
	v_div_scale_f64 v[96:97], vcc, v[76:77], v[78:79], v[76:77]
	v_fma_f64 v[98:99], -v[92:93], v[94:95], 1.0
	v_fmac_f64_e32 v[94:95], v[94:95], v[98:99]
	v_fma_f64 v[98:99], -v[92:93], v[94:95], 1.0
	v_fmac_f64_e32 v[94:95], v[94:95], v[98:99]
	v_mul_f64 v[98:99], v[96:97], v[94:95]
	v_fma_f64 v[92:93], -v[92:93], v[98:99], v[96:97]
	v_div_fmas_f64 v[92:93], v[92:93], v[94:95], v[98:99]
	v_div_fixup_f64 v[92:93], v[92:93], v[78:79], v[76:77]
	v_fmac_f64_e32 v[78:79], v[76:77], v[92:93]
	v_div_scale_f64 v[76:77], s[18:19], v[78:79], v[78:79], 1.0
	v_rcp_f64_e32 v[94:95], v[76:77]
	s_nop 0
	v_fma_f64 v[96:97], -v[76:77], v[94:95], 1.0
	v_fmac_f64_e32 v[94:95], v[94:95], v[96:97]
	v_fma_f64 v[96:97], -v[76:77], v[94:95], 1.0
	v_fmac_f64_e32 v[94:95], v[94:95], v[96:97]
	v_div_scale_f64 v[96:97], vcc, 1.0, v[78:79], 1.0
	v_mul_f64 v[98:99], v[96:97], v[94:95]
	v_fma_f64 v[76:77], -v[76:77], v[98:99], v[96:97]
	s_nop 1
	v_div_fmas_f64 v[76:77], v[76:77], v[94:95], v[98:99]
	v_div_fixup_f64 v[78:79], v[76:77], v[78:79], 1.0
	v_mul_f64 v[76:77], v[92:93], v[78:79]
	v_xor_b32_e32 v79, 0x80000000, v79
.LBB36_133:
	s_andn2_saveexec_b64 s[16:17], s[16:17]
	s_cbranch_execz .LBB36_135
; %bb.134:
	v_div_scale_f64 v[92:93], s[18:19], v[76:77], v[76:77], v[78:79]
	v_rcp_f64_e32 v[94:95], v[92:93]
	v_div_scale_f64 v[96:97], vcc, v[78:79], v[76:77], v[78:79]
	v_fma_f64 v[98:99], -v[92:93], v[94:95], 1.0
	v_fmac_f64_e32 v[94:95], v[94:95], v[98:99]
	v_fma_f64 v[98:99], -v[92:93], v[94:95], 1.0
	v_fmac_f64_e32 v[94:95], v[94:95], v[98:99]
	v_mul_f64 v[98:99], v[96:97], v[94:95]
	v_fma_f64 v[92:93], -v[92:93], v[98:99], v[96:97]
	v_div_fmas_f64 v[92:93], v[92:93], v[94:95], v[98:99]
	v_div_fixup_f64 v[92:93], v[92:93], v[76:77], v[78:79]
	v_fmac_f64_e32 v[76:77], v[78:79], v[92:93]
	v_div_scale_f64 v[78:79], s[18:19], v[76:77], v[76:77], 1.0
	v_rcp_f64_e32 v[94:95], v[78:79]
	s_nop 0
	v_fma_f64 v[96:97], -v[78:79], v[94:95], 1.0
	v_fmac_f64_e32 v[94:95], v[94:95], v[96:97]
	v_fma_f64 v[96:97], -v[78:79], v[94:95], 1.0
	v_fmac_f64_e32 v[94:95], v[94:95], v[96:97]
	v_div_scale_f64 v[96:97], vcc, 1.0, v[76:77], 1.0
	v_mul_f64 v[98:99], v[96:97], v[94:95]
	v_fma_f64 v[78:79], -v[78:79], v[98:99], v[96:97]
	s_nop 1
	v_div_fmas_f64 v[78:79], v[78:79], v[94:95], v[98:99]
	v_div_fixup_f64 v[76:77], v[78:79], v[76:77], 1.0
	v_mul_f64 v[78:79], v[92:93], -v[76:77]
.LBB36_135:
	s_or_b64 exec, exec, s[16:17]
.LBB36_136:
	s_or_b64 exec, exec, s[0:1]
	v_cmp_ne_u32_e32 vcc, v89, v86
	s_and_saveexec_b64 s[0:1], vcc
	s_xor_b64 s[0:1], exec, s[0:1]
	s_cbranch_execz .LBB36_142
; %bb.137:
	v_cmp_eq_u32_e32 vcc, 6, v89
	s_and_saveexec_b64 s[16:17], vcc
	s_cbranch_execz .LBB36_141
; %bb.138:
	v_cmp_ne_u32_e32 vcc, 6, v86
	s_xor_b64 s[18:19], s[14:15], -1
	s_and_b64 s[22:23], s[18:19], vcc
	s_and_saveexec_b64 s[18:19], s[22:23]
	s_cbranch_execz .LBB36_140
; %bb.139:
	v_ashrrev_i32_e32 v87, 31, v86
	v_lshl_add_u64 v[92:93], v[86:87], 2, v[84:85]
	global_load_dword v87, v[92:93], off
	global_load_dword v89, v[84:85], off offset:24
	s_waitcnt vmcnt(1)
	global_store_dword v[84:85], v87, off offset:24
	s_waitcnt vmcnt(1)
	global_store_dword v[92:93], v89, off
.LBB36_140:
	s_or_b64 exec, exec, s[18:19]
	v_mov_b32_e32 v89, v86
	v_mov_b32_e32 v90, v86
.LBB36_141:
	s_or_b64 exec, exec, s[16:17]
.LBB36_142:
	s_andn2_saveexec_b64 s[0:1], s[0:1]
	s_cbranch_execz .LBB36_144
; %bb.143:
	v_mov_b32_e32 v89, 6
	s_waitcnt vmcnt(11)
	ds_write2_b64 v88, v[56:57], v[58:59] offset0:14 offset1:15
	s_waitcnt vmcnt(10)
	ds_write2_b64 v88, v[48:49], v[50:51] offset0:16 offset1:17
	;; [unrolled: 2-line block ×12, first 2 shown]
.LBB36_144:
	s_or_b64 exec, exec, s[0:1]
	v_cmp_lt_i32_e32 vcc, 6, v89
	s_waitcnt lgkmcnt(0)
	s_barrier
	s_and_saveexec_b64 s[0:1], vcc
	s_cbranch_execz .LBB36_146
; %bb.145:
	ds_read2_b64 v[92:95], v88 offset0:14 offset1:15
	v_mul_f64 v[86:87], v[76:77], v[62:63]
	v_mul_f64 v[62:63], v[78:79], v[62:63]
	v_fmac_f64_e32 v[86:87], v[78:79], v[60:61]
	v_fma_f64 v[60:61], v[76:77], v[60:61], -v[62:63]
	ds_read2_b64 v[76:79], v88 offset0:16 offset1:17
	s_waitcnt lgkmcnt(1)
	v_mul_f64 v[62:63], v[94:95], v[86:87]
	v_fma_f64 v[62:63], v[92:93], v[60:61], -v[62:63]
	v_mul_f64 v[92:93], v[92:93], v[86:87]
	v_fmac_f64_e32 v[92:93], v[94:95], v[60:61]
	s_waitcnt vmcnt(11)
	v_add_f64 v[56:57], v[56:57], -v[62:63]
	s_waitcnt lgkmcnt(0)
	v_mul_f64 v[62:63], v[78:79], v[86:87]
	v_add_f64 v[58:59], v[58:59], -v[92:93]
	v_fma_f64 v[62:63], v[76:77], v[60:61], -v[62:63]
	v_mul_f64 v[76:77], v[76:77], v[86:87]
	ds_read2_b64 v[92:95], v88 offset0:18 offset1:19
	v_fmac_f64_e32 v[76:77], v[78:79], v[60:61]
	s_waitcnt vmcnt(10)
	v_add_f64 v[50:51], v[50:51], -v[76:77]
	ds_read2_b64 v[76:79], v88 offset0:20 offset1:21
	v_add_f64 v[48:49], v[48:49], -v[62:63]
	s_waitcnt lgkmcnt(1)
	v_mul_f64 v[62:63], v[94:95], v[86:87]
	v_fma_f64 v[62:63], v[92:93], v[60:61], -v[62:63]
	v_mul_f64 v[92:93], v[92:93], v[86:87]
	v_fmac_f64_e32 v[92:93], v[94:95], v[60:61]
	s_waitcnt vmcnt(9)
	v_add_f64 v[36:37], v[36:37], -v[62:63]
	s_waitcnt lgkmcnt(0)
	v_mul_f64 v[62:63], v[78:79], v[86:87]
	v_add_f64 v[38:39], v[38:39], -v[92:93]
	v_fma_f64 v[62:63], v[76:77], v[60:61], -v[62:63]
	v_mul_f64 v[76:77], v[76:77], v[86:87]
	ds_read2_b64 v[92:95], v88 offset0:22 offset1:23
	v_fmac_f64_e32 v[76:77], v[78:79], v[60:61]
	s_waitcnt vmcnt(8)
	v_add_f64 v[30:31], v[30:31], -v[76:77]
	ds_read2_b64 v[76:79], v88 offset0:24 offset1:25
	v_add_f64 v[28:29], v[28:29], -v[62:63]
	;; [unrolled: 18-line block ×5, first 2 shown]
	s_waitcnt lgkmcnt(1)
	v_mul_f64 v[62:63], v[94:95], v[86:87]
	v_fma_f64 v[62:63], v[92:93], v[60:61], -v[62:63]
	s_waitcnt vmcnt(1)
	v_add_f64 v[0:1], v[0:1], -v[62:63]
	s_waitcnt lgkmcnt(0)
	v_mul_f64 v[62:63], v[78:79], v[86:87]
	v_mul_f64 v[92:93], v[92:93], v[86:87]
	v_fma_f64 v[62:63], v[76:77], v[60:61], -v[62:63]
	v_mul_f64 v[76:77], v[76:77], v[86:87]
	v_fmac_f64_e32 v[92:93], v[94:95], v[60:61]
	v_fmac_f64_e32 v[76:77], v[78:79], v[60:61]
	v_add_f64 v[2:3], v[2:3], -v[92:93]
	s_waitcnt vmcnt(0)
	v_add_f64 v[72:73], v[72:73], -v[62:63]
	v_add_f64 v[74:75], v[74:75], -v[76:77]
	v_mov_b64_e32 v[62:63], v[86:87]
.LBB36_146:
	s_or_b64 exec, exec, s[0:1]
	v_lshl_add_u32 v76, v89, 4, v88
	s_barrier
	s_waitcnt vmcnt(11)
	ds_write2_b64 v76, v[56:57], v[58:59] offset1:1
	s_waitcnt lgkmcnt(0)
	s_barrier
	ds_read2_b64 v[76:79], v88 offset0:14 offset1:15
	s_cmp_lt_i32 s20, 9
	v_mov_b32_e32 v86, 7
	s_cbranch_scc1 .LBB36_149
; %bb.147:
	v_add_u32_e32 v87, 0x80, v88
	s_mov_b32 s16, 8
	v_mov_b32_e32 v86, 7
.LBB36_148:                             ; =>This Inner Loop Header: Depth=1
	ds_read2_b64 v[92:95], v87 offset1:1
	s_waitcnt lgkmcnt(1)
	v_xor_b32_e32 v97, 0x80000000, v77
	v_xor_b32_e32 v99, 0x80000000, v79
	v_cmp_gt_f64_e32 vcc, 0, v[78:79]
	v_cmp_gt_f64_e64 s[0:1], 0, v[76:77]
	v_mov_b32_e32 v96, v76
	v_mov_b32_e32 v98, v78
	v_cndmask_b32_e64 v97, v77, v97, s[0:1]
	v_cndmask_b32_e32 v99, v79, v99, vcc
	v_add_f64 v[96:97], v[96:97], v[98:99]
	s_waitcnt lgkmcnt(0)
	v_xor_b32_e32 v99, 0x80000000, v93
	v_xor_b32_e32 v101, 0x80000000, v95
	v_cmp_gt_f64_e32 vcc, 0, v[94:95]
	v_cmp_gt_f64_e64 s[0:1], 0, v[92:93]
	v_mov_b32_e32 v98, v92
	v_mov_b32_e32 v100, v94
	v_cndmask_b32_e64 v99, v93, v99, s[0:1]
	v_cndmask_b32_e32 v101, v95, v101, vcc
	v_add_f64 v[98:99], v[98:99], v[100:101]
	v_mov_b32_e32 v102, s16
	s_add_i32 s16, s16, 1
	v_cmp_lt_f64_e32 vcc, v[96:97], v[98:99]
	v_add_u32_e32 v87, 16, v87
	s_cmp_lg_u32 s20, s16
	v_cndmask_b32_e32 v77, v77, v93, vcc
	v_cndmask_b32_e32 v76, v76, v92, vcc
	;; [unrolled: 1-line block ×5, first 2 shown]
	s_cbranch_scc1 .LBB36_148
.LBB36_149:
	s_waitcnt lgkmcnt(0)
	v_cmp_eq_f64_e32 vcc, 0, v[76:77]
	v_cmp_eq_f64_e64 s[0:1], 0, v[78:79]
	s_and_b64 s[0:1], vcc, s[0:1]
	s_and_saveexec_b64 s[16:17], s[0:1]
	s_xor_b64 s[0:1], exec, s[16:17]
; %bb.150:
	v_cmp_ne_u32_e32 vcc, 0, v91
	s_nop 1
	v_cndmask_b32_e32 v91, 8, v91, vcc
; %bb.151:
	s_andn2_saveexec_b64 s[0:1], s[0:1]
	s_cbranch_execz .LBB36_157
; %bb.152:
	v_cmp_ngt_f64_e64 s[16:17], |v[76:77]|, |v[78:79]|
	s_and_saveexec_b64 s[18:19], s[16:17]
	s_xor_b64 s[16:17], exec, s[18:19]
	s_cbranch_execz .LBB36_154
; %bb.153:
	v_div_scale_f64 v[92:93], s[18:19], v[78:79], v[78:79], v[76:77]
	v_rcp_f64_e32 v[94:95], v[92:93]
	v_div_scale_f64 v[96:97], vcc, v[76:77], v[78:79], v[76:77]
	v_fma_f64 v[98:99], -v[92:93], v[94:95], 1.0
	v_fmac_f64_e32 v[94:95], v[94:95], v[98:99]
	v_fma_f64 v[98:99], -v[92:93], v[94:95], 1.0
	v_fmac_f64_e32 v[94:95], v[94:95], v[98:99]
	v_mul_f64 v[98:99], v[96:97], v[94:95]
	v_fma_f64 v[92:93], -v[92:93], v[98:99], v[96:97]
	v_div_fmas_f64 v[92:93], v[92:93], v[94:95], v[98:99]
	v_div_fixup_f64 v[92:93], v[92:93], v[78:79], v[76:77]
	v_fmac_f64_e32 v[78:79], v[76:77], v[92:93]
	v_div_scale_f64 v[76:77], s[18:19], v[78:79], v[78:79], 1.0
	v_rcp_f64_e32 v[94:95], v[76:77]
	s_nop 0
	v_fma_f64 v[96:97], -v[76:77], v[94:95], 1.0
	v_fmac_f64_e32 v[94:95], v[94:95], v[96:97]
	v_fma_f64 v[96:97], -v[76:77], v[94:95], 1.0
	v_fmac_f64_e32 v[94:95], v[94:95], v[96:97]
	v_div_scale_f64 v[96:97], vcc, 1.0, v[78:79], 1.0
	v_mul_f64 v[98:99], v[96:97], v[94:95]
	v_fma_f64 v[76:77], -v[76:77], v[98:99], v[96:97]
	s_nop 1
	v_div_fmas_f64 v[76:77], v[76:77], v[94:95], v[98:99]
	v_div_fixup_f64 v[78:79], v[76:77], v[78:79], 1.0
	v_mul_f64 v[76:77], v[92:93], v[78:79]
	v_xor_b32_e32 v79, 0x80000000, v79
.LBB36_154:
	s_andn2_saveexec_b64 s[16:17], s[16:17]
	s_cbranch_execz .LBB36_156
; %bb.155:
	v_div_scale_f64 v[92:93], s[18:19], v[76:77], v[76:77], v[78:79]
	v_rcp_f64_e32 v[94:95], v[92:93]
	v_div_scale_f64 v[96:97], vcc, v[78:79], v[76:77], v[78:79]
	v_fma_f64 v[98:99], -v[92:93], v[94:95], 1.0
	v_fmac_f64_e32 v[94:95], v[94:95], v[98:99]
	v_fma_f64 v[98:99], -v[92:93], v[94:95], 1.0
	v_fmac_f64_e32 v[94:95], v[94:95], v[98:99]
	v_mul_f64 v[98:99], v[96:97], v[94:95]
	v_fma_f64 v[92:93], -v[92:93], v[98:99], v[96:97]
	v_div_fmas_f64 v[92:93], v[92:93], v[94:95], v[98:99]
	v_div_fixup_f64 v[92:93], v[92:93], v[76:77], v[78:79]
	v_fmac_f64_e32 v[76:77], v[78:79], v[92:93]
	v_div_scale_f64 v[78:79], s[18:19], v[76:77], v[76:77], 1.0
	v_rcp_f64_e32 v[94:95], v[78:79]
	s_nop 0
	v_fma_f64 v[96:97], -v[78:79], v[94:95], 1.0
	v_fmac_f64_e32 v[94:95], v[94:95], v[96:97]
	v_fma_f64 v[96:97], -v[78:79], v[94:95], 1.0
	v_fmac_f64_e32 v[94:95], v[94:95], v[96:97]
	v_div_scale_f64 v[96:97], vcc, 1.0, v[76:77], 1.0
	v_mul_f64 v[98:99], v[96:97], v[94:95]
	v_fma_f64 v[78:79], -v[78:79], v[98:99], v[96:97]
	s_nop 1
	v_div_fmas_f64 v[78:79], v[78:79], v[94:95], v[98:99]
	v_div_fixup_f64 v[76:77], v[78:79], v[76:77], 1.0
	v_mul_f64 v[78:79], v[92:93], -v[76:77]
.LBB36_156:
	s_or_b64 exec, exec, s[16:17]
.LBB36_157:
	s_or_b64 exec, exec, s[0:1]
	v_cmp_ne_u32_e32 vcc, v89, v86
	s_and_saveexec_b64 s[0:1], vcc
	s_xor_b64 s[0:1], exec, s[0:1]
	s_cbranch_execz .LBB36_163
; %bb.158:
	v_cmp_eq_u32_e32 vcc, 7, v89
	s_and_saveexec_b64 s[16:17], vcc
	s_cbranch_execz .LBB36_162
; %bb.159:
	v_cmp_ne_u32_e32 vcc, 7, v86
	s_xor_b64 s[18:19], s[14:15], -1
	s_and_b64 s[22:23], s[18:19], vcc
	s_and_saveexec_b64 s[18:19], s[22:23]
	s_cbranch_execz .LBB36_161
; %bb.160:
	v_ashrrev_i32_e32 v87, 31, v86
	v_lshl_add_u64 v[92:93], v[86:87], 2, v[84:85]
	global_load_dword v87, v[92:93], off
	global_load_dword v89, v[84:85], off offset:28
	s_waitcnt vmcnt(1)
	global_store_dword v[84:85], v87, off offset:28
	s_waitcnt vmcnt(1)
	global_store_dword v[92:93], v89, off
.LBB36_161:
	s_or_b64 exec, exec, s[18:19]
	v_mov_b32_e32 v89, v86
	v_mov_b32_e32 v90, v86
.LBB36_162:
	s_or_b64 exec, exec, s[16:17]
.LBB36_163:
	s_andn2_saveexec_b64 s[0:1], s[0:1]
	s_cbranch_execz .LBB36_165
; %bb.164:
	v_mov_b32_e32 v89, 7
	s_waitcnt vmcnt(10)
	ds_write2_b64 v88, v[48:49], v[50:51] offset0:16 offset1:17
	s_waitcnt vmcnt(9)
	ds_write2_b64 v88, v[36:37], v[38:39] offset0:18 offset1:19
	;; [unrolled: 2-line block ×11, first 2 shown]
.LBB36_165:
	s_or_b64 exec, exec, s[0:1]
	v_cmp_lt_i32_e32 vcc, 7, v89
	s_waitcnt lgkmcnt(0)
	s_barrier
	s_and_saveexec_b64 s[0:1], vcc
	s_cbranch_execz .LBB36_167
; %bb.166:
	ds_read2_b64 v[92:95], v88 offset0:16 offset1:17
	v_mul_f64 v[86:87], v[76:77], v[58:59]
	v_fmac_f64_e32 v[86:87], v[78:79], v[56:57]
	v_mul_f64 v[58:59], v[78:79], v[58:59]
	v_fma_f64 v[56:57], v[76:77], v[56:57], -v[58:59]
	ds_read2_b64 v[76:79], v88 offset0:18 offset1:19
	s_waitcnt lgkmcnt(1)
	v_mul_f64 v[58:59], v[94:95], v[86:87]
	v_fma_f64 v[58:59], v[92:93], v[56:57], -v[58:59]
	v_mul_f64 v[92:93], v[92:93], v[86:87]
	v_fmac_f64_e32 v[92:93], v[94:95], v[56:57]
	s_waitcnt vmcnt(10)
	v_add_f64 v[50:51], v[50:51], -v[92:93]
	ds_read2_b64 v[92:95], v88 offset0:20 offset1:21
	v_add_f64 v[48:49], v[48:49], -v[58:59]
	s_waitcnt lgkmcnt(1)
	v_mul_f64 v[58:59], v[78:79], v[86:87]
	v_fma_f64 v[58:59], v[76:77], v[56:57], -v[58:59]
	v_mul_f64 v[76:77], v[76:77], v[86:87]
	v_fmac_f64_e32 v[76:77], v[78:79], v[56:57]
	s_waitcnt vmcnt(9)
	v_add_f64 v[36:37], v[36:37], -v[58:59]
	v_add_f64 v[38:39], v[38:39], -v[76:77]
	ds_read2_b64 v[76:79], v88 offset0:22 offset1:23
	s_waitcnt lgkmcnt(1)
	v_mul_f64 v[58:59], v[94:95], v[86:87]
	v_fma_f64 v[58:59], v[92:93], v[56:57], -v[58:59]
	v_mul_f64 v[92:93], v[92:93], v[86:87]
	v_fmac_f64_e32 v[92:93], v[94:95], v[56:57]
	s_waitcnt vmcnt(8)
	v_add_f64 v[30:31], v[30:31], -v[92:93]
	ds_read2_b64 v[92:95], v88 offset0:24 offset1:25
	v_add_f64 v[28:29], v[28:29], -v[58:59]
	s_waitcnt lgkmcnt(1)
	v_mul_f64 v[58:59], v[78:79], v[86:87]
	v_fma_f64 v[58:59], v[76:77], v[56:57], -v[58:59]
	v_mul_f64 v[76:77], v[76:77], v[86:87]
	v_fmac_f64_e32 v[76:77], v[78:79], v[56:57]
	s_waitcnt vmcnt(7)
	v_add_f64 v[24:25], v[24:25], -v[58:59]
	v_add_f64 v[26:27], v[26:27], -v[76:77]
	;; [unrolled: 18-line block ×5, first 2 shown]
	s_waitcnt lgkmcnt(0)
	v_mul_f64 v[58:59], v[94:95], v[86:87]
	v_mul_f64 v[76:77], v[92:93], v[86:87]
	v_fma_f64 v[58:59], v[92:93], v[56:57], -v[58:59]
	v_fmac_f64_e32 v[76:77], v[94:95], v[56:57]
	s_waitcnt vmcnt(0)
	v_add_f64 v[72:73], v[72:73], -v[58:59]
	v_add_f64 v[74:75], v[74:75], -v[76:77]
	v_mov_b64_e32 v[58:59], v[86:87]
.LBB36_167:
	s_or_b64 exec, exec, s[0:1]
	v_lshl_add_u32 v76, v89, 4, v88
	s_barrier
	s_waitcnt vmcnt(10)
	ds_write2_b64 v76, v[48:49], v[50:51] offset1:1
	s_waitcnt lgkmcnt(0)
	s_barrier
	ds_read2_b64 v[76:79], v88 offset0:16 offset1:17
	s_cmp_lt_i32 s20, 10
	v_mov_b32_e32 v86, 8
	s_cbranch_scc1 .LBB36_170
; %bb.168:
	v_add_u32_e32 v87, 0x90, v88
	s_mov_b32 s16, 9
	v_mov_b32_e32 v86, 8
.LBB36_169:                             ; =>This Inner Loop Header: Depth=1
	ds_read2_b64 v[92:95], v87 offset1:1
	s_waitcnt lgkmcnt(1)
	v_xor_b32_e32 v97, 0x80000000, v77
	v_xor_b32_e32 v99, 0x80000000, v79
	v_cmp_gt_f64_e32 vcc, 0, v[78:79]
	v_cmp_gt_f64_e64 s[0:1], 0, v[76:77]
	v_mov_b32_e32 v96, v76
	v_mov_b32_e32 v98, v78
	v_cndmask_b32_e64 v97, v77, v97, s[0:1]
	v_cndmask_b32_e32 v99, v79, v99, vcc
	v_add_f64 v[96:97], v[96:97], v[98:99]
	s_waitcnt lgkmcnt(0)
	v_xor_b32_e32 v99, 0x80000000, v93
	v_xor_b32_e32 v101, 0x80000000, v95
	v_cmp_gt_f64_e32 vcc, 0, v[94:95]
	v_cmp_gt_f64_e64 s[0:1], 0, v[92:93]
	v_mov_b32_e32 v98, v92
	v_mov_b32_e32 v100, v94
	v_cndmask_b32_e64 v99, v93, v99, s[0:1]
	v_cndmask_b32_e32 v101, v95, v101, vcc
	v_add_f64 v[98:99], v[98:99], v[100:101]
	v_mov_b32_e32 v102, s16
	s_add_i32 s16, s16, 1
	v_cmp_lt_f64_e32 vcc, v[96:97], v[98:99]
	v_add_u32_e32 v87, 16, v87
	s_cmp_lg_u32 s20, s16
	v_cndmask_b32_e32 v77, v77, v93, vcc
	v_cndmask_b32_e32 v76, v76, v92, vcc
	;; [unrolled: 1-line block ×5, first 2 shown]
	s_cbranch_scc1 .LBB36_169
.LBB36_170:
	s_waitcnt lgkmcnt(0)
	v_cmp_eq_f64_e32 vcc, 0, v[76:77]
	v_cmp_eq_f64_e64 s[0:1], 0, v[78:79]
	s_and_b64 s[0:1], vcc, s[0:1]
	s_and_saveexec_b64 s[16:17], s[0:1]
	s_xor_b64 s[0:1], exec, s[16:17]
; %bb.171:
	v_cmp_ne_u32_e32 vcc, 0, v91
	s_nop 1
	v_cndmask_b32_e32 v91, 9, v91, vcc
; %bb.172:
	s_andn2_saveexec_b64 s[0:1], s[0:1]
	s_cbranch_execz .LBB36_178
; %bb.173:
	v_cmp_ngt_f64_e64 s[16:17], |v[76:77]|, |v[78:79]|
	s_and_saveexec_b64 s[18:19], s[16:17]
	s_xor_b64 s[16:17], exec, s[18:19]
	s_cbranch_execz .LBB36_175
; %bb.174:
	v_div_scale_f64 v[92:93], s[18:19], v[78:79], v[78:79], v[76:77]
	v_rcp_f64_e32 v[94:95], v[92:93]
	v_div_scale_f64 v[96:97], vcc, v[76:77], v[78:79], v[76:77]
	v_fma_f64 v[98:99], -v[92:93], v[94:95], 1.0
	v_fmac_f64_e32 v[94:95], v[94:95], v[98:99]
	v_fma_f64 v[98:99], -v[92:93], v[94:95], 1.0
	v_fmac_f64_e32 v[94:95], v[94:95], v[98:99]
	v_mul_f64 v[98:99], v[96:97], v[94:95]
	v_fma_f64 v[92:93], -v[92:93], v[98:99], v[96:97]
	v_div_fmas_f64 v[92:93], v[92:93], v[94:95], v[98:99]
	v_div_fixup_f64 v[92:93], v[92:93], v[78:79], v[76:77]
	v_fmac_f64_e32 v[78:79], v[76:77], v[92:93]
	v_div_scale_f64 v[76:77], s[18:19], v[78:79], v[78:79], 1.0
	v_rcp_f64_e32 v[94:95], v[76:77]
	s_nop 0
	v_fma_f64 v[96:97], -v[76:77], v[94:95], 1.0
	v_fmac_f64_e32 v[94:95], v[94:95], v[96:97]
	v_fma_f64 v[96:97], -v[76:77], v[94:95], 1.0
	v_fmac_f64_e32 v[94:95], v[94:95], v[96:97]
	v_div_scale_f64 v[96:97], vcc, 1.0, v[78:79], 1.0
	v_mul_f64 v[98:99], v[96:97], v[94:95]
	v_fma_f64 v[76:77], -v[76:77], v[98:99], v[96:97]
	s_nop 1
	v_div_fmas_f64 v[76:77], v[76:77], v[94:95], v[98:99]
	v_div_fixup_f64 v[78:79], v[76:77], v[78:79], 1.0
	v_mul_f64 v[76:77], v[92:93], v[78:79]
	v_xor_b32_e32 v79, 0x80000000, v79
.LBB36_175:
	s_andn2_saveexec_b64 s[16:17], s[16:17]
	s_cbranch_execz .LBB36_177
; %bb.176:
	v_div_scale_f64 v[92:93], s[18:19], v[76:77], v[76:77], v[78:79]
	v_rcp_f64_e32 v[94:95], v[92:93]
	v_div_scale_f64 v[96:97], vcc, v[78:79], v[76:77], v[78:79]
	v_fma_f64 v[98:99], -v[92:93], v[94:95], 1.0
	v_fmac_f64_e32 v[94:95], v[94:95], v[98:99]
	v_fma_f64 v[98:99], -v[92:93], v[94:95], 1.0
	v_fmac_f64_e32 v[94:95], v[94:95], v[98:99]
	v_mul_f64 v[98:99], v[96:97], v[94:95]
	v_fma_f64 v[92:93], -v[92:93], v[98:99], v[96:97]
	v_div_fmas_f64 v[92:93], v[92:93], v[94:95], v[98:99]
	v_div_fixup_f64 v[92:93], v[92:93], v[76:77], v[78:79]
	v_fmac_f64_e32 v[76:77], v[78:79], v[92:93]
	v_div_scale_f64 v[78:79], s[18:19], v[76:77], v[76:77], 1.0
	v_rcp_f64_e32 v[94:95], v[78:79]
	s_nop 0
	v_fma_f64 v[96:97], -v[78:79], v[94:95], 1.0
	v_fmac_f64_e32 v[94:95], v[94:95], v[96:97]
	v_fma_f64 v[96:97], -v[78:79], v[94:95], 1.0
	v_fmac_f64_e32 v[94:95], v[94:95], v[96:97]
	v_div_scale_f64 v[96:97], vcc, 1.0, v[76:77], 1.0
	v_mul_f64 v[98:99], v[96:97], v[94:95]
	v_fma_f64 v[78:79], -v[78:79], v[98:99], v[96:97]
	s_nop 1
	v_div_fmas_f64 v[78:79], v[78:79], v[94:95], v[98:99]
	v_div_fixup_f64 v[76:77], v[78:79], v[76:77], 1.0
	v_mul_f64 v[78:79], v[92:93], -v[76:77]
.LBB36_177:
	s_or_b64 exec, exec, s[16:17]
.LBB36_178:
	s_or_b64 exec, exec, s[0:1]
	v_cmp_ne_u32_e32 vcc, v89, v86
	s_and_saveexec_b64 s[0:1], vcc
	s_xor_b64 s[0:1], exec, s[0:1]
	s_cbranch_execz .LBB36_184
; %bb.179:
	v_cmp_eq_u32_e32 vcc, 8, v89
	s_and_saveexec_b64 s[16:17], vcc
	s_cbranch_execz .LBB36_183
; %bb.180:
	v_cmp_ne_u32_e32 vcc, 8, v86
	s_xor_b64 s[18:19], s[14:15], -1
	s_and_b64 s[22:23], s[18:19], vcc
	s_and_saveexec_b64 s[18:19], s[22:23]
	s_cbranch_execz .LBB36_182
; %bb.181:
	v_ashrrev_i32_e32 v87, 31, v86
	v_lshl_add_u64 v[92:93], v[86:87], 2, v[84:85]
	global_load_dword v87, v[92:93], off
	global_load_dword v89, v[84:85], off offset:32
	s_waitcnt vmcnt(1)
	global_store_dword v[84:85], v87, off offset:32
	s_waitcnt vmcnt(1)
	global_store_dword v[92:93], v89, off
.LBB36_182:
	s_or_b64 exec, exec, s[18:19]
	v_mov_b32_e32 v89, v86
	v_mov_b32_e32 v90, v86
.LBB36_183:
	s_or_b64 exec, exec, s[16:17]
.LBB36_184:
	s_andn2_saveexec_b64 s[0:1], s[0:1]
	s_cbranch_execz .LBB36_186
; %bb.185:
	v_mov_b32_e32 v89, 8
	s_waitcnt vmcnt(9)
	ds_write2_b64 v88, v[36:37], v[38:39] offset0:18 offset1:19
	s_waitcnt vmcnt(8)
	ds_write2_b64 v88, v[28:29], v[30:31] offset0:20 offset1:21
	s_waitcnt vmcnt(7)
	ds_write2_b64 v88, v[24:25], v[26:27] offset0:22 offset1:23
	s_waitcnt vmcnt(6)
	ds_write2_b64 v88, v[20:21], v[22:23] offset0:24 offset1:25
	s_waitcnt vmcnt(5)
	ds_write2_b64 v88, v[16:17], v[18:19] offset0:26 offset1:27
	s_waitcnt vmcnt(4)
	ds_write2_b64 v88, v[12:13], v[14:15] offset0:28 offset1:29
	s_waitcnt vmcnt(3)
	ds_write2_b64 v88, v[8:9], v[10:11] offset0:30 offset1:31
	s_waitcnt vmcnt(2)
	ds_write2_b64 v88, v[4:5], v[6:7] offset0:32 offset1:33
	s_waitcnt vmcnt(1)
	ds_write2_b64 v88, v[0:1], v[2:3] offset0:34 offset1:35
	s_waitcnt vmcnt(0)
	ds_write2_b64 v88, v[72:73], v[74:75] offset0:36 offset1:37
.LBB36_186:
	s_or_b64 exec, exec, s[0:1]
	v_cmp_lt_i32_e32 vcc, 8, v89
	s_waitcnt lgkmcnt(0)
	s_barrier
	s_and_saveexec_b64 s[0:1], vcc
	s_cbranch_execz .LBB36_188
; %bb.187:
	ds_read2_b64 v[92:95], v88 offset0:18 offset1:19
	v_mul_f64 v[86:87], v[76:77], v[50:51]
	v_mul_f64 v[50:51], v[78:79], v[50:51]
	v_fmac_f64_e32 v[86:87], v[78:79], v[48:49]
	v_fma_f64 v[48:49], v[76:77], v[48:49], -v[50:51]
	ds_read2_b64 v[76:79], v88 offset0:20 offset1:21
	s_waitcnt lgkmcnt(1)
	v_mul_f64 v[50:51], v[94:95], v[86:87]
	v_fma_f64 v[50:51], v[92:93], v[48:49], -v[50:51]
	v_mul_f64 v[92:93], v[92:93], v[86:87]
	v_fmac_f64_e32 v[92:93], v[94:95], v[48:49]
	s_waitcnt vmcnt(9)
	v_add_f64 v[36:37], v[36:37], -v[50:51]
	s_waitcnt lgkmcnt(0)
	v_mul_f64 v[50:51], v[78:79], v[86:87]
	v_add_f64 v[38:39], v[38:39], -v[92:93]
	v_fma_f64 v[50:51], v[76:77], v[48:49], -v[50:51]
	v_mul_f64 v[76:77], v[76:77], v[86:87]
	ds_read2_b64 v[92:95], v88 offset0:22 offset1:23
	v_fmac_f64_e32 v[76:77], v[78:79], v[48:49]
	s_waitcnt vmcnt(8)
	v_add_f64 v[30:31], v[30:31], -v[76:77]
	ds_read2_b64 v[76:79], v88 offset0:24 offset1:25
	v_add_f64 v[28:29], v[28:29], -v[50:51]
	s_waitcnt lgkmcnt(1)
	v_mul_f64 v[50:51], v[94:95], v[86:87]
	v_fma_f64 v[50:51], v[92:93], v[48:49], -v[50:51]
	v_mul_f64 v[92:93], v[92:93], v[86:87]
	v_fmac_f64_e32 v[92:93], v[94:95], v[48:49]
	s_waitcnt vmcnt(7)
	v_add_f64 v[24:25], v[24:25], -v[50:51]
	s_waitcnt lgkmcnt(0)
	v_mul_f64 v[50:51], v[78:79], v[86:87]
	v_add_f64 v[26:27], v[26:27], -v[92:93]
	v_fma_f64 v[50:51], v[76:77], v[48:49], -v[50:51]
	v_mul_f64 v[76:77], v[76:77], v[86:87]
	ds_read2_b64 v[92:95], v88 offset0:26 offset1:27
	v_fmac_f64_e32 v[76:77], v[78:79], v[48:49]
	s_waitcnt vmcnt(6)
	v_add_f64 v[22:23], v[22:23], -v[76:77]
	ds_read2_b64 v[76:79], v88 offset0:28 offset1:29
	v_add_f64 v[20:21], v[20:21], -v[50:51]
	;; [unrolled: 18-line block ×4, first 2 shown]
	s_waitcnt lgkmcnt(1)
	v_mul_f64 v[50:51], v[94:95], v[86:87]
	v_fma_f64 v[50:51], v[92:93], v[48:49], -v[50:51]
	s_waitcnt vmcnt(1)
	v_add_f64 v[0:1], v[0:1], -v[50:51]
	s_waitcnt lgkmcnt(0)
	v_mul_f64 v[50:51], v[78:79], v[86:87]
	v_mul_f64 v[92:93], v[92:93], v[86:87]
	v_fma_f64 v[50:51], v[76:77], v[48:49], -v[50:51]
	v_mul_f64 v[76:77], v[76:77], v[86:87]
	v_fmac_f64_e32 v[92:93], v[94:95], v[48:49]
	v_fmac_f64_e32 v[76:77], v[78:79], v[48:49]
	v_add_f64 v[2:3], v[2:3], -v[92:93]
	s_waitcnt vmcnt(0)
	v_add_f64 v[72:73], v[72:73], -v[50:51]
	v_add_f64 v[74:75], v[74:75], -v[76:77]
	v_mov_b64_e32 v[50:51], v[86:87]
.LBB36_188:
	s_or_b64 exec, exec, s[0:1]
	v_lshl_add_u32 v76, v89, 4, v88
	s_barrier
	s_waitcnt vmcnt(9)
	ds_write2_b64 v76, v[36:37], v[38:39] offset1:1
	s_waitcnt lgkmcnt(0)
	s_barrier
	ds_read2_b64 v[76:79], v88 offset0:18 offset1:19
	s_cmp_lt_i32 s20, 11
	v_mov_b32_e32 v86, 9
	s_cbranch_scc1 .LBB36_191
; %bb.189:
	v_add_u32_e32 v87, 0xa0, v88
	s_mov_b32 s16, 10
	v_mov_b32_e32 v86, 9
.LBB36_190:                             ; =>This Inner Loop Header: Depth=1
	ds_read2_b64 v[92:95], v87 offset1:1
	s_waitcnt lgkmcnt(1)
	v_xor_b32_e32 v97, 0x80000000, v77
	v_xor_b32_e32 v99, 0x80000000, v79
	v_cmp_gt_f64_e32 vcc, 0, v[78:79]
	v_cmp_gt_f64_e64 s[0:1], 0, v[76:77]
	v_mov_b32_e32 v96, v76
	v_mov_b32_e32 v98, v78
	v_cndmask_b32_e64 v97, v77, v97, s[0:1]
	v_cndmask_b32_e32 v99, v79, v99, vcc
	v_add_f64 v[96:97], v[96:97], v[98:99]
	s_waitcnt lgkmcnt(0)
	v_xor_b32_e32 v99, 0x80000000, v93
	v_xor_b32_e32 v101, 0x80000000, v95
	v_cmp_gt_f64_e32 vcc, 0, v[94:95]
	v_cmp_gt_f64_e64 s[0:1], 0, v[92:93]
	v_mov_b32_e32 v98, v92
	v_mov_b32_e32 v100, v94
	v_cndmask_b32_e64 v99, v93, v99, s[0:1]
	v_cndmask_b32_e32 v101, v95, v101, vcc
	v_add_f64 v[98:99], v[98:99], v[100:101]
	v_mov_b32_e32 v102, s16
	s_add_i32 s16, s16, 1
	v_cmp_lt_f64_e32 vcc, v[96:97], v[98:99]
	v_add_u32_e32 v87, 16, v87
	s_cmp_lg_u32 s20, s16
	v_cndmask_b32_e32 v77, v77, v93, vcc
	v_cndmask_b32_e32 v76, v76, v92, vcc
	;; [unrolled: 1-line block ×5, first 2 shown]
	s_cbranch_scc1 .LBB36_190
.LBB36_191:
	s_waitcnt lgkmcnt(0)
	v_cmp_eq_f64_e32 vcc, 0, v[76:77]
	v_cmp_eq_f64_e64 s[0:1], 0, v[78:79]
	s_and_b64 s[0:1], vcc, s[0:1]
	s_and_saveexec_b64 s[16:17], s[0:1]
	s_xor_b64 s[0:1], exec, s[16:17]
; %bb.192:
	v_cmp_ne_u32_e32 vcc, 0, v91
	s_nop 1
	v_cndmask_b32_e32 v91, 10, v91, vcc
; %bb.193:
	s_andn2_saveexec_b64 s[0:1], s[0:1]
	s_cbranch_execz .LBB36_199
; %bb.194:
	v_cmp_ngt_f64_e64 s[16:17], |v[76:77]|, |v[78:79]|
	s_and_saveexec_b64 s[18:19], s[16:17]
	s_xor_b64 s[16:17], exec, s[18:19]
	s_cbranch_execz .LBB36_196
; %bb.195:
	v_div_scale_f64 v[92:93], s[18:19], v[78:79], v[78:79], v[76:77]
	v_rcp_f64_e32 v[94:95], v[92:93]
	v_div_scale_f64 v[96:97], vcc, v[76:77], v[78:79], v[76:77]
	v_fma_f64 v[98:99], -v[92:93], v[94:95], 1.0
	v_fmac_f64_e32 v[94:95], v[94:95], v[98:99]
	v_fma_f64 v[98:99], -v[92:93], v[94:95], 1.0
	v_fmac_f64_e32 v[94:95], v[94:95], v[98:99]
	v_mul_f64 v[98:99], v[96:97], v[94:95]
	v_fma_f64 v[92:93], -v[92:93], v[98:99], v[96:97]
	v_div_fmas_f64 v[92:93], v[92:93], v[94:95], v[98:99]
	v_div_fixup_f64 v[92:93], v[92:93], v[78:79], v[76:77]
	v_fmac_f64_e32 v[78:79], v[76:77], v[92:93]
	v_div_scale_f64 v[76:77], s[18:19], v[78:79], v[78:79], 1.0
	v_rcp_f64_e32 v[94:95], v[76:77]
	s_nop 0
	v_fma_f64 v[96:97], -v[76:77], v[94:95], 1.0
	v_fmac_f64_e32 v[94:95], v[94:95], v[96:97]
	v_fma_f64 v[96:97], -v[76:77], v[94:95], 1.0
	v_fmac_f64_e32 v[94:95], v[94:95], v[96:97]
	v_div_scale_f64 v[96:97], vcc, 1.0, v[78:79], 1.0
	v_mul_f64 v[98:99], v[96:97], v[94:95]
	v_fma_f64 v[76:77], -v[76:77], v[98:99], v[96:97]
	s_nop 1
	v_div_fmas_f64 v[76:77], v[76:77], v[94:95], v[98:99]
	v_div_fixup_f64 v[78:79], v[76:77], v[78:79], 1.0
	v_mul_f64 v[76:77], v[92:93], v[78:79]
	v_xor_b32_e32 v79, 0x80000000, v79
.LBB36_196:
	s_andn2_saveexec_b64 s[16:17], s[16:17]
	s_cbranch_execz .LBB36_198
; %bb.197:
	v_div_scale_f64 v[92:93], s[18:19], v[76:77], v[76:77], v[78:79]
	v_rcp_f64_e32 v[94:95], v[92:93]
	v_div_scale_f64 v[96:97], vcc, v[78:79], v[76:77], v[78:79]
	v_fma_f64 v[98:99], -v[92:93], v[94:95], 1.0
	v_fmac_f64_e32 v[94:95], v[94:95], v[98:99]
	v_fma_f64 v[98:99], -v[92:93], v[94:95], 1.0
	v_fmac_f64_e32 v[94:95], v[94:95], v[98:99]
	v_mul_f64 v[98:99], v[96:97], v[94:95]
	v_fma_f64 v[92:93], -v[92:93], v[98:99], v[96:97]
	v_div_fmas_f64 v[92:93], v[92:93], v[94:95], v[98:99]
	v_div_fixup_f64 v[92:93], v[92:93], v[76:77], v[78:79]
	v_fmac_f64_e32 v[76:77], v[78:79], v[92:93]
	v_div_scale_f64 v[78:79], s[18:19], v[76:77], v[76:77], 1.0
	v_rcp_f64_e32 v[94:95], v[78:79]
	s_nop 0
	v_fma_f64 v[96:97], -v[78:79], v[94:95], 1.0
	v_fmac_f64_e32 v[94:95], v[94:95], v[96:97]
	v_fma_f64 v[96:97], -v[78:79], v[94:95], 1.0
	v_fmac_f64_e32 v[94:95], v[94:95], v[96:97]
	v_div_scale_f64 v[96:97], vcc, 1.0, v[76:77], 1.0
	v_mul_f64 v[98:99], v[96:97], v[94:95]
	v_fma_f64 v[78:79], -v[78:79], v[98:99], v[96:97]
	s_nop 1
	v_div_fmas_f64 v[78:79], v[78:79], v[94:95], v[98:99]
	v_div_fixup_f64 v[76:77], v[78:79], v[76:77], 1.0
	v_mul_f64 v[78:79], v[92:93], -v[76:77]
.LBB36_198:
	s_or_b64 exec, exec, s[16:17]
.LBB36_199:
	s_or_b64 exec, exec, s[0:1]
	v_cmp_ne_u32_e32 vcc, v89, v86
	s_and_saveexec_b64 s[0:1], vcc
	s_xor_b64 s[0:1], exec, s[0:1]
	s_cbranch_execz .LBB36_205
; %bb.200:
	v_cmp_eq_u32_e32 vcc, 9, v89
	s_and_saveexec_b64 s[16:17], vcc
	s_cbranch_execz .LBB36_204
; %bb.201:
	v_cmp_ne_u32_e32 vcc, 9, v86
	s_xor_b64 s[18:19], s[14:15], -1
	s_and_b64 s[22:23], s[18:19], vcc
	s_and_saveexec_b64 s[18:19], s[22:23]
	s_cbranch_execz .LBB36_203
; %bb.202:
	v_ashrrev_i32_e32 v87, 31, v86
	v_lshl_add_u64 v[92:93], v[86:87], 2, v[84:85]
	global_load_dword v87, v[92:93], off
	global_load_dword v89, v[84:85], off offset:36
	s_waitcnt vmcnt(1)
	global_store_dword v[84:85], v87, off offset:36
	s_waitcnt vmcnt(1)
	global_store_dword v[92:93], v89, off
.LBB36_203:
	s_or_b64 exec, exec, s[18:19]
	v_mov_b32_e32 v89, v86
	v_mov_b32_e32 v90, v86
.LBB36_204:
	s_or_b64 exec, exec, s[16:17]
.LBB36_205:
	s_andn2_saveexec_b64 s[0:1], s[0:1]
	s_cbranch_execz .LBB36_207
; %bb.206:
	v_mov_b32_e32 v89, 9
	s_waitcnt vmcnt(8)
	ds_write2_b64 v88, v[28:29], v[30:31] offset0:20 offset1:21
	s_waitcnt vmcnt(7)
	ds_write2_b64 v88, v[24:25], v[26:27] offset0:22 offset1:23
	;; [unrolled: 2-line block ×9, first 2 shown]
.LBB36_207:
	s_or_b64 exec, exec, s[0:1]
	v_cmp_lt_i32_e32 vcc, 9, v89
	s_waitcnt lgkmcnt(0)
	s_barrier
	s_and_saveexec_b64 s[0:1], vcc
	s_cbranch_execz .LBB36_209
; %bb.208:
	ds_read2_b64 v[92:95], v88 offset0:20 offset1:21
	v_mul_f64 v[86:87], v[76:77], v[38:39]
	v_fmac_f64_e32 v[86:87], v[78:79], v[36:37]
	v_mul_f64 v[38:39], v[78:79], v[38:39]
	v_fma_f64 v[36:37], v[76:77], v[36:37], -v[38:39]
	ds_read2_b64 v[76:79], v88 offset0:22 offset1:23
	s_waitcnt lgkmcnt(1)
	v_mul_f64 v[38:39], v[94:95], v[86:87]
	v_fma_f64 v[38:39], v[92:93], v[36:37], -v[38:39]
	v_mul_f64 v[92:93], v[92:93], v[86:87]
	v_fmac_f64_e32 v[92:93], v[94:95], v[36:37]
	s_waitcnt vmcnt(8)
	v_add_f64 v[30:31], v[30:31], -v[92:93]
	ds_read2_b64 v[92:95], v88 offset0:24 offset1:25
	v_add_f64 v[28:29], v[28:29], -v[38:39]
	s_waitcnt lgkmcnt(1)
	v_mul_f64 v[38:39], v[78:79], v[86:87]
	v_fma_f64 v[38:39], v[76:77], v[36:37], -v[38:39]
	v_mul_f64 v[76:77], v[76:77], v[86:87]
	v_fmac_f64_e32 v[76:77], v[78:79], v[36:37]
	s_waitcnt vmcnt(7)
	v_add_f64 v[24:25], v[24:25], -v[38:39]
	v_add_f64 v[26:27], v[26:27], -v[76:77]
	ds_read2_b64 v[76:79], v88 offset0:26 offset1:27
	s_waitcnt lgkmcnt(1)
	v_mul_f64 v[38:39], v[94:95], v[86:87]
	v_fma_f64 v[38:39], v[92:93], v[36:37], -v[38:39]
	v_mul_f64 v[92:93], v[92:93], v[86:87]
	v_fmac_f64_e32 v[92:93], v[94:95], v[36:37]
	s_waitcnt vmcnt(6)
	v_add_f64 v[22:23], v[22:23], -v[92:93]
	ds_read2_b64 v[92:95], v88 offset0:28 offset1:29
	v_add_f64 v[20:21], v[20:21], -v[38:39]
	s_waitcnt lgkmcnt(1)
	v_mul_f64 v[38:39], v[78:79], v[86:87]
	v_fma_f64 v[38:39], v[76:77], v[36:37], -v[38:39]
	v_mul_f64 v[76:77], v[76:77], v[86:87]
	v_fmac_f64_e32 v[76:77], v[78:79], v[36:37]
	s_waitcnt vmcnt(5)
	v_add_f64 v[16:17], v[16:17], -v[38:39]
	v_add_f64 v[18:19], v[18:19], -v[76:77]
	ds_read2_b64 v[76:79], v88 offset0:30 offset1:31
	s_waitcnt lgkmcnt(1)
	v_mul_f64 v[38:39], v[94:95], v[86:87]
	v_fma_f64 v[38:39], v[92:93], v[36:37], -v[38:39]
	v_mul_f64 v[92:93], v[92:93], v[86:87]
	v_fmac_f64_e32 v[92:93], v[94:95], v[36:37]
	s_waitcnt vmcnt(4)
	v_add_f64 v[14:15], v[14:15], -v[92:93]
	ds_read2_b64 v[92:95], v88 offset0:32 offset1:33
	v_add_f64 v[12:13], v[12:13], -v[38:39]
	s_waitcnt lgkmcnt(1)
	v_mul_f64 v[38:39], v[78:79], v[86:87]
	v_fma_f64 v[38:39], v[76:77], v[36:37], -v[38:39]
	v_mul_f64 v[76:77], v[76:77], v[86:87]
	v_fmac_f64_e32 v[76:77], v[78:79], v[36:37]
	s_waitcnt vmcnt(3)
	v_add_f64 v[8:9], v[8:9], -v[38:39]
	v_add_f64 v[10:11], v[10:11], -v[76:77]
	ds_read2_b64 v[76:79], v88 offset0:34 offset1:35
	s_waitcnt lgkmcnt(1)
	v_mul_f64 v[38:39], v[94:95], v[86:87]
	v_fma_f64 v[38:39], v[92:93], v[36:37], -v[38:39]
	v_mul_f64 v[92:93], v[92:93], v[86:87]
	v_fmac_f64_e32 v[92:93], v[94:95], v[36:37]
	s_waitcnt vmcnt(2)
	v_add_f64 v[6:7], v[6:7], -v[92:93]
	ds_read2_b64 v[92:95], v88 offset0:36 offset1:37
	v_add_f64 v[4:5], v[4:5], -v[38:39]
	s_waitcnt lgkmcnt(1)
	v_mul_f64 v[38:39], v[78:79], v[86:87]
	v_fma_f64 v[38:39], v[76:77], v[36:37], -v[38:39]
	v_mul_f64 v[76:77], v[76:77], v[86:87]
	v_fmac_f64_e32 v[76:77], v[78:79], v[36:37]
	s_waitcnt vmcnt(1)
	v_add_f64 v[0:1], v[0:1], -v[38:39]
	v_add_f64 v[2:3], v[2:3], -v[76:77]
	s_waitcnt lgkmcnt(0)
	v_mul_f64 v[38:39], v[94:95], v[86:87]
	v_mul_f64 v[76:77], v[92:93], v[86:87]
	v_fma_f64 v[38:39], v[92:93], v[36:37], -v[38:39]
	v_fmac_f64_e32 v[76:77], v[94:95], v[36:37]
	s_waitcnt vmcnt(0)
	v_add_f64 v[72:73], v[72:73], -v[38:39]
	v_add_f64 v[74:75], v[74:75], -v[76:77]
	v_mov_b64_e32 v[38:39], v[86:87]
.LBB36_209:
	s_or_b64 exec, exec, s[0:1]
	v_lshl_add_u32 v76, v89, 4, v88
	s_barrier
	s_waitcnt vmcnt(8)
	ds_write2_b64 v76, v[28:29], v[30:31] offset1:1
	s_waitcnt lgkmcnt(0)
	s_barrier
	ds_read2_b64 v[76:79], v88 offset0:20 offset1:21
	s_cmp_lt_i32 s20, 12
	v_mov_b32_e32 v86, 10
	s_cbranch_scc1 .LBB36_212
; %bb.210:
	v_add_u32_e32 v87, 0xb0, v88
	s_mov_b32 s16, 11
	v_mov_b32_e32 v86, 10
.LBB36_211:                             ; =>This Inner Loop Header: Depth=1
	ds_read2_b64 v[92:95], v87 offset1:1
	s_waitcnt lgkmcnt(1)
	v_xor_b32_e32 v97, 0x80000000, v77
	v_xor_b32_e32 v99, 0x80000000, v79
	v_cmp_gt_f64_e32 vcc, 0, v[78:79]
	v_cmp_gt_f64_e64 s[0:1], 0, v[76:77]
	v_mov_b32_e32 v96, v76
	v_mov_b32_e32 v98, v78
	v_cndmask_b32_e64 v97, v77, v97, s[0:1]
	v_cndmask_b32_e32 v99, v79, v99, vcc
	v_add_f64 v[96:97], v[96:97], v[98:99]
	s_waitcnt lgkmcnt(0)
	v_xor_b32_e32 v99, 0x80000000, v93
	v_xor_b32_e32 v101, 0x80000000, v95
	v_cmp_gt_f64_e32 vcc, 0, v[94:95]
	v_cmp_gt_f64_e64 s[0:1], 0, v[92:93]
	v_mov_b32_e32 v98, v92
	v_mov_b32_e32 v100, v94
	v_cndmask_b32_e64 v99, v93, v99, s[0:1]
	v_cndmask_b32_e32 v101, v95, v101, vcc
	v_add_f64 v[98:99], v[98:99], v[100:101]
	v_mov_b32_e32 v102, s16
	s_add_i32 s16, s16, 1
	v_cmp_lt_f64_e32 vcc, v[96:97], v[98:99]
	v_add_u32_e32 v87, 16, v87
	s_cmp_lg_u32 s20, s16
	v_cndmask_b32_e32 v77, v77, v93, vcc
	v_cndmask_b32_e32 v76, v76, v92, vcc
	v_cndmask_b32_e32 v79, v79, v95, vcc
	v_cndmask_b32_e32 v78, v78, v94, vcc
	v_cndmask_b32_e32 v86, v86, v102, vcc
	s_cbranch_scc1 .LBB36_211
.LBB36_212:
	s_waitcnt lgkmcnt(0)
	v_cmp_eq_f64_e32 vcc, 0, v[76:77]
	v_cmp_eq_f64_e64 s[0:1], 0, v[78:79]
	s_and_b64 s[0:1], vcc, s[0:1]
	s_and_saveexec_b64 s[16:17], s[0:1]
	s_xor_b64 s[0:1], exec, s[16:17]
; %bb.213:
	v_cmp_ne_u32_e32 vcc, 0, v91
	s_nop 1
	v_cndmask_b32_e32 v91, 11, v91, vcc
; %bb.214:
	s_andn2_saveexec_b64 s[0:1], s[0:1]
	s_cbranch_execz .LBB36_220
; %bb.215:
	v_cmp_ngt_f64_e64 s[16:17], |v[76:77]|, |v[78:79]|
	s_and_saveexec_b64 s[18:19], s[16:17]
	s_xor_b64 s[16:17], exec, s[18:19]
	s_cbranch_execz .LBB36_217
; %bb.216:
	v_div_scale_f64 v[92:93], s[18:19], v[78:79], v[78:79], v[76:77]
	v_rcp_f64_e32 v[94:95], v[92:93]
	v_div_scale_f64 v[96:97], vcc, v[76:77], v[78:79], v[76:77]
	v_fma_f64 v[98:99], -v[92:93], v[94:95], 1.0
	v_fmac_f64_e32 v[94:95], v[94:95], v[98:99]
	v_fma_f64 v[98:99], -v[92:93], v[94:95], 1.0
	v_fmac_f64_e32 v[94:95], v[94:95], v[98:99]
	v_mul_f64 v[98:99], v[96:97], v[94:95]
	v_fma_f64 v[92:93], -v[92:93], v[98:99], v[96:97]
	v_div_fmas_f64 v[92:93], v[92:93], v[94:95], v[98:99]
	v_div_fixup_f64 v[92:93], v[92:93], v[78:79], v[76:77]
	v_fmac_f64_e32 v[78:79], v[76:77], v[92:93]
	v_div_scale_f64 v[76:77], s[18:19], v[78:79], v[78:79], 1.0
	v_rcp_f64_e32 v[94:95], v[76:77]
	s_nop 0
	v_fma_f64 v[96:97], -v[76:77], v[94:95], 1.0
	v_fmac_f64_e32 v[94:95], v[94:95], v[96:97]
	v_fma_f64 v[96:97], -v[76:77], v[94:95], 1.0
	v_fmac_f64_e32 v[94:95], v[94:95], v[96:97]
	v_div_scale_f64 v[96:97], vcc, 1.0, v[78:79], 1.0
	v_mul_f64 v[98:99], v[96:97], v[94:95]
	v_fma_f64 v[76:77], -v[76:77], v[98:99], v[96:97]
	s_nop 1
	v_div_fmas_f64 v[76:77], v[76:77], v[94:95], v[98:99]
	v_div_fixup_f64 v[78:79], v[76:77], v[78:79], 1.0
	v_mul_f64 v[76:77], v[92:93], v[78:79]
	v_xor_b32_e32 v79, 0x80000000, v79
.LBB36_217:
	s_andn2_saveexec_b64 s[16:17], s[16:17]
	s_cbranch_execz .LBB36_219
; %bb.218:
	v_div_scale_f64 v[92:93], s[18:19], v[76:77], v[76:77], v[78:79]
	v_rcp_f64_e32 v[94:95], v[92:93]
	v_div_scale_f64 v[96:97], vcc, v[78:79], v[76:77], v[78:79]
	v_fma_f64 v[98:99], -v[92:93], v[94:95], 1.0
	v_fmac_f64_e32 v[94:95], v[94:95], v[98:99]
	v_fma_f64 v[98:99], -v[92:93], v[94:95], 1.0
	v_fmac_f64_e32 v[94:95], v[94:95], v[98:99]
	v_mul_f64 v[98:99], v[96:97], v[94:95]
	v_fma_f64 v[92:93], -v[92:93], v[98:99], v[96:97]
	v_div_fmas_f64 v[92:93], v[92:93], v[94:95], v[98:99]
	v_div_fixup_f64 v[92:93], v[92:93], v[76:77], v[78:79]
	v_fmac_f64_e32 v[76:77], v[78:79], v[92:93]
	v_div_scale_f64 v[78:79], s[18:19], v[76:77], v[76:77], 1.0
	v_rcp_f64_e32 v[94:95], v[78:79]
	s_nop 0
	v_fma_f64 v[96:97], -v[78:79], v[94:95], 1.0
	v_fmac_f64_e32 v[94:95], v[94:95], v[96:97]
	v_fma_f64 v[96:97], -v[78:79], v[94:95], 1.0
	v_fmac_f64_e32 v[94:95], v[94:95], v[96:97]
	v_div_scale_f64 v[96:97], vcc, 1.0, v[76:77], 1.0
	v_mul_f64 v[98:99], v[96:97], v[94:95]
	v_fma_f64 v[78:79], -v[78:79], v[98:99], v[96:97]
	s_nop 1
	v_div_fmas_f64 v[78:79], v[78:79], v[94:95], v[98:99]
	v_div_fixup_f64 v[76:77], v[78:79], v[76:77], 1.0
	v_mul_f64 v[78:79], v[92:93], -v[76:77]
.LBB36_219:
	s_or_b64 exec, exec, s[16:17]
.LBB36_220:
	s_or_b64 exec, exec, s[0:1]
	v_cmp_ne_u32_e32 vcc, v89, v86
	s_and_saveexec_b64 s[0:1], vcc
	s_xor_b64 s[0:1], exec, s[0:1]
	s_cbranch_execz .LBB36_226
; %bb.221:
	v_cmp_eq_u32_e32 vcc, 10, v89
	s_and_saveexec_b64 s[16:17], vcc
	s_cbranch_execz .LBB36_225
; %bb.222:
	v_cmp_ne_u32_e32 vcc, 10, v86
	s_xor_b64 s[18:19], s[14:15], -1
	s_and_b64 s[22:23], s[18:19], vcc
	s_and_saveexec_b64 s[18:19], s[22:23]
	s_cbranch_execz .LBB36_224
; %bb.223:
	v_ashrrev_i32_e32 v87, 31, v86
	v_lshl_add_u64 v[92:93], v[86:87], 2, v[84:85]
	global_load_dword v87, v[92:93], off
	global_load_dword v89, v[84:85], off offset:40
	s_waitcnt vmcnt(1)
	global_store_dword v[84:85], v87, off offset:40
	s_waitcnt vmcnt(1)
	global_store_dword v[92:93], v89, off
.LBB36_224:
	s_or_b64 exec, exec, s[18:19]
	v_mov_b32_e32 v89, v86
	v_mov_b32_e32 v90, v86
.LBB36_225:
	s_or_b64 exec, exec, s[16:17]
.LBB36_226:
	s_andn2_saveexec_b64 s[0:1], s[0:1]
	s_cbranch_execz .LBB36_228
; %bb.227:
	v_mov_b32_e32 v89, 10
	s_waitcnt vmcnt(7)
	ds_write2_b64 v88, v[24:25], v[26:27] offset0:22 offset1:23
	s_waitcnt vmcnt(6)
	ds_write2_b64 v88, v[20:21], v[22:23] offset0:24 offset1:25
	;; [unrolled: 2-line block ×8, first 2 shown]
.LBB36_228:
	s_or_b64 exec, exec, s[0:1]
	v_cmp_lt_i32_e32 vcc, 10, v89
	s_waitcnt lgkmcnt(0)
	s_barrier
	s_and_saveexec_b64 s[0:1], vcc
	s_cbranch_execz .LBB36_230
; %bb.229:
	ds_read2_b64 v[92:95], v88 offset0:22 offset1:23
	v_mul_f64 v[86:87], v[76:77], v[30:31]
	v_mul_f64 v[30:31], v[78:79], v[30:31]
	v_fmac_f64_e32 v[86:87], v[78:79], v[28:29]
	v_fma_f64 v[28:29], v[76:77], v[28:29], -v[30:31]
	ds_read2_b64 v[76:79], v88 offset0:24 offset1:25
	s_waitcnt lgkmcnt(1)
	v_mul_f64 v[30:31], v[94:95], v[86:87]
	v_fma_f64 v[30:31], v[92:93], v[28:29], -v[30:31]
	v_mul_f64 v[92:93], v[92:93], v[86:87]
	v_fmac_f64_e32 v[92:93], v[94:95], v[28:29]
	s_waitcnt vmcnt(7)
	v_add_f64 v[24:25], v[24:25], -v[30:31]
	s_waitcnt lgkmcnt(0)
	v_mul_f64 v[30:31], v[78:79], v[86:87]
	v_add_f64 v[26:27], v[26:27], -v[92:93]
	v_fma_f64 v[30:31], v[76:77], v[28:29], -v[30:31]
	v_mul_f64 v[76:77], v[76:77], v[86:87]
	ds_read2_b64 v[92:95], v88 offset0:26 offset1:27
	v_fmac_f64_e32 v[76:77], v[78:79], v[28:29]
	s_waitcnt vmcnt(6)
	v_add_f64 v[22:23], v[22:23], -v[76:77]
	ds_read2_b64 v[76:79], v88 offset0:28 offset1:29
	v_add_f64 v[20:21], v[20:21], -v[30:31]
	s_waitcnt lgkmcnt(1)
	v_mul_f64 v[30:31], v[94:95], v[86:87]
	v_fma_f64 v[30:31], v[92:93], v[28:29], -v[30:31]
	v_mul_f64 v[92:93], v[92:93], v[86:87]
	v_fmac_f64_e32 v[92:93], v[94:95], v[28:29]
	s_waitcnt vmcnt(5)
	v_add_f64 v[16:17], v[16:17], -v[30:31]
	s_waitcnt lgkmcnt(0)
	v_mul_f64 v[30:31], v[78:79], v[86:87]
	v_add_f64 v[18:19], v[18:19], -v[92:93]
	v_fma_f64 v[30:31], v[76:77], v[28:29], -v[30:31]
	v_mul_f64 v[76:77], v[76:77], v[86:87]
	ds_read2_b64 v[92:95], v88 offset0:30 offset1:31
	v_fmac_f64_e32 v[76:77], v[78:79], v[28:29]
	s_waitcnt vmcnt(4)
	v_add_f64 v[14:15], v[14:15], -v[76:77]
	ds_read2_b64 v[76:79], v88 offset0:32 offset1:33
	v_add_f64 v[12:13], v[12:13], -v[30:31]
	s_waitcnt lgkmcnt(1)
	v_mul_f64 v[30:31], v[94:95], v[86:87]
	v_fma_f64 v[30:31], v[92:93], v[28:29], -v[30:31]
	v_mul_f64 v[92:93], v[92:93], v[86:87]
	v_fmac_f64_e32 v[92:93], v[94:95], v[28:29]
	s_waitcnt vmcnt(3)
	v_add_f64 v[8:9], v[8:9], -v[30:31]
	s_waitcnt lgkmcnt(0)
	v_mul_f64 v[30:31], v[78:79], v[86:87]
	v_add_f64 v[10:11], v[10:11], -v[92:93]
	v_fma_f64 v[30:31], v[76:77], v[28:29], -v[30:31]
	v_mul_f64 v[76:77], v[76:77], v[86:87]
	ds_read2_b64 v[92:95], v88 offset0:34 offset1:35
	v_fmac_f64_e32 v[76:77], v[78:79], v[28:29]
	s_waitcnt vmcnt(2)
	v_add_f64 v[6:7], v[6:7], -v[76:77]
	ds_read2_b64 v[76:79], v88 offset0:36 offset1:37
	v_add_f64 v[4:5], v[4:5], -v[30:31]
	s_waitcnt lgkmcnt(1)
	v_mul_f64 v[30:31], v[94:95], v[86:87]
	v_fma_f64 v[30:31], v[92:93], v[28:29], -v[30:31]
	s_waitcnt vmcnt(1)
	v_add_f64 v[0:1], v[0:1], -v[30:31]
	s_waitcnt lgkmcnt(0)
	v_mul_f64 v[30:31], v[78:79], v[86:87]
	v_mul_f64 v[92:93], v[92:93], v[86:87]
	v_fma_f64 v[30:31], v[76:77], v[28:29], -v[30:31]
	v_mul_f64 v[76:77], v[76:77], v[86:87]
	v_fmac_f64_e32 v[92:93], v[94:95], v[28:29]
	v_fmac_f64_e32 v[76:77], v[78:79], v[28:29]
	v_add_f64 v[2:3], v[2:3], -v[92:93]
	s_waitcnt vmcnt(0)
	v_add_f64 v[72:73], v[72:73], -v[30:31]
	v_add_f64 v[74:75], v[74:75], -v[76:77]
	v_mov_b64_e32 v[30:31], v[86:87]
.LBB36_230:
	s_or_b64 exec, exec, s[0:1]
	v_lshl_add_u32 v76, v89, 4, v88
	s_barrier
	s_waitcnt vmcnt(7)
	ds_write2_b64 v76, v[24:25], v[26:27] offset1:1
	s_waitcnt lgkmcnt(0)
	s_barrier
	ds_read2_b64 v[76:79], v88 offset0:22 offset1:23
	s_cmp_lt_i32 s20, 13
	v_mov_b32_e32 v86, 11
	s_cbranch_scc1 .LBB36_233
; %bb.231:
	v_add_u32_e32 v87, 0xc0, v88
	s_mov_b32 s16, 12
	v_mov_b32_e32 v86, 11
.LBB36_232:                             ; =>This Inner Loop Header: Depth=1
	ds_read2_b64 v[92:95], v87 offset1:1
	s_waitcnt lgkmcnt(1)
	v_xor_b32_e32 v97, 0x80000000, v77
	v_xor_b32_e32 v99, 0x80000000, v79
	v_cmp_gt_f64_e32 vcc, 0, v[78:79]
	v_cmp_gt_f64_e64 s[0:1], 0, v[76:77]
	v_mov_b32_e32 v96, v76
	v_mov_b32_e32 v98, v78
	v_cndmask_b32_e64 v97, v77, v97, s[0:1]
	v_cndmask_b32_e32 v99, v79, v99, vcc
	v_add_f64 v[96:97], v[96:97], v[98:99]
	s_waitcnt lgkmcnt(0)
	v_xor_b32_e32 v99, 0x80000000, v93
	v_xor_b32_e32 v101, 0x80000000, v95
	v_cmp_gt_f64_e32 vcc, 0, v[94:95]
	v_cmp_gt_f64_e64 s[0:1], 0, v[92:93]
	v_mov_b32_e32 v98, v92
	v_mov_b32_e32 v100, v94
	v_cndmask_b32_e64 v99, v93, v99, s[0:1]
	v_cndmask_b32_e32 v101, v95, v101, vcc
	v_add_f64 v[98:99], v[98:99], v[100:101]
	v_mov_b32_e32 v102, s16
	s_add_i32 s16, s16, 1
	v_cmp_lt_f64_e32 vcc, v[96:97], v[98:99]
	v_add_u32_e32 v87, 16, v87
	s_cmp_lg_u32 s20, s16
	v_cndmask_b32_e32 v77, v77, v93, vcc
	v_cndmask_b32_e32 v76, v76, v92, vcc
	;; [unrolled: 1-line block ×5, first 2 shown]
	s_cbranch_scc1 .LBB36_232
.LBB36_233:
	s_waitcnt lgkmcnt(0)
	v_cmp_eq_f64_e32 vcc, 0, v[76:77]
	v_cmp_eq_f64_e64 s[0:1], 0, v[78:79]
	s_and_b64 s[0:1], vcc, s[0:1]
	s_and_saveexec_b64 s[16:17], s[0:1]
	s_xor_b64 s[0:1], exec, s[16:17]
; %bb.234:
	v_cmp_ne_u32_e32 vcc, 0, v91
	s_nop 1
	v_cndmask_b32_e32 v91, 12, v91, vcc
; %bb.235:
	s_andn2_saveexec_b64 s[0:1], s[0:1]
	s_cbranch_execz .LBB36_241
; %bb.236:
	v_cmp_ngt_f64_e64 s[16:17], |v[76:77]|, |v[78:79]|
	s_and_saveexec_b64 s[18:19], s[16:17]
	s_xor_b64 s[16:17], exec, s[18:19]
	s_cbranch_execz .LBB36_238
; %bb.237:
	v_div_scale_f64 v[92:93], s[18:19], v[78:79], v[78:79], v[76:77]
	v_rcp_f64_e32 v[94:95], v[92:93]
	v_div_scale_f64 v[96:97], vcc, v[76:77], v[78:79], v[76:77]
	v_fma_f64 v[98:99], -v[92:93], v[94:95], 1.0
	v_fmac_f64_e32 v[94:95], v[94:95], v[98:99]
	v_fma_f64 v[98:99], -v[92:93], v[94:95], 1.0
	v_fmac_f64_e32 v[94:95], v[94:95], v[98:99]
	v_mul_f64 v[98:99], v[96:97], v[94:95]
	v_fma_f64 v[92:93], -v[92:93], v[98:99], v[96:97]
	v_div_fmas_f64 v[92:93], v[92:93], v[94:95], v[98:99]
	v_div_fixup_f64 v[92:93], v[92:93], v[78:79], v[76:77]
	v_fmac_f64_e32 v[78:79], v[76:77], v[92:93]
	v_div_scale_f64 v[76:77], s[18:19], v[78:79], v[78:79], 1.0
	v_rcp_f64_e32 v[94:95], v[76:77]
	s_nop 0
	v_fma_f64 v[96:97], -v[76:77], v[94:95], 1.0
	v_fmac_f64_e32 v[94:95], v[94:95], v[96:97]
	v_fma_f64 v[96:97], -v[76:77], v[94:95], 1.0
	v_fmac_f64_e32 v[94:95], v[94:95], v[96:97]
	v_div_scale_f64 v[96:97], vcc, 1.0, v[78:79], 1.0
	v_mul_f64 v[98:99], v[96:97], v[94:95]
	v_fma_f64 v[76:77], -v[76:77], v[98:99], v[96:97]
	s_nop 1
	v_div_fmas_f64 v[76:77], v[76:77], v[94:95], v[98:99]
	v_div_fixup_f64 v[78:79], v[76:77], v[78:79], 1.0
	v_mul_f64 v[76:77], v[92:93], v[78:79]
	v_xor_b32_e32 v79, 0x80000000, v79
.LBB36_238:
	s_andn2_saveexec_b64 s[16:17], s[16:17]
	s_cbranch_execz .LBB36_240
; %bb.239:
	v_div_scale_f64 v[92:93], s[18:19], v[76:77], v[76:77], v[78:79]
	v_rcp_f64_e32 v[94:95], v[92:93]
	v_div_scale_f64 v[96:97], vcc, v[78:79], v[76:77], v[78:79]
	v_fma_f64 v[98:99], -v[92:93], v[94:95], 1.0
	v_fmac_f64_e32 v[94:95], v[94:95], v[98:99]
	v_fma_f64 v[98:99], -v[92:93], v[94:95], 1.0
	v_fmac_f64_e32 v[94:95], v[94:95], v[98:99]
	v_mul_f64 v[98:99], v[96:97], v[94:95]
	v_fma_f64 v[92:93], -v[92:93], v[98:99], v[96:97]
	v_div_fmas_f64 v[92:93], v[92:93], v[94:95], v[98:99]
	v_div_fixup_f64 v[92:93], v[92:93], v[76:77], v[78:79]
	v_fmac_f64_e32 v[76:77], v[78:79], v[92:93]
	v_div_scale_f64 v[78:79], s[18:19], v[76:77], v[76:77], 1.0
	v_rcp_f64_e32 v[94:95], v[78:79]
	s_nop 0
	v_fma_f64 v[96:97], -v[78:79], v[94:95], 1.0
	v_fmac_f64_e32 v[94:95], v[94:95], v[96:97]
	v_fma_f64 v[96:97], -v[78:79], v[94:95], 1.0
	v_fmac_f64_e32 v[94:95], v[94:95], v[96:97]
	v_div_scale_f64 v[96:97], vcc, 1.0, v[76:77], 1.0
	v_mul_f64 v[98:99], v[96:97], v[94:95]
	v_fma_f64 v[78:79], -v[78:79], v[98:99], v[96:97]
	s_nop 1
	v_div_fmas_f64 v[78:79], v[78:79], v[94:95], v[98:99]
	v_div_fixup_f64 v[76:77], v[78:79], v[76:77], 1.0
	v_mul_f64 v[78:79], v[92:93], -v[76:77]
.LBB36_240:
	s_or_b64 exec, exec, s[16:17]
.LBB36_241:
	s_or_b64 exec, exec, s[0:1]
	v_cmp_ne_u32_e32 vcc, v89, v86
	s_and_saveexec_b64 s[0:1], vcc
	s_xor_b64 s[0:1], exec, s[0:1]
	s_cbranch_execz .LBB36_247
; %bb.242:
	v_cmp_eq_u32_e32 vcc, 11, v89
	s_and_saveexec_b64 s[16:17], vcc
	s_cbranch_execz .LBB36_246
; %bb.243:
	v_cmp_ne_u32_e32 vcc, 11, v86
	s_xor_b64 s[18:19], s[14:15], -1
	s_and_b64 s[22:23], s[18:19], vcc
	s_and_saveexec_b64 s[18:19], s[22:23]
	s_cbranch_execz .LBB36_245
; %bb.244:
	v_ashrrev_i32_e32 v87, 31, v86
	v_lshl_add_u64 v[92:93], v[86:87], 2, v[84:85]
	global_load_dword v87, v[92:93], off
	global_load_dword v89, v[84:85], off offset:44
	s_waitcnt vmcnt(1)
	global_store_dword v[84:85], v87, off offset:44
	s_waitcnt vmcnt(1)
	global_store_dword v[92:93], v89, off
.LBB36_245:
	s_or_b64 exec, exec, s[18:19]
	v_mov_b32_e32 v89, v86
	v_mov_b32_e32 v90, v86
.LBB36_246:
	s_or_b64 exec, exec, s[16:17]
.LBB36_247:
	s_andn2_saveexec_b64 s[0:1], s[0:1]
	s_cbranch_execz .LBB36_249
; %bb.248:
	v_mov_b32_e32 v89, 11
	s_waitcnt vmcnt(6)
	ds_write2_b64 v88, v[20:21], v[22:23] offset0:24 offset1:25
	s_waitcnt vmcnt(5)
	ds_write2_b64 v88, v[16:17], v[18:19] offset0:26 offset1:27
	;; [unrolled: 2-line block ×7, first 2 shown]
.LBB36_249:
	s_or_b64 exec, exec, s[0:1]
	v_cmp_lt_i32_e32 vcc, 11, v89
	s_waitcnt lgkmcnt(0)
	s_barrier
	s_and_saveexec_b64 s[0:1], vcc
	s_cbranch_execz .LBB36_251
; %bb.250:
	ds_read2_b64 v[92:95], v88 offset0:24 offset1:25
	v_mul_f64 v[86:87], v[76:77], v[26:27]
	v_fmac_f64_e32 v[86:87], v[78:79], v[24:25]
	v_mul_f64 v[26:27], v[78:79], v[26:27]
	v_fma_f64 v[24:25], v[76:77], v[24:25], -v[26:27]
	ds_read2_b64 v[76:79], v88 offset0:26 offset1:27
	s_waitcnt lgkmcnt(1)
	v_mul_f64 v[26:27], v[94:95], v[86:87]
	v_fma_f64 v[26:27], v[92:93], v[24:25], -v[26:27]
	v_mul_f64 v[92:93], v[92:93], v[86:87]
	v_fmac_f64_e32 v[92:93], v[94:95], v[24:25]
	s_waitcnt vmcnt(6)
	v_add_f64 v[22:23], v[22:23], -v[92:93]
	ds_read2_b64 v[92:95], v88 offset0:28 offset1:29
	v_add_f64 v[20:21], v[20:21], -v[26:27]
	s_waitcnt lgkmcnt(1)
	v_mul_f64 v[26:27], v[78:79], v[86:87]
	v_fma_f64 v[26:27], v[76:77], v[24:25], -v[26:27]
	v_mul_f64 v[76:77], v[76:77], v[86:87]
	v_fmac_f64_e32 v[76:77], v[78:79], v[24:25]
	s_waitcnt vmcnt(5)
	v_add_f64 v[16:17], v[16:17], -v[26:27]
	v_add_f64 v[18:19], v[18:19], -v[76:77]
	ds_read2_b64 v[76:79], v88 offset0:30 offset1:31
	s_waitcnt lgkmcnt(1)
	v_mul_f64 v[26:27], v[94:95], v[86:87]
	v_fma_f64 v[26:27], v[92:93], v[24:25], -v[26:27]
	v_mul_f64 v[92:93], v[92:93], v[86:87]
	v_fmac_f64_e32 v[92:93], v[94:95], v[24:25]
	s_waitcnt vmcnt(4)
	v_add_f64 v[14:15], v[14:15], -v[92:93]
	ds_read2_b64 v[92:95], v88 offset0:32 offset1:33
	v_add_f64 v[12:13], v[12:13], -v[26:27]
	s_waitcnt lgkmcnt(1)
	v_mul_f64 v[26:27], v[78:79], v[86:87]
	v_fma_f64 v[26:27], v[76:77], v[24:25], -v[26:27]
	v_mul_f64 v[76:77], v[76:77], v[86:87]
	v_fmac_f64_e32 v[76:77], v[78:79], v[24:25]
	s_waitcnt vmcnt(3)
	v_add_f64 v[8:9], v[8:9], -v[26:27]
	v_add_f64 v[10:11], v[10:11], -v[76:77]
	;; [unrolled: 18-line block ×3, first 2 shown]
	s_waitcnt lgkmcnt(0)
	v_mul_f64 v[26:27], v[94:95], v[86:87]
	v_mul_f64 v[76:77], v[92:93], v[86:87]
	v_fma_f64 v[26:27], v[92:93], v[24:25], -v[26:27]
	v_fmac_f64_e32 v[76:77], v[94:95], v[24:25]
	s_waitcnt vmcnt(0)
	v_add_f64 v[72:73], v[72:73], -v[26:27]
	v_add_f64 v[74:75], v[74:75], -v[76:77]
	v_mov_b64_e32 v[26:27], v[86:87]
.LBB36_251:
	s_or_b64 exec, exec, s[0:1]
	v_lshl_add_u32 v76, v89, 4, v88
	s_barrier
	s_waitcnt vmcnt(6)
	ds_write2_b64 v76, v[20:21], v[22:23] offset1:1
	s_waitcnt lgkmcnt(0)
	s_barrier
	ds_read2_b64 v[76:79], v88 offset0:24 offset1:25
	s_cmp_lt_i32 s20, 14
	v_mov_b32_e32 v86, 12
	s_cbranch_scc1 .LBB36_254
; %bb.252:
	v_add_u32_e32 v87, 0xd0, v88
	s_mov_b32 s16, 13
	v_mov_b32_e32 v86, 12
.LBB36_253:                             ; =>This Inner Loop Header: Depth=1
	ds_read2_b64 v[92:95], v87 offset1:1
	s_waitcnt lgkmcnt(1)
	v_xor_b32_e32 v97, 0x80000000, v77
	v_xor_b32_e32 v99, 0x80000000, v79
	v_cmp_gt_f64_e32 vcc, 0, v[78:79]
	v_cmp_gt_f64_e64 s[0:1], 0, v[76:77]
	v_mov_b32_e32 v96, v76
	v_mov_b32_e32 v98, v78
	v_cndmask_b32_e64 v97, v77, v97, s[0:1]
	v_cndmask_b32_e32 v99, v79, v99, vcc
	v_add_f64 v[96:97], v[96:97], v[98:99]
	s_waitcnt lgkmcnt(0)
	v_xor_b32_e32 v99, 0x80000000, v93
	v_xor_b32_e32 v101, 0x80000000, v95
	v_cmp_gt_f64_e32 vcc, 0, v[94:95]
	v_cmp_gt_f64_e64 s[0:1], 0, v[92:93]
	v_mov_b32_e32 v98, v92
	v_mov_b32_e32 v100, v94
	v_cndmask_b32_e64 v99, v93, v99, s[0:1]
	v_cndmask_b32_e32 v101, v95, v101, vcc
	v_add_f64 v[98:99], v[98:99], v[100:101]
	v_mov_b32_e32 v102, s16
	s_add_i32 s16, s16, 1
	v_cmp_lt_f64_e32 vcc, v[96:97], v[98:99]
	v_add_u32_e32 v87, 16, v87
	s_cmp_lg_u32 s20, s16
	v_cndmask_b32_e32 v77, v77, v93, vcc
	v_cndmask_b32_e32 v76, v76, v92, vcc
	v_cndmask_b32_e32 v79, v79, v95, vcc
	v_cndmask_b32_e32 v78, v78, v94, vcc
	v_cndmask_b32_e32 v86, v86, v102, vcc
	s_cbranch_scc1 .LBB36_253
.LBB36_254:
	s_waitcnt lgkmcnt(0)
	v_cmp_eq_f64_e32 vcc, 0, v[76:77]
	v_cmp_eq_f64_e64 s[0:1], 0, v[78:79]
	s_and_b64 s[0:1], vcc, s[0:1]
	s_and_saveexec_b64 s[16:17], s[0:1]
	s_xor_b64 s[0:1], exec, s[16:17]
; %bb.255:
	v_cmp_ne_u32_e32 vcc, 0, v91
	s_nop 1
	v_cndmask_b32_e32 v91, 13, v91, vcc
; %bb.256:
	s_andn2_saveexec_b64 s[0:1], s[0:1]
	s_cbranch_execz .LBB36_262
; %bb.257:
	v_cmp_ngt_f64_e64 s[16:17], |v[76:77]|, |v[78:79]|
	s_and_saveexec_b64 s[18:19], s[16:17]
	s_xor_b64 s[16:17], exec, s[18:19]
	s_cbranch_execz .LBB36_259
; %bb.258:
	v_div_scale_f64 v[92:93], s[18:19], v[78:79], v[78:79], v[76:77]
	v_rcp_f64_e32 v[94:95], v[92:93]
	v_div_scale_f64 v[96:97], vcc, v[76:77], v[78:79], v[76:77]
	v_fma_f64 v[98:99], -v[92:93], v[94:95], 1.0
	v_fmac_f64_e32 v[94:95], v[94:95], v[98:99]
	v_fma_f64 v[98:99], -v[92:93], v[94:95], 1.0
	v_fmac_f64_e32 v[94:95], v[94:95], v[98:99]
	v_mul_f64 v[98:99], v[96:97], v[94:95]
	v_fma_f64 v[92:93], -v[92:93], v[98:99], v[96:97]
	v_div_fmas_f64 v[92:93], v[92:93], v[94:95], v[98:99]
	v_div_fixup_f64 v[92:93], v[92:93], v[78:79], v[76:77]
	v_fmac_f64_e32 v[78:79], v[76:77], v[92:93]
	v_div_scale_f64 v[76:77], s[18:19], v[78:79], v[78:79], 1.0
	v_rcp_f64_e32 v[94:95], v[76:77]
	s_nop 0
	v_fma_f64 v[96:97], -v[76:77], v[94:95], 1.0
	v_fmac_f64_e32 v[94:95], v[94:95], v[96:97]
	v_fma_f64 v[96:97], -v[76:77], v[94:95], 1.0
	v_fmac_f64_e32 v[94:95], v[94:95], v[96:97]
	v_div_scale_f64 v[96:97], vcc, 1.0, v[78:79], 1.0
	v_mul_f64 v[98:99], v[96:97], v[94:95]
	v_fma_f64 v[76:77], -v[76:77], v[98:99], v[96:97]
	s_nop 1
	v_div_fmas_f64 v[76:77], v[76:77], v[94:95], v[98:99]
	v_div_fixup_f64 v[78:79], v[76:77], v[78:79], 1.0
	v_mul_f64 v[76:77], v[92:93], v[78:79]
	v_xor_b32_e32 v79, 0x80000000, v79
.LBB36_259:
	s_andn2_saveexec_b64 s[16:17], s[16:17]
	s_cbranch_execz .LBB36_261
; %bb.260:
	v_div_scale_f64 v[92:93], s[18:19], v[76:77], v[76:77], v[78:79]
	v_rcp_f64_e32 v[94:95], v[92:93]
	v_div_scale_f64 v[96:97], vcc, v[78:79], v[76:77], v[78:79]
	v_fma_f64 v[98:99], -v[92:93], v[94:95], 1.0
	v_fmac_f64_e32 v[94:95], v[94:95], v[98:99]
	v_fma_f64 v[98:99], -v[92:93], v[94:95], 1.0
	v_fmac_f64_e32 v[94:95], v[94:95], v[98:99]
	v_mul_f64 v[98:99], v[96:97], v[94:95]
	v_fma_f64 v[92:93], -v[92:93], v[98:99], v[96:97]
	v_div_fmas_f64 v[92:93], v[92:93], v[94:95], v[98:99]
	v_div_fixup_f64 v[92:93], v[92:93], v[76:77], v[78:79]
	v_fmac_f64_e32 v[76:77], v[78:79], v[92:93]
	v_div_scale_f64 v[78:79], s[18:19], v[76:77], v[76:77], 1.0
	v_rcp_f64_e32 v[94:95], v[78:79]
	s_nop 0
	v_fma_f64 v[96:97], -v[78:79], v[94:95], 1.0
	v_fmac_f64_e32 v[94:95], v[94:95], v[96:97]
	v_fma_f64 v[96:97], -v[78:79], v[94:95], 1.0
	v_fmac_f64_e32 v[94:95], v[94:95], v[96:97]
	v_div_scale_f64 v[96:97], vcc, 1.0, v[76:77], 1.0
	v_mul_f64 v[98:99], v[96:97], v[94:95]
	v_fma_f64 v[78:79], -v[78:79], v[98:99], v[96:97]
	s_nop 1
	v_div_fmas_f64 v[78:79], v[78:79], v[94:95], v[98:99]
	v_div_fixup_f64 v[76:77], v[78:79], v[76:77], 1.0
	v_mul_f64 v[78:79], v[92:93], -v[76:77]
.LBB36_261:
	s_or_b64 exec, exec, s[16:17]
.LBB36_262:
	s_or_b64 exec, exec, s[0:1]
	v_cmp_ne_u32_e32 vcc, v89, v86
	s_and_saveexec_b64 s[0:1], vcc
	s_xor_b64 s[0:1], exec, s[0:1]
	s_cbranch_execz .LBB36_268
; %bb.263:
	v_cmp_eq_u32_e32 vcc, 12, v89
	s_and_saveexec_b64 s[16:17], vcc
	s_cbranch_execz .LBB36_267
; %bb.264:
	v_cmp_ne_u32_e32 vcc, 12, v86
	s_xor_b64 s[18:19], s[14:15], -1
	s_and_b64 s[22:23], s[18:19], vcc
	s_and_saveexec_b64 s[18:19], s[22:23]
	s_cbranch_execz .LBB36_266
; %bb.265:
	v_ashrrev_i32_e32 v87, 31, v86
	v_lshl_add_u64 v[92:93], v[86:87], 2, v[84:85]
	global_load_dword v87, v[92:93], off
	global_load_dword v89, v[84:85], off offset:48
	s_waitcnt vmcnt(1)
	global_store_dword v[84:85], v87, off offset:48
	s_waitcnt vmcnt(1)
	global_store_dword v[92:93], v89, off
.LBB36_266:
	s_or_b64 exec, exec, s[18:19]
	v_mov_b32_e32 v89, v86
	v_mov_b32_e32 v90, v86
.LBB36_267:
	s_or_b64 exec, exec, s[16:17]
.LBB36_268:
	s_andn2_saveexec_b64 s[0:1], s[0:1]
	s_cbranch_execz .LBB36_270
; %bb.269:
	v_mov_b32_e32 v89, 12
	s_waitcnt vmcnt(5)
	ds_write2_b64 v88, v[16:17], v[18:19] offset0:26 offset1:27
	s_waitcnt vmcnt(4)
	ds_write2_b64 v88, v[12:13], v[14:15] offset0:28 offset1:29
	;; [unrolled: 2-line block ×6, first 2 shown]
.LBB36_270:
	s_or_b64 exec, exec, s[0:1]
	v_cmp_lt_i32_e32 vcc, 12, v89
	s_waitcnt lgkmcnt(0)
	s_barrier
	s_and_saveexec_b64 s[0:1], vcc
	s_cbranch_execz .LBB36_272
; %bb.271:
	ds_read2_b64 v[92:95], v88 offset0:26 offset1:27
	v_mul_f64 v[86:87], v[76:77], v[22:23]
	v_mul_f64 v[22:23], v[78:79], v[22:23]
	v_fmac_f64_e32 v[86:87], v[78:79], v[20:21]
	v_fma_f64 v[20:21], v[76:77], v[20:21], -v[22:23]
	ds_read2_b64 v[76:79], v88 offset0:28 offset1:29
	s_waitcnt lgkmcnt(1)
	v_mul_f64 v[22:23], v[94:95], v[86:87]
	v_fma_f64 v[22:23], v[92:93], v[20:21], -v[22:23]
	v_mul_f64 v[92:93], v[92:93], v[86:87]
	v_fmac_f64_e32 v[92:93], v[94:95], v[20:21]
	s_waitcnt vmcnt(5)
	v_add_f64 v[16:17], v[16:17], -v[22:23]
	s_waitcnt lgkmcnt(0)
	v_mul_f64 v[22:23], v[78:79], v[86:87]
	v_add_f64 v[18:19], v[18:19], -v[92:93]
	v_fma_f64 v[22:23], v[76:77], v[20:21], -v[22:23]
	v_mul_f64 v[76:77], v[76:77], v[86:87]
	ds_read2_b64 v[92:95], v88 offset0:30 offset1:31
	v_fmac_f64_e32 v[76:77], v[78:79], v[20:21]
	s_waitcnt vmcnt(4)
	v_add_f64 v[14:15], v[14:15], -v[76:77]
	ds_read2_b64 v[76:79], v88 offset0:32 offset1:33
	v_add_f64 v[12:13], v[12:13], -v[22:23]
	s_waitcnt lgkmcnt(1)
	v_mul_f64 v[22:23], v[94:95], v[86:87]
	v_fma_f64 v[22:23], v[92:93], v[20:21], -v[22:23]
	v_mul_f64 v[92:93], v[92:93], v[86:87]
	v_fmac_f64_e32 v[92:93], v[94:95], v[20:21]
	s_waitcnt vmcnt(3)
	v_add_f64 v[8:9], v[8:9], -v[22:23]
	s_waitcnt lgkmcnt(0)
	v_mul_f64 v[22:23], v[78:79], v[86:87]
	v_add_f64 v[10:11], v[10:11], -v[92:93]
	v_fma_f64 v[22:23], v[76:77], v[20:21], -v[22:23]
	v_mul_f64 v[76:77], v[76:77], v[86:87]
	ds_read2_b64 v[92:95], v88 offset0:34 offset1:35
	v_fmac_f64_e32 v[76:77], v[78:79], v[20:21]
	s_waitcnt vmcnt(2)
	v_add_f64 v[6:7], v[6:7], -v[76:77]
	ds_read2_b64 v[76:79], v88 offset0:36 offset1:37
	v_add_f64 v[4:5], v[4:5], -v[22:23]
	s_waitcnt lgkmcnt(1)
	v_mul_f64 v[22:23], v[94:95], v[86:87]
	v_fma_f64 v[22:23], v[92:93], v[20:21], -v[22:23]
	s_waitcnt vmcnt(1)
	v_add_f64 v[0:1], v[0:1], -v[22:23]
	s_waitcnt lgkmcnt(0)
	v_mul_f64 v[22:23], v[78:79], v[86:87]
	v_mul_f64 v[92:93], v[92:93], v[86:87]
	v_fma_f64 v[22:23], v[76:77], v[20:21], -v[22:23]
	v_mul_f64 v[76:77], v[76:77], v[86:87]
	v_fmac_f64_e32 v[92:93], v[94:95], v[20:21]
	v_fmac_f64_e32 v[76:77], v[78:79], v[20:21]
	v_add_f64 v[2:3], v[2:3], -v[92:93]
	s_waitcnt vmcnt(0)
	v_add_f64 v[72:73], v[72:73], -v[22:23]
	v_add_f64 v[74:75], v[74:75], -v[76:77]
	v_mov_b64_e32 v[22:23], v[86:87]
.LBB36_272:
	s_or_b64 exec, exec, s[0:1]
	v_lshl_add_u32 v76, v89, 4, v88
	s_barrier
	s_waitcnt vmcnt(5)
	ds_write2_b64 v76, v[16:17], v[18:19] offset1:1
	s_waitcnt lgkmcnt(0)
	s_barrier
	ds_read2_b64 v[76:79], v88 offset0:26 offset1:27
	s_cmp_lt_i32 s20, 15
	v_mov_b32_e32 v86, 13
	s_cbranch_scc1 .LBB36_275
; %bb.273:
	v_add_u32_e32 v87, 0xe0, v88
	s_mov_b32 s16, 14
	v_mov_b32_e32 v86, 13
.LBB36_274:                             ; =>This Inner Loop Header: Depth=1
	ds_read2_b64 v[92:95], v87 offset1:1
	s_waitcnt lgkmcnt(1)
	v_xor_b32_e32 v97, 0x80000000, v77
	v_xor_b32_e32 v99, 0x80000000, v79
	v_cmp_gt_f64_e32 vcc, 0, v[78:79]
	v_cmp_gt_f64_e64 s[0:1], 0, v[76:77]
	v_mov_b32_e32 v96, v76
	v_mov_b32_e32 v98, v78
	v_cndmask_b32_e64 v97, v77, v97, s[0:1]
	v_cndmask_b32_e32 v99, v79, v99, vcc
	v_add_f64 v[96:97], v[96:97], v[98:99]
	s_waitcnt lgkmcnt(0)
	v_xor_b32_e32 v99, 0x80000000, v93
	v_xor_b32_e32 v101, 0x80000000, v95
	v_cmp_gt_f64_e32 vcc, 0, v[94:95]
	v_cmp_gt_f64_e64 s[0:1], 0, v[92:93]
	v_mov_b32_e32 v98, v92
	v_mov_b32_e32 v100, v94
	v_cndmask_b32_e64 v99, v93, v99, s[0:1]
	v_cndmask_b32_e32 v101, v95, v101, vcc
	v_add_f64 v[98:99], v[98:99], v[100:101]
	v_mov_b32_e32 v102, s16
	s_add_i32 s16, s16, 1
	v_cmp_lt_f64_e32 vcc, v[96:97], v[98:99]
	v_add_u32_e32 v87, 16, v87
	s_cmp_lg_u32 s20, s16
	v_cndmask_b32_e32 v77, v77, v93, vcc
	v_cndmask_b32_e32 v76, v76, v92, vcc
	;; [unrolled: 1-line block ×5, first 2 shown]
	s_cbranch_scc1 .LBB36_274
.LBB36_275:
	s_waitcnt lgkmcnt(0)
	v_cmp_eq_f64_e32 vcc, 0, v[76:77]
	v_cmp_eq_f64_e64 s[0:1], 0, v[78:79]
	s_and_b64 s[0:1], vcc, s[0:1]
	s_and_saveexec_b64 s[16:17], s[0:1]
	s_xor_b64 s[0:1], exec, s[16:17]
; %bb.276:
	v_cmp_ne_u32_e32 vcc, 0, v91
	s_nop 1
	v_cndmask_b32_e32 v91, 14, v91, vcc
; %bb.277:
	s_andn2_saveexec_b64 s[0:1], s[0:1]
	s_cbranch_execz .LBB36_283
; %bb.278:
	v_cmp_ngt_f64_e64 s[16:17], |v[76:77]|, |v[78:79]|
	s_and_saveexec_b64 s[18:19], s[16:17]
	s_xor_b64 s[16:17], exec, s[18:19]
	s_cbranch_execz .LBB36_280
; %bb.279:
	v_div_scale_f64 v[92:93], s[18:19], v[78:79], v[78:79], v[76:77]
	v_rcp_f64_e32 v[94:95], v[92:93]
	v_div_scale_f64 v[96:97], vcc, v[76:77], v[78:79], v[76:77]
	v_fma_f64 v[98:99], -v[92:93], v[94:95], 1.0
	v_fmac_f64_e32 v[94:95], v[94:95], v[98:99]
	v_fma_f64 v[98:99], -v[92:93], v[94:95], 1.0
	v_fmac_f64_e32 v[94:95], v[94:95], v[98:99]
	v_mul_f64 v[98:99], v[96:97], v[94:95]
	v_fma_f64 v[92:93], -v[92:93], v[98:99], v[96:97]
	v_div_fmas_f64 v[92:93], v[92:93], v[94:95], v[98:99]
	v_div_fixup_f64 v[92:93], v[92:93], v[78:79], v[76:77]
	v_fmac_f64_e32 v[78:79], v[76:77], v[92:93]
	v_div_scale_f64 v[76:77], s[18:19], v[78:79], v[78:79], 1.0
	v_rcp_f64_e32 v[94:95], v[76:77]
	s_nop 0
	v_fma_f64 v[96:97], -v[76:77], v[94:95], 1.0
	v_fmac_f64_e32 v[94:95], v[94:95], v[96:97]
	v_fma_f64 v[96:97], -v[76:77], v[94:95], 1.0
	v_fmac_f64_e32 v[94:95], v[94:95], v[96:97]
	v_div_scale_f64 v[96:97], vcc, 1.0, v[78:79], 1.0
	v_mul_f64 v[98:99], v[96:97], v[94:95]
	v_fma_f64 v[76:77], -v[76:77], v[98:99], v[96:97]
	s_nop 1
	v_div_fmas_f64 v[76:77], v[76:77], v[94:95], v[98:99]
	v_div_fixup_f64 v[78:79], v[76:77], v[78:79], 1.0
	v_mul_f64 v[76:77], v[92:93], v[78:79]
	v_xor_b32_e32 v79, 0x80000000, v79
.LBB36_280:
	s_andn2_saveexec_b64 s[16:17], s[16:17]
	s_cbranch_execz .LBB36_282
; %bb.281:
	v_div_scale_f64 v[92:93], s[18:19], v[76:77], v[76:77], v[78:79]
	v_rcp_f64_e32 v[94:95], v[92:93]
	v_div_scale_f64 v[96:97], vcc, v[78:79], v[76:77], v[78:79]
	v_fma_f64 v[98:99], -v[92:93], v[94:95], 1.0
	v_fmac_f64_e32 v[94:95], v[94:95], v[98:99]
	v_fma_f64 v[98:99], -v[92:93], v[94:95], 1.0
	v_fmac_f64_e32 v[94:95], v[94:95], v[98:99]
	v_mul_f64 v[98:99], v[96:97], v[94:95]
	v_fma_f64 v[92:93], -v[92:93], v[98:99], v[96:97]
	v_div_fmas_f64 v[92:93], v[92:93], v[94:95], v[98:99]
	v_div_fixup_f64 v[92:93], v[92:93], v[76:77], v[78:79]
	v_fmac_f64_e32 v[76:77], v[78:79], v[92:93]
	v_div_scale_f64 v[78:79], s[18:19], v[76:77], v[76:77], 1.0
	v_rcp_f64_e32 v[94:95], v[78:79]
	s_nop 0
	v_fma_f64 v[96:97], -v[78:79], v[94:95], 1.0
	v_fmac_f64_e32 v[94:95], v[94:95], v[96:97]
	v_fma_f64 v[96:97], -v[78:79], v[94:95], 1.0
	v_fmac_f64_e32 v[94:95], v[94:95], v[96:97]
	v_div_scale_f64 v[96:97], vcc, 1.0, v[76:77], 1.0
	v_mul_f64 v[98:99], v[96:97], v[94:95]
	v_fma_f64 v[78:79], -v[78:79], v[98:99], v[96:97]
	s_nop 1
	v_div_fmas_f64 v[78:79], v[78:79], v[94:95], v[98:99]
	v_div_fixup_f64 v[76:77], v[78:79], v[76:77], 1.0
	v_mul_f64 v[78:79], v[92:93], -v[76:77]
.LBB36_282:
	s_or_b64 exec, exec, s[16:17]
.LBB36_283:
	s_or_b64 exec, exec, s[0:1]
	v_cmp_ne_u32_e32 vcc, v89, v86
	s_and_saveexec_b64 s[0:1], vcc
	s_xor_b64 s[0:1], exec, s[0:1]
	s_cbranch_execz .LBB36_289
; %bb.284:
	v_cmp_eq_u32_e32 vcc, 13, v89
	s_and_saveexec_b64 s[16:17], vcc
	s_cbranch_execz .LBB36_288
; %bb.285:
	v_cmp_ne_u32_e32 vcc, 13, v86
	s_xor_b64 s[18:19], s[14:15], -1
	s_and_b64 s[22:23], s[18:19], vcc
	s_and_saveexec_b64 s[18:19], s[22:23]
	s_cbranch_execz .LBB36_287
; %bb.286:
	v_ashrrev_i32_e32 v87, 31, v86
	v_lshl_add_u64 v[92:93], v[86:87], 2, v[84:85]
	global_load_dword v87, v[92:93], off
	global_load_dword v89, v[84:85], off offset:52
	s_waitcnt vmcnt(1)
	global_store_dword v[84:85], v87, off offset:52
	s_waitcnt vmcnt(1)
	global_store_dword v[92:93], v89, off
.LBB36_287:
	s_or_b64 exec, exec, s[18:19]
	v_mov_b32_e32 v89, v86
	v_mov_b32_e32 v90, v86
.LBB36_288:
	s_or_b64 exec, exec, s[16:17]
.LBB36_289:
	s_andn2_saveexec_b64 s[0:1], s[0:1]
	s_cbranch_execz .LBB36_291
; %bb.290:
	v_mov_b32_e32 v89, 13
	s_waitcnt vmcnt(4)
	ds_write2_b64 v88, v[12:13], v[14:15] offset0:28 offset1:29
	s_waitcnt vmcnt(3)
	ds_write2_b64 v88, v[8:9], v[10:11] offset0:30 offset1:31
	;; [unrolled: 2-line block ×5, first 2 shown]
.LBB36_291:
	s_or_b64 exec, exec, s[0:1]
	v_cmp_lt_i32_e32 vcc, 13, v89
	s_waitcnt lgkmcnt(0)
	s_barrier
	s_and_saveexec_b64 s[0:1], vcc
	s_cbranch_execz .LBB36_293
; %bb.292:
	ds_read2_b64 v[92:95], v88 offset0:28 offset1:29
	v_mul_f64 v[86:87], v[76:77], v[18:19]
	v_fmac_f64_e32 v[86:87], v[78:79], v[16:17]
	v_mul_f64 v[18:19], v[78:79], v[18:19]
	v_fma_f64 v[16:17], v[76:77], v[16:17], -v[18:19]
	ds_read2_b64 v[76:79], v88 offset0:30 offset1:31
	s_waitcnt lgkmcnt(1)
	v_mul_f64 v[18:19], v[94:95], v[86:87]
	v_fma_f64 v[18:19], v[92:93], v[16:17], -v[18:19]
	v_mul_f64 v[92:93], v[92:93], v[86:87]
	v_fmac_f64_e32 v[92:93], v[94:95], v[16:17]
	s_waitcnt vmcnt(4)
	v_add_f64 v[14:15], v[14:15], -v[92:93]
	ds_read2_b64 v[92:95], v88 offset0:32 offset1:33
	v_add_f64 v[12:13], v[12:13], -v[18:19]
	s_waitcnt lgkmcnt(1)
	v_mul_f64 v[18:19], v[78:79], v[86:87]
	v_fma_f64 v[18:19], v[76:77], v[16:17], -v[18:19]
	v_mul_f64 v[76:77], v[76:77], v[86:87]
	v_fmac_f64_e32 v[76:77], v[78:79], v[16:17]
	s_waitcnt vmcnt(3)
	v_add_f64 v[8:9], v[8:9], -v[18:19]
	v_add_f64 v[10:11], v[10:11], -v[76:77]
	ds_read2_b64 v[76:79], v88 offset0:34 offset1:35
	s_waitcnt lgkmcnt(1)
	v_mul_f64 v[18:19], v[94:95], v[86:87]
	v_fma_f64 v[18:19], v[92:93], v[16:17], -v[18:19]
	v_mul_f64 v[92:93], v[92:93], v[86:87]
	v_fmac_f64_e32 v[92:93], v[94:95], v[16:17]
	s_waitcnt vmcnt(2)
	v_add_f64 v[6:7], v[6:7], -v[92:93]
	ds_read2_b64 v[92:95], v88 offset0:36 offset1:37
	v_add_f64 v[4:5], v[4:5], -v[18:19]
	s_waitcnt lgkmcnt(1)
	v_mul_f64 v[18:19], v[78:79], v[86:87]
	v_fma_f64 v[18:19], v[76:77], v[16:17], -v[18:19]
	v_mul_f64 v[76:77], v[76:77], v[86:87]
	v_fmac_f64_e32 v[76:77], v[78:79], v[16:17]
	s_waitcnt vmcnt(1)
	v_add_f64 v[0:1], v[0:1], -v[18:19]
	v_add_f64 v[2:3], v[2:3], -v[76:77]
	s_waitcnt lgkmcnt(0)
	v_mul_f64 v[18:19], v[94:95], v[86:87]
	v_mul_f64 v[76:77], v[92:93], v[86:87]
	v_fma_f64 v[18:19], v[92:93], v[16:17], -v[18:19]
	v_fmac_f64_e32 v[76:77], v[94:95], v[16:17]
	s_waitcnt vmcnt(0)
	v_add_f64 v[72:73], v[72:73], -v[18:19]
	v_add_f64 v[74:75], v[74:75], -v[76:77]
	v_mov_b64_e32 v[18:19], v[86:87]
.LBB36_293:
	s_or_b64 exec, exec, s[0:1]
	v_lshl_add_u32 v76, v89, 4, v88
	s_barrier
	s_waitcnt vmcnt(4)
	ds_write2_b64 v76, v[12:13], v[14:15] offset1:1
	s_waitcnt lgkmcnt(0)
	s_barrier
	ds_read2_b64 v[76:79], v88 offset0:28 offset1:29
	s_cmp_lt_i32 s20, 16
	v_mov_b32_e32 v86, 14
	s_cbranch_scc1 .LBB36_296
; %bb.294:
	v_add_u32_e32 v87, 0xf0, v88
	s_mov_b32 s16, 15
	v_mov_b32_e32 v86, 14
.LBB36_295:                             ; =>This Inner Loop Header: Depth=1
	ds_read2_b64 v[92:95], v87 offset1:1
	s_waitcnt lgkmcnt(1)
	v_xor_b32_e32 v97, 0x80000000, v77
	v_xor_b32_e32 v99, 0x80000000, v79
	v_cmp_gt_f64_e32 vcc, 0, v[78:79]
	v_cmp_gt_f64_e64 s[0:1], 0, v[76:77]
	v_mov_b32_e32 v96, v76
	v_mov_b32_e32 v98, v78
	v_cndmask_b32_e64 v97, v77, v97, s[0:1]
	v_cndmask_b32_e32 v99, v79, v99, vcc
	v_add_f64 v[96:97], v[96:97], v[98:99]
	s_waitcnt lgkmcnt(0)
	v_xor_b32_e32 v99, 0x80000000, v93
	v_xor_b32_e32 v101, 0x80000000, v95
	v_cmp_gt_f64_e32 vcc, 0, v[94:95]
	v_cmp_gt_f64_e64 s[0:1], 0, v[92:93]
	v_mov_b32_e32 v98, v92
	v_mov_b32_e32 v100, v94
	v_cndmask_b32_e64 v99, v93, v99, s[0:1]
	v_cndmask_b32_e32 v101, v95, v101, vcc
	v_add_f64 v[98:99], v[98:99], v[100:101]
	v_mov_b32_e32 v102, s16
	s_add_i32 s16, s16, 1
	v_cmp_lt_f64_e32 vcc, v[96:97], v[98:99]
	v_add_u32_e32 v87, 16, v87
	s_cmp_lg_u32 s20, s16
	v_cndmask_b32_e32 v77, v77, v93, vcc
	v_cndmask_b32_e32 v76, v76, v92, vcc
	;; [unrolled: 1-line block ×5, first 2 shown]
	s_cbranch_scc1 .LBB36_295
.LBB36_296:
	s_waitcnt lgkmcnt(0)
	v_cmp_eq_f64_e32 vcc, 0, v[76:77]
	v_cmp_eq_f64_e64 s[0:1], 0, v[78:79]
	s_and_b64 s[0:1], vcc, s[0:1]
	s_and_saveexec_b64 s[16:17], s[0:1]
	s_xor_b64 s[0:1], exec, s[16:17]
; %bb.297:
	v_cmp_ne_u32_e32 vcc, 0, v91
	s_nop 1
	v_cndmask_b32_e32 v91, 15, v91, vcc
; %bb.298:
	s_andn2_saveexec_b64 s[0:1], s[0:1]
	s_cbranch_execz .LBB36_304
; %bb.299:
	v_cmp_ngt_f64_e64 s[16:17], |v[76:77]|, |v[78:79]|
	s_and_saveexec_b64 s[18:19], s[16:17]
	s_xor_b64 s[16:17], exec, s[18:19]
	s_cbranch_execz .LBB36_301
; %bb.300:
	v_div_scale_f64 v[92:93], s[18:19], v[78:79], v[78:79], v[76:77]
	v_rcp_f64_e32 v[94:95], v[92:93]
	v_div_scale_f64 v[96:97], vcc, v[76:77], v[78:79], v[76:77]
	v_fma_f64 v[98:99], -v[92:93], v[94:95], 1.0
	v_fmac_f64_e32 v[94:95], v[94:95], v[98:99]
	v_fma_f64 v[98:99], -v[92:93], v[94:95], 1.0
	v_fmac_f64_e32 v[94:95], v[94:95], v[98:99]
	v_mul_f64 v[98:99], v[96:97], v[94:95]
	v_fma_f64 v[92:93], -v[92:93], v[98:99], v[96:97]
	v_div_fmas_f64 v[92:93], v[92:93], v[94:95], v[98:99]
	v_div_fixup_f64 v[92:93], v[92:93], v[78:79], v[76:77]
	v_fmac_f64_e32 v[78:79], v[76:77], v[92:93]
	v_div_scale_f64 v[76:77], s[18:19], v[78:79], v[78:79], 1.0
	v_rcp_f64_e32 v[94:95], v[76:77]
	s_nop 0
	v_fma_f64 v[96:97], -v[76:77], v[94:95], 1.0
	v_fmac_f64_e32 v[94:95], v[94:95], v[96:97]
	v_fma_f64 v[96:97], -v[76:77], v[94:95], 1.0
	v_fmac_f64_e32 v[94:95], v[94:95], v[96:97]
	v_div_scale_f64 v[96:97], vcc, 1.0, v[78:79], 1.0
	v_mul_f64 v[98:99], v[96:97], v[94:95]
	v_fma_f64 v[76:77], -v[76:77], v[98:99], v[96:97]
	s_nop 1
	v_div_fmas_f64 v[76:77], v[76:77], v[94:95], v[98:99]
	v_div_fixup_f64 v[78:79], v[76:77], v[78:79], 1.0
	v_mul_f64 v[76:77], v[92:93], v[78:79]
	v_xor_b32_e32 v79, 0x80000000, v79
.LBB36_301:
	s_andn2_saveexec_b64 s[16:17], s[16:17]
	s_cbranch_execz .LBB36_303
; %bb.302:
	v_div_scale_f64 v[92:93], s[18:19], v[76:77], v[76:77], v[78:79]
	v_rcp_f64_e32 v[94:95], v[92:93]
	v_div_scale_f64 v[96:97], vcc, v[78:79], v[76:77], v[78:79]
	v_fma_f64 v[98:99], -v[92:93], v[94:95], 1.0
	v_fmac_f64_e32 v[94:95], v[94:95], v[98:99]
	v_fma_f64 v[98:99], -v[92:93], v[94:95], 1.0
	v_fmac_f64_e32 v[94:95], v[94:95], v[98:99]
	v_mul_f64 v[98:99], v[96:97], v[94:95]
	v_fma_f64 v[92:93], -v[92:93], v[98:99], v[96:97]
	v_div_fmas_f64 v[92:93], v[92:93], v[94:95], v[98:99]
	v_div_fixup_f64 v[92:93], v[92:93], v[76:77], v[78:79]
	v_fmac_f64_e32 v[76:77], v[78:79], v[92:93]
	v_div_scale_f64 v[78:79], s[18:19], v[76:77], v[76:77], 1.0
	v_rcp_f64_e32 v[94:95], v[78:79]
	s_nop 0
	v_fma_f64 v[96:97], -v[78:79], v[94:95], 1.0
	v_fmac_f64_e32 v[94:95], v[94:95], v[96:97]
	v_fma_f64 v[96:97], -v[78:79], v[94:95], 1.0
	v_fmac_f64_e32 v[94:95], v[94:95], v[96:97]
	v_div_scale_f64 v[96:97], vcc, 1.0, v[76:77], 1.0
	v_mul_f64 v[98:99], v[96:97], v[94:95]
	v_fma_f64 v[78:79], -v[78:79], v[98:99], v[96:97]
	s_nop 1
	v_div_fmas_f64 v[78:79], v[78:79], v[94:95], v[98:99]
	v_div_fixup_f64 v[76:77], v[78:79], v[76:77], 1.0
	v_mul_f64 v[78:79], v[92:93], -v[76:77]
.LBB36_303:
	s_or_b64 exec, exec, s[16:17]
.LBB36_304:
	s_or_b64 exec, exec, s[0:1]
	v_cmp_ne_u32_e32 vcc, v89, v86
	s_and_saveexec_b64 s[0:1], vcc
	s_xor_b64 s[0:1], exec, s[0:1]
	s_cbranch_execz .LBB36_310
; %bb.305:
	v_cmp_eq_u32_e32 vcc, 14, v89
	s_and_saveexec_b64 s[16:17], vcc
	s_cbranch_execz .LBB36_309
; %bb.306:
	v_cmp_ne_u32_e32 vcc, 14, v86
	s_xor_b64 s[18:19], s[14:15], -1
	s_and_b64 s[22:23], s[18:19], vcc
	s_and_saveexec_b64 s[18:19], s[22:23]
	s_cbranch_execz .LBB36_308
; %bb.307:
	v_ashrrev_i32_e32 v87, 31, v86
	v_lshl_add_u64 v[92:93], v[86:87], 2, v[84:85]
	global_load_dword v87, v[92:93], off
	global_load_dword v89, v[84:85], off offset:56
	s_waitcnt vmcnt(1)
	global_store_dword v[84:85], v87, off offset:56
	s_waitcnt vmcnt(1)
	global_store_dword v[92:93], v89, off
.LBB36_308:
	s_or_b64 exec, exec, s[18:19]
	v_mov_b32_e32 v89, v86
	v_mov_b32_e32 v90, v86
.LBB36_309:
	s_or_b64 exec, exec, s[16:17]
.LBB36_310:
	s_andn2_saveexec_b64 s[0:1], s[0:1]
	s_cbranch_execz .LBB36_312
; %bb.311:
	v_mov_b32_e32 v89, 14
	s_waitcnt vmcnt(3)
	ds_write2_b64 v88, v[8:9], v[10:11] offset0:30 offset1:31
	s_waitcnt vmcnt(2)
	ds_write2_b64 v88, v[4:5], v[6:7] offset0:32 offset1:33
	;; [unrolled: 2-line block ×4, first 2 shown]
.LBB36_312:
	s_or_b64 exec, exec, s[0:1]
	v_cmp_lt_i32_e32 vcc, 14, v89
	s_waitcnt lgkmcnt(0)
	s_barrier
	s_and_saveexec_b64 s[0:1], vcc
	s_cbranch_execz .LBB36_314
; %bb.313:
	ds_read2_b64 v[92:95], v88 offset0:30 offset1:31
	v_mul_f64 v[86:87], v[76:77], v[14:15]
	v_mul_f64 v[14:15], v[78:79], v[14:15]
	v_fmac_f64_e32 v[86:87], v[78:79], v[12:13]
	v_fma_f64 v[12:13], v[76:77], v[12:13], -v[14:15]
	ds_read2_b64 v[76:79], v88 offset0:32 offset1:33
	s_waitcnt lgkmcnt(1)
	v_mul_f64 v[14:15], v[94:95], v[86:87]
	v_fma_f64 v[14:15], v[92:93], v[12:13], -v[14:15]
	v_mul_f64 v[92:93], v[92:93], v[86:87]
	v_fmac_f64_e32 v[92:93], v[94:95], v[12:13]
	s_waitcnt vmcnt(3)
	v_add_f64 v[8:9], v[8:9], -v[14:15]
	s_waitcnt lgkmcnt(0)
	v_mul_f64 v[14:15], v[78:79], v[86:87]
	v_add_f64 v[10:11], v[10:11], -v[92:93]
	v_fma_f64 v[14:15], v[76:77], v[12:13], -v[14:15]
	v_mul_f64 v[76:77], v[76:77], v[86:87]
	ds_read2_b64 v[92:95], v88 offset0:34 offset1:35
	v_fmac_f64_e32 v[76:77], v[78:79], v[12:13]
	s_waitcnt vmcnt(2)
	v_add_f64 v[6:7], v[6:7], -v[76:77]
	ds_read2_b64 v[76:79], v88 offset0:36 offset1:37
	v_add_f64 v[4:5], v[4:5], -v[14:15]
	s_waitcnt lgkmcnt(1)
	v_mul_f64 v[14:15], v[94:95], v[86:87]
	v_fma_f64 v[14:15], v[92:93], v[12:13], -v[14:15]
	s_waitcnt vmcnt(1)
	v_add_f64 v[0:1], v[0:1], -v[14:15]
	s_waitcnt lgkmcnt(0)
	v_mul_f64 v[14:15], v[78:79], v[86:87]
	v_mul_f64 v[92:93], v[92:93], v[86:87]
	v_fma_f64 v[14:15], v[76:77], v[12:13], -v[14:15]
	v_mul_f64 v[76:77], v[76:77], v[86:87]
	v_fmac_f64_e32 v[92:93], v[94:95], v[12:13]
	v_fmac_f64_e32 v[76:77], v[78:79], v[12:13]
	v_add_f64 v[2:3], v[2:3], -v[92:93]
	s_waitcnt vmcnt(0)
	v_add_f64 v[72:73], v[72:73], -v[14:15]
	v_add_f64 v[74:75], v[74:75], -v[76:77]
	v_mov_b64_e32 v[14:15], v[86:87]
.LBB36_314:
	s_or_b64 exec, exec, s[0:1]
	v_lshl_add_u32 v76, v89, 4, v88
	s_barrier
	s_waitcnt vmcnt(3)
	ds_write2_b64 v76, v[8:9], v[10:11] offset1:1
	s_waitcnt lgkmcnt(0)
	s_barrier
	ds_read2_b64 v[76:79], v88 offset0:30 offset1:31
	s_cmp_lt_i32 s20, 17
	v_mov_b32_e32 v86, 15
	s_cbranch_scc1 .LBB36_317
; %bb.315:
	v_add_u32_e32 v87, 0x100, v88
	s_mov_b32 s16, 16
	v_mov_b32_e32 v86, 15
.LBB36_316:                             ; =>This Inner Loop Header: Depth=1
	ds_read2_b64 v[92:95], v87 offset1:1
	s_waitcnt lgkmcnt(1)
	v_xor_b32_e32 v97, 0x80000000, v77
	v_xor_b32_e32 v99, 0x80000000, v79
	v_cmp_gt_f64_e32 vcc, 0, v[78:79]
	v_cmp_gt_f64_e64 s[0:1], 0, v[76:77]
	v_mov_b32_e32 v96, v76
	v_mov_b32_e32 v98, v78
	v_cndmask_b32_e64 v97, v77, v97, s[0:1]
	v_cndmask_b32_e32 v99, v79, v99, vcc
	v_add_f64 v[96:97], v[96:97], v[98:99]
	s_waitcnt lgkmcnt(0)
	v_xor_b32_e32 v99, 0x80000000, v93
	v_xor_b32_e32 v101, 0x80000000, v95
	v_cmp_gt_f64_e32 vcc, 0, v[94:95]
	v_cmp_gt_f64_e64 s[0:1], 0, v[92:93]
	v_mov_b32_e32 v98, v92
	v_mov_b32_e32 v100, v94
	v_cndmask_b32_e64 v99, v93, v99, s[0:1]
	v_cndmask_b32_e32 v101, v95, v101, vcc
	v_add_f64 v[98:99], v[98:99], v[100:101]
	v_mov_b32_e32 v102, s16
	s_add_i32 s16, s16, 1
	v_cmp_lt_f64_e32 vcc, v[96:97], v[98:99]
	v_add_u32_e32 v87, 16, v87
	s_cmp_lg_u32 s20, s16
	v_cndmask_b32_e32 v77, v77, v93, vcc
	v_cndmask_b32_e32 v76, v76, v92, vcc
	;; [unrolled: 1-line block ×5, first 2 shown]
	s_cbranch_scc1 .LBB36_316
.LBB36_317:
	s_waitcnt lgkmcnt(0)
	v_cmp_eq_f64_e32 vcc, 0, v[76:77]
	v_cmp_eq_f64_e64 s[0:1], 0, v[78:79]
	s_and_b64 s[0:1], vcc, s[0:1]
	s_and_saveexec_b64 s[16:17], s[0:1]
	s_xor_b64 s[0:1], exec, s[16:17]
; %bb.318:
	v_cmp_ne_u32_e32 vcc, 0, v91
	s_nop 1
	v_cndmask_b32_e32 v91, 16, v91, vcc
; %bb.319:
	s_andn2_saveexec_b64 s[0:1], s[0:1]
	s_cbranch_execz .LBB36_325
; %bb.320:
	v_cmp_ngt_f64_e64 s[16:17], |v[76:77]|, |v[78:79]|
	s_and_saveexec_b64 s[18:19], s[16:17]
	s_xor_b64 s[16:17], exec, s[18:19]
	s_cbranch_execz .LBB36_322
; %bb.321:
	v_div_scale_f64 v[92:93], s[18:19], v[78:79], v[78:79], v[76:77]
	v_rcp_f64_e32 v[94:95], v[92:93]
	v_div_scale_f64 v[96:97], vcc, v[76:77], v[78:79], v[76:77]
	v_fma_f64 v[98:99], -v[92:93], v[94:95], 1.0
	v_fmac_f64_e32 v[94:95], v[94:95], v[98:99]
	v_fma_f64 v[98:99], -v[92:93], v[94:95], 1.0
	v_fmac_f64_e32 v[94:95], v[94:95], v[98:99]
	v_mul_f64 v[98:99], v[96:97], v[94:95]
	v_fma_f64 v[92:93], -v[92:93], v[98:99], v[96:97]
	v_div_fmas_f64 v[92:93], v[92:93], v[94:95], v[98:99]
	v_div_fixup_f64 v[92:93], v[92:93], v[78:79], v[76:77]
	v_fmac_f64_e32 v[78:79], v[76:77], v[92:93]
	v_div_scale_f64 v[76:77], s[18:19], v[78:79], v[78:79], 1.0
	v_rcp_f64_e32 v[94:95], v[76:77]
	s_nop 0
	v_fma_f64 v[96:97], -v[76:77], v[94:95], 1.0
	v_fmac_f64_e32 v[94:95], v[94:95], v[96:97]
	v_fma_f64 v[96:97], -v[76:77], v[94:95], 1.0
	v_fmac_f64_e32 v[94:95], v[94:95], v[96:97]
	v_div_scale_f64 v[96:97], vcc, 1.0, v[78:79], 1.0
	v_mul_f64 v[98:99], v[96:97], v[94:95]
	v_fma_f64 v[76:77], -v[76:77], v[98:99], v[96:97]
	s_nop 1
	v_div_fmas_f64 v[76:77], v[76:77], v[94:95], v[98:99]
	v_div_fixup_f64 v[78:79], v[76:77], v[78:79], 1.0
	v_mul_f64 v[76:77], v[92:93], v[78:79]
	v_xor_b32_e32 v79, 0x80000000, v79
.LBB36_322:
	s_andn2_saveexec_b64 s[16:17], s[16:17]
	s_cbranch_execz .LBB36_324
; %bb.323:
	v_div_scale_f64 v[92:93], s[18:19], v[76:77], v[76:77], v[78:79]
	v_rcp_f64_e32 v[94:95], v[92:93]
	v_div_scale_f64 v[96:97], vcc, v[78:79], v[76:77], v[78:79]
	v_fma_f64 v[98:99], -v[92:93], v[94:95], 1.0
	v_fmac_f64_e32 v[94:95], v[94:95], v[98:99]
	v_fma_f64 v[98:99], -v[92:93], v[94:95], 1.0
	v_fmac_f64_e32 v[94:95], v[94:95], v[98:99]
	v_mul_f64 v[98:99], v[96:97], v[94:95]
	v_fma_f64 v[92:93], -v[92:93], v[98:99], v[96:97]
	v_div_fmas_f64 v[92:93], v[92:93], v[94:95], v[98:99]
	v_div_fixup_f64 v[92:93], v[92:93], v[76:77], v[78:79]
	v_fmac_f64_e32 v[76:77], v[78:79], v[92:93]
	v_div_scale_f64 v[78:79], s[18:19], v[76:77], v[76:77], 1.0
	v_rcp_f64_e32 v[94:95], v[78:79]
	s_nop 0
	v_fma_f64 v[96:97], -v[78:79], v[94:95], 1.0
	v_fmac_f64_e32 v[94:95], v[94:95], v[96:97]
	v_fma_f64 v[96:97], -v[78:79], v[94:95], 1.0
	v_fmac_f64_e32 v[94:95], v[94:95], v[96:97]
	v_div_scale_f64 v[96:97], vcc, 1.0, v[76:77], 1.0
	v_mul_f64 v[98:99], v[96:97], v[94:95]
	v_fma_f64 v[78:79], -v[78:79], v[98:99], v[96:97]
	s_nop 1
	v_div_fmas_f64 v[78:79], v[78:79], v[94:95], v[98:99]
	v_div_fixup_f64 v[76:77], v[78:79], v[76:77], 1.0
	v_mul_f64 v[78:79], v[92:93], -v[76:77]
.LBB36_324:
	s_or_b64 exec, exec, s[16:17]
.LBB36_325:
	s_or_b64 exec, exec, s[0:1]
	v_cmp_ne_u32_e32 vcc, v89, v86
	s_and_saveexec_b64 s[0:1], vcc
	s_xor_b64 s[0:1], exec, s[0:1]
	s_cbranch_execz .LBB36_331
; %bb.326:
	v_cmp_eq_u32_e32 vcc, 15, v89
	s_and_saveexec_b64 s[16:17], vcc
	s_cbranch_execz .LBB36_330
; %bb.327:
	v_cmp_ne_u32_e32 vcc, 15, v86
	s_xor_b64 s[18:19], s[14:15], -1
	s_and_b64 s[22:23], s[18:19], vcc
	s_and_saveexec_b64 s[18:19], s[22:23]
	s_cbranch_execz .LBB36_329
; %bb.328:
	v_ashrrev_i32_e32 v87, 31, v86
	v_lshl_add_u64 v[92:93], v[86:87], 2, v[84:85]
	global_load_dword v87, v[92:93], off
	global_load_dword v89, v[84:85], off offset:60
	s_waitcnt vmcnt(1)
	global_store_dword v[84:85], v87, off offset:60
	s_waitcnt vmcnt(1)
	global_store_dword v[92:93], v89, off
.LBB36_329:
	s_or_b64 exec, exec, s[18:19]
	v_mov_b32_e32 v89, v86
	v_mov_b32_e32 v90, v86
.LBB36_330:
	s_or_b64 exec, exec, s[16:17]
.LBB36_331:
	s_andn2_saveexec_b64 s[0:1], s[0:1]
	s_cbranch_execz .LBB36_333
; %bb.332:
	v_mov_b32_e32 v89, 15
	s_waitcnt vmcnt(2)
	ds_write2_b64 v88, v[4:5], v[6:7] offset0:32 offset1:33
	s_waitcnt vmcnt(1)
	ds_write2_b64 v88, v[0:1], v[2:3] offset0:34 offset1:35
	;; [unrolled: 2-line block ×3, first 2 shown]
.LBB36_333:
	s_or_b64 exec, exec, s[0:1]
	v_cmp_lt_i32_e32 vcc, 15, v89
	s_waitcnt lgkmcnt(0)
	s_barrier
	s_and_saveexec_b64 s[0:1], vcc
	s_cbranch_execz .LBB36_335
; %bb.334:
	ds_read2_b64 v[92:95], v88 offset0:32 offset1:33
	v_mul_f64 v[86:87], v[76:77], v[10:11]
	v_fmac_f64_e32 v[86:87], v[78:79], v[8:9]
	v_mul_f64 v[10:11], v[78:79], v[10:11]
	v_fma_f64 v[8:9], v[76:77], v[8:9], -v[10:11]
	ds_read2_b64 v[76:79], v88 offset0:34 offset1:35
	s_waitcnt lgkmcnt(1)
	v_mul_f64 v[10:11], v[94:95], v[86:87]
	v_fma_f64 v[10:11], v[92:93], v[8:9], -v[10:11]
	v_mul_f64 v[92:93], v[92:93], v[86:87]
	v_fmac_f64_e32 v[92:93], v[94:95], v[8:9]
	s_waitcnt vmcnt(2)
	v_add_f64 v[6:7], v[6:7], -v[92:93]
	ds_read2_b64 v[92:95], v88 offset0:36 offset1:37
	v_add_f64 v[4:5], v[4:5], -v[10:11]
	s_waitcnt lgkmcnt(1)
	v_mul_f64 v[10:11], v[78:79], v[86:87]
	v_fma_f64 v[10:11], v[76:77], v[8:9], -v[10:11]
	v_mul_f64 v[76:77], v[76:77], v[86:87]
	v_fmac_f64_e32 v[76:77], v[78:79], v[8:9]
	s_waitcnt vmcnt(1)
	v_add_f64 v[0:1], v[0:1], -v[10:11]
	v_add_f64 v[2:3], v[2:3], -v[76:77]
	s_waitcnt lgkmcnt(0)
	v_mul_f64 v[10:11], v[94:95], v[86:87]
	v_mul_f64 v[76:77], v[92:93], v[86:87]
	v_fma_f64 v[10:11], v[92:93], v[8:9], -v[10:11]
	v_fmac_f64_e32 v[76:77], v[94:95], v[8:9]
	s_waitcnt vmcnt(0)
	v_add_f64 v[72:73], v[72:73], -v[10:11]
	v_add_f64 v[74:75], v[74:75], -v[76:77]
	v_mov_b64_e32 v[10:11], v[86:87]
.LBB36_335:
	s_or_b64 exec, exec, s[0:1]
	v_lshl_add_u32 v76, v89, 4, v88
	s_barrier
	s_waitcnt vmcnt(2)
	ds_write2_b64 v76, v[4:5], v[6:7] offset1:1
	s_waitcnt lgkmcnt(0)
	s_barrier
	ds_read2_b64 v[76:79], v88 offset0:32 offset1:33
	s_cmp_lt_i32 s20, 18
	v_mov_b32_e32 v86, 16
	s_cbranch_scc1 .LBB36_338
; %bb.336:
	v_add_u32_e32 v87, 0x110, v88
	s_mov_b32 s16, 17
	v_mov_b32_e32 v86, 16
.LBB36_337:                             ; =>This Inner Loop Header: Depth=1
	ds_read2_b64 v[92:95], v87 offset1:1
	s_waitcnt lgkmcnt(1)
	v_xor_b32_e32 v97, 0x80000000, v77
	v_xor_b32_e32 v99, 0x80000000, v79
	v_cmp_gt_f64_e32 vcc, 0, v[78:79]
	v_cmp_gt_f64_e64 s[0:1], 0, v[76:77]
	v_mov_b32_e32 v96, v76
	v_mov_b32_e32 v98, v78
	v_cndmask_b32_e64 v97, v77, v97, s[0:1]
	v_cndmask_b32_e32 v99, v79, v99, vcc
	v_add_f64 v[96:97], v[96:97], v[98:99]
	s_waitcnt lgkmcnt(0)
	v_xor_b32_e32 v99, 0x80000000, v93
	v_xor_b32_e32 v101, 0x80000000, v95
	v_cmp_gt_f64_e32 vcc, 0, v[94:95]
	v_cmp_gt_f64_e64 s[0:1], 0, v[92:93]
	v_mov_b32_e32 v98, v92
	v_mov_b32_e32 v100, v94
	v_cndmask_b32_e64 v99, v93, v99, s[0:1]
	v_cndmask_b32_e32 v101, v95, v101, vcc
	v_add_f64 v[98:99], v[98:99], v[100:101]
	v_mov_b32_e32 v102, s16
	s_add_i32 s16, s16, 1
	v_cmp_lt_f64_e32 vcc, v[96:97], v[98:99]
	v_add_u32_e32 v87, 16, v87
	s_cmp_lg_u32 s20, s16
	v_cndmask_b32_e32 v77, v77, v93, vcc
	v_cndmask_b32_e32 v76, v76, v92, vcc
	;; [unrolled: 1-line block ×5, first 2 shown]
	s_cbranch_scc1 .LBB36_337
.LBB36_338:
	s_waitcnt lgkmcnt(0)
	v_cmp_eq_f64_e32 vcc, 0, v[76:77]
	v_cmp_eq_f64_e64 s[0:1], 0, v[78:79]
	s_and_b64 s[0:1], vcc, s[0:1]
	s_and_saveexec_b64 s[16:17], s[0:1]
	s_xor_b64 s[0:1], exec, s[16:17]
; %bb.339:
	v_cmp_ne_u32_e32 vcc, 0, v91
	s_nop 1
	v_cndmask_b32_e32 v91, 17, v91, vcc
; %bb.340:
	s_andn2_saveexec_b64 s[0:1], s[0:1]
	s_cbranch_execz .LBB36_346
; %bb.341:
	v_cmp_ngt_f64_e64 s[16:17], |v[76:77]|, |v[78:79]|
	s_and_saveexec_b64 s[18:19], s[16:17]
	s_xor_b64 s[16:17], exec, s[18:19]
	s_cbranch_execz .LBB36_343
; %bb.342:
	v_div_scale_f64 v[92:93], s[18:19], v[78:79], v[78:79], v[76:77]
	v_rcp_f64_e32 v[94:95], v[92:93]
	v_div_scale_f64 v[96:97], vcc, v[76:77], v[78:79], v[76:77]
	v_fma_f64 v[98:99], -v[92:93], v[94:95], 1.0
	v_fmac_f64_e32 v[94:95], v[94:95], v[98:99]
	v_fma_f64 v[98:99], -v[92:93], v[94:95], 1.0
	v_fmac_f64_e32 v[94:95], v[94:95], v[98:99]
	v_mul_f64 v[98:99], v[96:97], v[94:95]
	v_fma_f64 v[92:93], -v[92:93], v[98:99], v[96:97]
	v_div_fmas_f64 v[92:93], v[92:93], v[94:95], v[98:99]
	v_div_fixup_f64 v[92:93], v[92:93], v[78:79], v[76:77]
	v_fmac_f64_e32 v[78:79], v[76:77], v[92:93]
	v_div_scale_f64 v[76:77], s[18:19], v[78:79], v[78:79], 1.0
	v_rcp_f64_e32 v[94:95], v[76:77]
	s_nop 0
	v_fma_f64 v[96:97], -v[76:77], v[94:95], 1.0
	v_fmac_f64_e32 v[94:95], v[94:95], v[96:97]
	v_fma_f64 v[96:97], -v[76:77], v[94:95], 1.0
	v_fmac_f64_e32 v[94:95], v[94:95], v[96:97]
	v_div_scale_f64 v[96:97], vcc, 1.0, v[78:79], 1.0
	v_mul_f64 v[98:99], v[96:97], v[94:95]
	v_fma_f64 v[76:77], -v[76:77], v[98:99], v[96:97]
	s_nop 1
	v_div_fmas_f64 v[76:77], v[76:77], v[94:95], v[98:99]
	v_div_fixup_f64 v[78:79], v[76:77], v[78:79], 1.0
	v_mul_f64 v[76:77], v[92:93], v[78:79]
	v_xor_b32_e32 v79, 0x80000000, v79
.LBB36_343:
	s_andn2_saveexec_b64 s[16:17], s[16:17]
	s_cbranch_execz .LBB36_345
; %bb.344:
	v_div_scale_f64 v[92:93], s[18:19], v[76:77], v[76:77], v[78:79]
	v_rcp_f64_e32 v[94:95], v[92:93]
	v_div_scale_f64 v[96:97], vcc, v[78:79], v[76:77], v[78:79]
	v_fma_f64 v[98:99], -v[92:93], v[94:95], 1.0
	v_fmac_f64_e32 v[94:95], v[94:95], v[98:99]
	v_fma_f64 v[98:99], -v[92:93], v[94:95], 1.0
	v_fmac_f64_e32 v[94:95], v[94:95], v[98:99]
	v_mul_f64 v[98:99], v[96:97], v[94:95]
	v_fma_f64 v[92:93], -v[92:93], v[98:99], v[96:97]
	v_div_fmas_f64 v[92:93], v[92:93], v[94:95], v[98:99]
	v_div_fixup_f64 v[92:93], v[92:93], v[76:77], v[78:79]
	v_fmac_f64_e32 v[76:77], v[78:79], v[92:93]
	v_div_scale_f64 v[78:79], s[18:19], v[76:77], v[76:77], 1.0
	v_rcp_f64_e32 v[94:95], v[78:79]
	s_nop 0
	v_fma_f64 v[96:97], -v[78:79], v[94:95], 1.0
	v_fmac_f64_e32 v[94:95], v[94:95], v[96:97]
	v_fma_f64 v[96:97], -v[78:79], v[94:95], 1.0
	v_fmac_f64_e32 v[94:95], v[94:95], v[96:97]
	v_div_scale_f64 v[96:97], vcc, 1.0, v[76:77], 1.0
	v_mul_f64 v[98:99], v[96:97], v[94:95]
	v_fma_f64 v[78:79], -v[78:79], v[98:99], v[96:97]
	s_nop 1
	v_div_fmas_f64 v[78:79], v[78:79], v[94:95], v[98:99]
	v_div_fixup_f64 v[76:77], v[78:79], v[76:77], 1.0
	v_mul_f64 v[78:79], v[92:93], -v[76:77]
.LBB36_345:
	s_or_b64 exec, exec, s[16:17]
.LBB36_346:
	s_or_b64 exec, exec, s[0:1]
	v_cmp_ne_u32_e32 vcc, v89, v86
	s_and_saveexec_b64 s[0:1], vcc
	s_xor_b64 s[0:1], exec, s[0:1]
	s_cbranch_execz .LBB36_352
; %bb.347:
	v_cmp_eq_u32_e32 vcc, 16, v89
	s_and_saveexec_b64 s[16:17], vcc
	s_cbranch_execz .LBB36_351
; %bb.348:
	v_cmp_ne_u32_e32 vcc, 16, v86
	s_xor_b64 s[18:19], s[14:15], -1
	s_and_b64 s[22:23], s[18:19], vcc
	s_and_saveexec_b64 s[18:19], s[22:23]
	s_cbranch_execz .LBB36_350
; %bb.349:
	v_ashrrev_i32_e32 v87, 31, v86
	v_lshl_add_u64 v[92:93], v[86:87], 2, v[84:85]
	global_load_dword v87, v[92:93], off
	global_load_dword v89, v[84:85], off offset:64
	s_waitcnt vmcnt(1)
	global_store_dword v[84:85], v87, off offset:64
	s_waitcnt vmcnt(1)
	global_store_dword v[92:93], v89, off
.LBB36_350:
	s_or_b64 exec, exec, s[18:19]
	v_mov_b32_e32 v89, v86
	v_mov_b32_e32 v90, v86
.LBB36_351:
	s_or_b64 exec, exec, s[16:17]
.LBB36_352:
	s_andn2_saveexec_b64 s[0:1], s[0:1]
	s_cbranch_execz .LBB36_354
; %bb.353:
	v_mov_b32_e32 v89, 16
	s_waitcnt vmcnt(1)
	ds_write2_b64 v88, v[0:1], v[2:3] offset0:34 offset1:35
	s_waitcnt vmcnt(0)
	ds_write2_b64 v88, v[72:73], v[74:75] offset0:36 offset1:37
.LBB36_354:
	s_or_b64 exec, exec, s[0:1]
	v_cmp_lt_i32_e32 vcc, 16, v89
	s_waitcnt lgkmcnt(0)
	s_barrier
	s_and_saveexec_b64 s[0:1], vcc
	s_cbranch_execz .LBB36_356
; %bb.355:
	ds_read2_b64 v[92:95], v88 offset0:34 offset1:35
	v_mul_f64 v[86:87], v[76:77], v[6:7]
	v_mul_f64 v[6:7], v[78:79], v[6:7]
	v_fmac_f64_e32 v[86:87], v[78:79], v[4:5]
	v_fma_f64 v[4:5], v[76:77], v[4:5], -v[6:7]
	ds_read2_b64 v[76:79], v88 offset0:36 offset1:37
	s_waitcnt lgkmcnt(1)
	v_mul_f64 v[6:7], v[94:95], v[86:87]
	v_fma_f64 v[6:7], v[92:93], v[4:5], -v[6:7]
	s_waitcnt vmcnt(1)
	v_add_f64 v[0:1], v[0:1], -v[6:7]
	v_mul_f64 v[92:93], v[92:93], v[86:87]
	s_waitcnt lgkmcnt(0)
	v_mul_f64 v[6:7], v[78:79], v[86:87]
	v_fma_f64 v[6:7], v[76:77], v[4:5], -v[6:7]
	v_mul_f64 v[76:77], v[76:77], v[86:87]
	v_fmac_f64_e32 v[92:93], v[94:95], v[4:5]
	v_fmac_f64_e32 v[76:77], v[78:79], v[4:5]
	v_add_f64 v[2:3], v[2:3], -v[92:93]
	s_waitcnt vmcnt(0)
	v_add_f64 v[72:73], v[72:73], -v[6:7]
	v_add_f64 v[74:75], v[74:75], -v[76:77]
	v_mov_b64_e32 v[6:7], v[86:87]
.LBB36_356:
	s_or_b64 exec, exec, s[0:1]
	v_lshl_add_u32 v76, v89, 4, v88
	s_barrier
	s_waitcnt vmcnt(1)
	ds_write2_b64 v76, v[0:1], v[2:3] offset1:1
	s_waitcnt lgkmcnt(0)
	s_barrier
	ds_read2_b64 v[76:79], v88 offset0:34 offset1:35
	s_cmp_lt_i32 s20, 19
	v_mov_b32_e32 v86, 17
	s_cbranch_scc1 .LBB36_359
; %bb.357:
	v_add_u32_e32 v87, 0x120, v88
	s_mov_b32 s16, 18
	v_mov_b32_e32 v86, 17
.LBB36_358:                             ; =>This Inner Loop Header: Depth=1
	ds_read2_b64 v[92:95], v87 offset1:1
	s_waitcnt lgkmcnt(1)
	v_xor_b32_e32 v97, 0x80000000, v77
	v_xor_b32_e32 v99, 0x80000000, v79
	v_cmp_gt_f64_e32 vcc, 0, v[78:79]
	v_cmp_gt_f64_e64 s[0:1], 0, v[76:77]
	v_mov_b32_e32 v96, v76
	v_mov_b32_e32 v98, v78
	v_cndmask_b32_e64 v97, v77, v97, s[0:1]
	v_cndmask_b32_e32 v99, v79, v99, vcc
	v_add_f64 v[96:97], v[96:97], v[98:99]
	s_waitcnt lgkmcnt(0)
	v_xor_b32_e32 v99, 0x80000000, v93
	v_xor_b32_e32 v101, 0x80000000, v95
	v_cmp_gt_f64_e32 vcc, 0, v[94:95]
	v_cmp_gt_f64_e64 s[0:1], 0, v[92:93]
	v_mov_b32_e32 v98, v92
	v_mov_b32_e32 v100, v94
	v_cndmask_b32_e64 v99, v93, v99, s[0:1]
	v_cndmask_b32_e32 v101, v95, v101, vcc
	v_add_f64 v[98:99], v[98:99], v[100:101]
	v_mov_b32_e32 v102, s16
	s_add_i32 s16, s16, 1
	v_cmp_lt_f64_e32 vcc, v[96:97], v[98:99]
	v_add_u32_e32 v87, 16, v87
	s_cmp_lg_u32 s20, s16
	v_cndmask_b32_e32 v77, v77, v93, vcc
	v_cndmask_b32_e32 v76, v76, v92, vcc
	v_cndmask_b32_e32 v79, v79, v95, vcc
	v_cndmask_b32_e32 v78, v78, v94, vcc
	v_cndmask_b32_e32 v86, v86, v102, vcc
	s_cbranch_scc1 .LBB36_358
.LBB36_359:
	s_waitcnt lgkmcnt(0)
	v_cmp_eq_f64_e32 vcc, 0, v[76:77]
	v_cmp_eq_f64_e64 s[0:1], 0, v[78:79]
	s_and_b64 s[0:1], vcc, s[0:1]
	s_and_saveexec_b64 s[16:17], s[0:1]
	s_xor_b64 s[0:1], exec, s[16:17]
; %bb.360:
	v_cmp_ne_u32_e32 vcc, 0, v91
	s_nop 1
	v_cndmask_b32_e32 v91, 18, v91, vcc
; %bb.361:
	s_andn2_saveexec_b64 s[0:1], s[0:1]
	s_cbranch_execz .LBB36_367
; %bb.362:
	v_cmp_ngt_f64_e64 s[16:17], |v[76:77]|, |v[78:79]|
	s_and_saveexec_b64 s[18:19], s[16:17]
	s_xor_b64 s[16:17], exec, s[18:19]
	s_cbranch_execz .LBB36_364
; %bb.363:
	v_div_scale_f64 v[92:93], s[18:19], v[78:79], v[78:79], v[76:77]
	v_rcp_f64_e32 v[94:95], v[92:93]
	v_div_scale_f64 v[96:97], vcc, v[76:77], v[78:79], v[76:77]
	v_fma_f64 v[98:99], -v[92:93], v[94:95], 1.0
	v_fmac_f64_e32 v[94:95], v[94:95], v[98:99]
	v_fma_f64 v[98:99], -v[92:93], v[94:95], 1.0
	v_fmac_f64_e32 v[94:95], v[94:95], v[98:99]
	v_mul_f64 v[98:99], v[96:97], v[94:95]
	v_fma_f64 v[92:93], -v[92:93], v[98:99], v[96:97]
	v_div_fmas_f64 v[92:93], v[92:93], v[94:95], v[98:99]
	v_div_fixup_f64 v[92:93], v[92:93], v[78:79], v[76:77]
	v_fmac_f64_e32 v[78:79], v[76:77], v[92:93]
	v_div_scale_f64 v[76:77], s[18:19], v[78:79], v[78:79], 1.0
	v_rcp_f64_e32 v[94:95], v[76:77]
	s_nop 0
	v_fma_f64 v[96:97], -v[76:77], v[94:95], 1.0
	v_fmac_f64_e32 v[94:95], v[94:95], v[96:97]
	v_fma_f64 v[96:97], -v[76:77], v[94:95], 1.0
	v_fmac_f64_e32 v[94:95], v[94:95], v[96:97]
	v_div_scale_f64 v[96:97], vcc, 1.0, v[78:79], 1.0
	v_mul_f64 v[98:99], v[96:97], v[94:95]
	v_fma_f64 v[76:77], -v[76:77], v[98:99], v[96:97]
	s_nop 1
	v_div_fmas_f64 v[76:77], v[76:77], v[94:95], v[98:99]
	v_div_fixup_f64 v[78:79], v[76:77], v[78:79], 1.0
	v_mul_f64 v[76:77], v[92:93], v[78:79]
	v_xor_b32_e32 v79, 0x80000000, v79
.LBB36_364:
	s_andn2_saveexec_b64 s[16:17], s[16:17]
	s_cbranch_execz .LBB36_366
; %bb.365:
	v_div_scale_f64 v[92:93], s[18:19], v[76:77], v[76:77], v[78:79]
	v_rcp_f64_e32 v[94:95], v[92:93]
	v_div_scale_f64 v[96:97], vcc, v[78:79], v[76:77], v[78:79]
	v_fma_f64 v[98:99], -v[92:93], v[94:95], 1.0
	v_fmac_f64_e32 v[94:95], v[94:95], v[98:99]
	v_fma_f64 v[98:99], -v[92:93], v[94:95], 1.0
	v_fmac_f64_e32 v[94:95], v[94:95], v[98:99]
	v_mul_f64 v[98:99], v[96:97], v[94:95]
	v_fma_f64 v[92:93], -v[92:93], v[98:99], v[96:97]
	v_div_fmas_f64 v[92:93], v[92:93], v[94:95], v[98:99]
	v_div_fixup_f64 v[92:93], v[92:93], v[76:77], v[78:79]
	v_fmac_f64_e32 v[76:77], v[78:79], v[92:93]
	v_div_scale_f64 v[78:79], s[18:19], v[76:77], v[76:77], 1.0
	v_rcp_f64_e32 v[94:95], v[78:79]
	s_nop 0
	v_fma_f64 v[96:97], -v[78:79], v[94:95], 1.0
	v_fmac_f64_e32 v[94:95], v[94:95], v[96:97]
	v_fma_f64 v[96:97], -v[78:79], v[94:95], 1.0
	v_fmac_f64_e32 v[94:95], v[94:95], v[96:97]
	v_div_scale_f64 v[96:97], vcc, 1.0, v[76:77], 1.0
	v_mul_f64 v[98:99], v[96:97], v[94:95]
	v_fma_f64 v[78:79], -v[78:79], v[98:99], v[96:97]
	s_nop 1
	v_div_fmas_f64 v[78:79], v[78:79], v[94:95], v[98:99]
	v_div_fixup_f64 v[76:77], v[78:79], v[76:77], 1.0
	v_mul_f64 v[78:79], v[92:93], -v[76:77]
.LBB36_366:
	s_or_b64 exec, exec, s[16:17]
.LBB36_367:
	s_or_b64 exec, exec, s[0:1]
	v_cmp_ne_u32_e32 vcc, v89, v86
	s_and_saveexec_b64 s[0:1], vcc
	s_xor_b64 s[0:1], exec, s[0:1]
	s_cbranch_execz .LBB36_373
; %bb.368:
	v_cmp_eq_u32_e32 vcc, 17, v89
	s_and_saveexec_b64 s[16:17], vcc
	s_cbranch_execz .LBB36_372
; %bb.369:
	v_cmp_ne_u32_e32 vcc, 17, v86
	s_xor_b64 s[18:19], s[14:15], -1
	s_and_b64 s[22:23], s[18:19], vcc
	s_and_saveexec_b64 s[18:19], s[22:23]
	s_cbranch_execz .LBB36_371
; %bb.370:
	v_ashrrev_i32_e32 v87, 31, v86
	v_lshl_add_u64 v[92:93], v[86:87], 2, v[84:85]
	global_load_dword v87, v[92:93], off
	global_load_dword v89, v[84:85], off offset:68
	s_waitcnt vmcnt(1)
	global_store_dword v[84:85], v87, off offset:68
	s_waitcnt vmcnt(1)
	global_store_dword v[92:93], v89, off
.LBB36_371:
	s_or_b64 exec, exec, s[18:19]
	v_mov_b32_e32 v89, v86
	v_mov_b32_e32 v90, v86
.LBB36_372:
	s_or_b64 exec, exec, s[16:17]
.LBB36_373:
	s_andn2_saveexec_b64 s[0:1], s[0:1]
	s_cbranch_execz .LBB36_375
; %bb.374:
	v_mov_b32_e32 v89, 17
	s_waitcnt vmcnt(0)
	ds_write2_b64 v88, v[72:73], v[74:75] offset0:36 offset1:37
.LBB36_375:
	s_or_b64 exec, exec, s[0:1]
	v_cmp_lt_i32_e32 vcc, 17, v89
	s_waitcnt lgkmcnt(0)
	s_barrier
	s_and_saveexec_b64 s[0:1], vcc
	s_cbranch_execz .LBB36_377
; %bb.376:
	ds_read2_b64 v[92:95], v88 offset0:36 offset1:37
	v_mul_f64 v[86:87], v[76:77], v[2:3]
	v_mul_f64 v[2:3], v[78:79], v[2:3]
	v_fmac_f64_e32 v[86:87], v[78:79], v[0:1]
	v_fma_f64 v[0:1], v[76:77], v[0:1], -v[2:3]
	s_waitcnt lgkmcnt(0)
	v_mul_f64 v[2:3], v[94:95], v[86:87]
	v_mul_f64 v[76:77], v[92:93], v[86:87]
	v_fma_f64 v[2:3], v[92:93], v[0:1], -v[2:3]
	v_fmac_f64_e32 v[76:77], v[94:95], v[0:1]
	s_waitcnt vmcnt(0)
	v_add_f64 v[72:73], v[72:73], -v[2:3]
	v_add_f64 v[74:75], v[74:75], -v[76:77]
	v_mov_b64_e32 v[2:3], v[86:87]
.LBB36_377:
	s_or_b64 exec, exec, s[0:1]
	v_lshl_add_u32 v76, v89, 4, v88
	s_barrier
	s_waitcnt vmcnt(0)
	ds_write2_b64 v76, v[72:73], v[74:75] offset1:1
	s_waitcnt lgkmcnt(0)
	s_barrier
	ds_read2_b64 v[76:79], v88 offset0:36 offset1:37
	s_cmp_lt_i32 s20, 20
	v_mov_b32_e32 v86, 18
	s_cbranch_scc1 .LBB36_380
; %bb.378:
	v_add_u32_e32 v87, 0x130, v88
	s_mov_b32 s16, 19
	v_mov_b32_e32 v86, 18
.LBB36_379:                             ; =>This Inner Loop Header: Depth=1
	ds_read2_b64 v[92:95], v87 offset1:1
	s_waitcnt lgkmcnt(1)
	v_xor_b32_e32 v88, 0x80000000, v77
	v_xor_b32_e32 v99, 0x80000000, v79
	v_cmp_gt_f64_e32 vcc, 0, v[78:79]
	v_cmp_gt_f64_e64 s[0:1], 0, v[76:77]
	v_mov_b32_e32 v96, v76
	v_mov_b32_e32 v98, v78
	v_cndmask_b32_e64 v97, v77, v88, s[0:1]
	v_cndmask_b32_e32 v99, v79, v99, vcc
	s_waitcnt lgkmcnt(0)
	v_xor_b32_e32 v88, 0x80000000, v93
	v_xor_b32_e32 v101, 0x80000000, v95
	v_cmp_gt_f64_e32 vcc, 0, v[94:95]
	v_cmp_gt_f64_e64 s[0:1], 0, v[92:93]
	v_add_f64 v[96:97], v[96:97], v[98:99]
	v_mov_b32_e32 v98, v92
	v_mov_b32_e32 v100, v94
	v_cndmask_b32_e64 v99, v93, v88, s[0:1]
	v_cndmask_b32_e32 v101, v95, v101, vcc
	v_add_f64 v[98:99], v[98:99], v[100:101]
	v_mov_b32_e32 v102, s16
	s_add_i32 s16, s16, 1
	v_cmp_lt_f64_e32 vcc, v[96:97], v[98:99]
	v_add_u32_e32 v87, 16, v87
	s_cmp_lg_u32 s20, s16
	v_cndmask_b32_e32 v77, v77, v93, vcc
	v_cndmask_b32_e32 v76, v76, v92, vcc
	;; [unrolled: 1-line block ×5, first 2 shown]
	s_cbranch_scc1 .LBB36_379
.LBB36_380:
	s_waitcnt lgkmcnt(0)
	v_cmp_eq_f64_e32 vcc, 0, v[76:77]
	v_cmp_eq_f64_e64 s[0:1], 0, v[78:79]
	s_and_b64 s[0:1], vcc, s[0:1]
	s_and_saveexec_b64 s[16:17], s[0:1]
	s_xor_b64 s[0:1], exec, s[16:17]
; %bb.381:
	v_cmp_ne_u32_e32 vcc, 0, v91
	s_nop 1
	v_cndmask_b32_e32 v91, 19, v91, vcc
; %bb.382:
	s_andn2_saveexec_b64 s[0:1], s[0:1]
	s_cbranch_execz .LBB36_388
; %bb.383:
	v_cmp_ngt_f64_e64 s[16:17], |v[76:77]|, |v[78:79]|
	s_and_saveexec_b64 s[18:19], s[16:17]
	s_xor_b64 s[16:17], exec, s[18:19]
	s_cbranch_execz .LBB36_385
; %bb.384:
	v_div_scale_f64 v[92:93], s[18:19], v[78:79], v[78:79], v[76:77]
	v_rcp_f64_e32 v[94:95], v[92:93]
	v_div_scale_f64 v[96:97], vcc, v[76:77], v[78:79], v[76:77]
	v_fma_f64 v[98:99], -v[92:93], v[94:95], 1.0
	v_fmac_f64_e32 v[94:95], v[94:95], v[98:99]
	v_fma_f64 v[98:99], -v[92:93], v[94:95], 1.0
	v_fmac_f64_e32 v[94:95], v[94:95], v[98:99]
	v_mul_f64 v[98:99], v[96:97], v[94:95]
	v_fma_f64 v[92:93], -v[92:93], v[98:99], v[96:97]
	v_div_fmas_f64 v[92:93], v[92:93], v[94:95], v[98:99]
	v_div_fixup_f64 v[92:93], v[92:93], v[78:79], v[76:77]
	v_fmac_f64_e32 v[78:79], v[76:77], v[92:93]
	v_div_scale_f64 v[76:77], s[18:19], v[78:79], v[78:79], 1.0
	v_rcp_f64_e32 v[94:95], v[76:77]
	s_nop 0
	v_fma_f64 v[96:97], -v[76:77], v[94:95], 1.0
	v_fmac_f64_e32 v[94:95], v[94:95], v[96:97]
	v_fma_f64 v[96:97], -v[76:77], v[94:95], 1.0
	v_fmac_f64_e32 v[94:95], v[94:95], v[96:97]
	v_div_scale_f64 v[96:97], vcc, 1.0, v[78:79], 1.0
	v_mul_f64 v[98:99], v[96:97], v[94:95]
	v_fma_f64 v[76:77], -v[76:77], v[98:99], v[96:97]
	s_nop 1
	v_div_fmas_f64 v[76:77], v[76:77], v[94:95], v[98:99]
	v_div_fixup_f64 v[78:79], v[76:77], v[78:79], 1.0
	v_mul_f64 v[76:77], v[92:93], v[78:79]
	v_xor_b32_e32 v79, 0x80000000, v79
.LBB36_385:
	s_andn2_saveexec_b64 s[16:17], s[16:17]
	s_cbranch_execz .LBB36_387
; %bb.386:
	v_div_scale_f64 v[92:93], s[18:19], v[76:77], v[76:77], v[78:79]
	v_rcp_f64_e32 v[94:95], v[92:93]
	v_div_scale_f64 v[96:97], vcc, v[78:79], v[76:77], v[78:79]
	v_fma_f64 v[98:99], -v[92:93], v[94:95], 1.0
	v_fmac_f64_e32 v[94:95], v[94:95], v[98:99]
	v_fma_f64 v[98:99], -v[92:93], v[94:95], 1.0
	v_fmac_f64_e32 v[94:95], v[94:95], v[98:99]
	v_mul_f64 v[98:99], v[96:97], v[94:95]
	v_fma_f64 v[92:93], -v[92:93], v[98:99], v[96:97]
	v_div_fmas_f64 v[92:93], v[92:93], v[94:95], v[98:99]
	v_div_fixup_f64 v[92:93], v[92:93], v[76:77], v[78:79]
	v_fmac_f64_e32 v[76:77], v[78:79], v[92:93]
	v_div_scale_f64 v[78:79], s[18:19], v[76:77], v[76:77], 1.0
	v_rcp_f64_e32 v[94:95], v[78:79]
	s_nop 0
	v_fma_f64 v[96:97], -v[78:79], v[94:95], 1.0
	v_fmac_f64_e32 v[94:95], v[94:95], v[96:97]
	v_fma_f64 v[96:97], -v[78:79], v[94:95], 1.0
	v_fmac_f64_e32 v[94:95], v[94:95], v[96:97]
	v_div_scale_f64 v[96:97], vcc, 1.0, v[76:77], 1.0
	v_mul_f64 v[98:99], v[96:97], v[94:95]
	v_fma_f64 v[78:79], -v[78:79], v[98:99], v[96:97]
	s_nop 1
	v_div_fmas_f64 v[78:79], v[78:79], v[94:95], v[98:99]
	v_div_fixup_f64 v[76:77], v[78:79], v[76:77], 1.0
	v_mul_f64 v[78:79], v[92:93], -v[76:77]
.LBB36_387:
	s_or_b64 exec, exec, s[16:17]
.LBB36_388:
	s_or_b64 exec, exec, s[0:1]
	v_cmp_ne_u32_e32 vcc, v89, v86
	v_mov_b32_e32 v88, 18
	s_and_saveexec_b64 s[0:1], vcc
	s_cbranch_execz .LBB36_394
; %bb.389:
	v_cmp_eq_u32_e32 vcc, 18, v89
	s_and_saveexec_b64 s[16:17], vcc
	s_cbranch_execz .LBB36_393
; %bb.390:
	v_cmp_ne_u32_e32 vcc, 18, v86
	s_xor_b64 s[14:15], s[14:15], -1
	s_and_b64 s[18:19], s[14:15], vcc
	s_and_saveexec_b64 s[14:15], s[18:19]
	s_cbranch_execz .LBB36_392
; %bb.391:
	v_ashrrev_i32_e32 v87, 31, v86
	v_lshl_add_u64 v[88:89], v[86:87], 2, v[84:85]
	global_load_dword v87, v[88:89], off
	global_load_dword v90, v[84:85], off offset:72
	s_waitcnt vmcnt(1)
	global_store_dword v[84:85], v87, off offset:72
	s_waitcnt vmcnt(1)
	global_store_dword v[88:89], v90, off
.LBB36_392:
	s_or_b64 exec, exec, s[14:15]
	v_mov_b32_e32 v89, v86
	v_mov_b32_e32 v90, v86
.LBB36_393:
	s_or_b64 exec, exec, s[16:17]
	v_mov_b32_e32 v88, v89
.LBB36_394:
	s_or_b64 exec, exec, s[0:1]
	v_cmp_gt_i32_e32 vcc, 19, v88
	v_ashrrev_i32_e32 v89, 31, v88
	s_barrier
	s_barrier
	s_and_saveexec_b64 s[0:1], vcc
	s_cbranch_execz .LBB36_396
; %bb.395:
	v_mov_b32_e32 v84, s6
	v_mov_b32_e32 v85, s7
	v_mul_lo_u32 v92, s11, v82
	v_mul_lo_u32 v93, s10, v83
	v_mad_u64_u32 v[86:87], s[6:7], s10, v82, 0
	v_add3_u32 v87, v87, v93, v92
	v_lshl_add_u64 v[84:85], v[86:87], 2, v[84:85]
	v_lshl_add_u64 v[84:85], s[8:9], 2, v[84:85]
	;; [unrolled: 1-line block ×3, first 2 shown]
	v_add3_u32 v86, v90, s13, 1
	global_store_dword v[84:85], v86, off
.LBB36_396:
	s_or_b64 exec, exec, s[0:1]
	v_cmp_eq_u32_e32 vcc, 0, v88
	s_and_saveexec_b64 s[6:7], vcc
	s_cbranch_execz .LBB36_399
; %bb.397:
	v_mov_b32_e32 v84, s4
	v_mov_b32_e32 v85, s5
	v_lshl_add_u64 v[82:83], v[82:83], 2, v[84:85]
	global_load_dword v84, v[82:83], off
	v_cmp_ne_u32_e64 s[0:1], 0, v91
	s_waitcnt vmcnt(0)
	v_cmp_eq_u32_e32 vcc, 0, v84
	s_and_b64 s[0:1], vcc, s[0:1]
	s_and_b64 exec, exec, s[0:1]
	s_cbranch_execz .LBB36_399
; %bb.398:
	v_add_u32_e32 v84, s13, v91
	global_store_dword v[82:83], v84, off
.LBB36_399:
	s_or_b64 exec, exec, s[6:7]
	v_mul_f64 v[82:83], v[78:79], v[74:75]
	v_fma_f64 v[82:83], v[76:77], v[72:73], -v[82:83]
	v_mul_f64 v[76:77], v[76:77], v[74:75]
	v_fmac_f64_e32 v[76:77], v[78:79], v[72:73]
	v_cmp_lt_i32_e32 vcc, 18, v88
	s_nop 1
	v_cndmask_b32_e32 v75, v75, v77, vcc
	v_cndmask_b32_e32 v74, v74, v76, vcc
	v_lshl_add_u64 v[76:77], v[88:89], 4, v[80:81]
	global_store_dwordx4 v[76:77], v[68:71], off
	v_cndmask_b32_e32 v73, v73, v83, vcc
	v_cndmask_b32_e32 v72, v72, v82, vcc
	v_lshl_add_u64 v[68:69], s[2:3], 4, v[76:77]
	global_store_dwordx4 v[68:69], v[64:67], off
	s_nop 1
	v_add_u32_e32 v64, s12, v88
	v_ashrrev_i32_e32 v65, 31, v64
	v_lshl_add_u64 v[66:67], v[64:65], 4, v[80:81]
	global_store_dwordx4 v[66:67], v[52:55], off
	s_nop 1
	v_add_u32_e32 v52, s2, v64
	v_ashrrev_i32_e32 v53, 31, v52
	;; [unrolled: 5-line block ×3, first 2 shown]
	v_lshl_add_u64 v[42:43], v[40:41], 4, v[80:81]
	v_add_u32_e32 v40, s2, v40
	v_ashrrev_i32_e32 v41, 31, v40
	global_store_dwordx4 v[42:43], v[44:47], off
	v_lshl_add_u64 v[42:43], v[40:41], 4, v[80:81]
	global_store_dwordx4 v[42:43], v[32:35], off
	s_nop 1
	v_add_u32_e32 v32, s2, v40
	v_ashrrev_i32_e32 v33, 31, v32
	v_lshl_add_u64 v[34:35], v[32:33], 4, v[80:81]
	v_add_u32_e32 v32, s2, v32
	v_ashrrev_i32_e32 v33, 31, v32
	global_store_dwordx4 v[34:35], v[60:63], off
	v_lshl_add_u64 v[34:35], v[32:33], 4, v[80:81]
	v_add_u32_e32 v32, s2, v32
	v_ashrrev_i32_e32 v33, 31, v32
	global_store_dwordx4 v[34:35], v[56:59], off
	;; [unrolled: 4-line block ×4, first 2 shown]
	v_lshl_add_u64 v[34:35], v[32:33], 4, v[80:81]
	global_store_dwordx4 v[34:35], v[28:31], off
	s_nop 1
	v_add_u32_e32 v28, s2, v32
	v_ashrrev_i32_e32 v29, 31, v28
	v_lshl_add_u64 v[30:31], v[28:29], 4, v[80:81]
	global_store_dwordx4 v[30:31], v[24:27], off
	s_nop 1
	v_add_u32_e32 v24, s2, v28
	v_ashrrev_i32_e32 v25, 31, v24
	;; [unrolled: 5-line block ×8, first 2 shown]
	v_lshl_add_u64 v[0:1], v[0:1], 4, v[80:81]
	global_store_dwordx4 v[0:1], v[72:75], off
.LBB36_400:
	s_endpgm
	.section	.rodata,"a",@progbits
	.p2align	6, 0x0
	.amdhsa_kernel _ZN9rocsolver6v33100L18getf2_small_kernelILi19E19rocblas_complex_numIdEiiPS3_EEvT1_T3_lS5_lPS5_llPT2_S5_S5_S7_l
		.amdhsa_group_segment_fixed_size 0
		.amdhsa_private_segment_fixed_size 0
		.amdhsa_kernarg_size 352
		.amdhsa_user_sgpr_count 2
		.amdhsa_user_sgpr_dispatch_ptr 0
		.amdhsa_user_sgpr_queue_ptr 0
		.amdhsa_user_sgpr_kernarg_segment_ptr 1
		.amdhsa_user_sgpr_dispatch_id 0
		.amdhsa_user_sgpr_kernarg_preload_length 0
		.amdhsa_user_sgpr_kernarg_preload_offset 0
		.amdhsa_user_sgpr_private_segment_size 0
		.amdhsa_uses_dynamic_stack 0
		.amdhsa_enable_private_segment 0
		.amdhsa_system_sgpr_workgroup_id_x 1
		.amdhsa_system_sgpr_workgroup_id_y 1
		.amdhsa_system_sgpr_workgroup_id_z 0
		.amdhsa_system_sgpr_workgroup_info 0
		.amdhsa_system_vgpr_workitem_id 1
		.amdhsa_next_free_vgpr 114
		.amdhsa_next_free_sgpr 24
		.amdhsa_accum_offset 116
		.amdhsa_reserve_vcc 1
		.amdhsa_float_round_mode_32 0
		.amdhsa_float_round_mode_16_64 0
		.amdhsa_float_denorm_mode_32 3
		.amdhsa_float_denorm_mode_16_64 3
		.amdhsa_dx10_clamp 1
		.amdhsa_ieee_mode 1
		.amdhsa_fp16_overflow 0
		.amdhsa_tg_split 0
		.amdhsa_exception_fp_ieee_invalid_op 0
		.amdhsa_exception_fp_denorm_src 0
		.amdhsa_exception_fp_ieee_div_zero 0
		.amdhsa_exception_fp_ieee_overflow 0
		.amdhsa_exception_fp_ieee_underflow 0
		.amdhsa_exception_fp_ieee_inexact 0
		.amdhsa_exception_int_div_zero 0
	.end_amdhsa_kernel
	.section	.text._ZN9rocsolver6v33100L18getf2_small_kernelILi19E19rocblas_complex_numIdEiiPS3_EEvT1_T3_lS5_lPS5_llPT2_S5_S5_S7_l,"axG",@progbits,_ZN9rocsolver6v33100L18getf2_small_kernelILi19E19rocblas_complex_numIdEiiPS3_EEvT1_T3_lS5_lPS5_llPT2_S5_S5_S7_l,comdat
.Lfunc_end36:
	.size	_ZN9rocsolver6v33100L18getf2_small_kernelILi19E19rocblas_complex_numIdEiiPS3_EEvT1_T3_lS5_lPS5_llPT2_S5_S5_S7_l, .Lfunc_end36-_ZN9rocsolver6v33100L18getf2_small_kernelILi19E19rocblas_complex_numIdEiiPS3_EEvT1_T3_lS5_lPS5_llPT2_S5_S5_S7_l
                                        ; -- End function
	.set _ZN9rocsolver6v33100L18getf2_small_kernelILi19E19rocblas_complex_numIdEiiPS3_EEvT1_T3_lS5_lPS5_llPT2_S5_S5_S7_l.num_vgpr, 114
	.set _ZN9rocsolver6v33100L18getf2_small_kernelILi19E19rocblas_complex_numIdEiiPS3_EEvT1_T3_lS5_lPS5_llPT2_S5_S5_S7_l.num_agpr, 0
	.set _ZN9rocsolver6v33100L18getf2_small_kernelILi19E19rocblas_complex_numIdEiiPS3_EEvT1_T3_lS5_lPS5_llPT2_S5_S5_S7_l.numbered_sgpr, 24
	.set _ZN9rocsolver6v33100L18getf2_small_kernelILi19E19rocblas_complex_numIdEiiPS3_EEvT1_T3_lS5_lPS5_llPT2_S5_S5_S7_l.num_named_barrier, 0
	.set _ZN9rocsolver6v33100L18getf2_small_kernelILi19E19rocblas_complex_numIdEiiPS3_EEvT1_T3_lS5_lPS5_llPT2_S5_S5_S7_l.private_seg_size, 0
	.set _ZN9rocsolver6v33100L18getf2_small_kernelILi19E19rocblas_complex_numIdEiiPS3_EEvT1_T3_lS5_lPS5_llPT2_S5_S5_S7_l.uses_vcc, 1
	.set _ZN9rocsolver6v33100L18getf2_small_kernelILi19E19rocblas_complex_numIdEiiPS3_EEvT1_T3_lS5_lPS5_llPT2_S5_S5_S7_l.uses_flat_scratch, 0
	.set _ZN9rocsolver6v33100L18getf2_small_kernelILi19E19rocblas_complex_numIdEiiPS3_EEvT1_T3_lS5_lPS5_llPT2_S5_S5_S7_l.has_dyn_sized_stack, 0
	.set _ZN9rocsolver6v33100L18getf2_small_kernelILi19E19rocblas_complex_numIdEiiPS3_EEvT1_T3_lS5_lPS5_llPT2_S5_S5_S7_l.has_recursion, 0
	.set _ZN9rocsolver6v33100L18getf2_small_kernelILi19E19rocblas_complex_numIdEiiPS3_EEvT1_T3_lS5_lPS5_llPT2_S5_S5_S7_l.has_indirect_call, 0
	.section	.AMDGPU.csdata,"",@progbits
; Kernel info:
; codeLenInByte = 30040
; TotalNumSgprs: 30
; NumVgprs: 114
; NumAgprs: 0
; TotalNumVgprs: 114
; ScratchSize: 0
; MemoryBound: 0
; FloatMode: 240
; IeeeMode: 1
; LDSByteSize: 0 bytes/workgroup (compile time only)
; SGPRBlocks: 3
; VGPRBlocks: 14
; NumSGPRsForWavesPerEU: 30
; NumVGPRsForWavesPerEU: 114
; AccumOffset: 116
; Occupancy: 4
; WaveLimiterHint : 0
; COMPUTE_PGM_RSRC2:SCRATCH_EN: 0
; COMPUTE_PGM_RSRC2:USER_SGPR: 2
; COMPUTE_PGM_RSRC2:TRAP_HANDLER: 0
; COMPUTE_PGM_RSRC2:TGID_X_EN: 1
; COMPUTE_PGM_RSRC2:TGID_Y_EN: 1
; COMPUTE_PGM_RSRC2:TGID_Z_EN: 0
; COMPUTE_PGM_RSRC2:TIDIG_COMP_CNT: 1
; COMPUTE_PGM_RSRC3_GFX90A:ACCUM_OFFSET: 28
; COMPUTE_PGM_RSRC3_GFX90A:TG_SPLIT: 0
	.section	.text._ZN9rocsolver6v33100L23getf2_npvt_small_kernelILi19E19rocblas_complex_numIdEiiPS3_EEvT1_T3_lS5_lPT2_S5_S5_,"axG",@progbits,_ZN9rocsolver6v33100L23getf2_npvt_small_kernelILi19E19rocblas_complex_numIdEiiPS3_EEvT1_T3_lS5_lPT2_S5_S5_,comdat
	.globl	_ZN9rocsolver6v33100L23getf2_npvt_small_kernelILi19E19rocblas_complex_numIdEiiPS3_EEvT1_T3_lS5_lPT2_S5_S5_ ; -- Begin function _ZN9rocsolver6v33100L23getf2_npvt_small_kernelILi19E19rocblas_complex_numIdEiiPS3_EEvT1_T3_lS5_lPT2_S5_S5_
	.p2align	8
	.type	_ZN9rocsolver6v33100L23getf2_npvt_small_kernelILi19E19rocblas_complex_numIdEiiPS3_EEvT1_T3_lS5_lPT2_S5_S5_,@function
_ZN9rocsolver6v33100L23getf2_npvt_small_kernelILi19E19rocblas_complex_numIdEiiPS3_EEvT1_T3_lS5_lPT2_S5_S5_: ; @_ZN9rocsolver6v33100L23getf2_npvt_small_kernelILi19E19rocblas_complex_numIdEiiPS3_EEvT1_T3_lS5_lPT2_S5_S5_
; %bb.0:
	s_load_dword s2, s[0:1], 0x44
	s_load_dwordx2 s[8:9], s[0:1], 0x30
	v_bfe_u32 v76, v0, 10, 10
	s_waitcnt lgkmcnt(0)
	s_lshr_b32 s10, s2, 16
	s_mul_i32 s3, s3, s10
	v_add_u32_e32 v174, s3, v76
	v_cmp_gt_i32_e32 vcc, s8, v174
	s_and_saveexec_b64 s[2:3], vcc
	s_cbranch_execz .LBB37_174
; %bb.1:
	s_load_dwordx4 s[12:15], s[0:1], 0x8
	s_load_dword s2, s[0:1], 0x18
	s_load_dwordx4 s[4:7], s[0:1], 0x20
	v_and_b32_e32 v192, 0x3ff, v0
	v_ashrrev_i32_e32 v175, 31, v174
	s_waitcnt lgkmcnt(0)
	v_mov_b32_e32 v2, s12
	v_mov_b32_e32 v3, s13
	v_mad_u64_u32 v[0:1], s[0:1], s4, v174, 0
	v_mul_lo_u32 v4, s5, v174
	v_mul_lo_u32 v5, s4, v175
	s_add_i32 s0, s2, s2
	v_add3_u32 v1, v1, v5, v4
	v_add_u32_e32 v8, s0, v192
	v_lshl_add_u64 v[0:1], v[0:1], 4, v[2:3]
	v_add_u32_e32 v18, s2, v8
	v_lshl_add_u64 v[16:17], s[14:15], 4, v[0:1]
	v_ashrrev_i32_e32 v19, 31, v18
	v_lshl_add_u64 v[158:159], v[18:19], 4, v[16:17]
	v_add_u32_e32 v18, s2, v18
	v_ashrrev_i32_e32 v19, 31, v18
	v_lshl_add_u64 v[160:161], v[18:19], 4, v[16:17]
	v_add_u32_e32 v18, s2, v18
	;; [unrolled: 3-line block ×14, first 2 shown]
	v_ashrrev_i32_e32 v19, 31, v18
	v_lshlrev_b32_e32 v0, 4, v192
	v_mov_b32_e32 v1, 0
	v_ashrrev_i32_e32 v9, 31, v8
	v_lshl_add_u64 v[188:189], v[18:19], 4, v[16:17]
	v_add_u32_e32 v18, s2, v18
	s_ashr_i32 s3, s2, 31
	v_lshl_add_u64 v[152:153], v[16:17], 0, v[0:1]
	v_lshl_add_u64 v[156:157], v[8:9], 4, v[16:17]
	v_ashrrev_i32_e32 v19, 31, v18
	v_lshl_add_u64 v[154:155], s[2:3], 4, v[152:153]
	global_load_dwordx4 v[4:7], v[152:153], off
	global_load_dwordx4 v[0:3], v[154:155], off
	;; [unrolled: 1-line block ×4, first 2 shown]
	v_lshl_add_u64 v[190:191], v[18:19], 4, v[16:17]
	global_load_dwordx4 v[68:71], v[160:161], off
	global_load_dwordx4 v[64:67], v[162:163], off
	;; [unrolled: 1-line block ×15, first 2 shown]
	s_mulk_i32 s10, 0x130
	s_movk_i32 s0, 0x130
	s_add_i32 s1, s10, 0
	v_mad_u32_u24 v194, v76, s0, 0
	v_lshl_add_u32 v193, v76, 4, s1
	v_cmp_ne_u32_e64 s[2:3], 0, v192
	v_cmp_eq_u32_e64 s[0:1], 0, v192
	s_and_saveexec_b64 s[10:11], s[0:1]
	s_cbranch_execz .LBB37_8
; %bb.2:
	s_waitcnt vmcnt(18)
	ds_write2_b64 v193, v[4:5], v[6:7] offset1:1
	s_waitcnt vmcnt(17)
	ds_write2_b64 v194, v[0:1], v[2:3] offset0:2 offset1:3
	s_waitcnt vmcnt(16)
	ds_write2_b64 v194, v[12:13], v[14:15] offset0:4 offset1:5
	;; [unrolled: 2-line block ×18, first 2 shown]
	ds_read2_b64 v[76:79], v193 offset1:1
	s_waitcnt lgkmcnt(0)
	v_cmp_neq_f64_e32 vcc, 0, v[76:77]
	v_cmp_neq_f64_e64 s[4:5], 0, v[78:79]
	s_or_b64 s[4:5], vcc, s[4:5]
	s_and_b64 exec, exec, s[4:5]
	s_cbranch_execz .LBB37_8
; %bb.3:
	v_cmp_ngt_f64_e64 s[4:5], |v[76:77]|, |v[78:79]|
                                        ; implicit-def: $vgpr80_vgpr81
	s_and_saveexec_b64 s[12:13], s[4:5]
	s_xor_b64 s[4:5], exec, s[12:13]
                                        ; implicit-def: $vgpr82_vgpr83
	s_cbranch_execz .LBB37_5
; %bb.4:
	v_div_scale_f64 v[80:81], s[12:13], v[78:79], v[78:79], v[76:77]
	v_rcp_f64_e32 v[82:83], v[80:81]
	v_div_scale_f64 v[84:85], vcc, v[76:77], v[78:79], v[76:77]
	v_fma_f64 v[86:87], -v[80:81], v[82:83], 1.0
	v_fmac_f64_e32 v[82:83], v[82:83], v[86:87]
	v_fma_f64 v[86:87], -v[80:81], v[82:83], 1.0
	v_fmac_f64_e32 v[82:83], v[82:83], v[86:87]
	v_mul_f64 v[86:87], v[84:85], v[82:83]
	v_fma_f64 v[80:81], -v[80:81], v[86:87], v[84:85]
	v_div_fmas_f64 v[80:81], v[80:81], v[82:83], v[86:87]
	v_div_fixup_f64 v[80:81], v[80:81], v[78:79], v[76:77]
	v_fmac_f64_e32 v[78:79], v[76:77], v[80:81]
	v_div_scale_f64 v[76:77], s[12:13], v[78:79], v[78:79], 1.0
	v_rcp_f64_e32 v[82:83], v[76:77]
	s_nop 0
	v_fma_f64 v[84:85], -v[76:77], v[82:83], 1.0
	v_fmac_f64_e32 v[82:83], v[82:83], v[84:85]
	v_fma_f64 v[84:85], -v[76:77], v[82:83], 1.0
	v_fmac_f64_e32 v[82:83], v[82:83], v[84:85]
	v_div_scale_f64 v[84:85], vcc, 1.0, v[78:79], 1.0
	v_mul_f64 v[86:87], v[84:85], v[82:83]
	v_fma_f64 v[76:77], -v[76:77], v[86:87], v[84:85]
	s_nop 1
	v_div_fmas_f64 v[76:77], v[76:77], v[82:83], v[86:87]
	v_div_fixup_f64 v[82:83], v[76:77], v[78:79], 1.0
	v_mul_f64 v[80:81], v[80:81], v[82:83]
	v_xor_b32_e32 v83, 0x80000000, v83
                                        ; implicit-def: $vgpr76_vgpr77
.LBB37_5:
	s_andn2_saveexec_b64 s[4:5], s[4:5]
	s_cbranch_execz .LBB37_7
; %bb.6:
	v_div_scale_f64 v[80:81], s[12:13], v[76:77], v[76:77], v[78:79]
	v_rcp_f64_e32 v[82:83], v[80:81]
	v_div_scale_f64 v[84:85], vcc, v[78:79], v[76:77], v[78:79]
	v_fma_f64 v[86:87], -v[80:81], v[82:83], 1.0
	v_fmac_f64_e32 v[82:83], v[82:83], v[86:87]
	v_fma_f64 v[86:87], -v[80:81], v[82:83], 1.0
	v_fmac_f64_e32 v[82:83], v[82:83], v[86:87]
	v_mul_f64 v[86:87], v[84:85], v[82:83]
	v_fma_f64 v[80:81], -v[80:81], v[86:87], v[84:85]
	v_div_fmas_f64 v[80:81], v[80:81], v[82:83], v[86:87]
	v_div_fixup_f64 v[82:83], v[80:81], v[76:77], v[78:79]
	v_fmac_f64_e32 v[76:77], v[78:79], v[82:83]
	v_div_scale_f64 v[78:79], s[12:13], v[76:77], v[76:77], 1.0
	v_rcp_f64_e32 v[80:81], v[78:79]
	s_nop 0
	v_fma_f64 v[84:85], -v[78:79], v[80:81], 1.0
	v_fmac_f64_e32 v[80:81], v[80:81], v[84:85]
	v_fma_f64 v[84:85], -v[78:79], v[80:81], 1.0
	v_fmac_f64_e32 v[80:81], v[80:81], v[84:85]
	v_div_scale_f64 v[84:85], vcc, 1.0, v[76:77], 1.0
	v_mul_f64 v[86:87], v[84:85], v[80:81]
	v_fma_f64 v[78:79], -v[78:79], v[86:87], v[84:85]
	s_nop 1
	v_div_fmas_f64 v[78:79], v[78:79], v[80:81], v[86:87]
	v_div_fixup_f64 v[80:81], v[78:79], v[76:77], 1.0
	v_mul_f64 v[82:83], v[82:83], -v[80:81]
.LBB37_7:
	s_or_b64 exec, exec, s[4:5]
	ds_write2_b64 v193, v[80:81], v[82:83] offset1:1
.LBB37_8:
	s_or_b64 exec, exec, s[10:11]
	s_waitcnt lgkmcnt(0)
	s_barrier
	ds_read2_b64 v[76:79], v193 offset1:1
	s_and_saveexec_b64 s[4:5], s[2:3]
	s_cbranch_execz .LBB37_10
; %bb.9:
	ds_read2_b64 v[82:85], v194 offset0:2 offset1:3
	ds_read2_b64 v[86:89], v194 offset0:4 offset1:5
	s_waitcnt vmcnt(18) lgkmcnt(2)
	v_mul_f64 v[80:81], v[78:79], v[6:7]
	v_mul_f64 v[6:7], v[76:77], v[6:7]
	v_fmac_f64_e32 v[6:7], v[78:79], v[4:5]
	v_fma_f64 v[80:81], v[76:77], v[4:5], -v[80:81]
	s_waitcnt lgkmcnt(1)
	v_mul_f64 v[4:5], v[84:85], v[6:7]
	v_fma_f64 v[4:5], v[82:83], v[80:81], -v[4:5]
	v_mul_f64 v[82:83], v[82:83], v[6:7]
	v_fmac_f64_e32 v[82:83], v[84:85], v[80:81]
	s_waitcnt vmcnt(17)
	v_add_f64 v[0:1], v[0:1], -v[4:5]
	v_add_f64 v[2:3], v[2:3], -v[82:83]
	s_waitcnt lgkmcnt(0)
	v_mul_f64 v[4:5], v[88:89], v[6:7]
	ds_read2_b64 v[82:85], v194 offset0:6 offset1:7
	v_fma_f64 v[4:5], v[86:87], v[80:81], -v[4:5]
	v_mul_f64 v[86:87], v[86:87], v[6:7]
	v_fmac_f64_e32 v[86:87], v[88:89], v[80:81]
	s_waitcnt vmcnt(16)
	v_add_f64 v[14:15], v[14:15], -v[86:87]
	ds_read2_b64 v[86:89], v194 offset0:8 offset1:9
	v_add_f64 v[12:13], v[12:13], -v[4:5]
	s_waitcnt lgkmcnt(1)
	v_mul_f64 v[4:5], v[84:85], v[6:7]
	v_fma_f64 v[4:5], v[82:83], v[80:81], -v[4:5]
	v_mul_f64 v[82:83], v[82:83], v[6:7]
	v_fmac_f64_e32 v[82:83], v[84:85], v[80:81]
	s_waitcnt vmcnt(15)
	v_add_f64 v[8:9], v[8:9], -v[4:5]
	v_add_f64 v[10:11], v[10:11], -v[82:83]
	s_waitcnt lgkmcnt(0)
	v_mul_f64 v[4:5], v[88:89], v[6:7]
	ds_read2_b64 v[82:85], v194 offset0:10 offset1:11
	v_fma_f64 v[4:5], v[86:87], v[80:81], -v[4:5]
	v_mul_f64 v[86:87], v[86:87], v[6:7]
	v_fmac_f64_e32 v[86:87], v[88:89], v[80:81]
	s_waitcnt vmcnt(14)
	v_add_f64 v[70:71], v[70:71], -v[86:87]
	ds_read2_b64 v[86:89], v194 offset0:12 offset1:13
	v_add_f64 v[68:69], v[68:69], -v[4:5]
	;; [unrolled: 18-line block ×8, first 2 shown]
	s_waitcnt lgkmcnt(1)
	v_mul_f64 v[4:5], v[84:85], v[6:7]
	v_fma_f64 v[4:5], v[82:83], v[80:81], -v[4:5]
	v_mul_f64 v[82:83], v[82:83], v[6:7]
	v_fmac_f64_e32 v[82:83], v[84:85], v[80:81]
	s_waitcnt vmcnt(1)
	v_add_f64 v[16:17], v[16:17], -v[4:5]
	v_add_f64 v[18:19], v[18:19], -v[82:83]
	s_waitcnt lgkmcnt(0)
	v_mul_f64 v[4:5], v[88:89], v[6:7]
	v_mul_f64 v[82:83], v[86:87], v[6:7]
	v_fma_f64 v[4:5], v[86:87], v[80:81], -v[4:5]
	v_fmac_f64_e32 v[82:83], v[88:89], v[80:81]
	s_waitcnt vmcnt(0)
	v_add_f64 v[72:73], v[72:73], -v[4:5]
	v_add_f64 v[74:75], v[74:75], -v[82:83]
	v_mov_b64_e32 v[4:5], v[80:81]
.LBB37_10:
	s_or_b64 exec, exec, s[4:5]
	v_cmp_eq_u32_e32 vcc, 1, v192
	s_waitcnt lgkmcnt(0)
	s_barrier
	s_and_saveexec_b64 s[4:5], vcc
	s_cbranch_execz .LBB37_17
; %bb.11:
	s_waitcnt vmcnt(17)
	ds_write2_b64 v193, v[0:1], v[2:3] offset1:1
	s_waitcnt vmcnt(16)
	ds_write2_b64 v194, v[12:13], v[14:15] offset0:4 offset1:5
	s_waitcnt vmcnt(15)
	ds_write2_b64 v194, v[8:9], v[10:11] offset0:6 offset1:7
	;; [unrolled: 2-line block ×17, first 2 shown]
	ds_read2_b64 v[80:83], v193 offset1:1
	s_waitcnt lgkmcnt(0)
	v_cmp_neq_f64_e32 vcc, 0, v[80:81]
	v_cmp_neq_f64_e64 s[2:3], 0, v[82:83]
	s_or_b64 s[2:3], vcc, s[2:3]
	s_and_b64 exec, exec, s[2:3]
	s_cbranch_execz .LBB37_17
; %bb.12:
	v_cmp_ngt_f64_e64 s[2:3], |v[80:81]|, |v[82:83]|
                                        ; implicit-def: $vgpr84_vgpr85
	s_and_saveexec_b64 s[10:11], s[2:3]
	s_xor_b64 s[2:3], exec, s[10:11]
                                        ; implicit-def: $vgpr86_vgpr87
	s_cbranch_execz .LBB37_14
; %bb.13:
	v_div_scale_f64 v[84:85], s[10:11], v[82:83], v[82:83], v[80:81]
	v_rcp_f64_e32 v[86:87], v[84:85]
	v_div_scale_f64 v[88:89], vcc, v[80:81], v[82:83], v[80:81]
	v_fma_f64 v[90:91], -v[84:85], v[86:87], 1.0
	v_fmac_f64_e32 v[86:87], v[86:87], v[90:91]
	v_fma_f64 v[90:91], -v[84:85], v[86:87], 1.0
	v_fmac_f64_e32 v[86:87], v[86:87], v[90:91]
	v_mul_f64 v[90:91], v[88:89], v[86:87]
	v_fma_f64 v[84:85], -v[84:85], v[90:91], v[88:89]
	v_div_fmas_f64 v[84:85], v[84:85], v[86:87], v[90:91]
	v_div_fixup_f64 v[84:85], v[84:85], v[82:83], v[80:81]
	v_fmac_f64_e32 v[82:83], v[80:81], v[84:85]
	v_div_scale_f64 v[80:81], s[10:11], v[82:83], v[82:83], 1.0
	v_rcp_f64_e32 v[86:87], v[80:81]
	s_nop 0
	v_fma_f64 v[88:89], -v[80:81], v[86:87], 1.0
	v_fmac_f64_e32 v[86:87], v[86:87], v[88:89]
	v_fma_f64 v[88:89], -v[80:81], v[86:87], 1.0
	v_fmac_f64_e32 v[86:87], v[86:87], v[88:89]
	v_div_scale_f64 v[88:89], vcc, 1.0, v[82:83], 1.0
	v_mul_f64 v[90:91], v[88:89], v[86:87]
	v_fma_f64 v[80:81], -v[80:81], v[90:91], v[88:89]
	s_nop 1
	v_div_fmas_f64 v[80:81], v[80:81], v[86:87], v[90:91]
	v_div_fixup_f64 v[86:87], v[80:81], v[82:83], 1.0
	v_mul_f64 v[84:85], v[84:85], v[86:87]
	v_xor_b32_e32 v87, 0x80000000, v87
                                        ; implicit-def: $vgpr80_vgpr81
.LBB37_14:
	s_andn2_saveexec_b64 s[2:3], s[2:3]
	s_cbranch_execz .LBB37_16
; %bb.15:
	v_div_scale_f64 v[84:85], s[10:11], v[80:81], v[80:81], v[82:83]
	v_rcp_f64_e32 v[86:87], v[84:85]
	v_div_scale_f64 v[88:89], vcc, v[82:83], v[80:81], v[82:83]
	v_fma_f64 v[90:91], -v[84:85], v[86:87], 1.0
	v_fmac_f64_e32 v[86:87], v[86:87], v[90:91]
	v_fma_f64 v[90:91], -v[84:85], v[86:87], 1.0
	v_fmac_f64_e32 v[86:87], v[86:87], v[90:91]
	v_mul_f64 v[90:91], v[88:89], v[86:87]
	v_fma_f64 v[84:85], -v[84:85], v[90:91], v[88:89]
	v_div_fmas_f64 v[84:85], v[84:85], v[86:87], v[90:91]
	v_div_fixup_f64 v[86:87], v[84:85], v[80:81], v[82:83]
	v_fmac_f64_e32 v[80:81], v[82:83], v[86:87]
	v_div_scale_f64 v[82:83], s[10:11], v[80:81], v[80:81], 1.0
	v_rcp_f64_e32 v[84:85], v[82:83]
	s_nop 0
	v_fma_f64 v[88:89], -v[82:83], v[84:85], 1.0
	v_fmac_f64_e32 v[84:85], v[84:85], v[88:89]
	v_fma_f64 v[88:89], -v[82:83], v[84:85], 1.0
	v_fmac_f64_e32 v[84:85], v[84:85], v[88:89]
	v_div_scale_f64 v[88:89], vcc, 1.0, v[80:81], 1.0
	v_mul_f64 v[90:91], v[88:89], v[84:85]
	v_fma_f64 v[82:83], -v[82:83], v[90:91], v[88:89]
	s_nop 1
	v_div_fmas_f64 v[82:83], v[82:83], v[84:85], v[90:91]
	v_div_fixup_f64 v[84:85], v[82:83], v[80:81], 1.0
	v_mul_f64 v[86:87], v[86:87], -v[84:85]
.LBB37_16:
	s_or_b64 exec, exec, s[2:3]
	ds_write2_b64 v193, v[84:85], v[86:87] offset1:1
.LBB37_17:
	s_or_b64 exec, exec, s[4:5]
	s_waitcnt lgkmcnt(0)
	s_barrier
	ds_read2_b64 v[80:83], v193 offset1:1
	v_cmp_lt_u32_e32 vcc, 1, v192
	s_and_saveexec_b64 s[2:3], vcc
	s_cbranch_execz .LBB37_19
; %bb.18:
	ds_read2_b64 v[86:89], v194 offset0:4 offset1:5
	ds_read2_b64 v[90:93], v194 offset0:6 offset1:7
	s_waitcnt vmcnt(17) lgkmcnt(2)
	v_mul_f64 v[84:85], v[82:83], v[2:3]
	v_mul_f64 v[2:3], v[80:81], v[2:3]
	v_fmac_f64_e32 v[2:3], v[82:83], v[0:1]
	v_fma_f64 v[84:85], v[80:81], v[0:1], -v[84:85]
	s_waitcnt lgkmcnt(1)
	v_mul_f64 v[0:1], v[88:89], v[2:3]
	v_fma_f64 v[0:1], v[86:87], v[84:85], -v[0:1]
	v_mul_f64 v[86:87], v[86:87], v[2:3]
	v_fmac_f64_e32 v[86:87], v[88:89], v[84:85]
	s_waitcnt vmcnt(16)
	v_add_f64 v[14:15], v[14:15], -v[86:87]
	ds_read2_b64 v[86:89], v194 offset0:8 offset1:9
	v_add_f64 v[12:13], v[12:13], -v[0:1]
	s_waitcnt lgkmcnt(1)
	v_mul_f64 v[0:1], v[92:93], v[2:3]
	v_fma_f64 v[0:1], v[90:91], v[84:85], -v[0:1]
	v_mul_f64 v[90:91], v[90:91], v[2:3]
	v_fmac_f64_e32 v[90:91], v[92:93], v[84:85]
	s_waitcnt vmcnt(15)
	v_add_f64 v[8:9], v[8:9], -v[0:1]
	v_add_f64 v[10:11], v[10:11], -v[90:91]
	ds_read2_b64 v[90:93], v194 offset0:10 offset1:11
	s_waitcnt lgkmcnt(1)
	v_mul_f64 v[0:1], v[88:89], v[2:3]
	v_fma_f64 v[0:1], v[86:87], v[84:85], -v[0:1]
	v_mul_f64 v[86:87], v[86:87], v[2:3]
	v_fmac_f64_e32 v[86:87], v[88:89], v[84:85]
	s_waitcnt vmcnt(14)
	v_add_f64 v[70:71], v[70:71], -v[86:87]
	ds_read2_b64 v[86:89], v194 offset0:12 offset1:13
	v_add_f64 v[68:69], v[68:69], -v[0:1]
	s_waitcnt lgkmcnt(1)
	v_mul_f64 v[0:1], v[92:93], v[2:3]
	v_fma_f64 v[0:1], v[90:91], v[84:85], -v[0:1]
	v_mul_f64 v[90:91], v[90:91], v[2:3]
	v_fmac_f64_e32 v[90:91], v[92:93], v[84:85]
	s_waitcnt vmcnt(13)
	v_add_f64 v[64:65], v[64:65], -v[0:1]
	v_add_f64 v[66:67], v[66:67], -v[90:91]
	ds_read2_b64 v[90:93], v194 offset0:14 offset1:15
	;; [unrolled: 18-line block ×7, first 2 shown]
	s_waitcnt lgkmcnt(1)
	v_mul_f64 v[0:1], v[88:89], v[2:3]
	v_fma_f64 v[0:1], v[86:87], v[84:85], -v[0:1]
	v_mul_f64 v[86:87], v[86:87], v[2:3]
	v_fmac_f64_e32 v[86:87], v[88:89], v[84:85]
	s_waitcnt vmcnt(2)
	v_add_f64 v[22:23], v[22:23], -v[86:87]
	ds_read2_b64 v[86:89], v194 offset0:36 offset1:37
	v_add_f64 v[20:21], v[20:21], -v[0:1]
	s_waitcnt lgkmcnt(1)
	v_mul_f64 v[0:1], v[92:93], v[2:3]
	v_fma_f64 v[0:1], v[90:91], v[84:85], -v[0:1]
	s_waitcnt vmcnt(1)
	v_add_f64 v[16:17], v[16:17], -v[0:1]
	s_waitcnt lgkmcnt(0)
	v_mul_f64 v[0:1], v[88:89], v[2:3]
	v_mul_f64 v[90:91], v[90:91], v[2:3]
	v_fma_f64 v[0:1], v[86:87], v[84:85], -v[0:1]
	v_mul_f64 v[86:87], v[86:87], v[2:3]
	v_fmac_f64_e32 v[90:91], v[92:93], v[84:85]
	v_fmac_f64_e32 v[86:87], v[88:89], v[84:85]
	v_add_f64 v[18:19], v[18:19], -v[90:91]
	s_waitcnt vmcnt(0)
	v_add_f64 v[72:73], v[72:73], -v[0:1]
	v_add_f64 v[74:75], v[74:75], -v[86:87]
	v_mov_b64_e32 v[0:1], v[84:85]
.LBB37_19:
	s_or_b64 exec, exec, s[2:3]
	v_cmp_eq_u32_e32 vcc, 2, v192
	s_waitcnt lgkmcnt(0)
	s_barrier
	s_and_saveexec_b64 s[4:5], vcc
	s_cbranch_execz .LBB37_26
; %bb.20:
	s_waitcnt vmcnt(16)
	ds_write2_b64 v193, v[12:13], v[14:15] offset1:1
	s_waitcnt vmcnt(15)
	ds_write2_b64 v194, v[8:9], v[10:11] offset0:6 offset1:7
	s_waitcnt vmcnt(14)
	ds_write2_b64 v194, v[68:69], v[70:71] offset0:8 offset1:9
	;; [unrolled: 2-line block ×16, first 2 shown]
	ds_read2_b64 v[84:87], v193 offset1:1
	s_waitcnt lgkmcnt(0)
	v_cmp_neq_f64_e32 vcc, 0, v[84:85]
	v_cmp_neq_f64_e64 s[2:3], 0, v[86:87]
	s_or_b64 s[2:3], vcc, s[2:3]
	s_and_b64 exec, exec, s[2:3]
	s_cbranch_execz .LBB37_26
; %bb.21:
	v_cmp_ngt_f64_e64 s[2:3], |v[84:85]|, |v[86:87]|
                                        ; implicit-def: $vgpr88_vgpr89
	s_and_saveexec_b64 s[10:11], s[2:3]
	s_xor_b64 s[2:3], exec, s[10:11]
                                        ; implicit-def: $vgpr90_vgpr91
	s_cbranch_execz .LBB37_23
; %bb.22:
	v_div_scale_f64 v[88:89], s[10:11], v[86:87], v[86:87], v[84:85]
	v_rcp_f64_e32 v[90:91], v[88:89]
	v_div_scale_f64 v[92:93], vcc, v[84:85], v[86:87], v[84:85]
	v_fma_f64 v[94:95], -v[88:89], v[90:91], 1.0
	v_fmac_f64_e32 v[90:91], v[90:91], v[94:95]
	v_fma_f64 v[94:95], -v[88:89], v[90:91], 1.0
	v_fmac_f64_e32 v[90:91], v[90:91], v[94:95]
	v_mul_f64 v[94:95], v[92:93], v[90:91]
	v_fma_f64 v[88:89], -v[88:89], v[94:95], v[92:93]
	v_div_fmas_f64 v[88:89], v[88:89], v[90:91], v[94:95]
	v_div_fixup_f64 v[88:89], v[88:89], v[86:87], v[84:85]
	v_fmac_f64_e32 v[86:87], v[84:85], v[88:89]
	v_div_scale_f64 v[84:85], s[10:11], v[86:87], v[86:87], 1.0
	v_rcp_f64_e32 v[90:91], v[84:85]
	s_nop 0
	v_fma_f64 v[92:93], -v[84:85], v[90:91], 1.0
	v_fmac_f64_e32 v[90:91], v[90:91], v[92:93]
	v_fma_f64 v[92:93], -v[84:85], v[90:91], 1.0
	v_fmac_f64_e32 v[90:91], v[90:91], v[92:93]
	v_div_scale_f64 v[92:93], vcc, 1.0, v[86:87], 1.0
	v_mul_f64 v[94:95], v[92:93], v[90:91]
	v_fma_f64 v[84:85], -v[84:85], v[94:95], v[92:93]
	s_nop 1
	v_div_fmas_f64 v[84:85], v[84:85], v[90:91], v[94:95]
	v_div_fixup_f64 v[90:91], v[84:85], v[86:87], 1.0
	v_mul_f64 v[88:89], v[88:89], v[90:91]
	v_xor_b32_e32 v91, 0x80000000, v91
                                        ; implicit-def: $vgpr84_vgpr85
.LBB37_23:
	s_andn2_saveexec_b64 s[2:3], s[2:3]
	s_cbranch_execz .LBB37_25
; %bb.24:
	v_div_scale_f64 v[88:89], s[10:11], v[84:85], v[84:85], v[86:87]
	v_rcp_f64_e32 v[90:91], v[88:89]
	v_div_scale_f64 v[92:93], vcc, v[86:87], v[84:85], v[86:87]
	v_fma_f64 v[94:95], -v[88:89], v[90:91], 1.0
	v_fmac_f64_e32 v[90:91], v[90:91], v[94:95]
	v_fma_f64 v[94:95], -v[88:89], v[90:91], 1.0
	v_fmac_f64_e32 v[90:91], v[90:91], v[94:95]
	v_mul_f64 v[94:95], v[92:93], v[90:91]
	v_fma_f64 v[88:89], -v[88:89], v[94:95], v[92:93]
	v_div_fmas_f64 v[88:89], v[88:89], v[90:91], v[94:95]
	v_div_fixup_f64 v[90:91], v[88:89], v[84:85], v[86:87]
	v_fmac_f64_e32 v[84:85], v[86:87], v[90:91]
	v_div_scale_f64 v[86:87], s[10:11], v[84:85], v[84:85], 1.0
	v_rcp_f64_e32 v[88:89], v[86:87]
	s_nop 0
	v_fma_f64 v[92:93], -v[86:87], v[88:89], 1.0
	v_fmac_f64_e32 v[88:89], v[88:89], v[92:93]
	v_fma_f64 v[92:93], -v[86:87], v[88:89], 1.0
	v_fmac_f64_e32 v[88:89], v[88:89], v[92:93]
	v_div_scale_f64 v[92:93], vcc, 1.0, v[84:85], 1.0
	v_mul_f64 v[94:95], v[92:93], v[88:89]
	v_fma_f64 v[86:87], -v[86:87], v[94:95], v[92:93]
	s_nop 1
	v_div_fmas_f64 v[86:87], v[86:87], v[88:89], v[94:95]
	v_div_fixup_f64 v[88:89], v[86:87], v[84:85], 1.0
	v_mul_f64 v[90:91], v[90:91], -v[88:89]
.LBB37_25:
	s_or_b64 exec, exec, s[2:3]
	ds_write2_b64 v193, v[88:89], v[90:91] offset1:1
.LBB37_26:
	s_or_b64 exec, exec, s[4:5]
	s_waitcnt lgkmcnt(0)
	s_barrier
	ds_read2_b64 v[84:87], v193 offset1:1
	v_cmp_lt_u32_e32 vcc, 2, v192
	s_and_saveexec_b64 s[2:3], vcc
	s_cbranch_execz .LBB37_28
; %bb.27:
	ds_read2_b64 v[90:93], v194 offset0:6 offset1:7
	ds_read2_b64 v[94:97], v194 offset0:8 offset1:9
	s_waitcnt vmcnt(16) lgkmcnt(2)
	v_mul_f64 v[88:89], v[84:85], v[14:15]
	v_fmac_f64_e32 v[88:89], v[86:87], v[12:13]
	v_mul_f64 v[14:15], v[86:87], v[14:15]
	v_fma_f64 v[12:13], v[84:85], v[12:13], -v[14:15]
	s_waitcnt lgkmcnt(1)
	v_mul_f64 v[14:15], v[92:93], v[88:89]
	v_fma_f64 v[14:15], v[90:91], v[12:13], -v[14:15]
	v_mul_f64 v[90:91], v[90:91], v[88:89]
	v_fmac_f64_e32 v[90:91], v[92:93], v[12:13]
	s_waitcnt vmcnt(15)
	v_add_f64 v[8:9], v[8:9], -v[14:15]
	v_add_f64 v[10:11], v[10:11], -v[90:91]
	s_waitcnt lgkmcnt(0)
	v_mul_f64 v[14:15], v[96:97], v[88:89]
	ds_read2_b64 v[90:93], v194 offset0:10 offset1:11
	v_fma_f64 v[14:15], v[94:95], v[12:13], -v[14:15]
	v_mul_f64 v[94:95], v[94:95], v[88:89]
	v_fmac_f64_e32 v[94:95], v[96:97], v[12:13]
	s_waitcnt vmcnt(14)
	v_add_f64 v[70:71], v[70:71], -v[94:95]
	ds_read2_b64 v[94:97], v194 offset0:12 offset1:13
	v_add_f64 v[68:69], v[68:69], -v[14:15]
	s_waitcnt lgkmcnt(1)
	v_mul_f64 v[14:15], v[92:93], v[88:89]
	v_fma_f64 v[14:15], v[90:91], v[12:13], -v[14:15]
	v_mul_f64 v[90:91], v[90:91], v[88:89]
	v_fmac_f64_e32 v[90:91], v[92:93], v[12:13]
	s_waitcnt vmcnt(13)
	v_add_f64 v[64:65], v[64:65], -v[14:15]
	v_add_f64 v[66:67], v[66:67], -v[90:91]
	s_waitcnt lgkmcnt(0)
	v_mul_f64 v[14:15], v[96:97], v[88:89]
	ds_read2_b64 v[90:93], v194 offset0:14 offset1:15
	v_fma_f64 v[14:15], v[94:95], v[12:13], -v[14:15]
	v_mul_f64 v[94:95], v[94:95], v[88:89]
	v_fmac_f64_e32 v[94:95], v[96:97], v[12:13]
	s_waitcnt vmcnt(12)
	v_add_f64 v[62:63], v[62:63], -v[94:95]
	ds_read2_b64 v[94:97], v194 offset0:16 offset1:17
	v_add_f64 v[60:61], v[60:61], -v[14:15]
	;; [unrolled: 18-line block ×7, first 2 shown]
	s_waitcnt lgkmcnt(1)
	v_mul_f64 v[14:15], v[92:93], v[88:89]
	v_fma_f64 v[14:15], v[90:91], v[12:13], -v[14:15]
	v_mul_f64 v[90:91], v[90:91], v[88:89]
	v_fmac_f64_e32 v[90:91], v[92:93], v[12:13]
	s_waitcnt vmcnt(1)
	v_add_f64 v[16:17], v[16:17], -v[14:15]
	v_add_f64 v[18:19], v[18:19], -v[90:91]
	s_waitcnt lgkmcnt(0)
	v_mul_f64 v[14:15], v[96:97], v[88:89]
	v_mul_f64 v[90:91], v[94:95], v[88:89]
	v_fma_f64 v[14:15], v[94:95], v[12:13], -v[14:15]
	v_fmac_f64_e32 v[90:91], v[96:97], v[12:13]
	s_waitcnt vmcnt(0)
	v_add_f64 v[72:73], v[72:73], -v[14:15]
	v_add_f64 v[74:75], v[74:75], -v[90:91]
	v_mov_b64_e32 v[14:15], v[88:89]
.LBB37_28:
	s_or_b64 exec, exec, s[2:3]
	v_cmp_eq_u32_e32 vcc, 3, v192
	s_waitcnt lgkmcnt(0)
	s_barrier
	s_and_saveexec_b64 s[4:5], vcc
	s_cbranch_execz .LBB37_35
; %bb.29:
	s_waitcnt vmcnt(15)
	ds_write2_b64 v193, v[8:9], v[10:11] offset1:1
	s_waitcnt vmcnt(14)
	ds_write2_b64 v194, v[68:69], v[70:71] offset0:8 offset1:9
	s_waitcnt vmcnt(13)
	ds_write2_b64 v194, v[64:65], v[66:67] offset0:10 offset1:11
	;; [unrolled: 2-line block ×15, first 2 shown]
	ds_read2_b64 v[88:91], v193 offset1:1
	s_waitcnt lgkmcnt(0)
	v_cmp_neq_f64_e32 vcc, 0, v[88:89]
	v_cmp_neq_f64_e64 s[2:3], 0, v[90:91]
	s_or_b64 s[2:3], vcc, s[2:3]
	s_and_b64 exec, exec, s[2:3]
	s_cbranch_execz .LBB37_35
; %bb.30:
	v_cmp_ngt_f64_e64 s[2:3], |v[88:89]|, |v[90:91]|
                                        ; implicit-def: $vgpr92_vgpr93
	s_and_saveexec_b64 s[10:11], s[2:3]
	s_xor_b64 s[2:3], exec, s[10:11]
                                        ; implicit-def: $vgpr94_vgpr95
	s_cbranch_execz .LBB37_32
; %bb.31:
	v_div_scale_f64 v[92:93], s[10:11], v[90:91], v[90:91], v[88:89]
	v_rcp_f64_e32 v[94:95], v[92:93]
	v_div_scale_f64 v[96:97], vcc, v[88:89], v[90:91], v[88:89]
	v_fma_f64 v[98:99], -v[92:93], v[94:95], 1.0
	v_fmac_f64_e32 v[94:95], v[94:95], v[98:99]
	v_fma_f64 v[98:99], -v[92:93], v[94:95], 1.0
	v_fmac_f64_e32 v[94:95], v[94:95], v[98:99]
	v_mul_f64 v[98:99], v[96:97], v[94:95]
	v_fma_f64 v[92:93], -v[92:93], v[98:99], v[96:97]
	v_div_fmas_f64 v[92:93], v[92:93], v[94:95], v[98:99]
	v_div_fixup_f64 v[92:93], v[92:93], v[90:91], v[88:89]
	v_fmac_f64_e32 v[90:91], v[88:89], v[92:93]
	v_div_scale_f64 v[88:89], s[10:11], v[90:91], v[90:91], 1.0
	v_rcp_f64_e32 v[94:95], v[88:89]
	s_nop 0
	v_fma_f64 v[96:97], -v[88:89], v[94:95], 1.0
	v_fmac_f64_e32 v[94:95], v[94:95], v[96:97]
	v_fma_f64 v[96:97], -v[88:89], v[94:95], 1.0
	v_fmac_f64_e32 v[94:95], v[94:95], v[96:97]
	v_div_scale_f64 v[96:97], vcc, 1.0, v[90:91], 1.0
	v_mul_f64 v[98:99], v[96:97], v[94:95]
	v_fma_f64 v[88:89], -v[88:89], v[98:99], v[96:97]
	s_nop 1
	v_div_fmas_f64 v[88:89], v[88:89], v[94:95], v[98:99]
	v_div_fixup_f64 v[94:95], v[88:89], v[90:91], 1.0
	v_mul_f64 v[92:93], v[92:93], v[94:95]
	v_xor_b32_e32 v95, 0x80000000, v95
                                        ; implicit-def: $vgpr88_vgpr89
.LBB37_32:
	s_andn2_saveexec_b64 s[2:3], s[2:3]
	s_cbranch_execz .LBB37_34
; %bb.33:
	v_div_scale_f64 v[92:93], s[10:11], v[88:89], v[88:89], v[90:91]
	v_rcp_f64_e32 v[94:95], v[92:93]
	v_div_scale_f64 v[96:97], vcc, v[90:91], v[88:89], v[90:91]
	v_fma_f64 v[98:99], -v[92:93], v[94:95], 1.0
	v_fmac_f64_e32 v[94:95], v[94:95], v[98:99]
	v_fma_f64 v[98:99], -v[92:93], v[94:95], 1.0
	v_fmac_f64_e32 v[94:95], v[94:95], v[98:99]
	v_mul_f64 v[98:99], v[96:97], v[94:95]
	v_fma_f64 v[92:93], -v[92:93], v[98:99], v[96:97]
	v_div_fmas_f64 v[92:93], v[92:93], v[94:95], v[98:99]
	v_div_fixup_f64 v[94:95], v[92:93], v[88:89], v[90:91]
	v_fmac_f64_e32 v[88:89], v[90:91], v[94:95]
	v_div_scale_f64 v[90:91], s[10:11], v[88:89], v[88:89], 1.0
	v_rcp_f64_e32 v[92:93], v[90:91]
	s_nop 0
	v_fma_f64 v[96:97], -v[90:91], v[92:93], 1.0
	v_fmac_f64_e32 v[92:93], v[92:93], v[96:97]
	v_fma_f64 v[96:97], -v[90:91], v[92:93], 1.0
	v_fmac_f64_e32 v[92:93], v[92:93], v[96:97]
	v_div_scale_f64 v[96:97], vcc, 1.0, v[88:89], 1.0
	v_mul_f64 v[98:99], v[96:97], v[92:93]
	v_fma_f64 v[90:91], -v[90:91], v[98:99], v[96:97]
	s_nop 1
	v_div_fmas_f64 v[90:91], v[90:91], v[92:93], v[98:99]
	v_div_fixup_f64 v[92:93], v[90:91], v[88:89], 1.0
	v_mul_f64 v[94:95], v[94:95], -v[92:93]
.LBB37_34:
	s_or_b64 exec, exec, s[2:3]
	ds_write2_b64 v193, v[92:93], v[94:95] offset1:1
.LBB37_35:
	s_or_b64 exec, exec, s[4:5]
	s_waitcnt lgkmcnt(0)
	s_barrier
	ds_read2_b64 v[88:91], v193 offset1:1
	v_cmp_lt_u32_e32 vcc, 3, v192
	s_and_saveexec_b64 s[2:3], vcc
	s_cbranch_execz .LBB37_37
; %bb.36:
	ds_read2_b64 v[94:97], v194 offset0:8 offset1:9
	ds_read2_b64 v[98:101], v194 offset0:10 offset1:11
	s_waitcnt vmcnt(15) lgkmcnt(2)
	v_mul_f64 v[92:93], v[88:89], v[10:11]
	v_fmac_f64_e32 v[92:93], v[90:91], v[8:9]
	v_mul_f64 v[10:11], v[90:91], v[10:11]
	v_fma_f64 v[8:9], v[88:89], v[8:9], -v[10:11]
	s_waitcnt lgkmcnt(1)
	v_mul_f64 v[10:11], v[96:97], v[92:93]
	v_fma_f64 v[10:11], v[94:95], v[8:9], -v[10:11]
	v_mul_f64 v[94:95], v[94:95], v[92:93]
	v_fmac_f64_e32 v[94:95], v[96:97], v[8:9]
	s_waitcnt vmcnt(14)
	v_add_f64 v[70:71], v[70:71], -v[94:95]
	ds_read2_b64 v[94:97], v194 offset0:12 offset1:13
	v_add_f64 v[68:69], v[68:69], -v[10:11]
	s_waitcnt lgkmcnt(1)
	v_mul_f64 v[10:11], v[100:101], v[92:93]
	v_fma_f64 v[10:11], v[98:99], v[8:9], -v[10:11]
	v_mul_f64 v[98:99], v[98:99], v[92:93]
	v_fmac_f64_e32 v[98:99], v[100:101], v[8:9]
	s_waitcnt vmcnt(13)
	v_add_f64 v[64:65], v[64:65], -v[10:11]
	v_add_f64 v[66:67], v[66:67], -v[98:99]
	ds_read2_b64 v[98:101], v194 offset0:14 offset1:15
	s_waitcnt lgkmcnt(1)
	v_mul_f64 v[10:11], v[96:97], v[92:93]
	v_fma_f64 v[10:11], v[94:95], v[8:9], -v[10:11]
	v_mul_f64 v[94:95], v[94:95], v[92:93]
	v_fmac_f64_e32 v[94:95], v[96:97], v[8:9]
	s_waitcnt vmcnt(12)
	v_add_f64 v[62:63], v[62:63], -v[94:95]
	ds_read2_b64 v[94:97], v194 offset0:16 offset1:17
	v_add_f64 v[60:61], v[60:61], -v[10:11]
	s_waitcnt lgkmcnt(1)
	v_mul_f64 v[10:11], v[100:101], v[92:93]
	v_fma_f64 v[10:11], v[98:99], v[8:9], -v[10:11]
	v_mul_f64 v[98:99], v[98:99], v[92:93]
	v_fmac_f64_e32 v[98:99], v[100:101], v[8:9]
	s_waitcnt vmcnt(11)
	v_add_f64 v[56:57], v[56:57], -v[10:11]
	v_add_f64 v[58:59], v[58:59], -v[98:99]
	ds_read2_b64 v[98:101], v194 offset0:18 offset1:19
	;; [unrolled: 18-line block ×6, first 2 shown]
	s_waitcnt lgkmcnt(1)
	v_mul_f64 v[10:11], v[96:97], v[92:93]
	v_fma_f64 v[10:11], v[94:95], v[8:9], -v[10:11]
	v_mul_f64 v[94:95], v[94:95], v[92:93]
	v_fmac_f64_e32 v[94:95], v[96:97], v[8:9]
	s_waitcnt vmcnt(2)
	v_add_f64 v[22:23], v[22:23], -v[94:95]
	ds_read2_b64 v[94:97], v194 offset0:36 offset1:37
	v_add_f64 v[20:21], v[20:21], -v[10:11]
	s_waitcnt lgkmcnt(1)
	v_mul_f64 v[10:11], v[100:101], v[92:93]
	v_fma_f64 v[10:11], v[98:99], v[8:9], -v[10:11]
	s_waitcnt vmcnt(1)
	v_add_f64 v[16:17], v[16:17], -v[10:11]
	s_waitcnt lgkmcnt(0)
	v_mul_f64 v[10:11], v[96:97], v[92:93]
	v_mul_f64 v[98:99], v[98:99], v[92:93]
	v_fma_f64 v[10:11], v[94:95], v[8:9], -v[10:11]
	v_mul_f64 v[94:95], v[94:95], v[92:93]
	v_fmac_f64_e32 v[98:99], v[100:101], v[8:9]
	v_fmac_f64_e32 v[94:95], v[96:97], v[8:9]
	v_add_f64 v[18:19], v[18:19], -v[98:99]
	s_waitcnt vmcnt(0)
	v_add_f64 v[72:73], v[72:73], -v[10:11]
	v_add_f64 v[74:75], v[74:75], -v[94:95]
	v_mov_b64_e32 v[10:11], v[92:93]
.LBB37_37:
	s_or_b64 exec, exec, s[2:3]
	v_cmp_eq_u32_e32 vcc, 4, v192
	s_waitcnt lgkmcnt(0)
	s_barrier
	s_and_saveexec_b64 s[4:5], vcc
	s_cbranch_execz .LBB37_44
; %bb.38:
	s_waitcnt vmcnt(14)
	ds_write2_b64 v193, v[68:69], v[70:71] offset1:1
	s_waitcnt vmcnt(13)
	ds_write2_b64 v194, v[64:65], v[66:67] offset0:10 offset1:11
	s_waitcnt vmcnt(12)
	ds_write2_b64 v194, v[60:61], v[62:63] offset0:12 offset1:13
	;; [unrolled: 2-line block ×14, first 2 shown]
	ds_read2_b64 v[92:95], v193 offset1:1
	s_waitcnt lgkmcnt(0)
	v_cmp_neq_f64_e32 vcc, 0, v[92:93]
	v_cmp_neq_f64_e64 s[2:3], 0, v[94:95]
	s_or_b64 s[2:3], vcc, s[2:3]
	s_and_b64 exec, exec, s[2:3]
	s_cbranch_execz .LBB37_44
; %bb.39:
	v_cmp_ngt_f64_e64 s[2:3], |v[92:93]|, |v[94:95]|
                                        ; implicit-def: $vgpr96_vgpr97
	s_and_saveexec_b64 s[10:11], s[2:3]
	s_xor_b64 s[2:3], exec, s[10:11]
                                        ; implicit-def: $vgpr98_vgpr99
	s_cbranch_execz .LBB37_41
; %bb.40:
	v_div_scale_f64 v[96:97], s[10:11], v[94:95], v[94:95], v[92:93]
	v_rcp_f64_e32 v[98:99], v[96:97]
	v_div_scale_f64 v[100:101], vcc, v[92:93], v[94:95], v[92:93]
	v_fma_f64 v[102:103], -v[96:97], v[98:99], 1.0
	v_fmac_f64_e32 v[98:99], v[98:99], v[102:103]
	v_fma_f64 v[102:103], -v[96:97], v[98:99], 1.0
	v_fmac_f64_e32 v[98:99], v[98:99], v[102:103]
	v_mul_f64 v[102:103], v[100:101], v[98:99]
	v_fma_f64 v[96:97], -v[96:97], v[102:103], v[100:101]
	v_div_fmas_f64 v[96:97], v[96:97], v[98:99], v[102:103]
	v_div_fixup_f64 v[96:97], v[96:97], v[94:95], v[92:93]
	v_fmac_f64_e32 v[94:95], v[92:93], v[96:97]
	v_div_scale_f64 v[92:93], s[10:11], v[94:95], v[94:95], 1.0
	v_rcp_f64_e32 v[98:99], v[92:93]
	s_nop 0
	v_fma_f64 v[100:101], -v[92:93], v[98:99], 1.0
	v_fmac_f64_e32 v[98:99], v[98:99], v[100:101]
	v_fma_f64 v[100:101], -v[92:93], v[98:99], 1.0
	v_fmac_f64_e32 v[98:99], v[98:99], v[100:101]
	v_div_scale_f64 v[100:101], vcc, 1.0, v[94:95], 1.0
	v_mul_f64 v[102:103], v[100:101], v[98:99]
	v_fma_f64 v[92:93], -v[92:93], v[102:103], v[100:101]
	s_nop 1
	v_div_fmas_f64 v[92:93], v[92:93], v[98:99], v[102:103]
	v_div_fixup_f64 v[98:99], v[92:93], v[94:95], 1.0
	v_mul_f64 v[96:97], v[96:97], v[98:99]
	v_xor_b32_e32 v99, 0x80000000, v99
                                        ; implicit-def: $vgpr92_vgpr93
.LBB37_41:
	s_andn2_saveexec_b64 s[2:3], s[2:3]
	s_cbranch_execz .LBB37_43
; %bb.42:
	v_div_scale_f64 v[96:97], s[10:11], v[92:93], v[92:93], v[94:95]
	v_rcp_f64_e32 v[98:99], v[96:97]
	v_div_scale_f64 v[100:101], vcc, v[94:95], v[92:93], v[94:95]
	v_fma_f64 v[102:103], -v[96:97], v[98:99], 1.0
	v_fmac_f64_e32 v[98:99], v[98:99], v[102:103]
	v_fma_f64 v[102:103], -v[96:97], v[98:99], 1.0
	v_fmac_f64_e32 v[98:99], v[98:99], v[102:103]
	v_mul_f64 v[102:103], v[100:101], v[98:99]
	v_fma_f64 v[96:97], -v[96:97], v[102:103], v[100:101]
	v_div_fmas_f64 v[96:97], v[96:97], v[98:99], v[102:103]
	v_div_fixup_f64 v[98:99], v[96:97], v[92:93], v[94:95]
	v_fmac_f64_e32 v[92:93], v[94:95], v[98:99]
	v_div_scale_f64 v[94:95], s[10:11], v[92:93], v[92:93], 1.0
	v_rcp_f64_e32 v[96:97], v[94:95]
	s_nop 0
	v_fma_f64 v[100:101], -v[94:95], v[96:97], 1.0
	v_fmac_f64_e32 v[96:97], v[96:97], v[100:101]
	v_fma_f64 v[100:101], -v[94:95], v[96:97], 1.0
	v_fmac_f64_e32 v[96:97], v[96:97], v[100:101]
	v_div_scale_f64 v[100:101], vcc, 1.0, v[92:93], 1.0
	v_mul_f64 v[102:103], v[100:101], v[96:97]
	v_fma_f64 v[94:95], -v[94:95], v[102:103], v[100:101]
	s_nop 1
	v_div_fmas_f64 v[94:95], v[94:95], v[96:97], v[102:103]
	v_div_fixup_f64 v[96:97], v[94:95], v[92:93], 1.0
	v_mul_f64 v[98:99], v[98:99], -v[96:97]
.LBB37_43:
	s_or_b64 exec, exec, s[2:3]
	ds_write2_b64 v193, v[96:97], v[98:99] offset1:1
.LBB37_44:
	s_or_b64 exec, exec, s[4:5]
	s_waitcnt lgkmcnt(0)
	s_barrier
	ds_read2_b64 v[92:95], v193 offset1:1
	v_cmp_lt_u32_e32 vcc, 4, v192
	s_and_saveexec_b64 s[2:3], vcc
	s_cbranch_execz .LBB37_46
; %bb.45:
	ds_read2_b64 v[98:101], v194 offset0:10 offset1:11
	ds_read2_b64 v[102:105], v194 offset0:12 offset1:13
	s_waitcnt vmcnt(14) lgkmcnt(2)
	v_mul_f64 v[96:97], v[92:93], v[70:71]
	v_fmac_f64_e32 v[96:97], v[94:95], v[68:69]
	v_mul_f64 v[70:71], v[94:95], v[70:71]
	v_fma_f64 v[68:69], v[92:93], v[68:69], -v[70:71]
	s_waitcnt lgkmcnt(1)
	v_mul_f64 v[70:71], v[100:101], v[96:97]
	v_fma_f64 v[70:71], v[98:99], v[68:69], -v[70:71]
	v_mul_f64 v[98:99], v[98:99], v[96:97]
	v_fmac_f64_e32 v[98:99], v[100:101], v[68:69]
	s_waitcnt vmcnt(13)
	v_add_f64 v[64:65], v[64:65], -v[70:71]
	v_add_f64 v[66:67], v[66:67], -v[98:99]
	s_waitcnt lgkmcnt(0)
	v_mul_f64 v[70:71], v[104:105], v[96:97]
	ds_read2_b64 v[98:101], v194 offset0:14 offset1:15
	v_fma_f64 v[70:71], v[102:103], v[68:69], -v[70:71]
	v_mul_f64 v[102:103], v[102:103], v[96:97]
	v_fmac_f64_e32 v[102:103], v[104:105], v[68:69]
	s_waitcnt vmcnt(12)
	v_add_f64 v[62:63], v[62:63], -v[102:103]
	ds_read2_b64 v[102:105], v194 offset0:16 offset1:17
	v_add_f64 v[60:61], v[60:61], -v[70:71]
	s_waitcnt lgkmcnt(1)
	v_mul_f64 v[70:71], v[100:101], v[96:97]
	v_fma_f64 v[70:71], v[98:99], v[68:69], -v[70:71]
	v_mul_f64 v[98:99], v[98:99], v[96:97]
	v_fmac_f64_e32 v[98:99], v[100:101], v[68:69]
	s_waitcnt vmcnt(11)
	v_add_f64 v[56:57], v[56:57], -v[70:71]
	v_add_f64 v[58:59], v[58:59], -v[98:99]
	s_waitcnt lgkmcnt(0)
	v_mul_f64 v[70:71], v[104:105], v[96:97]
	ds_read2_b64 v[98:101], v194 offset0:18 offset1:19
	v_fma_f64 v[70:71], v[102:103], v[68:69], -v[70:71]
	v_mul_f64 v[102:103], v[102:103], v[96:97]
	v_fmac_f64_e32 v[102:103], v[104:105], v[68:69]
	s_waitcnt vmcnt(10)
	v_add_f64 v[54:55], v[54:55], -v[102:103]
	ds_read2_b64 v[102:105], v194 offset0:20 offset1:21
	v_add_f64 v[52:53], v[52:53], -v[70:71]
	;; [unrolled: 18-line block ×6, first 2 shown]
	s_waitcnt lgkmcnt(1)
	v_mul_f64 v[70:71], v[100:101], v[96:97]
	v_fma_f64 v[70:71], v[98:99], v[68:69], -v[70:71]
	v_mul_f64 v[98:99], v[98:99], v[96:97]
	v_fmac_f64_e32 v[98:99], v[100:101], v[68:69]
	s_waitcnt vmcnt(1)
	v_add_f64 v[16:17], v[16:17], -v[70:71]
	v_add_f64 v[18:19], v[18:19], -v[98:99]
	s_waitcnt lgkmcnt(0)
	v_mul_f64 v[70:71], v[104:105], v[96:97]
	v_mul_f64 v[98:99], v[102:103], v[96:97]
	v_fma_f64 v[70:71], v[102:103], v[68:69], -v[70:71]
	v_fmac_f64_e32 v[98:99], v[104:105], v[68:69]
	s_waitcnt vmcnt(0)
	v_add_f64 v[72:73], v[72:73], -v[70:71]
	v_add_f64 v[74:75], v[74:75], -v[98:99]
	v_mov_b64_e32 v[70:71], v[96:97]
.LBB37_46:
	s_or_b64 exec, exec, s[2:3]
	v_cmp_eq_u32_e32 vcc, 5, v192
	s_waitcnt lgkmcnt(0)
	s_barrier
	s_and_saveexec_b64 s[4:5], vcc
	s_cbranch_execz .LBB37_53
; %bb.47:
	s_waitcnt vmcnt(13)
	ds_write2_b64 v193, v[64:65], v[66:67] offset1:1
	s_waitcnt vmcnt(12)
	ds_write2_b64 v194, v[60:61], v[62:63] offset0:12 offset1:13
	s_waitcnt vmcnt(11)
	ds_write2_b64 v194, v[56:57], v[58:59] offset0:14 offset1:15
	;; [unrolled: 2-line block ×13, first 2 shown]
	ds_read2_b64 v[96:99], v193 offset1:1
	s_waitcnt lgkmcnt(0)
	v_cmp_neq_f64_e32 vcc, 0, v[96:97]
	v_cmp_neq_f64_e64 s[2:3], 0, v[98:99]
	s_or_b64 s[2:3], vcc, s[2:3]
	s_and_b64 exec, exec, s[2:3]
	s_cbranch_execz .LBB37_53
; %bb.48:
	v_cmp_ngt_f64_e64 s[2:3], |v[96:97]|, |v[98:99]|
                                        ; implicit-def: $vgpr100_vgpr101
	s_and_saveexec_b64 s[10:11], s[2:3]
	s_xor_b64 s[2:3], exec, s[10:11]
                                        ; implicit-def: $vgpr102_vgpr103
	s_cbranch_execz .LBB37_50
; %bb.49:
	v_div_scale_f64 v[100:101], s[10:11], v[98:99], v[98:99], v[96:97]
	v_rcp_f64_e32 v[102:103], v[100:101]
	v_div_scale_f64 v[104:105], vcc, v[96:97], v[98:99], v[96:97]
	v_fma_f64 v[106:107], -v[100:101], v[102:103], 1.0
	v_fmac_f64_e32 v[102:103], v[102:103], v[106:107]
	v_fma_f64 v[106:107], -v[100:101], v[102:103], 1.0
	v_fmac_f64_e32 v[102:103], v[102:103], v[106:107]
	v_mul_f64 v[106:107], v[104:105], v[102:103]
	v_fma_f64 v[100:101], -v[100:101], v[106:107], v[104:105]
	v_div_fmas_f64 v[100:101], v[100:101], v[102:103], v[106:107]
	v_div_fixup_f64 v[100:101], v[100:101], v[98:99], v[96:97]
	v_fmac_f64_e32 v[98:99], v[96:97], v[100:101]
	v_div_scale_f64 v[96:97], s[10:11], v[98:99], v[98:99], 1.0
	v_rcp_f64_e32 v[102:103], v[96:97]
	s_nop 0
	v_fma_f64 v[104:105], -v[96:97], v[102:103], 1.0
	v_fmac_f64_e32 v[102:103], v[102:103], v[104:105]
	v_fma_f64 v[104:105], -v[96:97], v[102:103], 1.0
	v_fmac_f64_e32 v[102:103], v[102:103], v[104:105]
	v_div_scale_f64 v[104:105], vcc, 1.0, v[98:99], 1.0
	v_mul_f64 v[106:107], v[104:105], v[102:103]
	v_fma_f64 v[96:97], -v[96:97], v[106:107], v[104:105]
	s_nop 1
	v_div_fmas_f64 v[96:97], v[96:97], v[102:103], v[106:107]
	v_div_fixup_f64 v[102:103], v[96:97], v[98:99], 1.0
	v_mul_f64 v[100:101], v[100:101], v[102:103]
	v_xor_b32_e32 v103, 0x80000000, v103
                                        ; implicit-def: $vgpr96_vgpr97
.LBB37_50:
	s_andn2_saveexec_b64 s[2:3], s[2:3]
	s_cbranch_execz .LBB37_52
; %bb.51:
	v_div_scale_f64 v[100:101], s[10:11], v[96:97], v[96:97], v[98:99]
	v_rcp_f64_e32 v[102:103], v[100:101]
	v_div_scale_f64 v[104:105], vcc, v[98:99], v[96:97], v[98:99]
	v_fma_f64 v[106:107], -v[100:101], v[102:103], 1.0
	v_fmac_f64_e32 v[102:103], v[102:103], v[106:107]
	v_fma_f64 v[106:107], -v[100:101], v[102:103], 1.0
	v_fmac_f64_e32 v[102:103], v[102:103], v[106:107]
	v_mul_f64 v[106:107], v[104:105], v[102:103]
	v_fma_f64 v[100:101], -v[100:101], v[106:107], v[104:105]
	v_div_fmas_f64 v[100:101], v[100:101], v[102:103], v[106:107]
	v_div_fixup_f64 v[102:103], v[100:101], v[96:97], v[98:99]
	v_fmac_f64_e32 v[96:97], v[98:99], v[102:103]
	v_div_scale_f64 v[98:99], s[10:11], v[96:97], v[96:97], 1.0
	v_rcp_f64_e32 v[100:101], v[98:99]
	s_nop 0
	v_fma_f64 v[104:105], -v[98:99], v[100:101], 1.0
	v_fmac_f64_e32 v[100:101], v[100:101], v[104:105]
	v_fma_f64 v[104:105], -v[98:99], v[100:101], 1.0
	v_fmac_f64_e32 v[100:101], v[100:101], v[104:105]
	v_div_scale_f64 v[104:105], vcc, 1.0, v[96:97], 1.0
	v_mul_f64 v[106:107], v[104:105], v[100:101]
	v_fma_f64 v[98:99], -v[98:99], v[106:107], v[104:105]
	s_nop 1
	v_div_fmas_f64 v[98:99], v[98:99], v[100:101], v[106:107]
	v_div_fixup_f64 v[100:101], v[98:99], v[96:97], 1.0
	v_mul_f64 v[102:103], v[102:103], -v[100:101]
.LBB37_52:
	s_or_b64 exec, exec, s[2:3]
	ds_write2_b64 v193, v[100:101], v[102:103] offset1:1
.LBB37_53:
	s_or_b64 exec, exec, s[4:5]
	s_waitcnt lgkmcnt(0)
	s_barrier
	ds_read2_b64 v[96:99], v193 offset1:1
	v_cmp_lt_u32_e32 vcc, 5, v192
	s_and_saveexec_b64 s[2:3], vcc
	s_cbranch_execz .LBB37_55
; %bb.54:
	ds_read2_b64 v[100:103], v194 offset0:12 offset1:13
	ds_read2_b64 v[104:107], v194 offset0:14 offset1:15
	s_waitcnt vmcnt(13) lgkmcnt(2)
	v_mul_f64 v[108:109], v[96:97], v[66:67]
	v_fmac_f64_e32 v[108:109], v[98:99], v[64:65]
	v_mul_f64 v[66:67], v[98:99], v[66:67]
	v_fma_f64 v[64:65], v[96:97], v[64:65], -v[66:67]
	s_waitcnt lgkmcnt(1)
	v_mul_f64 v[66:67], v[102:103], v[108:109]
	v_fma_f64 v[66:67], v[100:101], v[64:65], -v[66:67]
	v_mul_f64 v[100:101], v[100:101], v[108:109]
	v_fmac_f64_e32 v[100:101], v[102:103], v[64:65]
	s_waitcnt vmcnt(12)
	v_add_f64 v[62:63], v[62:63], -v[100:101]
	ds_read2_b64 v[100:103], v194 offset0:16 offset1:17
	v_add_f64 v[60:61], v[60:61], -v[66:67]
	s_waitcnt lgkmcnt(1)
	v_mul_f64 v[66:67], v[106:107], v[108:109]
	v_fma_f64 v[66:67], v[104:105], v[64:65], -v[66:67]
	v_mul_f64 v[104:105], v[104:105], v[108:109]
	v_fmac_f64_e32 v[104:105], v[106:107], v[64:65]
	s_waitcnt vmcnt(11)
	v_add_f64 v[56:57], v[56:57], -v[66:67]
	v_add_f64 v[58:59], v[58:59], -v[104:105]
	ds_read2_b64 v[104:107], v194 offset0:18 offset1:19
	s_waitcnt lgkmcnt(1)
	v_mul_f64 v[66:67], v[102:103], v[108:109]
	v_fma_f64 v[66:67], v[100:101], v[64:65], -v[66:67]
	v_mul_f64 v[100:101], v[100:101], v[108:109]
	v_fmac_f64_e32 v[100:101], v[102:103], v[64:65]
	s_waitcnt vmcnt(10)
	v_add_f64 v[54:55], v[54:55], -v[100:101]
	ds_read2_b64 v[100:103], v194 offset0:20 offset1:21
	v_add_f64 v[52:53], v[52:53], -v[66:67]
	s_waitcnt lgkmcnt(1)
	v_mul_f64 v[66:67], v[106:107], v[108:109]
	v_fma_f64 v[66:67], v[104:105], v[64:65], -v[66:67]
	v_mul_f64 v[104:105], v[104:105], v[108:109]
	v_fmac_f64_e32 v[104:105], v[106:107], v[64:65]
	s_waitcnt vmcnt(9)
	v_add_f64 v[48:49], v[48:49], -v[66:67]
	v_add_f64 v[50:51], v[50:51], -v[104:105]
	ds_read2_b64 v[104:107], v194 offset0:22 offset1:23
	;; [unrolled: 18-line block ×5, first 2 shown]
	s_waitcnt lgkmcnt(1)
	v_mul_f64 v[66:67], v[102:103], v[108:109]
	v_fma_f64 v[66:67], v[100:101], v[64:65], -v[66:67]
	v_mul_f64 v[100:101], v[100:101], v[108:109]
	v_fmac_f64_e32 v[100:101], v[102:103], v[64:65]
	s_waitcnt vmcnt(2)
	v_add_f64 v[22:23], v[22:23], -v[100:101]
	ds_read2_b64 v[100:103], v194 offset0:36 offset1:37
	v_add_f64 v[20:21], v[20:21], -v[66:67]
	s_waitcnt lgkmcnt(1)
	v_mul_f64 v[66:67], v[106:107], v[108:109]
	v_fma_f64 v[66:67], v[104:105], v[64:65], -v[66:67]
	s_waitcnt vmcnt(1)
	v_add_f64 v[16:17], v[16:17], -v[66:67]
	s_waitcnt lgkmcnt(0)
	v_mul_f64 v[66:67], v[102:103], v[108:109]
	v_mul_f64 v[104:105], v[104:105], v[108:109]
	v_fma_f64 v[66:67], v[100:101], v[64:65], -v[66:67]
	v_mul_f64 v[100:101], v[100:101], v[108:109]
	v_fmac_f64_e32 v[104:105], v[106:107], v[64:65]
	v_fmac_f64_e32 v[100:101], v[102:103], v[64:65]
	v_add_f64 v[18:19], v[18:19], -v[104:105]
	s_waitcnt vmcnt(0)
	v_add_f64 v[72:73], v[72:73], -v[66:67]
	v_add_f64 v[74:75], v[74:75], -v[100:101]
	v_mov_b64_e32 v[66:67], v[108:109]
.LBB37_55:
	s_or_b64 exec, exec, s[2:3]
	v_cmp_eq_u32_e32 vcc, 6, v192
	s_waitcnt lgkmcnt(0)
	s_barrier
	s_and_saveexec_b64 s[4:5], vcc
	s_cbranch_execz .LBB37_62
; %bb.56:
	s_waitcnt vmcnt(12)
	ds_write2_b64 v193, v[60:61], v[62:63] offset1:1
	s_waitcnt vmcnt(11)
	ds_write2_b64 v194, v[56:57], v[58:59] offset0:14 offset1:15
	s_waitcnt vmcnt(10)
	ds_write2_b64 v194, v[52:53], v[54:55] offset0:16 offset1:17
	;; [unrolled: 2-line block ×12, first 2 shown]
	ds_read2_b64 v[100:103], v193 offset1:1
	s_waitcnt lgkmcnt(0)
	v_cmp_neq_f64_e32 vcc, 0, v[100:101]
	v_cmp_neq_f64_e64 s[2:3], 0, v[102:103]
	s_or_b64 s[2:3], vcc, s[2:3]
	s_and_b64 exec, exec, s[2:3]
	s_cbranch_execz .LBB37_62
; %bb.57:
	v_cmp_ngt_f64_e64 s[2:3], |v[100:101]|, |v[102:103]|
                                        ; implicit-def: $vgpr104_vgpr105
	s_and_saveexec_b64 s[10:11], s[2:3]
	s_xor_b64 s[2:3], exec, s[10:11]
                                        ; implicit-def: $vgpr106_vgpr107
	s_cbranch_execz .LBB37_59
; %bb.58:
	v_div_scale_f64 v[104:105], s[10:11], v[102:103], v[102:103], v[100:101]
	v_rcp_f64_e32 v[106:107], v[104:105]
	v_div_scale_f64 v[108:109], vcc, v[100:101], v[102:103], v[100:101]
	v_fma_f64 v[110:111], -v[104:105], v[106:107], 1.0
	v_fmac_f64_e32 v[106:107], v[106:107], v[110:111]
	v_fma_f64 v[110:111], -v[104:105], v[106:107], 1.0
	v_fmac_f64_e32 v[106:107], v[106:107], v[110:111]
	v_mul_f64 v[110:111], v[108:109], v[106:107]
	v_fma_f64 v[104:105], -v[104:105], v[110:111], v[108:109]
	v_div_fmas_f64 v[104:105], v[104:105], v[106:107], v[110:111]
	v_div_fixup_f64 v[104:105], v[104:105], v[102:103], v[100:101]
	v_fmac_f64_e32 v[102:103], v[100:101], v[104:105]
	v_div_scale_f64 v[100:101], s[10:11], v[102:103], v[102:103], 1.0
	v_rcp_f64_e32 v[106:107], v[100:101]
	s_nop 0
	v_fma_f64 v[108:109], -v[100:101], v[106:107], 1.0
	v_fmac_f64_e32 v[106:107], v[106:107], v[108:109]
	v_fma_f64 v[108:109], -v[100:101], v[106:107], 1.0
	v_fmac_f64_e32 v[106:107], v[106:107], v[108:109]
	v_div_scale_f64 v[108:109], vcc, 1.0, v[102:103], 1.0
	v_mul_f64 v[110:111], v[108:109], v[106:107]
	v_fma_f64 v[100:101], -v[100:101], v[110:111], v[108:109]
	s_nop 1
	v_div_fmas_f64 v[100:101], v[100:101], v[106:107], v[110:111]
	v_div_fixup_f64 v[106:107], v[100:101], v[102:103], 1.0
	v_mul_f64 v[104:105], v[104:105], v[106:107]
	v_xor_b32_e32 v107, 0x80000000, v107
                                        ; implicit-def: $vgpr100_vgpr101
.LBB37_59:
	s_andn2_saveexec_b64 s[2:3], s[2:3]
	s_cbranch_execz .LBB37_61
; %bb.60:
	v_div_scale_f64 v[104:105], s[10:11], v[100:101], v[100:101], v[102:103]
	v_rcp_f64_e32 v[106:107], v[104:105]
	v_div_scale_f64 v[108:109], vcc, v[102:103], v[100:101], v[102:103]
	v_fma_f64 v[110:111], -v[104:105], v[106:107], 1.0
	v_fmac_f64_e32 v[106:107], v[106:107], v[110:111]
	v_fma_f64 v[110:111], -v[104:105], v[106:107], 1.0
	v_fmac_f64_e32 v[106:107], v[106:107], v[110:111]
	v_mul_f64 v[110:111], v[108:109], v[106:107]
	v_fma_f64 v[104:105], -v[104:105], v[110:111], v[108:109]
	v_div_fmas_f64 v[104:105], v[104:105], v[106:107], v[110:111]
	v_div_fixup_f64 v[106:107], v[104:105], v[100:101], v[102:103]
	v_fmac_f64_e32 v[100:101], v[102:103], v[106:107]
	v_div_scale_f64 v[102:103], s[10:11], v[100:101], v[100:101], 1.0
	v_rcp_f64_e32 v[104:105], v[102:103]
	s_nop 0
	v_fma_f64 v[108:109], -v[102:103], v[104:105], 1.0
	v_fmac_f64_e32 v[104:105], v[104:105], v[108:109]
	v_fma_f64 v[108:109], -v[102:103], v[104:105], 1.0
	v_fmac_f64_e32 v[104:105], v[104:105], v[108:109]
	v_div_scale_f64 v[108:109], vcc, 1.0, v[100:101], 1.0
	v_mul_f64 v[110:111], v[108:109], v[104:105]
	v_fma_f64 v[102:103], -v[102:103], v[110:111], v[108:109]
	s_nop 1
	v_div_fmas_f64 v[102:103], v[102:103], v[104:105], v[110:111]
	v_div_fixup_f64 v[104:105], v[102:103], v[100:101], 1.0
	v_mul_f64 v[106:107], v[106:107], -v[104:105]
.LBB37_61:
	s_or_b64 exec, exec, s[2:3]
	ds_write2_b64 v193, v[104:105], v[106:107] offset1:1
.LBB37_62:
	s_or_b64 exec, exec, s[4:5]
	s_waitcnt lgkmcnt(0)
	s_barrier
	ds_read2_b64 v[100:103], v193 offset1:1
	v_cmp_lt_u32_e32 vcc, 6, v192
	s_and_saveexec_b64 s[2:3], vcc
	s_cbranch_execz .LBB37_64
; %bb.63:
	ds_read2_b64 v[104:107], v194 offset0:14 offset1:15
	ds_read2_b64 v[108:111], v194 offset0:16 offset1:17
	s_waitcnt vmcnt(12) lgkmcnt(2)
	v_mul_f64 v[112:113], v[100:101], v[62:63]
	v_fmac_f64_e32 v[112:113], v[102:103], v[60:61]
	v_mul_f64 v[62:63], v[102:103], v[62:63]
	v_fma_f64 v[60:61], v[100:101], v[60:61], -v[62:63]
	s_waitcnt lgkmcnt(1)
	v_mul_f64 v[62:63], v[106:107], v[112:113]
	v_fma_f64 v[62:63], v[104:105], v[60:61], -v[62:63]
	v_mul_f64 v[104:105], v[104:105], v[112:113]
	v_fmac_f64_e32 v[104:105], v[106:107], v[60:61]
	s_waitcnt vmcnt(11)
	v_add_f64 v[56:57], v[56:57], -v[62:63]
	v_add_f64 v[58:59], v[58:59], -v[104:105]
	s_waitcnt lgkmcnt(0)
	v_mul_f64 v[62:63], v[110:111], v[112:113]
	ds_read2_b64 v[104:107], v194 offset0:18 offset1:19
	v_fma_f64 v[62:63], v[108:109], v[60:61], -v[62:63]
	v_mul_f64 v[108:109], v[108:109], v[112:113]
	v_fmac_f64_e32 v[108:109], v[110:111], v[60:61]
	s_waitcnt vmcnt(10)
	v_add_f64 v[54:55], v[54:55], -v[108:109]
	ds_read2_b64 v[108:111], v194 offset0:20 offset1:21
	v_add_f64 v[52:53], v[52:53], -v[62:63]
	s_waitcnt lgkmcnt(1)
	v_mul_f64 v[62:63], v[106:107], v[112:113]
	v_fma_f64 v[62:63], v[104:105], v[60:61], -v[62:63]
	v_mul_f64 v[104:105], v[104:105], v[112:113]
	v_fmac_f64_e32 v[104:105], v[106:107], v[60:61]
	s_waitcnt vmcnt(9)
	v_add_f64 v[48:49], v[48:49], -v[62:63]
	v_add_f64 v[50:51], v[50:51], -v[104:105]
	s_waitcnt lgkmcnt(0)
	v_mul_f64 v[62:63], v[110:111], v[112:113]
	ds_read2_b64 v[104:107], v194 offset0:22 offset1:23
	v_fma_f64 v[62:63], v[108:109], v[60:61], -v[62:63]
	v_mul_f64 v[108:109], v[108:109], v[112:113]
	v_fmac_f64_e32 v[108:109], v[110:111], v[60:61]
	s_waitcnt vmcnt(8)
	v_add_f64 v[46:47], v[46:47], -v[108:109]
	ds_read2_b64 v[108:111], v194 offset0:24 offset1:25
	v_add_f64 v[44:45], v[44:45], -v[62:63]
	;; [unrolled: 18-line block ×5, first 2 shown]
	s_waitcnt lgkmcnt(1)
	v_mul_f64 v[62:63], v[106:107], v[112:113]
	v_fma_f64 v[62:63], v[104:105], v[60:61], -v[62:63]
	v_mul_f64 v[104:105], v[104:105], v[112:113]
	v_fmac_f64_e32 v[104:105], v[106:107], v[60:61]
	s_waitcnt vmcnt(1)
	v_add_f64 v[16:17], v[16:17], -v[62:63]
	v_add_f64 v[18:19], v[18:19], -v[104:105]
	s_waitcnt lgkmcnt(0)
	v_mul_f64 v[62:63], v[110:111], v[112:113]
	v_mul_f64 v[104:105], v[108:109], v[112:113]
	v_fma_f64 v[62:63], v[108:109], v[60:61], -v[62:63]
	v_fmac_f64_e32 v[104:105], v[110:111], v[60:61]
	s_waitcnt vmcnt(0)
	v_add_f64 v[72:73], v[72:73], -v[62:63]
	v_add_f64 v[74:75], v[74:75], -v[104:105]
	v_mov_b64_e32 v[62:63], v[112:113]
.LBB37_64:
	s_or_b64 exec, exec, s[2:3]
	v_cmp_eq_u32_e32 vcc, 7, v192
	s_waitcnt lgkmcnt(0)
	s_barrier
	s_and_saveexec_b64 s[4:5], vcc
	s_cbranch_execz .LBB37_71
; %bb.65:
	s_waitcnt vmcnt(11)
	ds_write2_b64 v193, v[56:57], v[58:59] offset1:1
	s_waitcnt vmcnt(10)
	ds_write2_b64 v194, v[52:53], v[54:55] offset0:16 offset1:17
	s_waitcnt vmcnt(9)
	ds_write2_b64 v194, v[48:49], v[50:51] offset0:18 offset1:19
	;; [unrolled: 2-line block ×11, first 2 shown]
	ds_read2_b64 v[104:107], v193 offset1:1
	s_waitcnt lgkmcnt(0)
	v_cmp_neq_f64_e32 vcc, 0, v[104:105]
	v_cmp_neq_f64_e64 s[2:3], 0, v[106:107]
	s_or_b64 s[2:3], vcc, s[2:3]
	s_and_b64 exec, exec, s[2:3]
	s_cbranch_execz .LBB37_71
; %bb.66:
	v_cmp_ngt_f64_e64 s[2:3], |v[104:105]|, |v[106:107]|
                                        ; implicit-def: $vgpr108_vgpr109
	s_and_saveexec_b64 s[10:11], s[2:3]
	s_xor_b64 s[2:3], exec, s[10:11]
                                        ; implicit-def: $vgpr110_vgpr111
	s_cbranch_execz .LBB37_68
; %bb.67:
	v_div_scale_f64 v[108:109], s[10:11], v[106:107], v[106:107], v[104:105]
	v_rcp_f64_e32 v[110:111], v[108:109]
	v_div_scale_f64 v[112:113], vcc, v[104:105], v[106:107], v[104:105]
	v_fma_f64 v[114:115], -v[108:109], v[110:111], 1.0
	v_fmac_f64_e32 v[110:111], v[110:111], v[114:115]
	v_fma_f64 v[114:115], -v[108:109], v[110:111], 1.0
	v_fmac_f64_e32 v[110:111], v[110:111], v[114:115]
	v_mul_f64 v[114:115], v[112:113], v[110:111]
	v_fma_f64 v[108:109], -v[108:109], v[114:115], v[112:113]
	v_div_fmas_f64 v[108:109], v[108:109], v[110:111], v[114:115]
	v_div_fixup_f64 v[108:109], v[108:109], v[106:107], v[104:105]
	v_fmac_f64_e32 v[106:107], v[104:105], v[108:109]
	v_div_scale_f64 v[104:105], s[10:11], v[106:107], v[106:107], 1.0
	v_rcp_f64_e32 v[110:111], v[104:105]
	s_nop 0
	v_fma_f64 v[112:113], -v[104:105], v[110:111], 1.0
	v_fmac_f64_e32 v[110:111], v[110:111], v[112:113]
	v_fma_f64 v[112:113], -v[104:105], v[110:111], 1.0
	v_fmac_f64_e32 v[110:111], v[110:111], v[112:113]
	v_div_scale_f64 v[112:113], vcc, 1.0, v[106:107], 1.0
	v_mul_f64 v[114:115], v[112:113], v[110:111]
	v_fma_f64 v[104:105], -v[104:105], v[114:115], v[112:113]
	s_nop 1
	v_div_fmas_f64 v[104:105], v[104:105], v[110:111], v[114:115]
	v_div_fixup_f64 v[110:111], v[104:105], v[106:107], 1.0
	v_mul_f64 v[108:109], v[108:109], v[110:111]
	v_xor_b32_e32 v111, 0x80000000, v111
                                        ; implicit-def: $vgpr104_vgpr105
.LBB37_68:
	s_andn2_saveexec_b64 s[2:3], s[2:3]
	s_cbranch_execz .LBB37_70
; %bb.69:
	v_div_scale_f64 v[108:109], s[10:11], v[104:105], v[104:105], v[106:107]
	v_rcp_f64_e32 v[110:111], v[108:109]
	v_div_scale_f64 v[112:113], vcc, v[106:107], v[104:105], v[106:107]
	v_fma_f64 v[114:115], -v[108:109], v[110:111], 1.0
	v_fmac_f64_e32 v[110:111], v[110:111], v[114:115]
	v_fma_f64 v[114:115], -v[108:109], v[110:111], 1.0
	v_fmac_f64_e32 v[110:111], v[110:111], v[114:115]
	v_mul_f64 v[114:115], v[112:113], v[110:111]
	v_fma_f64 v[108:109], -v[108:109], v[114:115], v[112:113]
	v_div_fmas_f64 v[108:109], v[108:109], v[110:111], v[114:115]
	v_div_fixup_f64 v[110:111], v[108:109], v[104:105], v[106:107]
	v_fmac_f64_e32 v[104:105], v[106:107], v[110:111]
	v_div_scale_f64 v[106:107], s[10:11], v[104:105], v[104:105], 1.0
	v_rcp_f64_e32 v[108:109], v[106:107]
	s_nop 0
	v_fma_f64 v[112:113], -v[106:107], v[108:109], 1.0
	v_fmac_f64_e32 v[108:109], v[108:109], v[112:113]
	v_fma_f64 v[112:113], -v[106:107], v[108:109], 1.0
	v_fmac_f64_e32 v[108:109], v[108:109], v[112:113]
	v_div_scale_f64 v[112:113], vcc, 1.0, v[104:105], 1.0
	v_mul_f64 v[114:115], v[112:113], v[108:109]
	v_fma_f64 v[106:107], -v[106:107], v[114:115], v[112:113]
	s_nop 1
	v_div_fmas_f64 v[106:107], v[106:107], v[108:109], v[114:115]
	v_div_fixup_f64 v[108:109], v[106:107], v[104:105], 1.0
	v_mul_f64 v[110:111], v[110:111], -v[108:109]
.LBB37_70:
	s_or_b64 exec, exec, s[2:3]
	ds_write2_b64 v193, v[108:109], v[110:111] offset1:1
.LBB37_71:
	s_or_b64 exec, exec, s[4:5]
	s_waitcnt lgkmcnt(0)
	s_barrier
	ds_read2_b64 v[104:107], v193 offset1:1
	v_cmp_lt_u32_e32 vcc, 7, v192
	s_and_saveexec_b64 s[2:3], vcc
	s_cbranch_execz .LBB37_73
; %bb.72:
	ds_read2_b64 v[108:111], v194 offset0:16 offset1:17
	ds_read2_b64 v[112:115], v194 offset0:18 offset1:19
	s_waitcnt vmcnt(11) lgkmcnt(2)
	v_mul_f64 v[116:117], v[104:105], v[58:59]
	v_fmac_f64_e32 v[116:117], v[106:107], v[56:57]
	v_mul_f64 v[58:59], v[106:107], v[58:59]
	v_fma_f64 v[56:57], v[104:105], v[56:57], -v[58:59]
	s_waitcnt lgkmcnt(1)
	v_mul_f64 v[58:59], v[110:111], v[116:117]
	v_fma_f64 v[58:59], v[108:109], v[56:57], -v[58:59]
	v_mul_f64 v[108:109], v[108:109], v[116:117]
	v_fmac_f64_e32 v[108:109], v[110:111], v[56:57]
	s_waitcnt vmcnt(10)
	v_add_f64 v[54:55], v[54:55], -v[108:109]
	ds_read2_b64 v[108:111], v194 offset0:20 offset1:21
	v_add_f64 v[52:53], v[52:53], -v[58:59]
	s_waitcnt lgkmcnt(1)
	v_mul_f64 v[58:59], v[114:115], v[116:117]
	v_fma_f64 v[58:59], v[112:113], v[56:57], -v[58:59]
	v_mul_f64 v[112:113], v[112:113], v[116:117]
	v_fmac_f64_e32 v[112:113], v[114:115], v[56:57]
	s_waitcnt vmcnt(9)
	v_add_f64 v[48:49], v[48:49], -v[58:59]
	v_add_f64 v[50:51], v[50:51], -v[112:113]
	ds_read2_b64 v[112:115], v194 offset0:22 offset1:23
	s_waitcnt lgkmcnt(1)
	v_mul_f64 v[58:59], v[110:111], v[116:117]
	v_fma_f64 v[58:59], v[108:109], v[56:57], -v[58:59]
	v_mul_f64 v[108:109], v[108:109], v[116:117]
	v_fmac_f64_e32 v[108:109], v[110:111], v[56:57]
	s_waitcnt vmcnt(8)
	v_add_f64 v[46:47], v[46:47], -v[108:109]
	ds_read2_b64 v[108:111], v194 offset0:24 offset1:25
	v_add_f64 v[44:45], v[44:45], -v[58:59]
	s_waitcnt lgkmcnt(1)
	v_mul_f64 v[58:59], v[114:115], v[116:117]
	v_fma_f64 v[58:59], v[112:113], v[56:57], -v[58:59]
	v_mul_f64 v[112:113], v[112:113], v[116:117]
	v_fmac_f64_e32 v[112:113], v[114:115], v[56:57]
	s_waitcnt vmcnt(7)
	v_add_f64 v[40:41], v[40:41], -v[58:59]
	v_add_f64 v[42:43], v[42:43], -v[112:113]
	ds_read2_b64 v[112:115], v194 offset0:26 offset1:27
	;; [unrolled: 18-line block ×4, first 2 shown]
	s_waitcnt lgkmcnt(1)
	v_mul_f64 v[58:59], v[110:111], v[116:117]
	v_fma_f64 v[58:59], v[108:109], v[56:57], -v[58:59]
	v_mul_f64 v[108:109], v[108:109], v[116:117]
	v_fmac_f64_e32 v[108:109], v[110:111], v[56:57]
	s_waitcnt vmcnt(2)
	v_add_f64 v[22:23], v[22:23], -v[108:109]
	ds_read2_b64 v[108:111], v194 offset0:36 offset1:37
	v_add_f64 v[20:21], v[20:21], -v[58:59]
	s_waitcnt lgkmcnt(1)
	v_mul_f64 v[58:59], v[114:115], v[116:117]
	v_fma_f64 v[58:59], v[112:113], v[56:57], -v[58:59]
	s_waitcnt vmcnt(1)
	v_add_f64 v[16:17], v[16:17], -v[58:59]
	s_waitcnt lgkmcnt(0)
	v_mul_f64 v[58:59], v[110:111], v[116:117]
	v_mul_f64 v[112:113], v[112:113], v[116:117]
	v_fma_f64 v[58:59], v[108:109], v[56:57], -v[58:59]
	v_mul_f64 v[108:109], v[108:109], v[116:117]
	v_fmac_f64_e32 v[112:113], v[114:115], v[56:57]
	v_fmac_f64_e32 v[108:109], v[110:111], v[56:57]
	v_add_f64 v[18:19], v[18:19], -v[112:113]
	s_waitcnt vmcnt(0)
	v_add_f64 v[72:73], v[72:73], -v[58:59]
	v_add_f64 v[74:75], v[74:75], -v[108:109]
	v_mov_b64_e32 v[58:59], v[116:117]
.LBB37_73:
	s_or_b64 exec, exec, s[2:3]
	v_cmp_eq_u32_e32 vcc, 8, v192
	s_waitcnt lgkmcnt(0)
	s_barrier
	s_and_saveexec_b64 s[4:5], vcc
	s_cbranch_execz .LBB37_80
; %bb.74:
	s_waitcnt vmcnt(10)
	ds_write2_b64 v193, v[52:53], v[54:55] offset1:1
	s_waitcnt vmcnt(9)
	ds_write2_b64 v194, v[48:49], v[50:51] offset0:18 offset1:19
	s_waitcnt vmcnt(8)
	ds_write2_b64 v194, v[44:45], v[46:47] offset0:20 offset1:21
	;; [unrolled: 2-line block ×10, first 2 shown]
	ds_read2_b64 v[108:111], v193 offset1:1
	s_waitcnt lgkmcnt(0)
	v_cmp_neq_f64_e32 vcc, 0, v[108:109]
	v_cmp_neq_f64_e64 s[2:3], 0, v[110:111]
	s_or_b64 s[2:3], vcc, s[2:3]
	s_and_b64 exec, exec, s[2:3]
	s_cbranch_execz .LBB37_80
; %bb.75:
	v_cmp_ngt_f64_e64 s[2:3], |v[108:109]|, |v[110:111]|
                                        ; implicit-def: $vgpr112_vgpr113
	s_and_saveexec_b64 s[10:11], s[2:3]
	s_xor_b64 s[2:3], exec, s[10:11]
                                        ; implicit-def: $vgpr114_vgpr115
	s_cbranch_execz .LBB37_77
; %bb.76:
	v_div_scale_f64 v[112:113], s[10:11], v[110:111], v[110:111], v[108:109]
	v_rcp_f64_e32 v[114:115], v[112:113]
	v_div_scale_f64 v[116:117], vcc, v[108:109], v[110:111], v[108:109]
	v_fma_f64 v[118:119], -v[112:113], v[114:115], 1.0
	v_fmac_f64_e32 v[114:115], v[114:115], v[118:119]
	v_fma_f64 v[118:119], -v[112:113], v[114:115], 1.0
	v_fmac_f64_e32 v[114:115], v[114:115], v[118:119]
	v_mul_f64 v[118:119], v[116:117], v[114:115]
	v_fma_f64 v[112:113], -v[112:113], v[118:119], v[116:117]
	v_div_fmas_f64 v[112:113], v[112:113], v[114:115], v[118:119]
	v_div_fixup_f64 v[112:113], v[112:113], v[110:111], v[108:109]
	v_fmac_f64_e32 v[110:111], v[108:109], v[112:113]
	v_div_scale_f64 v[108:109], s[10:11], v[110:111], v[110:111], 1.0
	v_rcp_f64_e32 v[114:115], v[108:109]
	s_nop 0
	v_fma_f64 v[116:117], -v[108:109], v[114:115], 1.0
	v_fmac_f64_e32 v[114:115], v[114:115], v[116:117]
	v_fma_f64 v[116:117], -v[108:109], v[114:115], 1.0
	v_fmac_f64_e32 v[114:115], v[114:115], v[116:117]
	v_div_scale_f64 v[116:117], vcc, 1.0, v[110:111], 1.0
	v_mul_f64 v[118:119], v[116:117], v[114:115]
	v_fma_f64 v[108:109], -v[108:109], v[118:119], v[116:117]
	s_nop 1
	v_div_fmas_f64 v[108:109], v[108:109], v[114:115], v[118:119]
	v_div_fixup_f64 v[114:115], v[108:109], v[110:111], 1.0
	v_mul_f64 v[112:113], v[112:113], v[114:115]
	v_xor_b32_e32 v115, 0x80000000, v115
                                        ; implicit-def: $vgpr108_vgpr109
.LBB37_77:
	s_andn2_saveexec_b64 s[2:3], s[2:3]
	s_cbranch_execz .LBB37_79
; %bb.78:
	v_div_scale_f64 v[112:113], s[10:11], v[108:109], v[108:109], v[110:111]
	v_rcp_f64_e32 v[114:115], v[112:113]
	v_div_scale_f64 v[116:117], vcc, v[110:111], v[108:109], v[110:111]
	v_fma_f64 v[118:119], -v[112:113], v[114:115], 1.0
	v_fmac_f64_e32 v[114:115], v[114:115], v[118:119]
	v_fma_f64 v[118:119], -v[112:113], v[114:115], 1.0
	v_fmac_f64_e32 v[114:115], v[114:115], v[118:119]
	v_mul_f64 v[118:119], v[116:117], v[114:115]
	v_fma_f64 v[112:113], -v[112:113], v[118:119], v[116:117]
	v_div_fmas_f64 v[112:113], v[112:113], v[114:115], v[118:119]
	v_div_fixup_f64 v[114:115], v[112:113], v[108:109], v[110:111]
	v_fmac_f64_e32 v[108:109], v[110:111], v[114:115]
	v_div_scale_f64 v[110:111], s[10:11], v[108:109], v[108:109], 1.0
	v_rcp_f64_e32 v[112:113], v[110:111]
	s_nop 0
	v_fma_f64 v[116:117], -v[110:111], v[112:113], 1.0
	v_fmac_f64_e32 v[112:113], v[112:113], v[116:117]
	v_fma_f64 v[116:117], -v[110:111], v[112:113], 1.0
	v_fmac_f64_e32 v[112:113], v[112:113], v[116:117]
	v_div_scale_f64 v[116:117], vcc, 1.0, v[108:109], 1.0
	v_mul_f64 v[118:119], v[116:117], v[112:113]
	v_fma_f64 v[110:111], -v[110:111], v[118:119], v[116:117]
	s_nop 1
	v_div_fmas_f64 v[110:111], v[110:111], v[112:113], v[118:119]
	v_div_fixup_f64 v[112:113], v[110:111], v[108:109], 1.0
	v_mul_f64 v[114:115], v[114:115], -v[112:113]
.LBB37_79:
	s_or_b64 exec, exec, s[2:3]
	ds_write2_b64 v193, v[112:113], v[114:115] offset1:1
.LBB37_80:
	s_or_b64 exec, exec, s[4:5]
	s_waitcnt lgkmcnt(0)
	s_barrier
	ds_read2_b64 v[108:111], v193 offset1:1
	v_cmp_lt_u32_e32 vcc, 8, v192
	s_and_saveexec_b64 s[2:3], vcc
	s_cbranch_execz .LBB37_82
; %bb.81:
	ds_read2_b64 v[112:115], v194 offset0:18 offset1:19
	ds_read2_b64 v[116:119], v194 offset0:20 offset1:21
	s_waitcnt vmcnt(10) lgkmcnt(2)
	v_mul_f64 v[120:121], v[108:109], v[54:55]
	v_fmac_f64_e32 v[120:121], v[110:111], v[52:53]
	v_mul_f64 v[54:55], v[110:111], v[54:55]
	v_fma_f64 v[52:53], v[108:109], v[52:53], -v[54:55]
	s_waitcnt lgkmcnt(1)
	v_mul_f64 v[54:55], v[114:115], v[120:121]
	v_fma_f64 v[54:55], v[112:113], v[52:53], -v[54:55]
	v_mul_f64 v[112:113], v[112:113], v[120:121]
	v_fmac_f64_e32 v[112:113], v[114:115], v[52:53]
	s_waitcnt vmcnt(9)
	v_add_f64 v[48:49], v[48:49], -v[54:55]
	v_add_f64 v[50:51], v[50:51], -v[112:113]
	s_waitcnt lgkmcnt(0)
	v_mul_f64 v[54:55], v[118:119], v[120:121]
	ds_read2_b64 v[112:115], v194 offset0:22 offset1:23
	v_fma_f64 v[54:55], v[116:117], v[52:53], -v[54:55]
	v_mul_f64 v[116:117], v[116:117], v[120:121]
	v_fmac_f64_e32 v[116:117], v[118:119], v[52:53]
	s_waitcnt vmcnt(8)
	v_add_f64 v[46:47], v[46:47], -v[116:117]
	ds_read2_b64 v[116:119], v194 offset0:24 offset1:25
	v_add_f64 v[44:45], v[44:45], -v[54:55]
	s_waitcnt lgkmcnt(1)
	v_mul_f64 v[54:55], v[114:115], v[120:121]
	v_fma_f64 v[54:55], v[112:113], v[52:53], -v[54:55]
	v_mul_f64 v[112:113], v[112:113], v[120:121]
	v_fmac_f64_e32 v[112:113], v[114:115], v[52:53]
	s_waitcnt vmcnt(7)
	v_add_f64 v[40:41], v[40:41], -v[54:55]
	v_add_f64 v[42:43], v[42:43], -v[112:113]
	s_waitcnt lgkmcnt(0)
	v_mul_f64 v[54:55], v[118:119], v[120:121]
	ds_read2_b64 v[112:115], v194 offset0:26 offset1:27
	v_fma_f64 v[54:55], v[116:117], v[52:53], -v[54:55]
	v_mul_f64 v[116:117], v[116:117], v[120:121]
	v_fmac_f64_e32 v[116:117], v[118:119], v[52:53]
	s_waitcnt vmcnt(6)
	v_add_f64 v[38:39], v[38:39], -v[116:117]
	ds_read2_b64 v[116:119], v194 offset0:28 offset1:29
	v_add_f64 v[36:37], v[36:37], -v[54:55]
	;; [unrolled: 18-line block ×4, first 2 shown]
	s_waitcnt lgkmcnt(1)
	v_mul_f64 v[54:55], v[114:115], v[120:121]
	v_fma_f64 v[54:55], v[112:113], v[52:53], -v[54:55]
	v_mul_f64 v[112:113], v[112:113], v[120:121]
	v_fmac_f64_e32 v[112:113], v[114:115], v[52:53]
	s_waitcnt vmcnt(1)
	v_add_f64 v[16:17], v[16:17], -v[54:55]
	v_add_f64 v[18:19], v[18:19], -v[112:113]
	s_waitcnt lgkmcnt(0)
	v_mul_f64 v[54:55], v[118:119], v[120:121]
	v_mul_f64 v[112:113], v[116:117], v[120:121]
	v_fma_f64 v[54:55], v[116:117], v[52:53], -v[54:55]
	v_fmac_f64_e32 v[112:113], v[118:119], v[52:53]
	s_waitcnt vmcnt(0)
	v_add_f64 v[72:73], v[72:73], -v[54:55]
	v_add_f64 v[74:75], v[74:75], -v[112:113]
	v_mov_b64_e32 v[54:55], v[120:121]
.LBB37_82:
	s_or_b64 exec, exec, s[2:3]
	v_cmp_eq_u32_e32 vcc, 9, v192
	s_waitcnt lgkmcnt(0)
	s_barrier
	s_and_saveexec_b64 s[4:5], vcc
	s_cbranch_execz .LBB37_89
; %bb.83:
	s_waitcnt vmcnt(9)
	ds_write2_b64 v193, v[48:49], v[50:51] offset1:1
	s_waitcnt vmcnt(8)
	ds_write2_b64 v194, v[44:45], v[46:47] offset0:20 offset1:21
	s_waitcnt vmcnt(7)
	ds_write2_b64 v194, v[40:41], v[42:43] offset0:22 offset1:23
	;; [unrolled: 2-line block ×9, first 2 shown]
	ds_read2_b64 v[112:115], v193 offset1:1
	s_waitcnt lgkmcnt(0)
	v_cmp_neq_f64_e32 vcc, 0, v[112:113]
	v_cmp_neq_f64_e64 s[2:3], 0, v[114:115]
	s_or_b64 s[2:3], vcc, s[2:3]
	s_and_b64 exec, exec, s[2:3]
	s_cbranch_execz .LBB37_89
; %bb.84:
	v_cmp_ngt_f64_e64 s[2:3], |v[112:113]|, |v[114:115]|
                                        ; implicit-def: $vgpr116_vgpr117
	s_and_saveexec_b64 s[10:11], s[2:3]
	s_xor_b64 s[2:3], exec, s[10:11]
                                        ; implicit-def: $vgpr118_vgpr119
	s_cbranch_execz .LBB37_86
; %bb.85:
	v_div_scale_f64 v[116:117], s[10:11], v[114:115], v[114:115], v[112:113]
	v_rcp_f64_e32 v[118:119], v[116:117]
	v_div_scale_f64 v[120:121], vcc, v[112:113], v[114:115], v[112:113]
	v_fma_f64 v[122:123], -v[116:117], v[118:119], 1.0
	v_fmac_f64_e32 v[118:119], v[118:119], v[122:123]
	v_fma_f64 v[122:123], -v[116:117], v[118:119], 1.0
	v_fmac_f64_e32 v[118:119], v[118:119], v[122:123]
	v_mul_f64 v[122:123], v[120:121], v[118:119]
	v_fma_f64 v[116:117], -v[116:117], v[122:123], v[120:121]
	v_div_fmas_f64 v[116:117], v[116:117], v[118:119], v[122:123]
	v_div_fixup_f64 v[116:117], v[116:117], v[114:115], v[112:113]
	v_fmac_f64_e32 v[114:115], v[112:113], v[116:117]
	v_div_scale_f64 v[112:113], s[10:11], v[114:115], v[114:115], 1.0
	v_rcp_f64_e32 v[118:119], v[112:113]
	s_nop 0
	v_fma_f64 v[120:121], -v[112:113], v[118:119], 1.0
	v_fmac_f64_e32 v[118:119], v[118:119], v[120:121]
	v_fma_f64 v[120:121], -v[112:113], v[118:119], 1.0
	v_fmac_f64_e32 v[118:119], v[118:119], v[120:121]
	v_div_scale_f64 v[120:121], vcc, 1.0, v[114:115], 1.0
	v_mul_f64 v[122:123], v[120:121], v[118:119]
	v_fma_f64 v[112:113], -v[112:113], v[122:123], v[120:121]
	s_nop 1
	v_div_fmas_f64 v[112:113], v[112:113], v[118:119], v[122:123]
	v_div_fixup_f64 v[118:119], v[112:113], v[114:115], 1.0
	v_mul_f64 v[116:117], v[116:117], v[118:119]
	v_xor_b32_e32 v119, 0x80000000, v119
                                        ; implicit-def: $vgpr112_vgpr113
.LBB37_86:
	s_andn2_saveexec_b64 s[2:3], s[2:3]
	s_cbranch_execz .LBB37_88
; %bb.87:
	v_div_scale_f64 v[116:117], s[10:11], v[112:113], v[112:113], v[114:115]
	v_rcp_f64_e32 v[118:119], v[116:117]
	v_div_scale_f64 v[120:121], vcc, v[114:115], v[112:113], v[114:115]
	v_fma_f64 v[122:123], -v[116:117], v[118:119], 1.0
	v_fmac_f64_e32 v[118:119], v[118:119], v[122:123]
	v_fma_f64 v[122:123], -v[116:117], v[118:119], 1.0
	v_fmac_f64_e32 v[118:119], v[118:119], v[122:123]
	v_mul_f64 v[122:123], v[120:121], v[118:119]
	v_fma_f64 v[116:117], -v[116:117], v[122:123], v[120:121]
	v_div_fmas_f64 v[116:117], v[116:117], v[118:119], v[122:123]
	v_div_fixup_f64 v[118:119], v[116:117], v[112:113], v[114:115]
	v_fmac_f64_e32 v[112:113], v[114:115], v[118:119]
	v_div_scale_f64 v[114:115], s[10:11], v[112:113], v[112:113], 1.0
	v_rcp_f64_e32 v[116:117], v[114:115]
	s_nop 0
	v_fma_f64 v[120:121], -v[114:115], v[116:117], 1.0
	v_fmac_f64_e32 v[116:117], v[116:117], v[120:121]
	v_fma_f64 v[120:121], -v[114:115], v[116:117], 1.0
	v_fmac_f64_e32 v[116:117], v[116:117], v[120:121]
	v_div_scale_f64 v[120:121], vcc, 1.0, v[112:113], 1.0
	v_mul_f64 v[122:123], v[120:121], v[116:117]
	v_fma_f64 v[114:115], -v[114:115], v[122:123], v[120:121]
	s_nop 1
	v_div_fmas_f64 v[114:115], v[114:115], v[116:117], v[122:123]
	v_div_fixup_f64 v[116:117], v[114:115], v[112:113], 1.0
	v_mul_f64 v[118:119], v[118:119], -v[116:117]
.LBB37_88:
	s_or_b64 exec, exec, s[2:3]
	ds_write2_b64 v193, v[116:117], v[118:119] offset1:1
.LBB37_89:
	s_or_b64 exec, exec, s[4:5]
	s_waitcnt lgkmcnt(0)
	s_barrier
	ds_read2_b64 v[112:115], v193 offset1:1
	v_cmp_lt_u32_e32 vcc, 9, v192
	s_and_saveexec_b64 s[2:3], vcc
	s_cbranch_execz .LBB37_91
; %bb.90:
	ds_read2_b64 v[116:119], v194 offset0:20 offset1:21
	ds_read2_b64 v[120:123], v194 offset0:22 offset1:23
	s_waitcnt vmcnt(9) lgkmcnt(2)
	v_mul_f64 v[124:125], v[112:113], v[50:51]
	v_fmac_f64_e32 v[124:125], v[114:115], v[48:49]
	v_mul_f64 v[50:51], v[114:115], v[50:51]
	v_fma_f64 v[48:49], v[112:113], v[48:49], -v[50:51]
	s_waitcnt lgkmcnt(1)
	v_mul_f64 v[50:51], v[118:119], v[124:125]
	v_fma_f64 v[50:51], v[116:117], v[48:49], -v[50:51]
	v_mul_f64 v[116:117], v[116:117], v[124:125]
	v_fmac_f64_e32 v[116:117], v[118:119], v[48:49]
	s_waitcnt vmcnt(8)
	v_add_f64 v[46:47], v[46:47], -v[116:117]
	ds_read2_b64 v[116:119], v194 offset0:24 offset1:25
	v_add_f64 v[44:45], v[44:45], -v[50:51]
	s_waitcnt lgkmcnt(1)
	v_mul_f64 v[50:51], v[122:123], v[124:125]
	v_fma_f64 v[50:51], v[120:121], v[48:49], -v[50:51]
	v_mul_f64 v[120:121], v[120:121], v[124:125]
	v_fmac_f64_e32 v[120:121], v[122:123], v[48:49]
	s_waitcnt vmcnt(7)
	v_add_f64 v[40:41], v[40:41], -v[50:51]
	v_add_f64 v[42:43], v[42:43], -v[120:121]
	ds_read2_b64 v[120:123], v194 offset0:26 offset1:27
	s_waitcnt lgkmcnt(1)
	v_mul_f64 v[50:51], v[118:119], v[124:125]
	v_fma_f64 v[50:51], v[116:117], v[48:49], -v[50:51]
	v_mul_f64 v[116:117], v[116:117], v[124:125]
	v_fmac_f64_e32 v[116:117], v[118:119], v[48:49]
	s_waitcnt vmcnt(6)
	v_add_f64 v[38:39], v[38:39], -v[116:117]
	ds_read2_b64 v[116:119], v194 offset0:28 offset1:29
	v_add_f64 v[36:37], v[36:37], -v[50:51]
	s_waitcnt lgkmcnt(1)
	v_mul_f64 v[50:51], v[122:123], v[124:125]
	v_fma_f64 v[50:51], v[120:121], v[48:49], -v[50:51]
	v_mul_f64 v[120:121], v[120:121], v[124:125]
	v_fmac_f64_e32 v[120:121], v[122:123], v[48:49]
	s_waitcnt vmcnt(5)
	v_add_f64 v[32:33], v[32:33], -v[50:51]
	v_add_f64 v[34:35], v[34:35], -v[120:121]
	ds_read2_b64 v[120:123], v194 offset0:30 offset1:31
	;; [unrolled: 18-line block ×3, first 2 shown]
	s_waitcnt lgkmcnt(1)
	v_mul_f64 v[50:51], v[118:119], v[124:125]
	v_fma_f64 v[50:51], v[116:117], v[48:49], -v[50:51]
	v_mul_f64 v[116:117], v[116:117], v[124:125]
	v_fmac_f64_e32 v[116:117], v[118:119], v[48:49]
	s_waitcnt vmcnt(2)
	v_add_f64 v[22:23], v[22:23], -v[116:117]
	ds_read2_b64 v[116:119], v194 offset0:36 offset1:37
	v_add_f64 v[20:21], v[20:21], -v[50:51]
	s_waitcnt lgkmcnt(1)
	v_mul_f64 v[50:51], v[122:123], v[124:125]
	v_fma_f64 v[50:51], v[120:121], v[48:49], -v[50:51]
	s_waitcnt vmcnt(1)
	v_add_f64 v[16:17], v[16:17], -v[50:51]
	s_waitcnt lgkmcnt(0)
	v_mul_f64 v[50:51], v[118:119], v[124:125]
	v_mul_f64 v[120:121], v[120:121], v[124:125]
	v_fma_f64 v[50:51], v[116:117], v[48:49], -v[50:51]
	v_mul_f64 v[116:117], v[116:117], v[124:125]
	v_fmac_f64_e32 v[120:121], v[122:123], v[48:49]
	v_fmac_f64_e32 v[116:117], v[118:119], v[48:49]
	v_add_f64 v[18:19], v[18:19], -v[120:121]
	s_waitcnt vmcnt(0)
	v_add_f64 v[72:73], v[72:73], -v[50:51]
	v_add_f64 v[74:75], v[74:75], -v[116:117]
	v_mov_b64_e32 v[50:51], v[124:125]
.LBB37_91:
	s_or_b64 exec, exec, s[2:3]
	v_cmp_eq_u32_e32 vcc, 10, v192
	s_waitcnt lgkmcnt(0)
	s_barrier
	s_and_saveexec_b64 s[4:5], vcc
	s_cbranch_execz .LBB37_98
; %bb.92:
	s_waitcnt vmcnt(8)
	ds_write2_b64 v193, v[44:45], v[46:47] offset1:1
	s_waitcnt vmcnt(7)
	ds_write2_b64 v194, v[40:41], v[42:43] offset0:22 offset1:23
	s_waitcnt vmcnt(6)
	ds_write2_b64 v194, v[36:37], v[38:39] offset0:24 offset1:25
	;; [unrolled: 2-line block ×8, first 2 shown]
	ds_read2_b64 v[116:119], v193 offset1:1
	s_waitcnt lgkmcnt(0)
	v_cmp_neq_f64_e32 vcc, 0, v[116:117]
	v_cmp_neq_f64_e64 s[2:3], 0, v[118:119]
	s_or_b64 s[2:3], vcc, s[2:3]
	s_and_b64 exec, exec, s[2:3]
	s_cbranch_execz .LBB37_98
; %bb.93:
	v_cmp_ngt_f64_e64 s[2:3], |v[116:117]|, |v[118:119]|
                                        ; implicit-def: $vgpr120_vgpr121
	s_and_saveexec_b64 s[10:11], s[2:3]
	s_xor_b64 s[2:3], exec, s[10:11]
                                        ; implicit-def: $vgpr122_vgpr123
	s_cbranch_execz .LBB37_95
; %bb.94:
	v_div_scale_f64 v[120:121], s[10:11], v[118:119], v[118:119], v[116:117]
	v_rcp_f64_e32 v[122:123], v[120:121]
	v_div_scale_f64 v[124:125], vcc, v[116:117], v[118:119], v[116:117]
	v_fma_f64 v[126:127], -v[120:121], v[122:123], 1.0
	v_fmac_f64_e32 v[122:123], v[122:123], v[126:127]
	v_fma_f64 v[126:127], -v[120:121], v[122:123], 1.0
	v_fmac_f64_e32 v[122:123], v[122:123], v[126:127]
	v_mul_f64 v[126:127], v[124:125], v[122:123]
	v_fma_f64 v[120:121], -v[120:121], v[126:127], v[124:125]
	v_div_fmas_f64 v[120:121], v[120:121], v[122:123], v[126:127]
	v_div_fixup_f64 v[120:121], v[120:121], v[118:119], v[116:117]
	v_fmac_f64_e32 v[118:119], v[116:117], v[120:121]
	v_div_scale_f64 v[116:117], s[10:11], v[118:119], v[118:119], 1.0
	v_rcp_f64_e32 v[122:123], v[116:117]
	s_nop 0
	v_fma_f64 v[124:125], -v[116:117], v[122:123], 1.0
	v_fmac_f64_e32 v[122:123], v[122:123], v[124:125]
	v_fma_f64 v[124:125], -v[116:117], v[122:123], 1.0
	v_fmac_f64_e32 v[122:123], v[122:123], v[124:125]
	v_div_scale_f64 v[124:125], vcc, 1.0, v[118:119], 1.0
	v_mul_f64 v[126:127], v[124:125], v[122:123]
	v_fma_f64 v[116:117], -v[116:117], v[126:127], v[124:125]
	s_nop 1
	v_div_fmas_f64 v[116:117], v[116:117], v[122:123], v[126:127]
	v_div_fixup_f64 v[122:123], v[116:117], v[118:119], 1.0
	v_mul_f64 v[120:121], v[120:121], v[122:123]
	v_xor_b32_e32 v123, 0x80000000, v123
                                        ; implicit-def: $vgpr116_vgpr117
.LBB37_95:
	s_andn2_saveexec_b64 s[2:3], s[2:3]
	s_cbranch_execz .LBB37_97
; %bb.96:
	v_div_scale_f64 v[120:121], s[10:11], v[116:117], v[116:117], v[118:119]
	v_rcp_f64_e32 v[122:123], v[120:121]
	v_div_scale_f64 v[124:125], vcc, v[118:119], v[116:117], v[118:119]
	v_fma_f64 v[126:127], -v[120:121], v[122:123], 1.0
	v_fmac_f64_e32 v[122:123], v[122:123], v[126:127]
	v_fma_f64 v[126:127], -v[120:121], v[122:123], 1.0
	v_fmac_f64_e32 v[122:123], v[122:123], v[126:127]
	v_mul_f64 v[126:127], v[124:125], v[122:123]
	v_fma_f64 v[120:121], -v[120:121], v[126:127], v[124:125]
	v_div_fmas_f64 v[120:121], v[120:121], v[122:123], v[126:127]
	v_div_fixup_f64 v[122:123], v[120:121], v[116:117], v[118:119]
	v_fmac_f64_e32 v[116:117], v[118:119], v[122:123]
	v_div_scale_f64 v[118:119], s[10:11], v[116:117], v[116:117], 1.0
	v_rcp_f64_e32 v[120:121], v[118:119]
	s_nop 0
	v_fma_f64 v[124:125], -v[118:119], v[120:121], 1.0
	v_fmac_f64_e32 v[120:121], v[120:121], v[124:125]
	v_fma_f64 v[124:125], -v[118:119], v[120:121], 1.0
	v_fmac_f64_e32 v[120:121], v[120:121], v[124:125]
	v_div_scale_f64 v[124:125], vcc, 1.0, v[116:117], 1.0
	v_mul_f64 v[126:127], v[124:125], v[120:121]
	v_fma_f64 v[118:119], -v[118:119], v[126:127], v[124:125]
	s_nop 1
	v_div_fmas_f64 v[118:119], v[118:119], v[120:121], v[126:127]
	v_div_fixup_f64 v[120:121], v[118:119], v[116:117], 1.0
	v_mul_f64 v[122:123], v[122:123], -v[120:121]
.LBB37_97:
	s_or_b64 exec, exec, s[2:3]
	ds_write2_b64 v193, v[120:121], v[122:123] offset1:1
.LBB37_98:
	s_or_b64 exec, exec, s[4:5]
	s_waitcnt lgkmcnt(0)
	s_barrier
	ds_read2_b64 v[116:119], v193 offset1:1
	v_cmp_lt_u32_e32 vcc, 10, v192
	s_and_saveexec_b64 s[2:3], vcc
	s_cbranch_execz .LBB37_100
; %bb.99:
	ds_read2_b64 v[120:123], v194 offset0:22 offset1:23
	ds_read2_b64 v[124:127], v194 offset0:24 offset1:25
	s_waitcnt vmcnt(8) lgkmcnt(2)
	v_mul_f64 v[128:129], v[116:117], v[46:47]
	v_fmac_f64_e32 v[128:129], v[118:119], v[44:45]
	v_mul_f64 v[46:47], v[118:119], v[46:47]
	v_fma_f64 v[44:45], v[116:117], v[44:45], -v[46:47]
	s_waitcnt lgkmcnt(1)
	v_mul_f64 v[46:47], v[122:123], v[128:129]
	v_fma_f64 v[46:47], v[120:121], v[44:45], -v[46:47]
	v_mul_f64 v[120:121], v[120:121], v[128:129]
	v_fmac_f64_e32 v[120:121], v[122:123], v[44:45]
	s_waitcnt vmcnt(7)
	v_add_f64 v[40:41], v[40:41], -v[46:47]
	v_add_f64 v[42:43], v[42:43], -v[120:121]
	s_waitcnt lgkmcnt(0)
	v_mul_f64 v[46:47], v[126:127], v[128:129]
	ds_read2_b64 v[120:123], v194 offset0:26 offset1:27
	v_fma_f64 v[46:47], v[124:125], v[44:45], -v[46:47]
	v_mul_f64 v[124:125], v[124:125], v[128:129]
	v_fmac_f64_e32 v[124:125], v[126:127], v[44:45]
	s_waitcnt vmcnt(6)
	v_add_f64 v[38:39], v[38:39], -v[124:125]
	ds_read2_b64 v[124:127], v194 offset0:28 offset1:29
	v_add_f64 v[36:37], v[36:37], -v[46:47]
	s_waitcnt lgkmcnt(1)
	v_mul_f64 v[46:47], v[122:123], v[128:129]
	v_fma_f64 v[46:47], v[120:121], v[44:45], -v[46:47]
	v_mul_f64 v[120:121], v[120:121], v[128:129]
	v_fmac_f64_e32 v[120:121], v[122:123], v[44:45]
	s_waitcnt vmcnt(5)
	v_add_f64 v[32:33], v[32:33], -v[46:47]
	v_add_f64 v[34:35], v[34:35], -v[120:121]
	s_waitcnt lgkmcnt(0)
	v_mul_f64 v[46:47], v[126:127], v[128:129]
	ds_read2_b64 v[120:123], v194 offset0:30 offset1:31
	v_fma_f64 v[46:47], v[124:125], v[44:45], -v[46:47]
	v_mul_f64 v[124:125], v[124:125], v[128:129]
	v_fmac_f64_e32 v[124:125], v[126:127], v[44:45]
	s_waitcnt vmcnt(4)
	v_add_f64 v[30:31], v[30:31], -v[124:125]
	ds_read2_b64 v[124:127], v194 offset0:32 offset1:33
	v_add_f64 v[28:29], v[28:29], -v[46:47]
	;; [unrolled: 18-line block ×3, first 2 shown]
	s_waitcnt lgkmcnt(1)
	v_mul_f64 v[46:47], v[122:123], v[128:129]
	v_fma_f64 v[46:47], v[120:121], v[44:45], -v[46:47]
	v_mul_f64 v[120:121], v[120:121], v[128:129]
	v_fmac_f64_e32 v[120:121], v[122:123], v[44:45]
	s_waitcnt vmcnt(1)
	v_add_f64 v[16:17], v[16:17], -v[46:47]
	v_add_f64 v[18:19], v[18:19], -v[120:121]
	s_waitcnt lgkmcnt(0)
	v_mul_f64 v[46:47], v[126:127], v[128:129]
	v_mul_f64 v[120:121], v[124:125], v[128:129]
	v_fma_f64 v[46:47], v[124:125], v[44:45], -v[46:47]
	v_fmac_f64_e32 v[120:121], v[126:127], v[44:45]
	s_waitcnt vmcnt(0)
	v_add_f64 v[72:73], v[72:73], -v[46:47]
	v_add_f64 v[74:75], v[74:75], -v[120:121]
	v_mov_b64_e32 v[46:47], v[128:129]
.LBB37_100:
	s_or_b64 exec, exec, s[2:3]
	v_cmp_eq_u32_e32 vcc, 11, v192
	s_waitcnt lgkmcnt(0)
	s_barrier
	s_and_saveexec_b64 s[4:5], vcc
	s_cbranch_execz .LBB37_107
; %bb.101:
	s_waitcnt vmcnt(7)
	ds_write2_b64 v193, v[40:41], v[42:43] offset1:1
	s_waitcnt vmcnt(6)
	ds_write2_b64 v194, v[36:37], v[38:39] offset0:24 offset1:25
	s_waitcnt vmcnt(5)
	ds_write2_b64 v194, v[32:33], v[34:35] offset0:26 offset1:27
	;; [unrolled: 2-line block ×7, first 2 shown]
	ds_read2_b64 v[120:123], v193 offset1:1
	s_waitcnt lgkmcnt(0)
	v_cmp_neq_f64_e32 vcc, 0, v[120:121]
	v_cmp_neq_f64_e64 s[2:3], 0, v[122:123]
	s_or_b64 s[2:3], vcc, s[2:3]
	s_and_b64 exec, exec, s[2:3]
	s_cbranch_execz .LBB37_107
; %bb.102:
	v_cmp_ngt_f64_e64 s[2:3], |v[120:121]|, |v[122:123]|
                                        ; implicit-def: $vgpr124_vgpr125
	s_and_saveexec_b64 s[10:11], s[2:3]
	s_xor_b64 s[2:3], exec, s[10:11]
                                        ; implicit-def: $vgpr126_vgpr127
	s_cbranch_execz .LBB37_104
; %bb.103:
	v_div_scale_f64 v[124:125], s[10:11], v[122:123], v[122:123], v[120:121]
	v_rcp_f64_e32 v[126:127], v[124:125]
	v_div_scale_f64 v[128:129], vcc, v[120:121], v[122:123], v[120:121]
	v_fma_f64 v[130:131], -v[124:125], v[126:127], 1.0
	v_fmac_f64_e32 v[126:127], v[126:127], v[130:131]
	v_fma_f64 v[130:131], -v[124:125], v[126:127], 1.0
	v_fmac_f64_e32 v[126:127], v[126:127], v[130:131]
	v_mul_f64 v[130:131], v[128:129], v[126:127]
	v_fma_f64 v[124:125], -v[124:125], v[130:131], v[128:129]
	v_div_fmas_f64 v[124:125], v[124:125], v[126:127], v[130:131]
	v_div_fixup_f64 v[124:125], v[124:125], v[122:123], v[120:121]
	v_fmac_f64_e32 v[122:123], v[120:121], v[124:125]
	v_div_scale_f64 v[120:121], s[10:11], v[122:123], v[122:123], 1.0
	v_rcp_f64_e32 v[126:127], v[120:121]
	s_nop 0
	v_fma_f64 v[128:129], -v[120:121], v[126:127], 1.0
	v_fmac_f64_e32 v[126:127], v[126:127], v[128:129]
	v_fma_f64 v[128:129], -v[120:121], v[126:127], 1.0
	v_fmac_f64_e32 v[126:127], v[126:127], v[128:129]
	v_div_scale_f64 v[128:129], vcc, 1.0, v[122:123], 1.0
	v_mul_f64 v[130:131], v[128:129], v[126:127]
	v_fma_f64 v[120:121], -v[120:121], v[130:131], v[128:129]
	s_nop 1
	v_div_fmas_f64 v[120:121], v[120:121], v[126:127], v[130:131]
	v_div_fixup_f64 v[126:127], v[120:121], v[122:123], 1.0
	v_mul_f64 v[124:125], v[124:125], v[126:127]
	v_xor_b32_e32 v127, 0x80000000, v127
                                        ; implicit-def: $vgpr120_vgpr121
.LBB37_104:
	s_andn2_saveexec_b64 s[2:3], s[2:3]
	s_cbranch_execz .LBB37_106
; %bb.105:
	v_div_scale_f64 v[124:125], s[10:11], v[120:121], v[120:121], v[122:123]
	v_rcp_f64_e32 v[126:127], v[124:125]
	v_div_scale_f64 v[128:129], vcc, v[122:123], v[120:121], v[122:123]
	v_fma_f64 v[130:131], -v[124:125], v[126:127], 1.0
	v_fmac_f64_e32 v[126:127], v[126:127], v[130:131]
	v_fma_f64 v[130:131], -v[124:125], v[126:127], 1.0
	v_fmac_f64_e32 v[126:127], v[126:127], v[130:131]
	v_mul_f64 v[130:131], v[128:129], v[126:127]
	v_fma_f64 v[124:125], -v[124:125], v[130:131], v[128:129]
	v_div_fmas_f64 v[124:125], v[124:125], v[126:127], v[130:131]
	v_div_fixup_f64 v[126:127], v[124:125], v[120:121], v[122:123]
	v_fmac_f64_e32 v[120:121], v[122:123], v[126:127]
	v_div_scale_f64 v[122:123], s[10:11], v[120:121], v[120:121], 1.0
	v_rcp_f64_e32 v[124:125], v[122:123]
	s_nop 0
	v_fma_f64 v[128:129], -v[122:123], v[124:125], 1.0
	v_fmac_f64_e32 v[124:125], v[124:125], v[128:129]
	v_fma_f64 v[128:129], -v[122:123], v[124:125], 1.0
	v_fmac_f64_e32 v[124:125], v[124:125], v[128:129]
	v_div_scale_f64 v[128:129], vcc, 1.0, v[120:121], 1.0
	v_mul_f64 v[130:131], v[128:129], v[124:125]
	v_fma_f64 v[122:123], -v[122:123], v[130:131], v[128:129]
	s_nop 1
	v_div_fmas_f64 v[122:123], v[122:123], v[124:125], v[130:131]
	v_div_fixup_f64 v[124:125], v[122:123], v[120:121], 1.0
	v_mul_f64 v[126:127], v[126:127], -v[124:125]
.LBB37_106:
	s_or_b64 exec, exec, s[2:3]
	ds_write2_b64 v193, v[124:125], v[126:127] offset1:1
.LBB37_107:
	s_or_b64 exec, exec, s[4:5]
	s_waitcnt lgkmcnt(0)
	s_barrier
	ds_read2_b64 v[120:123], v193 offset1:1
	v_cmp_lt_u32_e32 vcc, 11, v192
	s_and_saveexec_b64 s[2:3], vcc
	s_cbranch_execz .LBB37_109
; %bb.108:
	ds_read2_b64 v[124:127], v194 offset0:24 offset1:25
	ds_read2_b64 v[128:131], v194 offset0:26 offset1:27
	s_waitcnt vmcnt(7) lgkmcnt(2)
	v_mul_f64 v[132:133], v[120:121], v[42:43]
	v_fmac_f64_e32 v[132:133], v[122:123], v[40:41]
	v_mul_f64 v[42:43], v[122:123], v[42:43]
	v_fma_f64 v[40:41], v[120:121], v[40:41], -v[42:43]
	s_waitcnt lgkmcnt(1)
	v_mul_f64 v[42:43], v[126:127], v[132:133]
	v_fma_f64 v[42:43], v[124:125], v[40:41], -v[42:43]
	v_mul_f64 v[124:125], v[124:125], v[132:133]
	v_fmac_f64_e32 v[124:125], v[126:127], v[40:41]
	s_waitcnt vmcnt(6)
	v_add_f64 v[38:39], v[38:39], -v[124:125]
	ds_read2_b64 v[124:127], v194 offset0:28 offset1:29
	v_add_f64 v[36:37], v[36:37], -v[42:43]
	s_waitcnt lgkmcnt(1)
	v_mul_f64 v[42:43], v[130:131], v[132:133]
	v_fma_f64 v[42:43], v[128:129], v[40:41], -v[42:43]
	v_mul_f64 v[128:129], v[128:129], v[132:133]
	v_fmac_f64_e32 v[128:129], v[130:131], v[40:41]
	s_waitcnt vmcnt(5)
	v_add_f64 v[32:33], v[32:33], -v[42:43]
	v_add_f64 v[34:35], v[34:35], -v[128:129]
	ds_read2_b64 v[128:131], v194 offset0:30 offset1:31
	s_waitcnt lgkmcnt(1)
	v_mul_f64 v[42:43], v[126:127], v[132:133]
	v_fma_f64 v[42:43], v[124:125], v[40:41], -v[42:43]
	v_mul_f64 v[124:125], v[124:125], v[132:133]
	v_fmac_f64_e32 v[124:125], v[126:127], v[40:41]
	s_waitcnt vmcnt(4)
	v_add_f64 v[30:31], v[30:31], -v[124:125]
	ds_read2_b64 v[124:127], v194 offset0:32 offset1:33
	v_add_f64 v[28:29], v[28:29], -v[42:43]
	s_waitcnt lgkmcnt(1)
	v_mul_f64 v[42:43], v[130:131], v[132:133]
	v_fma_f64 v[42:43], v[128:129], v[40:41], -v[42:43]
	v_mul_f64 v[128:129], v[128:129], v[132:133]
	v_fmac_f64_e32 v[128:129], v[130:131], v[40:41]
	s_waitcnt vmcnt(3)
	v_add_f64 v[24:25], v[24:25], -v[42:43]
	v_add_f64 v[26:27], v[26:27], -v[128:129]
	ds_read2_b64 v[128:131], v194 offset0:34 offset1:35
	s_waitcnt lgkmcnt(1)
	v_mul_f64 v[42:43], v[126:127], v[132:133]
	v_fma_f64 v[42:43], v[124:125], v[40:41], -v[42:43]
	v_mul_f64 v[124:125], v[124:125], v[132:133]
	v_fmac_f64_e32 v[124:125], v[126:127], v[40:41]
	s_waitcnt vmcnt(2)
	v_add_f64 v[22:23], v[22:23], -v[124:125]
	ds_read2_b64 v[124:127], v194 offset0:36 offset1:37
	v_add_f64 v[20:21], v[20:21], -v[42:43]
	s_waitcnt lgkmcnt(1)
	v_mul_f64 v[42:43], v[130:131], v[132:133]
	v_fma_f64 v[42:43], v[128:129], v[40:41], -v[42:43]
	s_waitcnt vmcnt(1)
	v_add_f64 v[16:17], v[16:17], -v[42:43]
	s_waitcnt lgkmcnt(0)
	v_mul_f64 v[42:43], v[126:127], v[132:133]
	v_mul_f64 v[128:129], v[128:129], v[132:133]
	v_fma_f64 v[42:43], v[124:125], v[40:41], -v[42:43]
	v_mul_f64 v[124:125], v[124:125], v[132:133]
	v_fmac_f64_e32 v[128:129], v[130:131], v[40:41]
	v_fmac_f64_e32 v[124:125], v[126:127], v[40:41]
	v_add_f64 v[18:19], v[18:19], -v[128:129]
	s_waitcnt vmcnt(0)
	v_add_f64 v[72:73], v[72:73], -v[42:43]
	v_add_f64 v[74:75], v[74:75], -v[124:125]
	v_mov_b64_e32 v[42:43], v[132:133]
.LBB37_109:
	s_or_b64 exec, exec, s[2:3]
	v_cmp_eq_u32_e32 vcc, 12, v192
	s_waitcnt lgkmcnt(0)
	s_barrier
	s_and_saveexec_b64 s[4:5], vcc
	s_cbranch_execz .LBB37_116
; %bb.110:
	s_waitcnt vmcnt(6)
	ds_write2_b64 v193, v[36:37], v[38:39] offset1:1
	s_waitcnt vmcnt(5)
	ds_write2_b64 v194, v[32:33], v[34:35] offset0:26 offset1:27
	s_waitcnt vmcnt(4)
	ds_write2_b64 v194, v[28:29], v[30:31] offset0:28 offset1:29
	;; [unrolled: 2-line block ×6, first 2 shown]
	ds_read2_b64 v[124:127], v193 offset1:1
	s_waitcnt lgkmcnt(0)
	v_cmp_neq_f64_e32 vcc, 0, v[124:125]
	v_cmp_neq_f64_e64 s[2:3], 0, v[126:127]
	s_or_b64 s[2:3], vcc, s[2:3]
	s_and_b64 exec, exec, s[2:3]
	s_cbranch_execz .LBB37_116
; %bb.111:
	v_cmp_ngt_f64_e64 s[2:3], |v[124:125]|, |v[126:127]|
                                        ; implicit-def: $vgpr128_vgpr129
	s_and_saveexec_b64 s[10:11], s[2:3]
	s_xor_b64 s[2:3], exec, s[10:11]
                                        ; implicit-def: $vgpr130_vgpr131
	s_cbranch_execz .LBB37_113
; %bb.112:
	v_div_scale_f64 v[128:129], s[10:11], v[126:127], v[126:127], v[124:125]
	v_rcp_f64_e32 v[130:131], v[128:129]
	v_div_scale_f64 v[132:133], vcc, v[124:125], v[126:127], v[124:125]
	v_fma_f64 v[134:135], -v[128:129], v[130:131], 1.0
	v_fmac_f64_e32 v[130:131], v[130:131], v[134:135]
	v_fma_f64 v[134:135], -v[128:129], v[130:131], 1.0
	v_fmac_f64_e32 v[130:131], v[130:131], v[134:135]
	v_mul_f64 v[134:135], v[132:133], v[130:131]
	v_fma_f64 v[128:129], -v[128:129], v[134:135], v[132:133]
	v_div_fmas_f64 v[128:129], v[128:129], v[130:131], v[134:135]
	v_div_fixup_f64 v[128:129], v[128:129], v[126:127], v[124:125]
	v_fmac_f64_e32 v[126:127], v[124:125], v[128:129]
	v_div_scale_f64 v[124:125], s[10:11], v[126:127], v[126:127], 1.0
	v_rcp_f64_e32 v[130:131], v[124:125]
	s_nop 0
	v_fma_f64 v[132:133], -v[124:125], v[130:131], 1.0
	v_fmac_f64_e32 v[130:131], v[130:131], v[132:133]
	v_fma_f64 v[132:133], -v[124:125], v[130:131], 1.0
	v_fmac_f64_e32 v[130:131], v[130:131], v[132:133]
	v_div_scale_f64 v[132:133], vcc, 1.0, v[126:127], 1.0
	v_mul_f64 v[134:135], v[132:133], v[130:131]
	v_fma_f64 v[124:125], -v[124:125], v[134:135], v[132:133]
	s_nop 1
	v_div_fmas_f64 v[124:125], v[124:125], v[130:131], v[134:135]
	v_div_fixup_f64 v[130:131], v[124:125], v[126:127], 1.0
	v_mul_f64 v[128:129], v[128:129], v[130:131]
	v_xor_b32_e32 v131, 0x80000000, v131
                                        ; implicit-def: $vgpr124_vgpr125
.LBB37_113:
	s_andn2_saveexec_b64 s[2:3], s[2:3]
	s_cbranch_execz .LBB37_115
; %bb.114:
	v_div_scale_f64 v[128:129], s[10:11], v[124:125], v[124:125], v[126:127]
	v_rcp_f64_e32 v[130:131], v[128:129]
	v_div_scale_f64 v[132:133], vcc, v[126:127], v[124:125], v[126:127]
	v_fma_f64 v[134:135], -v[128:129], v[130:131], 1.0
	v_fmac_f64_e32 v[130:131], v[130:131], v[134:135]
	v_fma_f64 v[134:135], -v[128:129], v[130:131], 1.0
	v_fmac_f64_e32 v[130:131], v[130:131], v[134:135]
	v_mul_f64 v[134:135], v[132:133], v[130:131]
	v_fma_f64 v[128:129], -v[128:129], v[134:135], v[132:133]
	v_div_fmas_f64 v[128:129], v[128:129], v[130:131], v[134:135]
	v_div_fixup_f64 v[130:131], v[128:129], v[124:125], v[126:127]
	v_fmac_f64_e32 v[124:125], v[126:127], v[130:131]
	v_div_scale_f64 v[126:127], s[10:11], v[124:125], v[124:125], 1.0
	v_rcp_f64_e32 v[128:129], v[126:127]
	s_nop 0
	v_fma_f64 v[132:133], -v[126:127], v[128:129], 1.0
	v_fmac_f64_e32 v[128:129], v[128:129], v[132:133]
	v_fma_f64 v[132:133], -v[126:127], v[128:129], 1.0
	v_fmac_f64_e32 v[128:129], v[128:129], v[132:133]
	v_div_scale_f64 v[132:133], vcc, 1.0, v[124:125], 1.0
	v_mul_f64 v[134:135], v[132:133], v[128:129]
	v_fma_f64 v[126:127], -v[126:127], v[134:135], v[132:133]
	s_nop 1
	v_div_fmas_f64 v[126:127], v[126:127], v[128:129], v[134:135]
	v_div_fixup_f64 v[128:129], v[126:127], v[124:125], 1.0
	v_mul_f64 v[130:131], v[130:131], -v[128:129]
.LBB37_115:
	s_or_b64 exec, exec, s[2:3]
	ds_write2_b64 v193, v[128:129], v[130:131] offset1:1
.LBB37_116:
	s_or_b64 exec, exec, s[4:5]
	s_waitcnt lgkmcnt(0)
	s_barrier
	ds_read2_b64 v[124:127], v193 offset1:1
	v_cmp_lt_u32_e32 vcc, 12, v192
	s_and_saveexec_b64 s[2:3], vcc
	s_cbranch_execz .LBB37_118
; %bb.117:
	ds_read2_b64 v[128:131], v194 offset0:26 offset1:27
	ds_read2_b64 v[132:135], v194 offset0:28 offset1:29
	s_waitcnt vmcnt(6) lgkmcnt(2)
	v_mul_f64 v[136:137], v[124:125], v[38:39]
	v_fmac_f64_e32 v[136:137], v[126:127], v[36:37]
	v_mul_f64 v[38:39], v[126:127], v[38:39]
	v_fma_f64 v[36:37], v[124:125], v[36:37], -v[38:39]
	s_waitcnt lgkmcnt(1)
	v_mul_f64 v[38:39], v[130:131], v[136:137]
	v_fma_f64 v[38:39], v[128:129], v[36:37], -v[38:39]
	v_mul_f64 v[128:129], v[128:129], v[136:137]
	v_fmac_f64_e32 v[128:129], v[130:131], v[36:37]
	s_waitcnt vmcnt(5)
	v_add_f64 v[32:33], v[32:33], -v[38:39]
	v_add_f64 v[34:35], v[34:35], -v[128:129]
	s_waitcnt lgkmcnt(0)
	v_mul_f64 v[38:39], v[134:135], v[136:137]
	ds_read2_b64 v[128:131], v194 offset0:30 offset1:31
	v_fma_f64 v[38:39], v[132:133], v[36:37], -v[38:39]
	v_mul_f64 v[132:133], v[132:133], v[136:137]
	v_fmac_f64_e32 v[132:133], v[134:135], v[36:37]
	s_waitcnt vmcnt(4)
	v_add_f64 v[30:31], v[30:31], -v[132:133]
	ds_read2_b64 v[132:135], v194 offset0:32 offset1:33
	v_add_f64 v[28:29], v[28:29], -v[38:39]
	s_waitcnt lgkmcnt(1)
	v_mul_f64 v[38:39], v[130:131], v[136:137]
	v_fma_f64 v[38:39], v[128:129], v[36:37], -v[38:39]
	v_mul_f64 v[128:129], v[128:129], v[136:137]
	v_fmac_f64_e32 v[128:129], v[130:131], v[36:37]
	s_waitcnt vmcnt(3)
	v_add_f64 v[24:25], v[24:25], -v[38:39]
	v_add_f64 v[26:27], v[26:27], -v[128:129]
	s_waitcnt lgkmcnt(0)
	v_mul_f64 v[38:39], v[134:135], v[136:137]
	ds_read2_b64 v[128:131], v194 offset0:34 offset1:35
	v_fma_f64 v[38:39], v[132:133], v[36:37], -v[38:39]
	v_mul_f64 v[132:133], v[132:133], v[136:137]
	v_fmac_f64_e32 v[132:133], v[134:135], v[36:37]
	s_waitcnt vmcnt(2)
	v_add_f64 v[22:23], v[22:23], -v[132:133]
	ds_read2_b64 v[132:135], v194 offset0:36 offset1:37
	v_add_f64 v[20:21], v[20:21], -v[38:39]
	s_waitcnt lgkmcnt(1)
	v_mul_f64 v[38:39], v[130:131], v[136:137]
	v_fma_f64 v[38:39], v[128:129], v[36:37], -v[38:39]
	v_mul_f64 v[128:129], v[128:129], v[136:137]
	v_fmac_f64_e32 v[128:129], v[130:131], v[36:37]
	s_waitcnt vmcnt(1)
	v_add_f64 v[16:17], v[16:17], -v[38:39]
	v_add_f64 v[18:19], v[18:19], -v[128:129]
	s_waitcnt lgkmcnt(0)
	v_mul_f64 v[38:39], v[134:135], v[136:137]
	v_mul_f64 v[128:129], v[132:133], v[136:137]
	v_fma_f64 v[38:39], v[132:133], v[36:37], -v[38:39]
	v_fmac_f64_e32 v[128:129], v[134:135], v[36:37]
	s_waitcnt vmcnt(0)
	v_add_f64 v[72:73], v[72:73], -v[38:39]
	v_add_f64 v[74:75], v[74:75], -v[128:129]
	v_mov_b64_e32 v[38:39], v[136:137]
.LBB37_118:
	s_or_b64 exec, exec, s[2:3]
	v_cmp_eq_u32_e32 vcc, 13, v192
	s_waitcnt lgkmcnt(0)
	s_barrier
	s_and_saveexec_b64 s[4:5], vcc
	s_cbranch_execz .LBB37_125
; %bb.119:
	s_waitcnt vmcnt(5)
	ds_write2_b64 v193, v[32:33], v[34:35] offset1:1
	s_waitcnt vmcnt(4)
	ds_write2_b64 v194, v[28:29], v[30:31] offset0:28 offset1:29
	s_waitcnt vmcnt(3)
	ds_write2_b64 v194, v[24:25], v[26:27] offset0:30 offset1:31
	;; [unrolled: 2-line block ×5, first 2 shown]
	ds_read2_b64 v[128:131], v193 offset1:1
	s_waitcnt lgkmcnt(0)
	v_cmp_neq_f64_e32 vcc, 0, v[128:129]
	v_cmp_neq_f64_e64 s[2:3], 0, v[130:131]
	s_or_b64 s[2:3], vcc, s[2:3]
	s_and_b64 exec, exec, s[2:3]
	s_cbranch_execz .LBB37_125
; %bb.120:
	v_cmp_ngt_f64_e64 s[2:3], |v[128:129]|, |v[130:131]|
                                        ; implicit-def: $vgpr132_vgpr133
	s_and_saveexec_b64 s[10:11], s[2:3]
	s_xor_b64 s[2:3], exec, s[10:11]
                                        ; implicit-def: $vgpr134_vgpr135
	s_cbranch_execz .LBB37_122
; %bb.121:
	v_div_scale_f64 v[132:133], s[10:11], v[130:131], v[130:131], v[128:129]
	v_rcp_f64_e32 v[134:135], v[132:133]
	v_div_scale_f64 v[136:137], vcc, v[128:129], v[130:131], v[128:129]
	v_fma_f64 v[138:139], -v[132:133], v[134:135], 1.0
	v_fmac_f64_e32 v[134:135], v[134:135], v[138:139]
	v_fma_f64 v[138:139], -v[132:133], v[134:135], 1.0
	v_fmac_f64_e32 v[134:135], v[134:135], v[138:139]
	v_mul_f64 v[138:139], v[136:137], v[134:135]
	v_fma_f64 v[132:133], -v[132:133], v[138:139], v[136:137]
	v_div_fmas_f64 v[132:133], v[132:133], v[134:135], v[138:139]
	v_div_fixup_f64 v[132:133], v[132:133], v[130:131], v[128:129]
	v_fmac_f64_e32 v[130:131], v[128:129], v[132:133]
	v_div_scale_f64 v[128:129], s[10:11], v[130:131], v[130:131], 1.0
	v_rcp_f64_e32 v[134:135], v[128:129]
	s_nop 0
	v_fma_f64 v[136:137], -v[128:129], v[134:135], 1.0
	v_fmac_f64_e32 v[134:135], v[134:135], v[136:137]
	v_fma_f64 v[136:137], -v[128:129], v[134:135], 1.0
	v_fmac_f64_e32 v[134:135], v[134:135], v[136:137]
	v_div_scale_f64 v[136:137], vcc, 1.0, v[130:131], 1.0
	v_mul_f64 v[138:139], v[136:137], v[134:135]
	v_fma_f64 v[128:129], -v[128:129], v[138:139], v[136:137]
	s_nop 1
	v_div_fmas_f64 v[128:129], v[128:129], v[134:135], v[138:139]
	v_div_fixup_f64 v[134:135], v[128:129], v[130:131], 1.0
	v_mul_f64 v[132:133], v[132:133], v[134:135]
	v_xor_b32_e32 v135, 0x80000000, v135
                                        ; implicit-def: $vgpr128_vgpr129
.LBB37_122:
	s_andn2_saveexec_b64 s[2:3], s[2:3]
	s_cbranch_execz .LBB37_124
; %bb.123:
	v_div_scale_f64 v[132:133], s[10:11], v[128:129], v[128:129], v[130:131]
	v_rcp_f64_e32 v[134:135], v[132:133]
	v_div_scale_f64 v[136:137], vcc, v[130:131], v[128:129], v[130:131]
	v_fma_f64 v[138:139], -v[132:133], v[134:135], 1.0
	v_fmac_f64_e32 v[134:135], v[134:135], v[138:139]
	v_fma_f64 v[138:139], -v[132:133], v[134:135], 1.0
	v_fmac_f64_e32 v[134:135], v[134:135], v[138:139]
	v_mul_f64 v[138:139], v[136:137], v[134:135]
	v_fma_f64 v[132:133], -v[132:133], v[138:139], v[136:137]
	v_div_fmas_f64 v[132:133], v[132:133], v[134:135], v[138:139]
	v_div_fixup_f64 v[134:135], v[132:133], v[128:129], v[130:131]
	v_fmac_f64_e32 v[128:129], v[130:131], v[134:135]
	v_div_scale_f64 v[130:131], s[10:11], v[128:129], v[128:129], 1.0
	v_rcp_f64_e32 v[132:133], v[130:131]
	s_nop 0
	v_fma_f64 v[136:137], -v[130:131], v[132:133], 1.0
	v_fmac_f64_e32 v[132:133], v[132:133], v[136:137]
	v_fma_f64 v[136:137], -v[130:131], v[132:133], 1.0
	v_fmac_f64_e32 v[132:133], v[132:133], v[136:137]
	v_div_scale_f64 v[136:137], vcc, 1.0, v[128:129], 1.0
	v_mul_f64 v[138:139], v[136:137], v[132:133]
	v_fma_f64 v[130:131], -v[130:131], v[138:139], v[136:137]
	s_nop 1
	v_div_fmas_f64 v[130:131], v[130:131], v[132:133], v[138:139]
	v_div_fixup_f64 v[132:133], v[130:131], v[128:129], 1.0
	v_mul_f64 v[134:135], v[134:135], -v[132:133]
.LBB37_124:
	s_or_b64 exec, exec, s[2:3]
	ds_write2_b64 v193, v[132:133], v[134:135] offset1:1
.LBB37_125:
	s_or_b64 exec, exec, s[4:5]
	s_waitcnt lgkmcnt(0)
	s_barrier
	ds_read2_b64 v[128:131], v193 offset1:1
	v_cmp_lt_u32_e32 vcc, 13, v192
	s_and_saveexec_b64 s[2:3], vcc
	s_cbranch_execz .LBB37_127
; %bb.126:
	ds_read2_b64 v[132:135], v194 offset0:28 offset1:29
	ds_read2_b64 v[136:139], v194 offset0:30 offset1:31
	s_waitcnt vmcnt(5) lgkmcnt(2)
	v_mul_f64 v[140:141], v[128:129], v[34:35]
	v_fmac_f64_e32 v[140:141], v[130:131], v[32:33]
	v_mul_f64 v[34:35], v[130:131], v[34:35]
	v_fma_f64 v[32:33], v[128:129], v[32:33], -v[34:35]
	s_waitcnt lgkmcnt(1)
	v_mul_f64 v[34:35], v[134:135], v[140:141]
	v_fma_f64 v[34:35], v[132:133], v[32:33], -v[34:35]
	v_mul_f64 v[132:133], v[132:133], v[140:141]
	v_fmac_f64_e32 v[132:133], v[134:135], v[32:33]
	s_waitcnt vmcnt(4)
	v_add_f64 v[30:31], v[30:31], -v[132:133]
	ds_read2_b64 v[132:135], v194 offset0:32 offset1:33
	v_add_f64 v[28:29], v[28:29], -v[34:35]
	s_waitcnt lgkmcnt(1)
	v_mul_f64 v[34:35], v[138:139], v[140:141]
	v_fma_f64 v[34:35], v[136:137], v[32:33], -v[34:35]
	v_mul_f64 v[136:137], v[136:137], v[140:141]
	v_fmac_f64_e32 v[136:137], v[138:139], v[32:33]
	s_waitcnt vmcnt(3)
	v_add_f64 v[24:25], v[24:25], -v[34:35]
	v_add_f64 v[26:27], v[26:27], -v[136:137]
	ds_read2_b64 v[136:139], v194 offset0:34 offset1:35
	s_waitcnt lgkmcnt(1)
	v_mul_f64 v[34:35], v[134:135], v[140:141]
	v_fma_f64 v[34:35], v[132:133], v[32:33], -v[34:35]
	v_mul_f64 v[132:133], v[132:133], v[140:141]
	v_fmac_f64_e32 v[132:133], v[134:135], v[32:33]
	s_waitcnt vmcnt(2)
	v_add_f64 v[22:23], v[22:23], -v[132:133]
	ds_read2_b64 v[132:135], v194 offset0:36 offset1:37
	v_add_f64 v[20:21], v[20:21], -v[34:35]
	s_waitcnt lgkmcnt(1)
	v_mul_f64 v[34:35], v[138:139], v[140:141]
	v_fma_f64 v[34:35], v[136:137], v[32:33], -v[34:35]
	s_waitcnt vmcnt(1)
	v_add_f64 v[16:17], v[16:17], -v[34:35]
	s_waitcnt lgkmcnt(0)
	v_mul_f64 v[34:35], v[134:135], v[140:141]
	v_mul_f64 v[136:137], v[136:137], v[140:141]
	v_fma_f64 v[34:35], v[132:133], v[32:33], -v[34:35]
	v_mul_f64 v[132:133], v[132:133], v[140:141]
	v_fmac_f64_e32 v[136:137], v[138:139], v[32:33]
	v_fmac_f64_e32 v[132:133], v[134:135], v[32:33]
	v_add_f64 v[18:19], v[18:19], -v[136:137]
	s_waitcnt vmcnt(0)
	v_add_f64 v[72:73], v[72:73], -v[34:35]
	v_add_f64 v[74:75], v[74:75], -v[132:133]
	v_mov_b64_e32 v[34:35], v[140:141]
.LBB37_127:
	s_or_b64 exec, exec, s[2:3]
	v_cmp_eq_u32_e32 vcc, 14, v192
	s_waitcnt lgkmcnt(0)
	s_barrier
	s_and_saveexec_b64 s[4:5], vcc
	s_cbranch_execz .LBB37_134
; %bb.128:
	s_waitcnt vmcnt(4)
	ds_write2_b64 v193, v[28:29], v[30:31] offset1:1
	s_waitcnt vmcnt(3)
	ds_write2_b64 v194, v[24:25], v[26:27] offset0:30 offset1:31
	s_waitcnt vmcnt(2)
	ds_write2_b64 v194, v[20:21], v[22:23] offset0:32 offset1:33
	;; [unrolled: 2-line block ×4, first 2 shown]
	ds_read2_b64 v[132:135], v193 offset1:1
	s_waitcnt lgkmcnt(0)
	v_cmp_neq_f64_e32 vcc, 0, v[132:133]
	v_cmp_neq_f64_e64 s[2:3], 0, v[134:135]
	s_or_b64 s[2:3], vcc, s[2:3]
	s_and_b64 exec, exec, s[2:3]
	s_cbranch_execz .LBB37_134
; %bb.129:
	v_cmp_ngt_f64_e64 s[2:3], |v[132:133]|, |v[134:135]|
                                        ; implicit-def: $vgpr136_vgpr137
	s_and_saveexec_b64 s[10:11], s[2:3]
	s_xor_b64 s[2:3], exec, s[10:11]
                                        ; implicit-def: $vgpr138_vgpr139
	s_cbranch_execz .LBB37_131
; %bb.130:
	v_div_scale_f64 v[136:137], s[10:11], v[134:135], v[134:135], v[132:133]
	v_rcp_f64_e32 v[138:139], v[136:137]
	v_div_scale_f64 v[140:141], vcc, v[132:133], v[134:135], v[132:133]
	v_fma_f64 v[142:143], -v[136:137], v[138:139], 1.0
	v_fmac_f64_e32 v[138:139], v[138:139], v[142:143]
	v_fma_f64 v[142:143], -v[136:137], v[138:139], 1.0
	v_fmac_f64_e32 v[138:139], v[138:139], v[142:143]
	v_mul_f64 v[142:143], v[140:141], v[138:139]
	v_fma_f64 v[136:137], -v[136:137], v[142:143], v[140:141]
	v_div_fmas_f64 v[136:137], v[136:137], v[138:139], v[142:143]
	v_div_fixup_f64 v[136:137], v[136:137], v[134:135], v[132:133]
	v_fmac_f64_e32 v[134:135], v[132:133], v[136:137]
	v_div_scale_f64 v[132:133], s[10:11], v[134:135], v[134:135], 1.0
	v_rcp_f64_e32 v[138:139], v[132:133]
	s_nop 0
	v_fma_f64 v[140:141], -v[132:133], v[138:139], 1.0
	v_fmac_f64_e32 v[138:139], v[138:139], v[140:141]
	v_fma_f64 v[140:141], -v[132:133], v[138:139], 1.0
	v_fmac_f64_e32 v[138:139], v[138:139], v[140:141]
	v_div_scale_f64 v[140:141], vcc, 1.0, v[134:135], 1.0
	v_mul_f64 v[142:143], v[140:141], v[138:139]
	v_fma_f64 v[132:133], -v[132:133], v[142:143], v[140:141]
	s_nop 1
	v_div_fmas_f64 v[132:133], v[132:133], v[138:139], v[142:143]
	v_div_fixup_f64 v[138:139], v[132:133], v[134:135], 1.0
	v_mul_f64 v[136:137], v[136:137], v[138:139]
	v_xor_b32_e32 v139, 0x80000000, v139
                                        ; implicit-def: $vgpr132_vgpr133
.LBB37_131:
	s_andn2_saveexec_b64 s[2:3], s[2:3]
	s_cbranch_execz .LBB37_133
; %bb.132:
	v_div_scale_f64 v[136:137], s[10:11], v[132:133], v[132:133], v[134:135]
	v_rcp_f64_e32 v[138:139], v[136:137]
	v_div_scale_f64 v[140:141], vcc, v[134:135], v[132:133], v[134:135]
	v_fma_f64 v[142:143], -v[136:137], v[138:139], 1.0
	v_fmac_f64_e32 v[138:139], v[138:139], v[142:143]
	v_fma_f64 v[142:143], -v[136:137], v[138:139], 1.0
	v_fmac_f64_e32 v[138:139], v[138:139], v[142:143]
	v_mul_f64 v[142:143], v[140:141], v[138:139]
	v_fma_f64 v[136:137], -v[136:137], v[142:143], v[140:141]
	v_div_fmas_f64 v[136:137], v[136:137], v[138:139], v[142:143]
	v_div_fixup_f64 v[138:139], v[136:137], v[132:133], v[134:135]
	v_fmac_f64_e32 v[132:133], v[134:135], v[138:139]
	v_div_scale_f64 v[134:135], s[10:11], v[132:133], v[132:133], 1.0
	v_rcp_f64_e32 v[136:137], v[134:135]
	s_nop 0
	v_fma_f64 v[140:141], -v[134:135], v[136:137], 1.0
	v_fmac_f64_e32 v[136:137], v[136:137], v[140:141]
	v_fma_f64 v[140:141], -v[134:135], v[136:137], 1.0
	v_fmac_f64_e32 v[136:137], v[136:137], v[140:141]
	v_div_scale_f64 v[140:141], vcc, 1.0, v[132:133], 1.0
	v_mul_f64 v[142:143], v[140:141], v[136:137]
	v_fma_f64 v[134:135], -v[134:135], v[142:143], v[140:141]
	s_nop 1
	v_div_fmas_f64 v[134:135], v[134:135], v[136:137], v[142:143]
	v_div_fixup_f64 v[136:137], v[134:135], v[132:133], 1.0
	v_mul_f64 v[138:139], v[138:139], -v[136:137]
.LBB37_133:
	s_or_b64 exec, exec, s[2:3]
	ds_write2_b64 v193, v[136:137], v[138:139] offset1:1
.LBB37_134:
	s_or_b64 exec, exec, s[4:5]
	s_waitcnt lgkmcnt(0)
	s_barrier
	ds_read2_b64 v[132:135], v193 offset1:1
	v_cmp_lt_u32_e32 vcc, 14, v192
	s_and_saveexec_b64 s[2:3], vcc
	s_cbranch_execz .LBB37_136
; %bb.135:
	ds_read2_b64 v[136:139], v194 offset0:30 offset1:31
	ds_read2_b64 v[140:143], v194 offset0:32 offset1:33
	s_waitcnt vmcnt(4) lgkmcnt(2)
	v_mul_f64 v[144:145], v[132:133], v[30:31]
	v_fmac_f64_e32 v[144:145], v[134:135], v[28:29]
	v_mul_f64 v[30:31], v[134:135], v[30:31]
	v_fma_f64 v[28:29], v[132:133], v[28:29], -v[30:31]
	s_waitcnt lgkmcnt(1)
	v_mul_f64 v[30:31], v[138:139], v[144:145]
	v_fma_f64 v[30:31], v[136:137], v[28:29], -v[30:31]
	v_mul_f64 v[136:137], v[136:137], v[144:145]
	v_fmac_f64_e32 v[136:137], v[138:139], v[28:29]
	s_waitcnt vmcnt(3)
	v_add_f64 v[24:25], v[24:25], -v[30:31]
	v_add_f64 v[26:27], v[26:27], -v[136:137]
	s_waitcnt lgkmcnt(0)
	v_mul_f64 v[30:31], v[142:143], v[144:145]
	ds_read2_b64 v[136:139], v194 offset0:34 offset1:35
	v_fma_f64 v[30:31], v[140:141], v[28:29], -v[30:31]
	v_mul_f64 v[140:141], v[140:141], v[144:145]
	v_fmac_f64_e32 v[140:141], v[142:143], v[28:29]
	s_waitcnt vmcnt(2)
	v_add_f64 v[22:23], v[22:23], -v[140:141]
	ds_read2_b64 v[140:143], v194 offset0:36 offset1:37
	v_add_f64 v[20:21], v[20:21], -v[30:31]
	s_waitcnt lgkmcnt(1)
	v_mul_f64 v[30:31], v[138:139], v[144:145]
	v_fma_f64 v[30:31], v[136:137], v[28:29], -v[30:31]
	v_mul_f64 v[136:137], v[136:137], v[144:145]
	v_fmac_f64_e32 v[136:137], v[138:139], v[28:29]
	s_waitcnt vmcnt(1)
	v_add_f64 v[16:17], v[16:17], -v[30:31]
	v_add_f64 v[18:19], v[18:19], -v[136:137]
	s_waitcnt lgkmcnt(0)
	v_mul_f64 v[30:31], v[142:143], v[144:145]
	v_mul_f64 v[136:137], v[140:141], v[144:145]
	v_fma_f64 v[30:31], v[140:141], v[28:29], -v[30:31]
	v_fmac_f64_e32 v[136:137], v[142:143], v[28:29]
	s_waitcnt vmcnt(0)
	v_add_f64 v[72:73], v[72:73], -v[30:31]
	v_add_f64 v[74:75], v[74:75], -v[136:137]
	v_mov_b64_e32 v[30:31], v[144:145]
.LBB37_136:
	s_or_b64 exec, exec, s[2:3]
	v_cmp_eq_u32_e32 vcc, 15, v192
	s_waitcnt lgkmcnt(0)
	s_barrier
	s_and_saveexec_b64 s[4:5], vcc
	s_cbranch_execz .LBB37_143
; %bb.137:
	s_waitcnt vmcnt(3)
	ds_write2_b64 v193, v[24:25], v[26:27] offset1:1
	s_waitcnt vmcnt(2)
	ds_write2_b64 v194, v[20:21], v[22:23] offset0:32 offset1:33
	s_waitcnt vmcnt(1)
	ds_write2_b64 v194, v[16:17], v[18:19] offset0:34 offset1:35
	;; [unrolled: 2-line block ×3, first 2 shown]
	ds_read2_b64 v[136:139], v193 offset1:1
	s_waitcnt lgkmcnt(0)
	v_cmp_neq_f64_e32 vcc, 0, v[136:137]
	v_cmp_neq_f64_e64 s[2:3], 0, v[138:139]
	s_or_b64 s[2:3], vcc, s[2:3]
	s_and_b64 exec, exec, s[2:3]
	s_cbranch_execz .LBB37_143
; %bb.138:
	v_cmp_ngt_f64_e64 s[2:3], |v[136:137]|, |v[138:139]|
                                        ; implicit-def: $vgpr140_vgpr141
	s_and_saveexec_b64 s[10:11], s[2:3]
	s_xor_b64 s[2:3], exec, s[10:11]
                                        ; implicit-def: $vgpr142_vgpr143
	s_cbranch_execz .LBB37_140
; %bb.139:
	v_div_scale_f64 v[140:141], s[10:11], v[138:139], v[138:139], v[136:137]
	v_rcp_f64_e32 v[142:143], v[140:141]
	v_div_scale_f64 v[144:145], vcc, v[136:137], v[138:139], v[136:137]
	v_fma_f64 v[146:147], -v[140:141], v[142:143], 1.0
	v_fmac_f64_e32 v[142:143], v[142:143], v[146:147]
	v_fma_f64 v[146:147], -v[140:141], v[142:143], 1.0
	v_fmac_f64_e32 v[142:143], v[142:143], v[146:147]
	v_mul_f64 v[146:147], v[144:145], v[142:143]
	v_fma_f64 v[140:141], -v[140:141], v[146:147], v[144:145]
	v_div_fmas_f64 v[140:141], v[140:141], v[142:143], v[146:147]
	v_div_fixup_f64 v[140:141], v[140:141], v[138:139], v[136:137]
	v_fmac_f64_e32 v[138:139], v[136:137], v[140:141]
	v_div_scale_f64 v[136:137], s[10:11], v[138:139], v[138:139], 1.0
	v_rcp_f64_e32 v[142:143], v[136:137]
	s_nop 0
	v_fma_f64 v[144:145], -v[136:137], v[142:143], 1.0
	v_fmac_f64_e32 v[142:143], v[142:143], v[144:145]
	v_fma_f64 v[144:145], -v[136:137], v[142:143], 1.0
	v_fmac_f64_e32 v[142:143], v[142:143], v[144:145]
	v_div_scale_f64 v[144:145], vcc, 1.0, v[138:139], 1.0
	v_mul_f64 v[146:147], v[144:145], v[142:143]
	v_fma_f64 v[136:137], -v[136:137], v[146:147], v[144:145]
	s_nop 1
	v_div_fmas_f64 v[136:137], v[136:137], v[142:143], v[146:147]
	v_div_fixup_f64 v[142:143], v[136:137], v[138:139], 1.0
	v_mul_f64 v[140:141], v[140:141], v[142:143]
	v_xor_b32_e32 v143, 0x80000000, v143
                                        ; implicit-def: $vgpr136_vgpr137
.LBB37_140:
	s_andn2_saveexec_b64 s[2:3], s[2:3]
	s_cbranch_execz .LBB37_142
; %bb.141:
	v_div_scale_f64 v[140:141], s[10:11], v[136:137], v[136:137], v[138:139]
	v_rcp_f64_e32 v[142:143], v[140:141]
	v_div_scale_f64 v[144:145], vcc, v[138:139], v[136:137], v[138:139]
	v_fma_f64 v[146:147], -v[140:141], v[142:143], 1.0
	v_fmac_f64_e32 v[142:143], v[142:143], v[146:147]
	v_fma_f64 v[146:147], -v[140:141], v[142:143], 1.0
	v_fmac_f64_e32 v[142:143], v[142:143], v[146:147]
	v_mul_f64 v[146:147], v[144:145], v[142:143]
	v_fma_f64 v[140:141], -v[140:141], v[146:147], v[144:145]
	v_div_fmas_f64 v[140:141], v[140:141], v[142:143], v[146:147]
	v_div_fixup_f64 v[142:143], v[140:141], v[136:137], v[138:139]
	v_fmac_f64_e32 v[136:137], v[138:139], v[142:143]
	v_div_scale_f64 v[138:139], s[10:11], v[136:137], v[136:137], 1.0
	v_rcp_f64_e32 v[140:141], v[138:139]
	s_nop 0
	v_fma_f64 v[144:145], -v[138:139], v[140:141], 1.0
	v_fmac_f64_e32 v[140:141], v[140:141], v[144:145]
	v_fma_f64 v[144:145], -v[138:139], v[140:141], 1.0
	v_fmac_f64_e32 v[140:141], v[140:141], v[144:145]
	v_div_scale_f64 v[144:145], vcc, 1.0, v[136:137], 1.0
	v_mul_f64 v[146:147], v[144:145], v[140:141]
	v_fma_f64 v[138:139], -v[138:139], v[146:147], v[144:145]
	s_nop 1
	v_div_fmas_f64 v[138:139], v[138:139], v[140:141], v[146:147]
	v_div_fixup_f64 v[140:141], v[138:139], v[136:137], 1.0
	v_mul_f64 v[142:143], v[142:143], -v[140:141]
.LBB37_142:
	s_or_b64 exec, exec, s[2:3]
	ds_write2_b64 v193, v[140:141], v[142:143] offset1:1
.LBB37_143:
	s_or_b64 exec, exec, s[4:5]
	s_waitcnt lgkmcnt(0)
	s_barrier
	ds_read2_b64 v[136:139], v193 offset1:1
	v_cmp_lt_u32_e32 vcc, 15, v192
	s_and_saveexec_b64 s[2:3], vcc
	s_cbranch_execz .LBB37_145
; %bb.144:
	ds_read2_b64 v[140:143], v194 offset0:32 offset1:33
	ds_read2_b64 v[144:147], v194 offset0:34 offset1:35
	s_waitcnt vmcnt(3) lgkmcnt(2)
	v_mul_f64 v[148:149], v[136:137], v[26:27]
	v_fmac_f64_e32 v[148:149], v[138:139], v[24:25]
	v_mul_f64 v[26:27], v[138:139], v[26:27]
	v_fma_f64 v[24:25], v[136:137], v[24:25], -v[26:27]
	s_waitcnt lgkmcnt(1)
	v_mul_f64 v[26:27], v[142:143], v[148:149]
	v_fma_f64 v[26:27], v[140:141], v[24:25], -v[26:27]
	v_mul_f64 v[140:141], v[140:141], v[148:149]
	v_fmac_f64_e32 v[140:141], v[142:143], v[24:25]
	s_waitcnt vmcnt(2)
	v_add_f64 v[22:23], v[22:23], -v[140:141]
	ds_read2_b64 v[140:143], v194 offset0:36 offset1:37
	v_add_f64 v[20:21], v[20:21], -v[26:27]
	s_waitcnt lgkmcnt(1)
	v_mul_f64 v[26:27], v[146:147], v[148:149]
	v_fma_f64 v[26:27], v[144:145], v[24:25], -v[26:27]
	s_waitcnt vmcnt(1)
	v_add_f64 v[16:17], v[16:17], -v[26:27]
	s_waitcnt lgkmcnt(0)
	v_mul_f64 v[26:27], v[142:143], v[148:149]
	v_mul_f64 v[144:145], v[144:145], v[148:149]
	v_fma_f64 v[26:27], v[140:141], v[24:25], -v[26:27]
	v_mul_f64 v[140:141], v[140:141], v[148:149]
	v_fmac_f64_e32 v[144:145], v[146:147], v[24:25]
	v_fmac_f64_e32 v[140:141], v[142:143], v[24:25]
	v_add_f64 v[18:19], v[18:19], -v[144:145]
	s_waitcnt vmcnt(0)
	v_add_f64 v[72:73], v[72:73], -v[26:27]
	v_add_f64 v[74:75], v[74:75], -v[140:141]
	v_mov_b64_e32 v[26:27], v[148:149]
.LBB37_145:
	s_or_b64 exec, exec, s[2:3]
	v_cmp_eq_u32_e32 vcc, 16, v192
	s_waitcnt lgkmcnt(0)
	s_barrier
	s_and_saveexec_b64 s[4:5], vcc
	s_cbranch_execz .LBB37_152
; %bb.146:
	s_waitcnt vmcnt(2)
	ds_write2_b64 v193, v[20:21], v[22:23] offset1:1
	s_waitcnt vmcnt(1)
	ds_write2_b64 v194, v[16:17], v[18:19] offset0:34 offset1:35
	s_waitcnt vmcnt(0)
	ds_write2_b64 v194, v[72:73], v[74:75] offset0:36 offset1:37
	ds_read2_b64 v[140:143], v193 offset1:1
	s_waitcnt lgkmcnt(0)
	v_cmp_neq_f64_e32 vcc, 0, v[140:141]
	v_cmp_neq_f64_e64 s[2:3], 0, v[142:143]
	s_or_b64 s[2:3], vcc, s[2:3]
	s_and_b64 exec, exec, s[2:3]
	s_cbranch_execz .LBB37_152
; %bb.147:
	v_cmp_ngt_f64_e64 s[2:3], |v[140:141]|, |v[142:143]|
                                        ; implicit-def: $vgpr144_vgpr145
	s_and_saveexec_b64 s[10:11], s[2:3]
	s_xor_b64 s[2:3], exec, s[10:11]
                                        ; implicit-def: $vgpr146_vgpr147
	s_cbranch_execz .LBB37_149
; %bb.148:
	v_div_scale_f64 v[144:145], s[10:11], v[142:143], v[142:143], v[140:141]
	v_rcp_f64_e32 v[146:147], v[144:145]
	v_div_scale_f64 v[148:149], vcc, v[140:141], v[142:143], v[140:141]
	v_fma_f64 v[150:151], -v[144:145], v[146:147], 1.0
	v_fmac_f64_e32 v[146:147], v[146:147], v[150:151]
	v_fma_f64 v[150:151], -v[144:145], v[146:147], 1.0
	v_fmac_f64_e32 v[146:147], v[146:147], v[150:151]
	v_mul_f64 v[150:151], v[148:149], v[146:147]
	v_fma_f64 v[144:145], -v[144:145], v[150:151], v[148:149]
	v_div_fmas_f64 v[144:145], v[144:145], v[146:147], v[150:151]
	v_div_fixup_f64 v[144:145], v[144:145], v[142:143], v[140:141]
	v_fmac_f64_e32 v[142:143], v[140:141], v[144:145]
	v_div_scale_f64 v[140:141], s[10:11], v[142:143], v[142:143], 1.0
	v_rcp_f64_e32 v[146:147], v[140:141]
	s_nop 0
	v_fma_f64 v[148:149], -v[140:141], v[146:147], 1.0
	v_fmac_f64_e32 v[146:147], v[146:147], v[148:149]
	v_fma_f64 v[148:149], -v[140:141], v[146:147], 1.0
	v_fmac_f64_e32 v[146:147], v[146:147], v[148:149]
	v_div_scale_f64 v[148:149], vcc, 1.0, v[142:143], 1.0
	v_mul_f64 v[150:151], v[148:149], v[146:147]
	v_fma_f64 v[140:141], -v[140:141], v[150:151], v[148:149]
	s_nop 1
	v_div_fmas_f64 v[140:141], v[140:141], v[146:147], v[150:151]
	v_div_fixup_f64 v[146:147], v[140:141], v[142:143], 1.0
	v_mul_f64 v[144:145], v[144:145], v[146:147]
	v_xor_b32_e32 v147, 0x80000000, v147
                                        ; implicit-def: $vgpr140_vgpr141
.LBB37_149:
	s_andn2_saveexec_b64 s[2:3], s[2:3]
	s_cbranch_execz .LBB37_151
; %bb.150:
	v_div_scale_f64 v[144:145], s[10:11], v[140:141], v[140:141], v[142:143]
	v_rcp_f64_e32 v[146:147], v[144:145]
	v_div_scale_f64 v[148:149], vcc, v[142:143], v[140:141], v[142:143]
	v_fma_f64 v[150:151], -v[144:145], v[146:147], 1.0
	v_fmac_f64_e32 v[146:147], v[146:147], v[150:151]
	v_fma_f64 v[150:151], -v[144:145], v[146:147], 1.0
	v_fmac_f64_e32 v[146:147], v[146:147], v[150:151]
	v_mul_f64 v[150:151], v[148:149], v[146:147]
	v_fma_f64 v[144:145], -v[144:145], v[150:151], v[148:149]
	v_div_fmas_f64 v[144:145], v[144:145], v[146:147], v[150:151]
	v_div_fixup_f64 v[146:147], v[144:145], v[140:141], v[142:143]
	v_fmac_f64_e32 v[140:141], v[142:143], v[146:147]
	v_div_scale_f64 v[142:143], s[10:11], v[140:141], v[140:141], 1.0
	v_rcp_f64_e32 v[144:145], v[142:143]
	s_nop 0
	v_fma_f64 v[148:149], -v[142:143], v[144:145], 1.0
	v_fmac_f64_e32 v[144:145], v[144:145], v[148:149]
	v_fma_f64 v[148:149], -v[142:143], v[144:145], 1.0
	v_fmac_f64_e32 v[144:145], v[144:145], v[148:149]
	v_div_scale_f64 v[148:149], vcc, 1.0, v[140:141], 1.0
	v_mul_f64 v[150:151], v[148:149], v[144:145]
	v_fma_f64 v[142:143], -v[142:143], v[150:151], v[148:149]
	s_nop 1
	v_div_fmas_f64 v[142:143], v[142:143], v[144:145], v[150:151]
	v_div_fixup_f64 v[144:145], v[142:143], v[140:141], 1.0
	v_mul_f64 v[146:147], v[146:147], -v[144:145]
.LBB37_151:
	s_or_b64 exec, exec, s[2:3]
	ds_write2_b64 v193, v[144:145], v[146:147] offset1:1
.LBB37_152:
	s_or_b64 exec, exec, s[4:5]
	s_waitcnt lgkmcnt(0)
	s_barrier
	ds_read2_b64 v[140:143], v193 offset1:1
	v_cmp_lt_u32_e32 vcc, 16, v192
	s_and_saveexec_b64 s[2:3], vcc
	s_cbranch_execz .LBB37_154
; %bb.153:
	ds_read2_b64 v[144:147], v194 offset0:34 offset1:35
	ds_read2_b64 v[148:151], v194 offset0:36 offset1:37
	s_waitcnt vmcnt(2) lgkmcnt(2)
	v_mul_f64 v[196:197], v[140:141], v[22:23]
	v_fmac_f64_e32 v[196:197], v[142:143], v[20:21]
	v_mul_f64 v[22:23], v[142:143], v[22:23]
	v_fma_f64 v[20:21], v[140:141], v[20:21], -v[22:23]
	s_waitcnt lgkmcnt(1)
	v_mul_f64 v[22:23], v[146:147], v[196:197]
	v_fma_f64 v[22:23], v[144:145], v[20:21], -v[22:23]
	v_mul_f64 v[144:145], v[144:145], v[196:197]
	v_fmac_f64_e32 v[144:145], v[146:147], v[20:21]
	s_waitcnt vmcnt(1)
	v_add_f64 v[16:17], v[16:17], -v[22:23]
	v_add_f64 v[18:19], v[18:19], -v[144:145]
	s_waitcnt lgkmcnt(0)
	v_mul_f64 v[22:23], v[150:151], v[196:197]
	v_mul_f64 v[144:145], v[148:149], v[196:197]
	v_fma_f64 v[22:23], v[148:149], v[20:21], -v[22:23]
	v_fmac_f64_e32 v[144:145], v[150:151], v[20:21]
	s_waitcnt vmcnt(0)
	v_add_f64 v[72:73], v[72:73], -v[22:23]
	v_add_f64 v[74:75], v[74:75], -v[144:145]
	v_mov_b64_e32 v[22:23], v[196:197]
.LBB37_154:
	s_or_b64 exec, exec, s[2:3]
	v_cmp_eq_u32_e32 vcc, 17, v192
	s_waitcnt lgkmcnt(0)
	s_barrier
	s_and_saveexec_b64 s[4:5], vcc
	s_cbranch_execz .LBB37_161
; %bb.155:
	s_waitcnt vmcnt(1)
	ds_write2_b64 v193, v[16:17], v[18:19] offset1:1
	s_waitcnt vmcnt(0)
	ds_write2_b64 v194, v[72:73], v[74:75] offset0:36 offset1:37
	ds_read2_b64 v[144:147], v193 offset1:1
	s_waitcnt lgkmcnt(0)
	v_cmp_neq_f64_e32 vcc, 0, v[144:145]
	v_cmp_neq_f64_e64 s[2:3], 0, v[146:147]
	s_or_b64 s[2:3], vcc, s[2:3]
	s_and_b64 exec, exec, s[2:3]
	s_cbranch_execz .LBB37_161
; %bb.156:
	v_cmp_ngt_f64_e64 s[2:3], |v[144:145]|, |v[146:147]|
                                        ; implicit-def: $vgpr148_vgpr149
	s_and_saveexec_b64 s[10:11], s[2:3]
	s_xor_b64 s[2:3], exec, s[10:11]
                                        ; implicit-def: $vgpr150_vgpr151
	s_cbranch_execz .LBB37_158
; %bb.157:
	v_div_scale_f64 v[148:149], s[10:11], v[146:147], v[146:147], v[144:145]
	v_rcp_f64_e32 v[150:151], v[148:149]
	v_div_scale_f64 v[196:197], vcc, v[144:145], v[146:147], v[144:145]
	v_fma_f64 v[198:199], -v[148:149], v[150:151], 1.0
	v_fmac_f64_e32 v[150:151], v[150:151], v[198:199]
	v_fma_f64 v[198:199], -v[148:149], v[150:151], 1.0
	v_fmac_f64_e32 v[150:151], v[150:151], v[198:199]
	v_mul_f64 v[198:199], v[196:197], v[150:151]
	v_fma_f64 v[148:149], -v[148:149], v[198:199], v[196:197]
	v_div_fmas_f64 v[148:149], v[148:149], v[150:151], v[198:199]
	v_div_fixup_f64 v[148:149], v[148:149], v[146:147], v[144:145]
	v_fmac_f64_e32 v[146:147], v[144:145], v[148:149]
	v_div_scale_f64 v[144:145], s[10:11], v[146:147], v[146:147], 1.0
	v_rcp_f64_e32 v[150:151], v[144:145]
	s_nop 0
	v_fma_f64 v[196:197], -v[144:145], v[150:151], 1.0
	v_fmac_f64_e32 v[150:151], v[150:151], v[196:197]
	v_fma_f64 v[196:197], -v[144:145], v[150:151], 1.0
	v_fmac_f64_e32 v[150:151], v[150:151], v[196:197]
	v_div_scale_f64 v[196:197], vcc, 1.0, v[146:147], 1.0
	v_mul_f64 v[198:199], v[196:197], v[150:151]
	v_fma_f64 v[144:145], -v[144:145], v[198:199], v[196:197]
	s_nop 1
	v_div_fmas_f64 v[144:145], v[144:145], v[150:151], v[198:199]
	v_div_fixup_f64 v[150:151], v[144:145], v[146:147], 1.0
	v_mul_f64 v[148:149], v[148:149], v[150:151]
	v_xor_b32_e32 v151, 0x80000000, v151
                                        ; implicit-def: $vgpr144_vgpr145
.LBB37_158:
	s_andn2_saveexec_b64 s[2:3], s[2:3]
	s_cbranch_execz .LBB37_160
; %bb.159:
	v_div_scale_f64 v[148:149], s[10:11], v[144:145], v[144:145], v[146:147]
	v_rcp_f64_e32 v[150:151], v[148:149]
	v_div_scale_f64 v[196:197], vcc, v[146:147], v[144:145], v[146:147]
	v_fma_f64 v[198:199], -v[148:149], v[150:151], 1.0
	v_fmac_f64_e32 v[150:151], v[150:151], v[198:199]
	v_fma_f64 v[198:199], -v[148:149], v[150:151], 1.0
	v_fmac_f64_e32 v[150:151], v[150:151], v[198:199]
	v_mul_f64 v[198:199], v[196:197], v[150:151]
	v_fma_f64 v[148:149], -v[148:149], v[198:199], v[196:197]
	v_div_fmas_f64 v[148:149], v[148:149], v[150:151], v[198:199]
	v_div_fixup_f64 v[150:151], v[148:149], v[144:145], v[146:147]
	v_fmac_f64_e32 v[144:145], v[146:147], v[150:151]
	v_div_scale_f64 v[146:147], s[10:11], v[144:145], v[144:145], 1.0
	v_rcp_f64_e32 v[148:149], v[146:147]
	s_nop 0
	v_fma_f64 v[196:197], -v[146:147], v[148:149], 1.0
	v_fmac_f64_e32 v[148:149], v[148:149], v[196:197]
	v_fma_f64 v[196:197], -v[146:147], v[148:149], 1.0
	v_fmac_f64_e32 v[148:149], v[148:149], v[196:197]
	v_div_scale_f64 v[196:197], vcc, 1.0, v[144:145], 1.0
	v_mul_f64 v[198:199], v[196:197], v[148:149]
	v_fma_f64 v[146:147], -v[146:147], v[198:199], v[196:197]
	s_nop 1
	v_div_fmas_f64 v[146:147], v[146:147], v[148:149], v[198:199]
	v_div_fixup_f64 v[148:149], v[146:147], v[144:145], 1.0
	v_mul_f64 v[150:151], v[150:151], -v[148:149]
.LBB37_160:
	s_or_b64 exec, exec, s[2:3]
	ds_write2_b64 v193, v[148:149], v[150:151] offset1:1
.LBB37_161:
	s_or_b64 exec, exec, s[4:5]
	s_waitcnt lgkmcnt(0)
	s_barrier
	ds_read2_b64 v[144:147], v193 offset1:1
	v_cmp_lt_u32_e32 vcc, 17, v192
	s_and_saveexec_b64 s[2:3], vcc
	s_cbranch_execz .LBB37_163
; %bb.162:
	ds_read2_b64 v[148:151], v194 offset0:36 offset1:37
	s_waitcnt vmcnt(1) lgkmcnt(1)
	v_mul_f64 v[194:195], v[144:145], v[18:19]
	v_mul_f64 v[18:19], v[146:147], v[18:19]
	v_fmac_f64_e32 v[194:195], v[146:147], v[16:17]
	v_fma_f64 v[16:17], v[144:145], v[16:17], -v[18:19]
	s_waitcnt lgkmcnt(0)
	v_mul_f64 v[18:19], v[150:151], v[194:195]
	v_fma_f64 v[18:19], v[148:149], v[16:17], -v[18:19]
	v_mul_f64 v[148:149], v[148:149], v[194:195]
	v_fmac_f64_e32 v[148:149], v[150:151], v[16:17]
	s_waitcnt vmcnt(0)
	v_add_f64 v[72:73], v[72:73], -v[18:19]
	v_add_f64 v[74:75], v[74:75], -v[148:149]
	v_mov_b64_e32 v[18:19], v[194:195]
.LBB37_163:
	s_or_b64 exec, exec, s[2:3]
	v_cmp_eq_u32_e32 vcc, 18, v192
	s_waitcnt lgkmcnt(0)
	s_barrier
	s_and_saveexec_b64 s[4:5], vcc
	s_cbranch_execz .LBB37_170
; %bb.164:
	s_waitcnt vmcnt(0)
	v_cmp_neq_f64_e32 vcc, 0, v[72:73]
	v_cmp_neq_f64_e64 s[2:3], 0, v[74:75]
	s_or_b64 s[2:3], vcc, s[2:3]
	ds_write2_b64 v193, v[72:73], v[74:75] offset1:1
	s_and_b64 exec, exec, s[2:3]
	s_cbranch_execz .LBB37_170
; %bb.165:
	v_cmp_ngt_f64_e64 s[2:3], |v[72:73]|, |v[74:75]|
                                        ; implicit-def: $vgpr148_vgpr149
	s_and_saveexec_b64 s[10:11], s[2:3]
	s_xor_b64 s[2:3], exec, s[10:11]
                                        ; implicit-def: $vgpr150_vgpr151
	s_cbranch_execz .LBB37_167
; %bb.166:
	v_div_scale_f64 v[148:149], s[10:11], v[74:75], v[74:75], v[72:73]
	v_rcp_f64_e32 v[150:151], v[148:149]
	v_div_scale_f64 v[194:195], vcc, v[72:73], v[74:75], v[72:73]
	v_fma_f64 v[196:197], -v[148:149], v[150:151], 1.0
	v_fmac_f64_e32 v[150:151], v[150:151], v[196:197]
	v_fma_f64 v[196:197], -v[148:149], v[150:151], 1.0
	v_fmac_f64_e32 v[150:151], v[150:151], v[196:197]
	v_mul_f64 v[196:197], v[194:195], v[150:151]
	v_fma_f64 v[148:149], -v[148:149], v[196:197], v[194:195]
	v_div_fmas_f64 v[148:149], v[148:149], v[150:151], v[196:197]
	v_div_fixup_f64 v[148:149], v[148:149], v[74:75], v[72:73]
	v_fma_f64 v[150:151], v[72:73], v[148:149], v[74:75]
	v_div_scale_f64 v[194:195], s[10:11], v[150:151], v[150:151], 1.0
	v_rcp_f64_e32 v[196:197], v[194:195]
	s_nop 0
	v_fma_f64 v[198:199], -v[194:195], v[196:197], 1.0
	v_fmac_f64_e32 v[196:197], v[196:197], v[198:199]
	v_fma_f64 v[198:199], -v[194:195], v[196:197], 1.0
	v_fmac_f64_e32 v[196:197], v[196:197], v[198:199]
	v_div_scale_f64 v[198:199], vcc, 1.0, v[150:151], 1.0
	v_mul_f64 v[200:201], v[198:199], v[196:197]
	v_fma_f64 v[194:195], -v[194:195], v[200:201], v[198:199]
	s_nop 1
	v_div_fmas_f64 v[194:195], v[194:195], v[196:197], v[200:201]
	v_div_fixup_f64 v[150:151], v[194:195], v[150:151], 1.0
	v_mul_f64 v[148:149], v[148:149], v[150:151]
	v_xor_b32_e32 v151, 0x80000000, v151
.LBB37_167:
	s_andn2_saveexec_b64 s[2:3], s[2:3]
	s_cbranch_execz .LBB37_169
; %bb.168:
	v_div_scale_f64 v[148:149], s[10:11], v[72:73], v[72:73], v[74:75]
	v_rcp_f64_e32 v[150:151], v[148:149]
	v_div_scale_f64 v[194:195], vcc, v[74:75], v[72:73], v[74:75]
	v_fma_f64 v[196:197], -v[148:149], v[150:151], 1.0
	v_fmac_f64_e32 v[150:151], v[150:151], v[196:197]
	v_fma_f64 v[196:197], -v[148:149], v[150:151], 1.0
	v_fmac_f64_e32 v[150:151], v[150:151], v[196:197]
	v_mul_f64 v[196:197], v[194:195], v[150:151]
	v_fma_f64 v[148:149], -v[148:149], v[196:197], v[194:195]
	v_div_fmas_f64 v[148:149], v[148:149], v[150:151], v[196:197]
	v_div_fixup_f64 v[150:151], v[148:149], v[72:73], v[74:75]
	v_fma_f64 v[148:149], v[74:75], v[150:151], v[72:73]
	v_div_scale_f64 v[194:195], s[10:11], v[148:149], v[148:149], 1.0
	v_rcp_f64_e32 v[196:197], v[194:195]
	s_nop 0
	v_fma_f64 v[198:199], -v[194:195], v[196:197], 1.0
	v_fmac_f64_e32 v[196:197], v[196:197], v[198:199]
	v_fma_f64 v[198:199], -v[194:195], v[196:197], 1.0
	v_fmac_f64_e32 v[196:197], v[196:197], v[198:199]
	v_div_scale_f64 v[198:199], vcc, 1.0, v[148:149], 1.0
	v_mul_f64 v[200:201], v[198:199], v[196:197]
	v_fma_f64 v[194:195], -v[194:195], v[200:201], v[198:199]
	s_nop 1
	v_div_fmas_f64 v[194:195], v[194:195], v[196:197], v[200:201]
	v_div_fixup_f64 v[148:149], v[194:195], v[148:149], 1.0
	v_mul_f64 v[150:151], v[150:151], -v[148:149]
.LBB37_169:
	s_or_b64 exec, exec, s[2:3]
	ds_write2_b64 v193, v[148:149], v[150:151] offset1:1
.LBB37_170:
	s_or_b64 exec, exec, s[4:5]
	s_waitcnt lgkmcnt(0)
	s_barrier
	ds_read2_b64 v[148:151], v193 offset1:1
	s_waitcnt lgkmcnt(0)
	s_barrier
	s_and_saveexec_b64 s[2:3], s[0:1]
	s_cbranch_execz .LBB37_173
; %bb.171:
	v_cmp_eq_f64_e32 vcc, 0, v[76:77]
	v_cmp_eq_f64_e64 s[0:1], 0, v[78:79]
	s_and_b64 s[4:5], vcc, s[0:1]
	v_cmp_neq_f64_e32 vcc, 0, v[80:81]
	v_cmp_neq_f64_e64 s[0:1], 0, v[82:83]
	s_or_b64 s[0:1], vcc, s[0:1]
	v_cndmask_b32_e64 v76, 0, 1, s[4:5]
	s_or_b64 vcc, s[0:1], s[4:5]
	v_cndmask_b32_e32 v76, 2, v76, vcc
	v_cmp_eq_f64_e32 vcc, 0, v[84:85]
	v_cmp_eq_f64_e64 s[0:1], 0, v[86:87]
	s_and_b64 s[0:1], vcc, s[0:1]
	v_cmp_eq_u32_e32 vcc, 0, v76
	s_and_b64 s[0:1], s[0:1], vcc
	v_cndmask_b32_e64 v76, v76, 3, s[0:1]
	v_cmp_eq_f64_e32 vcc, 0, v[88:89]
	v_cmp_eq_f64_e64 s[0:1], 0, v[90:91]
	s_and_b64 s[0:1], vcc, s[0:1]
	v_cmp_eq_u32_e32 vcc, 0, v76
	s_and_b64 s[0:1], s[0:1], vcc
	v_cndmask_b32_e64 v76, v76, 4, s[0:1]
	;; [unrolled: 6-line block ×3, first 2 shown]
	v_mov_b32_e32 v76, s6
	v_mov_b32_e32 v77, s7
	v_lshl_add_u64 v[76:77], v[174:175], 2, v[76:77]
	global_load_dword v79, v[76:77], off
	v_cmp_eq_f64_e32 vcc, 0, v[96:97]
	v_cmp_eq_f64_e64 s[0:1], 0, v[98:99]
	s_and_b64 s[0:1], vcc, s[0:1]
	v_cmp_eq_u32_e32 vcc, 0, v78
	s_and_b64 s[0:1], s[0:1], vcc
	v_cndmask_b32_e64 v78, v78, 6, s[0:1]
	v_cmp_eq_f64_e32 vcc, 0, v[100:101]
	v_cmp_eq_f64_e64 s[0:1], 0, v[102:103]
	s_and_b64 s[0:1], vcc, s[0:1]
	v_cmp_eq_u32_e32 vcc, 0, v78
	s_and_b64 s[0:1], s[0:1], vcc
	v_cndmask_b32_e64 v78, v78, 7, s[0:1]
	;; [unrolled: 6-line block ×14, first 2 shown]
	s_waitcnt vmcnt(0)
	v_cmp_eq_u32_e32 vcc, 0, v79
	v_cmp_ne_u32_e64 s[0:1], 0, v78
	s_and_b64 s[0:1], vcc, s[0:1]
	s_and_b64 exec, exec, s[0:1]
	s_cbranch_execz .LBB37_173
; %bb.172:
	v_add_u32_e32 v78, s9, v78
	global_store_dword v[76:77], v78, off
.LBB37_173:
	s_or_b64 exec, exec, s[2:3]
	s_waitcnt vmcnt(0)
	v_mul_f64 v[76:77], v[150:151], v[74:75]
	v_mul_f64 v[78:79], v[148:149], v[74:75]
	v_fma_f64 v[76:77], v[148:149], v[72:73], -v[76:77]
	v_fmac_f64_e32 v[78:79], v[150:151], v[72:73]
	v_cmp_lt_u32_e32 vcc, 18, v192
	s_nop 1
	v_cndmask_b32_e32 v75, v75, v79, vcc
	v_cndmask_b32_e32 v74, v74, v78, vcc
	;; [unrolled: 1-line block ×4, first 2 shown]
	global_store_dwordx4 v[152:153], v[4:7], off
	global_store_dwordx4 v[154:155], v[0:3], off
	;; [unrolled: 1-line block ×19, first 2 shown]
.LBB37_174:
	s_endpgm
	.section	.rodata,"a",@progbits
	.p2align	6, 0x0
	.amdhsa_kernel _ZN9rocsolver6v33100L23getf2_npvt_small_kernelILi19E19rocblas_complex_numIdEiiPS3_EEvT1_T3_lS5_lPT2_S5_S5_
		.amdhsa_group_segment_fixed_size 0
		.amdhsa_private_segment_fixed_size 0
		.amdhsa_kernarg_size 312
		.amdhsa_user_sgpr_count 2
		.amdhsa_user_sgpr_dispatch_ptr 0
		.amdhsa_user_sgpr_queue_ptr 0
		.amdhsa_user_sgpr_kernarg_segment_ptr 1
		.amdhsa_user_sgpr_dispatch_id 0
		.amdhsa_user_sgpr_kernarg_preload_length 0
		.amdhsa_user_sgpr_kernarg_preload_offset 0
		.amdhsa_user_sgpr_private_segment_size 0
		.amdhsa_uses_dynamic_stack 0
		.amdhsa_enable_private_segment 0
		.amdhsa_system_sgpr_workgroup_id_x 1
		.amdhsa_system_sgpr_workgroup_id_y 1
		.amdhsa_system_sgpr_workgroup_id_z 0
		.amdhsa_system_sgpr_workgroup_info 0
		.amdhsa_system_vgpr_workitem_id 1
		.amdhsa_next_free_vgpr 202
		.amdhsa_next_free_sgpr 16
		.amdhsa_accum_offset 204
		.amdhsa_reserve_vcc 1
		.amdhsa_float_round_mode_32 0
		.amdhsa_float_round_mode_16_64 0
		.amdhsa_float_denorm_mode_32 3
		.amdhsa_float_denorm_mode_16_64 3
		.amdhsa_dx10_clamp 1
		.amdhsa_ieee_mode 1
		.amdhsa_fp16_overflow 0
		.amdhsa_tg_split 0
		.amdhsa_exception_fp_ieee_invalid_op 0
		.amdhsa_exception_fp_denorm_src 0
		.amdhsa_exception_fp_ieee_div_zero 0
		.amdhsa_exception_fp_ieee_overflow 0
		.amdhsa_exception_fp_ieee_underflow 0
		.amdhsa_exception_fp_ieee_inexact 0
		.amdhsa_exception_int_div_zero 0
	.end_amdhsa_kernel
	.section	.text._ZN9rocsolver6v33100L23getf2_npvt_small_kernelILi19E19rocblas_complex_numIdEiiPS3_EEvT1_T3_lS5_lPT2_S5_S5_,"axG",@progbits,_ZN9rocsolver6v33100L23getf2_npvt_small_kernelILi19E19rocblas_complex_numIdEiiPS3_EEvT1_T3_lS5_lPT2_S5_S5_,comdat
.Lfunc_end37:
	.size	_ZN9rocsolver6v33100L23getf2_npvt_small_kernelILi19E19rocblas_complex_numIdEiiPS3_EEvT1_T3_lS5_lPT2_S5_S5_, .Lfunc_end37-_ZN9rocsolver6v33100L23getf2_npvt_small_kernelILi19E19rocblas_complex_numIdEiiPS3_EEvT1_T3_lS5_lPT2_S5_S5_
                                        ; -- End function
	.set _ZN9rocsolver6v33100L23getf2_npvt_small_kernelILi19E19rocblas_complex_numIdEiiPS3_EEvT1_T3_lS5_lPT2_S5_S5_.num_vgpr, 202
	.set _ZN9rocsolver6v33100L23getf2_npvt_small_kernelILi19E19rocblas_complex_numIdEiiPS3_EEvT1_T3_lS5_lPT2_S5_S5_.num_agpr, 0
	.set _ZN9rocsolver6v33100L23getf2_npvt_small_kernelILi19E19rocblas_complex_numIdEiiPS3_EEvT1_T3_lS5_lPT2_S5_S5_.numbered_sgpr, 16
	.set _ZN9rocsolver6v33100L23getf2_npvt_small_kernelILi19E19rocblas_complex_numIdEiiPS3_EEvT1_T3_lS5_lPT2_S5_S5_.num_named_barrier, 0
	.set _ZN9rocsolver6v33100L23getf2_npvt_small_kernelILi19E19rocblas_complex_numIdEiiPS3_EEvT1_T3_lS5_lPT2_S5_S5_.private_seg_size, 0
	.set _ZN9rocsolver6v33100L23getf2_npvt_small_kernelILi19E19rocblas_complex_numIdEiiPS3_EEvT1_T3_lS5_lPT2_S5_S5_.uses_vcc, 1
	.set _ZN9rocsolver6v33100L23getf2_npvt_small_kernelILi19E19rocblas_complex_numIdEiiPS3_EEvT1_T3_lS5_lPT2_S5_S5_.uses_flat_scratch, 0
	.set _ZN9rocsolver6v33100L23getf2_npvt_small_kernelILi19E19rocblas_complex_numIdEiiPS3_EEvT1_T3_lS5_lPT2_S5_S5_.has_dyn_sized_stack, 0
	.set _ZN9rocsolver6v33100L23getf2_npvt_small_kernelILi19E19rocblas_complex_numIdEiiPS3_EEvT1_T3_lS5_lPT2_S5_S5_.has_recursion, 0
	.set _ZN9rocsolver6v33100L23getf2_npvt_small_kernelILi19E19rocblas_complex_numIdEiiPS3_EEvT1_T3_lS5_lPT2_S5_S5_.has_indirect_call, 0
	.section	.AMDGPU.csdata,"",@progbits
; Kernel info:
; codeLenInByte = 23884
; TotalNumSgprs: 22
; NumVgprs: 202
; NumAgprs: 0
; TotalNumVgprs: 202
; ScratchSize: 0
; MemoryBound: 1
; FloatMode: 240
; IeeeMode: 1
; LDSByteSize: 0 bytes/workgroup (compile time only)
; SGPRBlocks: 2
; VGPRBlocks: 25
; NumSGPRsForWavesPerEU: 22
; NumVGPRsForWavesPerEU: 202
; AccumOffset: 204
; Occupancy: 2
; WaveLimiterHint : 0
; COMPUTE_PGM_RSRC2:SCRATCH_EN: 0
; COMPUTE_PGM_RSRC2:USER_SGPR: 2
; COMPUTE_PGM_RSRC2:TRAP_HANDLER: 0
; COMPUTE_PGM_RSRC2:TGID_X_EN: 1
; COMPUTE_PGM_RSRC2:TGID_Y_EN: 1
; COMPUTE_PGM_RSRC2:TGID_Z_EN: 0
; COMPUTE_PGM_RSRC2:TIDIG_COMP_CNT: 1
; COMPUTE_PGM_RSRC3_GFX90A:ACCUM_OFFSET: 50
; COMPUTE_PGM_RSRC3_GFX90A:TG_SPLIT: 0
	.section	.text._ZN9rocsolver6v33100L18getf2_small_kernelILi20E19rocblas_complex_numIdEiiPS3_EEvT1_T3_lS5_lPS5_llPT2_S5_S5_S7_l,"axG",@progbits,_ZN9rocsolver6v33100L18getf2_small_kernelILi20E19rocblas_complex_numIdEiiPS3_EEvT1_T3_lS5_lPS5_llPT2_S5_S5_S7_l,comdat
	.globl	_ZN9rocsolver6v33100L18getf2_small_kernelILi20E19rocblas_complex_numIdEiiPS3_EEvT1_T3_lS5_lPS5_llPT2_S5_S5_S7_l ; -- Begin function _ZN9rocsolver6v33100L18getf2_small_kernelILi20E19rocblas_complex_numIdEiiPS3_EEvT1_T3_lS5_lPS5_llPT2_S5_S5_S7_l
	.p2align	8
	.type	_ZN9rocsolver6v33100L18getf2_small_kernelILi20E19rocblas_complex_numIdEiiPS3_EEvT1_T3_lS5_lPS5_llPT2_S5_S5_S7_l,@function
_ZN9rocsolver6v33100L18getf2_small_kernelILi20E19rocblas_complex_numIdEiiPS3_EEvT1_T3_lS5_lPS5_llPT2_S5_S5_S7_l: ; @_ZN9rocsolver6v33100L18getf2_small_kernelILi20E19rocblas_complex_numIdEiiPS3_EEvT1_T3_lS5_lPS5_llPT2_S5_S5_S7_l
; %bb.0:
	s_load_dword s2, s[0:1], 0x6c
	s_load_dwordx2 s[12:13], s[0:1], 0x48
	v_bfe_u32 v80, v0, 10, 10
	s_waitcnt lgkmcnt(0)
	s_lshr_b32 s2, s2, 16
	s_mul_i32 s3, s3, s2
	v_add_u32_e32 v86, s3, v80
	v_cmp_gt_i32_e32 vcc, s12, v86
	s_and_saveexec_b64 s[2:3], vcc
	s_cbranch_execz .LBB38_421
; %bb.1:
	s_load_dwordx4 s[4:7], s[0:1], 0x50
	v_ashrrev_i32_e32 v87, 31, v86
	v_mov_b64_e32 v[88:89], 0
	s_waitcnt lgkmcnt(0)
	s_cmp_eq_u64 s[4:5], 0
	s_cselect_b64 s[14:15], -1, 0
	s_and_b64 vcc, exec, s[14:15]
	s_cbranch_vccnz .LBB38_3
; %bb.2:
	v_mul_lo_u32 v1, s7, v86
	v_mul_lo_u32 v4, s6, v87
	v_mad_u64_u32 v[2:3], s[2:3], s6, v86, 0
	v_add3_u32 v3, v3, v4, v1
	v_lshl_add_u64 v[88:89], v[2:3], 2, s[4:5]
.LBB38_3:
	s_load_dwordx4 s[16:19], s[0:1], 0x8
	s_load_dwordx8 s[4:11], s[0:1], 0x20
	s_load_dword s2, s[0:1], 0x18
	s_load_dword s20, s[0:1], 0x0
	v_and_b32_e32 v94, 0x3ff, v0
	s_waitcnt lgkmcnt(0)
	v_mov_b32_e32 v2, s16
	v_mul_lo_u32 v1, s5, v86
	v_mul_lo_u32 v6, s4, v87
	v_mad_u64_u32 v[4:5], s[4:5], s4, v86, 0
	v_mov_b32_e32 v3, s17
	v_add3_u32 v5, v5, v6, v1
	v_lshl_add_u64 v[2:3], v[4:5], 4, v[2:3]
	s_add_i32 s12, s2, s2
	v_lshl_add_u64 v[84:85], s[18:19], 4, v[2:3]
	v_add_u32_e32 v2, s12, v94
	v_add_u32_e32 v4, s2, v2
	v_ashrrev_i32_e32 v3, 31, v2
	v_add_u32_e32 v6, s2, v4
	v_lshlrev_b32_e32 v90, 4, v94
	v_mov_b32_e32 v91, 0
	v_ashrrev_i32_e32 v5, 31, v4
	v_lshl_add_u64 v[2:3], v[2:3], 4, v[84:85]
	v_add_u32_e32 v8, s2, v6
	v_lshl_add_u64 v[0:1], v[84:85], 0, v[90:91]
	s_ashr_i32 s3, s2, 31
	v_lshl_add_u64 v[4:5], v[4:5], 4, v[84:85]
	global_load_dwordx4 v[48:51], v[2:3], off
	global_load_dwordx4 v[40:43], v[4:5], off
	v_add_u32_e32 v2, s2, v8
	v_lshl_add_u64 v[10:11], s[2:3], 4, v[0:1]
	global_load_dwordx4 v[64:67], v[0:1], off
	global_load_dwordx4 v[60:63], v[10:11], off
	v_ashrrev_i32_e32 v3, 31, v2
	v_add_u32_e32 v0, s2, v2
	v_lshl_add_u64 v[82:83], v[2:3], 4, v[84:85]
	v_ashrrev_i32_e32 v1, 31, v0
	v_add_u32_e32 v2, s2, v0
	v_lshl_add_u64 v[92:93], v[0:1], 4, v[84:85]
	v_ashrrev_i32_e32 v3, 31, v2
	v_add_u32_e32 v0, s2, v2
	v_lshl_add_u64 v[96:97], v[2:3], 4, v[84:85]
	v_ashrrev_i32_e32 v1, 31, v0
	v_add_u32_e32 v2, s2, v0
	v_lshl_add_u64 v[98:99], v[0:1], 4, v[84:85]
	v_ashrrev_i32_e32 v3, 31, v2
	v_add_u32_e32 v0, s2, v2
	v_lshl_add_u64 v[100:101], v[2:3], 4, v[84:85]
	v_ashrrev_i32_e32 v1, 31, v0
	v_add_u32_e32 v2, s2, v0
	v_lshl_add_u64 v[102:103], v[0:1], 4, v[84:85]
	v_ashrrev_i32_e32 v3, 31, v2
	v_add_u32_e32 v0, s2, v2
	v_lshl_add_u64 v[104:105], v[2:3], 4, v[84:85]
	v_ashrrev_i32_e32 v1, 31, v0
	v_add_u32_e32 v2, s2, v0
	v_lshl_add_u64 v[106:107], v[0:1], 4, v[84:85]
	v_ashrrev_i32_e32 v3, 31, v2
	v_add_u32_e32 v0, s2, v2
	v_lshl_add_u64 v[108:109], v[2:3], 4, v[84:85]
	v_ashrrev_i32_e32 v1, 31, v0
	v_add_u32_e32 v2, s2, v0
	v_lshl_add_u64 v[110:111], v[0:1], 4, v[84:85]
	v_ashrrev_i32_e32 v3, 31, v2
	v_add_u32_e32 v0, s2, v2
	v_lshl_add_u64 v[112:113], v[2:3], 4, v[84:85]
	v_ashrrev_i32_e32 v1, 31, v0
	v_add_u32_e32 v2, s2, v0
	v_ashrrev_i32_e32 v7, 31, v6
	v_ashrrev_i32_e32 v9, 31, v8
	v_lshl_add_u64 v[114:115], v[0:1], 4, v[84:85]
	v_add_u32_e32 v0, s2, v2
	v_lshl_add_u64 v[76:77], v[6:7], 4, v[84:85]
	v_lshl_add_u64 v[78:79], v[8:9], 4, v[84:85]
	v_ashrrev_i32_e32 v3, 31, v2
	v_ashrrev_i32_e32 v1, 31, v0
	v_lshl_add_u64 v[116:117], v[2:3], 4, v[84:85]
	v_lshl_add_u64 v[118:119], v[0:1], 4, v[84:85]
	global_load_dwordx4 v[72:75], v[76:77], off
	global_load_dwordx4 v[68:71], v[78:79], off
	;; [unrolled: 1-line block ×15, first 2 shown]
                                        ; kill: killed $vgpr106_vgpr107
                                        ; kill: killed $vgpr76_vgpr77
                                        ; kill: killed $vgpr108_vgpr109
                                        ; kill: killed $vgpr78_vgpr79
                                        ; kill: killed $vgpr110_vgpr111
                                        ; kill: killed $vgpr82_vgpr83
                                        ; kill: killed $vgpr112_vgpr113
                                        ; kill: killed $vgpr92_vgpr93
                                        ; kill: killed $vgpr114_vgpr115
                                        ; kill: killed $vgpr96_vgpr97
                                        ; kill: killed $vgpr116_vgpr117
                                        ; kill: killed $vgpr98_vgpr99
                                        ; kill: killed $vgpr100_vgpr101
                                        ; kill: killed $vgpr102_vgpr103
                                        ; kill: killed $vgpr104_vgpr105
	global_load_dwordx4 v[76:79], v[118:119], off
	s_load_dwordx2 s[4:5], s[0:1], 0x40
	s_max_i32 s0, s20, 20
	v_mul_lo_u32 v93, s0, v80
	v_lshl_add_u32 v92, v93, 4, 0
	v_add_u32_e32 v80, v92, v90
	s_cmp_lt_i32 s20, 2
	v_lshlrev_b32_e32 v96, 4, v93
	s_waitcnt vmcnt(17)
	ds_write2_b64 v80, v[64:65], v[66:67] offset1:1
	s_waitcnt lgkmcnt(0)
	s_barrier
	ds_read2_b64 v[80:83], v92 offset1:1
	s_cbranch_scc1 .LBB38_6
; %bb.4:
	v_add3_u32 v90, v96, 0, 16
	s_mov_b32 s16, 1
	v_mov_b32_e32 v91, 0
.LBB38_5:                               ; =>This Inner Loop Header: Depth=1
	ds_read2_b64 v[98:101], v90 offset1:1
	s_waitcnt lgkmcnt(1)
	v_xor_b32_e32 v93, 0x80000000, v81
	v_xor_b32_e32 v95, 0x80000000, v83
	v_cmp_gt_f64_e32 vcc, 0, v[82:83]
	v_cmp_gt_f64_e64 s[0:1], 0, v[80:81]
	v_mov_b32_e32 v102, v80
	v_mov_b32_e32 v104, v82
	v_cndmask_b32_e64 v103, v81, v93, s[0:1]
	v_cndmask_b32_e32 v105, v83, v95, vcc
	s_waitcnt lgkmcnt(0)
	v_xor_b32_e32 v93, 0x80000000, v99
	v_xor_b32_e32 v95, 0x80000000, v101
	v_cmp_gt_f64_e32 vcc, 0, v[100:101]
	v_cmp_gt_f64_e64 s[0:1], 0, v[98:99]
	v_add_f64 v[102:103], v[102:103], v[104:105]
	v_mov_b32_e32 v104, v98
	v_mov_b32_e32 v106, v100
	v_cndmask_b32_e64 v105, v99, v93, s[0:1]
	v_cndmask_b32_e32 v107, v101, v95, vcc
	v_add_f64 v[104:105], v[104:105], v[106:107]
	v_mov_b32_e32 v97, s16
	s_add_i32 s16, s16, 1
	v_cmp_lt_f64_e32 vcc, v[102:103], v[104:105]
	v_add_u32_e32 v90, 16, v90
	s_cmp_eq_u32 s20, s16
	v_cndmask_b32_e32 v81, v81, v99, vcc
	v_cndmask_b32_e32 v80, v80, v98, vcc
	v_cndmask_b32_e32 v83, v83, v101, vcc
	v_cndmask_b32_e32 v82, v82, v100, vcc
	v_cndmask_b32_e32 v91, v91, v97, vcc
	s_cbranch_scc0 .LBB38_5
.LBB38_6:
	s_waitcnt lgkmcnt(0)
	v_cmp_neq_f64_e32 vcc, 0, v[80:81]
	v_cmp_neq_f64_e64 s[0:1], 0, v[82:83]
	s_or_b64 s[16:17], vcc, s[0:1]
	v_mov_b32_e32 v95, 1
	v_mov_b32_e32 v97, 1
	s_and_saveexec_b64 s[0:1], s[16:17]
	s_cbranch_execz .LBB38_12
; %bb.7:
	v_cmp_ngt_f64_e64 s[16:17], |v[80:81]|, |v[82:83]|
	s_and_saveexec_b64 s[18:19], s[16:17]
	s_xor_b64 s[16:17], exec, s[18:19]
	s_cbranch_execz .LBB38_9
; %bb.8:
	v_div_scale_f64 v[98:99], s[18:19], v[82:83], v[82:83], v[80:81]
	v_rcp_f64_e32 v[100:101], v[98:99]
	v_div_scale_f64 v[102:103], vcc, v[80:81], v[82:83], v[80:81]
	v_fma_f64 v[104:105], -v[98:99], v[100:101], 1.0
	v_fmac_f64_e32 v[100:101], v[100:101], v[104:105]
	v_fma_f64 v[104:105], -v[98:99], v[100:101], 1.0
	v_fmac_f64_e32 v[100:101], v[100:101], v[104:105]
	v_mul_f64 v[104:105], v[102:103], v[100:101]
	v_fma_f64 v[98:99], -v[98:99], v[104:105], v[102:103]
	v_div_fmas_f64 v[98:99], v[98:99], v[100:101], v[104:105]
	v_div_fixup_f64 v[98:99], v[98:99], v[82:83], v[80:81]
	v_fmac_f64_e32 v[82:83], v[80:81], v[98:99]
	v_div_scale_f64 v[80:81], s[18:19], v[82:83], v[82:83], 1.0
	v_rcp_f64_e32 v[100:101], v[80:81]
	s_nop 0
	v_fma_f64 v[102:103], -v[80:81], v[100:101], 1.0
	v_fmac_f64_e32 v[100:101], v[100:101], v[102:103]
	v_fma_f64 v[102:103], -v[80:81], v[100:101], 1.0
	v_fmac_f64_e32 v[100:101], v[100:101], v[102:103]
	v_div_scale_f64 v[102:103], vcc, 1.0, v[82:83], 1.0
	v_mul_f64 v[104:105], v[102:103], v[100:101]
	v_fma_f64 v[80:81], -v[80:81], v[104:105], v[102:103]
	s_nop 1
	v_div_fmas_f64 v[80:81], v[80:81], v[100:101], v[104:105]
	v_div_fixup_f64 v[82:83], v[80:81], v[82:83], 1.0
	v_mul_f64 v[80:81], v[98:99], v[82:83]
	v_xor_b32_e32 v83, 0x80000000, v83
.LBB38_9:
	s_andn2_saveexec_b64 s[16:17], s[16:17]
	s_cbranch_execz .LBB38_11
; %bb.10:
	v_div_scale_f64 v[98:99], s[18:19], v[80:81], v[80:81], v[82:83]
	v_rcp_f64_e32 v[100:101], v[98:99]
	v_div_scale_f64 v[102:103], vcc, v[82:83], v[80:81], v[82:83]
	v_fma_f64 v[104:105], -v[98:99], v[100:101], 1.0
	v_fmac_f64_e32 v[100:101], v[100:101], v[104:105]
	v_fma_f64 v[104:105], -v[98:99], v[100:101], 1.0
	v_fmac_f64_e32 v[100:101], v[100:101], v[104:105]
	v_mul_f64 v[104:105], v[102:103], v[100:101]
	v_fma_f64 v[98:99], -v[98:99], v[104:105], v[102:103]
	v_div_fmas_f64 v[98:99], v[98:99], v[100:101], v[104:105]
	v_div_fixup_f64 v[98:99], v[98:99], v[80:81], v[82:83]
	v_fmac_f64_e32 v[80:81], v[82:83], v[98:99]
	v_div_scale_f64 v[82:83], s[18:19], v[80:81], v[80:81], 1.0
	v_rcp_f64_e32 v[100:101], v[82:83]
	s_nop 0
	v_fma_f64 v[102:103], -v[82:83], v[100:101], 1.0
	v_fmac_f64_e32 v[100:101], v[100:101], v[102:103]
	v_fma_f64 v[102:103], -v[82:83], v[100:101], 1.0
	v_fmac_f64_e32 v[100:101], v[100:101], v[102:103]
	v_div_scale_f64 v[102:103], vcc, 1.0, v[80:81], 1.0
	v_mul_f64 v[104:105], v[102:103], v[100:101]
	v_fma_f64 v[82:83], -v[82:83], v[104:105], v[102:103]
	s_nop 1
	v_div_fmas_f64 v[82:83], v[82:83], v[100:101], v[104:105]
	v_div_fixup_f64 v[80:81], v[82:83], v[80:81], 1.0
	v_mul_f64 v[82:83], v[98:99], -v[80:81]
.LBB38_11:
	s_or_b64 exec, exec, s[16:17]
	v_mov_b32_e32 v97, 0
	v_mov_b32_e32 v95, 2
.LBB38_12:
	s_or_b64 exec, exec, s[0:1]
	v_cmp_ne_u32_e32 vcc, v94, v91
	s_and_saveexec_b64 s[0:1], vcc
	s_xor_b64 s[0:1], exec, s[0:1]
	s_cbranch_execz .LBB38_18
; %bb.13:
	v_cmp_eq_u32_e32 vcc, 0, v94
	s_and_saveexec_b64 s[16:17], vcc
	s_cbranch_execz .LBB38_17
; %bb.14:
	v_cmp_ne_u32_e32 vcc, 0, v91
	s_xor_b64 s[18:19], s[14:15], -1
	s_and_b64 s[22:23], s[18:19], vcc
	s_and_saveexec_b64 s[18:19], s[22:23]
	s_cbranch_execz .LBB38_16
; %bb.15:
	v_ashrrev_i32_e32 v99, 31, v91
	v_mov_b32_e32 v98, v91
	v_lshl_add_u64 v[98:99], v[98:99], 2, v[88:89]
	global_load_dword v90, v[98:99], off
	global_load_dword v93, v[88:89], off
	s_waitcnt vmcnt(1)
	global_store_dword v[88:89], v90, off
	s_waitcnt vmcnt(1)
	global_store_dword v[98:99], v93, off
.LBB38_16:
	s_or_b64 exec, exec, s[18:19]
	v_mov_b32_e32 v94, v91
.LBB38_17:
	s_or_b64 exec, exec, s[16:17]
.LBB38_18:
	s_or_saveexec_b64 s[0:1], s[0:1]
	v_mov_b32_e32 v93, v94
	s_xor_b64 exec, exec, s[0:1]
	s_cbranch_execz .LBB38_20
; %bb.19:
	v_mov_b32_e32 v93, 0
	s_waitcnt vmcnt(16)
	ds_write2_b64 v92, v[60:61], v[62:63] offset0:2 offset1:3
	ds_write2_b64 v92, v[48:49], v[50:51] offset0:4 offset1:5
	;; [unrolled: 1-line block ×3, first 2 shown]
	s_waitcnt vmcnt(15)
	ds_write2_b64 v92, v[72:73], v[74:75] offset0:8 offset1:9
	s_waitcnt vmcnt(14)
	ds_write2_b64 v92, v[68:69], v[70:71] offset0:10 offset1:11
	;; [unrolled: 2-line block ×16, first 2 shown]
.LBB38_20:
	s_or_b64 exec, exec, s[0:1]
	v_cmp_lt_i32_e32 vcc, 0, v93
	s_waitcnt lgkmcnt(0)
	s_barrier
	s_and_saveexec_b64 s[0:1], vcc
	s_cbranch_execz .LBB38_22
; %bb.21:
	ds_read2_b64 v[98:101], v92 offset0:2 offset1:3
	v_mul_f64 v[90:91], v[82:83], v[66:67]
	v_mul_f64 v[66:67], v[80:81], v[66:67]
	v_fmac_f64_e32 v[66:67], v[82:83], v[64:65]
	v_fma_f64 v[90:91], v[80:81], v[64:65], -v[90:91]
	ds_read2_b64 v[80:83], v92 offset0:4 offset1:5
	s_waitcnt lgkmcnt(1)
	v_mul_f64 v[64:65], v[100:101], v[66:67]
	v_fma_f64 v[64:65], v[98:99], v[90:91], -v[64:65]
	v_mul_f64 v[98:99], v[98:99], v[66:67]
	v_fmac_f64_e32 v[98:99], v[100:101], v[90:91]
	s_waitcnt vmcnt(16)
	v_add_f64 v[62:63], v[62:63], -v[98:99]
	ds_read2_b64 v[98:101], v92 offset0:6 offset1:7
	v_add_f64 v[60:61], v[60:61], -v[64:65]
	s_waitcnt lgkmcnt(1)
	v_mul_f64 v[64:65], v[82:83], v[66:67]
	v_fma_f64 v[64:65], v[80:81], v[90:91], -v[64:65]
	v_mul_f64 v[80:81], v[80:81], v[66:67]
	v_fmac_f64_e32 v[80:81], v[82:83], v[90:91]
	v_add_f64 v[48:49], v[48:49], -v[64:65]
	v_add_f64 v[50:51], v[50:51], -v[80:81]
	ds_read2_b64 v[80:83], v92 offset0:8 offset1:9
	s_waitcnt lgkmcnt(1)
	v_mul_f64 v[64:65], v[100:101], v[66:67]
	v_fma_f64 v[64:65], v[98:99], v[90:91], -v[64:65]
	v_mul_f64 v[98:99], v[98:99], v[66:67]
	v_fmac_f64_e32 v[98:99], v[100:101], v[90:91]
	v_add_f64 v[42:43], v[42:43], -v[98:99]
	ds_read2_b64 v[98:101], v92 offset0:10 offset1:11
	v_add_f64 v[40:41], v[40:41], -v[64:65]
	s_waitcnt lgkmcnt(1)
	v_mul_f64 v[64:65], v[82:83], v[66:67]
	v_fma_f64 v[64:65], v[80:81], v[90:91], -v[64:65]
	v_mul_f64 v[80:81], v[80:81], v[66:67]
	v_fmac_f64_e32 v[80:81], v[82:83], v[90:91]
	s_waitcnt vmcnt(15)
	v_add_f64 v[72:73], v[72:73], -v[64:65]
	v_add_f64 v[74:75], v[74:75], -v[80:81]
	ds_read2_b64 v[80:83], v92 offset0:12 offset1:13
	s_waitcnt lgkmcnt(1)
	v_mul_f64 v[64:65], v[100:101], v[66:67]
	v_fma_f64 v[64:65], v[98:99], v[90:91], -v[64:65]
	v_mul_f64 v[98:99], v[98:99], v[66:67]
	v_fmac_f64_e32 v[98:99], v[100:101], v[90:91]
	s_waitcnt vmcnt(14)
	v_add_f64 v[70:71], v[70:71], -v[98:99]
	ds_read2_b64 v[98:101], v92 offset0:14 offset1:15
	v_add_f64 v[68:69], v[68:69], -v[64:65]
	s_waitcnt lgkmcnt(1)
	v_mul_f64 v[64:65], v[82:83], v[66:67]
	v_fma_f64 v[64:65], v[80:81], v[90:91], -v[64:65]
	v_mul_f64 v[80:81], v[80:81], v[66:67]
	v_fmac_f64_e32 v[80:81], v[82:83], v[90:91]
	s_waitcnt vmcnt(13)
	v_add_f64 v[56:57], v[56:57], -v[64:65]
	v_add_f64 v[58:59], v[58:59], -v[80:81]
	ds_read2_b64 v[80:83], v92 offset0:16 offset1:17
	s_waitcnt lgkmcnt(1)
	v_mul_f64 v[64:65], v[100:101], v[66:67]
	v_fma_f64 v[64:65], v[98:99], v[90:91], -v[64:65]
	v_mul_f64 v[98:99], v[98:99], v[66:67]
	v_fmac_f64_e32 v[98:99], v[100:101], v[90:91]
	s_waitcnt vmcnt(12)
	;; [unrolled: 18-line block ×7, first 2 shown]
	v_add_f64 v[6:7], v[6:7], -v[98:99]
	ds_read2_b64 v[98:101], v92 offset0:38 offset1:39
	v_add_f64 v[4:5], v[4:5], -v[64:65]
	s_waitcnt lgkmcnt(1)
	v_mul_f64 v[64:65], v[82:83], v[66:67]
	v_fma_f64 v[64:65], v[80:81], v[90:91], -v[64:65]
	v_mul_f64 v[80:81], v[80:81], v[66:67]
	v_fmac_f64_e32 v[80:81], v[82:83], v[90:91]
	s_waitcnt vmcnt(1)
	v_add_f64 v[0:1], v[0:1], -v[64:65]
	v_add_f64 v[2:3], v[2:3], -v[80:81]
	s_waitcnt lgkmcnt(0)
	v_mul_f64 v[64:65], v[100:101], v[66:67]
	v_mul_f64 v[80:81], v[98:99], v[66:67]
	v_fma_f64 v[64:65], v[98:99], v[90:91], -v[64:65]
	v_fmac_f64_e32 v[80:81], v[100:101], v[90:91]
	s_waitcnt vmcnt(0)
	v_add_f64 v[76:77], v[76:77], -v[64:65]
	v_add_f64 v[78:79], v[78:79], -v[80:81]
	v_mov_b64_e32 v[64:65], v[90:91]
.LBB38_22:
	s_or_b64 exec, exec, s[0:1]
	v_lshl_add_u32 v80, v93, 4, v92
	s_barrier
	s_waitcnt vmcnt(16)
	ds_write2_b64 v80, v[60:61], v[62:63] offset1:1
	s_waitcnt lgkmcnt(0)
	s_barrier
	ds_read2_b64 v[80:83], v92 offset0:2 offset1:3
	s_cmp_lt_i32 s20, 3
	v_mov_b32_e32 v90, 1
	s_cbranch_scc1 .LBB38_25
; %bb.23:
	v_add3_u32 v91, v96, 0, 32
	s_mov_b32 s16, 2
	v_mov_b32_e32 v90, 1
.LBB38_24:                              ; =>This Inner Loop Header: Depth=1
	ds_read2_b64 v[98:101], v91 offset1:1
	s_waitcnt lgkmcnt(1)
	v_xor_b32_e32 v103, 0x80000000, v81
	v_xor_b32_e32 v105, 0x80000000, v83
	v_cmp_gt_f64_e32 vcc, 0, v[82:83]
	v_cmp_gt_f64_e64 s[0:1], 0, v[80:81]
	v_mov_b32_e32 v102, v80
	v_mov_b32_e32 v104, v82
	v_cndmask_b32_e64 v103, v81, v103, s[0:1]
	v_cndmask_b32_e32 v105, v83, v105, vcc
	v_add_f64 v[102:103], v[102:103], v[104:105]
	s_waitcnt lgkmcnt(0)
	v_xor_b32_e32 v105, 0x80000000, v99
	v_xor_b32_e32 v107, 0x80000000, v101
	v_cmp_gt_f64_e32 vcc, 0, v[100:101]
	v_cmp_gt_f64_e64 s[0:1], 0, v[98:99]
	v_mov_b32_e32 v104, v98
	v_mov_b32_e32 v106, v100
	v_cndmask_b32_e64 v105, v99, v105, s[0:1]
	v_cndmask_b32_e32 v107, v101, v107, vcc
	v_add_f64 v[104:105], v[104:105], v[106:107]
	v_mov_b32_e32 v108, s16
	s_add_i32 s16, s16, 1
	v_cmp_lt_f64_e32 vcc, v[102:103], v[104:105]
	v_add_u32_e32 v91, 16, v91
	s_cmp_lg_u32 s20, s16
	v_cndmask_b32_e32 v81, v81, v99, vcc
	v_cndmask_b32_e32 v80, v80, v98, vcc
	;; [unrolled: 1-line block ×5, first 2 shown]
	s_cbranch_scc1 .LBB38_24
.LBB38_25:
	s_waitcnt lgkmcnt(0)
	v_cmp_neq_f64_e32 vcc, 0, v[80:81]
	v_cmp_neq_f64_e64 s[0:1], 0, v[82:83]
	s_or_b64 s[16:17], vcc, s[0:1]
	s_and_saveexec_b64 s[0:1], s[16:17]
	s_cbranch_execz .LBB38_31
; %bb.26:
	v_cmp_ngt_f64_e64 s[16:17], |v[80:81]|, |v[82:83]|
	s_and_saveexec_b64 s[18:19], s[16:17]
	s_xor_b64 s[16:17], exec, s[18:19]
	s_cbranch_execz .LBB38_28
; %bb.27:
	v_div_scale_f64 v[98:99], s[18:19], v[82:83], v[82:83], v[80:81]
	v_rcp_f64_e32 v[100:101], v[98:99]
	v_div_scale_f64 v[102:103], vcc, v[80:81], v[82:83], v[80:81]
	v_fma_f64 v[104:105], -v[98:99], v[100:101], 1.0
	v_fmac_f64_e32 v[100:101], v[100:101], v[104:105]
	v_fma_f64 v[104:105], -v[98:99], v[100:101], 1.0
	v_fmac_f64_e32 v[100:101], v[100:101], v[104:105]
	v_mul_f64 v[104:105], v[102:103], v[100:101]
	v_fma_f64 v[98:99], -v[98:99], v[104:105], v[102:103]
	v_div_fmas_f64 v[98:99], v[98:99], v[100:101], v[104:105]
	v_div_fixup_f64 v[98:99], v[98:99], v[82:83], v[80:81]
	v_fmac_f64_e32 v[82:83], v[80:81], v[98:99]
	v_div_scale_f64 v[80:81], s[18:19], v[82:83], v[82:83], 1.0
	v_rcp_f64_e32 v[100:101], v[80:81]
	s_nop 0
	v_fma_f64 v[102:103], -v[80:81], v[100:101], 1.0
	v_fmac_f64_e32 v[100:101], v[100:101], v[102:103]
	v_fma_f64 v[102:103], -v[80:81], v[100:101], 1.0
	v_fmac_f64_e32 v[100:101], v[100:101], v[102:103]
	v_div_scale_f64 v[102:103], vcc, 1.0, v[82:83], 1.0
	v_mul_f64 v[104:105], v[102:103], v[100:101]
	v_fma_f64 v[80:81], -v[80:81], v[104:105], v[102:103]
	s_nop 1
	v_div_fmas_f64 v[80:81], v[80:81], v[100:101], v[104:105]
	v_div_fixup_f64 v[82:83], v[80:81], v[82:83], 1.0
	v_mul_f64 v[80:81], v[98:99], v[82:83]
	v_xor_b32_e32 v83, 0x80000000, v83
.LBB38_28:
	s_andn2_saveexec_b64 s[16:17], s[16:17]
	s_cbranch_execz .LBB38_30
; %bb.29:
	v_div_scale_f64 v[98:99], s[18:19], v[80:81], v[80:81], v[82:83]
	v_rcp_f64_e32 v[100:101], v[98:99]
	v_div_scale_f64 v[102:103], vcc, v[82:83], v[80:81], v[82:83]
	v_fma_f64 v[104:105], -v[98:99], v[100:101], 1.0
	v_fmac_f64_e32 v[100:101], v[100:101], v[104:105]
	v_fma_f64 v[104:105], -v[98:99], v[100:101], 1.0
	v_fmac_f64_e32 v[100:101], v[100:101], v[104:105]
	v_mul_f64 v[104:105], v[102:103], v[100:101]
	v_fma_f64 v[98:99], -v[98:99], v[104:105], v[102:103]
	v_div_fmas_f64 v[98:99], v[98:99], v[100:101], v[104:105]
	v_div_fixup_f64 v[98:99], v[98:99], v[80:81], v[82:83]
	v_fmac_f64_e32 v[80:81], v[82:83], v[98:99]
	v_div_scale_f64 v[82:83], s[18:19], v[80:81], v[80:81], 1.0
	v_rcp_f64_e32 v[100:101], v[82:83]
	s_nop 0
	v_fma_f64 v[102:103], -v[82:83], v[100:101], 1.0
	v_fmac_f64_e32 v[100:101], v[100:101], v[102:103]
	v_fma_f64 v[102:103], -v[82:83], v[100:101], 1.0
	v_fmac_f64_e32 v[100:101], v[100:101], v[102:103]
	v_div_scale_f64 v[102:103], vcc, 1.0, v[80:81], 1.0
	v_mul_f64 v[104:105], v[102:103], v[100:101]
	v_fma_f64 v[82:83], -v[82:83], v[104:105], v[102:103]
	s_nop 1
	v_div_fmas_f64 v[82:83], v[82:83], v[100:101], v[104:105]
	v_div_fixup_f64 v[80:81], v[82:83], v[80:81], 1.0
	v_mul_f64 v[82:83], v[98:99], -v[80:81]
.LBB38_30:
	s_or_b64 exec, exec, s[16:17]
	v_mov_b32_e32 v95, v97
.LBB38_31:
	s_or_b64 exec, exec, s[0:1]
	v_cmp_ne_u32_e32 vcc, v93, v90
	s_and_saveexec_b64 s[0:1], vcc
	s_xor_b64 s[0:1], exec, s[0:1]
	s_cbranch_execz .LBB38_37
; %bb.32:
	v_cmp_eq_u32_e32 vcc, 1, v93
	s_and_saveexec_b64 s[16:17], vcc
	s_cbranch_execz .LBB38_36
; %bb.33:
	v_cmp_ne_u32_e32 vcc, 1, v90
	s_xor_b64 s[18:19], s[14:15], -1
	s_and_b64 s[22:23], s[18:19], vcc
	s_and_saveexec_b64 s[18:19], s[22:23]
	s_cbranch_execz .LBB38_35
; %bb.34:
	v_ashrrev_i32_e32 v91, 31, v90
	v_lshl_add_u64 v[98:99], v[90:91], 2, v[88:89]
	global_load_dword v91, v[98:99], off
	global_load_dword v93, v[88:89], off offset:4
	s_waitcnt vmcnt(1)
	global_store_dword v[88:89], v91, off offset:4
	s_waitcnt vmcnt(1)
	global_store_dword v[98:99], v93, off
.LBB38_35:
	s_or_b64 exec, exec, s[18:19]
	v_mov_b32_e32 v93, v90
	v_mov_b32_e32 v94, v90
.LBB38_36:
	s_or_b64 exec, exec, s[16:17]
.LBB38_37:
	s_andn2_saveexec_b64 s[0:1], s[0:1]
	s_cbranch_execz .LBB38_39
; %bb.38:
	v_mov_b32_e32 v93, 1
	ds_write2_b64 v92, v[48:49], v[50:51] offset0:4 offset1:5
	ds_write2_b64 v92, v[40:41], v[42:43] offset0:6 offset1:7
	s_waitcnt vmcnt(15)
	ds_write2_b64 v92, v[72:73], v[74:75] offset0:8 offset1:9
	s_waitcnt vmcnt(14)
	;; [unrolled: 2-line block ×16, first 2 shown]
	ds_write2_b64 v92, v[76:77], v[78:79] offset0:38 offset1:39
.LBB38_39:
	s_or_b64 exec, exec, s[0:1]
	v_cmp_lt_i32_e32 vcc, 1, v93
	s_waitcnt lgkmcnt(0)
	s_barrier
	s_and_saveexec_b64 s[0:1], vcc
	s_cbranch_execz .LBB38_41
; %bb.40:
	ds_read2_b64 v[98:101], v92 offset0:4 offset1:5
	v_mul_f64 v[90:91], v[82:83], v[62:63]
	v_mul_f64 v[62:63], v[80:81], v[62:63]
	v_fma_f64 v[90:91], v[80:81], v[60:61], -v[90:91]
	v_fmac_f64_e32 v[62:63], v[82:83], v[60:61]
	ds_read2_b64 v[80:83], v92 offset0:6 offset1:7
	s_waitcnt lgkmcnt(1)
	v_mul_f64 v[60:61], v[100:101], v[62:63]
	v_fma_f64 v[60:61], v[98:99], v[90:91], -v[60:61]
	v_mul_f64 v[98:99], v[98:99], v[62:63]
	v_fmac_f64_e32 v[98:99], v[100:101], v[90:91]
	v_add_f64 v[48:49], v[48:49], -v[60:61]
	s_waitcnt lgkmcnt(0)
	v_mul_f64 v[60:61], v[82:83], v[62:63]
	v_add_f64 v[50:51], v[50:51], -v[98:99]
	v_fma_f64 v[60:61], v[80:81], v[90:91], -v[60:61]
	v_mul_f64 v[80:81], v[80:81], v[62:63]
	ds_read2_b64 v[98:101], v92 offset0:8 offset1:9
	v_fmac_f64_e32 v[80:81], v[82:83], v[90:91]
	v_add_f64 v[42:43], v[42:43], -v[80:81]
	ds_read2_b64 v[80:83], v92 offset0:10 offset1:11
	v_add_f64 v[40:41], v[40:41], -v[60:61]
	s_waitcnt lgkmcnt(1)
	v_mul_f64 v[60:61], v[100:101], v[62:63]
	v_fma_f64 v[60:61], v[98:99], v[90:91], -v[60:61]
	v_mul_f64 v[98:99], v[98:99], v[62:63]
	v_fmac_f64_e32 v[98:99], v[100:101], v[90:91]
	s_waitcnt vmcnt(15)
	v_add_f64 v[72:73], v[72:73], -v[60:61]
	s_waitcnt lgkmcnt(0)
	v_mul_f64 v[60:61], v[82:83], v[62:63]
	v_add_f64 v[74:75], v[74:75], -v[98:99]
	v_fma_f64 v[60:61], v[80:81], v[90:91], -v[60:61]
	v_mul_f64 v[80:81], v[80:81], v[62:63]
	ds_read2_b64 v[98:101], v92 offset0:12 offset1:13
	v_fmac_f64_e32 v[80:81], v[82:83], v[90:91]
	s_waitcnt vmcnt(14)
	v_add_f64 v[70:71], v[70:71], -v[80:81]
	ds_read2_b64 v[80:83], v92 offset0:14 offset1:15
	v_add_f64 v[68:69], v[68:69], -v[60:61]
	s_waitcnt lgkmcnt(1)
	v_mul_f64 v[60:61], v[100:101], v[62:63]
	v_fma_f64 v[60:61], v[98:99], v[90:91], -v[60:61]
	v_mul_f64 v[98:99], v[98:99], v[62:63]
	v_fmac_f64_e32 v[98:99], v[100:101], v[90:91]
	s_waitcnt vmcnt(13)
	v_add_f64 v[56:57], v[56:57], -v[60:61]
	s_waitcnt lgkmcnt(0)
	v_mul_f64 v[60:61], v[82:83], v[62:63]
	v_add_f64 v[58:59], v[58:59], -v[98:99]
	v_fma_f64 v[60:61], v[80:81], v[90:91], -v[60:61]
	v_mul_f64 v[80:81], v[80:81], v[62:63]
	ds_read2_b64 v[98:101], v92 offset0:16 offset1:17
	v_fmac_f64_e32 v[80:81], v[82:83], v[90:91]
	s_waitcnt vmcnt(12)
	;; [unrolled: 18-line block ×7, first 2 shown]
	v_add_f64 v[6:7], v[6:7], -v[80:81]
	ds_read2_b64 v[80:83], v92 offset0:38 offset1:39
	v_add_f64 v[4:5], v[4:5], -v[60:61]
	s_waitcnt lgkmcnt(1)
	v_mul_f64 v[60:61], v[100:101], v[62:63]
	v_fma_f64 v[60:61], v[98:99], v[90:91], -v[60:61]
	s_waitcnt vmcnt(1)
	v_add_f64 v[0:1], v[0:1], -v[60:61]
	s_waitcnt lgkmcnt(0)
	v_mul_f64 v[60:61], v[82:83], v[62:63]
	v_mul_f64 v[98:99], v[98:99], v[62:63]
	v_fma_f64 v[60:61], v[80:81], v[90:91], -v[60:61]
	v_mul_f64 v[80:81], v[80:81], v[62:63]
	v_fmac_f64_e32 v[98:99], v[100:101], v[90:91]
	v_fmac_f64_e32 v[80:81], v[82:83], v[90:91]
	v_add_f64 v[2:3], v[2:3], -v[98:99]
	s_waitcnt vmcnt(0)
	v_add_f64 v[76:77], v[76:77], -v[60:61]
	v_add_f64 v[78:79], v[78:79], -v[80:81]
	v_mov_b64_e32 v[60:61], v[90:91]
.LBB38_41:
	s_or_b64 exec, exec, s[0:1]
	v_lshl_add_u32 v80, v93, 4, v92
	s_barrier
	ds_write2_b64 v80, v[48:49], v[50:51] offset1:1
	s_waitcnt lgkmcnt(0)
	s_barrier
	ds_read2_b64 v[80:83], v92 offset0:4 offset1:5
	s_cmp_lt_i32 s20, 4
	v_mov_b32_e32 v90, 2
	s_cbranch_scc1 .LBB38_44
; %bb.42:
	v_add3_u32 v91, v96, 0, 48
	s_mov_b32 s16, 3
	v_mov_b32_e32 v90, 2
.LBB38_43:                              ; =>This Inner Loop Header: Depth=1
	ds_read2_b64 v[98:101], v91 offset1:1
	s_waitcnt lgkmcnt(1)
	v_xor_b32_e32 v97, 0x80000000, v81
	v_xor_b32_e32 v105, 0x80000000, v83
	v_cmp_gt_f64_e32 vcc, 0, v[82:83]
	v_cmp_gt_f64_e64 s[0:1], 0, v[80:81]
	v_mov_b32_e32 v102, v80
	v_mov_b32_e32 v104, v82
	v_cndmask_b32_e64 v103, v81, v97, s[0:1]
	v_cndmask_b32_e32 v105, v83, v105, vcc
	s_waitcnt lgkmcnt(0)
	v_xor_b32_e32 v97, 0x80000000, v99
	v_xor_b32_e32 v107, 0x80000000, v101
	v_cmp_gt_f64_e32 vcc, 0, v[100:101]
	v_cmp_gt_f64_e64 s[0:1], 0, v[98:99]
	v_add_f64 v[102:103], v[102:103], v[104:105]
	v_mov_b32_e32 v104, v98
	v_mov_b32_e32 v106, v100
	v_cndmask_b32_e64 v105, v99, v97, s[0:1]
	v_cndmask_b32_e32 v107, v101, v107, vcc
	v_add_f64 v[104:105], v[104:105], v[106:107]
	v_mov_b32_e32 v108, s16
	s_add_i32 s16, s16, 1
	v_cmp_lt_f64_e32 vcc, v[102:103], v[104:105]
	v_add_u32_e32 v91, 16, v91
	s_cmp_lg_u32 s20, s16
	v_cndmask_b32_e32 v81, v81, v99, vcc
	v_cndmask_b32_e32 v80, v80, v98, vcc
	;; [unrolled: 1-line block ×5, first 2 shown]
	s_cbranch_scc1 .LBB38_43
.LBB38_44:
	s_waitcnt lgkmcnt(0)
	v_cmp_eq_f64_e32 vcc, 0, v[80:81]
	v_cmp_eq_f64_e64 s[0:1], 0, v[82:83]
	s_and_b64 s[0:1], vcc, s[0:1]
	s_and_saveexec_b64 s[16:17], s[0:1]
	s_xor_b64 s[0:1], exec, s[16:17]
; %bb.45:
	v_cmp_ne_u32_e32 vcc, 0, v95
	s_nop 1
	v_cndmask_b32_e32 v95, 3, v95, vcc
; %bb.46:
	s_andn2_saveexec_b64 s[0:1], s[0:1]
	s_cbranch_execz .LBB38_52
; %bb.47:
	v_cmp_ngt_f64_e64 s[16:17], |v[80:81]|, |v[82:83]|
	s_and_saveexec_b64 s[18:19], s[16:17]
	s_xor_b64 s[16:17], exec, s[18:19]
	s_cbranch_execz .LBB38_49
; %bb.48:
	v_div_scale_f64 v[98:99], s[18:19], v[82:83], v[82:83], v[80:81]
	v_rcp_f64_e32 v[100:101], v[98:99]
	v_div_scale_f64 v[102:103], vcc, v[80:81], v[82:83], v[80:81]
	v_fma_f64 v[104:105], -v[98:99], v[100:101], 1.0
	v_fmac_f64_e32 v[100:101], v[100:101], v[104:105]
	v_fma_f64 v[104:105], -v[98:99], v[100:101], 1.0
	v_fmac_f64_e32 v[100:101], v[100:101], v[104:105]
	v_mul_f64 v[104:105], v[102:103], v[100:101]
	v_fma_f64 v[98:99], -v[98:99], v[104:105], v[102:103]
	v_div_fmas_f64 v[98:99], v[98:99], v[100:101], v[104:105]
	v_div_fixup_f64 v[98:99], v[98:99], v[82:83], v[80:81]
	v_fmac_f64_e32 v[82:83], v[80:81], v[98:99]
	v_div_scale_f64 v[80:81], s[18:19], v[82:83], v[82:83], 1.0
	v_rcp_f64_e32 v[100:101], v[80:81]
	s_nop 0
	v_fma_f64 v[102:103], -v[80:81], v[100:101], 1.0
	v_fmac_f64_e32 v[100:101], v[100:101], v[102:103]
	v_fma_f64 v[102:103], -v[80:81], v[100:101], 1.0
	v_fmac_f64_e32 v[100:101], v[100:101], v[102:103]
	v_div_scale_f64 v[102:103], vcc, 1.0, v[82:83], 1.0
	v_mul_f64 v[104:105], v[102:103], v[100:101]
	v_fma_f64 v[80:81], -v[80:81], v[104:105], v[102:103]
	s_nop 1
	v_div_fmas_f64 v[80:81], v[80:81], v[100:101], v[104:105]
	v_div_fixup_f64 v[82:83], v[80:81], v[82:83], 1.0
	v_mul_f64 v[80:81], v[98:99], v[82:83]
	v_xor_b32_e32 v83, 0x80000000, v83
.LBB38_49:
	s_andn2_saveexec_b64 s[16:17], s[16:17]
	s_cbranch_execz .LBB38_51
; %bb.50:
	v_div_scale_f64 v[98:99], s[18:19], v[80:81], v[80:81], v[82:83]
	v_rcp_f64_e32 v[100:101], v[98:99]
	v_div_scale_f64 v[102:103], vcc, v[82:83], v[80:81], v[82:83]
	v_fma_f64 v[104:105], -v[98:99], v[100:101], 1.0
	v_fmac_f64_e32 v[100:101], v[100:101], v[104:105]
	v_fma_f64 v[104:105], -v[98:99], v[100:101], 1.0
	v_fmac_f64_e32 v[100:101], v[100:101], v[104:105]
	v_mul_f64 v[104:105], v[102:103], v[100:101]
	v_fma_f64 v[98:99], -v[98:99], v[104:105], v[102:103]
	v_div_fmas_f64 v[98:99], v[98:99], v[100:101], v[104:105]
	v_div_fixup_f64 v[98:99], v[98:99], v[80:81], v[82:83]
	v_fmac_f64_e32 v[80:81], v[82:83], v[98:99]
	v_div_scale_f64 v[82:83], s[18:19], v[80:81], v[80:81], 1.0
	v_rcp_f64_e32 v[100:101], v[82:83]
	s_nop 0
	v_fma_f64 v[102:103], -v[82:83], v[100:101], 1.0
	v_fmac_f64_e32 v[100:101], v[100:101], v[102:103]
	v_fma_f64 v[102:103], -v[82:83], v[100:101], 1.0
	v_fmac_f64_e32 v[100:101], v[100:101], v[102:103]
	v_div_scale_f64 v[102:103], vcc, 1.0, v[80:81], 1.0
	v_mul_f64 v[104:105], v[102:103], v[100:101]
	v_fma_f64 v[82:83], -v[82:83], v[104:105], v[102:103]
	s_nop 1
	v_div_fmas_f64 v[82:83], v[82:83], v[100:101], v[104:105]
	v_div_fixup_f64 v[80:81], v[82:83], v[80:81], 1.0
	v_mul_f64 v[82:83], v[98:99], -v[80:81]
.LBB38_51:
	s_or_b64 exec, exec, s[16:17]
.LBB38_52:
	s_or_b64 exec, exec, s[0:1]
	v_cmp_ne_u32_e32 vcc, v93, v90
	s_and_saveexec_b64 s[0:1], vcc
	s_xor_b64 s[0:1], exec, s[0:1]
	s_cbranch_execz .LBB38_58
; %bb.53:
	v_cmp_eq_u32_e32 vcc, 2, v93
	s_and_saveexec_b64 s[16:17], vcc
	s_cbranch_execz .LBB38_57
; %bb.54:
	v_cmp_ne_u32_e32 vcc, 2, v90
	s_xor_b64 s[18:19], s[14:15], -1
	s_and_b64 s[22:23], s[18:19], vcc
	s_and_saveexec_b64 s[18:19], s[22:23]
	s_cbranch_execz .LBB38_56
; %bb.55:
	v_ashrrev_i32_e32 v91, 31, v90
	v_lshl_add_u64 v[98:99], v[90:91], 2, v[88:89]
	global_load_dword v91, v[98:99], off
	global_load_dword v93, v[88:89], off offset:8
	s_waitcnt vmcnt(1)
	global_store_dword v[88:89], v91, off offset:8
	s_waitcnt vmcnt(1)
	global_store_dword v[98:99], v93, off
.LBB38_56:
	s_or_b64 exec, exec, s[18:19]
	v_mov_b32_e32 v93, v90
	v_mov_b32_e32 v94, v90
.LBB38_57:
	s_or_b64 exec, exec, s[16:17]
.LBB38_58:
	s_andn2_saveexec_b64 s[0:1], s[0:1]
	s_cbranch_execz .LBB38_60
; %bb.59:
	v_mov_b32_e32 v93, 2
	ds_write2_b64 v92, v[40:41], v[42:43] offset0:6 offset1:7
	s_waitcnt vmcnt(15)
	ds_write2_b64 v92, v[72:73], v[74:75] offset0:8 offset1:9
	s_waitcnt vmcnt(14)
	;; [unrolled: 2-line block ×16, first 2 shown]
	ds_write2_b64 v92, v[76:77], v[78:79] offset0:38 offset1:39
.LBB38_60:
	s_or_b64 exec, exec, s[0:1]
	v_cmp_lt_i32_e32 vcc, 2, v93
	s_waitcnt lgkmcnt(0)
	s_barrier
	s_and_saveexec_b64 s[0:1], vcc
	s_cbranch_execz .LBB38_62
; %bb.61:
	ds_read2_b64 v[98:101], v92 offset0:6 offset1:7
	v_mul_f64 v[90:91], v[82:83], v[50:51]
	v_mul_f64 v[50:51], v[80:81], v[50:51]
	v_fmac_f64_e32 v[50:51], v[82:83], v[48:49]
	v_fma_f64 v[90:91], v[80:81], v[48:49], -v[90:91]
	ds_read2_b64 v[80:83], v92 offset0:8 offset1:9
	s_waitcnt lgkmcnt(1)
	v_mul_f64 v[48:49], v[100:101], v[50:51]
	v_fma_f64 v[48:49], v[98:99], v[90:91], -v[48:49]
	v_mul_f64 v[98:99], v[98:99], v[50:51]
	v_fmac_f64_e32 v[98:99], v[100:101], v[90:91]
	v_add_f64 v[42:43], v[42:43], -v[98:99]
	ds_read2_b64 v[98:101], v92 offset0:10 offset1:11
	v_add_f64 v[40:41], v[40:41], -v[48:49]
	s_waitcnt lgkmcnt(1)
	v_mul_f64 v[48:49], v[82:83], v[50:51]
	v_fma_f64 v[48:49], v[80:81], v[90:91], -v[48:49]
	v_mul_f64 v[80:81], v[80:81], v[50:51]
	v_fmac_f64_e32 v[80:81], v[82:83], v[90:91]
	s_waitcnt vmcnt(15)
	v_add_f64 v[72:73], v[72:73], -v[48:49]
	v_add_f64 v[74:75], v[74:75], -v[80:81]
	ds_read2_b64 v[80:83], v92 offset0:12 offset1:13
	s_waitcnt lgkmcnt(1)
	v_mul_f64 v[48:49], v[100:101], v[50:51]
	v_fma_f64 v[48:49], v[98:99], v[90:91], -v[48:49]
	v_mul_f64 v[98:99], v[98:99], v[50:51]
	v_fmac_f64_e32 v[98:99], v[100:101], v[90:91]
	s_waitcnt vmcnt(14)
	v_add_f64 v[70:71], v[70:71], -v[98:99]
	ds_read2_b64 v[98:101], v92 offset0:14 offset1:15
	v_add_f64 v[68:69], v[68:69], -v[48:49]
	s_waitcnt lgkmcnt(1)
	v_mul_f64 v[48:49], v[82:83], v[50:51]
	v_fma_f64 v[48:49], v[80:81], v[90:91], -v[48:49]
	v_mul_f64 v[80:81], v[80:81], v[50:51]
	v_fmac_f64_e32 v[80:81], v[82:83], v[90:91]
	s_waitcnt vmcnt(13)
	v_add_f64 v[56:57], v[56:57], -v[48:49]
	v_add_f64 v[58:59], v[58:59], -v[80:81]
	ds_read2_b64 v[80:83], v92 offset0:16 offset1:17
	s_waitcnt lgkmcnt(1)
	v_mul_f64 v[48:49], v[100:101], v[50:51]
	v_fma_f64 v[48:49], v[98:99], v[90:91], -v[48:49]
	v_mul_f64 v[98:99], v[98:99], v[50:51]
	v_fmac_f64_e32 v[98:99], v[100:101], v[90:91]
	s_waitcnt vmcnt(12)
	;; [unrolled: 18-line block ×7, first 2 shown]
	v_add_f64 v[6:7], v[6:7], -v[98:99]
	ds_read2_b64 v[98:101], v92 offset0:38 offset1:39
	v_add_f64 v[4:5], v[4:5], -v[48:49]
	s_waitcnt lgkmcnt(1)
	v_mul_f64 v[48:49], v[82:83], v[50:51]
	v_fma_f64 v[48:49], v[80:81], v[90:91], -v[48:49]
	v_mul_f64 v[80:81], v[80:81], v[50:51]
	v_fmac_f64_e32 v[80:81], v[82:83], v[90:91]
	s_waitcnt vmcnt(1)
	v_add_f64 v[0:1], v[0:1], -v[48:49]
	v_add_f64 v[2:3], v[2:3], -v[80:81]
	s_waitcnt lgkmcnt(0)
	v_mul_f64 v[48:49], v[100:101], v[50:51]
	v_mul_f64 v[80:81], v[98:99], v[50:51]
	v_fma_f64 v[48:49], v[98:99], v[90:91], -v[48:49]
	v_fmac_f64_e32 v[80:81], v[100:101], v[90:91]
	s_waitcnt vmcnt(0)
	v_add_f64 v[76:77], v[76:77], -v[48:49]
	v_add_f64 v[78:79], v[78:79], -v[80:81]
	v_mov_b64_e32 v[48:49], v[90:91]
.LBB38_62:
	s_or_b64 exec, exec, s[0:1]
	v_lshl_add_u32 v80, v93, 4, v92
	s_barrier
	ds_write2_b64 v80, v[40:41], v[42:43] offset1:1
	s_waitcnt lgkmcnt(0)
	s_barrier
	ds_read2_b64 v[80:83], v92 offset0:6 offset1:7
	s_mov_b32 s16, 4
	s_cmp_lt_i32 s20, 5
	v_mov_b32_e32 v90, 3
	s_cbranch_scc1 .LBB38_65
; %bb.63:
	v_add3_u32 v91, v96, 0, 64
	v_mov_b32_e32 v90, 3
.LBB38_64:                              ; =>This Inner Loop Header: Depth=1
	ds_read2_b64 v[96:99], v91 offset1:1
	s_waitcnt lgkmcnt(1)
	v_xor_b32_e32 v101, 0x80000000, v81
	v_xor_b32_e32 v103, 0x80000000, v83
	v_cmp_gt_f64_e32 vcc, 0, v[82:83]
	v_cmp_gt_f64_e64 s[0:1], 0, v[80:81]
	v_mov_b32_e32 v100, v80
	v_mov_b32_e32 v102, v82
	v_cndmask_b32_e64 v101, v81, v101, s[0:1]
	v_cndmask_b32_e32 v103, v83, v103, vcc
	v_add_f64 v[100:101], v[100:101], v[102:103]
	s_waitcnt lgkmcnt(0)
	v_xor_b32_e32 v103, 0x80000000, v97
	v_xor_b32_e32 v105, 0x80000000, v99
	v_cmp_gt_f64_e32 vcc, 0, v[98:99]
	v_cmp_gt_f64_e64 s[0:1], 0, v[96:97]
	v_mov_b32_e32 v102, v96
	v_mov_b32_e32 v104, v98
	v_cndmask_b32_e64 v103, v97, v103, s[0:1]
	v_cndmask_b32_e32 v105, v99, v105, vcc
	v_add_f64 v[102:103], v[102:103], v[104:105]
	v_mov_b32_e32 v106, s16
	s_add_i32 s16, s16, 1
	v_cmp_lt_f64_e32 vcc, v[100:101], v[102:103]
	v_add_u32_e32 v91, 16, v91
	s_cmp_lg_u32 s20, s16
	v_cndmask_b32_e32 v81, v81, v97, vcc
	v_cndmask_b32_e32 v80, v80, v96, vcc
	;; [unrolled: 1-line block ×5, first 2 shown]
	s_cbranch_scc1 .LBB38_64
.LBB38_65:
	s_waitcnt lgkmcnt(0)
	v_cmp_eq_f64_e32 vcc, 0, v[80:81]
	v_cmp_eq_f64_e64 s[0:1], 0, v[82:83]
	s_and_b64 s[0:1], vcc, s[0:1]
	s_and_saveexec_b64 s[16:17], s[0:1]
	s_xor_b64 s[0:1], exec, s[16:17]
; %bb.66:
	v_cmp_ne_u32_e32 vcc, 0, v95
	s_nop 1
	v_cndmask_b32_e32 v95, 4, v95, vcc
; %bb.67:
	s_andn2_saveexec_b64 s[0:1], s[0:1]
	s_cbranch_execz .LBB38_73
; %bb.68:
	v_cmp_ngt_f64_e64 s[16:17], |v[80:81]|, |v[82:83]|
	s_and_saveexec_b64 s[18:19], s[16:17]
	s_xor_b64 s[16:17], exec, s[18:19]
	s_cbranch_execz .LBB38_70
; %bb.69:
	v_div_scale_f64 v[96:97], s[18:19], v[82:83], v[82:83], v[80:81]
	v_rcp_f64_e32 v[98:99], v[96:97]
	v_div_scale_f64 v[100:101], vcc, v[80:81], v[82:83], v[80:81]
	v_fma_f64 v[102:103], -v[96:97], v[98:99], 1.0
	v_fmac_f64_e32 v[98:99], v[98:99], v[102:103]
	v_fma_f64 v[102:103], -v[96:97], v[98:99], 1.0
	v_fmac_f64_e32 v[98:99], v[98:99], v[102:103]
	v_mul_f64 v[102:103], v[100:101], v[98:99]
	v_fma_f64 v[96:97], -v[96:97], v[102:103], v[100:101]
	v_div_fmas_f64 v[96:97], v[96:97], v[98:99], v[102:103]
	v_div_fixup_f64 v[96:97], v[96:97], v[82:83], v[80:81]
	v_fmac_f64_e32 v[82:83], v[80:81], v[96:97]
	v_div_scale_f64 v[80:81], s[18:19], v[82:83], v[82:83], 1.0
	v_rcp_f64_e32 v[98:99], v[80:81]
	s_nop 0
	v_fma_f64 v[100:101], -v[80:81], v[98:99], 1.0
	v_fmac_f64_e32 v[98:99], v[98:99], v[100:101]
	v_fma_f64 v[100:101], -v[80:81], v[98:99], 1.0
	v_fmac_f64_e32 v[98:99], v[98:99], v[100:101]
	v_div_scale_f64 v[100:101], vcc, 1.0, v[82:83], 1.0
	v_mul_f64 v[102:103], v[100:101], v[98:99]
	v_fma_f64 v[80:81], -v[80:81], v[102:103], v[100:101]
	s_nop 1
	v_div_fmas_f64 v[80:81], v[80:81], v[98:99], v[102:103]
	v_div_fixup_f64 v[82:83], v[80:81], v[82:83], 1.0
	v_mul_f64 v[80:81], v[96:97], v[82:83]
	v_xor_b32_e32 v83, 0x80000000, v83
.LBB38_70:
	s_andn2_saveexec_b64 s[16:17], s[16:17]
	s_cbranch_execz .LBB38_72
; %bb.71:
	v_div_scale_f64 v[96:97], s[18:19], v[80:81], v[80:81], v[82:83]
	v_rcp_f64_e32 v[98:99], v[96:97]
	v_div_scale_f64 v[100:101], vcc, v[82:83], v[80:81], v[82:83]
	v_fma_f64 v[102:103], -v[96:97], v[98:99], 1.0
	v_fmac_f64_e32 v[98:99], v[98:99], v[102:103]
	v_fma_f64 v[102:103], -v[96:97], v[98:99], 1.0
	v_fmac_f64_e32 v[98:99], v[98:99], v[102:103]
	v_mul_f64 v[102:103], v[100:101], v[98:99]
	v_fma_f64 v[96:97], -v[96:97], v[102:103], v[100:101]
	v_div_fmas_f64 v[96:97], v[96:97], v[98:99], v[102:103]
	v_div_fixup_f64 v[96:97], v[96:97], v[80:81], v[82:83]
	v_fmac_f64_e32 v[80:81], v[82:83], v[96:97]
	v_div_scale_f64 v[82:83], s[18:19], v[80:81], v[80:81], 1.0
	v_rcp_f64_e32 v[98:99], v[82:83]
	s_nop 0
	v_fma_f64 v[100:101], -v[82:83], v[98:99], 1.0
	v_fmac_f64_e32 v[98:99], v[98:99], v[100:101]
	v_fma_f64 v[100:101], -v[82:83], v[98:99], 1.0
	v_fmac_f64_e32 v[98:99], v[98:99], v[100:101]
	v_div_scale_f64 v[100:101], vcc, 1.0, v[80:81], 1.0
	v_mul_f64 v[102:103], v[100:101], v[98:99]
	v_fma_f64 v[82:83], -v[82:83], v[102:103], v[100:101]
	s_nop 1
	v_div_fmas_f64 v[82:83], v[82:83], v[98:99], v[102:103]
	v_div_fixup_f64 v[80:81], v[82:83], v[80:81], 1.0
	v_mul_f64 v[82:83], v[96:97], -v[80:81]
.LBB38_72:
	s_or_b64 exec, exec, s[16:17]
.LBB38_73:
	s_or_b64 exec, exec, s[0:1]
	v_cmp_ne_u32_e32 vcc, v93, v90
	s_and_saveexec_b64 s[0:1], vcc
	s_xor_b64 s[0:1], exec, s[0:1]
	s_cbranch_execz .LBB38_79
; %bb.74:
	v_cmp_eq_u32_e32 vcc, 3, v93
	s_and_saveexec_b64 s[16:17], vcc
	s_cbranch_execz .LBB38_78
; %bb.75:
	v_cmp_ne_u32_e32 vcc, 3, v90
	s_xor_b64 s[18:19], s[14:15], -1
	s_and_b64 s[22:23], s[18:19], vcc
	s_and_saveexec_b64 s[18:19], s[22:23]
	s_cbranch_execz .LBB38_77
; %bb.76:
	v_ashrrev_i32_e32 v91, 31, v90
	v_lshl_add_u64 v[96:97], v[90:91], 2, v[88:89]
	global_load_dword v91, v[96:97], off
	global_load_dword v93, v[88:89], off offset:12
	s_waitcnt vmcnt(1)
	global_store_dword v[88:89], v91, off offset:12
	s_waitcnt vmcnt(1)
	global_store_dword v[96:97], v93, off
.LBB38_77:
	s_or_b64 exec, exec, s[18:19]
	v_mov_b32_e32 v93, v90
	v_mov_b32_e32 v94, v90
.LBB38_78:
	s_or_b64 exec, exec, s[16:17]
.LBB38_79:
	s_andn2_saveexec_b64 s[0:1], s[0:1]
	s_cbranch_execz .LBB38_81
; %bb.80:
	v_mov_b32_e32 v93, 3
	s_waitcnt vmcnt(15)
	ds_write2_b64 v92, v[72:73], v[74:75] offset0:8 offset1:9
	s_waitcnt vmcnt(14)
	ds_write2_b64 v92, v[68:69], v[70:71] offset0:10 offset1:11
	;; [unrolled: 2-line block ×16, first 2 shown]
.LBB38_81:
	s_or_b64 exec, exec, s[0:1]
	v_cmp_lt_i32_e32 vcc, 3, v93
	s_waitcnt lgkmcnt(0)
	s_barrier
	s_and_saveexec_b64 s[0:1], vcc
	s_cbranch_execz .LBB38_83
; %bb.82:
	ds_read2_b64 v[96:99], v92 offset0:8 offset1:9
	v_mul_f64 v[90:91], v[80:81], v[42:43]
	v_mul_f64 v[42:43], v[82:83], v[42:43]
	v_fmac_f64_e32 v[90:91], v[82:83], v[40:41]
	v_fma_f64 v[40:41], v[80:81], v[40:41], -v[42:43]
	ds_read2_b64 v[80:83], v92 offset0:10 offset1:11
	s_waitcnt lgkmcnt(1)
	v_mul_f64 v[42:43], v[98:99], v[90:91]
	v_fma_f64 v[42:43], v[96:97], v[40:41], -v[42:43]
	v_mul_f64 v[96:97], v[96:97], v[90:91]
	v_fmac_f64_e32 v[96:97], v[98:99], v[40:41]
	s_waitcnt vmcnt(15)
	v_add_f64 v[72:73], v[72:73], -v[42:43]
	s_waitcnt lgkmcnt(0)
	v_mul_f64 v[42:43], v[82:83], v[90:91]
	v_add_f64 v[74:75], v[74:75], -v[96:97]
	v_fma_f64 v[42:43], v[80:81], v[40:41], -v[42:43]
	v_mul_f64 v[80:81], v[80:81], v[90:91]
	ds_read2_b64 v[96:99], v92 offset0:12 offset1:13
	v_fmac_f64_e32 v[80:81], v[82:83], v[40:41]
	s_waitcnt vmcnt(14)
	v_add_f64 v[70:71], v[70:71], -v[80:81]
	ds_read2_b64 v[80:83], v92 offset0:14 offset1:15
	v_add_f64 v[68:69], v[68:69], -v[42:43]
	s_waitcnt lgkmcnt(1)
	v_mul_f64 v[42:43], v[98:99], v[90:91]
	v_fma_f64 v[42:43], v[96:97], v[40:41], -v[42:43]
	v_mul_f64 v[96:97], v[96:97], v[90:91]
	v_fmac_f64_e32 v[96:97], v[98:99], v[40:41]
	s_waitcnt vmcnt(13)
	v_add_f64 v[56:57], v[56:57], -v[42:43]
	s_waitcnt lgkmcnt(0)
	v_mul_f64 v[42:43], v[82:83], v[90:91]
	v_add_f64 v[58:59], v[58:59], -v[96:97]
	v_fma_f64 v[42:43], v[80:81], v[40:41], -v[42:43]
	v_mul_f64 v[80:81], v[80:81], v[90:91]
	ds_read2_b64 v[96:99], v92 offset0:16 offset1:17
	v_fmac_f64_e32 v[80:81], v[82:83], v[40:41]
	s_waitcnt vmcnt(12)
	v_add_f64 v[54:55], v[54:55], -v[80:81]
	ds_read2_b64 v[80:83], v92 offset0:18 offset1:19
	v_add_f64 v[52:53], v[52:53], -v[42:43]
	;; [unrolled: 18-line block ×7, first 2 shown]
	s_waitcnt lgkmcnt(1)
	v_mul_f64 v[42:43], v[98:99], v[90:91]
	v_fma_f64 v[42:43], v[96:97], v[40:41], -v[42:43]
	s_waitcnt vmcnt(1)
	v_add_f64 v[0:1], v[0:1], -v[42:43]
	s_waitcnt lgkmcnt(0)
	v_mul_f64 v[42:43], v[82:83], v[90:91]
	v_mul_f64 v[96:97], v[96:97], v[90:91]
	v_fma_f64 v[42:43], v[80:81], v[40:41], -v[42:43]
	v_mul_f64 v[80:81], v[80:81], v[90:91]
	v_fmac_f64_e32 v[96:97], v[98:99], v[40:41]
	v_fmac_f64_e32 v[80:81], v[82:83], v[40:41]
	v_add_f64 v[2:3], v[2:3], -v[96:97]
	s_waitcnt vmcnt(0)
	v_add_f64 v[76:77], v[76:77], -v[42:43]
	v_add_f64 v[78:79], v[78:79], -v[80:81]
	v_mov_b64_e32 v[42:43], v[90:91]
.LBB38_83:
	s_or_b64 exec, exec, s[0:1]
	v_lshl_add_u32 v80, v93, 4, v92
	s_barrier
	s_waitcnt vmcnt(15)
	ds_write2_b64 v80, v[72:73], v[74:75] offset1:1
	s_waitcnt lgkmcnt(0)
	s_barrier
	ds_read2_b64 v[80:83], v92 offset0:8 offset1:9
	s_cmp_lt_i32 s20, 6
	v_mov_b32_e32 v90, 4
	s_cbranch_scc1 .LBB38_86
; %bb.84:
	v_mov_b32_e32 v90, 4
	v_add_u32_e32 v91, 0x50, v92
	s_mov_b32 s16, 5
.LBB38_85:                              ; =>This Inner Loop Header: Depth=1
	ds_read2_b64 v[96:99], v91 offset1:1
	s_waitcnt lgkmcnt(1)
	v_xor_b32_e32 v101, 0x80000000, v81
	v_xor_b32_e32 v103, 0x80000000, v83
	v_cmp_gt_f64_e32 vcc, 0, v[82:83]
	v_cmp_gt_f64_e64 s[0:1], 0, v[80:81]
	v_mov_b32_e32 v100, v80
	v_mov_b32_e32 v102, v82
	v_cndmask_b32_e64 v101, v81, v101, s[0:1]
	v_cndmask_b32_e32 v103, v83, v103, vcc
	v_add_f64 v[100:101], v[100:101], v[102:103]
	s_waitcnt lgkmcnt(0)
	v_xor_b32_e32 v103, 0x80000000, v97
	v_xor_b32_e32 v105, 0x80000000, v99
	v_cmp_gt_f64_e32 vcc, 0, v[98:99]
	v_cmp_gt_f64_e64 s[0:1], 0, v[96:97]
	v_mov_b32_e32 v102, v96
	v_mov_b32_e32 v104, v98
	v_cndmask_b32_e64 v103, v97, v103, s[0:1]
	v_cndmask_b32_e32 v105, v99, v105, vcc
	v_add_f64 v[102:103], v[102:103], v[104:105]
	v_mov_b32_e32 v106, s16
	s_add_i32 s16, s16, 1
	v_cmp_lt_f64_e32 vcc, v[100:101], v[102:103]
	v_add_u32_e32 v91, 16, v91
	s_cmp_lg_u32 s20, s16
	v_cndmask_b32_e32 v81, v81, v97, vcc
	v_cndmask_b32_e32 v80, v80, v96, vcc
	;; [unrolled: 1-line block ×5, first 2 shown]
	s_cbranch_scc1 .LBB38_85
.LBB38_86:
	s_waitcnt lgkmcnt(0)
	v_cmp_eq_f64_e32 vcc, 0, v[80:81]
	v_cmp_eq_f64_e64 s[0:1], 0, v[82:83]
	s_and_b64 s[0:1], vcc, s[0:1]
	s_and_saveexec_b64 s[16:17], s[0:1]
	s_xor_b64 s[0:1], exec, s[16:17]
; %bb.87:
	v_cmp_ne_u32_e32 vcc, 0, v95
	s_nop 1
	v_cndmask_b32_e32 v95, 5, v95, vcc
; %bb.88:
	s_andn2_saveexec_b64 s[0:1], s[0:1]
	s_cbranch_execz .LBB38_94
; %bb.89:
	v_cmp_ngt_f64_e64 s[16:17], |v[80:81]|, |v[82:83]|
	s_and_saveexec_b64 s[18:19], s[16:17]
	s_xor_b64 s[16:17], exec, s[18:19]
	s_cbranch_execz .LBB38_91
; %bb.90:
	v_div_scale_f64 v[96:97], s[18:19], v[82:83], v[82:83], v[80:81]
	v_rcp_f64_e32 v[98:99], v[96:97]
	v_div_scale_f64 v[100:101], vcc, v[80:81], v[82:83], v[80:81]
	v_fma_f64 v[102:103], -v[96:97], v[98:99], 1.0
	v_fmac_f64_e32 v[98:99], v[98:99], v[102:103]
	v_fma_f64 v[102:103], -v[96:97], v[98:99], 1.0
	v_fmac_f64_e32 v[98:99], v[98:99], v[102:103]
	v_mul_f64 v[102:103], v[100:101], v[98:99]
	v_fma_f64 v[96:97], -v[96:97], v[102:103], v[100:101]
	v_div_fmas_f64 v[96:97], v[96:97], v[98:99], v[102:103]
	v_div_fixup_f64 v[96:97], v[96:97], v[82:83], v[80:81]
	v_fmac_f64_e32 v[82:83], v[80:81], v[96:97]
	v_div_scale_f64 v[80:81], s[18:19], v[82:83], v[82:83], 1.0
	v_rcp_f64_e32 v[98:99], v[80:81]
	s_nop 0
	v_fma_f64 v[100:101], -v[80:81], v[98:99], 1.0
	v_fmac_f64_e32 v[98:99], v[98:99], v[100:101]
	v_fma_f64 v[100:101], -v[80:81], v[98:99], 1.0
	v_fmac_f64_e32 v[98:99], v[98:99], v[100:101]
	v_div_scale_f64 v[100:101], vcc, 1.0, v[82:83], 1.0
	v_mul_f64 v[102:103], v[100:101], v[98:99]
	v_fma_f64 v[80:81], -v[80:81], v[102:103], v[100:101]
	s_nop 1
	v_div_fmas_f64 v[80:81], v[80:81], v[98:99], v[102:103]
	v_div_fixup_f64 v[82:83], v[80:81], v[82:83], 1.0
	v_mul_f64 v[80:81], v[96:97], v[82:83]
	v_xor_b32_e32 v83, 0x80000000, v83
.LBB38_91:
	s_andn2_saveexec_b64 s[16:17], s[16:17]
	s_cbranch_execz .LBB38_93
; %bb.92:
	v_div_scale_f64 v[96:97], s[18:19], v[80:81], v[80:81], v[82:83]
	v_rcp_f64_e32 v[98:99], v[96:97]
	v_div_scale_f64 v[100:101], vcc, v[82:83], v[80:81], v[82:83]
	v_fma_f64 v[102:103], -v[96:97], v[98:99], 1.0
	v_fmac_f64_e32 v[98:99], v[98:99], v[102:103]
	v_fma_f64 v[102:103], -v[96:97], v[98:99], 1.0
	v_fmac_f64_e32 v[98:99], v[98:99], v[102:103]
	v_mul_f64 v[102:103], v[100:101], v[98:99]
	v_fma_f64 v[96:97], -v[96:97], v[102:103], v[100:101]
	v_div_fmas_f64 v[96:97], v[96:97], v[98:99], v[102:103]
	v_div_fixup_f64 v[96:97], v[96:97], v[80:81], v[82:83]
	v_fmac_f64_e32 v[80:81], v[82:83], v[96:97]
	v_div_scale_f64 v[82:83], s[18:19], v[80:81], v[80:81], 1.0
	v_rcp_f64_e32 v[98:99], v[82:83]
	s_nop 0
	v_fma_f64 v[100:101], -v[82:83], v[98:99], 1.0
	v_fmac_f64_e32 v[98:99], v[98:99], v[100:101]
	v_fma_f64 v[100:101], -v[82:83], v[98:99], 1.0
	v_fmac_f64_e32 v[98:99], v[98:99], v[100:101]
	v_div_scale_f64 v[100:101], vcc, 1.0, v[80:81], 1.0
	v_mul_f64 v[102:103], v[100:101], v[98:99]
	v_fma_f64 v[82:83], -v[82:83], v[102:103], v[100:101]
	s_nop 1
	v_div_fmas_f64 v[82:83], v[82:83], v[98:99], v[102:103]
	v_div_fixup_f64 v[80:81], v[82:83], v[80:81], 1.0
	v_mul_f64 v[82:83], v[96:97], -v[80:81]
.LBB38_93:
	s_or_b64 exec, exec, s[16:17]
.LBB38_94:
	s_or_b64 exec, exec, s[0:1]
	v_cmp_ne_u32_e32 vcc, v93, v90
	s_and_saveexec_b64 s[0:1], vcc
	s_xor_b64 s[0:1], exec, s[0:1]
	s_cbranch_execz .LBB38_100
; %bb.95:
	v_cmp_eq_u32_e32 vcc, 4, v93
	s_and_saveexec_b64 s[16:17], vcc
	s_cbranch_execz .LBB38_99
; %bb.96:
	v_cmp_ne_u32_e32 vcc, 4, v90
	s_xor_b64 s[18:19], s[14:15], -1
	s_and_b64 s[22:23], s[18:19], vcc
	s_and_saveexec_b64 s[18:19], s[22:23]
	s_cbranch_execz .LBB38_98
; %bb.97:
	v_ashrrev_i32_e32 v91, 31, v90
	v_lshl_add_u64 v[96:97], v[90:91], 2, v[88:89]
	global_load_dword v91, v[96:97], off
	global_load_dword v93, v[88:89], off offset:16
	s_waitcnt vmcnt(1)
	global_store_dword v[88:89], v91, off offset:16
	s_waitcnt vmcnt(1)
	global_store_dword v[96:97], v93, off
.LBB38_98:
	s_or_b64 exec, exec, s[18:19]
	v_mov_b32_e32 v93, v90
	v_mov_b32_e32 v94, v90
.LBB38_99:
	s_or_b64 exec, exec, s[16:17]
.LBB38_100:
	s_andn2_saveexec_b64 s[0:1], s[0:1]
	s_cbranch_execz .LBB38_102
; %bb.101:
	v_mov_b32_e32 v93, 4
	s_waitcnt vmcnt(14)
	ds_write2_b64 v92, v[68:69], v[70:71] offset0:10 offset1:11
	s_waitcnt vmcnt(13)
	ds_write2_b64 v92, v[56:57], v[58:59] offset0:12 offset1:13
	;; [unrolled: 2-line block ×15, first 2 shown]
.LBB38_102:
	s_or_b64 exec, exec, s[0:1]
	v_cmp_lt_i32_e32 vcc, 4, v93
	s_waitcnt lgkmcnt(0)
	s_barrier
	s_and_saveexec_b64 s[0:1], vcc
	s_cbranch_execz .LBB38_104
; %bb.103:
	ds_read2_b64 v[96:99], v92 offset0:10 offset1:11
	v_mul_f64 v[90:91], v[80:81], v[74:75]
	v_fmac_f64_e32 v[90:91], v[82:83], v[72:73]
	v_mul_f64 v[74:75], v[82:83], v[74:75]
	v_fma_f64 v[72:73], v[80:81], v[72:73], -v[74:75]
	ds_read2_b64 v[80:83], v92 offset0:12 offset1:13
	s_waitcnt lgkmcnt(1)
	v_mul_f64 v[74:75], v[98:99], v[90:91]
	v_fma_f64 v[74:75], v[96:97], v[72:73], -v[74:75]
	v_mul_f64 v[96:97], v[96:97], v[90:91]
	v_fmac_f64_e32 v[96:97], v[98:99], v[72:73]
	s_waitcnt vmcnt(14)
	v_add_f64 v[70:71], v[70:71], -v[96:97]
	ds_read2_b64 v[96:99], v92 offset0:14 offset1:15
	v_add_f64 v[68:69], v[68:69], -v[74:75]
	s_waitcnt lgkmcnt(1)
	v_mul_f64 v[74:75], v[82:83], v[90:91]
	v_fma_f64 v[74:75], v[80:81], v[72:73], -v[74:75]
	v_mul_f64 v[80:81], v[80:81], v[90:91]
	v_fmac_f64_e32 v[80:81], v[82:83], v[72:73]
	s_waitcnt vmcnt(13)
	v_add_f64 v[56:57], v[56:57], -v[74:75]
	v_add_f64 v[58:59], v[58:59], -v[80:81]
	ds_read2_b64 v[80:83], v92 offset0:16 offset1:17
	s_waitcnt lgkmcnt(1)
	v_mul_f64 v[74:75], v[98:99], v[90:91]
	v_fma_f64 v[74:75], v[96:97], v[72:73], -v[74:75]
	v_mul_f64 v[96:97], v[96:97], v[90:91]
	v_fmac_f64_e32 v[96:97], v[98:99], v[72:73]
	s_waitcnt vmcnt(12)
	v_add_f64 v[54:55], v[54:55], -v[96:97]
	ds_read2_b64 v[96:99], v92 offset0:18 offset1:19
	v_add_f64 v[52:53], v[52:53], -v[74:75]
	s_waitcnt lgkmcnt(1)
	v_mul_f64 v[74:75], v[82:83], v[90:91]
	v_fma_f64 v[74:75], v[80:81], v[72:73], -v[74:75]
	v_mul_f64 v[80:81], v[80:81], v[90:91]
	v_fmac_f64_e32 v[80:81], v[82:83], v[72:73]
	s_waitcnt vmcnt(11)
	v_add_f64 v[44:45], v[44:45], -v[74:75]
	v_add_f64 v[46:47], v[46:47], -v[80:81]
	;; [unrolled: 18-line block ×7, first 2 shown]
	s_waitcnt lgkmcnt(0)
	v_mul_f64 v[74:75], v[98:99], v[90:91]
	v_mul_f64 v[80:81], v[96:97], v[90:91]
	v_fma_f64 v[74:75], v[96:97], v[72:73], -v[74:75]
	v_fmac_f64_e32 v[80:81], v[98:99], v[72:73]
	s_waitcnt vmcnt(0)
	v_add_f64 v[76:77], v[76:77], -v[74:75]
	v_add_f64 v[78:79], v[78:79], -v[80:81]
	v_mov_b64_e32 v[74:75], v[90:91]
.LBB38_104:
	s_or_b64 exec, exec, s[0:1]
	v_lshl_add_u32 v80, v93, 4, v92
	s_barrier
	s_waitcnt vmcnt(14)
	ds_write2_b64 v80, v[68:69], v[70:71] offset1:1
	s_waitcnt lgkmcnt(0)
	s_barrier
	ds_read2_b64 v[80:83], v92 offset0:10 offset1:11
	s_cmp_lt_i32 s20, 7
	v_mov_b32_e32 v90, 5
	s_cbranch_scc1 .LBB38_107
; %bb.105:
	v_add_u32_e32 v91, 0x60, v92
	s_mov_b32 s16, 6
	v_mov_b32_e32 v90, 5
.LBB38_106:                             ; =>This Inner Loop Header: Depth=1
	ds_read2_b64 v[96:99], v91 offset1:1
	s_waitcnt lgkmcnt(1)
	v_xor_b32_e32 v101, 0x80000000, v81
	v_xor_b32_e32 v103, 0x80000000, v83
	v_cmp_gt_f64_e32 vcc, 0, v[82:83]
	v_cmp_gt_f64_e64 s[0:1], 0, v[80:81]
	v_mov_b32_e32 v100, v80
	v_mov_b32_e32 v102, v82
	v_cndmask_b32_e64 v101, v81, v101, s[0:1]
	v_cndmask_b32_e32 v103, v83, v103, vcc
	v_add_f64 v[100:101], v[100:101], v[102:103]
	s_waitcnt lgkmcnt(0)
	v_xor_b32_e32 v103, 0x80000000, v97
	v_xor_b32_e32 v105, 0x80000000, v99
	v_cmp_gt_f64_e32 vcc, 0, v[98:99]
	v_cmp_gt_f64_e64 s[0:1], 0, v[96:97]
	v_mov_b32_e32 v102, v96
	v_mov_b32_e32 v104, v98
	v_cndmask_b32_e64 v103, v97, v103, s[0:1]
	v_cndmask_b32_e32 v105, v99, v105, vcc
	v_add_f64 v[102:103], v[102:103], v[104:105]
	v_mov_b32_e32 v106, s16
	s_add_i32 s16, s16, 1
	v_cmp_lt_f64_e32 vcc, v[100:101], v[102:103]
	v_add_u32_e32 v91, 16, v91
	s_cmp_lg_u32 s20, s16
	v_cndmask_b32_e32 v81, v81, v97, vcc
	v_cndmask_b32_e32 v80, v80, v96, vcc
	;; [unrolled: 1-line block ×5, first 2 shown]
	s_cbranch_scc1 .LBB38_106
.LBB38_107:
	s_waitcnt lgkmcnt(0)
	v_cmp_eq_f64_e32 vcc, 0, v[80:81]
	v_cmp_eq_f64_e64 s[0:1], 0, v[82:83]
	s_and_b64 s[0:1], vcc, s[0:1]
	s_and_saveexec_b64 s[16:17], s[0:1]
	s_xor_b64 s[0:1], exec, s[16:17]
; %bb.108:
	v_cmp_ne_u32_e32 vcc, 0, v95
	s_nop 1
	v_cndmask_b32_e32 v95, 6, v95, vcc
; %bb.109:
	s_andn2_saveexec_b64 s[0:1], s[0:1]
	s_cbranch_execz .LBB38_115
; %bb.110:
	v_cmp_ngt_f64_e64 s[16:17], |v[80:81]|, |v[82:83]|
	s_and_saveexec_b64 s[18:19], s[16:17]
	s_xor_b64 s[16:17], exec, s[18:19]
	s_cbranch_execz .LBB38_112
; %bb.111:
	v_div_scale_f64 v[96:97], s[18:19], v[82:83], v[82:83], v[80:81]
	v_rcp_f64_e32 v[98:99], v[96:97]
	v_div_scale_f64 v[100:101], vcc, v[80:81], v[82:83], v[80:81]
	v_fma_f64 v[102:103], -v[96:97], v[98:99], 1.0
	v_fmac_f64_e32 v[98:99], v[98:99], v[102:103]
	v_fma_f64 v[102:103], -v[96:97], v[98:99], 1.0
	v_fmac_f64_e32 v[98:99], v[98:99], v[102:103]
	v_mul_f64 v[102:103], v[100:101], v[98:99]
	v_fma_f64 v[96:97], -v[96:97], v[102:103], v[100:101]
	v_div_fmas_f64 v[96:97], v[96:97], v[98:99], v[102:103]
	v_div_fixup_f64 v[96:97], v[96:97], v[82:83], v[80:81]
	v_fmac_f64_e32 v[82:83], v[80:81], v[96:97]
	v_div_scale_f64 v[80:81], s[18:19], v[82:83], v[82:83], 1.0
	v_rcp_f64_e32 v[98:99], v[80:81]
	s_nop 0
	v_fma_f64 v[100:101], -v[80:81], v[98:99], 1.0
	v_fmac_f64_e32 v[98:99], v[98:99], v[100:101]
	v_fma_f64 v[100:101], -v[80:81], v[98:99], 1.0
	v_fmac_f64_e32 v[98:99], v[98:99], v[100:101]
	v_div_scale_f64 v[100:101], vcc, 1.0, v[82:83], 1.0
	v_mul_f64 v[102:103], v[100:101], v[98:99]
	v_fma_f64 v[80:81], -v[80:81], v[102:103], v[100:101]
	s_nop 1
	v_div_fmas_f64 v[80:81], v[80:81], v[98:99], v[102:103]
	v_div_fixup_f64 v[82:83], v[80:81], v[82:83], 1.0
	v_mul_f64 v[80:81], v[96:97], v[82:83]
	v_xor_b32_e32 v83, 0x80000000, v83
.LBB38_112:
	s_andn2_saveexec_b64 s[16:17], s[16:17]
	s_cbranch_execz .LBB38_114
; %bb.113:
	v_div_scale_f64 v[96:97], s[18:19], v[80:81], v[80:81], v[82:83]
	v_rcp_f64_e32 v[98:99], v[96:97]
	v_div_scale_f64 v[100:101], vcc, v[82:83], v[80:81], v[82:83]
	v_fma_f64 v[102:103], -v[96:97], v[98:99], 1.0
	v_fmac_f64_e32 v[98:99], v[98:99], v[102:103]
	v_fma_f64 v[102:103], -v[96:97], v[98:99], 1.0
	v_fmac_f64_e32 v[98:99], v[98:99], v[102:103]
	v_mul_f64 v[102:103], v[100:101], v[98:99]
	v_fma_f64 v[96:97], -v[96:97], v[102:103], v[100:101]
	v_div_fmas_f64 v[96:97], v[96:97], v[98:99], v[102:103]
	v_div_fixup_f64 v[96:97], v[96:97], v[80:81], v[82:83]
	v_fmac_f64_e32 v[80:81], v[82:83], v[96:97]
	v_div_scale_f64 v[82:83], s[18:19], v[80:81], v[80:81], 1.0
	v_rcp_f64_e32 v[98:99], v[82:83]
	s_nop 0
	v_fma_f64 v[100:101], -v[82:83], v[98:99], 1.0
	v_fmac_f64_e32 v[98:99], v[98:99], v[100:101]
	v_fma_f64 v[100:101], -v[82:83], v[98:99], 1.0
	v_fmac_f64_e32 v[98:99], v[98:99], v[100:101]
	v_div_scale_f64 v[100:101], vcc, 1.0, v[80:81], 1.0
	v_mul_f64 v[102:103], v[100:101], v[98:99]
	v_fma_f64 v[82:83], -v[82:83], v[102:103], v[100:101]
	s_nop 1
	v_div_fmas_f64 v[82:83], v[82:83], v[98:99], v[102:103]
	v_div_fixup_f64 v[80:81], v[82:83], v[80:81], 1.0
	v_mul_f64 v[82:83], v[96:97], -v[80:81]
.LBB38_114:
	s_or_b64 exec, exec, s[16:17]
.LBB38_115:
	s_or_b64 exec, exec, s[0:1]
	v_cmp_ne_u32_e32 vcc, v93, v90
	s_and_saveexec_b64 s[0:1], vcc
	s_xor_b64 s[0:1], exec, s[0:1]
	s_cbranch_execz .LBB38_121
; %bb.116:
	v_cmp_eq_u32_e32 vcc, 5, v93
	s_and_saveexec_b64 s[16:17], vcc
	s_cbranch_execz .LBB38_120
; %bb.117:
	v_cmp_ne_u32_e32 vcc, 5, v90
	s_xor_b64 s[18:19], s[14:15], -1
	s_and_b64 s[22:23], s[18:19], vcc
	s_and_saveexec_b64 s[18:19], s[22:23]
	s_cbranch_execz .LBB38_119
; %bb.118:
	v_ashrrev_i32_e32 v91, 31, v90
	v_lshl_add_u64 v[96:97], v[90:91], 2, v[88:89]
	global_load_dword v91, v[96:97], off
	global_load_dword v93, v[88:89], off offset:20
	s_waitcnt vmcnt(1)
	global_store_dword v[88:89], v91, off offset:20
	s_waitcnt vmcnt(1)
	global_store_dword v[96:97], v93, off
.LBB38_119:
	s_or_b64 exec, exec, s[18:19]
	v_mov_b32_e32 v93, v90
	v_mov_b32_e32 v94, v90
.LBB38_120:
	s_or_b64 exec, exec, s[16:17]
.LBB38_121:
	s_andn2_saveexec_b64 s[0:1], s[0:1]
	s_cbranch_execz .LBB38_123
; %bb.122:
	v_mov_b32_e32 v93, 5
	s_waitcnt vmcnt(13)
	ds_write2_b64 v92, v[56:57], v[58:59] offset0:12 offset1:13
	s_waitcnt vmcnt(12)
	ds_write2_b64 v92, v[52:53], v[54:55] offset0:14 offset1:15
	;; [unrolled: 2-line block ×14, first 2 shown]
.LBB38_123:
	s_or_b64 exec, exec, s[0:1]
	v_cmp_lt_i32_e32 vcc, 5, v93
	s_waitcnt lgkmcnt(0)
	s_barrier
	s_and_saveexec_b64 s[0:1], vcc
	s_cbranch_execz .LBB38_125
; %bb.124:
	ds_read2_b64 v[96:99], v92 offset0:12 offset1:13
	v_mul_f64 v[90:91], v[80:81], v[70:71]
	v_mul_f64 v[70:71], v[82:83], v[70:71]
	v_fmac_f64_e32 v[90:91], v[82:83], v[68:69]
	v_fma_f64 v[68:69], v[80:81], v[68:69], -v[70:71]
	ds_read2_b64 v[80:83], v92 offset0:14 offset1:15
	s_waitcnt lgkmcnt(1)
	v_mul_f64 v[70:71], v[98:99], v[90:91]
	v_fma_f64 v[70:71], v[96:97], v[68:69], -v[70:71]
	v_mul_f64 v[96:97], v[96:97], v[90:91]
	v_fmac_f64_e32 v[96:97], v[98:99], v[68:69]
	s_waitcnt vmcnt(13)
	v_add_f64 v[56:57], v[56:57], -v[70:71]
	s_waitcnt lgkmcnt(0)
	v_mul_f64 v[70:71], v[82:83], v[90:91]
	v_add_f64 v[58:59], v[58:59], -v[96:97]
	v_fma_f64 v[70:71], v[80:81], v[68:69], -v[70:71]
	v_mul_f64 v[80:81], v[80:81], v[90:91]
	ds_read2_b64 v[96:99], v92 offset0:16 offset1:17
	v_fmac_f64_e32 v[80:81], v[82:83], v[68:69]
	s_waitcnt vmcnt(12)
	v_add_f64 v[54:55], v[54:55], -v[80:81]
	ds_read2_b64 v[80:83], v92 offset0:18 offset1:19
	v_add_f64 v[52:53], v[52:53], -v[70:71]
	s_waitcnt lgkmcnt(1)
	v_mul_f64 v[70:71], v[98:99], v[90:91]
	v_fma_f64 v[70:71], v[96:97], v[68:69], -v[70:71]
	v_mul_f64 v[96:97], v[96:97], v[90:91]
	v_fmac_f64_e32 v[96:97], v[98:99], v[68:69]
	s_waitcnt vmcnt(11)
	v_add_f64 v[44:45], v[44:45], -v[70:71]
	s_waitcnt lgkmcnt(0)
	v_mul_f64 v[70:71], v[82:83], v[90:91]
	v_add_f64 v[46:47], v[46:47], -v[96:97]
	v_fma_f64 v[70:71], v[80:81], v[68:69], -v[70:71]
	v_mul_f64 v[80:81], v[80:81], v[90:91]
	ds_read2_b64 v[96:99], v92 offset0:20 offset1:21
	v_fmac_f64_e32 v[80:81], v[82:83], v[68:69]
	s_waitcnt vmcnt(10)
	v_add_f64 v[38:39], v[38:39], -v[80:81]
	ds_read2_b64 v[80:83], v92 offset0:22 offset1:23
	v_add_f64 v[36:37], v[36:37], -v[70:71]
	s_waitcnt lgkmcnt(1)
	v_mul_f64 v[70:71], v[98:99], v[90:91]
	v_fma_f64 v[70:71], v[96:97], v[68:69], -v[70:71]
	v_mul_f64 v[96:97], v[96:97], v[90:91]
	v_fmac_f64_e32 v[96:97], v[98:99], v[68:69]
	s_waitcnt vmcnt(9)
	v_add_f64 v[32:33], v[32:33], -v[70:71]
	s_waitcnt lgkmcnt(0)
	v_mul_f64 v[70:71], v[82:83], v[90:91]
	v_add_f64 v[34:35], v[34:35], -v[96:97]
	v_fma_f64 v[70:71], v[80:81], v[68:69], -v[70:71]
	v_mul_f64 v[80:81], v[80:81], v[90:91]
	ds_read2_b64 v[96:99], v92 offset0:24 offset1:25
	v_fmac_f64_e32 v[80:81], v[82:83], v[68:69]
	s_waitcnt vmcnt(8)
	v_add_f64 v[30:31], v[30:31], -v[80:81]
	ds_read2_b64 v[80:83], v92 offset0:26 offset1:27
	v_add_f64 v[28:29], v[28:29], -v[70:71]
	s_waitcnt lgkmcnt(1)
	v_mul_f64 v[70:71], v[98:99], v[90:91]
	v_fma_f64 v[70:71], v[96:97], v[68:69], -v[70:71]
	v_mul_f64 v[96:97], v[96:97], v[90:91]
	v_fmac_f64_e32 v[96:97], v[98:99], v[68:69]
	s_waitcnt vmcnt(7)
	v_add_f64 v[24:25], v[24:25], -v[70:71]
	s_waitcnt lgkmcnt(0)
	v_mul_f64 v[70:71], v[82:83], v[90:91]
	v_add_f64 v[26:27], v[26:27], -v[96:97]
	v_fma_f64 v[70:71], v[80:81], v[68:69], -v[70:71]
	v_mul_f64 v[80:81], v[80:81], v[90:91]
	ds_read2_b64 v[96:99], v92 offset0:28 offset1:29
	v_fmac_f64_e32 v[80:81], v[82:83], v[68:69]
	s_waitcnt vmcnt(6)
	v_add_f64 v[22:23], v[22:23], -v[80:81]
	ds_read2_b64 v[80:83], v92 offset0:30 offset1:31
	v_add_f64 v[20:21], v[20:21], -v[70:71]
	s_waitcnt lgkmcnt(1)
	v_mul_f64 v[70:71], v[98:99], v[90:91]
	v_fma_f64 v[70:71], v[96:97], v[68:69], -v[70:71]
	v_mul_f64 v[96:97], v[96:97], v[90:91]
	v_fmac_f64_e32 v[96:97], v[98:99], v[68:69]
	s_waitcnt vmcnt(5)
	v_add_f64 v[16:17], v[16:17], -v[70:71]
	s_waitcnt lgkmcnt(0)
	v_mul_f64 v[70:71], v[82:83], v[90:91]
	v_add_f64 v[18:19], v[18:19], -v[96:97]
	v_fma_f64 v[70:71], v[80:81], v[68:69], -v[70:71]
	v_mul_f64 v[80:81], v[80:81], v[90:91]
	ds_read2_b64 v[96:99], v92 offset0:32 offset1:33
	v_fmac_f64_e32 v[80:81], v[82:83], v[68:69]
	s_waitcnt vmcnt(4)
	v_add_f64 v[14:15], v[14:15], -v[80:81]
	ds_read2_b64 v[80:83], v92 offset0:34 offset1:35
	v_add_f64 v[12:13], v[12:13], -v[70:71]
	s_waitcnt lgkmcnt(1)
	v_mul_f64 v[70:71], v[98:99], v[90:91]
	v_fma_f64 v[70:71], v[96:97], v[68:69], -v[70:71]
	v_mul_f64 v[96:97], v[96:97], v[90:91]
	v_fmac_f64_e32 v[96:97], v[98:99], v[68:69]
	s_waitcnt vmcnt(3)
	v_add_f64 v[8:9], v[8:9], -v[70:71]
	s_waitcnt lgkmcnt(0)
	v_mul_f64 v[70:71], v[82:83], v[90:91]
	v_add_f64 v[10:11], v[10:11], -v[96:97]
	v_fma_f64 v[70:71], v[80:81], v[68:69], -v[70:71]
	v_mul_f64 v[80:81], v[80:81], v[90:91]
	ds_read2_b64 v[96:99], v92 offset0:36 offset1:37
	v_fmac_f64_e32 v[80:81], v[82:83], v[68:69]
	s_waitcnt vmcnt(2)
	v_add_f64 v[6:7], v[6:7], -v[80:81]
	ds_read2_b64 v[80:83], v92 offset0:38 offset1:39
	v_add_f64 v[4:5], v[4:5], -v[70:71]
	s_waitcnt lgkmcnt(1)
	v_mul_f64 v[70:71], v[98:99], v[90:91]
	v_fma_f64 v[70:71], v[96:97], v[68:69], -v[70:71]
	s_waitcnt vmcnt(1)
	v_add_f64 v[0:1], v[0:1], -v[70:71]
	s_waitcnt lgkmcnt(0)
	v_mul_f64 v[70:71], v[82:83], v[90:91]
	v_mul_f64 v[96:97], v[96:97], v[90:91]
	v_fma_f64 v[70:71], v[80:81], v[68:69], -v[70:71]
	v_mul_f64 v[80:81], v[80:81], v[90:91]
	v_fmac_f64_e32 v[96:97], v[98:99], v[68:69]
	v_fmac_f64_e32 v[80:81], v[82:83], v[68:69]
	v_add_f64 v[2:3], v[2:3], -v[96:97]
	s_waitcnt vmcnt(0)
	v_add_f64 v[76:77], v[76:77], -v[70:71]
	v_add_f64 v[78:79], v[78:79], -v[80:81]
	v_mov_b64_e32 v[70:71], v[90:91]
.LBB38_125:
	s_or_b64 exec, exec, s[0:1]
	v_lshl_add_u32 v80, v93, 4, v92
	s_barrier
	s_waitcnt vmcnt(13)
	ds_write2_b64 v80, v[56:57], v[58:59] offset1:1
	s_waitcnt lgkmcnt(0)
	s_barrier
	ds_read2_b64 v[80:83], v92 offset0:12 offset1:13
	s_cmp_lt_i32 s20, 8
	v_mov_b32_e32 v90, 6
	s_cbranch_scc1 .LBB38_128
; %bb.126:
	v_add_u32_e32 v91, 0x70, v92
	s_mov_b32 s16, 7
	v_mov_b32_e32 v90, 6
.LBB38_127:                             ; =>This Inner Loop Header: Depth=1
	ds_read2_b64 v[96:99], v91 offset1:1
	s_waitcnt lgkmcnt(1)
	v_xor_b32_e32 v101, 0x80000000, v81
	v_xor_b32_e32 v103, 0x80000000, v83
	v_cmp_gt_f64_e32 vcc, 0, v[82:83]
	v_cmp_gt_f64_e64 s[0:1], 0, v[80:81]
	v_mov_b32_e32 v100, v80
	v_mov_b32_e32 v102, v82
	v_cndmask_b32_e64 v101, v81, v101, s[0:1]
	v_cndmask_b32_e32 v103, v83, v103, vcc
	v_add_f64 v[100:101], v[100:101], v[102:103]
	s_waitcnt lgkmcnt(0)
	v_xor_b32_e32 v103, 0x80000000, v97
	v_xor_b32_e32 v105, 0x80000000, v99
	v_cmp_gt_f64_e32 vcc, 0, v[98:99]
	v_cmp_gt_f64_e64 s[0:1], 0, v[96:97]
	v_mov_b32_e32 v102, v96
	v_mov_b32_e32 v104, v98
	v_cndmask_b32_e64 v103, v97, v103, s[0:1]
	v_cndmask_b32_e32 v105, v99, v105, vcc
	v_add_f64 v[102:103], v[102:103], v[104:105]
	v_mov_b32_e32 v106, s16
	s_add_i32 s16, s16, 1
	v_cmp_lt_f64_e32 vcc, v[100:101], v[102:103]
	v_add_u32_e32 v91, 16, v91
	s_cmp_lg_u32 s20, s16
	v_cndmask_b32_e32 v81, v81, v97, vcc
	v_cndmask_b32_e32 v80, v80, v96, vcc
	;; [unrolled: 1-line block ×5, first 2 shown]
	s_cbranch_scc1 .LBB38_127
.LBB38_128:
	s_waitcnt lgkmcnt(0)
	v_cmp_eq_f64_e32 vcc, 0, v[80:81]
	v_cmp_eq_f64_e64 s[0:1], 0, v[82:83]
	s_and_b64 s[0:1], vcc, s[0:1]
	s_and_saveexec_b64 s[16:17], s[0:1]
	s_xor_b64 s[0:1], exec, s[16:17]
; %bb.129:
	v_cmp_ne_u32_e32 vcc, 0, v95
	s_nop 1
	v_cndmask_b32_e32 v95, 7, v95, vcc
; %bb.130:
	s_andn2_saveexec_b64 s[0:1], s[0:1]
	s_cbranch_execz .LBB38_136
; %bb.131:
	v_cmp_ngt_f64_e64 s[16:17], |v[80:81]|, |v[82:83]|
	s_and_saveexec_b64 s[18:19], s[16:17]
	s_xor_b64 s[16:17], exec, s[18:19]
	s_cbranch_execz .LBB38_133
; %bb.132:
	v_div_scale_f64 v[96:97], s[18:19], v[82:83], v[82:83], v[80:81]
	v_rcp_f64_e32 v[98:99], v[96:97]
	v_div_scale_f64 v[100:101], vcc, v[80:81], v[82:83], v[80:81]
	v_fma_f64 v[102:103], -v[96:97], v[98:99], 1.0
	v_fmac_f64_e32 v[98:99], v[98:99], v[102:103]
	v_fma_f64 v[102:103], -v[96:97], v[98:99], 1.0
	v_fmac_f64_e32 v[98:99], v[98:99], v[102:103]
	v_mul_f64 v[102:103], v[100:101], v[98:99]
	v_fma_f64 v[96:97], -v[96:97], v[102:103], v[100:101]
	v_div_fmas_f64 v[96:97], v[96:97], v[98:99], v[102:103]
	v_div_fixup_f64 v[96:97], v[96:97], v[82:83], v[80:81]
	v_fmac_f64_e32 v[82:83], v[80:81], v[96:97]
	v_div_scale_f64 v[80:81], s[18:19], v[82:83], v[82:83], 1.0
	v_rcp_f64_e32 v[98:99], v[80:81]
	s_nop 0
	v_fma_f64 v[100:101], -v[80:81], v[98:99], 1.0
	v_fmac_f64_e32 v[98:99], v[98:99], v[100:101]
	v_fma_f64 v[100:101], -v[80:81], v[98:99], 1.0
	v_fmac_f64_e32 v[98:99], v[98:99], v[100:101]
	v_div_scale_f64 v[100:101], vcc, 1.0, v[82:83], 1.0
	v_mul_f64 v[102:103], v[100:101], v[98:99]
	v_fma_f64 v[80:81], -v[80:81], v[102:103], v[100:101]
	s_nop 1
	v_div_fmas_f64 v[80:81], v[80:81], v[98:99], v[102:103]
	v_div_fixup_f64 v[82:83], v[80:81], v[82:83], 1.0
	v_mul_f64 v[80:81], v[96:97], v[82:83]
	v_xor_b32_e32 v83, 0x80000000, v83
.LBB38_133:
	s_andn2_saveexec_b64 s[16:17], s[16:17]
	s_cbranch_execz .LBB38_135
; %bb.134:
	v_div_scale_f64 v[96:97], s[18:19], v[80:81], v[80:81], v[82:83]
	v_rcp_f64_e32 v[98:99], v[96:97]
	v_div_scale_f64 v[100:101], vcc, v[82:83], v[80:81], v[82:83]
	v_fma_f64 v[102:103], -v[96:97], v[98:99], 1.0
	v_fmac_f64_e32 v[98:99], v[98:99], v[102:103]
	v_fma_f64 v[102:103], -v[96:97], v[98:99], 1.0
	v_fmac_f64_e32 v[98:99], v[98:99], v[102:103]
	v_mul_f64 v[102:103], v[100:101], v[98:99]
	v_fma_f64 v[96:97], -v[96:97], v[102:103], v[100:101]
	v_div_fmas_f64 v[96:97], v[96:97], v[98:99], v[102:103]
	v_div_fixup_f64 v[96:97], v[96:97], v[80:81], v[82:83]
	v_fmac_f64_e32 v[80:81], v[82:83], v[96:97]
	v_div_scale_f64 v[82:83], s[18:19], v[80:81], v[80:81], 1.0
	v_rcp_f64_e32 v[98:99], v[82:83]
	s_nop 0
	v_fma_f64 v[100:101], -v[82:83], v[98:99], 1.0
	v_fmac_f64_e32 v[98:99], v[98:99], v[100:101]
	v_fma_f64 v[100:101], -v[82:83], v[98:99], 1.0
	v_fmac_f64_e32 v[98:99], v[98:99], v[100:101]
	v_div_scale_f64 v[100:101], vcc, 1.0, v[80:81], 1.0
	v_mul_f64 v[102:103], v[100:101], v[98:99]
	v_fma_f64 v[82:83], -v[82:83], v[102:103], v[100:101]
	s_nop 1
	v_div_fmas_f64 v[82:83], v[82:83], v[98:99], v[102:103]
	v_div_fixup_f64 v[80:81], v[82:83], v[80:81], 1.0
	v_mul_f64 v[82:83], v[96:97], -v[80:81]
.LBB38_135:
	s_or_b64 exec, exec, s[16:17]
.LBB38_136:
	s_or_b64 exec, exec, s[0:1]
	v_cmp_ne_u32_e32 vcc, v93, v90
	s_and_saveexec_b64 s[0:1], vcc
	s_xor_b64 s[0:1], exec, s[0:1]
	s_cbranch_execz .LBB38_142
; %bb.137:
	v_cmp_eq_u32_e32 vcc, 6, v93
	s_and_saveexec_b64 s[16:17], vcc
	s_cbranch_execz .LBB38_141
; %bb.138:
	v_cmp_ne_u32_e32 vcc, 6, v90
	s_xor_b64 s[18:19], s[14:15], -1
	s_and_b64 s[22:23], s[18:19], vcc
	s_and_saveexec_b64 s[18:19], s[22:23]
	s_cbranch_execz .LBB38_140
; %bb.139:
	v_ashrrev_i32_e32 v91, 31, v90
	v_lshl_add_u64 v[96:97], v[90:91], 2, v[88:89]
	global_load_dword v91, v[96:97], off
	global_load_dword v93, v[88:89], off offset:24
	s_waitcnt vmcnt(1)
	global_store_dword v[88:89], v91, off offset:24
	s_waitcnt vmcnt(1)
	global_store_dword v[96:97], v93, off
.LBB38_140:
	s_or_b64 exec, exec, s[18:19]
	v_mov_b32_e32 v93, v90
	v_mov_b32_e32 v94, v90
.LBB38_141:
	s_or_b64 exec, exec, s[16:17]
.LBB38_142:
	s_andn2_saveexec_b64 s[0:1], s[0:1]
	s_cbranch_execz .LBB38_144
; %bb.143:
	v_mov_b32_e32 v93, 6
	s_waitcnt vmcnt(12)
	ds_write2_b64 v92, v[52:53], v[54:55] offset0:14 offset1:15
	s_waitcnt vmcnt(11)
	ds_write2_b64 v92, v[44:45], v[46:47] offset0:16 offset1:17
	;; [unrolled: 2-line block ×13, first 2 shown]
.LBB38_144:
	s_or_b64 exec, exec, s[0:1]
	v_cmp_lt_i32_e32 vcc, 6, v93
	s_waitcnt lgkmcnt(0)
	s_barrier
	s_and_saveexec_b64 s[0:1], vcc
	s_cbranch_execz .LBB38_146
; %bb.145:
	ds_read2_b64 v[96:99], v92 offset0:14 offset1:15
	v_mul_f64 v[90:91], v[80:81], v[58:59]
	v_fmac_f64_e32 v[90:91], v[82:83], v[56:57]
	v_mul_f64 v[58:59], v[82:83], v[58:59]
	v_fma_f64 v[56:57], v[80:81], v[56:57], -v[58:59]
	ds_read2_b64 v[80:83], v92 offset0:16 offset1:17
	s_waitcnt lgkmcnt(1)
	v_mul_f64 v[58:59], v[98:99], v[90:91]
	v_fma_f64 v[58:59], v[96:97], v[56:57], -v[58:59]
	v_mul_f64 v[96:97], v[96:97], v[90:91]
	v_fmac_f64_e32 v[96:97], v[98:99], v[56:57]
	s_waitcnt vmcnt(12)
	v_add_f64 v[54:55], v[54:55], -v[96:97]
	ds_read2_b64 v[96:99], v92 offset0:18 offset1:19
	v_add_f64 v[52:53], v[52:53], -v[58:59]
	s_waitcnt lgkmcnt(1)
	v_mul_f64 v[58:59], v[82:83], v[90:91]
	v_fma_f64 v[58:59], v[80:81], v[56:57], -v[58:59]
	v_mul_f64 v[80:81], v[80:81], v[90:91]
	v_fmac_f64_e32 v[80:81], v[82:83], v[56:57]
	s_waitcnt vmcnt(11)
	v_add_f64 v[44:45], v[44:45], -v[58:59]
	v_add_f64 v[46:47], v[46:47], -v[80:81]
	ds_read2_b64 v[80:83], v92 offset0:20 offset1:21
	s_waitcnt lgkmcnt(1)
	v_mul_f64 v[58:59], v[98:99], v[90:91]
	v_fma_f64 v[58:59], v[96:97], v[56:57], -v[58:59]
	v_mul_f64 v[96:97], v[96:97], v[90:91]
	v_fmac_f64_e32 v[96:97], v[98:99], v[56:57]
	s_waitcnt vmcnt(10)
	v_add_f64 v[38:39], v[38:39], -v[96:97]
	ds_read2_b64 v[96:99], v92 offset0:22 offset1:23
	v_add_f64 v[36:37], v[36:37], -v[58:59]
	s_waitcnt lgkmcnt(1)
	v_mul_f64 v[58:59], v[82:83], v[90:91]
	v_fma_f64 v[58:59], v[80:81], v[56:57], -v[58:59]
	v_mul_f64 v[80:81], v[80:81], v[90:91]
	v_fmac_f64_e32 v[80:81], v[82:83], v[56:57]
	s_waitcnt vmcnt(9)
	v_add_f64 v[32:33], v[32:33], -v[58:59]
	v_add_f64 v[34:35], v[34:35], -v[80:81]
	ds_read2_b64 v[80:83], v92 offset0:24 offset1:25
	s_waitcnt lgkmcnt(1)
	v_mul_f64 v[58:59], v[98:99], v[90:91]
	v_fma_f64 v[58:59], v[96:97], v[56:57], -v[58:59]
	v_mul_f64 v[96:97], v[96:97], v[90:91]
	v_fmac_f64_e32 v[96:97], v[98:99], v[56:57]
	s_waitcnt vmcnt(8)
	v_add_f64 v[30:31], v[30:31], -v[96:97]
	ds_read2_b64 v[96:99], v92 offset0:26 offset1:27
	v_add_f64 v[28:29], v[28:29], -v[58:59]
	s_waitcnt lgkmcnt(1)
	v_mul_f64 v[58:59], v[82:83], v[90:91]
	v_fma_f64 v[58:59], v[80:81], v[56:57], -v[58:59]
	v_mul_f64 v[80:81], v[80:81], v[90:91]
	v_fmac_f64_e32 v[80:81], v[82:83], v[56:57]
	s_waitcnt vmcnt(7)
	v_add_f64 v[24:25], v[24:25], -v[58:59]
	v_add_f64 v[26:27], v[26:27], -v[80:81]
	ds_read2_b64 v[80:83], v92 offset0:28 offset1:29
	s_waitcnt lgkmcnt(1)
	v_mul_f64 v[58:59], v[98:99], v[90:91]
	v_fma_f64 v[58:59], v[96:97], v[56:57], -v[58:59]
	v_mul_f64 v[96:97], v[96:97], v[90:91]
	v_fmac_f64_e32 v[96:97], v[98:99], v[56:57]
	s_waitcnt vmcnt(6)
	v_add_f64 v[22:23], v[22:23], -v[96:97]
	ds_read2_b64 v[96:99], v92 offset0:30 offset1:31
	v_add_f64 v[20:21], v[20:21], -v[58:59]
	s_waitcnt lgkmcnt(1)
	v_mul_f64 v[58:59], v[82:83], v[90:91]
	v_fma_f64 v[58:59], v[80:81], v[56:57], -v[58:59]
	v_mul_f64 v[80:81], v[80:81], v[90:91]
	v_fmac_f64_e32 v[80:81], v[82:83], v[56:57]
	s_waitcnt vmcnt(5)
	v_add_f64 v[16:17], v[16:17], -v[58:59]
	v_add_f64 v[18:19], v[18:19], -v[80:81]
	ds_read2_b64 v[80:83], v92 offset0:32 offset1:33
	s_waitcnt lgkmcnt(1)
	v_mul_f64 v[58:59], v[98:99], v[90:91]
	v_fma_f64 v[58:59], v[96:97], v[56:57], -v[58:59]
	v_mul_f64 v[96:97], v[96:97], v[90:91]
	v_fmac_f64_e32 v[96:97], v[98:99], v[56:57]
	s_waitcnt vmcnt(4)
	v_add_f64 v[14:15], v[14:15], -v[96:97]
	ds_read2_b64 v[96:99], v92 offset0:34 offset1:35
	v_add_f64 v[12:13], v[12:13], -v[58:59]
	s_waitcnt lgkmcnt(1)
	v_mul_f64 v[58:59], v[82:83], v[90:91]
	v_fma_f64 v[58:59], v[80:81], v[56:57], -v[58:59]
	v_mul_f64 v[80:81], v[80:81], v[90:91]
	v_fmac_f64_e32 v[80:81], v[82:83], v[56:57]
	s_waitcnt vmcnt(3)
	v_add_f64 v[8:9], v[8:9], -v[58:59]
	v_add_f64 v[10:11], v[10:11], -v[80:81]
	ds_read2_b64 v[80:83], v92 offset0:36 offset1:37
	s_waitcnt lgkmcnt(1)
	v_mul_f64 v[58:59], v[98:99], v[90:91]
	v_fma_f64 v[58:59], v[96:97], v[56:57], -v[58:59]
	v_mul_f64 v[96:97], v[96:97], v[90:91]
	v_fmac_f64_e32 v[96:97], v[98:99], v[56:57]
	s_waitcnt vmcnt(2)
	v_add_f64 v[6:7], v[6:7], -v[96:97]
	ds_read2_b64 v[96:99], v92 offset0:38 offset1:39
	v_add_f64 v[4:5], v[4:5], -v[58:59]
	s_waitcnt lgkmcnt(1)
	v_mul_f64 v[58:59], v[82:83], v[90:91]
	v_fma_f64 v[58:59], v[80:81], v[56:57], -v[58:59]
	v_mul_f64 v[80:81], v[80:81], v[90:91]
	v_fmac_f64_e32 v[80:81], v[82:83], v[56:57]
	s_waitcnt vmcnt(1)
	v_add_f64 v[0:1], v[0:1], -v[58:59]
	v_add_f64 v[2:3], v[2:3], -v[80:81]
	s_waitcnt lgkmcnt(0)
	v_mul_f64 v[58:59], v[98:99], v[90:91]
	v_mul_f64 v[80:81], v[96:97], v[90:91]
	v_fma_f64 v[58:59], v[96:97], v[56:57], -v[58:59]
	v_fmac_f64_e32 v[80:81], v[98:99], v[56:57]
	s_waitcnt vmcnt(0)
	v_add_f64 v[76:77], v[76:77], -v[58:59]
	v_add_f64 v[78:79], v[78:79], -v[80:81]
	v_mov_b64_e32 v[58:59], v[90:91]
.LBB38_146:
	s_or_b64 exec, exec, s[0:1]
	v_lshl_add_u32 v80, v93, 4, v92
	s_barrier
	s_waitcnt vmcnt(12)
	ds_write2_b64 v80, v[52:53], v[54:55] offset1:1
	s_waitcnt lgkmcnt(0)
	s_barrier
	ds_read2_b64 v[80:83], v92 offset0:14 offset1:15
	s_cmp_lt_i32 s20, 9
	v_mov_b32_e32 v90, 7
	s_cbranch_scc1 .LBB38_149
; %bb.147:
	v_add_u32_e32 v91, 0x80, v92
	s_mov_b32 s16, 8
	v_mov_b32_e32 v90, 7
.LBB38_148:                             ; =>This Inner Loop Header: Depth=1
	ds_read2_b64 v[96:99], v91 offset1:1
	s_waitcnt lgkmcnt(1)
	v_xor_b32_e32 v101, 0x80000000, v81
	v_xor_b32_e32 v103, 0x80000000, v83
	v_cmp_gt_f64_e32 vcc, 0, v[82:83]
	v_cmp_gt_f64_e64 s[0:1], 0, v[80:81]
	v_mov_b32_e32 v100, v80
	v_mov_b32_e32 v102, v82
	v_cndmask_b32_e64 v101, v81, v101, s[0:1]
	v_cndmask_b32_e32 v103, v83, v103, vcc
	v_add_f64 v[100:101], v[100:101], v[102:103]
	s_waitcnt lgkmcnt(0)
	v_xor_b32_e32 v103, 0x80000000, v97
	v_xor_b32_e32 v105, 0x80000000, v99
	v_cmp_gt_f64_e32 vcc, 0, v[98:99]
	v_cmp_gt_f64_e64 s[0:1], 0, v[96:97]
	v_mov_b32_e32 v102, v96
	v_mov_b32_e32 v104, v98
	v_cndmask_b32_e64 v103, v97, v103, s[0:1]
	v_cndmask_b32_e32 v105, v99, v105, vcc
	v_add_f64 v[102:103], v[102:103], v[104:105]
	v_mov_b32_e32 v106, s16
	s_add_i32 s16, s16, 1
	v_cmp_lt_f64_e32 vcc, v[100:101], v[102:103]
	v_add_u32_e32 v91, 16, v91
	s_cmp_lg_u32 s20, s16
	v_cndmask_b32_e32 v81, v81, v97, vcc
	v_cndmask_b32_e32 v80, v80, v96, vcc
	;; [unrolled: 1-line block ×5, first 2 shown]
	s_cbranch_scc1 .LBB38_148
.LBB38_149:
	s_waitcnt lgkmcnt(0)
	v_cmp_eq_f64_e32 vcc, 0, v[80:81]
	v_cmp_eq_f64_e64 s[0:1], 0, v[82:83]
	s_and_b64 s[0:1], vcc, s[0:1]
	s_and_saveexec_b64 s[16:17], s[0:1]
	s_xor_b64 s[0:1], exec, s[16:17]
; %bb.150:
	v_cmp_ne_u32_e32 vcc, 0, v95
	s_nop 1
	v_cndmask_b32_e32 v95, 8, v95, vcc
; %bb.151:
	s_andn2_saveexec_b64 s[0:1], s[0:1]
	s_cbranch_execz .LBB38_157
; %bb.152:
	v_cmp_ngt_f64_e64 s[16:17], |v[80:81]|, |v[82:83]|
	s_and_saveexec_b64 s[18:19], s[16:17]
	s_xor_b64 s[16:17], exec, s[18:19]
	s_cbranch_execz .LBB38_154
; %bb.153:
	v_div_scale_f64 v[96:97], s[18:19], v[82:83], v[82:83], v[80:81]
	v_rcp_f64_e32 v[98:99], v[96:97]
	v_div_scale_f64 v[100:101], vcc, v[80:81], v[82:83], v[80:81]
	v_fma_f64 v[102:103], -v[96:97], v[98:99], 1.0
	v_fmac_f64_e32 v[98:99], v[98:99], v[102:103]
	v_fma_f64 v[102:103], -v[96:97], v[98:99], 1.0
	v_fmac_f64_e32 v[98:99], v[98:99], v[102:103]
	v_mul_f64 v[102:103], v[100:101], v[98:99]
	v_fma_f64 v[96:97], -v[96:97], v[102:103], v[100:101]
	v_div_fmas_f64 v[96:97], v[96:97], v[98:99], v[102:103]
	v_div_fixup_f64 v[96:97], v[96:97], v[82:83], v[80:81]
	v_fmac_f64_e32 v[82:83], v[80:81], v[96:97]
	v_div_scale_f64 v[80:81], s[18:19], v[82:83], v[82:83], 1.0
	v_rcp_f64_e32 v[98:99], v[80:81]
	s_nop 0
	v_fma_f64 v[100:101], -v[80:81], v[98:99], 1.0
	v_fmac_f64_e32 v[98:99], v[98:99], v[100:101]
	v_fma_f64 v[100:101], -v[80:81], v[98:99], 1.0
	v_fmac_f64_e32 v[98:99], v[98:99], v[100:101]
	v_div_scale_f64 v[100:101], vcc, 1.0, v[82:83], 1.0
	v_mul_f64 v[102:103], v[100:101], v[98:99]
	v_fma_f64 v[80:81], -v[80:81], v[102:103], v[100:101]
	s_nop 1
	v_div_fmas_f64 v[80:81], v[80:81], v[98:99], v[102:103]
	v_div_fixup_f64 v[82:83], v[80:81], v[82:83], 1.0
	v_mul_f64 v[80:81], v[96:97], v[82:83]
	v_xor_b32_e32 v83, 0x80000000, v83
.LBB38_154:
	s_andn2_saveexec_b64 s[16:17], s[16:17]
	s_cbranch_execz .LBB38_156
; %bb.155:
	v_div_scale_f64 v[96:97], s[18:19], v[80:81], v[80:81], v[82:83]
	v_rcp_f64_e32 v[98:99], v[96:97]
	v_div_scale_f64 v[100:101], vcc, v[82:83], v[80:81], v[82:83]
	v_fma_f64 v[102:103], -v[96:97], v[98:99], 1.0
	v_fmac_f64_e32 v[98:99], v[98:99], v[102:103]
	v_fma_f64 v[102:103], -v[96:97], v[98:99], 1.0
	v_fmac_f64_e32 v[98:99], v[98:99], v[102:103]
	v_mul_f64 v[102:103], v[100:101], v[98:99]
	v_fma_f64 v[96:97], -v[96:97], v[102:103], v[100:101]
	v_div_fmas_f64 v[96:97], v[96:97], v[98:99], v[102:103]
	v_div_fixup_f64 v[96:97], v[96:97], v[80:81], v[82:83]
	v_fmac_f64_e32 v[80:81], v[82:83], v[96:97]
	v_div_scale_f64 v[82:83], s[18:19], v[80:81], v[80:81], 1.0
	v_rcp_f64_e32 v[98:99], v[82:83]
	s_nop 0
	v_fma_f64 v[100:101], -v[82:83], v[98:99], 1.0
	v_fmac_f64_e32 v[98:99], v[98:99], v[100:101]
	v_fma_f64 v[100:101], -v[82:83], v[98:99], 1.0
	v_fmac_f64_e32 v[98:99], v[98:99], v[100:101]
	v_div_scale_f64 v[100:101], vcc, 1.0, v[80:81], 1.0
	v_mul_f64 v[102:103], v[100:101], v[98:99]
	v_fma_f64 v[82:83], -v[82:83], v[102:103], v[100:101]
	s_nop 1
	v_div_fmas_f64 v[82:83], v[82:83], v[98:99], v[102:103]
	v_div_fixup_f64 v[80:81], v[82:83], v[80:81], 1.0
	v_mul_f64 v[82:83], v[96:97], -v[80:81]
.LBB38_156:
	s_or_b64 exec, exec, s[16:17]
.LBB38_157:
	s_or_b64 exec, exec, s[0:1]
	v_cmp_ne_u32_e32 vcc, v93, v90
	s_and_saveexec_b64 s[0:1], vcc
	s_xor_b64 s[0:1], exec, s[0:1]
	s_cbranch_execz .LBB38_163
; %bb.158:
	v_cmp_eq_u32_e32 vcc, 7, v93
	s_and_saveexec_b64 s[16:17], vcc
	s_cbranch_execz .LBB38_162
; %bb.159:
	v_cmp_ne_u32_e32 vcc, 7, v90
	s_xor_b64 s[18:19], s[14:15], -1
	s_and_b64 s[22:23], s[18:19], vcc
	s_and_saveexec_b64 s[18:19], s[22:23]
	s_cbranch_execz .LBB38_161
; %bb.160:
	v_ashrrev_i32_e32 v91, 31, v90
	v_lshl_add_u64 v[96:97], v[90:91], 2, v[88:89]
	global_load_dword v91, v[96:97], off
	global_load_dword v93, v[88:89], off offset:28
	s_waitcnt vmcnt(1)
	global_store_dword v[88:89], v91, off offset:28
	s_waitcnt vmcnt(1)
	global_store_dword v[96:97], v93, off
.LBB38_161:
	s_or_b64 exec, exec, s[18:19]
	v_mov_b32_e32 v93, v90
	v_mov_b32_e32 v94, v90
.LBB38_162:
	s_or_b64 exec, exec, s[16:17]
.LBB38_163:
	s_andn2_saveexec_b64 s[0:1], s[0:1]
	s_cbranch_execz .LBB38_165
; %bb.164:
	v_mov_b32_e32 v93, 7
	s_waitcnt vmcnt(11)
	ds_write2_b64 v92, v[44:45], v[46:47] offset0:16 offset1:17
	s_waitcnt vmcnt(10)
	ds_write2_b64 v92, v[36:37], v[38:39] offset0:18 offset1:19
	;; [unrolled: 2-line block ×12, first 2 shown]
.LBB38_165:
	s_or_b64 exec, exec, s[0:1]
	v_cmp_lt_i32_e32 vcc, 7, v93
	s_waitcnt lgkmcnt(0)
	s_barrier
	s_and_saveexec_b64 s[0:1], vcc
	s_cbranch_execz .LBB38_167
; %bb.166:
	ds_read2_b64 v[96:99], v92 offset0:16 offset1:17
	v_mul_f64 v[90:91], v[80:81], v[54:55]
	v_mul_f64 v[54:55], v[82:83], v[54:55]
	v_fmac_f64_e32 v[90:91], v[82:83], v[52:53]
	v_fma_f64 v[52:53], v[80:81], v[52:53], -v[54:55]
	ds_read2_b64 v[80:83], v92 offset0:18 offset1:19
	s_waitcnt lgkmcnt(1)
	v_mul_f64 v[54:55], v[98:99], v[90:91]
	v_fma_f64 v[54:55], v[96:97], v[52:53], -v[54:55]
	v_mul_f64 v[96:97], v[96:97], v[90:91]
	v_fmac_f64_e32 v[96:97], v[98:99], v[52:53]
	s_waitcnt vmcnt(11)
	v_add_f64 v[44:45], v[44:45], -v[54:55]
	s_waitcnt lgkmcnt(0)
	v_mul_f64 v[54:55], v[82:83], v[90:91]
	v_add_f64 v[46:47], v[46:47], -v[96:97]
	v_fma_f64 v[54:55], v[80:81], v[52:53], -v[54:55]
	v_mul_f64 v[80:81], v[80:81], v[90:91]
	ds_read2_b64 v[96:99], v92 offset0:20 offset1:21
	v_fmac_f64_e32 v[80:81], v[82:83], v[52:53]
	s_waitcnt vmcnt(10)
	v_add_f64 v[38:39], v[38:39], -v[80:81]
	ds_read2_b64 v[80:83], v92 offset0:22 offset1:23
	v_add_f64 v[36:37], v[36:37], -v[54:55]
	s_waitcnt lgkmcnt(1)
	v_mul_f64 v[54:55], v[98:99], v[90:91]
	v_fma_f64 v[54:55], v[96:97], v[52:53], -v[54:55]
	v_mul_f64 v[96:97], v[96:97], v[90:91]
	v_fmac_f64_e32 v[96:97], v[98:99], v[52:53]
	s_waitcnt vmcnt(9)
	v_add_f64 v[32:33], v[32:33], -v[54:55]
	s_waitcnt lgkmcnt(0)
	v_mul_f64 v[54:55], v[82:83], v[90:91]
	v_add_f64 v[34:35], v[34:35], -v[96:97]
	v_fma_f64 v[54:55], v[80:81], v[52:53], -v[54:55]
	v_mul_f64 v[80:81], v[80:81], v[90:91]
	ds_read2_b64 v[96:99], v92 offset0:24 offset1:25
	v_fmac_f64_e32 v[80:81], v[82:83], v[52:53]
	s_waitcnt vmcnt(8)
	v_add_f64 v[30:31], v[30:31], -v[80:81]
	ds_read2_b64 v[80:83], v92 offset0:26 offset1:27
	v_add_f64 v[28:29], v[28:29], -v[54:55]
	;; [unrolled: 18-line block ×5, first 2 shown]
	s_waitcnt lgkmcnt(1)
	v_mul_f64 v[54:55], v[98:99], v[90:91]
	v_fma_f64 v[54:55], v[96:97], v[52:53], -v[54:55]
	s_waitcnt vmcnt(1)
	v_add_f64 v[0:1], v[0:1], -v[54:55]
	s_waitcnt lgkmcnt(0)
	v_mul_f64 v[54:55], v[82:83], v[90:91]
	v_mul_f64 v[96:97], v[96:97], v[90:91]
	v_fma_f64 v[54:55], v[80:81], v[52:53], -v[54:55]
	v_mul_f64 v[80:81], v[80:81], v[90:91]
	v_fmac_f64_e32 v[96:97], v[98:99], v[52:53]
	v_fmac_f64_e32 v[80:81], v[82:83], v[52:53]
	v_add_f64 v[2:3], v[2:3], -v[96:97]
	s_waitcnt vmcnt(0)
	v_add_f64 v[76:77], v[76:77], -v[54:55]
	v_add_f64 v[78:79], v[78:79], -v[80:81]
	v_mov_b64_e32 v[54:55], v[90:91]
.LBB38_167:
	s_or_b64 exec, exec, s[0:1]
	v_lshl_add_u32 v80, v93, 4, v92
	s_barrier
	s_waitcnt vmcnt(11)
	ds_write2_b64 v80, v[44:45], v[46:47] offset1:1
	s_waitcnt lgkmcnt(0)
	s_barrier
	ds_read2_b64 v[80:83], v92 offset0:16 offset1:17
	s_cmp_lt_i32 s20, 10
	v_mov_b32_e32 v90, 8
	s_cbranch_scc1 .LBB38_170
; %bb.168:
	v_add_u32_e32 v91, 0x90, v92
	s_mov_b32 s16, 9
	v_mov_b32_e32 v90, 8
.LBB38_169:                             ; =>This Inner Loop Header: Depth=1
	ds_read2_b64 v[96:99], v91 offset1:1
	s_waitcnt lgkmcnt(1)
	v_xor_b32_e32 v101, 0x80000000, v81
	v_xor_b32_e32 v103, 0x80000000, v83
	v_cmp_gt_f64_e32 vcc, 0, v[82:83]
	v_cmp_gt_f64_e64 s[0:1], 0, v[80:81]
	v_mov_b32_e32 v100, v80
	v_mov_b32_e32 v102, v82
	v_cndmask_b32_e64 v101, v81, v101, s[0:1]
	v_cndmask_b32_e32 v103, v83, v103, vcc
	v_add_f64 v[100:101], v[100:101], v[102:103]
	s_waitcnt lgkmcnt(0)
	v_xor_b32_e32 v103, 0x80000000, v97
	v_xor_b32_e32 v105, 0x80000000, v99
	v_cmp_gt_f64_e32 vcc, 0, v[98:99]
	v_cmp_gt_f64_e64 s[0:1], 0, v[96:97]
	v_mov_b32_e32 v102, v96
	v_mov_b32_e32 v104, v98
	v_cndmask_b32_e64 v103, v97, v103, s[0:1]
	v_cndmask_b32_e32 v105, v99, v105, vcc
	v_add_f64 v[102:103], v[102:103], v[104:105]
	v_mov_b32_e32 v106, s16
	s_add_i32 s16, s16, 1
	v_cmp_lt_f64_e32 vcc, v[100:101], v[102:103]
	v_add_u32_e32 v91, 16, v91
	s_cmp_lg_u32 s20, s16
	v_cndmask_b32_e32 v81, v81, v97, vcc
	v_cndmask_b32_e32 v80, v80, v96, vcc
	;; [unrolled: 1-line block ×5, first 2 shown]
	s_cbranch_scc1 .LBB38_169
.LBB38_170:
	s_waitcnt lgkmcnt(0)
	v_cmp_eq_f64_e32 vcc, 0, v[80:81]
	v_cmp_eq_f64_e64 s[0:1], 0, v[82:83]
	s_and_b64 s[0:1], vcc, s[0:1]
	s_and_saveexec_b64 s[16:17], s[0:1]
	s_xor_b64 s[0:1], exec, s[16:17]
; %bb.171:
	v_cmp_ne_u32_e32 vcc, 0, v95
	s_nop 1
	v_cndmask_b32_e32 v95, 9, v95, vcc
; %bb.172:
	s_andn2_saveexec_b64 s[0:1], s[0:1]
	s_cbranch_execz .LBB38_178
; %bb.173:
	v_cmp_ngt_f64_e64 s[16:17], |v[80:81]|, |v[82:83]|
	s_and_saveexec_b64 s[18:19], s[16:17]
	s_xor_b64 s[16:17], exec, s[18:19]
	s_cbranch_execz .LBB38_175
; %bb.174:
	v_div_scale_f64 v[96:97], s[18:19], v[82:83], v[82:83], v[80:81]
	v_rcp_f64_e32 v[98:99], v[96:97]
	v_div_scale_f64 v[100:101], vcc, v[80:81], v[82:83], v[80:81]
	v_fma_f64 v[102:103], -v[96:97], v[98:99], 1.0
	v_fmac_f64_e32 v[98:99], v[98:99], v[102:103]
	v_fma_f64 v[102:103], -v[96:97], v[98:99], 1.0
	v_fmac_f64_e32 v[98:99], v[98:99], v[102:103]
	v_mul_f64 v[102:103], v[100:101], v[98:99]
	v_fma_f64 v[96:97], -v[96:97], v[102:103], v[100:101]
	v_div_fmas_f64 v[96:97], v[96:97], v[98:99], v[102:103]
	v_div_fixup_f64 v[96:97], v[96:97], v[82:83], v[80:81]
	v_fmac_f64_e32 v[82:83], v[80:81], v[96:97]
	v_div_scale_f64 v[80:81], s[18:19], v[82:83], v[82:83], 1.0
	v_rcp_f64_e32 v[98:99], v[80:81]
	s_nop 0
	v_fma_f64 v[100:101], -v[80:81], v[98:99], 1.0
	v_fmac_f64_e32 v[98:99], v[98:99], v[100:101]
	v_fma_f64 v[100:101], -v[80:81], v[98:99], 1.0
	v_fmac_f64_e32 v[98:99], v[98:99], v[100:101]
	v_div_scale_f64 v[100:101], vcc, 1.0, v[82:83], 1.0
	v_mul_f64 v[102:103], v[100:101], v[98:99]
	v_fma_f64 v[80:81], -v[80:81], v[102:103], v[100:101]
	s_nop 1
	v_div_fmas_f64 v[80:81], v[80:81], v[98:99], v[102:103]
	v_div_fixup_f64 v[82:83], v[80:81], v[82:83], 1.0
	v_mul_f64 v[80:81], v[96:97], v[82:83]
	v_xor_b32_e32 v83, 0x80000000, v83
.LBB38_175:
	s_andn2_saveexec_b64 s[16:17], s[16:17]
	s_cbranch_execz .LBB38_177
; %bb.176:
	v_div_scale_f64 v[96:97], s[18:19], v[80:81], v[80:81], v[82:83]
	v_rcp_f64_e32 v[98:99], v[96:97]
	v_div_scale_f64 v[100:101], vcc, v[82:83], v[80:81], v[82:83]
	v_fma_f64 v[102:103], -v[96:97], v[98:99], 1.0
	v_fmac_f64_e32 v[98:99], v[98:99], v[102:103]
	v_fma_f64 v[102:103], -v[96:97], v[98:99], 1.0
	v_fmac_f64_e32 v[98:99], v[98:99], v[102:103]
	v_mul_f64 v[102:103], v[100:101], v[98:99]
	v_fma_f64 v[96:97], -v[96:97], v[102:103], v[100:101]
	v_div_fmas_f64 v[96:97], v[96:97], v[98:99], v[102:103]
	v_div_fixup_f64 v[96:97], v[96:97], v[80:81], v[82:83]
	v_fmac_f64_e32 v[80:81], v[82:83], v[96:97]
	v_div_scale_f64 v[82:83], s[18:19], v[80:81], v[80:81], 1.0
	v_rcp_f64_e32 v[98:99], v[82:83]
	s_nop 0
	v_fma_f64 v[100:101], -v[82:83], v[98:99], 1.0
	v_fmac_f64_e32 v[98:99], v[98:99], v[100:101]
	v_fma_f64 v[100:101], -v[82:83], v[98:99], 1.0
	v_fmac_f64_e32 v[98:99], v[98:99], v[100:101]
	v_div_scale_f64 v[100:101], vcc, 1.0, v[80:81], 1.0
	v_mul_f64 v[102:103], v[100:101], v[98:99]
	v_fma_f64 v[82:83], -v[82:83], v[102:103], v[100:101]
	s_nop 1
	v_div_fmas_f64 v[82:83], v[82:83], v[98:99], v[102:103]
	v_div_fixup_f64 v[80:81], v[82:83], v[80:81], 1.0
	v_mul_f64 v[82:83], v[96:97], -v[80:81]
.LBB38_177:
	s_or_b64 exec, exec, s[16:17]
.LBB38_178:
	s_or_b64 exec, exec, s[0:1]
	v_cmp_ne_u32_e32 vcc, v93, v90
	s_and_saveexec_b64 s[0:1], vcc
	s_xor_b64 s[0:1], exec, s[0:1]
	s_cbranch_execz .LBB38_184
; %bb.179:
	v_cmp_eq_u32_e32 vcc, 8, v93
	s_and_saveexec_b64 s[16:17], vcc
	s_cbranch_execz .LBB38_183
; %bb.180:
	v_cmp_ne_u32_e32 vcc, 8, v90
	s_xor_b64 s[18:19], s[14:15], -1
	s_and_b64 s[22:23], s[18:19], vcc
	s_and_saveexec_b64 s[18:19], s[22:23]
	s_cbranch_execz .LBB38_182
; %bb.181:
	v_ashrrev_i32_e32 v91, 31, v90
	v_lshl_add_u64 v[96:97], v[90:91], 2, v[88:89]
	global_load_dword v91, v[96:97], off
	global_load_dword v93, v[88:89], off offset:32
	s_waitcnt vmcnt(1)
	global_store_dword v[88:89], v91, off offset:32
	s_waitcnt vmcnt(1)
	global_store_dword v[96:97], v93, off
.LBB38_182:
	s_or_b64 exec, exec, s[18:19]
	v_mov_b32_e32 v93, v90
	v_mov_b32_e32 v94, v90
.LBB38_183:
	s_or_b64 exec, exec, s[16:17]
.LBB38_184:
	s_andn2_saveexec_b64 s[0:1], s[0:1]
	s_cbranch_execz .LBB38_186
; %bb.185:
	v_mov_b32_e32 v93, 8
	s_waitcnt vmcnt(10)
	ds_write2_b64 v92, v[36:37], v[38:39] offset0:18 offset1:19
	s_waitcnt vmcnt(9)
	ds_write2_b64 v92, v[32:33], v[34:35] offset0:20 offset1:21
	;; [unrolled: 2-line block ×11, first 2 shown]
.LBB38_186:
	s_or_b64 exec, exec, s[0:1]
	v_cmp_lt_i32_e32 vcc, 8, v93
	s_waitcnt lgkmcnt(0)
	s_barrier
	s_and_saveexec_b64 s[0:1], vcc
	s_cbranch_execz .LBB38_188
; %bb.187:
	ds_read2_b64 v[96:99], v92 offset0:18 offset1:19
	v_mul_f64 v[90:91], v[80:81], v[46:47]
	v_fmac_f64_e32 v[90:91], v[82:83], v[44:45]
	v_mul_f64 v[46:47], v[82:83], v[46:47]
	v_fma_f64 v[44:45], v[80:81], v[44:45], -v[46:47]
	ds_read2_b64 v[80:83], v92 offset0:20 offset1:21
	s_waitcnt lgkmcnt(1)
	v_mul_f64 v[46:47], v[98:99], v[90:91]
	v_fma_f64 v[46:47], v[96:97], v[44:45], -v[46:47]
	v_mul_f64 v[96:97], v[96:97], v[90:91]
	v_fmac_f64_e32 v[96:97], v[98:99], v[44:45]
	s_waitcnt vmcnt(10)
	v_add_f64 v[38:39], v[38:39], -v[96:97]
	ds_read2_b64 v[96:99], v92 offset0:22 offset1:23
	v_add_f64 v[36:37], v[36:37], -v[46:47]
	s_waitcnt lgkmcnt(1)
	v_mul_f64 v[46:47], v[82:83], v[90:91]
	v_fma_f64 v[46:47], v[80:81], v[44:45], -v[46:47]
	v_mul_f64 v[80:81], v[80:81], v[90:91]
	v_fmac_f64_e32 v[80:81], v[82:83], v[44:45]
	s_waitcnt vmcnt(9)
	v_add_f64 v[32:33], v[32:33], -v[46:47]
	v_add_f64 v[34:35], v[34:35], -v[80:81]
	ds_read2_b64 v[80:83], v92 offset0:24 offset1:25
	s_waitcnt lgkmcnt(1)
	v_mul_f64 v[46:47], v[98:99], v[90:91]
	v_fma_f64 v[46:47], v[96:97], v[44:45], -v[46:47]
	v_mul_f64 v[96:97], v[96:97], v[90:91]
	v_fmac_f64_e32 v[96:97], v[98:99], v[44:45]
	s_waitcnt vmcnt(8)
	v_add_f64 v[30:31], v[30:31], -v[96:97]
	ds_read2_b64 v[96:99], v92 offset0:26 offset1:27
	v_add_f64 v[28:29], v[28:29], -v[46:47]
	s_waitcnt lgkmcnt(1)
	v_mul_f64 v[46:47], v[82:83], v[90:91]
	v_fma_f64 v[46:47], v[80:81], v[44:45], -v[46:47]
	v_mul_f64 v[80:81], v[80:81], v[90:91]
	v_fmac_f64_e32 v[80:81], v[82:83], v[44:45]
	s_waitcnt vmcnt(7)
	v_add_f64 v[24:25], v[24:25], -v[46:47]
	v_add_f64 v[26:27], v[26:27], -v[80:81]
	;; [unrolled: 18-line block ×5, first 2 shown]
	s_waitcnt lgkmcnt(0)
	v_mul_f64 v[46:47], v[98:99], v[90:91]
	v_mul_f64 v[80:81], v[96:97], v[90:91]
	v_fma_f64 v[46:47], v[96:97], v[44:45], -v[46:47]
	v_fmac_f64_e32 v[80:81], v[98:99], v[44:45]
	s_waitcnt vmcnt(0)
	v_add_f64 v[76:77], v[76:77], -v[46:47]
	v_add_f64 v[78:79], v[78:79], -v[80:81]
	v_mov_b64_e32 v[46:47], v[90:91]
.LBB38_188:
	s_or_b64 exec, exec, s[0:1]
	v_lshl_add_u32 v80, v93, 4, v92
	s_barrier
	s_waitcnt vmcnt(10)
	ds_write2_b64 v80, v[36:37], v[38:39] offset1:1
	s_waitcnt lgkmcnt(0)
	s_barrier
	ds_read2_b64 v[80:83], v92 offset0:18 offset1:19
	s_cmp_lt_i32 s20, 11
	v_mov_b32_e32 v90, 9
	s_cbranch_scc1 .LBB38_191
; %bb.189:
	v_add_u32_e32 v91, 0xa0, v92
	s_mov_b32 s16, 10
	v_mov_b32_e32 v90, 9
.LBB38_190:                             ; =>This Inner Loop Header: Depth=1
	ds_read2_b64 v[96:99], v91 offset1:1
	s_waitcnt lgkmcnt(1)
	v_xor_b32_e32 v101, 0x80000000, v81
	v_xor_b32_e32 v103, 0x80000000, v83
	v_cmp_gt_f64_e32 vcc, 0, v[82:83]
	v_cmp_gt_f64_e64 s[0:1], 0, v[80:81]
	v_mov_b32_e32 v100, v80
	v_mov_b32_e32 v102, v82
	v_cndmask_b32_e64 v101, v81, v101, s[0:1]
	v_cndmask_b32_e32 v103, v83, v103, vcc
	v_add_f64 v[100:101], v[100:101], v[102:103]
	s_waitcnt lgkmcnt(0)
	v_xor_b32_e32 v103, 0x80000000, v97
	v_xor_b32_e32 v105, 0x80000000, v99
	v_cmp_gt_f64_e32 vcc, 0, v[98:99]
	v_cmp_gt_f64_e64 s[0:1], 0, v[96:97]
	v_mov_b32_e32 v102, v96
	v_mov_b32_e32 v104, v98
	v_cndmask_b32_e64 v103, v97, v103, s[0:1]
	v_cndmask_b32_e32 v105, v99, v105, vcc
	v_add_f64 v[102:103], v[102:103], v[104:105]
	v_mov_b32_e32 v106, s16
	s_add_i32 s16, s16, 1
	v_cmp_lt_f64_e32 vcc, v[100:101], v[102:103]
	v_add_u32_e32 v91, 16, v91
	s_cmp_lg_u32 s20, s16
	v_cndmask_b32_e32 v81, v81, v97, vcc
	v_cndmask_b32_e32 v80, v80, v96, vcc
	;; [unrolled: 1-line block ×5, first 2 shown]
	s_cbranch_scc1 .LBB38_190
.LBB38_191:
	s_waitcnt lgkmcnt(0)
	v_cmp_eq_f64_e32 vcc, 0, v[80:81]
	v_cmp_eq_f64_e64 s[0:1], 0, v[82:83]
	s_and_b64 s[0:1], vcc, s[0:1]
	s_and_saveexec_b64 s[16:17], s[0:1]
	s_xor_b64 s[0:1], exec, s[16:17]
; %bb.192:
	v_cmp_ne_u32_e32 vcc, 0, v95
	s_nop 1
	v_cndmask_b32_e32 v95, 10, v95, vcc
; %bb.193:
	s_andn2_saveexec_b64 s[0:1], s[0:1]
	s_cbranch_execz .LBB38_199
; %bb.194:
	v_cmp_ngt_f64_e64 s[16:17], |v[80:81]|, |v[82:83]|
	s_and_saveexec_b64 s[18:19], s[16:17]
	s_xor_b64 s[16:17], exec, s[18:19]
	s_cbranch_execz .LBB38_196
; %bb.195:
	v_div_scale_f64 v[96:97], s[18:19], v[82:83], v[82:83], v[80:81]
	v_rcp_f64_e32 v[98:99], v[96:97]
	v_div_scale_f64 v[100:101], vcc, v[80:81], v[82:83], v[80:81]
	v_fma_f64 v[102:103], -v[96:97], v[98:99], 1.0
	v_fmac_f64_e32 v[98:99], v[98:99], v[102:103]
	v_fma_f64 v[102:103], -v[96:97], v[98:99], 1.0
	v_fmac_f64_e32 v[98:99], v[98:99], v[102:103]
	v_mul_f64 v[102:103], v[100:101], v[98:99]
	v_fma_f64 v[96:97], -v[96:97], v[102:103], v[100:101]
	v_div_fmas_f64 v[96:97], v[96:97], v[98:99], v[102:103]
	v_div_fixup_f64 v[96:97], v[96:97], v[82:83], v[80:81]
	v_fmac_f64_e32 v[82:83], v[80:81], v[96:97]
	v_div_scale_f64 v[80:81], s[18:19], v[82:83], v[82:83], 1.0
	v_rcp_f64_e32 v[98:99], v[80:81]
	s_nop 0
	v_fma_f64 v[100:101], -v[80:81], v[98:99], 1.0
	v_fmac_f64_e32 v[98:99], v[98:99], v[100:101]
	v_fma_f64 v[100:101], -v[80:81], v[98:99], 1.0
	v_fmac_f64_e32 v[98:99], v[98:99], v[100:101]
	v_div_scale_f64 v[100:101], vcc, 1.0, v[82:83], 1.0
	v_mul_f64 v[102:103], v[100:101], v[98:99]
	v_fma_f64 v[80:81], -v[80:81], v[102:103], v[100:101]
	s_nop 1
	v_div_fmas_f64 v[80:81], v[80:81], v[98:99], v[102:103]
	v_div_fixup_f64 v[82:83], v[80:81], v[82:83], 1.0
	v_mul_f64 v[80:81], v[96:97], v[82:83]
	v_xor_b32_e32 v83, 0x80000000, v83
.LBB38_196:
	s_andn2_saveexec_b64 s[16:17], s[16:17]
	s_cbranch_execz .LBB38_198
; %bb.197:
	v_div_scale_f64 v[96:97], s[18:19], v[80:81], v[80:81], v[82:83]
	v_rcp_f64_e32 v[98:99], v[96:97]
	v_div_scale_f64 v[100:101], vcc, v[82:83], v[80:81], v[82:83]
	v_fma_f64 v[102:103], -v[96:97], v[98:99], 1.0
	v_fmac_f64_e32 v[98:99], v[98:99], v[102:103]
	v_fma_f64 v[102:103], -v[96:97], v[98:99], 1.0
	v_fmac_f64_e32 v[98:99], v[98:99], v[102:103]
	v_mul_f64 v[102:103], v[100:101], v[98:99]
	v_fma_f64 v[96:97], -v[96:97], v[102:103], v[100:101]
	v_div_fmas_f64 v[96:97], v[96:97], v[98:99], v[102:103]
	v_div_fixup_f64 v[96:97], v[96:97], v[80:81], v[82:83]
	v_fmac_f64_e32 v[80:81], v[82:83], v[96:97]
	v_div_scale_f64 v[82:83], s[18:19], v[80:81], v[80:81], 1.0
	v_rcp_f64_e32 v[98:99], v[82:83]
	s_nop 0
	v_fma_f64 v[100:101], -v[82:83], v[98:99], 1.0
	v_fmac_f64_e32 v[98:99], v[98:99], v[100:101]
	v_fma_f64 v[100:101], -v[82:83], v[98:99], 1.0
	v_fmac_f64_e32 v[98:99], v[98:99], v[100:101]
	v_div_scale_f64 v[100:101], vcc, 1.0, v[80:81], 1.0
	v_mul_f64 v[102:103], v[100:101], v[98:99]
	v_fma_f64 v[82:83], -v[82:83], v[102:103], v[100:101]
	s_nop 1
	v_div_fmas_f64 v[82:83], v[82:83], v[98:99], v[102:103]
	v_div_fixup_f64 v[80:81], v[82:83], v[80:81], 1.0
	v_mul_f64 v[82:83], v[96:97], -v[80:81]
.LBB38_198:
	s_or_b64 exec, exec, s[16:17]
.LBB38_199:
	s_or_b64 exec, exec, s[0:1]
	v_cmp_ne_u32_e32 vcc, v93, v90
	s_and_saveexec_b64 s[0:1], vcc
	s_xor_b64 s[0:1], exec, s[0:1]
	s_cbranch_execz .LBB38_205
; %bb.200:
	v_cmp_eq_u32_e32 vcc, 9, v93
	s_and_saveexec_b64 s[16:17], vcc
	s_cbranch_execz .LBB38_204
; %bb.201:
	v_cmp_ne_u32_e32 vcc, 9, v90
	s_xor_b64 s[18:19], s[14:15], -1
	s_and_b64 s[22:23], s[18:19], vcc
	s_and_saveexec_b64 s[18:19], s[22:23]
	s_cbranch_execz .LBB38_203
; %bb.202:
	v_ashrrev_i32_e32 v91, 31, v90
	v_lshl_add_u64 v[96:97], v[90:91], 2, v[88:89]
	global_load_dword v91, v[96:97], off
	global_load_dword v93, v[88:89], off offset:36
	s_waitcnt vmcnt(1)
	global_store_dword v[88:89], v91, off offset:36
	s_waitcnt vmcnt(1)
	global_store_dword v[96:97], v93, off
.LBB38_203:
	s_or_b64 exec, exec, s[18:19]
	v_mov_b32_e32 v93, v90
	v_mov_b32_e32 v94, v90
.LBB38_204:
	s_or_b64 exec, exec, s[16:17]
.LBB38_205:
	s_andn2_saveexec_b64 s[0:1], s[0:1]
	s_cbranch_execz .LBB38_207
; %bb.206:
	v_mov_b32_e32 v93, 9
	s_waitcnt vmcnt(9)
	ds_write2_b64 v92, v[32:33], v[34:35] offset0:20 offset1:21
	s_waitcnt vmcnt(8)
	ds_write2_b64 v92, v[28:29], v[30:31] offset0:22 offset1:23
	;; [unrolled: 2-line block ×10, first 2 shown]
.LBB38_207:
	s_or_b64 exec, exec, s[0:1]
	v_cmp_lt_i32_e32 vcc, 9, v93
	s_waitcnt lgkmcnt(0)
	s_barrier
	s_and_saveexec_b64 s[0:1], vcc
	s_cbranch_execz .LBB38_209
; %bb.208:
	ds_read2_b64 v[96:99], v92 offset0:20 offset1:21
	v_mul_f64 v[90:91], v[80:81], v[38:39]
	v_mul_f64 v[38:39], v[82:83], v[38:39]
	v_fmac_f64_e32 v[90:91], v[82:83], v[36:37]
	v_fma_f64 v[36:37], v[80:81], v[36:37], -v[38:39]
	ds_read2_b64 v[80:83], v92 offset0:22 offset1:23
	s_waitcnt lgkmcnt(1)
	v_mul_f64 v[38:39], v[98:99], v[90:91]
	v_fma_f64 v[38:39], v[96:97], v[36:37], -v[38:39]
	v_mul_f64 v[96:97], v[96:97], v[90:91]
	v_fmac_f64_e32 v[96:97], v[98:99], v[36:37]
	s_waitcnt vmcnt(9)
	v_add_f64 v[32:33], v[32:33], -v[38:39]
	s_waitcnt lgkmcnt(0)
	v_mul_f64 v[38:39], v[82:83], v[90:91]
	v_add_f64 v[34:35], v[34:35], -v[96:97]
	v_fma_f64 v[38:39], v[80:81], v[36:37], -v[38:39]
	v_mul_f64 v[80:81], v[80:81], v[90:91]
	ds_read2_b64 v[96:99], v92 offset0:24 offset1:25
	v_fmac_f64_e32 v[80:81], v[82:83], v[36:37]
	s_waitcnt vmcnt(8)
	v_add_f64 v[30:31], v[30:31], -v[80:81]
	ds_read2_b64 v[80:83], v92 offset0:26 offset1:27
	v_add_f64 v[28:29], v[28:29], -v[38:39]
	s_waitcnt lgkmcnt(1)
	v_mul_f64 v[38:39], v[98:99], v[90:91]
	v_fma_f64 v[38:39], v[96:97], v[36:37], -v[38:39]
	v_mul_f64 v[96:97], v[96:97], v[90:91]
	v_fmac_f64_e32 v[96:97], v[98:99], v[36:37]
	s_waitcnt vmcnt(7)
	v_add_f64 v[24:25], v[24:25], -v[38:39]
	s_waitcnt lgkmcnt(0)
	v_mul_f64 v[38:39], v[82:83], v[90:91]
	v_add_f64 v[26:27], v[26:27], -v[96:97]
	v_fma_f64 v[38:39], v[80:81], v[36:37], -v[38:39]
	v_mul_f64 v[80:81], v[80:81], v[90:91]
	ds_read2_b64 v[96:99], v92 offset0:28 offset1:29
	v_fmac_f64_e32 v[80:81], v[82:83], v[36:37]
	s_waitcnt vmcnt(6)
	v_add_f64 v[22:23], v[22:23], -v[80:81]
	ds_read2_b64 v[80:83], v92 offset0:30 offset1:31
	v_add_f64 v[20:21], v[20:21], -v[38:39]
	;; [unrolled: 18-line block ×4, first 2 shown]
	s_waitcnt lgkmcnt(1)
	v_mul_f64 v[38:39], v[98:99], v[90:91]
	v_fma_f64 v[38:39], v[96:97], v[36:37], -v[38:39]
	s_waitcnt vmcnt(1)
	v_add_f64 v[0:1], v[0:1], -v[38:39]
	s_waitcnt lgkmcnt(0)
	v_mul_f64 v[38:39], v[82:83], v[90:91]
	v_mul_f64 v[96:97], v[96:97], v[90:91]
	v_fma_f64 v[38:39], v[80:81], v[36:37], -v[38:39]
	v_mul_f64 v[80:81], v[80:81], v[90:91]
	v_fmac_f64_e32 v[96:97], v[98:99], v[36:37]
	v_fmac_f64_e32 v[80:81], v[82:83], v[36:37]
	v_add_f64 v[2:3], v[2:3], -v[96:97]
	s_waitcnt vmcnt(0)
	v_add_f64 v[76:77], v[76:77], -v[38:39]
	v_add_f64 v[78:79], v[78:79], -v[80:81]
	v_mov_b64_e32 v[38:39], v[90:91]
.LBB38_209:
	s_or_b64 exec, exec, s[0:1]
	v_lshl_add_u32 v80, v93, 4, v92
	s_barrier
	s_waitcnt vmcnt(9)
	ds_write2_b64 v80, v[32:33], v[34:35] offset1:1
	s_waitcnt lgkmcnt(0)
	s_barrier
	ds_read2_b64 v[80:83], v92 offset0:20 offset1:21
	s_cmp_lt_i32 s20, 12
	v_mov_b32_e32 v90, 10
	s_cbranch_scc1 .LBB38_212
; %bb.210:
	v_add_u32_e32 v91, 0xb0, v92
	s_mov_b32 s16, 11
	v_mov_b32_e32 v90, 10
.LBB38_211:                             ; =>This Inner Loop Header: Depth=1
	ds_read2_b64 v[96:99], v91 offset1:1
	s_waitcnt lgkmcnt(1)
	v_xor_b32_e32 v101, 0x80000000, v81
	v_xor_b32_e32 v103, 0x80000000, v83
	v_cmp_gt_f64_e32 vcc, 0, v[82:83]
	v_cmp_gt_f64_e64 s[0:1], 0, v[80:81]
	v_mov_b32_e32 v100, v80
	v_mov_b32_e32 v102, v82
	v_cndmask_b32_e64 v101, v81, v101, s[0:1]
	v_cndmask_b32_e32 v103, v83, v103, vcc
	v_add_f64 v[100:101], v[100:101], v[102:103]
	s_waitcnt lgkmcnt(0)
	v_xor_b32_e32 v103, 0x80000000, v97
	v_xor_b32_e32 v105, 0x80000000, v99
	v_cmp_gt_f64_e32 vcc, 0, v[98:99]
	v_cmp_gt_f64_e64 s[0:1], 0, v[96:97]
	v_mov_b32_e32 v102, v96
	v_mov_b32_e32 v104, v98
	v_cndmask_b32_e64 v103, v97, v103, s[0:1]
	v_cndmask_b32_e32 v105, v99, v105, vcc
	v_add_f64 v[102:103], v[102:103], v[104:105]
	v_mov_b32_e32 v106, s16
	s_add_i32 s16, s16, 1
	v_cmp_lt_f64_e32 vcc, v[100:101], v[102:103]
	v_add_u32_e32 v91, 16, v91
	s_cmp_lg_u32 s20, s16
	v_cndmask_b32_e32 v81, v81, v97, vcc
	v_cndmask_b32_e32 v80, v80, v96, vcc
	;; [unrolled: 1-line block ×5, first 2 shown]
	s_cbranch_scc1 .LBB38_211
.LBB38_212:
	s_waitcnt lgkmcnt(0)
	v_cmp_eq_f64_e32 vcc, 0, v[80:81]
	v_cmp_eq_f64_e64 s[0:1], 0, v[82:83]
	s_and_b64 s[0:1], vcc, s[0:1]
	s_and_saveexec_b64 s[16:17], s[0:1]
	s_xor_b64 s[0:1], exec, s[16:17]
; %bb.213:
	v_cmp_ne_u32_e32 vcc, 0, v95
	s_nop 1
	v_cndmask_b32_e32 v95, 11, v95, vcc
; %bb.214:
	s_andn2_saveexec_b64 s[0:1], s[0:1]
	s_cbranch_execz .LBB38_220
; %bb.215:
	v_cmp_ngt_f64_e64 s[16:17], |v[80:81]|, |v[82:83]|
	s_and_saveexec_b64 s[18:19], s[16:17]
	s_xor_b64 s[16:17], exec, s[18:19]
	s_cbranch_execz .LBB38_217
; %bb.216:
	v_div_scale_f64 v[96:97], s[18:19], v[82:83], v[82:83], v[80:81]
	v_rcp_f64_e32 v[98:99], v[96:97]
	v_div_scale_f64 v[100:101], vcc, v[80:81], v[82:83], v[80:81]
	v_fma_f64 v[102:103], -v[96:97], v[98:99], 1.0
	v_fmac_f64_e32 v[98:99], v[98:99], v[102:103]
	v_fma_f64 v[102:103], -v[96:97], v[98:99], 1.0
	v_fmac_f64_e32 v[98:99], v[98:99], v[102:103]
	v_mul_f64 v[102:103], v[100:101], v[98:99]
	v_fma_f64 v[96:97], -v[96:97], v[102:103], v[100:101]
	v_div_fmas_f64 v[96:97], v[96:97], v[98:99], v[102:103]
	v_div_fixup_f64 v[96:97], v[96:97], v[82:83], v[80:81]
	v_fmac_f64_e32 v[82:83], v[80:81], v[96:97]
	v_div_scale_f64 v[80:81], s[18:19], v[82:83], v[82:83], 1.0
	v_rcp_f64_e32 v[98:99], v[80:81]
	s_nop 0
	v_fma_f64 v[100:101], -v[80:81], v[98:99], 1.0
	v_fmac_f64_e32 v[98:99], v[98:99], v[100:101]
	v_fma_f64 v[100:101], -v[80:81], v[98:99], 1.0
	v_fmac_f64_e32 v[98:99], v[98:99], v[100:101]
	v_div_scale_f64 v[100:101], vcc, 1.0, v[82:83], 1.0
	v_mul_f64 v[102:103], v[100:101], v[98:99]
	v_fma_f64 v[80:81], -v[80:81], v[102:103], v[100:101]
	s_nop 1
	v_div_fmas_f64 v[80:81], v[80:81], v[98:99], v[102:103]
	v_div_fixup_f64 v[82:83], v[80:81], v[82:83], 1.0
	v_mul_f64 v[80:81], v[96:97], v[82:83]
	v_xor_b32_e32 v83, 0x80000000, v83
.LBB38_217:
	s_andn2_saveexec_b64 s[16:17], s[16:17]
	s_cbranch_execz .LBB38_219
; %bb.218:
	v_div_scale_f64 v[96:97], s[18:19], v[80:81], v[80:81], v[82:83]
	v_rcp_f64_e32 v[98:99], v[96:97]
	v_div_scale_f64 v[100:101], vcc, v[82:83], v[80:81], v[82:83]
	v_fma_f64 v[102:103], -v[96:97], v[98:99], 1.0
	v_fmac_f64_e32 v[98:99], v[98:99], v[102:103]
	v_fma_f64 v[102:103], -v[96:97], v[98:99], 1.0
	v_fmac_f64_e32 v[98:99], v[98:99], v[102:103]
	v_mul_f64 v[102:103], v[100:101], v[98:99]
	v_fma_f64 v[96:97], -v[96:97], v[102:103], v[100:101]
	v_div_fmas_f64 v[96:97], v[96:97], v[98:99], v[102:103]
	v_div_fixup_f64 v[96:97], v[96:97], v[80:81], v[82:83]
	v_fmac_f64_e32 v[80:81], v[82:83], v[96:97]
	v_div_scale_f64 v[82:83], s[18:19], v[80:81], v[80:81], 1.0
	v_rcp_f64_e32 v[98:99], v[82:83]
	s_nop 0
	v_fma_f64 v[100:101], -v[82:83], v[98:99], 1.0
	v_fmac_f64_e32 v[98:99], v[98:99], v[100:101]
	v_fma_f64 v[100:101], -v[82:83], v[98:99], 1.0
	v_fmac_f64_e32 v[98:99], v[98:99], v[100:101]
	v_div_scale_f64 v[100:101], vcc, 1.0, v[80:81], 1.0
	v_mul_f64 v[102:103], v[100:101], v[98:99]
	v_fma_f64 v[82:83], -v[82:83], v[102:103], v[100:101]
	s_nop 1
	v_div_fmas_f64 v[82:83], v[82:83], v[98:99], v[102:103]
	v_div_fixup_f64 v[80:81], v[82:83], v[80:81], 1.0
	v_mul_f64 v[82:83], v[96:97], -v[80:81]
.LBB38_219:
	s_or_b64 exec, exec, s[16:17]
.LBB38_220:
	s_or_b64 exec, exec, s[0:1]
	v_cmp_ne_u32_e32 vcc, v93, v90
	s_and_saveexec_b64 s[0:1], vcc
	s_xor_b64 s[0:1], exec, s[0:1]
	s_cbranch_execz .LBB38_226
; %bb.221:
	v_cmp_eq_u32_e32 vcc, 10, v93
	s_and_saveexec_b64 s[16:17], vcc
	s_cbranch_execz .LBB38_225
; %bb.222:
	v_cmp_ne_u32_e32 vcc, 10, v90
	s_xor_b64 s[18:19], s[14:15], -1
	s_and_b64 s[22:23], s[18:19], vcc
	s_and_saveexec_b64 s[18:19], s[22:23]
	s_cbranch_execz .LBB38_224
; %bb.223:
	v_ashrrev_i32_e32 v91, 31, v90
	v_lshl_add_u64 v[96:97], v[90:91], 2, v[88:89]
	global_load_dword v91, v[96:97], off
	global_load_dword v93, v[88:89], off offset:40
	s_waitcnt vmcnt(1)
	global_store_dword v[88:89], v91, off offset:40
	s_waitcnt vmcnt(1)
	global_store_dword v[96:97], v93, off
.LBB38_224:
	s_or_b64 exec, exec, s[18:19]
	v_mov_b32_e32 v93, v90
	v_mov_b32_e32 v94, v90
.LBB38_225:
	s_or_b64 exec, exec, s[16:17]
.LBB38_226:
	s_andn2_saveexec_b64 s[0:1], s[0:1]
	s_cbranch_execz .LBB38_228
; %bb.227:
	v_mov_b32_e32 v93, 10
	s_waitcnt vmcnt(8)
	ds_write2_b64 v92, v[28:29], v[30:31] offset0:22 offset1:23
	s_waitcnt vmcnt(7)
	ds_write2_b64 v92, v[24:25], v[26:27] offset0:24 offset1:25
	;; [unrolled: 2-line block ×9, first 2 shown]
.LBB38_228:
	s_or_b64 exec, exec, s[0:1]
	v_cmp_lt_i32_e32 vcc, 10, v93
	s_waitcnt lgkmcnt(0)
	s_barrier
	s_and_saveexec_b64 s[0:1], vcc
	s_cbranch_execz .LBB38_230
; %bb.229:
	ds_read2_b64 v[96:99], v92 offset0:22 offset1:23
	v_mul_f64 v[90:91], v[80:81], v[34:35]
	v_fmac_f64_e32 v[90:91], v[82:83], v[32:33]
	v_mul_f64 v[34:35], v[82:83], v[34:35]
	v_fma_f64 v[32:33], v[80:81], v[32:33], -v[34:35]
	ds_read2_b64 v[80:83], v92 offset0:24 offset1:25
	s_waitcnt lgkmcnt(1)
	v_mul_f64 v[34:35], v[98:99], v[90:91]
	v_fma_f64 v[34:35], v[96:97], v[32:33], -v[34:35]
	v_mul_f64 v[96:97], v[96:97], v[90:91]
	v_fmac_f64_e32 v[96:97], v[98:99], v[32:33]
	s_waitcnt vmcnt(8)
	v_add_f64 v[30:31], v[30:31], -v[96:97]
	ds_read2_b64 v[96:99], v92 offset0:26 offset1:27
	v_add_f64 v[28:29], v[28:29], -v[34:35]
	s_waitcnt lgkmcnt(1)
	v_mul_f64 v[34:35], v[82:83], v[90:91]
	v_fma_f64 v[34:35], v[80:81], v[32:33], -v[34:35]
	v_mul_f64 v[80:81], v[80:81], v[90:91]
	v_fmac_f64_e32 v[80:81], v[82:83], v[32:33]
	s_waitcnt vmcnt(7)
	v_add_f64 v[24:25], v[24:25], -v[34:35]
	v_add_f64 v[26:27], v[26:27], -v[80:81]
	ds_read2_b64 v[80:83], v92 offset0:28 offset1:29
	s_waitcnt lgkmcnt(1)
	v_mul_f64 v[34:35], v[98:99], v[90:91]
	v_fma_f64 v[34:35], v[96:97], v[32:33], -v[34:35]
	v_mul_f64 v[96:97], v[96:97], v[90:91]
	v_fmac_f64_e32 v[96:97], v[98:99], v[32:33]
	s_waitcnt vmcnt(6)
	v_add_f64 v[22:23], v[22:23], -v[96:97]
	ds_read2_b64 v[96:99], v92 offset0:30 offset1:31
	v_add_f64 v[20:21], v[20:21], -v[34:35]
	s_waitcnt lgkmcnt(1)
	v_mul_f64 v[34:35], v[82:83], v[90:91]
	v_fma_f64 v[34:35], v[80:81], v[32:33], -v[34:35]
	v_mul_f64 v[80:81], v[80:81], v[90:91]
	v_fmac_f64_e32 v[80:81], v[82:83], v[32:33]
	s_waitcnt vmcnt(5)
	v_add_f64 v[16:17], v[16:17], -v[34:35]
	v_add_f64 v[18:19], v[18:19], -v[80:81]
	;; [unrolled: 18-line block ×4, first 2 shown]
	s_waitcnt lgkmcnt(0)
	v_mul_f64 v[34:35], v[98:99], v[90:91]
	v_mul_f64 v[80:81], v[96:97], v[90:91]
	v_fma_f64 v[34:35], v[96:97], v[32:33], -v[34:35]
	v_fmac_f64_e32 v[80:81], v[98:99], v[32:33]
	s_waitcnt vmcnt(0)
	v_add_f64 v[76:77], v[76:77], -v[34:35]
	v_add_f64 v[78:79], v[78:79], -v[80:81]
	v_mov_b64_e32 v[34:35], v[90:91]
.LBB38_230:
	s_or_b64 exec, exec, s[0:1]
	v_lshl_add_u32 v80, v93, 4, v92
	s_barrier
	s_waitcnt vmcnt(8)
	ds_write2_b64 v80, v[28:29], v[30:31] offset1:1
	s_waitcnt lgkmcnt(0)
	s_barrier
	ds_read2_b64 v[80:83], v92 offset0:22 offset1:23
	s_cmp_lt_i32 s20, 13
	v_mov_b32_e32 v90, 11
	s_cbranch_scc1 .LBB38_233
; %bb.231:
	v_add_u32_e32 v91, 0xc0, v92
	s_mov_b32 s16, 12
	v_mov_b32_e32 v90, 11
.LBB38_232:                             ; =>This Inner Loop Header: Depth=1
	ds_read2_b64 v[96:99], v91 offset1:1
	s_waitcnt lgkmcnt(1)
	v_xor_b32_e32 v101, 0x80000000, v81
	v_xor_b32_e32 v103, 0x80000000, v83
	v_cmp_gt_f64_e32 vcc, 0, v[82:83]
	v_cmp_gt_f64_e64 s[0:1], 0, v[80:81]
	v_mov_b32_e32 v100, v80
	v_mov_b32_e32 v102, v82
	v_cndmask_b32_e64 v101, v81, v101, s[0:1]
	v_cndmask_b32_e32 v103, v83, v103, vcc
	v_add_f64 v[100:101], v[100:101], v[102:103]
	s_waitcnt lgkmcnt(0)
	v_xor_b32_e32 v103, 0x80000000, v97
	v_xor_b32_e32 v105, 0x80000000, v99
	v_cmp_gt_f64_e32 vcc, 0, v[98:99]
	v_cmp_gt_f64_e64 s[0:1], 0, v[96:97]
	v_mov_b32_e32 v102, v96
	v_mov_b32_e32 v104, v98
	v_cndmask_b32_e64 v103, v97, v103, s[0:1]
	v_cndmask_b32_e32 v105, v99, v105, vcc
	v_add_f64 v[102:103], v[102:103], v[104:105]
	v_mov_b32_e32 v106, s16
	s_add_i32 s16, s16, 1
	v_cmp_lt_f64_e32 vcc, v[100:101], v[102:103]
	v_add_u32_e32 v91, 16, v91
	s_cmp_lg_u32 s20, s16
	v_cndmask_b32_e32 v81, v81, v97, vcc
	v_cndmask_b32_e32 v80, v80, v96, vcc
	;; [unrolled: 1-line block ×5, first 2 shown]
	s_cbranch_scc1 .LBB38_232
.LBB38_233:
	s_waitcnt lgkmcnt(0)
	v_cmp_eq_f64_e32 vcc, 0, v[80:81]
	v_cmp_eq_f64_e64 s[0:1], 0, v[82:83]
	s_and_b64 s[0:1], vcc, s[0:1]
	s_and_saveexec_b64 s[16:17], s[0:1]
	s_xor_b64 s[0:1], exec, s[16:17]
; %bb.234:
	v_cmp_ne_u32_e32 vcc, 0, v95
	s_nop 1
	v_cndmask_b32_e32 v95, 12, v95, vcc
; %bb.235:
	s_andn2_saveexec_b64 s[0:1], s[0:1]
	s_cbranch_execz .LBB38_241
; %bb.236:
	v_cmp_ngt_f64_e64 s[16:17], |v[80:81]|, |v[82:83]|
	s_and_saveexec_b64 s[18:19], s[16:17]
	s_xor_b64 s[16:17], exec, s[18:19]
	s_cbranch_execz .LBB38_238
; %bb.237:
	v_div_scale_f64 v[96:97], s[18:19], v[82:83], v[82:83], v[80:81]
	v_rcp_f64_e32 v[98:99], v[96:97]
	v_div_scale_f64 v[100:101], vcc, v[80:81], v[82:83], v[80:81]
	v_fma_f64 v[102:103], -v[96:97], v[98:99], 1.0
	v_fmac_f64_e32 v[98:99], v[98:99], v[102:103]
	v_fma_f64 v[102:103], -v[96:97], v[98:99], 1.0
	v_fmac_f64_e32 v[98:99], v[98:99], v[102:103]
	v_mul_f64 v[102:103], v[100:101], v[98:99]
	v_fma_f64 v[96:97], -v[96:97], v[102:103], v[100:101]
	v_div_fmas_f64 v[96:97], v[96:97], v[98:99], v[102:103]
	v_div_fixup_f64 v[96:97], v[96:97], v[82:83], v[80:81]
	v_fmac_f64_e32 v[82:83], v[80:81], v[96:97]
	v_div_scale_f64 v[80:81], s[18:19], v[82:83], v[82:83], 1.0
	v_rcp_f64_e32 v[98:99], v[80:81]
	s_nop 0
	v_fma_f64 v[100:101], -v[80:81], v[98:99], 1.0
	v_fmac_f64_e32 v[98:99], v[98:99], v[100:101]
	v_fma_f64 v[100:101], -v[80:81], v[98:99], 1.0
	v_fmac_f64_e32 v[98:99], v[98:99], v[100:101]
	v_div_scale_f64 v[100:101], vcc, 1.0, v[82:83], 1.0
	v_mul_f64 v[102:103], v[100:101], v[98:99]
	v_fma_f64 v[80:81], -v[80:81], v[102:103], v[100:101]
	s_nop 1
	v_div_fmas_f64 v[80:81], v[80:81], v[98:99], v[102:103]
	v_div_fixup_f64 v[82:83], v[80:81], v[82:83], 1.0
	v_mul_f64 v[80:81], v[96:97], v[82:83]
	v_xor_b32_e32 v83, 0x80000000, v83
.LBB38_238:
	s_andn2_saveexec_b64 s[16:17], s[16:17]
	s_cbranch_execz .LBB38_240
; %bb.239:
	v_div_scale_f64 v[96:97], s[18:19], v[80:81], v[80:81], v[82:83]
	v_rcp_f64_e32 v[98:99], v[96:97]
	v_div_scale_f64 v[100:101], vcc, v[82:83], v[80:81], v[82:83]
	v_fma_f64 v[102:103], -v[96:97], v[98:99], 1.0
	v_fmac_f64_e32 v[98:99], v[98:99], v[102:103]
	v_fma_f64 v[102:103], -v[96:97], v[98:99], 1.0
	v_fmac_f64_e32 v[98:99], v[98:99], v[102:103]
	v_mul_f64 v[102:103], v[100:101], v[98:99]
	v_fma_f64 v[96:97], -v[96:97], v[102:103], v[100:101]
	v_div_fmas_f64 v[96:97], v[96:97], v[98:99], v[102:103]
	v_div_fixup_f64 v[96:97], v[96:97], v[80:81], v[82:83]
	v_fmac_f64_e32 v[80:81], v[82:83], v[96:97]
	v_div_scale_f64 v[82:83], s[18:19], v[80:81], v[80:81], 1.0
	v_rcp_f64_e32 v[98:99], v[82:83]
	s_nop 0
	v_fma_f64 v[100:101], -v[82:83], v[98:99], 1.0
	v_fmac_f64_e32 v[98:99], v[98:99], v[100:101]
	v_fma_f64 v[100:101], -v[82:83], v[98:99], 1.0
	v_fmac_f64_e32 v[98:99], v[98:99], v[100:101]
	v_div_scale_f64 v[100:101], vcc, 1.0, v[80:81], 1.0
	v_mul_f64 v[102:103], v[100:101], v[98:99]
	v_fma_f64 v[82:83], -v[82:83], v[102:103], v[100:101]
	s_nop 1
	v_div_fmas_f64 v[82:83], v[82:83], v[98:99], v[102:103]
	v_div_fixup_f64 v[80:81], v[82:83], v[80:81], 1.0
	v_mul_f64 v[82:83], v[96:97], -v[80:81]
.LBB38_240:
	s_or_b64 exec, exec, s[16:17]
.LBB38_241:
	s_or_b64 exec, exec, s[0:1]
	v_cmp_ne_u32_e32 vcc, v93, v90
	s_and_saveexec_b64 s[0:1], vcc
	s_xor_b64 s[0:1], exec, s[0:1]
	s_cbranch_execz .LBB38_247
; %bb.242:
	v_cmp_eq_u32_e32 vcc, 11, v93
	s_and_saveexec_b64 s[16:17], vcc
	s_cbranch_execz .LBB38_246
; %bb.243:
	v_cmp_ne_u32_e32 vcc, 11, v90
	s_xor_b64 s[18:19], s[14:15], -1
	s_and_b64 s[22:23], s[18:19], vcc
	s_and_saveexec_b64 s[18:19], s[22:23]
	s_cbranch_execz .LBB38_245
; %bb.244:
	v_ashrrev_i32_e32 v91, 31, v90
	v_lshl_add_u64 v[96:97], v[90:91], 2, v[88:89]
	global_load_dword v91, v[96:97], off
	global_load_dword v93, v[88:89], off offset:44
	s_waitcnt vmcnt(1)
	global_store_dword v[88:89], v91, off offset:44
	s_waitcnt vmcnt(1)
	global_store_dword v[96:97], v93, off
.LBB38_245:
	s_or_b64 exec, exec, s[18:19]
	v_mov_b32_e32 v93, v90
	v_mov_b32_e32 v94, v90
.LBB38_246:
	s_or_b64 exec, exec, s[16:17]
.LBB38_247:
	s_andn2_saveexec_b64 s[0:1], s[0:1]
	s_cbranch_execz .LBB38_249
; %bb.248:
	v_mov_b32_e32 v93, 11
	s_waitcnt vmcnt(7)
	ds_write2_b64 v92, v[24:25], v[26:27] offset0:24 offset1:25
	s_waitcnt vmcnt(6)
	ds_write2_b64 v92, v[20:21], v[22:23] offset0:26 offset1:27
	;; [unrolled: 2-line block ×8, first 2 shown]
.LBB38_249:
	s_or_b64 exec, exec, s[0:1]
	v_cmp_lt_i32_e32 vcc, 11, v93
	s_waitcnt lgkmcnt(0)
	s_barrier
	s_and_saveexec_b64 s[0:1], vcc
	s_cbranch_execz .LBB38_251
; %bb.250:
	ds_read2_b64 v[96:99], v92 offset0:24 offset1:25
	v_mul_f64 v[90:91], v[80:81], v[30:31]
	v_mul_f64 v[30:31], v[82:83], v[30:31]
	v_fmac_f64_e32 v[90:91], v[82:83], v[28:29]
	v_fma_f64 v[28:29], v[80:81], v[28:29], -v[30:31]
	ds_read2_b64 v[80:83], v92 offset0:26 offset1:27
	s_waitcnt lgkmcnt(1)
	v_mul_f64 v[30:31], v[98:99], v[90:91]
	v_fma_f64 v[30:31], v[96:97], v[28:29], -v[30:31]
	v_mul_f64 v[96:97], v[96:97], v[90:91]
	v_fmac_f64_e32 v[96:97], v[98:99], v[28:29]
	s_waitcnt vmcnt(7)
	v_add_f64 v[24:25], v[24:25], -v[30:31]
	s_waitcnt lgkmcnt(0)
	v_mul_f64 v[30:31], v[82:83], v[90:91]
	v_add_f64 v[26:27], v[26:27], -v[96:97]
	v_fma_f64 v[30:31], v[80:81], v[28:29], -v[30:31]
	v_mul_f64 v[80:81], v[80:81], v[90:91]
	ds_read2_b64 v[96:99], v92 offset0:28 offset1:29
	v_fmac_f64_e32 v[80:81], v[82:83], v[28:29]
	s_waitcnt vmcnt(6)
	v_add_f64 v[22:23], v[22:23], -v[80:81]
	ds_read2_b64 v[80:83], v92 offset0:30 offset1:31
	v_add_f64 v[20:21], v[20:21], -v[30:31]
	s_waitcnt lgkmcnt(1)
	v_mul_f64 v[30:31], v[98:99], v[90:91]
	v_fma_f64 v[30:31], v[96:97], v[28:29], -v[30:31]
	v_mul_f64 v[96:97], v[96:97], v[90:91]
	v_fmac_f64_e32 v[96:97], v[98:99], v[28:29]
	s_waitcnt vmcnt(5)
	v_add_f64 v[16:17], v[16:17], -v[30:31]
	s_waitcnt lgkmcnt(0)
	v_mul_f64 v[30:31], v[82:83], v[90:91]
	v_add_f64 v[18:19], v[18:19], -v[96:97]
	v_fma_f64 v[30:31], v[80:81], v[28:29], -v[30:31]
	v_mul_f64 v[80:81], v[80:81], v[90:91]
	ds_read2_b64 v[96:99], v92 offset0:32 offset1:33
	v_fmac_f64_e32 v[80:81], v[82:83], v[28:29]
	s_waitcnt vmcnt(4)
	v_add_f64 v[14:15], v[14:15], -v[80:81]
	ds_read2_b64 v[80:83], v92 offset0:34 offset1:35
	v_add_f64 v[12:13], v[12:13], -v[30:31]
	;; [unrolled: 18-line block ×3, first 2 shown]
	s_waitcnt lgkmcnt(1)
	v_mul_f64 v[30:31], v[98:99], v[90:91]
	v_fma_f64 v[30:31], v[96:97], v[28:29], -v[30:31]
	s_waitcnt vmcnt(1)
	v_add_f64 v[0:1], v[0:1], -v[30:31]
	s_waitcnt lgkmcnt(0)
	v_mul_f64 v[30:31], v[82:83], v[90:91]
	v_mul_f64 v[96:97], v[96:97], v[90:91]
	v_fma_f64 v[30:31], v[80:81], v[28:29], -v[30:31]
	v_mul_f64 v[80:81], v[80:81], v[90:91]
	v_fmac_f64_e32 v[96:97], v[98:99], v[28:29]
	v_fmac_f64_e32 v[80:81], v[82:83], v[28:29]
	v_add_f64 v[2:3], v[2:3], -v[96:97]
	s_waitcnt vmcnt(0)
	v_add_f64 v[76:77], v[76:77], -v[30:31]
	v_add_f64 v[78:79], v[78:79], -v[80:81]
	v_mov_b64_e32 v[30:31], v[90:91]
.LBB38_251:
	s_or_b64 exec, exec, s[0:1]
	v_lshl_add_u32 v80, v93, 4, v92
	s_barrier
	s_waitcnt vmcnt(7)
	ds_write2_b64 v80, v[24:25], v[26:27] offset1:1
	s_waitcnt lgkmcnt(0)
	s_barrier
	ds_read2_b64 v[80:83], v92 offset0:24 offset1:25
	s_cmp_lt_i32 s20, 14
	v_mov_b32_e32 v90, 12
	s_cbranch_scc1 .LBB38_254
; %bb.252:
	v_add_u32_e32 v91, 0xd0, v92
	s_mov_b32 s16, 13
	v_mov_b32_e32 v90, 12
.LBB38_253:                             ; =>This Inner Loop Header: Depth=1
	ds_read2_b64 v[96:99], v91 offset1:1
	s_waitcnt lgkmcnt(1)
	v_xor_b32_e32 v101, 0x80000000, v81
	v_xor_b32_e32 v103, 0x80000000, v83
	v_cmp_gt_f64_e32 vcc, 0, v[82:83]
	v_cmp_gt_f64_e64 s[0:1], 0, v[80:81]
	v_mov_b32_e32 v100, v80
	v_mov_b32_e32 v102, v82
	v_cndmask_b32_e64 v101, v81, v101, s[0:1]
	v_cndmask_b32_e32 v103, v83, v103, vcc
	v_add_f64 v[100:101], v[100:101], v[102:103]
	s_waitcnt lgkmcnt(0)
	v_xor_b32_e32 v103, 0x80000000, v97
	v_xor_b32_e32 v105, 0x80000000, v99
	v_cmp_gt_f64_e32 vcc, 0, v[98:99]
	v_cmp_gt_f64_e64 s[0:1], 0, v[96:97]
	v_mov_b32_e32 v102, v96
	v_mov_b32_e32 v104, v98
	v_cndmask_b32_e64 v103, v97, v103, s[0:1]
	v_cndmask_b32_e32 v105, v99, v105, vcc
	v_add_f64 v[102:103], v[102:103], v[104:105]
	v_mov_b32_e32 v106, s16
	s_add_i32 s16, s16, 1
	v_cmp_lt_f64_e32 vcc, v[100:101], v[102:103]
	v_add_u32_e32 v91, 16, v91
	s_cmp_lg_u32 s20, s16
	v_cndmask_b32_e32 v81, v81, v97, vcc
	v_cndmask_b32_e32 v80, v80, v96, vcc
	;; [unrolled: 1-line block ×5, first 2 shown]
	s_cbranch_scc1 .LBB38_253
.LBB38_254:
	s_waitcnt lgkmcnt(0)
	v_cmp_eq_f64_e32 vcc, 0, v[80:81]
	v_cmp_eq_f64_e64 s[0:1], 0, v[82:83]
	s_and_b64 s[0:1], vcc, s[0:1]
	s_and_saveexec_b64 s[16:17], s[0:1]
	s_xor_b64 s[0:1], exec, s[16:17]
; %bb.255:
	v_cmp_ne_u32_e32 vcc, 0, v95
	s_nop 1
	v_cndmask_b32_e32 v95, 13, v95, vcc
; %bb.256:
	s_andn2_saveexec_b64 s[0:1], s[0:1]
	s_cbranch_execz .LBB38_262
; %bb.257:
	v_cmp_ngt_f64_e64 s[16:17], |v[80:81]|, |v[82:83]|
	s_and_saveexec_b64 s[18:19], s[16:17]
	s_xor_b64 s[16:17], exec, s[18:19]
	s_cbranch_execz .LBB38_259
; %bb.258:
	v_div_scale_f64 v[96:97], s[18:19], v[82:83], v[82:83], v[80:81]
	v_rcp_f64_e32 v[98:99], v[96:97]
	v_div_scale_f64 v[100:101], vcc, v[80:81], v[82:83], v[80:81]
	v_fma_f64 v[102:103], -v[96:97], v[98:99], 1.0
	v_fmac_f64_e32 v[98:99], v[98:99], v[102:103]
	v_fma_f64 v[102:103], -v[96:97], v[98:99], 1.0
	v_fmac_f64_e32 v[98:99], v[98:99], v[102:103]
	v_mul_f64 v[102:103], v[100:101], v[98:99]
	v_fma_f64 v[96:97], -v[96:97], v[102:103], v[100:101]
	v_div_fmas_f64 v[96:97], v[96:97], v[98:99], v[102:103]
	v_div_fixup_f64 v[96:97], v[96:97], v[82:83], v[80:81]
	v_fmac_f64_e32 v[82:83], v[80:81], v[96:97]
	v_div_scale_f64 v[80:81], s[18:19], v[82:83], v[82:83], 1.0
	v_rcp_f64_e32 v[98:99], v[80:81]
	s_nop 0
	v_fma_f64 v[100:101], -v[80:81], v[98:99], 1.0
	v_fmac_f64_e32 v[98:99], v[98:99], v[100:101]
	v_fma_f64 v[100:101], -v[80:81], v[98:99], 1.0
	v_fmac_f64_e32 v[98:99], v[98:99], v[100:101]
	v_div_scale_f64 v[100:101], vcc, 1.0, v[82:83], 1.0
	v_mul_f64 v[102:103], v[100:101], v[98:99]
	v_fma_f64 v[80:81], -v[80:81], v[102:103], v[100:101]
	s_nop 1
	v_div_fmas_f64 v[80:81], v[80:81], v[98:99], v[102:103]
	v_div_fixup_f64 v[82:83], v[80:81], v[82:83], 1.0
	v_mul_f64 v[80:81], v[96:97], v[82:83]
	v_xor_b32_e32 v83, 0x80000000, v83
.LBB38_259:
	s_andn2_saveexec_b64 s[16:17], s[16:17]
	s_cbranch_execz .LBB38_261
; %bb.260:
	v_div_scale_f64 v[96:97], s[18:19], v[80:81], v[80:81], v[82:83]
	v_rcp_f64_e32 v[98:99], v[96:97]
	v_div_scale_f64 v[100:101], vcc, v[82:83], v[80:81], v[82:83]
	v_fma_f64 v[102:103], -v[96:97], v[98:99], 1.0
	v_fmac_f64_e32 v[98:99], v[98:99], v[102:103]
	v_fma_f64 v[102:103], -v[96:97], v[98:99], 1.0
	v_fmac_f64_e32 v[98:99], v[98:99], v[102:103]
	v_mul_f64 v[102:103], v[100:101], v[98:99]
	v_fma_f64 v[96:97], -v[96:97], v[102:103], v[100:101]
	v_div_fmas_f64 v[96:97], v[96:97], v[98:99], v[102:103]
	v_div_fixup_f64 v[96:97], v[96:97], v[80:81], v[82:83]
	v_fmac_f64_e32 v[80:81], v[82:83], v[96:97]
	v_div_scale_f64 v[82:83], s[18:19], v[80:81], v[80:81], 1.0
	v_rcp_f64_e32 v[98:99], v[82:83]
	s_nop 0
	v_fma_f64 v[100:101], -v[82:83], v[98:99], 1.0
	v_fmac_f64_e32 v[98:99], v[98:99], v[100:101]
	v_fma_f64 v[100:101], -v[82:83], v[98:99], 1.0
	v_fmac_f64_e32 v[98:99], v[98:99], v[100:101]
	v_div_scale_f64 v[100:101], vcc, 1.0, v[80:81], 1.0
	v_mul_f64 v[102:103], v[100:101], v[98:99]
	v_fma_f64 v[82:83], -v[82:83], v[102:103], v[100:101]
	s_nop 1
	v_div_fmas_f64 v[82:83], v[82:83], v[98:99], v[102:103]
	v_div_fixup_f64 v[80:81], v[82:83], v[80:81], 1.0
	v_mul_f64 v[82:83], v[96:97], -v[80:81]
.LBB38_261:
	s_or_b64 exec, exec, s[16:17]
.LBB38_262:
	s_or_b64 exec, exec, s[0:1]
	v_cmp_ne_u32_e32 vcc, v93, v90
	s_and_saveexec_b64 s[0:1], vcc
	s_xor_b64 s[0:1], exec, s[0:1]
	s_cbranch_execz .LBB38_268
; %bb.263:
	v_cmp_eq_u32_e32 vcc, 12, v93
	s_and_saveexec_b64 s[16:17], vcc
	s_cbranch_execz .LBB38_267
; %bb.264:
	v_cmp_ne_u32_e32 vcc, 12, v90
	s_xor_b64 s[18:19], s[14:15], -1
	s_and_b64 s[22:23], s[18:19], vcc
	s_and_saveexec_b64 s[18:19], s[22:23]
	s_cbranch_execz .LBB38_266
; %bb.265:
	v_ashrrev_i32_e32 v91, 31, v90
	v_lshl_add_u64 v[96:97], v[90:91], 2, v[88:89]
	global_load_dword v91, v[96:97], off
	global_load_dword v93, v[88:89], off offset:48
	s_waitcnt vmcnt(1)
	global_store_dword v[88:89], v91, off offset:48
	s_waitcnt vmcnt(1)
	global_store_dword v[96:97], v93, off
.LBB38_266:
	s_or_b64 exec, exec, s[18:19]
	v_mov_b32_e32 v93, v90
	v_mov_b32_e32 v94, v90
.LBB38_267:
	s_or_b64 exec, exec, s[16:17]
.LBB38_268:
	s_andn2_saveexec_b64 s[0:1], s[0:1]
	s_cbranch_execz .LBB38_270
; %bb.269:
	v_mov_b32_e32 v93, 12
	s_waitcnt vmcnt(6)
	ds_write2_b64 v92, v[20:21], v[22:23] offset0:26 offset1:27
	s_waitcnt vmcnt(5)
	ds_write2_b64 v92, v[16:17], v[18:19] offset0:28 offset1:29
	s_waitcnt vmcnt(4)
	ds_write2_b64 v92, v[12:13], v[14:15] offset0:30 offset1:31
	s_waitcnt vmcnt(3)
	ds_write2_b64 v92, v[8:9], v[10:11] offset0:32 offset1:33
	s_waitcnt vmcnt(2)
	ds_write2_b64 v92, v[4:5], v[6:7] offset0:34 offset1:35
	s_waitcnt vmcnt(1)
	ds_write2_b64 v92, v[0:1], v[2:3] offset0:36 offset1:37
	s_waitcnt vmcnt(0)
	ds_write2_b64 v92, v[76:77], v[78:79] offset0:38 offset1:39
.LBB38_270:
	s_or_b64 exec, exec, s[0:1]
	v_cmp_lt_i32_e32 vcc, 12, v93
	s_waitcnt lgkmcnt(0)
	s_barrier
	s_and_saveexec_b64 s[0:1], vcc
	s_cbranch_execz .LBB38_272
; %bb.271:
	ds_read2_b64 v[96:99], v92 offset0:26 offset1:27
	v_mul_f64 v[90:91], v[80:81], v[26:27]
	v_fmac_f64_e32 v[90:91], v[82:83], v[24:25]
	v_mul_f64 v[26:27], v[82:83], v[26:27]
	v_fma_f64 v[24:25], v[80:81], v[24:25], -v[26:27]
	ds_read2_b64 v[80:83], v92 offset0:28 offset1:29
	s_waitcnt lgkmcnt(1)
	v_mul_f64 v[26:27], v[98:99], v[90:91]
	v_fma_f64 v[26:27], v[96:97], v[24:25], -v[26:27]
	v_mul_f64 v[96:97], v[96:97], v[90:91]
	v_fmac_f64_e32 v[96:97], v[98:99], v[24:25]
	s_waitcnt vmcnt(6)
	v_add_f64 v[22:23], v[22:23], -v[96:97]
	ds_read2_b64 v[96:99], v92 offset0:30 offset1:31
	v_add_f64 v[20:21], v[20:21], -v[26:27]
	s_waitcnt lgkmcnt(1)
	v_mul_f64 v[26:27], v[82:83], v[90:91]
	v_fma_f64 v[26:27], v[80:81], v[24:25], -v[26:27]
	v_mul_f64 v[80:81], v[80:81], v[90:91]
	v_fmac_f64_e32 v[80:81], v[82:83], v[24:25]
	s_waitcnt vmcnt(5)
	v_add_f64 v[16:17], v[16:17], -v[26:27]
	v_add_f64 v[18:19], v[18:19], -v[80:81]
	ds_read2_b64 v[80:83], v92 offset0:32 offset1:33
	s_waitcnt lgkmcnt(1)
	v_mul_f64 v[26:27], v[98:99], v[90:91]
	v_fma_f64 v[26:27], v[96:97], v[24:25], -v[26:27]
	v_mul_f64 v[96:97], v[96:97], v[90:91]
	v_fmac_f64_e32 v[96:97], v[98:99], v[24:25]
	s_waitcnt vmcnt(4)
	v_add_f64 v[14:15], v[14:15], -v[96:97]
	ds_read2_b64 v[96:99], v92 offset0:34 offset1:35
	v_add_f64 v[12:13], v[12:13], -v[26:27]
	s_waitcnt lgkmcnt(1)
	v_mul_f64 v[26:27], v[82:83], v[90:91]
	v_fma_f64 v[26:27], v[80:81], v[24:25], -v[26:27]
	v_mul_f64 v[80:81], v[80:81], v[90:91]
	v_fmac_f64_e32 v[80:81], v[82:83], v[24:25]
	s_waitcnt vmcnt(3)
	v_add_f64 v[8:9], v[8:9], -v[26:27]
	v_add_f64 v[10:11], v[10:11], -v[80:81]
	;; [unrolled: 18-line block ×3, first 2 shown]
	s_waitcnt lgkmcnt(0)
	v_mul_f64 v[26:27], v[98:99], v[90:91]
	v_mul_f64 v[80:81], v[96:97], v[90:91]
	v_fma_f64 v[26:27], v[96:97], v[24:25], -v[26:27]
	v_fmac_f64_e32 v[80:81], v[98:99], v[24:25]
	s_waitcnt vmcnt(0)
	v_add_f64 v[76:77], v[76:77], -v[26:27]
	v_add_f64 v[78:79], v[78:79], -v[80:81]
	v_mov_b64_e32 v[26:27], v[90:91]
.LBB38_272:
	s_or_b64 exec, exec, s[0:1]
	v_lshl_add_u32 v80, v93, 4, v92
	s_barrier
	s_waitcnt vmcnt(6)
	ds_write2_b64 v80, v[20:21], v[22:23] offset1:1
	s_waitcnt lgkmcnt(0)
	s_barrier
	ds_read2_b64 v[80:83], v92 offset0:26 offset1:27
	s_cmp_lt_i32 s20, 15
	v_mov_b32_e32 v90, 13
	s_cbranch_scc1 .LBB38_275
; %bb.273:
	v_add_u32_e32 v91, 0xe0, v92
	s_mov_b32 s16, 14
	v_mov_b32_e32 v90, 13
.LBB38_274:                             ; =>This Inner Loop Header: Depth=1
	ds_read2_b64 v[96:99], v91 offset1:1
	s_waitcnt lgkmcnt(1)
	v_xor_b32_e32 v101, 0x80000000, v81
	v_xor_b32_e32 v103, 0x80000000, v83
	v_cmp_gt_f64_e32 vcc, 0, v[82:83]
	v_cmp_gt_f64_e64 s[0:1], 0, v[80:81]
	v_mov_b32_e32 v100, v80
	v_mov_b32_e32 v102, v82
	v_cndmask_b32_e64 v101, v81, v101, s[0:1]
	v_cndmask_b32_e32 v103, v83, v103, vcc
	v_add_f64 v[100:101], v[100:101], v[102:103]
	s_waitcnt lgkmcnt(0)
	v_xor_b32_e32 v103, 0x80000000, v97
	v_xor_b32_e32 v105, 0x80000000, v99
	v_cmp_gt_f64_e32 vcc, 0, v[98:99]
	v_cmp_gt_f64_e64 s[0:1], 0, v[96:97]
	v_mov_b32_e32 v102, v96
	v_mov_b32_e32 v104, v98
	v_cndmask_b32_e64 v103, v97, v103, s[0:1]
	v_cndmask_b32_e32 v105, v99, v105, vcc
	v_add_f64 v[102:103], v[102:103], v[104:105]
	v_mov_b32_e32 v106, s16
	s_add_i32 s16, s16, 1
	v_cmp_lt_f64_e32 vcc, v[100:101], v[102:103]
	v_add_u32_e32 v91, 16, v91
	s_cmp_lg_u32 s20, s16
	v_cndmask_b32_e32 v81, v81, v97, vcc
	v_cndmask_b32_e32 v80, v80, v96, vcc
	;; [unrolled: 1-line block ×5, first 2 shown]
	s_cbranch_scc1 .LBB38_274
.LBB38_275:
	s_waitcnt lgkmcnt(0)
	v_cmp_eq_f64_e32 vcc, 0, v[80:81]
	v_cmp_eq_f64_e64 s[0:1], 0, v[82:83]
	s_and_b64 s[0:1], vcc, s[0:1]
	s_and_saveexec_b64 s[16:17], s[0:1]
	s_xor_b64 s[0:1], exec, s[16:17]
; %bb.276:
	v_cmp_ne_u32_e32 vcc, 0, v95
	s_nop 1
	v_cndmask_b32_e32 v95, 14, v95, vcc
; %bb.277:
	s_andn2_saveexec_b64 s[0:1], s[0:1]
	s_cbranch_execz .LBB38_283
; %bb.278:
	v_cmp_ngt_f64_e64 s[16:17], |v[80:81]|, |v[82:83]|
	s_and_saveexec_b64 s[18:19], s[16:17]
	s_xor_b64 s[16:17], exec, s[18:19]
	s_cbranch_execz .LBB38_280
; %bb.279:
	v_div_scale_f64 v[96:97], s[18:19], v[82:83], v[82:83], v[80:81]
	v_rcp_f64_e32 v[98:99], v[96:97]
	v_div_scale_f64 v[100:101], vcc, v[80:81], v[82:83], v[80:81]
	v_fma_f64 v[102:103], -v[96:97], v[98:99], 1.0
	v_fmac_f64_e32 v[98:99], v[98:99], v[102:103]
	v_fma_f64 v[102:103], -v[96:97], v[98:99], 1.0
	v_fmac_f64_e32 v[98:99], v[98:99], v[102:103]
	v_mul_f64 v[102:103], v[100:101], v[98:99]
	v_fma_f64 v[96:97], -v[96:97], v[102:103], v[100:101]
	v_div_fmas_f64 v[96:97], v[96:97], v[98:99], v[102:103]
	v_div_fixup_f64 v[96:97], v[96:97], v[82:83], v[80:81]
	v_fmac_f64_e32 v[82:83], v[80:81], v[96:97]
	v_div_scale_f64 v[80:81], s[18:19], v[82:83], v[82:83], 1.0
	v_rcp_f64_e32 v[98:99], v[80:81]
	s_nop 0
	v_fma_f64 v[100:101], -v[80:81], v[98:99], 1.0
	v_fmac_f64_e32 v[98:99], v[98:99], v[100:101]
	v_fma_f64 v[100:101], -v[80:81], v[98:99], 1.0
	v_fmac_f64_e32 v[98:99], v[98:99], v[100:101]
	v_div_scale_f64 v[100:101], vcc, 1.0, v[82:83], 1.0
	v_mul_f64 v[102:103], v[100:101], v[98:99]
	v_fma_f64 v[80:81], -v[80:81], v[102:103], v[100:101]
	s_nop 1
	v_div_fmas_f64 v[80:81], v[80:81], v[98:99], v[102:103]
	v_div_fixup_f64 v[82:83], v[80:81], v[82:83], 1.0
	v_mul_f64 v[80:81], v[96:97], v[82:83]
	v_xor_b32_e32 v83, 0x80000000, v83
.LBB38_280:
	s_andn2_saveexec_b64 s[16:17], s[16:17]
	s_cbranch_execz .LBB38_282
; %bb.281:
	v_div_scale_f64 v[96:97], s[18:19], v[80:81], v[80:81], v[82:83]
	v_rcp_f64_e32 v[98:99], v[96:97]
	v_div_scale_f64 v[100:101], vcc, v[82:83], v[80:81], v[82:83]
	v_fma_f64 v[102:103], -v[96:97], v[98:99], 1.0
	v_fmac_f64_e32 v[98:99], v[98:99], v[102:103]
	v_fma_f64 v[102:103], -v[96:97], v[98:99], 1.0
	v_fmac_f64_e32 v[98:99], v[98:99], v[102:103]
	v_mul_f64 v[102:103], v[100:101], v[98:99]
	v_fma_f64 v[96:97], -v[96:97], v[102:103], v[100:101]
	v_div_fmas_f64 v[96:97], v[96:97], v[98:99], v[102:103]
	v_div_fixup_f64 v[96:97], v[96:97], v[80:81], v[82:83]
	v_fmac_f64_e32 v[80:81], v[82:83], v[96:97]
	v_div_scale_f64 v[82:83], s[18:19], v[80:81], v[80:81], 1.0
	v_rcp_f64_e32 v[98:99], v[82:83]
	s_nop 0
	v_fma_f64 v[100:101], -v[82:83], v[98:99], 1.0
	v_fmac_f64_e32 v[98:99], v[98:99], v[100:101]
	v_fma_f64 v[100:101], -v[82:83], v[98:99], 1.0
	v_fmac_f64_e32 v[98:99], v[98:99], v[100:101]
	v_div_scale_f64 v[100:101], vcc, 1.0, v[80:81], 1.0
	v_mul_f64 v[102:103], v[100:101], v[98:99]
	v_fma_f64 v[82:83], -v[82:83], v[102:103], v[100:101]
	s_nop 1
	v_div_fmas_f64 v[82:83], v[82:83], v[98:99], v[102:103]
	v_div_fixup_f64 v[80:81], v[82:83], v[80:81], 1.0
	v_mul_f64 v[82:83], v[96:97], -v[80:81]
.LBB38_282:
	s_or_b64 exec, exec, s[16:17]
.LBB38_283:
	s_or_b64 exec, exec, s[0:1]
	v_cmp_ne_u32_e32 vcc, v93, v90
	s_and_saveexec_b64 s[0:1], vcc
	s_xor_b64 s[0:1], exec, s[0:1]
	s_cbranch_execz .LBB38_289
; %bb.284:
	v_cmp_eq_u32_e32 vcc, 13, v93
	s_and_saveexec_b64 s[16:17], vcc
	s_cbranch_execz .LBB38_288
; %bb.285:
	v_cmp_ne_u32_e32 vcc, 13, v90
	s_xor_b64 s[18:19], s[14:15], -1
	s_and_b64 s[22:23], s[18:19], vcc
	s_and_saveexec_b64 s[18:19], s[22:23]
	s_cbranch_execz .LBB38_287
; %bb.286:
	v_ashrrev_i32_e32 v91, 31, v90
	v_lshl_add_u64 v[96:97], v[90:91], 2, v[88:89]
	global_load_dword v91, v[96:97], off
	global_load_dword v93, v[88:89], off offset:52
	s_waitcnt vmcnt(1)
	global_store_dword v[88:89], v91, off offset:52
	s_waitcnt vmcnt(1)
	global_store_dword v[96:97], v93, off
.LBB38_287:
	s_or_b64 exec, exec, s[18:19]
	v_mov_b32_e32 v93, v90
	v_mov_b32_e32 v94, v90
.LBB38_288:
	s_or_b64 exec, exec, s[16:17]
.LBB38_289:
	s_andn2_saveexec_b64 s[0:1], s[0:1]
	s_cbranch_execz .LBB38_291
; %bb.290:
	v_mov_b32_e32 v93, 13
	s_waitcnt vmcnt(5)
	ds_write2_b64 v92, v[16:17], v[18:19] offset0:28 offset1:29
	s_waitcnt vmcnt(4)
	ds_write2_b64 v92, v[12:13], v[14:15] offset0:30 offset1:31
	;; [unrolled: 2-line block ×6, first 2 shown]
.LBB38_291:
	s_or_b64 exec, exec, s[0:1]
	v_cmp_lt_i32_e32 vcc, 13, v93
	s_waitcnt lgkmcnt(0)
	s_barrier
	s_and_saveexec_b64 s[0:1], vcc
	s_cbranch_execz .LBB38_293
; %bb.292:
	ds_read2_b64 v[96:99], v92 offset0:28 offset1:29
	v_mul_f64 v[90:91], v[80:81], v[22:23]
	v_mul_f64 v[22:23], v[82:83], v[22:23]
	v_fmac_f64_e32 v[90:91], v[82:83], v[20:21]
	v_fma_f64 v[20:21], v[80:81], v[20:21], -v[22:23]
	ds_read2_b64 v[80:83], v92 offset0:30 offset1:31
	s_waitcnt lgkmcnt(1)
	v_mul_f64 v[22:23], v[98:99], v[90:91]
	v_fma_f64 v[22:23], v[96:97], v[20:21], -v[22:23]
	v_mul_f64 v[96:97], v[96:97], v[90:91]
	v_fmac_f64_e32 v[96:97], v[98:99], v[20:21]
	s_waitcnt vmcnt(5)
	v_add_f64 v[16:17], v[16:17], -v[22:23]
	s_waitcnt lgkmcnt(0)
	v_mul_f64 v[22:23], v[82:83], v[90:91]
	v_add_f64 v[18:19], v[18:19], -v[96:97]
	v_fma_f64 v[22:23], v[80:81], v[20:21], -v[22:23]
	v_mul_f64 v[80:81], v[80:81], v[90:91]
	ds_read2_b64 v[96:99], v92 offset0:32 offset1:33
	v_fmac_f64_e32 v[80:81], v[82:83], v[20:21]
	s_waitcnt vmcnt(4)
	v_add_f64 v[14:15], v[14:15], -v[80:81]
	ds_read2_b64 v[80:83], v92 offset0:34 offset1:35
	v_add_f64 v[12:13], v[12:13], -v[22:23]
	s_waitcnt lgkmcnt(1)
	v_mul_f64 v[22:23], v[98:99], v[90:91]
	v_fma_f64 v[22:23], v[96:97], v[20:21], -v[22:23]
	v_mul_f64 v[96:97], v[96:97], v[90:91]
	v_fmac_f64_e32 v[96:97], v[98:99], v[20:21]
	s_waitcnt vmcnt(3)
	v_add_f64 v[8:9], v[8:9], -v[22:23]
	s_waitcnt lgkmcnt(0)
	v_mul_f64 v[22:23], v[82:83], v[90:91]
	v_add_f64 v[10:11], v[10:11], -v[96:97]
	v_fma_f64 v[22:23], v[80:81], v[20:21], -v[22:23]
	v_mul_f64 v[80:81], v[80:81], v[90:91]
	ds_read2_b64 v[96:99], v92 offset0:36 offset1:37
	v_fmac_f64_e32 v[80:81], v[82:83], v[20:21]
	s_waitcnt vmcnt(2)
	v_add_f64 v[6:7], v[6:7], -v[80:81]
	ds_read2_b64 v[80:83], v92 offset0:38 offset1:39
	v_add_f64 v[4:5], v[4:5], -v[22:23]
	s_waitcnt lgkmcnt(1)
	v_mul_f64 v[22:23], v[98:99], v[90:91]
	v_fma_f64 v[22:23], v[96:97], v[20:21], -v[22:23]
	s_waitcnt vmcnt(1)
	v_add_f64 v[0:1], v[0:1], -v[22:23]
	s_waitcnt lgkmcnt(0)
	v_mul_f64 v[22:23], v[82:83], v[90:91]
	v_mul_f64 v[96:97], v[96:97], v[90:91]
	v_fma_f64 v[22:23], v[80:81], v[20:21], -v[22:23]
	v_mul_f64 v[80:81], v[80:81], v[90:91]
	v_fmac_f64_e32 v[96:97], v[98:99], v[20:21]
	v_fmac_f64_e32 v[80:81], v[82:83], v[20:21]
	v_add_f64 v[2:3], v[2:3], -v[96:97]
	s_waitcnt vmcnt(0)
	v_add_f64 v[76:77], v[76:77], -v[22:23]
	v_add_f64 v[78:79], v[78:79], -v[80:81]
	v_mov_b64_e32 v[22:23], v[90:91]
.LBB38_293:
	s_or_b64 exec, exec, s[0:1]
	v_lshl_add_u32 v80, v93, 4, v92
	s_barrier
	s_waitcnt vmcnt(5)
	ds_write2_b64 v80, v[16:17], v[18:19] offset1:1
	s_waitcnt lgkmcnt(0)
	s_barrier
	ds_read2_b64 v[80:83], v92 offset0:28 offset1:29
	s_cmp_lt_i32 s20, 16
	v_mov_b32_e32 v90, 14
	s_cbranch_scc1 .LBB38_296
; %bb.294:
	v_add_u32_e32 v91, 0xf0, v92
	s_mov_b32 s16, 15
	v_mov_b32_e32 v90, 14
.LBB38_295:                             ; =>This Inner Loop Header: Depth=1
	ds_read2_b64 v[96:99], v91 offset1:1
	s_waitcnt lgkmcnt(1)
	v_xor_b32_e32 v101, 0x80000000, v81
	v_xor_b32_e32 v103, 0x80000000, v83
	v_cmp_gt_f64_e32 vcc, 0, v[82:83]
	v_cmp_gt_f64_e64 s[0:1], 0, v[80:81]
	v_mov_b32_e32 v100, v80
	v_mov_b32_e32 v102, v82
	v_cndmask_b32_e64 v101, v81, v101, s[0:1]
	v_cndmask_b32_e32 v103, v83, v103, vcc
	v_add_f64 v[100:101], v[100:101], v[102:103]
	s_waitcnt lgkmcnt(0)
	v_xor_b32_e32 v103, 0x80000000, v97
	v_xor_b32_e32 v105, 0x80000000, v99
	v_cmp_gt_f64_e32 vcc, 0, v[98:99]
	v_cmp_gt_f64_e64 s[0:1], 0, v[96:97]
	v_mov_b32_e32 v102, v96
	v_mov_b32_e32 v104, v98
	v_cndmask_b32_e64 v103, v97, v103, s[0:1]
	v_cndmask_b32_e32 v105, v99, v105, vcc
	v_add_f64 v[102:103], v[102:103], v[104:105]
	v_mov_b32_e32 v106, s16
	s_add_i32 s16, s16, 1
	v_cmp_lt_f64_e32 vcc, v[100:101], v[102:103]
	v_add_u32_e32 v91, 16, v91
	s_cmp_lg_u32 s20, s16
	v_cndmask_b32_e32 v81, v81, v97, vcc
	v_cndmask_b32_e32 v80, v80, v96, vcc
	;; [unrolled: 1-line block ×5, first 2 shown]
	s_cbranch_scc1 .LBB38_295
.LBB38_296:
	s_waitcnt lgkmcnt(0)
	v_cmp_eq_f64_e32 vcc, 0, v[80:81]
	v_cmp_eq_f64_e64 s[0:1], 0, v[82:83]
	s_and_b64 s[0:1], vcc, s[0:1]
	s_and_saveexec_b64 s[16:17], s[0:1]
	s_xor_b64 s[0:1], exec, s[16:17]
; %bb.297:
	v_cmp_ne_u32_e32 vcc, 0, v95
	s_nop 1
	v_cndmask_b32_e32 v95, 15, v95, vcc
; %bb.298:
	s_andn2_saveexec_b64 s[0:1], s[0:1]
	s_cbranch_execz .LBB38_304
; %bb.299:
	v_cmp_ngt_f64_e64 s[16:17], |v[80:81]|, |v[82:83]|
	s_and_saveexec_b64 s[18:19], s[16:17]
	s_xor_b64 s[16:17], exec, s[18:19]
	s_cbranch_execz .LBB38_301
; %bb.300:
	v_div_scale_f64 v[96:97], s[18:19], v[82:83], v[82:83], v[80:81]
	v_rcp_f64_e32 v[98:99], v[96:97]
	v_div_scale_f64 v[100:101], vcc, v[80:81], v[82:83], v[80:81]
	v_fma_f64 v[102:103], -v[96:97], v[98:99], 1.0
	v_fmac_f64_e32 v[98:99], v[98:99], v[102:103]
	v_fma_f64 v[102:103], -v[96:97], v[98:99], 1.0
	v_fmac_f64_e32 v[98:99], v[98:99], v[102:103]
	v_mul_f64 v[102:103], v[100:101], v[98:99]
	v_fma_f64 v[96:97], -v[96:97], v[102:103], v[100:101]
	v_div_fmas_f64 v[96:97], v[96:97], v[98:99], v[102:103]
	v_div_fixup_f64 v[96:97], v[96:97], v[82:83], v[80:81]
	v_fmac_f64_e32 v[82:83], v[80:81], v[96:97]
	v_div_scale_f64 v[80:81], s[18:19], v[82:83], v[82:83], 1.0
	v_rcp_f64_e32 v[98:99], v[80:81]
	s_nop 0
	v_fma_f64 v[100:101], -v[80:81], v[98:99], 1.0
	v_fmac_f64_e32 v[98:99], v[98:99], v[100:101]
	v_fma_f64 v[100:101], -v[80:81], v[98:99], 1.0
	v_fmac_f64_e32 v[98:99], v[98:99], v[100:101]
	v_div_scale_f64 v[100:101], vcc, 1.0, v[82:83], 1.0
	v_mul_f64 v[102:103], v[100:101], v[98:99]
	v_fma_f64 v[80:81], -v[80:81], v[102:103], v[100:101]
	s_nop 1
	v_div_fmas_f64 v[80:81], v[80:81], v[98:99], v[102:103]
	v_div_fixup_f64 v[82:83], v[80:81], v[82:83], 1.0
	v_mul_f64 v[80:81], v[96:97], v[82:83]
	v_xor_b32_e32 v83, 0x80000000, v83
.LBB38_301:
	s_andn2_saveexec_b64 s[16:17], s[16:17]
	s_cbranch_execz .LBB38_303
; %bb.302:
	v_div_scale_f64 v[96:97], s[18:19], v[80:81], v[80:81], v[82:83]
	v_rcp_f64_e32 v[98:99], v[96:97]
	v_div_scale_f64 v[100:101], vcc, v[82:83], v[80:81], v[82:83]
	v_fma_f64 v[102:103], -v[96:97], v[98:99], 1.0
	v_fmac_f64_e32 v[98:99], v[98:99], v[102:103]
	v_fma_f64 v[102:103], -v[96:97], v[98:99], 1.0
	v_fmac_f64_e32 v[98:99], v[98:99], v[102:103]
	v_mul_f64 v[102:103], v[100:101], v[98:99]
	v_fma_f64 v[96:97], -v[96:97], v[102:103], v[100:101]
	v_div_fmas_f64 v[96:97], v[96:97], v[98:99], v[102:103]
	v_div_fixup_f64 v[96:97], v[96:97], v[80:81], v[82:83]
	v_fmac_f64_e32 v[80:81], v[82:83], v[96:97]
	v_div_scale_f64 v[82:83], s[18:19], v[80:81], v[80:81], 1.0
	v_rcp_f64_e32 v[98:99], v[82:83]
	s_nop 0
	v_fma_f64 v[100:101], -v[82:83], v[98:99], 1.0
	v_fmac_f64_e32 v[98:99], v[98:99], v[100:101]
	v_fma_f64 v[100:101], -v[82:83], v[98:99], 1.0
	v_fmac_f64_e32 v[98:99], v[98:99], v[100:101]
	v_div_scale_f64 v[100:101], vcc, 1.0, v[80:81], 1.0
	v_mul_f64 v[102:103], v[100:101], v[98:99]
	v_fma_f64 v[82:83], -v[82:83], v[102:103], v[100:101]
	s_nop 1
	v_div_fmas_f64 v[82:83], v[82:83], v[98:99], v[102:103]
	v_div_fixup_f64 v[80:81], v[82:83], v[80:81], 1.0
	v_mul_f64 v[82:83], v[96:97], -v[80:81]
.LBB38_303:
	s_or_b64 exec, exec, s[16:17]
.LBB38_304:
	s_or_b64 exec, exec, s[0:1]
	v_cmp_ne_u32_e32 vcc, v93, v90
	s_and_saveexec_b64 s[0:1], vcc
	s_xor_b64 s[0:1], exec, s[0:1]
	s_cbranch_execz .LBB38_310
; %bb.305:
	v_cmp_eq_u32_e32 vcc, 14, v93
	s_and_saveexec_b64 s[16:17], vcc
	s_cbranch_execz .LBB38_309
; %bb.306:
	v_cmp_ne_u32_e32 vcc, 14, v90
	s_xor_b64 s[18:19], s[14:15], -1
	s_and_b64 s[22:23], s[18:19], vcc
	s_and_saveexec_b64 s[18:19], s[22:23]
	s_cbranch_execz .LBB38_308
; %bb.307:
	v_ashrrev_i32_e32 v91, 31, v90
	v_lshl_add_u64 v[96:97], v[90:91], 2, v[88:89]
	global_load_dword v91, v[96:97], off
	global_load_dword v93, v[88:89], off offset:56
	s_waitcnt vmcnt(1)
	global_store_dword v[88:89], v91, off offset:56
	s_waitcnt vmcnt(1)
	global_store_dword v[96:97], v93, off
.LBB38_308:
	s_or_b64 exec, exec, s[18:19]
	v_mov_b32_e32 v93, v90
	v_mov_b32_e32 v94, v90
.LBB38_309:
	s_or_b64 exec, exec, s[16:17]
.LBB38_310:
	s_andn2_saveexec_b64 s[0:1], s[0:1]
	s_cbranch_execz .LBB38_312
; %bb.311:
	v_mov_b32_e32 v93, 14
	s_waitcnt vmcnt(4)
	ds_write2_b64 v92, v[12:13], v[14:15] offset0:30 offset1:31
	s_waitcnt vmcnt(3)
	ds_write2_b64 v92, v[8:9], v[10:11] offset0:32 offset1:33
	;; [unrolled: 2-line block ×5, first 2 shown]
.LBB38_312:
	s_or_b64 exec, exec, s[0:1]
	v_cmp_lt_i32_e32 vcc, 14, v93
	s_waitcnt lgkmcnt(0)
	s_barrier
	s_and_saveexec_b64 s[0:1], vcc
	s_cbranch_execz .LBB38_314
; %bb.313:
	ds_read2_b64 v[96:99], v92 offset0:30 offset1:31
	v_mul_f64 v[90:91], v[80:81], v[18:19]
	v_fmac_f64_e32 v[90:91], v[82:83], v[16:17]
	v_mul_f64 v[18:19], v[82:83], v[18:19]
	v_fma_f64 v[16:17], v[80:81], v[16:17], -v[18:19]
	ds_read2_b64 v[80:83], v92 offset0:32 offset1:33
	s_waitcnt lgkmcnt(1)
	v_mul_f64 v[18:19], v[98:99], v[90:91]
	v_fma_f64 v[18:19], v[96:97], v[16:17], -v[18:19]
	v_mul_f64 v[96:97], v[96:97], v[90:91]
	v_fmac_f64_e32 v[96:97], v[98:99], v[16:17]
	s_waitcnt vmcnt(4)
	v_add_f64 v[14:15], v[14:15], -v[96:97]
	ds_read2_b64 v[96:99], v92 offset0:34 offset1:35
	v_add_f64 v[12:13], v[12:13], -v[18:19]
	s_waitcnt lgkmcnt(1)
	v_mul_f64 v[18:19], v[82:83], v[90:91]
	v_fma_f64 v[18:19], v[80:81], v[16:17], -v[18:19]
	v_mul_f64 v[80:81], v[80:81], v[90:91]
	v_fmac_f64_e32 v[80:81], v[82:83], v[16:17]
	s_waitcnt vmcnt(3)
	v_add_f64 v[8:9], v[8:9], -v[18:19]
	v_add_f64 v[10:11], v[10:11], -v[80:81]
	ds_read2_b64 v[80:83], v92 offset0:36 offset1:37
	s_waitcnt lgkmcnt(1)
	v_mul_f64 v[18:19], v[98:99], v[90:91]
	v_fma_f64 v[18:19], v[96:97], v[16:17], -v[18:19]
	v_mul_f64 v[96:97], v[96:97], v[90:91]
	v_fmac_f64_e32 v[96:97], v[98:99], v[16:17]
	s_waitcnt vmcnt(2)
	v_add_f64 v[6:7], v[6:7], -v[96:97]
	ds_read2_b64 v[96:99], v92 offset0:38 offset1:39
	v_add_f64 v[4:5], v[4:5], -v[18:19]
	s_waitcnt lgkmcnt(1)
	v_mul_f64 v[18:19], v[82:83], v[90:91]
	v_fma_f64 v[18:19], v[80:81], v[16:17], -v[18:19]
	v_mul_f64 v[80:81], v[80:81], v[90:91]
	v_fmac_f64_e32 v[80:81], v[82:83], v[16:17]
	s_waitcnt vmcnt(1)
	v_add_f64 v[0:1], v[0:1], -v[18:19]
	v_add_f64 v[2:3], v[2:3], -v[80:81]
	s_waitcnt lgkmcnt(0)
	v_mul_f64 v[18:19], v[98:99], v[90:91]
	v_mul_f64 v[80:81], v[96:97], v[90:91]
	v_fma_f64 v[18:19], v[96:97], v[16:17], -v[18:19]
	v_fmac_f64_e32 v[80:81], v[98:99], v[16:17]
	s_waitcnt vmcnt(0)
	v_add_f64 v[76:77], v[76:77], -v[18:19]
	v_add_f64 v[78:79], v[78:79], -v[80:81]
	v_mov_b64_e32 v[18:19], v[90:91]
.LBB38_314:
	s_or_b64 exec, exec, s[0:1]
	v_lshl_add_u32 v80, v93, 4, v92
	s_barrier
	s_waitcnt vmcnt(4)
	ds_write2_b64 v80, v[12:13], v[14:15] offset1:1
	s_waitcnt lgkmcnt(0)
	s_barrier
	ds_read2_b64 v[80:83], v92 offset0:30 offset1:31
	s_cmp_lt_i32 s20, 17
	v_mov_b32_e32 v90, 15
	s_cbranch_scc1 .LBB38_317
; %bb.315:
	v_add_u32_e32 v91, 0x100, v92
	s_mov_b32 s16, 16
	v_mov_b32_e32 v90, 15
.LBB38_316:                             ; =>This Inner Loop Header: Depth=1
	ds_read2_b64 v[96:99], v91 offset1:1
	s_waitcnt lgkmcnt(1)
	v_xor_b32_e32 v101, 0x80000000, v81
	v_xor_b32_e32 v103, 0x80000000, v83
	v_cmp_gt_f64_e32 vcc, 0, v[82:83]
	v_cmp_gt_f64_e64 s[0:1], 0, v[80:81]
	v_mov_b32_e32 v100, v80
	v_mov_b32_e32 v102, v82
	v_cndmask_b32_e64 v101, v81, v101, s[0:1]
	v_cndmask_b32_e32 v103, v83, v103, vcc
	v_add_f64 v[100:101], v[100:101], v[102:103]
	s_waitcnt lgkmcnt(0)
	v_xor_b32_e32 v103, 0x80000000, v97
	v_xor_b32_e32 v105, 0x80000000, v99
	v_cmp_gt_f64_e32 vcc, 0, v[98:99]
	v_cmp_gt_f64_e64 s[0:1], 0, v[96:97]
	v_mov_b32_e32 v102, v96
	v_mov_b32_e32 v104, v98
	v_cndmask_b32_e64 v103, v97, v103, s[0:1]
	v_cndmask_b32_e32 v105, v99, v105, vcc
	v_add_f64 v[102:103], v[102:103], v[104:105]
	v_mov_b32_e32 v106, s16
	s_add_i32 s16, s16, 1
	v_cmp_lt_f64_e32 vcc, v[100:101], v[102:103]
	v_add_u32_e32 v91, 16, v91
	s_cmp_lg_u32 s20, s16
	v_cndmask_b32_e32 v81, v81, v97, vcc
	v_cndmask_b32_e32 v80, v80, v96, vcc
	v_cndmask_b32_e32 v83, v83, v99, vcc
	v_cndmask_b32_e32 v82, v82, v98, vcc
	v_cndmask_b32_e32 v90, v90, v106, vcc
	s_cbranch_scc1 .LBB38_316
.LBB38_317:
	s_waitcnt lgkmcnt(0)
	v_cmp_eq_f64_e32 vcc, 0, v[80:81]
	v_cmp_eq_f64_e64 s[0:1], 0, v[82:83]
	s_and_b64 s[0:1], vcc, s[0:1]
	s_and_saveexec_b64 s[16:17], s[0:1]
	s_xor_b64 s[0:1], exec, s[16:17]
; %bb.318:
	v_cmp_ne_u32_e32 vcc, 0, v95
	s_nop 1
	v_cndmask_b32_e32 v95, 16, v95, vcc
; %bb.319:
	s_andn2_saveexec_b64 s[0:1], s[0:1]
	s_cbranch_execz .LBB38_325
; %bb.320:
	v_cmp_ngt_f64_e64 s[16:17], |v[80:81]|, |v[82:83]|
	s_and_saveexec_b64 s[18:19], s[16:17]
	s_xor_b64 s[16:17], exec, s[18:19]
	s_cbranch_execz .LBB38_322
; %bb.321:
	v_div_scale_f64 v[96:97], s[18:19], v[82:83], v[82:83], v[80:81]
	v_rcp_f64_e32 v[98:99], v[96:97]
	v_div_scale_f64 v[100:101], vcc, v[80:81], v[82:83], v[80:81]
	v_fma_f64 v[102:103], -v[96:97], v[98:99], 1.0
	v_fmac_f64_e32 v[98:99], v[98:99], v[102:103]
	v_fma_f64 v[102:103], -v[96:97], v[98:99], 1.0
	v_fmac_f64_e32 v[98:99], v[98:99], v[102:103]
	v_mul_f64 v[102:103], v[100:101], v[98:99]
	v_fma_f64 v[96:97], -v[96:97], v[102:103], v[100:101]
	v_div_fmas_f64 v[96:97], v[96:97], v[98:99], v[102:103]
	v_div_fixup_f64 v[96:97], v[96:97], v[82:83], v[80:81]
	v_fmac_f64_e32 v[82:83], v[80:81], v[96:97]
	v_div_scale_f64 v[80:81], s[18:19], v[82:83], v[82:83], 1.0
	v_rcp_f64_e32 v[98:99], v[80:81]
	s_nop 0
	v_fma_f64 v[100:101], -v[80:81], v[98:99], 1.0
	v_fmac_f64_e32 v[98:99], v[98:99], v[100:101]
	v_fma_f64 v[100:101], -v[80:81], v[98:99], 1.0
	v_fmac_f64_e32 v[98:99], v[98:99], v[100:101]
	v_div_scale_f64 v[100:101], vcc, 1.0, v[82:83], 1.0
	v_mul_f64 v[102:103], v[100:101], v[98:99]
	v_fma_f64 v[80:81], -v[80:81], v[102:103], v[100:101]
	s_nop 1
	v_div_fmas_f64 v[80:81], v[80:81], v[98:99], v[102:103]
	v_div_fixup_f64 v[82:83], v[80:81], v[82:83], 1.0
	v_mul_f64 v[80:81], v[96:97], v[82:83]
	v_xor_b32_e32 v83, 0x80000000, v83
.LBB38_322:
	s_andn2_saveexec_b64 s[16:17], s[16:17]
	s_cbranch_execz .LBB38_324
; %bb.323:
	v_div_scale_f64 v[96:97], s[18:19], v[80:81], v[80:81], v[82:83]
	v_rcp_f64_e32 v[98:99], v[96:97]
	v_div_scale_f64 v[100:101], vcc, v[82:83], v[80:81], v[82:83]
	v_fma_f64 v[102:103], -v[96:97], v[98:99], 1.0
	v_fmac_f64_e32 v[98:99], v[98:99], v[102:103]
	v_fma_f64 v[102:103], -v[96:97], v[98:99], 1.0
	v_fmac_f64_e32 v[98:99], v[98:99], v[102:103]
	v_mul_f64 v[102:103], v[100:101], v[98:99]
	v_fma_f64 v[96:97], -v[96:97], v[102:103], v[100:101]
	v_div_fmas_f64 v[96:97], v[96:97], v[98:99], v[102:103]
	v_div_fixup_f64 v[96:97], v[96:97], v[80:81], v[82:83]
	v_fmac_f64_e32 v[80:81], v[82:83], v[96:97]
	v_div_scale_f64 v[82:83], s[18:19], v[80:81], v[80:81], 1.0
	v_rcp_f64_e32 v[98:99], v[82:83]
	s_nop 0
	v_fma_f64 v[100:101], -v[82:83], v[98:99], 1.0
	v_fmac_f64_e32 v[98:99], v[98:99], v[100:101]
	v_fma_f64 v[100:101], -v[82:83], v[98:99], 1.0
	v_fmac_f64_e32 v[98:99], v[98:99], v[100:101]
	v_div_scale_f64 v[100:101], vcc, 1.0, v[80:81], 1.0
	v_mul_f64 v[102:103], v[100:101], v[98:99]
	v_fma_f64 v[82:83], -v[82:83], v[102:103], v[100:101]
	s_nop 1
	v_div_fmas_f64 v[82:83], v[82:83], v[98:99], v[102:103]
	v_div_fixup_f64 v[80:81], v[82:83], v[80:81], 1.0
	v_mul_f64 v[82:83], v[96:97], -v[80:81]
.LBB38_324:
	s_or_b64 exec, exec, s[16:17]
.LBB38_325:
	s_or_b64 exec, exec, s[0:1]
	v_cmp_ne_u32_e32 vcc, v93, v90
	s_and_saveexec_b64 s[0:1], vcc
	s_xor_b64 s[0:1], exec, s[0:1]
	s_cbranch_execz .LBB38_331
; %bb.326:
	v_cmp_eq_u32_e32 vcc, 15, v93
	s_and_saveexec_b64 s[16:17], vcc
	s_cbranch_execz .LBB38_330
; %bb.327:
	v_cmp_ne_u32_e32 vcc, 15, v90
	s_xor_b64 s[18:19], s[14:15], -1
	s_and_b64 s[22:23], s[18:19], vcc
	s_and_saveexec_b64 s[18:19], s[22:23]
	s_cbranch_execz .LBB38_329
; %bb.328:
	v_ashrrev_i32_e32 v91, 31, v90
	v_lshl_add_u64 v[96:97], v[90:91], 2, v[88:89]
	global_load_dword v91, v[96:97], off
	global_load_dword v93, v[88:89], off offset:60
	s_waitcnt vmcnt(1)
	global_store_dword v[88:89], v91, off offset:60
	s_waitcnt vmcnt(1)
	global_store_dword v[96:97], v93, off
.LBB38_329:
	s_or_b64 exec, exec, s[18:19]
	v_mov_b32_e32 v93, v90
	v_mov_b32_e32 v94, v90
.LBB38_330:
	s_or_b64 exec, exec, s[16:17]
.LBB38_331:
	s_andn2_saveexec_b64 s[0:1], s[0:1]
	s_cbranch_execz .LBB38_333
; %bb.332:
	v_mov_b32_e32 v93, 15
	s_waitcnt vmcnt(3)
	ds_write2_b64 v92, v[8:9], v[10:11] offset0:32 offset1:33
	s_waitcnt vmcnt(2)
	ds_write2_b64 v92, v[4:5], v[6:7] offset0:34 offset1:35
	;; [unrolled: 2-line block ×4, first 2 shown]
.LBB38_333:
	s_or_b64 exec, exec, s[0:1]
	v_cmp_lt_i32_e32 vcc, 15, v93
	s_waitcnt lgkmcnt(0)
	s_barrier
	s_and_saveexec_b64 s[0:1], vcc
	s_cbranch_execz .LBB38_335
; %bb.334:
	ds_read2_b64 v[96:99], v92 offset0:32 offset1:33
	v_mul_f64 v[90:91], v[80:81], v[14:15]
	v_mul_f64 v[14:15], v[82:83], v[14:15]
	v_fmac_f64_e32 v[90:91], v[82:83], v[12:13]
	v_fma_f64 v[12:13], v[80:81], v[12:13], -v[14:15]
	ds_read2_b64 v[80:83], v92 offset0:34 offset1:35
	s_waitcnt lgkmcnt(1)
	v_mul_f64 v[14:15], v[98:99], v[90:91]
	v_fma_f64 v[14:15], v[96:97], v[12:13], -v[14:15]
	v_mul_f64 v[96:97], v[96:97], v[90:91]
	v_fmac_f64_e32 v[96:97], v[98:99], v[12:13]
	s_waitcnt vmcnt(3)
	v_add_f64 v[8:9], v[8:9], -v[14:15]
	s_waitcnt lgkmcnt(0)
	v_mul_f64 v[14:15], v[82:83], v[90:91]
	v_add_f64 v[10:11], v[10:11], -v[96:97]
	v_fma_f64 v[14:15], v[80:81], v[12:13], -v[14:15]
	v_mul_f64 v[80:81], v[80:81], v[90:91]
	ds_read2_b64 v[96:99], v92 offset0:36 offset1:37
	v_fmac_f64_e32 v[80:81], v[82:83], v[12:13]
	s_waitcnt vmcnt(2)
	v_add_f64 v[6:7], v[6:7], -v[80:81]
	ds_read2_b64 v[80:83], v92 offset0:38 offset1:39
	v_add_f64 v[4:5], v[4:5], -v[14:15]
	s_waitcnt lgkmcnt(1)
	v_mul_f64 v[14:15], v[98:99], v[90:91]
	v_fma_f64 v[14:15], v[96:97], v[12:13], -v[14:15]
	s_waitcnt vmcnt(1)
	v_add_f64 v[0:1], v[0:1], -v[14:15]
	s_waitcnt lgkmcnt(0)
	v_mul_f64 v[14:15], v[82:83], v[90:91]
	v_mul_f64 v[96:97], v[96:97], v[90:91]
	v_fma_f64 v[14:15], v[80:81], v[12:13], -v[14:15]
	v_mul_f64 v[80:81], v[80:81], v[90:91]
	v_fmac_f64_e32 v[96:97], v[98:99], v[12:13]
	v_fmac_f64_e32 v[80:81], v[82:83], v[12:13]
	v_add_f64 v[2:3], v[2:3], -v[96:97]
	s_waitcnt vmcnt(0)
	v_add_f64 v[76:77], v[76:77], -v[14:15]
	v_add_f64 v[78:79], v[78:79], -v[80:81]
	v_mov_b64_e32 v[14:15], v[90:91]
.LBB38_335:
	s_or_b64 exec, exec, s[0:1]
	v_lshl_add_u32 v80, v93, 4, v92
	s_barrier
	s_waitcnt vmcnt(3)
	ds_write2_b64 v80, v[8:9], v[10:11] offset1:1
	s_waitcnt lgkmcnt(0)
	s_barrier
	ds_read2_b64 v[80:83], v92 offset0:32 offset1:33
	s_cmp_lt_i32 s20, 18
	v_mov_b32_e32 v90, 16
	s_cbranch_scc1 .LBB38_338
; %bb.336:
	v_add_u32_e32 v91, 0x110, v92
	s_mov_b32 s16, 17
	v_mov_b32_e32 v90, 16
.LBB38_337:                             ; =>This Inner Loop Header: Depth=1
	ds_read2_b64 v[96:99], v91 offset1:1
	s_waitcnt lgkmcnt(1)
	v_xor_b32_e32 v101, 0x80000000, v81
	v_xor_b32_e32 v103, 0x80000000, v83
	v_cmp_gt_f64_e32 vcc, 0, v[82:83]
	v_cmp_gt_f64_e64 s[0:1], 0, v[80:81]
	v_mov_b32_e32 v100, v80
	v_mov_b32_e32 v102, v82
	v_cndmask_b32_e64 v101, v81, v101, s[0:1]
	v_cndmask_b32_e32 v103, v83, v103, vcc
	v_add_f64 v[100:101], v[100:101], v[102:103]
	s_waitcnt lgkmcnt(0)
	v_xor_b32_e32 v103, 0x80000000, v97
	v_xor_b32_e32 v105, 0x80000000, v99
	v_cmp_gt_f64_e32 vcc, 0, v[98:99]
	v_cmp_gt_f64_e64 s[0:1], 0, v[96:97]
	v_mov_b32_e32 v102, v96
	v_mov_b32_e32 v104, v98
	v_cndmask_b32_e64 v103, v97, v103, s[0:1]
	v_cndmask_b32_e32 v105, v99, v105, vcc
	v_add_f64 v[102:103], v[102:103], v[104:105]
	v_mov_b32_e32 v106, s16
	s_add_i32 s16, s16, 1
	v_cmp_lt_f64_e32 vcc, v[100:101], v[102:103]
	v_add_u32_e32 v91, 16, v91
	s_cmp_lg_u32 s20, s16
	v_cndmask_b32_e32 v81, v81, v97, vcc
	v_cndmask_b32_e32 v80, v80, v96, vcc
	;; [unrolled: 1-line block ×5, first 2 shown]
	s_cbranch_scc1 .LBB38_337
.LBB38_338:
	s_waitcnt lgkmcnt(0)
	v_cmp_eq_f64_e32 vcc, 0, v[80:81]
	v_cmp_eq_f64_e64 s[0:1], 0, v[82:83]
	s_and_b64 s[0:1], vcc, s[0:1]
	s_and_saveexec_b64 s[16:17], s[0:1]
	s_xor_b64 s[0:1], exec, s[16:17]
; %bb.339:
	v_cmp_ne_u32_e32 vcc, 0, v95
	s_nop 1
	v_cndmask_b32_e32 v95, 17, v95, vcc
; %bb.340:
	s_andn2_saveexec_b64 s[0:1], s[0:1]
	s_cbranch_execz .LBB38_346
; %bb.341:
	v_cmp_ngt_f64_e64 s[16:17], |v[80:81]|, |v[82:83]|
	s_and_saveexec_b64 s[18:19], s[16:17]
	s_xor_b64 s[16:17], exec, s[18:19]
	s_cbranch_execz .LBB38_343
; %bb.342:
	v_div_scale_f64 v[96:97], s[18:19], v[82:83], v[82:83], v[80:81]
	v_rcp_f64_e32 v[98:99], v[96:97]
	v_div_scale_f64 v[100:101], vcc, v[80:81], v[82:83], v[80:81]
	v_fma_f64 v[102:103], -v[96:97], v[98:99], 1.0
	v_fmac_f64_e32 v[98:99], v[98:99], v[102:103]
	v_fma_f64 v[102:103], -v[96:97], v[98:99], 1.0
	v_fmac_f64_e32 v[98:99], v[98:99], v[102:103]
	v_mul_f64 v[102:103], v[100:101], v[98:99]
	v_fma_f64 v[96:97], -v[96:97], v[102:103], v[100:101]
	v_div_fmas_f64 v[96:97], v[96:97], v[98:99], v[102:103]
	v_div_fixup_f64 v[96:97], v[96:97], v[82:83], v[80:81]
	v_fmac_f64_e32 v[82:83], v[80:81], v[96:97]
	v_div_scale_f64 v[80:81], s[18:19], v[82:83], v[82:83], 1.0
	v_rcp_f64_e32 v[98:99], v[80:81]
	s_nop 0
	v_fma_f64 v[100:101], -v[80:81], v[98:99], 1.0
	v_fmac_f64_e32 v[98:99], v[98:99], v[100:101]
	v_fma_f64 v[100:101], -v[80:81], v[98:99], 1.0
	v_fmac_f64_e32 v[98:99], v[98:99], v[100:101]
	v_div_scale_f64 v[100:101], vcc, 1.0, v[82:83], 1.0
	v_mul_f64 v[102:103], v[100:101], v[98:99]
	v_fma_f64 v[80:81], -v[80:81], v[102:103], v[100:101]
	s_nop 1
	v_div_fmas_f64 v[80:81], v[80:81], v[98:99], v[102:103]
	v_div_fixup_f64 v[82:83], v[80:81], v[82:83], 1.0
	v_mul_f64 v[80:81], v[96:97], v[82:83]
	v_xor_b32_e32 v83, 0x80000000, v83
.LBB38_343:
	s_andn2_saveexec_b64 s[16:17], s[16:17]
	s_cbranch_execz .LBB38_345
; %bb.344:
	v_div_scale_f64 v[96:97], s[18:19], v[80:81], v[80:81], v[82:83]
	v_rcp_f64_e32 v[98:99], v[96:97]
	v_div_scale_f64 v[100:101], vcc, v[82:83], v[80:81], v[82:83]
	v_fma_f64 v[102:103], -v[96:97], v[98:99], 1.0
	v_fmac_f64_e32 v[98:99], v[98:99], v[102:103]
	v_fma_f64 v[102:103], -v[96:97], v[98:99], 1.0
	v_fmac_f64_e32 v[98:99], v[98:99], v[102:103]
	v_mul_f64 v[102:103], v[100:101], v[98:99]
	v_fma_f64 v[96:97], -v[96:97], v[102:103], v[100:101]
	v_div_fmas_f64 v[96:97], v[96:97], v[98:99], v[102:103]
	v_div_fixup_f64 v[96:97], v[96:97], v[80:81], v[82:83]
	v_fmac_f64_e32 v[80:81], v[82:83], v[96:97]
	v_div_scale_f64 v[82:83], s[18:19], v[80:81], v[80:81], 1.0
	v_rcp_f64_e32 v[98:99], v[82:83]
	s_nop 0
	v_fma_f64 v[100:101], -v[82:83], v[98:99], 1.0
	v_fmac_f64_e32 v[98:99], v[98:99], v[100:101]
	v_fma_f64 v[100:101], -v[82:83], v[98:99], 1.0
	v_fmac_f64_e32 v[98:99], v[98:99], v[100:101]
	v_div_scale_f64 v[100:101], vcc, 1.0, v[80:81], 1.0
	v_mul_f64 v[102:103], v[100:101], v[98:99]
	v_fma_f64 v[82:83], -v[82:83], v[102:103], v[100:101]
	s_nop 1
	v_div_fmas_f64 v[82:83], v[82:83], v[98:99], v[102:103]
	v_div_fixup_f64 v[80:81], v[82:83], v[80:81], 1.0
	v_mul_f64 v[82:83], v[96:97], -v[80:81]
.LBB38_345:
	s_or_b64 exec, exec, s[16:17]
.LBB38_346:
	s_or_b64 exec, exec, s[0:1]
	v_cmp_ne_u32_e32 vcc, v93, v90
	s_and_saveexec_b64 s[0:1], vcc
	s_xor_b64 s[0:1], exec, s[0:1]
	s_cbranch_execz .LBB38_352
; %bb.347:
	v_cmp_eq_u32_e32 vcc, 16, v93
	s_and_saveexec_b64 s[16:17], vcc
	s_cbranch_execz .LBB38_351
; %bb.348:
	v_cmp_ne_u32_e32 vcc, 16, v90
	s_xor_b64 s[18:19], s[14:15], -1
	s_and_b64 s[22:23], s[18:19], vcc
	s_and_saveexec_b64 s[18:19], s[22:23]
	s_cbranch_execz .LBB38_350
; %bb.349:
	v_ashrrev_i32_e32 v91, 31, v90
	v_lshl_add_u64 v[96:97], v[90:91], 2, v[88:89]
	global_load_dword v91, v[96:97], off
	global_load_dword v93, v[88:89], off offset:64
	s_waitcnt vmcnt(1)
	global_store_dword v[88:89], v91, off offset:64
	s_waitcnt vmcnt(1)
	global_store_dword v[96:97], v93, off
.LBB38_350:
	s_or_b64 exec, exec, s[18:19]
	v_mov_b32_e32 v93, v90
	v_mov_b32_e32 v94, v90
.LBB38_351:
	s_or_b64 exec, exec, s[16:17]
.LBB38_352:
	s_andn2_saveexec_b64 s[0:1], s[0:1]
	s_cbranch_execz .LBB38_354
; %bb.353:
	v_mov_b32_e32 v93, 16
	s_waitcnt vmcnt(2)
	ds_write2_b64 v92, v[4:5], v[6:7] offset0:34 offset1:35
	s_waitcnt vmcnt(1)
	ds_write2_b64 v92, v[0:1], v[2:3] offset0:36 offset1:37
	;; [unrolled: 2-line block ×3, first 2 shown]
.LBB38_354:
	s_or_b64 exec, exec, s[0:1]
	v_cmp_lt_i32_e32 vcc, 16, v93
	s_waitcnt lgkmcnt(0)
	s_barrier
	s_and_saveexec_b64 s[0:1], vcc
	s_cbranch_execz .LBB38_356
; %bb.355:
	ds_read2_b64 v[96:99], v92 offset0:34 offset1:35
	v_mul_f64 v[90:91], v[80:81], v[10:11]
	v_fmac_f64_e32 v[90:91], v[82:83], v[8:9]
	v_mul_f64 v[10:11], v[82:83], v[10:11]
	v_fma_f64 v[8:9], v[80:81], v[8:9], -v[10:11]
	ds_read2_b64 v[80:83], v92 offset0:36 offset1:37
	s_waitcnt lgkmcnt(1)
	v_mul_f64 v[10:11], v[98:99], v[90:91]
	v_fma_f64 v[10:11], v[96:97], v[8:9], -v[10:11]
	v_mul_f64 v[96:97], v[96:97], v[90:91]
	v_fmac_f64_e32 v[96:97], v[98:99], v[8:9]
	s_waitcnt vmcnt(2)
	v_add_f64 v[6:7], v[6:7], -v[96:97]
	ds_read2_b64 v[96:99], v92 offset0:38 offset1:39
	v_add_f64 v[4:5], v[4:5], -v[10:11]
	s_waitcnt lgkmcnt(1)
	v_mul_f64 v[10:11], v[82:83], v[90:91]
	v_fma_f64 v[10:11], v[80:81], v[8:9], -v[10:11]
	v_mul_f64 v[80:81], v[80:81], v[90:91]
	v_fmac_f64_e32 v[80:81], v[82:83], v[8:9]
	s_waitcnt vmcnt(1)
	v_add_f64 v[0:1], v[0:1], -v[10:11]
	v_add_f64 v[2:3], v[2:3], -v[80:81]
	s_waitcnt lgkmcnt(0)
	v_mul_f64 v[10:11], v[98:99], v[90:91]
	v_mul_f64 v[80:81], v[96:97], v[90:91]
	v_fma_f64 v[10:11], v[96:97], v[8:9], -v[10:11]
	v_fmac_f64_e32 v[80:81], v[98:99], v[8:9]
	s_waitcnt vmcnt(0)
	v_add_f64 v[76:77], v[76:77], -v[10:11]
	v_add_f64 v[78:79], v[78:79], -v[80:81]
	v_mov_b64_e32 v[10:11], v[90:91]
.LBB38_356:
	s_or_b64 exec, exec, s[0:1]
	v_lshl_add_u32 v80, v93, 4, v92
	s_barrier
	s_waitcnt vmcnt(2)
	ds_write2_b64 v80, v[4:5], v[6:7] offset1:1
	s_waitcnt lgkmcnt(0)
	s_barrier
	ds_read2_b64 v[80:83], v92 offset0:34 offset1:35
	s_cmp_lt_i32 s20, 19
	v_mov_b32_e32 v90, 17
	s_cbranch_scc1 .LBB38_359
; %bb.357:
	v_add_u32_e32 v91, 0x120, v92
	s_mov_b32 s16, 18
	v_mov_b32_e32 v90, 17
.LBB38_358:                             ; =>This Inner Loop Header: Depth=1
	ds_read2_b64 v[96:99], v91 offset1:1
	s_waitcnt lgkmcnt(1)
	v_xor_b32_e32 v101, 0x80000000, v81
	v_xor_b32_e32 v103, 0x80000000, v83
	v_cmp_gt_f64_e32 vcc, 0, v[82:83]
	v_cmp_gt_f64_e64 s[0:1], 0, v[80:81]
	v_mov_b32_e32 v100, v80
	v_mov_b32_e32 v102, v82
	v_cndmask_b32_e64 v101, v81, v101, s[0:1]
	v_cndmask_b32_e32 v103, v83, v103, vcc
	v_add_f64 v[100:101], v[100:101], v[102:103]
	s_waitcnt lgkmcnt(0)
	v_xor_b32_e32 v103, 0x80000000, v97
	v_xor_b32_e32 v105, 0x80000000, v99
	v_cmp_gt_f64_e32 vcc, 0, v[98:99]
	v_cmp_gt_f64_e64 s[0:1], 0, v[96:97]
	v_mov_b32_e32 v102, v96
	v_mov_b32_e32 v104, v98
	v_cndmask_b32_e64 v103, v97, v103, s[0:1]
	v_cndmask_b32_e32 v105, v99, v105, vcc
	v_add_f64 v[102:103], v[102:103], v[104:105]
	v_mov_b32_e32 v106, s16
	s_add_i32 s16, s16, 1
	v_cmp_lt_f64_e32 vcc, v[100:101], v[102:103]
	v_add_u32_e32 v91, 16, v91
	s_cmp_lg_u32 s20, s16
	v_cndmask_b32_e32 v81, v81, v97, vcc
	v_cndmask_b32_e32 v80, v80, v96, vcc
	;; [unrolled: 1-line block ×5, first 2 shown]
	s_cbranch_scc1 .LBB38_358
.LBB38_359:
	s_waitcnt lgkmcnt(0)
	v_cmp_eq_f64_e32 vcc, 0, v[80:81]
	v_cmp_eq_f64_e64 s[0:1], 0, v[82:83]
	s_and_b64 s[0:1], vcc, s[0:1]
	s_and_saveexec_b64 s[16:17], s[0:1]
	s_xor_b64 s[0:1], exec, s[16:17]
; %bb.360:
	v_cmp_ne_u32_e32 vcc, 0, v95
	s_nop 1
	v_cndmask_b32_e32 v95, 18, v95, vcc
; %bb.361:
	s_andn2_saveexec_b64 s[0:1], s[0:1]
	s_cbranch_execz .LBB38_367
; %bb.362:
	v_cmp_ngt_f64_e64 s[16:17], |v[80:81]|, |v[82:83]|
	s_and_saveexec_b64 s[18:19], s[16:17]
	s_xor_b64 s[16:17], exec, s[18:19]
	s_cbranch_execz .LBB38_364
; %bb.363:
	v_div_scale_f64 v[96:97], s[18:19], v[82:83], v[82:83], v[80:81]
	v_rcp_f64_e32 v[98:99], v[96:97]
	v_div_scale_f64 v[100:101], vcc, v[80:81], v[82:83], v[80:81]
	v_fma_f64 v[102:103], -v[96:97], v[98:99], 1.0
	v_fmac_f64_e32 v[98:99], v[98:99], v[102:103]
	v_fma_f64 v[102:103], -v[96:97], v[98:99], 1.0
	v_fmac_f64_e32 v[98:99], v[98:99], v[102:103]
	v_mul_f64 v[102:103], v[100:101], v[98:99]
	v_fma_f64 v[96:97], -v[96:97], v[102:103], v[100:101]
	v_div_fmas_f64 v[96:97], v[96:97], v[98:99], v[102:103]
	v_div_fixup_f64 v[96:97], v[96:97], v[82:83], v[80:81]
	v_fmac_f64_e32 v[82:83], v[80:81], v[96:97]
	v_div_scale_f64 v[80:81], s[18:19], v[82:83], v[82:83], 1.0
	v_rcp_f64_e32 v[98:99], v[80:81]
	s_nop 0
	v_fma_f64 v[100:101], -v[80:81], v[98:99], 1.0
	v_fmac_f64_e32 v[98:99], v[98:99], v[100:101]
	v_fma_f64 v[100:101], -v[80:81], v[98:99], 1.0
	v_fmac_f64_e32 v[98:99], v[98:99], v[100:101]
	v_div_scale_f64 v[100:101], vcc, 1.0, v[82:83], 1.0
	v_mul_f64 v[102:103], v[100:101], v[98:99]
	v_fma_f64 v[80:81], -v[80:81], v[102:103], v[100:101]
	s_nop 1
	v_div_fmas_f64 v[80:81], v[80:81], v[98:99], v[102:103]
	v_div_fixup_f64 v[82:83], v[80:81], v[82:83], 1.0
	v_mul_f64 v[80:81], v[96:97], v[82:83]
	v_xor_b32_e32 v83, 0x80000000, v83
.LBB38_364:
	s_andn2_saveexec_b64 s[16:17], s[16:17]
	s_cbranch_execz .LBB38_366
; %bb.365:
	v_div_scale_f64 v[96:97], s[18:19], v[80:81], v[80:81], v[82:83]
	v_rcp_f64_e32 v[98:99], v[96:97]
	v_div_scale_f64 v[100:101], vcc, v[82:83], v[80:81], v[82:83]
	v_fma_f64 v[102:103], -v[96:97], v[98:99], 1.0
	v_fmac_f64_e32 v[98:99], v[98:99], v[102:103]
	v_fma_f64 v[102:103], -v[96:97], v[98:99], 1.0
	v_fmac_f64_e32 v[98:99], v[98:99], v[102:103]
	v_mul_f64 v[102:103], v[100:101], v[98:99]
	v_fma_f64 v[96:97], -v[96:97], v[102:103], v[100:101]
	v_div_fmas_f64 v[96:97], v[96:97], v[98:99], v[102:103]
	v_div_fixup_f64 v[96:97], v[96:97], v[80:81], v[82:83]
	v_fmac_f64_e32 v[80:81], v[82:83], v[96:97]
	v_div_scale_f64 v[82:83], s[18:19], v[80:81], v[80:81], 1.0
	v_rcp_f64_e32 v[98:99], v[82:83]
	s_nop 0
	v_fma_f64 v[100:101], -v[82:83], v[98:99], 1.0
	v_fmac_f64_e32 v[98:99], v[98:99], v[100:101]
	v_fma_f64 v[100:101], -v[82:83], v[98:99], 1.0
	v_fmac_f64_e32 v[98:99], v[98:99], v[100:101]
	v_div_scale_f64 v[100:101], vcc, 1.0, v[80:81], 1.0
	v_mul_f64 v[102:103], v[100:101], v[98:99]
	v_fma_f64 v[82:83], -v[82:83], v[102:103], v[100:101]
	s_nop 1
	v_div_fmas_f64 v[82:83], v[82:83], v[98:99], v[102:103]
	v_div_fixup_f64 v[80:81], v[82:83], v[80:81], 1.0
	v_mul_f64 v[82:83], v[96:97], -v[80:81]
.LBB38_366:
	s_or_b64 exec, exec, s[16:17]
.LBB38_367:
	s_or_b64 exec, exec, s[0:1]
	v_cmp_ne_u32_e32 vcc, v93, v90
	s_and_saveexec_b64 s[0:1], vcc
	s_xor_b64 s[0:1], exec, s[0:1]
	s_cbranch_execz .LBB38_373
; %bb.368:
	v_cmp_eq_u32_e32 vcc, 17, v93
	s_and_saveexec_b64 s[16:17], vcc
	s_cbranch_execz .LBB38_372
; %bb.369:
	v_cmp_ne_u32_e32 vcc, 17, v90
	s_xor_b64 s[18:19], s[14:15], -1
	s_and_b64 s[22:23], s[18:19], vcc
	s_and_saveexec_b64 s[18:19], s[22:23]
	s_cbranch_execz .LBB38_371
; %bb.370:
	v_ashrrev_i32_e32 v91, 31, v90
	v_lshl_add_u64 v[96:97], v[90:91], 2, v[88:89]
	global_load_dword v91, v[96:97], off
	global_load_dword v93, v[88:89], off offset:68
	s_waitcnt vmcnt(1)
	global_store_dword v[88:89], v91, off offset:68
	s_waitcnt vmcnt(1)
	global_store_dword v[96:97], v93, off
.LBB38_371:
	s_or_b64 exec, exec, s[18:19]
	v_mov_b32_e32 v93, v90
	v_mov_b32_e32 v94, v90
.LBB38_372:
	s_or_b64 exec, exec, s[16:17]
.LBB38_373:
	s_andn2_saveexec_b64 s[0:1], s[0:1]
	s_cbranch_execz .LBB38_375
; %bb.374:
	v_mov_b32_e32 v93, 17
	s_waitcnt vmcnt(1)
	ds_write2_b64 v92, v[0:1], v[2:3] offset0:36 offset1:37
	s_waitcnt vmcnt(0)
	ds_write2_b64 v92, v[76:77], v[78:79] offset0:38 offset1:39
.LBB38_375:
	s_or_b64 exec, exec, s[0:1]
	v_cmp_lt_i32_e32 vcc, 17, v93
	s_waitcnt lgkmcnt(0)
	s_barrier
	s_and_saveexec_b64 s[0:1], vcc
	s_cbranch_execz .LBB38_377
; %bb.376:
	ds_read2_b64 v[96:99], v92 offset0:36 offset1:37
	v_mul_f64 v[90:91], v[80:81], v[6:7]
	v_mul_f64 v[6:7], v[82:83], v[6:7]
	v_fmac_f64_e32 v[90:91], v[82:83], v[4:5]
	v_fma_f64 v[4:5], v[80:81], v[4:5], -v[6:7]
	ds_read2_b64 v[80:83], v92 offset0:38 offset1:39
	s_waitcnt lgkmcnt(1)
	v_mul_f64 v[6:7], v[98:99], v[90:91]
	v_fma_f64 v[6:7], v[96:97], v[4:5], -v[6:7]
	s_waitcnt vmcnt(1)
	v_add_f64 v[0:1], v[0:1], -v[6:7]
	v_mul_f64 v[96:97], v[96:97], v[90:91]
	s_waitcnt lgkmcnt(0)
	v_mul_f64 v[6:7], v[82:83], v[90:91]
	v_fma_f64 v[6:7], v[80:81], v[4:5], -v[6:7]
	v_mul_f64 v[80:81], v[80:81], v[90:91]
	v_fmac_f64_e32 v[96:97], v[98:99], v[4:5]
	v_fmac_f64_e32 v[80:81], v[82:83], v[4:5]
	v_add_f64 v[2:3], v[2:3], -v[96:97]
	s_waitcnt vmcnt(0)
	v_add_f64 v[76:77], v[76:77], -v[6:7]
	v_add_f64 v[78:79], v[78:79], -v[80:81]
	v_mov_b64_e32 v[6:7], v[90:91]
.LBB38_377:
	s_or_b64 exec, exec, s[0:1]
	v_lshl_add_u32 v80, v93, 4, v92
	s_barrier
	s_waitcnt vmcnt(1)
	ds_write2_b64 v80, v[0:1], v[2:3] offset1:1
	s_waitcnt lgkmcnt(0)
	s_barrier
	ds_read2_b64 v[80:83], v92 offset0:36 offset1:37
	s_cmp_lt_i32 s20, 20
	v_mov_b32_e32 v90, 18
	s_cbranch_scc1 .LBB38_380
; %bb.378:
	v_add_u32_e32 v91, 0x130, v92
	s_mov_b32 s16, 19
	v_mov_b32_e32 v90, 18
.LBB38_379:                             ; =>This Inner Loop Header: Depth=1
	ds_read2_b64 v[96:99], v91 offset1:1
	s_waitcnt lgkmcnt(1)
	v_xor_b32_e32 v101, 0x80000000, v81
	v_xor_b32_e32 v103, 0x80000000, v83
	v_cmp_gt_f64_e32 vcc, 0, v[82:83]
	v_cmp_gt_f64_e64 s[0:1], 0, v[80:81]
	v_mov_b32_e32 v100, v80
	v_mov_b32_e32 v102, v82
	v_cndmask_b32_e64 v101, v81, v101, s[0:1]
	v_cndmask_b32_e32 v103, v83, v103, vcc
	v_add_f64 v[100:101], v[100:101], v[102:103]
	s_waitcnt lgkmcnt(0)
	v_xor_b32_e32 v103, 0x80000000, v97
	v_xor_b32_e32 v105, 0x80000000, v99
	v_cmp_gt_f64_e32 vcc, 0, v[98:99]
	v_cmp_gt_f64_e64 s[0:1], 0, v[96:97]
	v_mov_b32_e32 v102, v96
	v_mov_b32_e32 v104, v98
	v_cndmask_b32_e64 v103, v97, v103, s[0:1]
	v_cndmask_b32_e32 v105, v99, v105, vcc
	v_add_f64 v[102:103], v[102:103], v[104:105]
	v_mov_b32_e32 v106, s16
	s_add_i32 s16, s16, 1
	v_cmp_lt_f64_e32 vcc, v[100:101], v[102:103]
	v_add_u32_e32 v91, 16, v91
	s_cmp_lg_u32 s20, s16
	v_cndmask_b32_e32 v81, v81, v97, vcc
	v_cndmask_b32_e32 v80, v80, v96, vcc
	;; [unrolled: 1-line block ×5, first 2 shown]
	s_cbranch_scc1 .LBB38_379
.LBB38_380:
	s_waitcnt lgkmcnt(0)
	v_cmp_eq_f64_e32 vcc, 0, v[80:81]
	v_cmp_eq_f64_e64 s[0:1], 0, v[82:83]
	s_and_b64 s[0:1], vcc, s[0:1]
	s_and_saveexec_b64 s[16:17], s[0:1]
	s_xor_b64 s[0:1], exec, s[16:17]
; %bb.381:
	v_cmp_ne_u32_e32 vcc, 0, v95
	s_nop 1
	v_cndmask_b32_e32 v95, 19, v95, vcc
; %bb.382:
	s_andn2_saveexec_b64 s[0:1], s[0:1]
	s_cbranch_execz .LBB38_388
; %bb.383:
	v_cmp_ngt_f64_e64 s[16:17], |v[80:81]|, |v[82:83]|
	s_and_saveexec_b64 s[18:19], s[16:17]
	s_xor_b64 s[16:17], exec, s[18:19]
	s_cbranch_execz .LBB38_385
; %bb.384:
	v_div_scale_f64 v[96:97], s[18:19], v[82:83], v[82:83], v[80:81]
	v_rcp_f64_e32 v[98:99], v[96:97]
	v_div_scale_f64 v[100:101], vcc, v[80:81], v[82:83], v[80:81]
	v_fma_f64 v[102:103], -v[96:97], v[98:99], 1.0
	v_fmac_f64_e32 v[98:99], v[98:99], v[102:103]
	v_fma_f64 v[102:103], -v[96:97], v[98:99], 1.0
	v_fmac_f64_e32 v[98:99], v[98:99], v[102:103]
	v_mul_f64 v[102:103], v[100:101], v[98:99]
	v_fma_f64 v[96:97], -v[96:97], v[102:103], v[100:101]
	v_div_fmas_f64 v[96:97], v[96:97], v[98:99], v[102:103]
	v_div_fixup_f64 v[96:97], v[96:97], v[82:83], v[80:81]
	v_fmac_f64_e32 v[82:83], v[80:81], v[96:97]
	v_div_scale_f64 v[80:81], s[18:19], v[82:83], v[82:83], 1.0
	v_rcp_f64_e32 v[98:99], v[80:81]
	s_nop 0
	v_fma_f64 v[100:101], -v[80:81], v[98:99], 1.0
	v_fmac_f64_e32 v[98:99], v[98:99], v[100:101]
	v_fma_f64 v[100:101], -v[80:81], v[98:99], 1.0
	v_fmac_f64_e32 v[98:99], v[98:99], v[100:101]
	v_div_scale_f64 v[100:101], vcc, 1.0, v[82:83], 1.0
	v_mul_f64 v[102:103], v[100:101], v[98:99]
	v_fma_f64 v[80:81], -v[80:81], v[102:103], v[100:101]
	s_nop 1
	v_div_fmas_f64 v[80:81], v[80:81], v[98:99], v[102:103]
	v_div_fixup_f64 v[82:83], v[80:81], v[82:83], 1.0
	v_mul_f64 v[80:81], v[96:97], v[82:83]
	v_xor_b32_e32 v83, 0x80000000, v83
.LBB38_385:
	s_andn2_saveexec_b64 s[16:17], s[16:17]
	s_cbranch_execz .LBB38_387
; %bb.386:
	v_div_scale_f64 v[96:97], s[18:19], v[80:81], v[80:81], v[82:83]
	v_rcp_f64_e32 v[98:99], v[96:97]
	v_div_scale_f64 v[100:101], vcc, v[82:83], v[80:81], v[82:83]
	v_fma_f64 v[102:103], -v[96:97], v[98:99], 1.0
	v_fmac_f64_e32 v[98:99], v[98:99], v[102:103]
	v_fma_f64 v[102:103], -v[96:97], v[98:99], 1.0
	v_fmac_f64_e32 v[98:99], v[98:99], v[102:103]
	v_mul_f64 v[102:103], v[100:101], v[98:99]
	v_fma_f64 v[96:97], -v[96:97], v[102:103], v[100:101]
	v_div_fmas_f64 v[96:97], v[96:97], v[98:99], v[102:103]
	v_div_fixup_f64 v[96:97], v[96:97], v[80:81], v[82:83]
	v_fmac_f64_e32 v[80:81], v[82:83], v[96:97]
	v_div_scale_f64 v[82:83], s[18:19], v[80:81], v[80:81], 1.0
	v_rcp_f64_e32 v[98:99], v[82:83]
	s_nop 0
	v_fma_f64 v[100:101], -v[82:83], v[98:99], 1.0
	v_fmac_f64_e32 v[98:99], v[98:99], v[100:101]
	v_fma_f64 v[100:101], -v[82:83], v[98:99], 1.0
	v_fmac_f64_e32 v[98:99], v[98:99], v[100:101]
	v_div_scale_f64 v[100:101], vcc, 1.0, v[80:81], 1.0
	v_mul_f64 v[102:103], v[100:101], v[98:99]
	v_fma_f64 v[82:83], -v[82:83], v[102:103], v[100:101]
	s_nop 1
	v_div_fmas_f64 v[82:83], v[82:83], v[98:99], v[102:103]
	v_div_fixup_f64 v[80:81], v[82:83], v[80:81], 1.0
	v_mul_f64 v[82:83], v[96:97], -v[80:81]
.LBB38_387:
	s_or_b64 exec, exec, s[16:17]
.LBB38_388:
	s_or_b64 exec, exec, s[0:1]
	v_cmp_ne_u32_e32 vcc, v93, v90
	s_and_saveexec_b64 s[0:1], vcc
	s_xor_b64 s[0:1], exec, s[0:1]
	s_cbranch_execz .LBB38_394
; %bb.389:
	v_cmp_eq_u32_e32 vcc, 18, v93
	s_and_saveexec_b64 s[16:17], vcc
	s_cbranch_execz .LBB38_393
; %bb.390:
	v_cmp_ne_u32_e32 vcc, 18, v90
	s_xor_b64 s[18:19], s[14:15], -1
	s_and_b64 s[22:23], s[18:19], vcc
	s_and_saveexec_b64 s[18:19], s[22:23]
	s_cbranch_execz .LBB38_392
; %bb.391:
	v_ashrrev_i32_e32 v91, 31, v90
	v_lshl_add_u64 v[96:97], v[90:91], 2, v[88:89]
	global_load_dword v91, v[96:97], off
	global_load_dword v93, v[88:89], off offset:72
	s_waitcnt vmcnt(1)
	global_store_dword v[88:89], v91, off offset:72
	s_waitcnt vmcnt(1)
	global_store_dword v[96:97], v93, off
.LBB38_392:
	s_or_b64 exec, exec, s[18:19]
	v_mov_b32_e32 v93, v90
	v_mov_b32_e32 v94, v90
.LBB38_393:
	s_or_b64 exec, exec, s[16:17]
.LBB38_394:
	s_andn2_saveexec_b64 s[0:1], s[0:1]
	s_cbranch_execz .LBB38_396
; %bb.395:
	v_mov_b32_e32 v93, 18
	s_waitcnt vmcnt(0)
	ds_write2_b64 v92, v[76:77], v[78:79] offset0:38 offset1:39
.LBB38_396:
	s_or_b64 exec, exec, s[0:1]
	v_cmp_lt_i32_e32 vcc, 18, v93
	s_waitcnt lgkmcnt(0)
	s_barrier
	s_and_saveexec_b64 s[0:1], vcc
	s_cbranch_execz .LBB38_398
; %bb.397:
	ds_read2_b64 v[96:99], v92 offset0:38 offset1:39
	v_mul_f64 v[90:91], v[80:81], v[2:3]
	v_mul_f64 v[2:3], v[82:83], v[2:3]
	v_fmac_f64_e32 v[90:91], v[82:83], v[0:1]
	v_fma_f64 v[0:1], v[80:81], v[0:1], -v[2:3]
	s_waitcnt lgkmcnt(0)
	v_mul_f64 v[2:3], v[98:99], v[90:91]
	v_mul_f64 v[80:81], v[96:97], v[90:91]
	v_fma_f64 v[2:3], v[96:97], v[0:1], -v[2:3]
	v_fmac_f64_e32 v[80:81], v[98:99], v[0:1]
	s_waitcnt vmcnt(0)
	v_add_f64 v[76:77], v[76:77], -v[2:3]
	v_add_f64 v[78:79], v[78:79], -v[80:81]
	v_mov_b64_e32 v[2:3], v[90:91]
.LBB38_398:
	s_or_b64 exec, exec, s[0:1]
	v_lshl_add_u32 v80, v93, 4, v92
	s_barrier
	s_waitcnt vmcnt(0)
	ds_write2_b64 v80, v[76:77], v[78:79] offset1:1
	s_waitcnt lgkmcnt(0)
	s_barrier
	ds_read2_b64 v[80:83], v92 offset0:38 offset1:39
	s_cmp_lt_i32 s20, 21
	v_mov_b32_e32 v90, 19
	s_cbranch_scc1 .LBB38_401
; %bb.399:
	v_add_u32_e32 v91, 0x140, v92
	s_mov_b32 s16, 20
	v_mov_b32_e32 v90, 19
.LBB38_400:                             ; =>This Inner Loop Header: Depth=1
	ds_read2_b64 v[96:99], v91 offset1:1
	s_waitcnt lgkmcnt(1)
	v_xor_b32_e32 v92, 0x80000000, v81
	v_xor_b32_e32 v103, 0x80000000, v83
	v_cmp_gt_f64_e32 vcc, 0, v[82:83]
	v_cmp_gt_f64_e64 s[0:1], 0, v[80:81]
	v_mov_b32_e32 v100, v80
	v_mov_b32_e32 v102, v82
	v_cndmask_b32_e64 v101, v81, v92, s[0:1]
	v_cndmask_b32_e32 v103, v83, v103, vcc
	s_waitcnt lgkmcnt(0)
	v_xor_b32_e32 v92, 0x80000000, v97
	v_xor_b32_e32 v105, 0x80000000, v99
	v_cmp_gt_f64_e32 vcc, 0, v[98:99]
	v_cmp_gt_f64_e64 s[0:1], 0, v[96:97]
	v_add_f64 v[100:101], v[100:101], v[102:103]
	v_mov_b32_e32 v102, v96
	v_mov_b32_e32 v104, v98
	v_cndmask_b32_e64 v103, v97, v92, s[0:1]
	v_cndmask_b32_e32 v105, v99, v105, vcc
	v_add_f64 v[102:103], v[102:103], v[104:105]
	v_mov_b32_e32 v106, s16
	s_add_i32 s16, s16, 1
	v_cmp_lt_f64_e32 vcc, v[100:101], v[102:103]
	v_add_u32_e32 v91, 16, v91
	s_cmp_lg_u32 s20, s16
	v_cndmask_b32_e32 v81, v81, v97, vcc
	v_cndmask_b32_e32 v80, v80, v96, vcc
	;; [unrolled: 1-line block ×5, first 2 shown]
	s_cbranch_scc1 .LBB38_400
.LBB38_401:
	s_waitcnt lgkmcnt(0)
	v_cmp_eq_f64_e32 vcc, 0, v[80:81]
	v_cmp_eq_f64_e64 s[0:1], 0, v[82:83]
	s_and_b64 s[0:1], vcc, s[0:1]
	s_and_saveexec_b64 s[16:17], s[0:1]
	s_xor_b64 s[0:1], exec, s[16:17]
; %bb.402:
	v_cmp_ne_u32_e32 vcc, 0, v95
	s_nop 1
	v_cndmask_b32_e32 v95, 20, v95, vcc
; %bb.403:
	s_andn2_saveexec_b64 s[0:1], s[0:1]
	s_cbranch_execz .LBB38_409
; %bb.404:
	v_cmp_ngt_f64_e64 s[16:17], |v[80:81]|, |v[82:83]|
	s_and_saveexec_b64 s[18:19], s[16:17]
	s_xor_b64 s[16:17], exec, s[18:19]
	s_cbranch_execz .LBB38_406
; %bb.405:
	v_div_scale_f64 v[96:97], s[18:19], v[82:83], v[82:83], v[80:81]
	v_rcp_f64_e32 v[98:99], v[96:97]
	v_div_scale_f64 v[100:101], vcc, v[80:81], v[82:83], v[80:81]
	v_fma_f64 v[102:103], -v[96:97], v[98:99], 1.0
	v_fmac_f64_e32 v[98:99], v[98:99], v[102:103]
	v_fma_f64 v[102:103], -v[96:97], v[98:99], 1.0
	v_fmac_f64_e32 v[98:99], v[98:99], v[102:103]
	v_mul_f64 v[102:103], v[100:101], v[98:99]
	v_fma_f64 v[96:97], -v[96:97], v[102:103], v[100:101]
	v_div_fmas_f64 v[96:97], v[96:97], v[98:99], v[102:103]
	v_div_fixup_f64 v[96:97], v[96:97], v[82:83], v[80:81]
	v_fmac_f64_e32 v[82:83], v[80:81], v[96:97]
	v_div_scale_f64 v[80:81], s[18:19], v[82:83], v[82:83], 1.0
	v_rcp_f64_e32 v[98:99], v[80:81]
	s_nop 0
	v_fma_f64 v[100:101], -v[80:81], v[98:99], 1.0
	v_fmac_f64_e32 v[98:99], v[98:99], v[100:101]
	v_fma_f64 v[100:101], -v[80:81], v[98:99], 1.0
	v_fmac_f64_e32 v[98:99], v[98:99], v[100:101]
	v_div_scale_f64 v[100:101], vcc, 1.0, v[82:83], 1.0
	v_mul_f64 v[102:103], v[100:101], v[98:99]
	v_fma_f64 v[80:81], -v[80:81], v[102:103], v[100:101]
	s_nop 1
	v_div_fmas_f64 v[80:81], v[80:81], v[98:99], v[102:103]
	v_div_fixup_f64 v[82:83], v[80:81], v[82:83], 1.0
	v_mul_f64 v[80:81], v[96:97], v[82:83]
	v_xor_b32_e32 v83, 0x80000000, v83
.LBB38_406:
	s_andn2_saveexec_b64 s[16:17], s[16:17]
	s_cbranch_execz .LBB38_408
; %bb.407:
	v_div_scale_f64 v[96:97], s[18:19], v[80:81], v[80:81], v[82:83]
	v_rcp_f64_e32 v[98:99], v[96:97]
	v_div_scale_f64 v[100:101], vcc, v[82:83], v[80:81], v[82:83]
	v_fma_f64 v[102:103], -v[96:97], v[98:99], 1.0
	v_fmac_f64_e32 v[98:99], v[98:99], v[102:103]
	v_fma_f64 v[102:103], -v[96:97], v[98:99], 1.0
	v_fmac_f64_e32 v[98:99], v[98:99], v[102:103]
	v_mul_f64 v[102:103], v[100:101], v[98:99]
	v_fma_f64 v[96:97], -v[96:97], v[102:103], v[100:101]
	v_div_fmas_f64 v[96:97], v[96:97], v[98:99], v[102:103]
	v_div_fixup_f64 v[96:97], v[96:97], v[80:81], v[82:83]
	v_fmac_f64_e32 v[80:81], v[82:83], v[96:97]
	v_div_scale_f64 v[82:83], s[18:19], v[80:81], v[80:81], 1.0
	v_rcp_f64_e32 v[98:99], v[82:83]
	s_nop 0
	v_fma_f64 v[100:101], -v[82:83], v[98:99], 1.0
	v_fmac_f64_e32 v[98:99], v[98:99], v[100:101]
	v_fma_f64 v[100:101], -v[82:83], v[98:99], 1.0
	v_fmac_f64_e32 v[98:99], v[98:99], v[100:101]
	v_div_scale_f64 v[100:101], vcc, 1.0, v[80:81], 1.0
	v_mul_f64 v[102:103], v[100:101], v[98:99]
	v_fma_f64 v[82:83], -v[82:83], v[102:103], v[100:101]
	s_nop 1
	v_div_fmas_f64 v[82:83], v[82:83], v[98:99], v[102:103]
	v_div_fixup_f64 v[80:81], v[82:83], v[80:81], 1.0
	v_mul_f64 v[82:83], v[96:97], -v[80:81]
.LBB38_408:
	s_or_b64 exec, exec, s[16:17]
.LBB38_409:
	s_or_b64 exec, exec, s[0:1]
	v_cmp_ne_u32_e32 vcc, v93, v90
	v_mov_b32_e32 v92, 19
	s_and_saveexec_b64 s[0:1], vcc
	s_cbranch_execz .LBB38_415
; %bb.410:
	v_cmp_eq_u32_e32 vcc, 19, v93
	s_and_saveexec_b64 s[16:17], vcc
	s_cbranch_execz .LBB38_414
; %bb.411:
	v_cmp_ne_u32_e32 vcc, 19, v90
	s_xor_b64 s[14:15], s[14:15], -1
	s_and_b64 s[18:19], s[14:15], vcc
	s_and_saveexec_b64 s[14:15], s[18:19]
	s_cbranch_execz .LBB38_413
; %bb.412:
	v_ashrrev_i32_e32 v91, 31, v90
	v_lshl_add_u64 v[92:93], v[90:91], 2, v[88:89]
	global_load_dword v91, v[92:93], off
	global_load_dword v94, v[88:89], off offset:76
	s_waitcnt vmcnt(1)
	global_store_dword v[88:89], v91, off offset:76
	s_waitcnt vmcnt(1)
	global_store_dword v[92:93], v94, off
.LBB38_413:
	s_or_b64 exec, exec, s[14:15]
	v_mov_b32_e32 v93, v90
	v_mov_b32_e32 v94, v90
.LBB38_414:
	s_or_b64 exec, exec, s[16:17]
	v_mov_b32_e32 v92, v93
.LBB38_415:
	s_or_b64 exec, exec, s[0:1]
	v_cmp_gt_i32_e32 vcc, 20, v92
	v_ashrrev_i32_e32 v93, 31, v92
	s_barrier
	s_barrier
	s_and_saveexec_b64 s[0:1], vcc
	s_cbranch_execz .LBB38_417
; %bb.416:
	v_mov_b32_e32 v88, s6
	v_mov_b32_e32 v89, s7
	v_mul_lo_u32 v96, s11, v86
	v_mul_lo_u32 v97, s10, v87
	v_mad_u64_u32 v[90:91], s[6:7], s10, v86, 0
	v_add3_u32 v91, v91, v97, v96
	v_lshl_add_u64 v[88:89], v[90:91], 2, v[88:89]
	v_lshl_add_u64 v[88:89], s[8:9], 2, v[88:89]
	;; [unrolled: 1-line block ×3, first 2 shown]
	v_add3_u32 v90, v94, s13, 1
	global_store_dword v[88:89], v90, off
.LBB38_417:
	s_or_b64 exec, exec, s[0:1]
	v_cmp_eq_u32_e32 vcc, 0, v92
	s_and_saveexec_b64 s[6:7], vcc
	s_cbranch_execz .LBB38_420
; %bb.418:
	v_mov_b32_e32 v88, s4
	v_mov_b32_e32 v89, s5
	v_lshl_add_u64 v[86:87], v[86:87], 2, v[88:89]
	global_load_dword v88, v[86:87], off
	v_cmp_ne_u32_e64 s[0:1], 0, v95
	s_waitcnt vmcnt(0)
	v_cmp_eq_u32_e32 vcc, 0, v88
	s_and_b64 s[0:1], vcc, s[0:1]
	s_and_b64 exec, exec, s[0:1]
	s_cbranch_execz .LBB38_420
; %bb.419:
	v_add_u32_e32 v88, s13, v95
	global_store_dword v[86:87], v88, off
.LBB38_420:
	s_or_b64 exec, exec, s[6:7]
	v_mul_f64 v[86:87], v[82:83], v[78:79]
	v_fma_f64 v[86:87], v[80:81], v[76:77], -v[86:87]
	v_mul_f64 v[80:81], v[80:81], v[78:79]
	v_fmac_f64_e32 v[80:81], v[82:83], v[76:77]
	v_cmp_lt_i32_e32 vcc, 19, v92
	s_nop 1
	v_cndmask_b32_e32 v79, v79, v81, vcc
	v_cndmask_b32_e32 v78, v78, v80, vcc
	v_lshl_add_u64 v[80:81], v[92:93], 4, v[84:85]
	global_store_dwordx4 v[80:81], v[64:67], off
	v_cndmask_b32_e32 v77, v77, v87, vcc
	v_cndmask_b32_e32 v76, v76, v86, vcc
	v_lshl_add_u64 v[64:65], s[2:3], 4, v[80:81]
	global_store_dwordx4 v[64:65], v[60:63], off
	s_nop 1
	v_add_u32_e32 v60, s12, v92
	v_ashrrev_i32_e32 v61, 31, v60
	v_lshl_add_u64 v[62:63], v[60:61], 4, v[84:85]
	global_store_dwordx4 v[62:63], v[48:51], off
	s_nop 1
	v_add_u32_e32 v48, s2, v60
	v_ashrrev_i32_e32 v49, 31, v48
	;; [unrolled: 5-line block ×3, first 2 shown]
	v_lshl_add_u64 v[42:43], v[40:41], 4, v[84:85]
	v_add_u32_e32 v40, s2, v40
	v_ashrrev_i32_e32 v41, 31, v40
	global_store_dwordx4 v[42:43], v[72:75], off
	v_lshl_add_u64 v[42:43], v[40:41], 4, v[84:85]
	v_add_u32_e32 v40, s2, v40
	v_ashrrev_i32_e32 v41, 31, v40
	global_store_dwordx4 v[42:43], v[68:71], off
	;; [unrolled: 4-line block ×5, first 2 shown]
	v_lshl_add_u64 v[42:43], v[40:41], 4, v[84:85]
	global_store_dwordx4 v[42:43], v[36:39], off
	s_nop 1
	v_add_u32_e32 v36, s2, v40
	v_ashrrev_i32_e32 v37, 31, v36
	v_lshl_add_u64 v[38:39], v[36:37], 4, v[84:85]
	global_store_dwordx4 v[38:39], v[32:35], off
	s_nop 1
	v_add_u32_e32 v32, s2, v36
	v_ashrrev_i32_e32 v33, 31, v32
	;; [unrolled: 5-line block ×10, first 2 shown]
	v_lshl_add_u64 v[0:1], v[0:1], 4, v[84:85]
	global_store_dwordx4 v[0:1], v[76:79], off
.LBB38_421:
	s_endpgm
	.section	.rodata,"a",@progbits
	.p2align	6, 0x0
	.amdhsa_kernel _ZN9rocsolver6v33100L18getf2_small_kernelILi20E19rocblas_complex_numIdEiiPS3_EEvT1_T3_lS5_lPS5_llPT2_S5_S5_S7_l
		.amdhsa_group_segment_fixed_size 0
		.amdhsa_private_segment_fixed_size 0
		.amdhsa_kernarg_size 352
		.amdhsa_user_sgpr_count 2
		.amdhsa_user_sgpr_dispatch_ptr 0
		.amdhsa_user_sgpr_queue_ptr 0
		.amdhsa_user_sgpr_kernarg_segment_ptr 1
		.amdhsa_user_sgpr_dispatch_id 0
		.amdhsa_user_sgpr_kernarg_preload_length 0
		.amdhsa_user_sgpr_kernarg_preload_offset 0
		.amdhsa_user_sgpr_private_segment_size 0
		.amdhsa_uses_dynamic_stack 0
		.amdhsa_enable_private_segment 0
		.amdhsa_system_sgpr_workgroup_id_x 1
		.amdhsa_system_sgpr_workgroup_id_y 1
		.amdhsa_system_sgpr_workgroup_id_z 0
		.amdhsa_system_sgpr_workgroup_info 0
		.amdhsa_system_vgpr_workitem_id 1
		.amdhsa_next_free_vgpr 120
		.amdhsa_next_free_sgpr 24
		.amdhsa_accum_offset 120
		.amdhsa_reserve_vcc 1
		.amdhsa_float_round_mode_32 0
		.amdhsa_float_round_mode_16_64 0
		.amdhsa_float_denorm_mode_32 3
		.amdhsa_float_denorm_mode_16_64 3
		.amdhsa_dx10_clamp 1
		.amdhsa_ieee_mode 1
		.amdhsa_fp16_overflow 0
		.amdhsa_tg_split 0
		.amdhsa_exception_fp_ieee_invalid_op 0
		.amdhsa_exception_fp_denorm_src 0
		.amdhsa_exception_fp_ieee_div_zero 0
		.amdhsa_exception_fp_ieee_overflow 0
		.amdhsa_exception_fp_ieee_underflow 0
		.amdhsa_exception_fp_ieee_inexact 0
		.amdhsa_exception_int_div_zero 0
	.end_amdhsa_kernel
	.section	.text._ZN9rocsolver6v33100L18getf2_small_kernelILi20E19rocblas_complex_numIdEiiPS3_EEvT1_T3_lS5_lPS5_llPT2_S5_S5_S7_l,"axG",@progbits,_ZN9rocsolver6v33100L18getf2_small_kernelILi20E19rocblas_complex_numIdEiiPS3_EEvT1_T3_lS5_lPS5_llPT2_S5_S5_S7_l,comdat
.Lfunc_end38:
	.size	_ZN9rocsolver6v33100L18getf2_small_kernelILi20E19rocblas_complex_numIdEiiPS3_EEvT1_T3_lS5_lPS5_llPT2_S5_S5_S7_l, .Lfunc_end38-_ZN9rocsolver6v33100L18getf2_small_kernelILi20E19rocblas_complex_numIdEiiPS3_EEvT1_T3_lS5_lPS5_llPT2_S5_S5_S7_l
                                        ; -- End function
	.set _ZN9rocsolver6v33100L18getf2_small_kernelILi20E19rocblas_complex_numIdEiiPS3_EEvT1_T3_lS5_lPS5_llPT2_S5_S5_S7_l.num_vgpr, 120
	.set _ZN9rocsolver6v33100L18getf2_small_kernelILi20E19rocblas_complex_numIdEiiPS3_EEvT1_T3_lS5_lPS5_llPT2_S5_S5_S7_l.num_agpr, 0
	.set _ZN9rocsolver6v33100L18getf2_small_kernelILi20E19rocblas_complex_numIdEiiPS3_EEvT1_T3_lS5_lPS5_llPT2_S5_S5_S7_l.numbered_sgpr, 24
	.set _ZN9rocsolver6v33100L18getf2_small_kernelILi20E19rocblas_complex_numIdEiiPS3_EEvT1_T3_lS5_lPS5_llPT2_S5_S5_S7_l.num_named_barrier, 0
	.set _ZN9rocsolver6v33100L18getf2_small_kernelILi20E19rocblas_complex_numIdEiiPS3_EEvT1_T3_lS5_lPS5_llPT2_S5_S5_S7_l.private_seg_size, 0
	.set _ZN9rocsolver6v33100L18getf2_small_kernelILi20E19rocblas_complex_numIdEiiPS3_EEvT1_T3_lS5_lPS5_llPT2_S5_S5_S7_l.uses_vcc, 1
	.set _ZN9rocsolver6v33100L18getf2_small_kernelILi20E19rocblas_complex_numIdEiiPS3_EEvT1_T3_lS5_lPS5_llPT2_S5_S5_S7_l.uses_flat_scratch, 0
	.set _ZN9rocsolver6v33100L18getf2_small_kernelILi20E19rocblas_complex_numIdEiiPS3_EEvT1_T3_lS5_lPS5_llPT2_S5_S5_S7_l.has_dyn_sized_stack, 0
	.set _ZN9rocsolver6v33100L18getf2_small_kernelILi20E19rocblas_complex_numIdEiiPS3_EEvT1_T3_lS5_lPS5_llPT2_S5_S5_S7_l.has_recursion, 0
	.set _ZN9rocsolver6v33100L18getf2_small_kernelILi20E19rocblas_complex_numIdEiiPS3_EEvT1_T3_lS5_lPS5_llPT2_S5_S5_S7_l.has_indirect_call, 0
	.section	.AMDGPU.csdata,"",@progbits
; Kernel info:
; codeLenInByte = 32324
; TotalNumSgprs: 30
; NumVgprs: 120
; NumAgprs: 0
; TotalNumVgprs: 120
; ScratchSize: 0
; MemoryBound: 0
; FloatMode: 240
; IeeeMode: 1
; LDSByteSize: 0 bytes/workgroup (compile time only)
; SGPRBlocks: 3
; VGPRBlocks: 14
; NumSGPRsForWavesPerEU: 30
; NumVGPRsForWavesPerEU: 120
; AccumOffset: 120
; Occupancy: 4
; WaveLimiterHint : 0
; COMPUTE_PGM_RSRC2:SCRATCH_EN: 0
; COMPUTE_PGM_RSRC2:USER_SGPR: 2
; COMPUTE_PGM_RSRC2:TRAP_HANDLER: 0
; COMPUTE_PGM_RSRC2:TGID_X_EN: 1
; COMPUTE_PGM_RSRC2:TGID_Y_EN: 1
; COMPUTE_PGM_RSRC2:TGID_Z_EN: 0
; COMPUTE_PGM_RSRC2:TIDIG_COMP_CNT: 1
; COMPUTE_PGM_RSRC3_GFX90A:ACCUM_OFFSET: 29
; COMPUTE_PGM_RSRC3_GFX90A:TG_SPLIT: 0
	.section	.text._ZN9rocsolver6v33100L23getf2_npvt_small_kernelILi20E19rocblas_complex_numIdEiiPS3_EEvT1_T3_lS5_lPT2_S5_S5_,"axG",@progbits,_ZN9rocsolver6v33100L23getf2_npvt_small_kernelILi20E19rocblas_complex_numIdEiiPS3_EEvT1_T3_lS5_lPT2_S5_S5_,comdat
	.globl	_ZN9rocsolver6v33100L23getf2_npvt_small_kernelILi20E19rocblas_complex_numIdEiiPS3_EEvT1_T3_lS5_lPT2_S5_S5_ ; -- Begin function _ZN9rocsolver6v33100L23getf2_npvt_small_kernelILi20E19rocblas_complex_numIdEiiPS3_EEvT1_T3_lS5_lPT2_S5_S5_
	.p2align	8
	.type	_ZN9rocsolver6v33100L23getf2_npvt_small_kernelILi20E19rocblas_complex_numIdEiiPS3_EEvT1_T3_lS5_lPT2_S5_S5_,@function
_ZN9rocsolver6v33100L23getf2_npvt_small_kernelILi20E19rocblas_complex_numIdEiiPS3_EEvT1_T3_lS5_lPT2_S5_S5_: ; @_ZN9rocsolver6v33100L23getf2_npvt_small_kernelILi20E19rocblas_complex_numIdEiiPS3_EEvT1_T3_lS5_lPT2_S5_S5_
; %bb.0:
	s_load_dword s2, s[0:1], 0x44
	s_load_dwordx2 s[8:9], s[0:1], 0x30
	v_bfe_u32 v80, v0, 10, 10
	s_waitcnt lgkmcnt(0)
	s_lshr_b32 s10, s2, 16
	s_mul_i32 s3, s3, s10
	v_add_u32_e32 v182, s3, v80
	v_cmp_gt_i32_e32 vcc, s8, v182
	s_and_saveexec_b64 s[2:3], vcc
	s_cbranch_execz .LBB39_183
; %bb.1:
	s_load_dwordx4 s[12:15], s[0:1], 0x8
	s_load_dword s2, s[0:1], 0x18
	s_load_dwordx4 s[4:7], s[0:1], 0x20
	v_ashrrev_i32_e32 v183, 31, v182
	v_and_b32_e32 v202, 0x3ff, v0
	s_waitcnt lgkmcnt(0)
	v_mov_b32_e32 v2, s12
	v_mov_b32_e32 v3, s13
	v_mul_lo_u32 v4, s5, v182
	v_mul_lo_u32 v5, s4, v183
	v_mad_u64_u32 v[0:1], s[0:1], s4, v182, 0
	v_add3_u32 v1, v1, v5, v4
	s_add_i32 s0, s2, s2
	v_lshl_add_u64 v[0:1], v[0:1], 4, v[2:3]
	v_add_u32_e32 v10, s0, v202
	v_lshl_add_u64 v[8:9], s[14:15], 4, v[0:1]
	v_ashrrev_i32_e32 v11, 31, v10
	v_lshl_add_u64 v[164:165], v[10:11], 4, v[8:9]
	v_add_u32_e32 v10, s2, v10
	v_ashrrev_i32_e32 v11, 31, v10
	v_lshl_add_u64 v[166:167], v[10:11], 4, v[8:9]
	v_add_u32_e32 v10, s2, v10
	;; [unrolled: 3-line block ×16, first 2 shown]
	v_ashrrev_i32_e32 v11, 31, v10
	v_lshlrev_b32_e32 v0, 4, v202
	v_mov_b32_e32 v1, 0
	v_lshl_add_u64 v[198:199], v[10:11], 4, v[8:9]
	v_add_u32_e32 v10, s2, v10
	s_ashr_i32 s3, s2, 31
	v_lshl_add_u64 v[160:161], v[8:9], 0, v[0:1]
	v_ashrrev_i32_e32 v11, 31, v10
	v_lshl_add_u64 v[162:163], s[2:3], 4, v[160:161]
	global_load_dwordx4 v[4:7], v[160:161], off
	global_load_dwordx4 v[0:3], v[162:163], off
	v_lshl_add_u64 v[200:201], v[10:11], 4, v[8:9]
	global_load_dwordx4 v[72:75], v[164:165], off
	global_load_dwordx4 v[68:71], v[166:167], off
	global_load_dwordx4 v[64:67], v[168:169], off
	global_load_dwordx4 v[60:63], v[170:171], off
	global_load_dwordx4 v[56:59], v[172:173], off
	global_load_dwordx4 v[52:55], v[174:175], off
	global_load_dwordx4 v[48:51], v[176:177], off
	global_load_dwordx4 v[44:47], v[178:179], off
	global_load_dwordx4 v[40:43], v[180:181], off
	global_load_dwordx4 v[36:39], v[184:185], off
	global_load_dwordx4 v[32:35], v[186:187], off
	global_load_dwordx4 v[28:31], v[188:189], off
	global_load_dwordx4 v[24:27], v[190:191], off
	global_load_dwordx4 v[20:23], v[192:193], off
	global_load_dwordx4 v[16:19], v[194:195], off
	global_load_dwordx4 v[12:15], v[196:197], off
	global_load_dwordx4 v[8:11], v[198:199], off
	global_load_dwordx4 v[76:79], v[200:201], off
	s_mulk_i32 s10, 0x140
	s_movk_i32 s0, 0x140
	s_add_i32 s1, s10, 0
	v_mad_u32_u24 v204, v80, s0, 0
	v_lshl_add_u32 v203, v80, 4, s1
	v_cmp_ne_u32_e64 s[2:3], 0, v202
	v_cmp_eq_u32_e64 s[0:1], 0, v202
	s_and_saveexec_b64 s[10:11], s[0:1]
	s_cbranch_execz .LBB39_8
; %bb.2:
	s_waitcnt vmcnt(19)
	ds_write2_b64 v203, v[4:5], v[6:7] offset1:1
	s_waitcnt vmcnt(18)
	ds_write2_b64 v204, v[0:1], v[2:3] offset0:2 offset1:3
	s_waitcnt vmcnt(17)
	ds_write2_b64 v204, v[72:73], v[74:75] offset0:4 offset1:5
	;; [unrolled: 2-line block ×19, first 2 shown]
	ds_read2_b64 v[80:83], v203 offset1:1
	s_waitcnt lgkmcnt(0)
	v_cmp_neq_f64_e32 vcc, 0, v[80:81]
	v_cmp_neq_f64_e64 s[4:5], 0, v[82:83]
	s_or_b64 s[4:5], vcc, s[4:5]
	s_and_b64 exec, exec, s[4:5]
	s_cbranch_execz .LBB39_8
; %bb.3:
	v_cmp_ngt_f64_e64 s[4:5], |v[80:81]|, |v[82:83]|
                                        ; implicit-def: $vgpr84_vgpr85
	s_and_saveexec_b64 s[12:13], s[4:5]
	s_xor_b64 s[4:5], exec, s[12:13]
                                        ; implicit-def: $vgpr86_vgpr87
	s_cbranch_execz .LBB39_5
; %bb.4:
	v_div_scale_f64 v[84:85], s[12:13], v[82:83], v[82:83], v[80:81]
	v_rcp_f64_e32 v[86:87], v[84:85]
	v_div_scale_f64 v[88:89], vcc, v[80:81], v[82:83], v[80:81]
	v_fma_f64 v[90:91], -v[84:85], v[86:87], 1.0
	v_fmac_f64_e32 v[86:87], v[86:87], v[90:91]
	v_fma_f64 v[90:91], -v[84:85], v[86:87], 1.0
	v_fmac_f64_e32 v[86:87], v[86:87], v[90:91]
	v_mul_f64 v[90:91], v[88:89], v[86:87]
	v_fma_f64 v[84:85], -v[84:85], v[90:91], v[88:89]
	v_div_fmas_f64 v[84:85], v[84:85], v[86:87], v[90:91]
	v_div_fixup_f64 v[84:85], v[84:85], v[82:83], v[80:81]
	v_fmac_f64_e32 v[82:83], v[80:81], v[84:85]
	v_div_scale_f64 v[80:81], s[12:13], v[82:83], v[82:83], 1.0
	v_rcp_f64_e32 v[86:87], v[80:81]
	s_nop 0
	v_fma_f64 v[88:89], -v[80:81], v[86:87], 1.0
	v_fmac_f64_e32 v[86:87], v[86:87], v[88:89]
	v_fma_f64 v[88:89], -v[80:81], v[86:87], 1.0
	v_fmac_f64_e32 v[86:87], v[86:87], v[88:89]
	v_div_scale_f64 v[88:89], vcc, 1.0, v[82:83], 1.0
	v_mul_f64 v[90:91], v[88:89], v[86:87]
	v_fma_f64 v[80:81], -v[80:81], v[90:91], v[88:89]
	s_nop 1
	v_div_fmas_f64 v[80:81], v[80:81], v[86:87], v[90:91]
	v_div_fixup_f64 v[86:87], v[80:81], v[82:83], 1.0
	v_mul_f64 v[84:85], v[84:85], v[86:87]
	v_xor_b32_e32 v87, 0x80000000, v87
                                        ; implicit-def: $vgpr80_vgpr81
.LBB39_5:
	s_andn2_saveexec_b64 s[4:5], s[4:5]
	s_cbranch_execz .LBB39_7
; %bb.6:
	v_div_scale_f64 v[84:85], s[12:13], v[80:81], v[80:81], v[82:83]
	v_rcp_f64_e32 v[86:87], v[84:85]
	v_div_scale_f64 v[88:89], vcc, v[82:83], v[80:81], v[82:83]
	v_fma_f64 v[90:91], -v[84:85], v[86:87], 1.0
	v_fmac_f64_e32 v[86:87], v[86:87], v[90:91]
	v_fma_f64 v[90:91], -v[84:85], v[86:87], 1.0
	v_fmac_f64_e32 v[86:87], v[86:87], v[90:91]
	v_mul_f64 v[90:91], v[88:89], v[86:87]
	v_fma_f64 v[84:85], -v[84:85], v[90:91], v[88:89]
	v_div_fmas_f64 v[84:85], v[84:85], v[86:87], v[90:91]
	v_div_fixup_f64 v[86:87], v[84:85], v[80:81], v[82:83]
	v_fmac_f64_e32 v[80:81], v[82:83], v[86:87]
	v_div_scale_f64 v[82:83], s[12:13], v[80:81], v[80:81], 1.0
	v_rcp_f64_e32 v[84:85], v[82:83]
	s_nop 0
	v_fma_f64 v[88:89], -v[82:83], v[84:85], 1.0
	v_fmac_f64_e32 v[84:85], v[84:85], v[88:89]
	v_fma_f64 v[88:89], -v[82:83], v[84:85], 1.0
	v_fmac_f64_e32 v[84:85], v[84:85], v[88:89]
	v_div_scale_f64 v[88:89], vcc, 1.0, v[80:81], 1.0
	v_mul_f64 v[90:91], v[88:89], v[84:85]
	v_fma_f64 v[82:83], -v[82:83], v[90:91], v[88:89]
	s_nop 1
	v_div_fmas_f64 v[82:83], v[82:83], v[84:85], v[90:91]
	v_div_fixup_f64 v[84:85], v[82:83], v[80:81], 1.0
	v_mul_f64 v[86:87], v[86:87], -v[84:85]
.LBB39_7:
	s_or_b64 exec, exec, s[4:5]
	ds_write2_b64 v203, v[84:85], v[86:87] offset1:1
.LBB39_8:
	s_or_b64 exec, exec, s[10:11]
	s_waitcnt lgkmcnt(0)
	s_barrier
	ds_read2_b64 v[80:83], v203 offset1:1
	s_and_saveexec_b64 s[4:5], s[2:3]
	s_cbranch_execz .LBB39_10
; %bb.9:
	ds_read2_b64 v[86:89], v204 offset0:2 offset1:3
	ds_read2_b64 v[90:93], v204 offset0:4 offset1:5
	s_waitcnt vmcnt(19) lgkmcnt(2)
	v_mul_f64 v[84:85], v[82:83], v[6:7]
	v_mul_f64 v[6:7], v[80:81], v[6:7]
	v_fmac_f64_e32 v[6:7], v[82:83], v[4:5]
	v_fma_f64 v[84:85], v[80:81], v[4:5], -v[84:85]
	s_waitcnt lgkmcnt(1)
	v_mul_f64 v[4:5], v[88:89], v[6:7]
	v_fma_f64 v[4:5], v[86:87], v[84:85], -v[4:5]
	v_mul_f64 v[86:87], v[86:87], v[6:7]
	v_fmac_f64_e32 v[86:87], v[88:89], v[84:85]
	s_waitcnt vmcnt(18)
	v_add_f64 v[2:3], v[2:3], -v[86:87]
	ds_read2_b64 v[86:89], v204 offset0:6 offset1:7
	v_add_f64 v[0:1], v[0:1], -v[4:5]
	s_waitcnt lgkmcnt(1)
	v_mul_f64 v[4:5], v[92:93], v[6:7]
	v_fma_f64 v[4:5], v[90:91], v[84:85], -v[4:5]
	v_mul_f64 v[90:91], v[90:91], v[6:7]
	v_fmac_f64_e32 v[90:91], v[92:93], v[84:85]
	s_waitcnt vmcnt(17)
	v_add_f64 v[72:73], v[72:73], -v[4:5]
	v_add_f64 v[74:75], v[74:75], -v[90:91]
	ds_read2_b64 v[90:93], v204 offset0:8 offset1:9
	s_waitcnt lgkmcnt(1)
	v_mul_f64 v[4:5], v[88:89], v[6:7]
	v_fma_f64 v[4:5], v[86:87], v[84:85], -v[4:5]
	v_mul_f64 v[86:87], v[86:87], v[6:7]
	v_fmac_f64_e32 v[86:87], v[88:89], v[84:85]
	s_waitcnt vmcnt(16)
	v_add_f64 v[70:71], v[70:71], -v[86:87]
	ds_read2_b64 v[86:89], v204 offset0:10 offset1:11
	v_add_f64 v[68:69], v[68:69], -v[4:5]
	s_waitcnt lgkmcnt(1)
	v_mul_f64 v[4:5], v[92:93], v[6:7]
	v_fma_f64 v[4:5], v[90:91], v[84:85], -v[4:5]
	v_mul_f64 v[90:91], v[90:91], v[6:7]
	v_fmac_f64_e32 v[90:91], v[92:93], v[84:85]
	s_waitcnt vmcnt(15)
	v_add_f64 v[64:65], v[64:65], -v[4:5]
	v_add_f64 v[66:67], v[66:67], -v[90:91]
	ds_read2_b64 v[90:93], v204 offset0:12 offset1:13
	;; [unrolled: 18-line block ×8, first 2 shown]
	s_waitcnt lgkmcnt(1)
	v_mul_f64 v[4:5], v[88:89], v[6:7]
	v_fma_f64 v[4:5], v[86:87], v[84:85], -v[4:5]
	v_mul_f64 v[86:87], v[86:87], v[6:7]
	v_fmac_f64_e32 v[86:87], v[88:89], v[84:85]
	s_waitcnt vmcnt(2)
	v_add_f64 v[14:15], v[14:15], -v[86:87]
	ds_read2_b64 v[86:89], v204 offset0:38 offset1:39
	v_add_f64 v[12:13], v[12:13], -v[4:5]
	s_waitcnt lgkmcnt(1)
	v_mul_f64 v[4:5], v[92:93], v[6:7]
	v_fma_f64 v[4:5], v[90:91], v[84:85], -v[4:5]
	s_waitcnt vmcnt(1)
	v_add_f64 v[8:9], v[8:9], -v[4:5]
	s_waitcnt lgkmcnt(0)
	v_mul_f64 v[4:5], v[88:89], v[6:7]
	v_mul_f64 v[90:91], v[90:91], v[6:7]
	v_fma_f64 v[4:5], v[86:87], v[84:85], -v[4:5]
	v_mul_f64 v[86:87], v[86:87], v[6:7]
	v_fmac_f64_e32 v[90:91], v[92:93], v[84:85]
	v_fmac_f64_e32 v[86:87], v[88:89], v[84:85]
	v_add_f64 v[10:11], v[10:11], -v[90:91]
	s_waitcnt vmcnt(0)
	v_add_f64 v[76:77], v[76:77], -v[4:5]
	v_add_f64 v[78:79], v[78:79], -v[86:87]
	v_mov_b64_e32 v[4:5], v[84:85]
.LBB39_10:
	s_or_b64 exec, exec, s[4:5]
	v_cmp_eq_u32_e32 vcc, 1, v202
	s_waitcnt lgkmcnt(0)
	s_barrier
	s_and_saveexec_b64 s[4:5], vcc
	s_cbranch_execz .LBB39_17
; %bb.11:
	s_waitcnt vmcnt(18)
	ds_write2_b64 v203, v[0:1], v[2:3] offset1:1
	s_waitcnt vmcnt(17)
	ds_write2_b64 v204, v[72:73], v[74:75] offset0:4 offset1:5
	s_waitcnt vmcnt(16)
	ds_write2_b64 v204, v[68:69], v[70:71] offset0:6 offset1:7
	;; [unrolled: 2-line block ×18, first 2 shown]
	ds_read2_b64 v[84:87], v203 offset1:1
	s_waitcnt lgkmcnt(0)
	v_cmp_neq_f64_e32 vcc, 0, v[84:85]
	v_cmp_neq_f64_e64 s[2:3], 0, v[86:87]
	s_or_b64 s[2:3], vcc, s[2:3]
	s_and_b64 exec, exec, s[2:3]
	s_cbranch_execz .LBB39_17
; %bb.12:
	v_cmp_ngt_f64_e64 s[2:3], |v[84:85]|, |v[86:87]|
                                        ; implicit-def: $vgpr88_vgpr89
	s_and_saveexec_b64 s[10:11], s[2:3]
	s_xor_b64 s[2:3], exec, s[10:11]
                                        ; implicit-def: $vgpr90_vgpr91
	s_cbranch_execz .LBB39_14
; %bb.13:
	v_div_scale_f64 v[88:89], s[10:11], v[86:87], v[86:87], v[84:85]
	v_rcp_f64_e32 v[90:91], v[88:89]
	v_div_scale_f64 v[92:93], vcc, v[84:85], v[86:87], v[84:85]
	v_fma_f64 v[94:95], -v[88:89], v[90:91], 1.0
	v_fmac_f64_e32 v[90:91], v[90:91], v[94:95]
	v_fma_f64 v[94:95], -v[88:89], v[90:91], 1.0
	v_fmac_f64_e32 v[90:91], v[90:91], v[94:95]
	v_mul_f64 v[94:95], v[92:93], v[90:91]
	v_fma_f64 v[88:89], -v[88:89], v[94:95], v[92:93]
	v_div_fmas_f64 v[88:89], v[88:89], v[90:91], v[94:95]
	v_div_fixup_f64 v[88:89], v[88:89], v[86:87], v[84:85]
	v_fmac_f64_e32 v[86:87], v[84:85], v[88:89]
	v_div_scale_f64 v[84:85], s[10:11], v[86:87], v[86:87], 1.0
	v_rcp_f64_e32 v[90:91], v[84:85]
	s_nop 0
	v_fma_f64 v[92:93], -v[84:85], v[90:91], 1.0
	v_fmac_f64_e32 v[90:91], v[90:91], v[92:93]
	v_fma_f64 v[92:93], -v[84:85], v[90:91], 1.0
	v_fmac_f64_e32 v[90:91], v[90:91], v[92:93]
	v_div_scale_f64 v[92:93], vcc, 1.0, v[86:87], 1.0
	v_mul_f64 v[94:95], v[92:93], v[90:91]
	v_fma_f64 v[84:85], -v[84:85], v[94:95], v[92:93]
	s_nop 1
	v_div_fmas_f64 v[84:85], v[84:85], v[90:91], v[94:95]
	v_div_fixup_f64 v[90:91], v[84:85], v[86:87], 1.0
	v_mul_f64 v[88:89], v[88:89], v[90:91]
	v_xor_b32_e32 v91, 0x80000000, v91
                                        ; implicit-def: $vgpr84_vgpr85
.LBB39_14:
	s_andn2_saveexec_b64 s[2:3], s[2:3]
	s_cbranch_execz .LBB39_16
; %bb.15:
	v_div_scale_f64 v[88:89], s[10:11], v[84:85], v[84:85], v[86:87]
	v_rcp_f64_e32 v[90:91], v[88:89]
	v_div_scale_f64 v[92:93], vcc, v[86:87], v[84:85], v[86:87]
	v_fma_f64 v[94:95], -v[88:89], v[90:91], 1.0
	v_fmac_f64_e32 v[90:91], v[90:91], v[94:95]
	v_fma_f64 v[94:95], -v[88:89], v[90:91], 1.0
	v_fmac_f64_e32 v[90:91], v[90:91], v[94:95]
	v_mul_f64 v[94:95], v[92:93], v[90:91]
	v_fma_f64 v[88:89], -v[88:89], v[94:95], v[92:93]
	v_div_fmas_f64 v[88:89], v[88:89], v[90:91], v[94:95]
	v_div_fixup_f64 v[90:91], v[88:89], v[84:85], v[86:87]
	v_fmac_f64_e32 v[84:85], v[86:87], v[90:91]
	v_div_scale_f64 v[86:87], s[10:11], v[84:85], v[84:85], 1.0
	v_rcp_f64_e32 v[88:89], v[86:87]
	s_nop 0
	v_fma_f64 v[92:93], -v[86:87], v[88:89], 1.0
	v_fmac_f64_e32 v[88:89], v[88:89], v[92:93]
	v_fma_f64 v[92:93], -v[86:87], v[88:89], 1.0
	v_fmac_f64_e32 v[88:89], v[88:89], v[92:93]
	v_div_scale_f64 v[92:93], vcc, 1.0, v[84:85], 1.0
	v_mul_f64 v[94:95], v[92:93], v[88:89]
	v_fma_f64 v[86:87], -v[86:87], v[94:95], v[92:93]
	s_nop 1
	v_div_fmas_f64 v[86:87], v[86:87], v[88:89], v[94:95]
	v_div_fixup_f64 v[88:89], v[86:87], v[84:85], 1.0
	v_mul_f64 v[90:91], v[90:91], -v[88:89]
.LBB39_16:
	s_or_b64 exec, exec, s[2:3]
	ds_write2_b64 v203, v[88:89], v[90:91] offset1:1
.LBB39_17:
	s_or_b64 exec, exec, s[4:5]
	s_waitcnt lgkmcnt(0)
	s_barrier
	ds_read2_b64 v[84:87], v203 offset1:1
	v_cmp_lt_u32_e32 vcc, 1, v202
	s_and_saveexec_b64 s[2:3], vcc
	s_cbranch_execz .LBB39_19
; %bb.18:
	ds_read2_b64 v[90:93], v204 offset0:4 offset1:5
	ds_read2_b64 v[94:97], v204 offset0:6 offset1:7
	s_waitcnt vmcnt(18) lgkmcnt(2)
	v_mul_f64 v[88:89], v[86:87], v[2:3]
	v_mul_f64 v[2:3], v[84:85], v[2:3]
	v_fmac_f64_e32 v[2:3], v[86:87], v[0:1]
	v_fma_f64 v[88:89], v[84:85], v[0:1], -v[88:89]
	s_waitcnt lgkmcnt(1)
	v_mul_f64 v[0:1], v[92:93], v[2:3]
	v_fma_f64 v[0:1], v[90:91], v[88:89], -v[0:1]
	v_mul_f64 v[90:91], v[90:91], v[2:3]
	v_fmac_f64_e32 v[90:91], v[92:93], v[88:89]
	s_waitcnt vmcnt(17)
	v_add_f64 v[72:73], v[72:73], -v[0:1]
	v_add_f64 v[74:75], v[74:75], -v[90:91]
	s_waitcnt lgkmcnt(0)
	v_mul_f64 v[0:1], v[96:97], v[2:3]
	ds_read2_b64 v[90:93], v204 offset0:8 offset1:9
	v_fma_f64 v[0:1], v[94:95], v[88:89], -v[0:1]
	v_mul_f64 v[94:95], v[94:95], v[2:3]
	v_fmac_f64_e32 v[94:95], v[96:97], v[88:89]
	s_waitcnt vmcnt(16)
	v_add_f64 v[70:71], v[70:71], -v[94:95]
	ds_read2_b64 v[94:97], v204 offset0:10 offset1:11
	v_add_f64 v[68:69], v[68:69], -v[0:1]
	s_waitcnt lgkmcnt(1)
	v_mul_f64 v[0:1], v[92:93], v[2:3]
	v_fma_f64 v[0:1], v[90:91], v[88:89], -v[0:1]
	v_mul_f64 v[90:91], v[90:91], v[2:3]
	v_fmac_f64_e32 v[90:91], v[92:93], v[88:89]
	s_waitcnt vmcnt(15)
	v_add_f64 v[64:65], v[64:65], -v[0:1]
	v_add_f64 v[66:67], v[66:67], -v[90:91]
	s_waitcnt lgkmcnt(0)
	v_mul_f64 v[0:1], v[96:97], v[2:3]
	ds_read2_b64 v[90:93], v204 offset0:12 offset1:13
	v_fma_f64 v[0:1], v[94:95], v[88:89], -v[0:1]
	v_mul_f64 v[94:95], v[94:95], v[2:3]
	v_fmac_f64_e32 v[94:95], v[96:97], v[88:89]
	s_waitcnt vmcnt(14)
	v_add_f64 v[62:63], v[62:63], -v[94:95]
	ds_read2_b64 v[94:97], v204 offset0:14 offset1:15
	v_add_f64 v[60:61], v[60:61], -v[0:1]
	s_waitcnt lgkmcnt(1)
	v_mul_f64 v[0:1], v[92:93], v[2:3]
	v_fma_f64 v[0:1], v[90:91], v[88:89], -v[0:1]
	v_mul_f64 v[90:91], v[90:91], v[2:3]
	v_fmac_f64_e32 v[90:91], v[92:93], v[88:89]
	s_waitcnt vmcnt(13)
	v_add_f64 v[56:57], v[56:57], -v[0:1]
	v_add_f64 v[58:59], v[58:59], -v[90:91]
	s_waitcnt lgkmcnt(0)
	v_mul_f64 v[0:1], v[96:97], v[2:3]
	ds_read2_b64 v[90:93], v204 offset0:16 offset1:17
	v_fma_f64 v[0:1], v[94:95], v[88:89], -v[0:1]
	v_mul_f64 v[94:95], v[94:95], v[2:3]
	v_fmac_f64_e32 v[94:95], v[96:97], v[88:89]
	s_waitcnt vmcnt(12)
	v_add_f64 v[54:55], v[54:55], -v[94:95]
	ds_read2_b64 v[94:97], v204 offset0:18 offset1:19
	v_add_f64 v[52:53], v[52:53], -v[0:1]
	s_waitcnt lgkmcnt(1)
	v_mul_f64 v[0:1], v[92:93], v[2:3]
	v_fma_f64 v[0:1], v[90:91], v[88:89], -v[0:1]
	v_mul_f64 v[90:91], v[90:91], v[2:3]
	v_fmac_f64_e32 v[90:91], v[92:93], v[88:89]
	s_waitcnt vmcnt(11)
	v_add_f64 v[48:49], v[48:49], -v[0:1]
	v_add_f64 v[50:51], v[50:51], -v[90:91]
	s_waitcnt lgkmcnt(0)
	v_mul_f64 v[0:1], v[96:97], v[2:3]
	ds_read2_b64 v[90:93], v204 offset0:20 offset1:21
	v_fma_f64 v[0:1], v[94:95], v[88:89], -v[0:1]
	v_mul_f64 v[94:95], v[94:95], v[2:3]
	v_fmac_f64_e32 v[94:95], v[96:97], v[88:89]
	s_waitcnt vmcnt(10)
	v_add_f64 v[46:47], v[46:47], -v[94:95]
	ds_read2_b64 v[94:97], v204 offset0:22 offset1:23
	v_add_f64 v[44:45], v[44:45], -v[0:1]
	s_waitcnt lgkmcnt(1)
	v_mul_f64 v[0:1], v[92:93], v[2:3]
	v_fma_f64 v[0:1], v[90:91], v[88:89], -v[0:1]
	v_mul_f64 v[90:91], v[90:91], v[2:3]
	v_fmac_f64_e32 v[90:91], v[92:93], v[88:89]
	s_waitcnt vmcnt(9)
	v_add_f64 v[40:41], v[40:41], -v[0:1]
	v_add_f64 v[42:43], v[42:43], -v[90:91]
	s_waitcnt lgkmcnt(0)
	v_mul_f64 v[0:1], v[96:97], v[2:3]
	ds_read2_b64 v[90:93], v204 offset0:24 offset1:25
	v_fma_f64 v[0:1], v[94:95], v[88:89], -v[0:1]
	v_mul_f64 v[94:95], v[94:95], v[2:3]
	v_fmac_f64_e32 v[94:95], v[96:97], v[88:89]
	s_waitcnt vmcnt(8)
	v_add_f64 v[38:39], v[38:39], -v[94:95]
	ds_read2_b64 v[94:97], v204 offset0:26 offset1:27
	v_add_f64 v[36:37], v[36:37], -v[0:1]
	s_waitcnt lgkmcnt(1)
	v_mul_f64 v[0:1], v[92:93], v[2:3]
	v_fma_f64 v[0:1], v[90:91], v[88:89], -v[0:1]
	v_mul_f64 v[90:91], v[90:91], v[2:3]
	v_fmac_f64_e32 v[90:91], v[92:93], v[88:89]
	s_waitcnt vmcnt(7)
	v_add_f64 v[32:33], v[32:33], -v[0:1]
	v_add_f64 v[34:35], v[34:35], -v[90:91]
	s_waitcnt lgkmcnt(0)
	v_mul_f64 v[0:1], v[96:97], v[2:3]
	ds_read2_b64 v[90:93], v204 offset0:28 offset1:29
	v_fma_f64 v[0:1], v[94:95], v[88:89], -v[0:1]
	v_mul_f64 v[94:95], v[94:95], v[2:3]
	v_fmac_f64_e32 v[94:95], v[96:97], v[88:89]
	s_waitcnt vmcnt(6)
	v_add_f64 v[30:31], v[30:31], -v[94:95]
	ds_read2_b64 v[94:97], v204 offset0:30 offset1:31
	v_add_f64 v[28:29], v[28:29], -v[0:1]
	s_waitcnt lgkmcnt(1)
	v_mul_f64 v[0:1], v[92:93], v[2:3]
	v_fma_f64 v[0:1], v[90:91], v[88:89], -v[0:1]
	v_mul_f64 v[90:91], v[90:91], v[2:3]
	v_fmac_f64_e32 v[90:91], v[92:93], v[88:89]
	s_waitcnt vmcnt(5)
	v_add_f64 v[24:25], v[24:25], -v[0:1]
	v_add_f64 v[26:27], v[26:27], -v[90:91]
	s_waitcnt lgkmcnt(0)
	v_mul_f64 v[0:1], v[96:97], v[2:3]
	ds_read2_b64 v[90:93], v204 offset0:32 offset1:33
	v_fma_f64 v[0:1], v[94:95], v[88:89], -v[0:1]
	v_mul_f64 v[94:95], v[94:95], v[2:3]
	v_fmac_f64_e32 v[94:95], v[96:97], v[88:89]
	s_waitcnt vmcnt(4)
	v_add_f64 v[22:23], v[22:23], -v[94:95]
	ds_read2_b64 v[94:97], v204 offset0:34 offset1:35
	v_add_f64 v[20:21], v[20:21], -v[0:1]
	s_waitcnt lgkmcnt(1)
	v_mul_f64 v[0:1], v[92:93], v[2:3]
	v_fma_f64 v[0:1], v[90:91], v[88:89], -v[0:1]
	v_mul_f64 v[90:91], v[90:91], v[2:3]
	v_fmac_f64_e32 v[90:91], v[92:93], v[88:89]
	s_waitcnt vmcnt(3)
	v_add_f64 v[16:17], v[16:17], -v[0:1]
	v_add_f64 v[18:19], v[18:19], -v[90:91]
	s_waitcnt lgkmcnt(0)
	v_mul_f64 v[0:1], v[96:97], v[2:3]
	ds_read2_b64 v[90:93], v204 offset0:36 offset1:37
	v_fma_f64 v[0:1], v[94:95], v[88:89], -v[0:1]
	v_mul_f64 v[94:95], v[94:95], v[2:3]
	v_fmac_f64_e32 v[94:95], v[96:97], v[88:89]
	s_waitcnt vmcnt(2)
	v_add_f64 v[14:15], v[14:15], -v[94:95]
	ds_read2_b64 v[94:97], v204 offset0:38 offset1:39
	v_add_f64 v[12:13], v[12:13], -v[0:1]
	s_waitcnt lgkmcnt(1)
	v_mul_f64 v[0:1], v[92:93], v[2:3]
	v_fma_f64 v[0:1], v[90:91], v[88:89], -v[0:1]
	v_mul_f64 v[90:91], v[90:91], v[2:3]
	v_fmac_f64_e32 v[90:91], v[92:93], v[88:89]
	s_waitcnt vmcnt(1)
	v_add_f64 v[8:9], v[8:9], -v[0:1]
	v_add_f64 v[10:11], v[10:11], -v[90:91]
	s_waitcnt lgkmcnt(0)
	v_mul_f64 v[0:1], v[96:97], v[2:3]
	v_mul_f64 v[90:91], v[94:95], v[2:3]
	v_fma_f64 v[0:1], v[94:95], v[88:89], -v[0:1]
	v_fmac_f64_e32 v[90:91], v[96:97], v[88:89]
	s_waitcnt vmcnt(0)
	v_add_f64 v[76:77], v[76:77], -v[0:1]
	v_add_f64 v[78:79], v[78:79], -v[90:91]
	v_mov_b64_e32 v[0:1], v[88:89]
.LBB39_19:
	s_or_b64 exec, exec, s[2:3]
	v_cmp_eq_u32_e32 vcc, 2, v202
	s_waitcnt lgkmcnt(0)
	s_barrier
	s_and_saveexec_b64 s[4:5], vcc
	s_cbranch_execz .LBB39_26
; %bb.20:
	s_waitcnt vmcnt(17)
	ds_write2_b64 v203, v[72:73], v[74:75] offset1:1
	s_waitcnt vmcnt(16)
	ds_write2_b64 v204, v[68:69], v[70:71] offset0:6 offset1:7
	s_waitcnt vmcnt(15)
	ds_write2_b64 v204, v[64:65], v[66:67] offset0:8 offset1:9
	s_waitcnt vmcnt(14)
	ds_write2_b64 v204, v[60:61], v[62:63] offset0:10 offset1:11
	s_waitcnt vmcnt(13)
	ds_write2_b64 v204, v[56:57], v[58:59] offset0:12 offset1:13
	s_waitcnt vmcnt(12)
	ds_write2_b64 v204, v[52:53], v[54:55] offset0:14 offset1:15
	s_waitcnt vmcnt(11)
	ds_write2_b64 v204, v[48:49], v[50:51] offset0:16 offset1:17
	s_waitcnt vmcnt(10)
	ds_write2_b64 v204, v[44:45], v[46:47] offset0:18 offset1:19
	s_waitcnt vmcnt(9)
	ds_write2_b64 v204, v[40:41], v[42:43] offset0:20 offset1:21
	s_waitcnt vmcnt(8)
	ds_write2_b64 v204, v[36:37], v[38:39] offset0:22 offset1:23
	s_waitcnt vmcnt(7)
	ds_write2_b64 v204, v[32:33], v[34:35] offset0:24 offset1:25
	s_waitcnt vmcnt(6)
	ds_write2_b64 v204, v[28:29], v[30:31] offset0:26 offset1:27
	s_waitcnt vmcnt(5)
	ds_write2_b64 v204, v[24:25], v[26:27] offset0:28 offset1:29
	s_waitcnt vmcnt(4)
	ds_write2_b64 v204, v[20:21], v[22:23] offset0:30 offset1:31
	s_waitcnt vmcnt(3)
	ds_write2_b64 v204, v[16:17], v[18:19] offset0:32 offset1:33
	s_waitcnt vmcnt(2)
	ds_write2_b64 v204, v[12:13], v[14:15] offset0:34 offset1:35
	s_waitcnt vmcnt(1)
	ds_write2_b64 v204, v[8:9], v[10:11] offset0:36 offset1:37
	s_waitcnt vmcnt(0)
	ds_write2_b64 v204, v[76:77], v[78:79] offset0:38 offset1:39
	ds_read2_b64 v[88:91], v203 offset1:1
	s_waitcnt lgkmcnt(0)
	v_cmp_neq_f64_e32 vcc, 0, v[88:89]
	v_cmp_neq_f64_e64 s[2:3], 0, v[90:91]
	s_or_b64 s[2:3], vcc, s[2:3]
	s_and_b64 exec, exec, s[2:3]
	s_cbranch_execz .LBB39_26
; %bb.21:
	v_cmp_ngt_f64_e64 s[2:3], |v[88:89]|, |v[90:91]|
                                        ; implicit-def: $vgpr92_vgpr93
	s_and_saveexec_b64 s[10:11], s[2:3]
	s_xor_b64 s[2:3], exec, s[10:11]
                                        ; implicit-def: $vgpr94_vgpr95
	s_cbranch_execz .LBB39_23
; %bb.22:
	v_div_scale_f64 v[92:93], s[10:11], v[90:91], v[90:91], v[88:89]
	v_rcp_f64_e32 v[94:95], v[92:93]
	v_div_scale_f64 v[96:97], vcc, v[88:89], v[90:91], v[88:89]
	v_fma_f64 v[98:99], -v[92:93], v[94:95], 1.0
	v_fmac_f64_e32 v[94:95], v[94:95], v[98:99]
	v_fma_f64 v[98:99], -v[92:93], v[94:95], 1.0
	v_fmac_f64_e32 v[94:95], v[94:95], v[98:99]
	v_mul_f64 v[98:99], v[96:97], v[94:95]
	v_fma_f64 v[92:93], -v[92:93], v[98:99], v[96:97]
	v_div_fmas_f64 v[92:93], v[92:93], v[94:95], v[98:99]
	v_div_fixup_f64 v[92:93], v[92:93], v[90:91], v[88:89]
	v_fmac_f64_e32 v[90:91], v[88:89], v[92:93]
	v_div_scale_f64 v[88:89], s[10:11], v[90:91], v[90:91], 1.0
	v_rcp_f64_e32 v[94:95], v[88:89]
	s_nop 0
	v_fma_f64 v[96:97], -v[88:89], v[94:95], 1.0
	v_fmac_f64_e32 v[94:95], v[94:95], v[96:97]
	v_fma_f64 v[96:97], -v[88:89], v[94:95], 1.0
	v_fmac_f64_e32 v[94:95], v[94:95], v[96:97]
	v_div_scale_f64 v[96:97], vcc, 1.0, v[90:91], 1.0
	v_mul_f64 v[98:99], v[96:97], v[94:95]
	v_fma_f64 v[88:89], -v[88:89], v[98:99], v[96:97]
	s_nop 1
	v_div_fmas_f64 v[88:89], v[88:89], v[94:95], v[98:99]
	v_div_fixup_f64 v[94:95], v[88:89], v[90:91], 1.0
	v_mul_f64 v[92:93], v[92:93], v[94:95]
	v_xor_b32_e32 v95, 0x80000000, v95
                                        ; implicit-def: $vgpr88_vgpr89
.LBB39_23:
	s_andn2_saveexec_b64 s[2:3], s[2:3]
	s_cbranch_execz .LBB39_25
; %bb.24:
	v_div_scale_f64 v[92:93], s[10:11], v[88:89], v[88:89], v[90:91]
	v_rcp_f64_e32 v[94:95], v[92:93]
	v_div_scale_f64 v[96:97], vcc, v[90:91], v[88:89], v[90:91]
	v_fma_f64 v[98:99], -v[92:93], v[94:95], 1.0
	v_fmac_f64_e32 v[94:95], v[94:95], v[98:99]
	v_fma_f64 v[98:99], -v[92:93], v[94:95], 1.0
	v_fmac_f64_e32 v[94:95], v[94:95], v[98:99]
	v_mul_f64 v[98:99], v[96:97], v[94:95]
	v_fma_f64 v[92:93], -v[92:93], v[98:99], v[96:97]
	v_div_fmas_f64 v[92:93], v[92:93], v[94:95], v[98:99]
	v_div_fixup_f64 v[94:95], v[92:93], v[88:89], v[90:91]
	v_fmac_f64_e32 v[88:89], v[90:91], v[94:95]
	v_div_scale_f64 v[90:91], s[10:11], v[88:89], v[88:89], 1.0
	v_rcp_f64_e32 v[92:93], v[90:91]
	s_nop 0
	v_fma_f64 v[96:97], -v[90:91], v[92:93], 1.0
	v_fmac_f64_e32 v[92:93], v[92:93], v[96:97]
	v_fma_f64 v[96:97], -v[90:91], v[92:93], 1.0
	v_fmac_f64_e32 v[92:93], v[92:93], v[96:97]
	v_div_scale_f64 v[96:97], vcc, 1.0, v[88:89], 1.0
	v_mul_f64 v[98:99], v[96:97], v[92:93]
	v_fma_f64 v[90:91], -v[90:91], v[98:99], v[96:97]
	s_nop 1
	v_div_fmas_f64 v[90:91], v[90:91], v[92:93], v[98:99]
	v_div_fixup_f64 v[92:93], v[90:91], v[88:89], 1.0
	v_mul_f64 v[94:95], v[94:95], -v[92:93]
.LBB39_25:
	s_or_b64 exec, exec, s[2:3]
	ds_write2_b64 v203, v[92:93], v[94:95] offset1:1
.LBB39_26:
	s_or_b64 exec, exec, s[4:5]
	s_waitcnt lgkmcnt(0)
	s_barrier
	ds_read2_b64 v[88:91], v203 offset1:1
	v_cmp_lt_u32_e32 vcc, 2, v202
	s_and_saveexec_b64 s[2:3], vcc
	s_cbranch_execz .LBB39_28
; %bb.27:
	ds_read2_b64 v[94:97], v204 offset0:6 offset1:7
	ds_read2_b64 v[98:101], v204 offset0:8 offset1:9
	s_waitcnt vmcnt(17) lgkmcnt(2)
	v_mul_f64 v[92:93], v[90:91], v[74:75]
	v_mul_f64 v[74:75], v[88:89], v[74:75]
	v_fmac_f64_e32 v[74:75], v[90:91], v[72:73]
	v_fma_f64 v[92:93], v[88:89], v[72:73], -v[92:93]
	s_waitcnt lgkmcnt(1)
	v_mul_f64 v[72:73], v[96:97], v[74:75]
	v_fma_f64 v[72:73], v[94:95], v[92:93], -v[72:73]
	v_mul_f64 v[94:95], v[94:95], v[74:75]
	v_fmac_f64_e32 v[94:95], v[96:97], v[92:93]
	s_waitcnt vmcnt(16)
	v_add_f64 v[70:71], v[70:71], -v[94:95]
	ds_read2_b64 v[94:97], v204 offset0:10 offset1:11
	v_add_f64 v[68:69], v[68:69], -v[72:73]
	s_waitcnt lgkmcnt(1)
	v_mul_f64 v[72:73], v[100:101], v[74:75]
	v_fma_f64 v[72:73], v[98:99], v[92:93], -v[72:73]
	v_mul_f64 v[98:99], v[98:99], v[74:75]
	v_fmac_f64_e32 v[98:99], v[100:101], v[92:93]
	s_waitcnt vmcnt(15)
	v_add_f64 v[64:65], v[64:65], -v[72:73]
	v_add_f64 v[66:67], v[66:67], -v[98:99]
	ds_read2_b64 v[98:101], v204 offset0:12 offset1:13
	s_waitcnt lgkmcnt(1)
	v_mul_f64 v[72:73], v[96:97], v[74:75]
	v_fma_f64 v[72:73], v[94:95], v[92:93], -v[72:73]
	v_mul_f64 v[94:95], v[94:95], v[74:75]
	v_fmac_f64_e32 v[94:95], v[96:97], v[92:93]
	s_waitcnt vmcnt(14)
	v_add_f64 v[62:63], v[62:63], -v[94:95]
	ds_read2_b64 v[94:97], v204 offset0:14 offset1:15
	v_add_f64 v[60:61], v[60:61], -v[72:73]
	s_waitcnt lgkmcnt(1)
	v_mul_f64 v[72:73], v[100:101], v[74:75]
	v_fma_f64 v[72:73], v[98:99], v[92:93], -v[72:73]
	v_mul_f64 v[98:99], v[98:99], v[74:75]
	v_fmac_f64_e32 v[98:99], v[100:101], v[92:93]
	s_waitcnt vmcnt(13)
	v_add_f64 v[56:57], v[56:57], -v[72:73]
	v_add_f64 v[58:59], v[58:59], -v[98:99]
	ds_read2_b64 v[98:101], v204 offset0:16 offset1:17
	;; [unrolled: 18-line block ×7, first 2 shown]
	s_waitcnt lgkmcnt(1)
	v_mul_f64 v[72:73], v[96:97], v[74:75]
	v_fma_f64 v[72:73], v[94:95], v[92:93], -v[72:73]
	v_mul_f64 v[94:95], v[94:95], v[74:75]
	v_fmac_f64_e32 v[94:95], v[96:97], v[92:93]
	s_waitcnt vmcnt(2)
	v_add_f64 v[14:15], v[14:15], -v[94:95]
	ds_read2_b64 v[94:97], v204 offset0:38 offset1:39
	v_add_f64 v[12:13], v[12:13], -v[72:73]
	s_waitcnt lgkmcnt(1)
	v_mul_f64 v[72:73], v[100:101], v[74:75]
	v_fma_f64 v[72:73], v[98:99], v[92:93], -v[72:73]
	s_waitcnt vmcnt(1)
	v_add_f64 v[8:9], v[8:9], -v[72:73]
	s_waitcnt lgkmcnt(0)
	v_mul_f64 v[72:73], v[96:97], v[74:75]
	v_mul_f64 v[98:99], v[98:99], v[74:75]
	v_fma_f64 v[72:73], v[94:95], v[92:93], -v[72:73]
	v_mul_f64 v[94:95], v[94:95], v[74:75]
	v_fmac_f64_e32 v[98:99], v[100:101], v[92:93]
	v_fmac_f64_e32 v[94:95], v[96:97], v[92:93]
	v_add_f64 v[10:11], v[10:11], -v[98:99]
	s_waitcnt vmcnt(0)
	v_add_f64 v[76:77], v[76:77], -v[72:73]
	v_add_f64 v[78:79], v[78:79], -v[94:95]
	v_mov_b64_e32 v[72:73], v[92:93]
.LBB39_28:
	s_or_b64 exec, exec, s[2:3]
	v_cmp_eq_u32_e32 vcc, 3, v202
	s_waitcnt lgkmcnt(0)
	s_barrier
	s_and_saveexec_b64 s[4:5], vcc
	s_cbranch_execz .LBB39_35
; %bb.29:
	s_waitcnt vmcnt(16)
	ds_write2_b64 v203, v[68:69], v[70:71] offset1:1
	s_waitcnt vmcnt(15)
	ds_write2_b64 v204, v[64:65], v[66:67] offset0:8 offset1:9
	s_waitcnt vmcnt(14)
	ds_write2_b64 v204, v[60:61], v[62:63] offset0:10 offset1:11
	s_waitcnt vmcnt(13)
	ds_write2_b64 v204, v[56:57], v[58:59] offset0:12 offset1:13
	s_waitcnt vmcnt(12)
	ds_write2_b64 v204, v[52:53], v[54:55] offset0:14 offset1:15
	s_waitcnt vmcnt(11)
	ds_write2_b64 v204, v[48:49], v[50:51] offset0:16 offset1:17
	s_waitcnt vmcnt(10)
	ds_write2_b64 v204, v[44:45], v[46:47] offset0:18 offset1:19
	s_waitcnt vmcnt(9)
	ds_write2_b64 v204, v[40:41], v[42:43] offset0:20 offset1:21
	s_waitcnt vmcnt(8)
	ds_write2_b64 v204, v[36:37], v[38:39] offset0:22 offset1:23
	s_waitcnt vmcnt(7)
	ds_write2_b64 v204, v[32:33], v[34:35] offset0:24 offset1:25
	s_waitcnt vmcnt(6)
	ds_write2_b64 v204, v[28:29], v[30:31] offset0:26 offset1:27
	s_waitcnt vmcnt(5)
	ds_write2_b64 v204, v[24:25], v[26:27] offset0:28 offset1:29
	s_waitcnt vmcnt(4)
	ds_write2_b64 v204, v[20:21], v[22:23] offset0:30 offset1:31
	s_waitcnt vmcnt(3)
	ds_write2_b64 v204, v[16:17], v[18:19] offset0:32 offset1:33
	s_waitcnt vmcnt(2)
	ds_write2_b64 v204, v[12:13], v[14:15] offset0:34 offset1:35
	s_waitcnt vmcnt(1)
	ds_write2_b64 v204, v[8:9], v[10:11] offset0:36 offset1:37
	s_waitcnt vmcnt(0)
	ds_write2_b64 v204, v[76:77], v[78:79] offset0:38 offset1:39
	ds_read2_b64 v[92:95], v203 offset1:1
	s_waitcnt lgkmcnt(0)
	v_cmp_neq_f64_e32 vcc, 0, v[92:93]
	v_cmp_neq_f64_e64 s[2:3], 0, v[94:95]
	s_or_b64 s[2:3], vcc, s[2:3]
	s_and_b64 exec, exec, s[2:3]
	s_cbranch_execz .LBB39_35
; %bb.30:
	v_cmp_ngt_f64_e64 s[2:3], |v[92:93]|, |v[94:95]|
                                        ; implicit-def: $vgpr96_vgpr97
	s_and_saveexec_b64 s[10:11], s[2:3]
	s_xor_b64 s[2:3], exec, s[10:11]
                                        ; implicit-def: $vgpr98_vgpr99
	s_cbranch_execz .LBB39_32
; %bb.31:
	v_div_scale_f64 v[96:97], s[10:11], v[94:95], v[94:95], v[92:93]
	v_rcp_f64_e32 v[98:99], v[96:97]
	v_div_scale_f64 v[100:101], vcc, v[92:93], v[94:95], v[92:93]
	v_fma_f64 v[102:103], -v[96:97], v[98:99], 1.0
	v_fmac_f64_e32 v[98:99], v[98:99], v[102:103]
	v_fma_f64 v[102:103], -v[96:97], v[98:99], 1.0
	v_fmac_f64_e32 v[98:99], v[98:99], v[102:103]
	v_mul_f64 v[102:103], v[100:101], v[98:99]
	v_fma_f64 v[96:97], -v[96:97], v[102:103], v[100:101]
	v_div_fmas_f64 v[96:97], v[96:97], v[98:99], v[102:103]
	v_div_fixup_f64 v[96:97], v[96:97], v[94:95], v[92:93]
	v_fmac_f64_e32 v[94:95], v[92:93], v[96:97]
	v_div_scale_f64 v[92:93], s[10:11], v[94:95], v[94:95], 1.0
	v_rcp_f64_e32 v[98:99], v[92:93]
	s_nop 0
	v_fma_f64 v[100:101], -v[92:93], v[98:99], 1.0
	v_fmac_f64_e32 v[98:99], v[98:99], v[100:101]
	v_fma_f64 v[100:101], -v[92:93], v[98:99], 1.0
	v_fmac_f64_e32 v[98:99], v[98:99], v[100:101]
	v_div_scale_f64 v[100:101], vcc, 1.0, v[94:95], 1.0
	v_mul_f64 v[102:103], v[100:101], v[98:99]
	v_fma_f64 v[92:93], -v[92:93], v[102:103], v[100:101]
	s_nop 1
	v_div_fmas_f64 v[92:93], v[92:93], v[98:99], v[102:103]
	v_div_fixup_f64 v[98:99], v[92:93], v[94:95], 1.0
	v_mul_f64 v[96:97], v[96:97], v[98:99]
	v_xor_b32_e32 v99, 0x80000000, v99
                                        ; implicit-def: $vgpr92_vgpr93
.LBB39_32:
	s_andn2_saveexec_b64 s[2:3], s[2:3]
	s_cbranch_execz .LBB39_34
; %bb.33:
	v_div_scale_f64 v[96:97], s[10:11], v[92:93], v[92:93], v[94:95]
	v_rcp_f64_e32 v[98:99], v[96:97]
	v_div_scale_f64 v[100:101], vcc, v[94:95], v[92:93], v[94:95]
	v_fma_f64 v[102:103], -v[96:97], v[98:99], 1.0
	v_fmac_f64_e32 v[98:99], v[98:99], v[102:103]
	v_fma_f64 v[102:103], -v[96:97], v[98:99], 1.0
	v_fmac_f64_e32 v[98:99], v[98:99], v[102:103]
	v_mul_f64 v[102:103], v[100:101], v[98:99]
	v_fma_f64 v[96:97], -v[96:97], v[102:103], v[100:101]
	v_div_fmas_f64 v[96:97], v[96:97], v[98:99], v[102:103]
	v_div_fixup_f64 v[98:99], v[96:97], v[92:93], v[94:95]
	v_fmac_f64_e32 v[92:93], v[94:95], v[98:99]
	v_div_scale_f64 v[94:95], s[10:11], v[92:93], v[92:93], 1.0
	v_rcp_f64_e32 v[96:97], v[94:95]
	s_nop 0
	v_fma_f64 v[100:101], -v[94:95], v[96:97], 1.0
	v_fmac_f64_e32 v[96:97], v[96:97], v[100:101]
	v_fma_f64 v[100:101], -v[94:95], v[96:97], 1.0
	v_fmac_f64_e32 v[96:97], v[96:97], v[100:101]
	v_div_scale_f64 v[100:101], vcc, 1.0, v[92:93], 1.0
	v_mul_f64 v[102:103], v[100:101], v[96:97]
	v_fma_f64 v[94:95], -v[94:95], v[102:103], v[100:101]
	s_nop 1
	v_div_fmas_f64 v[94:95], v[94:95], v[96:97], v[102:103]
	v_div_fixup_f64 v[96:97], v[94:95], v[92:93], 1.0
	v_mul_f64 v[98:99], v[98:99], -v[96:97]
.LBB39_34:
	s_or_b64 exec, exec, s[2:3]
	ds_write2_b64 v203, v[96:97], v[98:99] offset1:1
.LBB39_35:
	s_or_b64 exec, exec, s[4:5]
	s_waitcnt lgkmcnt(0)
	s_barrier
	ds_read2_b64 v[92:95], v203 offset1:1
	v_cmp_lt_u32_e32 vcc, 3, v202
	s_and_saveexec_b64 s[2:3], vcc
	s_cbranch_execz .LBB39_37
; %bb.36:
	ds_read2_b64 v[98:101], v204 offset0:8 offset1:9
	ds_read2_b64 v[102:105], v204 offset0:10 offset1:11
	s_waitcnt vmcnt(16) lgkmcnt(2)
	v_mul_f64 v[96:97], v[92:93], v[70:71]
	v_fmac_f64_e32 v[96:97], v[94:95], v[68:69]
	v_mul_f64 v[70:71], v[94:95], v[70:71]
	v_fma_f64 v[68:69], v[92:93], v[68:69], -v[70:71]
	s_waitcnt lgkmcnt(1)
	v_mul_f64 v[70:71], v[100:101], v[96:97]
	v_fma_f64 v[70:71], v[98:99], v[68:69], -v[70:71]
	v_mul_f64 v[98:99], v[98:99], v[96:97]
	v_fmac_f64_e32 v[98:99], v[100:101], v[68:69]
	s_waitcnt vmcnt(15)
	v_add_f64 v[64:65], v[64:65], -v[70:71]
	v_add_f64 v[66:67], v[66:67], -v[98:99]
	s_waitcnt lgkmcnt(0)
	v_mul_f64 v[70:71], v[104:105], v[96:97]
	ds_read2_b64 v[98:101], v204 offset0:12 offset1:13
	v_fma_f64 v[70:71], v[102:103], v[68:69], -v[70:71]
	v_mul_f64 v[102:103], v[102:103], v[96:97]
	v_fmac_f64_e32 v[102:103], v[104:105], v[68:69]
	s_waitcnt vmcnt(14)
	v_add_f64 v[62:63], v[62:63], -v[102:103]
	ds_read2_b64 v[102:105], v204 offset0:14 offset1:15
	v_add_f64 v[60:61], v[60:61], -v[70:71]
	s_waitcnt lgkmcnt(1)
	v_mul_f64 v[70:71], v[100:101], v[96:97]
	v_fma_f64 v[70:71], v[98:99], v[68:69], -v[70:71]
	v_mul_f64 v[98:99], v[98:99], v[96:97]
	v_fmac_f64_e32 v[98:99], v[100:101], v[68:69]
	s_waitcnt vmcnt(13)
	v_add_f64 v[56:57], v[56:57], -v[70:71]
	v_add_f64 v[58:59], v[58:59], -v[98:99]
	s_waitcnt lgkmcnt(0)
	v_mul_f64 v[70:71], v[104:105], v[96:97]
	ds_read2_b64 v[98:101], v204 offset0:16 offset1:17
	v_fma_f64 v[70:71], v[102:103], v[68:69], -v[70:71]
	v_mul_f64 v[102:103], v[102:103], v[96:97]
	v_fmac_f64_e32 v[102:103], v[104:105], v[68:69]
	s_waitcnt vmcnt(12)
	v_add_f64 v[54:55], v[54:55], -v[102:103]
	ds_read2_b64 v[102:105], v204 offset0:18 offset1:19
	v_add_f64 v[52:53], v[52:53], -v[70:71]
	;; [unrolled: 18-line block ×7, first 2 shown]
	s_waitcnt lgkmcnt(1)
	v_mul_f64 v[70:71], v[100:101], v[96:97]
	v_fma_f64 v[70:71], v[98:99], v[68:69], -v[70:71]
	v_mul_f64 v[98:99], v[98:99], v[96:97]
	v_fmac_f64_e32 v[98:99], v[100:101], v[68:69]
	s_waitcnt vmcnt(1)
	v_add_f64 v[8:9], v[8:9], -v[70:71]
	v_add_f64 v[10:11], v[10:11], -v[98:99]
	s_waitcnt lgkmcnt(0)
	v_mul_f64 v[70:71], v[104:105], v[96:97]
	v_mul_f64 v[98:99], v[102:103], v[96:97]
	v_fma_f64 v[70:71], v[102:103], v[68:69], -v[70:71]
	v_fmac_f64_e32 v[98:99], v[104:105], v[68:69]
	s_waitcnt vmcnt(0)
	v_add_f64 v[76:77], v[76:77], -v[70:71]
	v_add_f64 v[78:79], v[78:79], -v[98:99]
	v_mov_b64_e32 v[70:71], v[96:97]
.LBB39_37:
	s_or_b64 exec, exec, s[2:3]
	v_cmp_eq_u32_e32 vcc, 4, v202
	s_waitcnt lgkmcnt(0)
	s_barrier
	s_and_saveexec_b64 s[4:5], vcc
	s_cbranch_execz .LBB39_44
; %bb.38:
	s_waitcnt vmcnt(15)
	ds_write2_b64 v203, v[64:65], v[66:67] offset1:1
	s_waitcnt vmcnt(14)
	ds_write2_b64 v204, v[60:61], v[62:63] offset0:10 offset1:11
	s_waitcnt vmcnt(13)
	ds_write2_b64 v204, v[56:57], v[58:59] offset0:12 offset1:13
	;; [unrolled: 2-line block ×15, first 2 shown]
	ds_read2_b64 v[96:99], v203 offset1:1
	s_waitcnt lgkmcnt(0)
	v_cmp_neq_f64_e32 vcc, 0, v[96:97]
	v_cmp_neq_f64_e64 s[2:3], 0, v[98:99]
	s_or_b64 s[2:3], vcc, s[2:3]
	s_and_b64 exec, exec, s[2:3]
	s_cbranch_execz .LBB39_44
; %bb.39:
	v_cmp_ngt_f64_e64 s[2:3], |v[96:97]|, |v[98:99]|
                                        ; implicit-def: $vgpr100_vgpr101
	s_and_saveexec_b64 s[10:11], s[2:3]
	s_xor_b64 s[2:3], exec, s[10:11]
                                        ; implicit-def: $vgpr102_vgpr103
	s_cbranch_execz .LBB39_41
; %bb.40:
	v_div_scale_f64 v[100:101], s[10:11], v[98:99], v[98:99], v[96:97]
	v_rcp_f64_e32 v[102:103], v[100:101]
	v_div_scale_f64 v[104:105], vcc, v[96:97], v[98:99], v[96:97]
	v_fma_f64 v[106:107], -v[100:101], v[102:103], 1.0
	v_fmac_f64_e32 v[102:103], v[102:103], v[106:107]
	v_fma_f64 v[106:107], -v[100:101], v[102:103], 1.0
	v_fmac_f64_e32 v[102:103], v[102:103], v[106:107]
	v_mul_f64 v[106:107], v[104:105], v[102:103]
	v_fma_f64 v[100:101], -v[100:101], v[106:107], v[104:105]
	v_div_fmas_f64 v[100:101], v[100:101], v[102:103], v[106:107]
	v_div_fixup_f64 v[100:101], v[100:101], v[98:99], v[96:97]
	v_fmac_f64_e32 v[98:99], v[96:97], v[100:101]
	v_div_scale_f64 v[96:97], s[10:11], v[98:99], v[98:99], 1.0
	v_rcp_f64_e32 v[102:103], v[96:97]
	s_nop 0
	v_fma_f64 v[104:105], -v[96:97], v[102:103], 1.0
	v_fmac_f64_e32 v[102:103], v[102:103], v[104:105]
	v_fma_f64 v[104:105], -v[96:97], v[102:103], 1.0
	v_fmac_f64_e32 v[102:103], v[102:103], v[104:105]
	v_div_scale_f64 v[104:105], vcc, 1.0, v[98:99], 1.0
	v_mul_f64 v[106:107], v[104:105], v[102:103]
	v_fma_f64 v[96:97], -v[96:97], v[106:107], v[104:105]
	s_nop 1
	v_div_fmas_f64 v[96:97], v[96:97], v[102:103], v[106:107]
	v_div_fixup_f64 v[102:103], v[96:97], v[98:99], 1.0
	v_mul_f64 v[100:101], v[100:101], v[102:103]
	v_xor_b32_e32 v103, 0x80000000, v103
                                        ; implicit-def: $vgpr96_vgpr97
.LBB39_41:
	s_andn2_saveexec_b64 s[2:3], s[2:3]
	s_cbranch_execz .LBB39_43
; %bb.42:
	v_div_scale_f64 v[100:101], s[10:11], v[96:97], v[96:97], v[98:99]
	v_rcp_f64_e32 v[102:103], v[100:101]
	v_div_scale_f64 v[104:105], vcc, v[98:99], v[96:97], v[98:99]
	v_fma_f64 v[106:107], -v[100:101], v[102:103], 1.0
	v_fmac_f64_e32 v[102:103], v[102:103], v[106:107]
	v_fma_f64 v[106:107], -v[100:101], v[102:103], 1.0
	v_fmac_f64_e32 v[102:103], v[102:103], v[106:107]
	v_mul_f64 v[106:107], v[104:105], v[102:103]
	v_fma_f64 v[100:101], -v[100:101], v[106:107], v[104:105]
	v_div_fmas_f64 v[100:101], v[100:101], v[102:103], v[106:107]
	v_div_fixup_f64 v[102:103], v[100:101], v[96:97], v[98:99]
	v_fmac_f64_e32 v[96:97], v[98:99], v[102:103]
	v_div_scale_f64 v[98:99], s[10:11], v[96:97], v[96:97], 1.0
	v_rcp_f64_e32 v[100:101], v[98:99]
	s_nop 0
	v_fma_f64 v[104:105], -v[98:99], v[100:101], 1.0
	v_fmac_f64_e32 v[100:101], v[100:101], v[104:105]
	v_fma_f64 v[104:105], -v[98:99], v[100:101], 1.0
	v_fmac_f64_e32 v[100:101], v[100:101], v[104:105]
	v_div_scale_f64 v[104:105], vcc, 1.0, v[96:97], 1.0
	v_mul_f64 v[106:107], v[104:105], v[100:101]
	v_fma_f64 v[98:99], -v[98:99], v[106:107], v[104:105]
	s_nop 1
	v_div_fmas_f64 v[98:99], v[98:99], v[100:101], v[106:107]
	v_div_fixup_f64 v[100:101], v[98:99], v[96:97], 1.0
	v_mul_f64 v[102:103], v[102:103], -v[100:101]
.LBB39_43:
	s_or_b64 exec, exec, s[2:3]
	ds_write2_b64 v203, v[100:101], v[102:103] offset1:1
.LBB39_44:
	s_or_b64 exec, exec, s[4:5]
	s_waitcnt lgkmcnt(0)
	s_barrier
	ds_read2_b64 v[96:99], v203 offset1:1
	v_cmp_lt_u32_e32 vcc, 4, v202
	s_and_saveexec_b64 s[2:3], vcc
	s_cbranch_execz .LBB39_46
; %bb.45:
	ds_read2_b64 v[102:105], v204 offset0:10 offset1:11
	ds_read2_b64 v[106:109], v204 offset0:12 offset1:13
	s_waitcnt vmcnt(15) lgkmcnt(2)
	v_mul_f64 v[100:101], v[96:97], v[66:67]
	v_fmac_f64_e32 v[100:101], v[98:99], v[64:65]
	v_mul_f64 v[66:67], v[98:99], v[66:67]
	v_fma_f64 v[64:65], v[96:97], v[64:65], -v[66:67]
	s_waitcnt lgkmcnt(1)
	v_mul_f64 v[66:67], v[104:105], v[100:101]
	v_fma_f64 v[66:67], v[102:103], v[64:65], -v[66:67]
	v_mul_f64 v[102:103], v[102:103], v[100:101]
	v_fmac_f64_e32 v[102:103], v[104:105], v[64:65]
	s_waitcnt vmcnt(14)
	v_add_f64 v[62:63], v[62:63], -v[102:103]
	ds_read2_b64 v[102:105], v204 offset0:14 offset1:15
	v_add_f64 v[60:61], v[60:61], -v[66:67]
	s_waitcnt lgkmcnt(1)
	v_mul_f64 v[66:67], v[108:109], v[100:101]
	v_fma_f64 v[66:67], v[106:107], v[64:65], -v[66:67]
	v_mul_f64 v[106:107], v[106:107], v[100:101]
	v_fmac_f64_e32 v[106:107], v[108:109], v[64:65]
	s_waitcnt vmcnt(13)
	v_add_f64 v[56:57], v[56:57], -v[66:67]
	v_add_f64 v[58:59], v[58:59], -v[106:107]
	ds_read2_b64 v[106:109], v204 offset0:16 offset1:17
	s_waitcnt lgkmcnt(1)
	v_mul_f64 v[66:67], v[104:105], v[100:101]
	v_fma_f64 v[66:67], v[102:103], v[64:65], -v[66:67]
	v_mul_f64 v[102:103], v[102:103], v[100:101]
	v_fmac_f64_e32 v[102:103], v[104:105], v[64:65]
	s_waitcnt vmcnt(12)
	v_add_f64 v[54:55], v[54:55], -v[102:103]
	ds_read2_b64 v[102:105], v204 offset0:18 offset1:19
	v_add_f64 v[52:53], v[52:53], -v[66:67]
	s_waitcnt lgkmcnt(1)
	v_mul_f64 v[66:67], v[108:109], v[100:101]
	v_fma_f64 v[66:67], v[106:107], v[64:65], -v[66:67]
	v_mul_f64 v[106:107], v[106:107], v[100:101]
	v_fmac_f64_e32 v[106:107], v[108:109], v[64:65]
	s_waitcnt vmcnt(11)
	v_add_f64 v[48:49], v[48:49], -v[66:67]
	v_add_f64 v[50:51], v[50:51], -v[106:107]
	ds_read2_b64 v[106:109], v204 offset0:20 offset1:21
	;; [unrolled: 18-line block ×6, first 2 shown]
	s_waitcnt lgkmcnt(1)
	v_mul_f64 v[66:67], v[104:105], v[100:101]
	v_fma_f64 v[66:67], v[102:103], v[64:65], -v[66:67]
	v_mul_f64 v[102:103], v[102:103], v[100:101]
	v_fmac_f64_e32 v[102:103], v[104:105], v[64:65]
	s_waitcnt vmcnt(2)
	v_add_f64 v[14:15], v[14:15], -v[102:103]
	ds_read2_b64 v[102:105], v204 offset0:38 offset1:39
	v_add_f64 v[12:13], v[12:13], -v[66:67]
	s_waitcnt lgkmcnt(1)
	v_mul_f64 v[66:67], v[108:109], v[100:101]
	v_fma_f64 v[66:67], v[106:107], v[64:65], -v[66:67]
	s_waitcnt vmcnt(1)
	v_add_f64 v[8:9], v[8:9], -v[66:67]
	s_waitcnt lgkmcnt(0)
	v_mul_f64 v[66:67], v[104:105], v[100:101]
	v_mul_f64 v[106:107], v[106:107], v[100:101]
	v_fma_f64 v[66:67], v[102:103], v[64:65], -v[66:67]
	v_mul_f64 v[102:103], v[102:103], v[100:101]
	v_fmac_f64_e32 v[106:107], v[108:109], v[64:65]
	v_fmac_f64_e32 v[102:103], v[104:105], v[64:65]
	v_add_f64 v[10:11], v[10:11], -v[106:107]
	s_waitcnt vmcnt(0)
	v_add_f64 v[76:77], v[76:77], -v[66:67]
	v_add_f64 v[78:79], v[78:79], -v[102:103]
	v_mov_b64_e32 v[66:67], v[100:101]
.LBB39_46:
	s_or_b64 exec, exec, s[2:3]
	v_cmp_eq_u32_e32 vcc, 5, v202
	s_waitcnt lgkmcnt(0)
	s_barrier
	s_and_saveexec_b64 s[4:5], vcc
	s_cbranch_execz .LBB39_53
; %bb.47:
	s_waitcnt vmcnt(14)
	ds_write2_b64 v203, v[60:61], v[62:63] offset1:1
	s_waitcnt vmcnt(13)
	ds_write2_b64 v204, v[56:57], v[58:59] offset0:12 offset1:13
	s_waitcnt vmcnt(12)
	ds_write2_b64 v204, v[52:53], v[54:55] offset0:14 offset1:15
	;; [unrolled: 2-line block ×14, first 2 shown]
	ds_read2_b64 v[100:103], v203 offset1:1
	s_waitcnt lgkmcnt(0)
	v_cmp_neq_f64_e32 vcc, 0, v[100:101]
	v_cmp_neq_f64_e64 s[2:3], 0, v[102:103]
	s_or_b64 s[2:3], vcc, s[2:3]
	s_and_b64 exec, exec, s[2:3]
	s_cbranch_execz .LBB39_53
; %bb.48:
	v_cmp_ngt_f64_e64 s[2:3], |v[100:101]|, |v[102:103]|
                                        ; implicit-def: $vgpr104_vgpr105
	s_and_saveexec_b64 s[10:11], s[2:3]
	s_xor_b64 s[2:3], exec, s[10:11]
                                        ; implicit-def: $vgpr106_vgpr107
	s_cbranch_execz .LBB39_50
; %bb.49:
	v_div_scale_f64 v[104:105], s[10:11], v[102:103], v[102:103], v[100:101]
	v_rcp_f64_e32 v[106:107], v[104:105]
	v_div_scale_f64 v[108:109], vcc, v[100:101], v[102:103], v[100:101]
	v_fma_f64 v[110:111], -v[104:105], v[106:107], 1.0
	v_fmac_f64_e32 v[106:107], v[106:107], v[110:111]
	v_fma_f64 v[110:111], -v[104:105], v[106:107], 1.0
	v_fmac_f64_e32 v[106:107], v[106:107], v[110:111]
	v_mul_f64 v[110:111], v[108:109], v[106:107]
	v_fma_f64 v[104:105], -v[104:105], v[110:111], v[108:109]
	v_div_fmas_f64 v[104:105], v[104:105], v[106:107], v[110:111]
	v_div_fixup_f64 v[104:105], v[104:105], v[102:103], v[100:101]
	v_fmac_f64_e32 v[102:103], v[100:101], v[104:105]
	v_div_scale_f64 v[100:101], s[10:11], v[102:103], v[102:103], 1.0
	v_rcp_f64_e32 v[106:107], v[100:101]
	s_nop 0
	v_fma_f64 v[108:109], -v[100:101], v[106:107], 1.0
	v_fmac_f64_e32 v[106:107], v[106:107], v[108:109]
	v_fma_f64 v[108:109], -v[100:101], v[106:107], 1.0
	v_fmac_f64_e32 v[106:107], v[106:107], v[108:109]
	v_div_scale_f64 v[108:109], vcc, 1.0, v[102:103], 1.0
	v_mul_f64 v[110:111], v[108:109], v[106:107]
	v_fma_f64 v[100:101], -v[100:101], v[110:111], v[108:109]
	s_nop 1
	v_div_fmas_f64 v[100:101], v[100:101], v[106:107], v[110:111]
	v_div_fixup_f64 v[106:107], v[100:101], v[102:103], 1.0
	v_mul_f64 v[104:105], v[104:105], v[106:107]
	v_xor_b32_e32 v107, 0x80000000, v107
                                        ; implicit-def: $vgpr100_vgpr101
.LBB39_50:
	s_andn2_saveexec_b64 s[2:3], s[2:3]
	s_cbranch_execz .LBB39_52
; %bb.51:
	v_div_scale_f64 v[104:105], s[10:11], v[100:101], v[100:101], v[102:103]
	v_rcp_f64_e32 v[106:107], v[104:105]
	v_div_scale_f64 v[108:109], vcc, v[102:103], v[100:101], v[102:103]
	v_fma_f64 v[110:111], -v[104:105], v[106:107], 1.0
	v_fmac_f64_e32 v[106:107], v[106:107], v[110:111]
	v_fma_f64 v[110:111], -v[104:105], v[106:107], 1.0
	v_fmac_f64_e32 v[106:107], v[106:107], v[110:111]
	v_mul_f64 v[110:111], v[108:109], v[106:107]
	v_fma_f64 v[104:105], -v[104:105], v[110:111], v[108:109]
	v_div_fmas_f64 v[104:105], v[104:105], v[106:107], v[110:111]
	v_div_fixup_f64 v[106:107], v[104:105], v[100:101], v[102:103]
	v_fmac_f64_e32 v[100:101], v[102:103], v[106:107]
	v_div_scale_f64 v[102:103], s[10:11], v[100:101], v[100:101], 1.0
	v_rcp_f64_e32 v[104:105], v[102:103]
	s_nop 0
	v_fma_f64 v[108:109], -v[102:103], v[104:105], 1.0
	v_fmac_f64_e32 v[104:105], v[104:105], v[108:109]
	v_fma_f64 v[108:109], -v[102:103], v[104:105], 1.0
	v_fmac_f64_e32 v[104:105], v[104:105], v[108:109]
	v_div_scale_f64 v[108:109], vcc, 1.0, v[100:101], 1.0
	v_mul_f64 v[110:111], v[108:109], v[104:105]
	v_fma_f64 v[102:103], -v[102:103], v[110:111], v[108:109]
	s_nop 1
	v_div_fmas_f64 v[102:103], v[102:103], v[104:105], v[110:111]
	v_div_fixup_f64 v[104:105], v[102:103], v[100:101], 1.0
	v_mul_f64 v[106:107], v[106:107], -v[104:105]
.LBB39_52:
	s_or_b64 exec, exec, s[2:3]
	ds_write2_b64 v203, v[104:105], v[106:107] offset1:1
.LBB39_53:
	s_or_b64 exec, exec, s[4:5]
	s_waitcnt lgkmcnt(0)
	s_barrier
	ds_read2_b64 v[100:103], v203 offset1:1
	v_cmp_lt_u32_e32 vcc, 5, v202
	s_and_saveexec_b64 s[2:3], vcc
	s_cbranch_execz .LBB39_55
; %bb.54:
	ds_read2_b64 v[106:109], v204 offset0:12 offset1:13
	ds_read2_b64 v[110:113], v204 offset0:14 offset1:15
	s_waitcnt vmcnt(14) lgkmcnt(2)
	v_mul_f64 v[104:105], v[100:101], v[62:63]
	v_fmac_f64_e32 v[104:105], v[102:103], v[60:61]
	v_mul_f64 v[62:63], v[102:103], v[62:63]
	v_fma_f64 v[60:61], v[100:101], v[60:61], -v[62:63]
	s_waitcnt lgkmcnt(1)
	v_mul_f64 v[62:63], v[108:109], v[104:105]
	v_fma_f64 v[62:63], v[106:107], v[60:61], -v[62:63]
	v_mul_f64 v[106:107], v[106:107], v[104:105]
	v_fmac_f64_e32 v[106:107], v[108:109], v[60:61]
	s_waitcnt vmcnt(13)
	v_add_f64 v[56:57], v[56:57], -v[62:63]
	v_add_f64 v[58:59], v[58:59], -v[106:107]
	s_waitcnt lgkmcnt(0)
	v_mul_f64 v[62:63], v[112:113], v[104:105]
	ds_read2_b64 v[106:109], v204 offset0:16 offset1:17
	v_fma_f64 v[62:63], v[110:111], v[60:61], -v[62:63]
	v_mul_f64 v[110:111], v[110:111], v[104:105]
	v_fmac_f64_e32 v[110:111], v[112:113], v[60:61]
	s_waitcnt vmcnt(12)
	v_add_f64 v[54:55], v[54:55], -v[110:111]
	ds_read2_b64 v[110:113], v204 offset0:18 offset1:19
	v_add_f64 v[52:53], v[52:53], -v[62:63]
	s_waitcnt lgkmcnt(1)
	v_mul_f64 v[62:63], v[108:109], v[104:105]
	v_fma_f64 v[62:63], v[106:107], v[60:61], -v[62:63]
	v_mul_f64 v[106:107], v[106:107], v[104:105]
	v_fmac_f64_e32 v[106:107], v[108:109], v[60:61]
	s_waitcnt vmcnt(11)
	v_add_f64 v[48:49], v[48:49], -v[62:63]
	v_add_f64 v[50:51], v[50:51], -v[106:107]
	s_waitcnt lgkmcnt(0)
	v_mul_f64 v[62:63], v[112:113], v[104:105]
	ds_read2_b64 v[106:109], v204 offset0:20 offset1:21
	v_fma_f64 v[62:63], v[110:111], v[60:61], -v[62:63]
	v_mul_f64 v[110:111], v[110:111], v[104:105]
	v_fmac_f64_e32 v[110:111], v[112:113], v[60:61]
	s_waitcnt vmcnt(10)
	v_add_f64 v[46:47], v[46:47], -v[110:111]
	ds_read2_b64 v[110:113], v204 offset0:22 offset1:23
	v_add_f64 v[44:45], v[44:45], -v[62:63]
	;; [unrolled: 18-line block ×6, first 2 shown]
	s_waitcnt lgkmcnt(1)
	v_mul_f64 v[62:63], v[108:109], v[104:105]
	v_fma_f64 v[62:63], v[106:107], v[60:61], -v[62:63]
	v_mul_f64 v[106:107], v[106:107], v[104:105]
	v_fmac_f64_e32 v[106:107], v[108:109], v[60:61]
	s_waitcnt vmcnt(1)
	v_add_f64 v[8:9], v[8:9], -v[62:63]
	v_add_f64 v[10:11], v[10:11], -v[106:107]
	s_waitcnt lgkmcnt(0)
	v_mul_f64 v[62:63], v[112:113], v[104:105]
	v_mul_f64 v[106:107], v[110:111], v[104:105]
	v_fma_f64 v[62:63], v[110:111], v[60:61], -v[62:63]
	v_fmac_f64_e32 v[106:107], v[112:113], v[60:61]
	s_waitcnt vmcnt(0)
	v_add_f64 v[76:77], v[76:77], -v[62:63]
	v_add_f64 v[78:79], v[78:79], -v[106:107]
	v_mov_b64_e32 v[62:63], v[104:105]
.LBB39_55:
	s_or_b64 exec, exec, s[2:3]
	v_cmp_eq_u32_e32 vcc, 6, v202
	s_waitcnt lgkmcnt(0)
	s_barrier
	s_and_saveexec_b64 s[4:5], vcc
	s_cbranch_execz .LBB39_62
; %bb.56:
	s_waitcnt vmcnt(13)
	ds_write2_b64 v203, v[56:57], v[58:59] offset1:1
	s_waitcnt vmcnt(12)
	ds_write2_b64 v204, v[52:53], v[54:55] offset0:14 offset1:15
	s_waitcnt vmcnt(11)
	ds_write2_b64 v204, v[48:49], v[50:51] offset0:16 offset1:17
	s_waitcnt vmcnt(10)
	ds_write2_b64 v204, v[44:45], v[46:47] offset0:18 offset1:19
	s_waitcnt vmcnt(9)
	ds_write2_b64 v204, v[40:41], v[42:43] offset0:20 offset1:21
	s_waitcnt vmcnt(8)
	ds_write2_b64 v204, v[36:37], v[38:39] offset0:22 offset1:23
	s_waitcnt vmcnt(7)
	ds_write2_b64 v204, v[32:33], v[34:35] offset0:24 offset1:25
	s_waitcnt vmcnt(6)
	ds_write2_b64 v204, v[28:29], v[30:31] offset0:26 offset1:27
	s_waitcnt vmcnt(5)
	ds_write2_b64 v204, v[24:25], v[26:27] offset0:28 offset1:29
	s_waitcnt vmcnt(4)
	ds_write2_b64 v204, v[20:21], v[22:23] offset0:30 offset1:31
	s_waitcnt vmcnt(3)
	ds_write2_b64 v204, v[16:17], v[18:19] offset0:32 offset1:33
	s_waitcnt vmcnt(2)
	ds_write2_b64 v204, v[12:13], v[14:15] offset0:34 offset1:35
	s_waitcnt vmcnt(1)
	ds_write2_b64 v204, v[8:9], v[10:11] offset0:36 offset1:37
	s_waitcnt vmcnt(0)
	ds_write2_b64 v204, v[76:77], v[78:79] offset0:38 offset1:39
	ds_read2_b64 v[104:107], v203 offset1:1
	s_waitcnt lgkmcnt(0)
	v_cmp_neq_f64_e32 vcc, 0, v[104:105]
	v_cmp_neq_f64_e64 s[2:3], 0, v[106:107]
	s_or_b64 s[2:3], vcc, s[2:3]
	s_and_b64 exec, exec, s[2:3]
	s_cbranch_execz .LBB39_62
; %bb.57:
	v_cmp_ngt_f64_e64 s[2:3], |v[104:105]|, |v[106:107]|
                                        ; implicit-def: $vgpr108_vgpr109
	s_and_saveexec_b64 s[10:11], s[2:3]
	s_xor_b64 s[2:3], exec, s[10:11]
                                        ; implicit-def: $vgpr110_vgpr111
	s_cbranch_execz .LBB39_59
; %bb.58:
	v_div_scale_f64 v[108:109], s[10:11], v[106:107], v[106:107], v[104:105]
	v_rcp_f64_e32 v[110:111], v[108:109]
	v_div_scale_f64 v[112:113], vcc, v[104:105], v[106:107], v[104:105]
	v_fma_f64 v[114:115], -v[108:109], v[110:111], 1.0
	v_fmac_f64_e32 v[110:111], v[110:111], v[114:115]
	v_fma_f64 v[114:115], -v[108:109], v[110:111], 1.0
	v_fmac_f64_e32 v[110:111], v[110:111], v[114:115]
	v_mul_f64 v[114:115], v[112:113], v[110:111]
	v_fma_f64 v[108:109], -v[108:109], v[114:115], v[112:113]
	v_div_fmas_f64 v[108:109], v[108:109], v[110:111], v[114:115]
	v_div_fixup_f64 v[108:109], v[108:109], v[106:107], v[104:105]
	v_fmac_f64_e32 v[106:107], v[104:105], v[108:109]
	v_div_scale_f64 v[104:105], s[10:11], v[106:107], v[106:107], 1.0
	v_rcp_f64_e32 v[110:111], v[104:105]
	s_nop 0
	v_fma_f64 v[112:113], -v[104:105], v[110:111], 1.0
	v_fmac_f64_e32 v[110:111], v[110:111], v[112:113]
	v_fma_f64 v[112:113], -v[104:105], v[110:111], 1.0
	v_fmac_f64_e32 v[110:111], v[110:111], v[112:113]
	v_div_scale_f64 v[112:113], vcc, 1.0, v[106:107], 1.0
	v_mul_f64 v[114:115], v[112:113], v[110:111]
	v_fma_f64 v[104:105], -v[104:105], v[114:115], v[112:113]
	s_nop 1
	v_div_fmas_f64 v[104:105], v[104:105], v[110:111], v[114:115]
	v_div_fixup_f64 v[110:111], v[104:105], v[106:107], 1.0
	v_mul_f64 v[108:109], v[108:109], v[110:111]
	v_xor_b32_e32 v111, 0x80000000, v111
                                        ; implicit-def: $vgpr104_vgpr105
.LBB39_59:
	s_andn2_saveexec_b64 s[2:3], s[2:3]
	s_cbranch_execz .LBB39_61
; %bb.60:
	v_div_scale_f64 v[108:109], s[10:11], v[104:105], v[104:105], v[106:107]
	v_rcp_f64_e32 v[110:111], v[108:109]
	v_div_scale_f64 v[112:113], vcc, v[106:107], v[104:105], v[106:107]
	v_fma_f64 v[114:115], -v[108:109], v[110:111], 1.0
	v_fmac_f64_e32 v[110:111], v[110:111], v[114:115]
	v_fma_f64 v[114:115], -v[108:109], v[110:111], 1.0
	v_fmac_f64_e32 v[110:111], v[110:111], v[114:115]
	v_mul_f64 v[114:115], v[112:113], v[110:111]
	v_fma_f64 v[108:109], -v[108:109], v[114:115], v[112:113]
	v_div_fmas_f64 v[108:109], v[108:109], v[110:111], v[114:115]
	v_div_fixup_f64 v[110:111], v[108:109], v[104:105], v[106:107]
	v_fmac_f64_e32 v[104:105], v[106:107], v[110:111]
	v_div_scale_f64 v[106:107], s[10:11], v[104:105], v[104:105], 1.0
	v_rcp_f64_e32 v[108:109], v[106:107]
	s_nop 0
	v_fma_f64 v[112:113], -v[106:107], v[108:109], 1.0
	v_fmac_f64_e32 v[108:109], v[108:109], v[112:113]
	v_fma_f64 v[112:113], -v[106:107], v[108:109], 1.0
	v_fmac_f64_e32 v[108:109], v[108:109], v[112:113]
	v_div_scale_f64 v[112:113], vcc, 1.0, v[104:105], 1.0
	v_mul_f64 v[114:115], v[112:113], v[108:109]
	v_fma_f64 v[106:107], -v[106:107], v[114:115], v[112:113]
	s_nop 1
	v_div_fmas_f64 v[106:107], v[106:107], v[108:109], v[114:115]
	v_div_fixup_f64 v[108:109], v[106:107], v[104:105], 1.0
	v_mul_f64 v[110:111], v[110:111], -v[108:109]
.LBB39_61:
	s_or_b64 exec, exec, s[2:3]
	ds_write2_b64 v203, v[108:109], v[110:111] offset1:1
.LBB39_62:
	s_or_b64 exec, exec, s[4:5]
	s_waitcnt lgkmcnt(0)
	s_barrier
	ds_read2_b64 v[104:107], v203 offset1:1
	v_cmp_lt_u32_e32 vcc, 6, v202
	s_and_saveexec_b64 s[2:3], vcc
	s_cbranch_execz .LBB39_64
; %bb.63:
	ds_read2_b64 v[108:111], v204 offset0:14 offset1:15
	ds_read2_b64 v[112:115], v204 offset0:16 offset1:17
	s_waitcnt vmcnt(13) lgkmcnt(2)
	v_mul_f64 v[116:117], v[104:105], v[58:59]
	v_fmac_f64_e32 v[116:117], v[106:107], v[56:57]
	v_mul_f64 v[58:59], v[106:107], v[58:59]
	v_fma_f64 v[56:57], v[104:105], v[56:57], -v[58:59]
	s_waitcnt lgkmcnt(1)
	v_mul_f64 v[58:59], v[110:111], v[116:117]
	v_fma_f64 v[58:59], v[108:109], v[56:57], -v[58:59]
	v_mul_f64 v[108:109], v[108:109], v[116:117]
	v_fmac_f64_e32 v[108:109], v[110:111], v[56:57]
	s_waitcnt vmcnt(12)
	v_add_f64 v[54:55], v[54:55], -v[108:109]
	ds_read2_b64 v[108:111], v204 offset0:18 offset1:19
	v_add_f64 v[52:53], v[52:53], -v[58:59]
	s_waitcnt lgkmcnt(1)
	v_mul_f64 v[58:59], v[114:115], v[116:117]
	v_fma_f64 v[58:59], v[112:113], v[56:57], -v[58:59]
	v_mul_f64 v[112:113], v[112:113], v[116:117]
	v_fmac_f64_e32 v[112:113], v[114:115], v[56:57]
	s_waitcnt vmcnt(11)
	v_add_f64 v[48:49], v[48:49], -v[58:59]
	v_add_f64 v[50:51], v[50:51], -v[112:113]
	ds_read2_b64 v[112:115], v204 offset0:20 offset1:21
	s_waitcnt lgkmcnt(1)
	v_mul_f64 v[58:59], v[110:111], v[116:117]
	v_fma_f64 v[58:59], v[108:109], v[56:57], -v[58:59]
	v_mul_f64 v[108:109], v[108:109], v[116:117]
	v_fmac_f64_e32 v[108:109], v[110:111], v[56:57]
	s_waitcnt vmcnt(10)
	v_add_f64 v[46:47], v[46:47], -v[108:109]
	ds_read2_b64 v[108:111], v204 offset0:22 offset1:23
	v_add_f64 v[44:45], v[44:45], -v[58:59]
	s_waitcnt lgkmcnt(1)
	v_mul_f64 v[58:59], v[114:115], v[116:117]
	v_fma_f64 v[58:59], v[112:113], v[56:57], -v[58:59]
	v_mul_f64 v[112:113], v[112:113], v[116:117]
	v_fmac_f64_e32 v[112:113], v[114:115], v[56:57]
	s_waitcnt vmcnt(9)
	v_add_f64 v[40:41], v[40:41], -v[58:59]
	v_add_f64 v[42:43], v[42:43], -v[112:113]
	ds_read2_b64 v[112:115], v204 offset0:24 offset1:25
	;; [unrolled: 18-line block ×5, first 2 shown]
	s_waitcnt lgkmcnt(1)
	v_mul_f64 v[58:59], v[110:111], v[116:117]
	v_fma_f64 v[58:59], v[108:109], v[56:57], -v[58:59]
	v_mul_f64 v[108:109], v[108:109], v[116:117]
	v_fmac_f64_e32 v[108:109], v[110:111], v[56:57]
	s_waitcnt vmcnt(2)
	v_add_f64 v[14:15], v[14:15], -v[108:109]
	ds_read2_b64 v[108:111], v204 offset0:38 offset1:39
	v_add_f64 v[12:13], v[12:13], -v[58:59]
	s_waitcnt lgkmcnt(1)
	v_mul_f64 v[58:59], v[114:115], v[116:117]
	v_fma_f64 v[58:59], v[112:113], v[56:57], -v[58:59]
	s_waitcnt vmcnt(1)
	v_add_f64 v[8:9], v[8:9], -v[58:59]
	s_waitcnt lgkmcnt(0)
	v_mul_f64 v[58:59], v[110:111], v[116:117]
	v_mul_f64 v[112:113], v[112:113], v[116:117]
	v_fma_f64 v[58:59], v[108:109], v[56:57], -v[58:59]
	v_mul_f64 v[108:109], v[108:109], v[116:117]
	v_fmac_f64_e32 v[112:113], v[114:115], v[56:57]
	v_fmac_f64_e32 v[108:109], v[110:111], v[56:57]
	v_add_f64 v[10:11], v[10:11], -v[112:113]
	s_waitcnt vmcnt(0)
	v_add_f64 v[76:77], v[76:77], -v[58:59]
	v_add_f64 v[78:79], v[78:79], -v[108:109]
	v_mov_b64_e32 v[58:59], v[116:117]
.LBB39_64:
	s_or_b64 exec, exec, s[2:3]
	v_cmp_eq_u32_e32 vcc, 7, v202
	s_waitcnt lgkmcnt(0)
	s_barrier
	s_and_saveexec_b64 s[4:5], vcc
	s_cbranch_execz .LBB39_71
; %bb.65:
	s_waitcnt vmcnt(12)
	ds_write2_b64 v203, v[52:53], v[54:55] offset1:1
	s_waitcnt vmcnt(11)
	ds_write2_b64 v204, v[48:49], v[50:51] offset0:16 offset1:17
	s_waitcnt vmcnt(10)
	ds_write2_b64 v204, v[44:45], v[46:47] offset0:18 offset1:19
	;; [unrolled: 2-line block ×12, first 2 shown]
	ds_read2_b64 v[108:111], v203 offset1:1
	s_waitcnt lgkmcnt(0)
	v_cmp_neq_f64_e32 vcc, 0, v[108:109]
	v_cmp_neq_f64_e64 s[2:3], 0, v[110:111]
	s_or_b64 s[2:3], vcc, s[2:3]
	s_and_b64 exec, exec, s[2:3]
	s_cbranch_execz .LBB39_71
; %bb.66:
	v_cmp_ngt_f64_e64 s[2:3], |v[108:109]|, |v[110:111]|
                                        ; implicit-def: $vgpr112_vgpr113
	s_and_saveexec_b64 s[10:11], s[2:3]
	s_xor_b64 s[2:3], exec, s[10:11]
                                        ; implicit-def: $vgpr114_vgpr115
	s_cbranch_execz .LBB39_68
; %bb.67:
	v_div_scale_f64 v[112:113], s[10:11], v[110:111], v[110:111], v[108:109]
	v_rcp_f64_e32 v[114:115], v[112:113]
	v_div_scale_f64 v[116:117], vcc, v[108:109], v[110:111], v[108:109]
	v_fma_f64 v[118:119], -v[112:113], v[114:115], 1.0
	v_fmac_f64_e32 v[114:115], v[114:115], v[118:119]
	v_fma_f64 v[118:119], -v[112:113], v[114:115], 1.0
	v_fmac_f64_e32 v[114:115], v[114:115], v[118:119]
	v_mul_f64 v[118:119], v[116:117], v[114:115]
	v_fma_f64 v[112:113], -v[112:113], v[118:119], v[116:117]
	v_div_fmas_f64 v[112:113], v[112:113], v[114:115], v[118:119]
	v_div_fixup_f64 v[112:113], v[112:113], v[110:111], v[108:109]
	v_fmac_f64_e32 v[110:111], v[108:109], v[112:113]
	v_div_scale_f64 v[108:109], s[10:11], v[110:111], v[110:111], 1.0
	v_rcp_f64_e32 v[114:115], v[108:109]
	s_nop 0
	v_fma_f64 v[116:117], -v[108:109], v[114:115], 1.0
	v_fmac_f64_e32 v[114:115], v[114:115], v[116:117]
	v_fma_f64 v[116:117], -v[108:109], v[114:115], 1.0
	v_fmac_f64_e32 v[114:115], v[114:115], v[116:117]
	v_div_scale_f64 v[116:117], vcc, 1.0, v[110:111], 1.0
	v_mul_f64 v[118:119], v[116:117], v[114:115]
	v_fma_f64 v[108:109], -v[108:109], v[118:119], v[116:117]
	s_nop 1
	v_div_fmas_f64 v[108:109], v[108:109], v[114:115], v[118:119]
	v_div_fixup_f64 v[114:115], v[108:109], v[110:111], 1.0
	v_mul_f64 v[112:113], v[112:113], v[114:115]
	v_xor_b32_e32 v115, 0x80000000, v115
                                        ; implicit-def: $vgpr108_vgpr109
.LBB39_68:
	s_andn2_saveexec_b64 s[2:3], s[2:3]
	s_cbranch_execz .LBB39_70
; %bb.69:
	v_div_scale_f64 v[112:113], s[10:11], v[108:109], v[108:109], v[110:111]
	v_rcp_f64_e32 v[114:115], v[112:113]
	v_div_scale_f64 v[116:117], vcc, v[110:111], v[108:109], v[110:111]
	v_fma_f64 v[118:119], -v[112:113], v[114:115], 1.0
	v_fmac_f64_e32 v[114:115], v[114:115], v[118:119]
	v_fma_f64 v[118:119], -v[112:113], v[114:115], 1.0
	v_fmac_f64_e32 v[114:115], v[114:115], v[118:119]
	v_mul_f64 v[118:119], v[116:117], v[114:115]
	v_fma_f64 v[112:113], -v[112:113], v[118:119], v[116:117]
	v_div_fmas_f64 v[112:113], v[112:113], v[114:115], v[118:119]
	v_div_fixup_f64 v[114:115], v[112:113], v[108:109], v[110:111]
	v_fmac_f64_e32 v[108:109], v[110:111], v[114:115]
	v_div_scale_f64 v[110:111], s[10:11], v[108:109], v[108:109], 1.0
	v_rcp_f64_e32 v[112:113], v[110:111]
	s_nop 0
	v_fma_f64 v[116:117], -v[110:111], v[112:113], 1.0
	v_fmac_f64_e32 v[112:113], v[112:113], v[116:117]
	v_fma_f64 v[116:117], -v[110:111], v[112:113], 1.0
	v_fmac_f64_e32 v[112:113], v[112:113], v[116:117]
	v_div_scale_f64 v[116:117], vcc, 1.0, v[108:109], 1.0
	v_mul_f64 v[118:119], v[116:117], v[112:113]
	v_fma_f64 v[110:111], -v[110:111], v[118:119], v[116:117]
	s_nop 1
	v_div_fmas_f64 v[110:111], v[110:111], v[112:113], v[118:119]
	v_div_fixup_f64 v[112:113], v[110:111], v[108:109], 1.0
	v_mul_f64 v[114:115], v[114:115], -v[112:113]
.LBB39_70:
	s_or_b64 exec, exec, s[2:3]
	ds_write2_b64 v203, v[112:113], v[114:115] offset1:1
.LBB39_71:
	s_or_b64 exec, exec, s[4:5]
	s_waitcnt lgkmcnt(0)
	s_barrier
	ds_read2_b64 v[108:111], v203 offset1:1
	v_cmp_lt_u32_e32 vcc, 7, v202
	s_and_saveexec_b64 s[2:3], vcc
	s_cbranch_execz .LBB39_73
; %bb.72:
	ds_read2_b64 v[114:117], v204 offset0:16 offset1:17
	s_waitcnt vmcnt(12) lgkmcnt(1)
	v_mul_f64 v[112:113], v[108:109], v[54:55]
	v_fmac_f64_e32 v[112:113], v[110:111], v[52:53]
	v_mul_f64 v[54:55], v[110:111], v[54:55]
	v_fma_f64 v[52:53], v[108:109], v[52:53], -v[54:55]
	s_waitcnt lgkmcnt(0)
	v_mul_f64 v[54:55], v[116:117], v[112:113]
	v_fma_f64 v[54:55], v[114:115], v[52:53], -v[54:55]
	v_mul_f64 v[114:115], v[114:115], v[112:113]
	v_fmac_f64_e32 v[114:115], v[116:117], v[52:53]
	s_waitcnt vmcnt(11)
	v_add_f64 v[50:51], v[50:51], -v[114:115]
	ds_read2_b64 v[114:117], v204 offset0:18 offset1:19
	v_add_f64 v[48:49], v[48:49], -v[54:55]
	s_waitcnt lgkmcnt(0)
	v_mul_f64 v[54:55], v[116:117], v[112:113]
	v_fma_f64 v[54:55], v[114:115], v[52:53], -v[54:55]
	v_mul_f64 v[114:115], v[114:115], v[112:113]
	v_fmac_f64_e32 v[114:115], v[116:117], v[52:53]
	s_waitcnt vmcnt(10)
	v_add_f64 v[46:47], v[46:47], -v[114:115]
	ds_read2_b64 v[114:117], v204 offset0:20 offset1:21
	v_add_f64 v[44:45], v[44:45], -v[54:55]
	;; [unrolled: 9-line block ×11, first 2 shown]
	s_waitcnt lgkmcnt(0)
	v_mul_f64 v[54:55], v[116:117], v[112:113]
	v_fma_f64 v[54:55], v[114:115], v[52:53], -v[54:55]
	v_mul_f64 v[114:115], v[114:115], v[112:113]
	v_fmac_f64_e32 v[114:115], v[116:117], v[52:53]
	s_waitcnt vmcnt(0)
	v_add_f64 v[76:77], v[76:77], -v[54:55]
	v_add_f64 v[78:79], v[78:79], -v[114:115]
	v_mov_b64_e32 v[54:55], v[112:113]
.LBB39_73:
	s_or_b64 exec, exec, s[2:3]
	v_cmp_eq_u32_e32 vcc, 8, v202
	s_waitcnt lgkmcnt(0)
	s_barrier
	s_and_saveexec_b64 s[4:5], vcc
	s_cbranch_execz .LBB39_80
; %bb.74:
	s_waitcnt vmcnt(11)
	ds_write2_b64 v203, v[48:49], v[50:51] offset1:1
	s_waitcnt vmcnt(10)
	ds_write2_b64 v204, v[44:45], v[46:47] offset0:18 offset1:19
	s_waitcnt vmcnt(9)
	ds_write2_b64 v204, v[40:41], v[42:43] offset0:20 offset1:21
	;; [unrolled: 2-line block ×11, first 2 shown]
	ds_read2_b64 v[112:115], v203 offset1:1
	s_waitcnt lgkmcnt(0)
	v_cmp_neq_f64_e32 vcc, 0, v[112:113]
	v_cmp_neq_f64_e64 s[2:3], 0, v[114:115]
	s_or_b64 s[2:3], vcc, s[2:3]
	s_and_b64 exec, exec, s[2:3]
	s_cbranch_execz .LBB39_80
; %bb.75:
	v_cmp_ngt_f64_e64 s[2:3], |v[112:113]|, |v[114:115]|
                                        ; implicit-def: $vgpr116_vgpr117
	s_and_saveexec_b64 s[10:11], s[2:3]
	s_xor_b64 s[2:3], exec, s[10:11]
                                        ; implicit-def: $vgpr118_vgpr119
	s_cbranch_execz .LBB39_77
; %bb.76:
	v_div_scale_f64 v[116:117], s[10:11], v[114:115], v[114:115], v[112:113]
	v_rcp_f64_e32 v[118:119], v[116:117]
	v_div_scale_f64 v[120:121], vcc, v[112:113], v[114:115], v[112:113]
	v_fma_f64 v[122:123], -v[116:117], v[118:119], 1.0
	v_fmac_f64_e32 v[118:119], v[118:119], v[122:123]
	v_fma_f64 v[122:123], -v[116:117], v[118:119], 1.0
	v_fmac_f64_e32 v[118:119], v[118:119], v[122:123]
	v_mul_f64 v[122:123], v[120:121], v[118:119]
	v_fma_f64 v[116:117], -v[116:117], v[122:123], v[120:121]
	v_div_fmas_f64 v[116:117], v[116:117], v[118:119], v[122:123]
	v_div_fixup_f64 v[116:117], v[116:117], v[114:115], v[112:113]
	v_fmac_f64_e32 v[114:115], v[112:113], v[116:117]
	v_div_scale_f64 v[112:113], s[10:11], v[114:115], v[114:115], 1.0
	v_rcp_f64_e32 v[118:119], v[112:113]
	s_nop 0
	v_fma_f64 v[120:121], -v[112:113], v[118:119], 1.0
	v_fmac_f64_e32 v[118:119], v[118:119], v[120:121]
	v_fma_f64 v[120:121], -v[112:113], v[118:119], 1.0
	v_fmac_f64_e32 v[118:119], v[118:119], v[120:121]
	v_div_scale_f64 v[120:121], vcc, 1.0, v[114:115], 1.0
	v_mul_f64 v[122:123], v[120:121], v[118:119]
	v_fma_f64 v[112:113], -v[112:113], v[122:123], v[120:121]
	s_nop 1
	v_div_fmas_f64 v[112:113], v[112:113], v[118:119], v[122:123]
	v_div_fixup_f64 v[118:119], v[112:113], v[114:115], 1.0
	v_mul_f64 v[116:117], v[116:117], v[118:119]
	v_xor_b32_e32 v119, 0x80000000, v119
                                        ; implicit-def: $vgpr112_vgpr113
.LBB39_77:
	s_andn2_saveexec_b64 s[2:3], s[2:3]
	s_cbranch_execz .LBB39_79
; %bb.78:
	v_div_scale_f64 v[116:117], s[10:11], v[112:113], v[112:113], v[114:115]
	v_rcp_f64_e32 v[118:119], v[116:117]
	v_div_scale_f64 v[120:121], vcc, v[114:115], v[112:113], v[114:115]
	v_fma_f64 v[122:123], -v[116:117], v[118:119], 1.0
	v_fmac_f64_e32 v[118:119], v[118:119], v[122:123]
	v_fma_f64 v[122:123], -v[116:117], v[118:119], 1.0
	v_fmac_f64_e32 v[118:119], v[118:119], v[122:123]
	v_mul_f64 v[122:123], v[120:121], v[118:119]
	v_fma_f64 v[116:117], -v[116:117], v[122:123], v[120:121]
	v_div_fmas_f64 v[116:117], v[116:117], v[118:119], v[122:123]
	v_div_fixup_f64 v[118:119], v[116:117], v[112:113], v[114:115]
	v_fmac_f64_e32 v[112:113], v[114:115], v[118:119]
	v_div_scale_f64 v[114:115], s[10:11], v[112:113], v[112:113], 1.0
	v_rcp_f64_e32 v[116:117], v[114:115]
	s_nop 0
	v_fma_f64 v[120:121], -v[114:115], v[116:117], 1.0
	v_fmac_f64_e32 v[116:117], v[116:117], v[120:121]
	v_fma_f64 v[120:121], -v[114:115], v[116:117], 1.0
	v_fmac_f64_e32 v[116:117], v[116:117], v[120:121]
	v_div_scale_f64 v[120:121], vcc, 1.0, v[112:113], 1.0
	v_mul_f64 v[122:123], v[120:121], v[116:117]
	v_fma_f64 v[114:115], -v[114:115], v[122:123], v[120:121]
	s_nop 1
	v_div_fmas_f64 v[114:115], v[114:115], v[116:117], v[122:123]
	v_div_fixup_f64 v[116:117], v[114:115], v[112:113], 1.0
	v_mul_f64 v[118:119], v[118:119], -v[116:117]
.LBB39_79:
	s_or_b64 exec, exec, s[2:3]
	ds_write2_b64 v203, v[116:117], v[118:119] offset1:1
.LBB39_80:
	s_or_b64 exec, exec, s[4:5]
	s_waitcnt lgkmcnt(0)
	s_barrier
	ds_read2_b64 v[112:115], v203 offset1:1
	v_cmp_lt_u32_e32 vcc, 8, v202
	s_and_saveexec_b64 s[2:3], vcc
	s_cbranch_execz .LBB39_82
; %bb.81:
	ds_read2_b64 v[116:119], v204 offset0:18 offset1:19
	ds_read2_b64 v[120:123], v204 offset0:20 offset1:21
	s_waitcnt vmcnt(11) lgkmcnt(2)
	v_mul_f64 v[124:125], v[112:113], v[50:51]
	v_fmac_f64_e32 v[124:125], v[114:115], v[48:49]
	v_mul_f64 v[50:51], v[114:115], v[50:51]
	v_fma_f64 v[48:49], v[112:113], v[48:49], -v[50:51]
	s_waitcnt lgkmcnt(1)
	v_mul_f64 v[50:51], v[118:119], v[124:125]
	v_fma_f64 v[50:51], v[116:117], v[48:49], -v[50:51]
	v_mul_f64 v[116:117], v[116:117], v[124:125]
	v_fmac_f64_e32 v[116:117], v[118:119], v[48:49]
	s_waitcnt vmcnt(10)
	v_add_f64 v[46:47], v[46:47], -v[116:117]
	ds_read2_b64 v[116:119], v204 offset0:22 offset1:23
	v_add_f64 v[44:45], v[44:45], -v[50:51]
	s_waitcnt lgkmcnt(1)
	v_mul_f64 v[50:51], v[122:123], v[124:125]
	v_fma_f64 v[50:51], v[120:121], v[48:49], -v[50:51]
	v_mul_f64 v[120:121], v[120:121], v[124:125]
	v_fmac_f64_e32 v[120:121], v[122:123], v[48:49]
	s_waitcnt vmcnt(9)
	v_add_f64 v[40:41], v[40:41], -v[50:51]
	v_add_f64 v[42:43], v[42:43], -v[120:121]
	ds_read2_b64 v[120:123], v204 offset0:24 offset1:25
	s_waitcnt lgkmcnt(1)
	v_mul_f64 v[50:51], v[118:119], v[124:125]
	v_fma_f64 v[50:51], v[116:117], v[48:49], -v[50:51]
	v_mul_f64 v[116:117], v[116:117], v[124:125]
	v_fmac_f64_e32 v[116:117], v[118:119], v[48:49]
	s_waitcnt vmcnt(8)
	v_add_f64 v[38:39], v[38:39], -v[116:117]
	ds_read2_b64 v[116:119], v204 offset0:26 offset1:27
	v_add_f64 v[36:37], v[36:37], -v[50:51]
	s_waitcnt lgkmcnt(1)
	v_mul_f64 v[50:51], v[122:123], v[124:125]
	v_fma_f64 v[50:51], v[120:121], v[48:49], -v[50:51]
	v_mul_f64 v[120:121], v[120:121], v[124:125]
	v_fmac_f64_e32 v[120:121], v[122:123], v[48:49]
	s_waitcnt vmcnt(7)
	v_add_f64 v[32:33], v[32:33], -v[50:51]
	v_add_f64 v[34:35], v[34:35], -v[120:121]
	ds_read2_b64 v[120:123], v204 offset0:28 offset1:29
	;; [unrolled: 18-line block ×4, first 2 shown]
	s_waitcnt lgkmcnt(1)
	v_mul_f64 v[50:51], v[118:119], v[124:125]
	v_fma_f64 v[50:51], v[116:117], v[48:49], -v[50:51]
	v_mul_f64 v[116:117], v[116:117], v[124:125]
	v_fmac_f64_e32 v[116:117], v[118:119], v[48:49]
	s_waitcnt vmcnt(2)
	v_add_f64 v[14:15], v[14:15], -v[116:117]
	ds_read2_b64 v[116:119], v204 offset0:38 offset1:39
	v_add_f64 v[12:13], v[12:13], -v[50:51]
	s_waitcnt lgkmcnt(1)
	v_mul_f64 v[50:51], v[122:123], v[124:125]
	v_fma_f64 v[50:51], v[120:121], v[48:49], -v[50:51]
	s_waitcnt vmcnt(1)
	v_add_f64 v[8:9], v[8:9], -v[50:51]
	s_waitcnt lgkmcnt(0)
	v_mul_f64 v[50:51], v[118:119], v[124:125]
	v_mul_f64 v[120:121], v[120:121], v[124:125]
	v_fma_f64 v[50:51], v[116:117], v[48:49], -v[50:51]
	v_mul_f64 v[116:117], v[116:117], v[124:125]
	v_fmac_f64_e32 v[120:121], v[122:123], v[48:49]
	v_fmac_f64_e32 v[116:117], v[118:119], v[48:49]
	v_add_f64 v[10:11], v[10:11], -v[120:121]
	s_waitcnt vmcnt(0)
	v_add_f64 v[76:77], v[76:77], -v[50:51]
	v_add_f64 v[78:79], v[78:79], -v[116:117]
	v_mov_b64_e32 v[50:51], v[124:125]
.LBB39_82:
	s_or_b64 exec, exec, s[2:3]
	v_cmp_eq_u32_e32 vcc, 9, v202
	s_waitcnt lgkmcnt(0)
	s_barrier
	s_and_saveexec_b64 s[4:5], vcc
	s_cbranch_execz .LBB39_89
; %bb.83:
	s_waitcnt vmcnt(10)
	ds_write2_b64 v203, v[44:45], v[46:47] offset1:1
	s_waitcnt vmcnt(9)
	ds_write2_b64 v204, v[40:41], v[42:43] offset0:20 offset1:21
	s_waitcnt vmcnt(8)
	ds_write2_b64 v204, v[36:37], v[38:39] offset0:22 offset1:23
	;; [unrolled: 2-line block ×10, first 2 shown]
	ds_read2_b64 v[116:119], v203 offset1:1
	s_waitcnt lgkmcnt(0)
	v_cmp_neq_f64_e32 vcc, 0, v[116:117]
	v_cmp_neq_f64_e64 s[2:3], 0, v[118:119]
	s_or_b64 s[2:3], vcc, s[2:3]
	s_and_b64 exec, exec, s[2:3]
	s_cbranch_execz .LBB39_89
; %bb.84:
	v_cmp_ngt_f64_e64 s[2:3], |v[116:117]|, |v[118:119]|
                                        ; implicit-def: $vgpr120_vgpr121
	s_and_saveexec_b64 s[10:11], s[2:3]
	s_xor_b64 s[2:3], exec, s[10:11]
                                        ; implicit-def: $vgpr122_vgpr123
	s_cbranch_execz .LBB39_86
; %bb.85:
	v_div_scale_f64 v[120:121], s[10:11], v[118:119], v[118:119], v[116:117]
	v_rcp_f64_e32 v[122:123], v[120:121]
	v_div_scale_f64 v[124:125], vcc, v[116:117], v[118:119], v[116:117]
	v_fma_f64 v[126:127], -v[120:121], v[122:123], 1.0
	v_fmac_f64_e32 v[122:123], v[122:123], v[126:127]
	v_fma_f64 v[126:127], -v[120:121], v[122:123], 1.0
	v_fmac_f64_e32 v[122:123], v[122:123], v[126:127]
	v_mul_f64 v[126:127], v[124:125], v[122:123]
	v_fma_f64 v[120:121], -v[120:121], v[126:127], v[124:125]
	v_div_fmas_f64 v[120:121], v[120:121], v[122:123], v[126:127]
	v_div_fixup_f64 v[120:121], v[120:121], v[118:119], v[116:117]
	v_fmac_f64_e32 v[118:119], v[116:117], v[120:121]
	v_div_scale_f64 v[116:117], s[10:11], v[118:119], v[118:119], 1.0
	v_rcp_f64_e32 v[122:123], v[116:117]
	s_nop 0
	v_fma_f64 v[124:125], -v[116:117], v[122:123], 1.0
	v_fmac_f64_e32 v[122:123], v[122:123], v[124:125]
	v_fma_f64 v[124:125], -v[116:117], v[122:123], 1.0
	v_fmac_f64_e32 v[122:123], v[122:123], v[124:125]
	v_div_scale_f64 v[124:125], vcc, 1.0, v[118:119], 1.0
	v_mul_f64 v[126:127], v[124:125], v[122:123]
	v_fma_f64 v[116:117], -v[116:117], v[126:127], v[124:125]
	s_nop 1
	v_div_fmas_f64 v[116:117], v[116:117], v[122:123], v[126:127]
	v_div_fixup_f64 v[122:123], v[116:117], v[118:119], 1.0
	v_mul_f64 v[120:121], v[120:121], v[122:123]
	v_xor_b32_e32 v123, 0x80000000, v123
                                        ; implicit-def: $vgpr116_vgpr117
.LBB39_86:
	s_andn2_saveexec_b64 s[2:3], s[2:3]
	s_cbranch_execz .LBB39_88
; %bb.87:
	v_div_scale_f64 v[120:121], s[10:11], v[116:117], v[116:117], v[118:119]
	v_rcp_f64_e32 v[122:123], v[120:121]
	v_div_scale_f64 v[124:125], vcc, v[118:119], v[116:117], v[118:119]
	v_fma_f64 v[126:127], -v[120:121], v[122:123], 1.0
	v_fmac_f64_e32 v[122:123], v[122:123], v[126:127]
	v_fma_f64 v[126:127], -v[120:121], v[122:123], 1.0
	v_fmac_f64_e32 v[122:123], v[122:123], v[126:127]
	v_mul_f64 v[126:127], v[124:125], v[122:123]
	v_fma_f64 v[120:121], -v[120:121], v[126:127], v[124:125]
	v_div_fmas_f64 v[120:121], v[120:121], v[122:123], v[126:127]
	v_div_fixup_f64 v[122:123], v[120:121], v[116:117], v[118:119]
	v_fmac_f64_e32 v[116:117], v[118:119], v[122:123]
	v_div_scale_f64 v[118:119], s[10:11], v[116:117], v[116:117], 1.0
	v_rcp_f64_e32 v[120:121], v[118:119]
	s_nop 0
	v_fma_f64 v[124:125], -v[118:119], v[120:121], 1.0
	v_fmac_f64_e32 v[120:121], v[120:121], v[124:125]
	v_fma_f64 v[124:125], -v[118:119], v[120:121], 1.0
	v_fmac_f64_e32 v[120:121], v[120:121], v[124:125]
	v_div_scale_f64 v[124:125], vcc, 1.0, v[116:117], 1.0
	v_mul_f64 v[126:127], v[124:125], v[120:121]
	v_fma_f64 v[118:119], -v[118:119], v[126:127], v[124:125]
	s_nop 1
	v_div_fmas_f64 v[118:119], v[118:119], v[120:121], v[126:127]
	v_div_fixup_f64 v[120:121], v[118:119], v[116:117], 1.0
	v_mul_f64 v[122:123], v[122:123], -v[120:121]
.LBB39_88:
	s_or_b64 exec, exec, s[2:3]
	ds_write2_b64 v203, v[120:121], v[122:123] offset1:1
.LBB39_89:
	s_or_b64 exec, exec, s[4:5]
	s_waitcnt lgkmcnt(0)
	s_barrier
	ds_read2_b64 v[116:119], v203 offset1:1
	v_cmp_lt_u32_e32 vcc, 9, v202
	s_and_saveexec_b64 s[2:3], vcc
	s_cbranch_execz .LBB39_91
; %bb.90:
	ds_read2_b64 v[120:123], v204 offset0:20 offset1:21
	ds_read2_b64 v[124:127], v204 offset0:22 offset1:23
	s_waitcnt vmcnt(10) lgkmcnt(2)
	v_mul_f64 v[128:129], v[116:117], v[46:47]
	v_fmac_f64_e32 v[128:129], v[118:119], v[44:45]
	v_mul_f64 v[46:47], v[118:119], v[46:47]
	v_fma_f64 v[44:45], v[116:117], v[44:45], -v[46:47]
	s_waitcnt lgkmcnt(1)
	v_mul_f64 v[46:47], v[122:123], v[128:129]
	v_fma_f64 v[46:47], v[120:121], v[44:45], -v[46:47]
	v_mul_f64 v[120:121], v[120:121], v[128:129]
	v_fmac_f64_e32 v[120:121], v[122:123], v[44:45]
	s_waitcnt vmcnt(9)
	v_add_f64 v[40:41], v[40:41], -v[46:47]
	v_add_f64 v[42:43], v[42:43], -v[120:121]
	s_waitcnt lgkmcnt(0)
	v_mul_f64 v[46:47], v[126:127], v[128:129]
	ds_read2_b64 v[120:123], v204 offset0:24 offset1:25
	v_fma_f64 v[46:47], v[124:125], v[44:45], -v[46:47]
	v_mul_f64 v[124:125], v[124:125], v[128:129]
	v_fmac_f64_e32 v[124:125], v[126:127], v[44:45]
	s_waitcnt vmcnt(8)
	v_add_f64 v[38:39], v[38:39], -v[124:125]
	ds_read2_b64 v[124:127], v204 offset0:26 offset1:27
	v_add_f64 v[36:37], v[36:37], -v[46:47]
	s_waitcnt lgkmcnt(1)
	v_mul_f64 v[46:47], v[122:123], v[128:129]
	v_fma_f64 v[46:47], v[120:121], v[44:45], -v[46:47]
	v_mul_f64 v[120:121], v[120:121], v[128:129]
	v_fmac_f64_e32 v[120:121], v[122:123], v[44:45]
	s_waitcnt vmcnt(7)
	v_add_f64 v[32:33], v[32:33], -v[46:47]
	v_add_f64 v[34:35], v[34:35], -v[120:121]
	s_waitcnt lgkmcnt(0)
	v_mul_f64 v[46:47], v[126:127], v[128:129]
	ds_read2_b64 v[120:123], v204 offset0:28 offset1:29
	v_fma_f64 v[46:47], v[124:125], v[44:45], -v[46:47]
	v_mul_f64 v[124:125], v[124:125], v[128:129]
	v_fmac_f64_e32 v[124:125], v[126:127], v[44:45]
	s_waitcnt vmcnt(6)
	v_add_f64 v[30:31], v[30:31], -v[124:125]
	ds_read2_b64 v[124:127], v204 offset0:30 offset1:31
	v_add_f64 v[28:29], v[28:29], -v[46:47]
	;; [unrolled: 18-line block ×4, first 2 shown]
	s_waitcnt lgkmcnt(1)
	v_mul_f64 v[46:47], v[122:123], v[128:129]
	v_fma_f64 v[46:47], v[120:121], v[44:45], -v[46:47]
	v_mul_f64 v[120:121], v[120:121], v[128:129]
	v_fmac_f64_e32 v[120:121], v[122:123], v[44:45]
	s_waitcnt vmcnt(1)
	v_add_f64 v[8:9], v[8:9], -v[46:47]
	v_add_f64 v[10:11], v[10:11], -v[120:121]
	s_waitcnt lgkmcnt(0)
	v_mul_f64 v[46:47], v[126:127], v[128:129]
	v_mul_f64 v[120:121], v[124:125], v[128:129]
	v_fma_f64 v[46:47], v[124:125], v[44:45], -v[46:47]
	v_fmac_f64_e32 v[120:121], v[126:127], v[44:45]
	s_waitcnt vmcnt(0)
	v_add_f64 v[76:77], v[76:77], -v[46:47]
	v_add_f64 v[78:79], v[78:79], -v[120:121]
	v_mov_b64_e32 v[46:47], v[128:129]
.LBB39_91:
	s_or_b64 exec, exec, s[2:3]
	v_cmp_eq_u32_e32 vcc, 10, v202
	s_waitcnt lgkmcnt(0)
	s_barrier
	s_and_saveexec_b64 s[4:5], vcc
	s_cbranch_execz .LBB39_98
; %bb.92:
	s_waitcnt vmcnt(9)
	ds_write2_b64 v203, v[40:41], v[42:43] offset1:1
	s_waitcnt vmcnt(8)
	ds_write2_b64 v204, v[36:37], v[38:39] offset0:22 offset1:23
	s_waitcnt vmcnt(7)
	ds_write2_b64 v204, v[32:33], v[34:35] offset0:24 offset1:25
	;; [unrolled: 2-line block ×9, first 2 shown]
	ds_read2_b64 v[120:123], v203 offset1:1
	s_waitcnt lgkmcnt(0)
	v_cmp_neq_f64_e32 vcc, 0, v[120:121]
	v_cmp_neq_f64_e64 s[2:3], 0, v[122:123]
	s_or_b64 s[2:3], vcc, s[2:3]
	s_and_b64 exec, exec, s[2:3]
	s_cbranch_execz .LBB39_98
; %bb.93:
	v_cmp_ngt_f64_e64 s[2:3], |v[120:121]|, |v[122:123]|
                                        ; implicit-def: $vgpr124_vgpr125
	s_and_saveexec_b64 s[10:11], s[2:3]
	s_xor_b64 s[2:3], exec, s[10:11]
                                        ; implicit-def: $vgpr126_vgpr127
	s_cbranch_execz .LBB39_95
; %bb.94:
	v_div_scale_f64 v[124:125], s[10:11], v[122:123], v[122:123], v[120:121]
	v_rcp_f64_e32 v[126:127], v[124:125]
	v_div_scale_f64 v[128:129], vcc, v[120:121], v[122:123], v[120:121]
	v_fma_f64 v[130:131], -v[124:125], v[126:127], 1.0
	v_fmac_f64_e32 v[126:127], v[126:127], v[130:131]
	v_fma_f64 v[130:131], -v[124:125], v[126:127], 1.0
	v_fmac_f64_e32 v[126:127], v[126:127], v[130:131]
	v_mul_f64 v[130:131], v[128:129], v[126:127]
	v_fma_f64 v[124:125], -v[124:125], v[130:131], v[128:129]
	v_div_fmas_f64 v[124:125], v[124:125], v[126:127], v[130:131]
	v_div_fixup_f64 v[124:125], v[124:125], v[122:123], v[120:121]
	v_fmac_f64_e32 v[122:123], v[120:121], v[124:125]
	v_div_scale_f64 v[120:121], s[10:11], v[122:123], v[122:123], 1.0
	v_rcp_f64_e32 v[126:127], v[120:121]
	s_nop 0
	v_fma_f64 v[128:129], -v[120:121], v[126:127], 1.0
	v_fmac_f64_e32 v[126:127], v[126:127], v[128:129]
	v_fma_f64 v[128:129], -v[120:121], v[126:127], 1.0
	v_fmac_f64_e32 v[126:127], v[126:127], v[128:129]
	v_div_scale_f64 v[128:129], vcc, 1.0, v[122:123], 1.0
	v_mul_f64 v[130:131], v[128:129], v[126:127]
	v_fma_f64 v[120:121], -v[120:121], v[130:131], v[128:129]
	s_nop 1
	v_div_fmas_f64 v[120:121], v[120:121], v[126:127], v[130:131]
	v_div_fixup_f64 v[126:127], v[120:121], v[122:123], 1.0
	v_mul_f64 v[124:125], v[124:125], v[126:127]
	v_xor_b32_e32 v127, 0x80000000, v127
                                        ; implicit-def: $vgpr120_vgpr121
.LBB39_95:
	s_andn2_saveexec_b64 s[2:3], s[2:3]
	s_cbranch_execz .LBB39_97
; %bb.96:
	v_div_scale_f64 v[124:125], s[10:11], v[120:121], v[120:121], v[122:123]
	v_rcp_f64_e32 v[126:127], v[124:125]
	v_div_scale_f64 v[128:129], vcc, v[122:123], v[120:121], v[122:123]
	v_fma_f64 v[130:131], -v[124:125], v[126:127], 1.0
	v_fmac_f64_e32 v[126:127], v[126:127], v[130:131]
	v_fma_f64 v[130:131], -v[124:125], v[126:127], 1.0
	v_fmac_f64_e32 v[126:127], v[126:127], v[130:131]
	v_mul_f64 v[130:131], v[128:129], v[126:127]
	v_fma_f64 v[124:125], -v[124:125], v[130:131], v[128:129]
	v_div_fmas_f64 v[124:125], v[124:125], v[126:127], v[130:131]
	v_div_fixup_f64 v[126:127], v[124:125], v[120:121], v[122:123]
	v_fmac_f64_e32 v[120:121], v[122:123], v[126:127]
	v_div_scale_f64 v[122:123], s[10:11], v[120:121], v[120:121], 1.0
	v_rcp_f64_e32 v[124:125], v[122:123]
	s_nop 0
	v_fma_f64 v[128:129], -v[122:123], v[124:125], 1.0
	v_fmac_f64_e32 v[124:125], v[124:125], v[128:129]
	v_fma_f64 v[128:129], -v[122:123], v[124:125], 1.0
	v_fmac_f64_e32 v[124:125], v[124:125], v[128:129]
	v_div_scale_f64 v[128:129], vcc, 1.0, v[120:121], 1.0
	v_mul_f64 v[130:131], v[128:129], v[124:125]
	v_fma_f64 v[122:123], -v[122:123], v[130:131], v[128:129]
	s_nop 1
	v_div_fmas_f64 v[122:123], v[122:123], v[124:125], v[130:131]
	v_div_fixup_f64 v[124:125], v[122:123], v[120:121], 1.0
	v_mul_f64 v[126:127], v[126:127], -v[124:125]
.LBB39_97:
	s_or_b64 exec, exec, s[2:3]
	ds_write2_b64 v203, v[124:125], v[126:127] offset1:1
.LBB39_98:
	s_or_b64 exec, exec, s[4:5]
	s_waitcnt lgkmcnt(0)
	s_barrier
	ds_read2_b64 v[120:123], v203 offset1:1
	v_cmp_lt_u32_e32 vcc, 10, v202
	s_and_saveexec_b64 s[2:3], vcc
	s_cbranch_execz .LBB39_100
; %bb.99:
	ds_read2_b64 v[124:127], v204 offset0:22 offset1:23
	ds_read2_b64 v[128:131], v204 offset0:24 offset1:25
	s_waitcnt vmcnt(9) lgkmcnt(2)
	v_mul_f64 v[132:133], v[120:121], v[42:43]
	v_fmac_f64_e32 v[132:133], v[122:123], v[40:41]
	v_mul_f64 v[42:43], v[122:123], v[42:43]
	v_fma_f64 v[40:41], v[120:121], v[40:41], -v[42:43]
	s_waitcnt lgkmcnt(1)
	v_mul_f64 v[42:43], v[126:127], v[132:133]
	v_fma_f64 v[42:43], v[124:125], v[40:41], -v[42:43]
	v_mul_f64 v[124:125], v[124:125], v[132:133]
	v_fmac_f64_e32 v[124:125], v[126:127], v[40:41]
	s_waitcnt vmcnt(8)
	v_add_f64 v[38:39], v[38:39], -v[124:125]
	ds_read2_b64 v[124:127], v204 offset0:26 offset1:27
	v_add_f64 v[36:37], v[36:37], -v[42:43]
	s_waitcnt lgkmcnt(1)
	v_mul_f64 v[42:43], v[130:131], v[132:133]
	v_fma_f64 v[42:43], v[128:129], v[40:41], -v[42:43]
	v_mul_f64 v[128:129], v[128:129], v[132:133]
	v_fmac_f64_e32 v[128:129], v[130:131], v[40:41]
	s_waitcnt vmcnt(7)
	v_add_f64 v[32:33], v[32:33], -v[42:43]
	v_add_f64 v[34:35], v[34:35], -v[128:129]
	ds_read2_b64 v[128:131], v204 offset0:28 offset1:29
	s_waitcnt lgkmcnt(1)
	v_mul_f64 v[42:43], v[126:127], v[132:133]
	v_fma_f64 v[42:43], v[124:125], v[40:41], -v[42:43]
	v_mul_f64 v[124:125], v[124:125], v[132:133]
	v_fmac_f64_e32 v[124:125], v[126:127], v[40:41]
	s_waitcnt vmcnt(6)
	v_add_f64 v[30:31], v[30:31], -v[124:125]
	ds_read2_b64 v[124:127], v204 offset0:30 offset1:31
	v_add_f64 v[28:29], v[28:29], -v[42:43]
	s_waitcnt lgkmcnt(1)
	v_mul_f64 v[42:43], v[130:131], v[132:133]
	v_fma_f64 v[42:43], v[128:129], v[40:41], -v[42:43]
	v_mul_f64 v[128:129], v[128:129], v[132:133]
	v_fmac_f64_e32 v[128:129], v[130:131], v[40:41]
	s_waitcnt vmcnt(5)
	v_add_f64 v[24:25], v[24:25], -v[42:43]
	v_add_f64 v[26:27], v[26:27], -v[128:129]
	ds_read2_b64 v[128:131], v204 offset0:32 offset1:33
	;; [unrolled: 18-line block ×3, first 2 shown]
	s_waitcnt lgkmcnt(1)
	v_mul_f64 v[42:43], v[126:127], v[132:133]
	v_fma_f64 v[42:43], v[124:125], v[40:41], -v[42:43]
	v_mul_f64 v[124:125], v[124:125], v[132:133]
	v_fmac_f64_e32 v[124:125], v[126:127], v[40:41]
	s_waitcnt vmcnt(2)
	v_add_f64 v[14:15], v[14:15], -v[124:125]
	ds_read2_b64 v[124:127], v204 offset0:38 offset1:39
	v_add_f64 v[12:13], v[12:13], -v[42:43]
	s_waitcnt lgkmcnt(1)
	v_mul_f64 v[42:43], v[130:131], v[132:133]
	v_fma_f64 v[42:43], v[128:129], v[40:41], -v[42:43]
	s_waitcnt vmcnt(1)
	v_add_f64 v[8:9], v[8:9], -v[42:43]
	s_waitcnt lgkmcnt(0)
	v_mul_f64 v[42:43], v[126:127], v[132:133]
	v_mul_f64 v[128:129], v[128:129], v[132:133]
	v_fma_f64 v[42:43], v[124:125], v[40:41], -v[42:43]
	v_mul_f64 v[124:125], v[124:125], v[132:133]
	v_fmac_f64_e32 v[128:129], v[130:131], v[40:41]
	v_fmac_f64_e32 v[124:125], v[126:127], v[40:41]
	v_add_f64 v[10:11], v[10:11], -v[128:129]
	s_waitcnt vmcnt(0)
	v_add_f64 v[76:77], v[76:77], -v[42:43]
	v_add_f64 v[78:79], v[78:79], -v[124:125]
	v_mov_b64_e32 v[42:43], v[132:133]
.LBB39_100:
	s_or_b64 exec, exec, s[2:3]
	v_cmp_eq_u32_e32 vcc, 11, v202
	s_waitcnt lgkmcnt(0)
	s_barrier
	s_and_saveexec_b64 s[4:5], vcc
	s_cbranch_execz .LBB39_107
; %bb.101:
	s_waitcnt vmcnt(8)
	ds_write2_b64 v203, v[36:37], v[38:39] offset1:1
	s_waitcnt vmcnt(7)
	ds_write2_b64 v204, v[32:33], v[34:35] offset0:24 offset1:25
	s_waitcnt vmcnt(6)
	ds_write2_b64 v204, v[28:29], v[30:31] offset0:26 offset1:27
	;; [unrolled: 2-line block ×8, first 2 shown]
	ds_read2_b64 v[124:127], v203 offset1:1
	s_waitcnt lgkmcnt(0)
	v_cmp_neq_f64_e32 vcc, 0, v[124:125]
	v_cmp_neq_f64_e64 s[2:3], 0, v[126:127]
	s_or_b64 s[2:3], vcc, s[2:3]
	s_and_b64 exec, exec, s[2:3]
	s_cbranch_execz .LBB39_107
; %bb.102:
	v_cmp_ngt_f64_e64 s[2:3], |v[124:125]|, |v[126:127]|
                                        ; implicit-def: $vgpr128_vgpr129
	s_and_saveexec_b64 s[10:11], s[2:3]
	s_xor_b64 s[2:3], exec, s[10:11]
                                        ; implicit-def: $vgpr130_vgpr131
	s_cbranch_execz .LBB39_104
; %bb.103:
	v_div_scale_f64 v[128:129], s[10:11], v[126:127], v[126:127], v[124:125]
	v_rcp_f64_e32 v[130:131], v[128:129]
	v_div_scale_f64 v[132:133], vcc, v[124:125], v[126:127], v[124:125]
	v_fma_f64 v[134:135], -v[128:129], v[130:131], 1.0
	v_fmac_f64_e32 v[130:131], v[130:131], v[134:135]
	v_fma_f64 v[134:135], -v[128:129], v[130:131], 1.0
	v_fmac_f64_e32 v[130:131], v[130:131], v[134:135]
	v_mul_f64 v[134:135], v[132:133], v[130:131]
	v_fma_f64 v[128:129], -v[128:129], v[134:135], v[132:133]
	v_div_fmas_f64 v[128:129], v[128:129], v[130:131], v[134:135]
	v_div_fixup_f64 v[128:129], v[128:129], v[126:127], v[124:125]
	v_fmac_f64_e32 v[126:127], v[124:125], v[128:129]
	v_div_scale_f64 v[124:125], s[10:11], v[126:127], v[126:127], 1.0
	v_rcp_f64_e32 v[130:131], v[124:125]
	s_nop 0
	v_fma_f64 v[132:133], -v[124:125], v[130:131], 1.0
	v_fmac_f64_e32 v[130:131], v[130:131], v[132:133]
	v_fma_f64 v[132:133], -v[124:125], v[130:131], 1.0
	v_fmac_f64_e32 v[130:131], v[130:131], v[132:133]
	v_div_scale_f64 v[132:133], vcc, 1.0, v[126:127], 1.0
	v_mul_f64 v[134:135], v[132:133], v[130:131]
	v_fma_f64 v[124:125], -v[124:125], v[134:135], v[132:133]
	s_nop 1
	v_div_fmas_f64 v[124:125], v[124:125], v[130:131], v[134:135]
	v_div_fixup_f64 v[130:131], v[124:125], v[126:127], 1.0
	v_mul_f64 v[128:129], v[128:129], v[130:131]
	v_xor_b32_e32 v131, 0x80000000, v131
                                        ; implicit-def: $vgpr124_vgpr125
.LBB39_104:
	s_andn2_saveexec_b64 s[2:3], s[2:3]
	s_cbranch_execz .LBB39_106
; %bb.105:
	v_div_scale_f64 v[128:129], s[10:11], v[124:125], v[124:125], v[126:127]
	v_rcp_f64_e32 v[130:131], v[128:129]
	v_div_scale_f64 v[132:133], vcc, v[126:127], v[124:125], v[126:127]
	v_fma_f64 v[134:135], -v[128:129], v[130:131], 1.0
	v_fmac_f64_e32 v[130:131], v[130:131], v[134:135]
	v_fma_f64 v[134:135], -v[128:129], v[130:131], 1.0
	v_fmac_f64_e32 v[130:131], v[130:131], v[134:135]
	v_mul_f64 v[134:135], v[132:133], v[130:131]
	v_fma_f64 v[128:129], -v[128:129], v[134:135], v[132:133]
	v_div_fmas_f64 v[128:129], v[128:129], v[130:131], v[134:135]
	v_div_fixup_f64 v[130:131], v[128:129], v[124:125], v[126:127]
	v_fmac_f64_e32 v[124:125], v[126:127], v[130:131]
	v_div_scale_f64 v[126:127], s[10:11], v[124:125], v[124:125], 1.0
	v_rcp_f64_e32 v[128:129], v[126:127]
	s_nop 0
	v_fma_f64 v[132:133], -v[126:127], v[128:129], 1.0
	v_fmac_f64_e32 v[128:129], v[128:129], v[132:133]
	v_fma_f64 v[132:133], -v[126:127], v[128:129], 1.0
	v_fmac_f64_e32 v[128:129], v[128:129], v[132:133]
	v_div_scale_f64 v[132:133], vcc, 1.0, v[124:125], 1.0
	v_mul_f64 v[134:135], v[132:133], v[128:129]
	v_fma_f64 v[126:127], -v[126:127], v[134:135], v[132:133]
	s_nop 1
	v_div_fmas_f64 v[126:127], v[126:127], v[128:129], v[134:135]
	v_div_fixup_f64 v[128:129], v[126:127], v[124:125], 1.0
	v_mul_f64 v[130:131], v[130:131], -v[128:129]
.LBB39_106:
	s_or_b64 exec, exec, s[2:3]
	ds_write2_b64 v203, v[128:129], v[130:131] offset1:1
.LBB39_107:
	s_or_b64 exec, exec, s[4:5]
	s_waitcnt lgkmcnt(0)
	s_barrier
	ds_read2_b64 v[124:127], v203 offset1:1
	v_cmp_lt_u32_e32 vcc, 11, v202
	s_and_saveexec_b64 s[2:3], vcc
	s_cbranch_execz .LBB39_109
; %bb.108:
	ds_read2_b64 v[128:131], v204 offset0:24 offset1:25
	ds_read2_b64 v[132:135], v204 offset0:26 offset1:27
	s_waitcnt vmcnt(8) lgkmcnt(2)
	v_mul_f64 v[136:137], v[124:125], v[38:39]
	v_fmac_f64_e32 v[136:137], v[126:127], v[36:37]
	v_mul_f64 v[38:39], v[126:127], v[38:39]
	v_fma_f64 v[36:37], v[124:125], v[36:37], -v[38:39]
	s_waitcnt lgkmcnt(1)
	v_mul_f64 v[38:39], v[130:131], v[136:137]
	v_fma_f64 v[38:39], v[128:129], v[36:37], -v[38:39]
	v_mul_f64 v[128:129], v[128:129], v[136:137]
	v_fmac_f64_e32 v[128:129], v[130:131], v[36:37]
	s_waitcnt vmcnt(7)
	v_add_f64 v[32:33], v[32:33], -v[38:39]
	v_add_f64 v[34:35], v[34:35], -v[128:129]
	s_waitcnt lgkmcnt(0)
	v_mul_f64 v[38:39], v[134:135], v[136:137]
	ds_read2_b64 v[128:131], v204 offset0:28 offset1:29
	v_fma_f64 v[38:39], v[132:133], v[36:37], -v[38:39]
	v_mul_f64 v[132:133], v[132:133], v[136:137]
	v_fmac_f64_e32 v[132:133], v[134:135], v[36:37]
	s_waitcnt vmcnt(6)
	v_add_f64 v[30:31], v[30:31], -v[132:133]
	ds_read2_b64 v[132:135], v204 offset0:30 offset1:31
	v_add_f64 v[28:29], v[28:29], -v[38:39]
	s_waitcnt lgkmcnt(1)
	v_mul_f64 v[38:39], v[130:131], v[136:137]
	v_fma_f64 v[38:39], v[128:129], v[36:37], -v[38:39]
	v_mul_f64 v[128:129], v[128:129], v[136:137]
	v_fmac_f64_e32 v[128:129], v[130:131], v[36:37]
	s_waitcnt vmcnt(5)
	v_add_f64 v[24:25], v[24:25], -v[38:39]
	v_add_f64 v[26:27], v[26:27], -v[128:129]
	s_waitcnt lgkmcnt(0)
	v_mul_f64 v[38:39], v[134:135], v[136:137]
	ds_read2_b64 v[128:131], v204 offset0:32 offset1:33
	v_fma_f64 v[38:39], v[132:133], v[36:37], -v[38:39]
	v_mul_f64 v[132:133], v[132:133], v[136:137]
	v_fmac_f64_e32 v[132:133], v[134:135], v[36:37]
	s_waitcnt vmcnt(4)
	v_add_f64 v[22:23], v[22:23], -v[132:133]
	ds_read2_b64 v[132:135], v204 offset0:34 offset1:35
	v_add_f64 v[20:21], v[20:21], -v[38:39]
	;; [unrolled: 18-line block ×3, first 2 shown]
	s_waitcnt lgkmcnt(1)
	v_mul_f64 v[38:39], v[130:131], v[136:137]
	v_fma_f64 v[38:39], v[128:129], v[36:37], -v[38:39]
	v_mul_f64 v[128:129], v[128:129], v[136:137]
	v_fmac_f64_e32 v[128:129], v[130:131], v[36:37]
	s_waitcnt vmcnt(1)
	v_add_f64 v[8:9], v[8:9], -v[38:39]
	v_add_f64 v[10:11], v[10:11], -v[128:129]
	s_waitcnt lgkmcnt(0)
	v_mul_f64 v[38:39], v[134:135], v[136:137]
	v_mul_f64 v[128:129], v[132:133], v[136:137]
	v_fma_f64 v[38:39], v[132:133], v[36:37], -v[38:39]
	v_fmac_f64_e32 v[128:129], v[134:135], v[36:37]
	s_waitcnt vmcnt(0)
	v_add_f64 v[76:77], v[76:77], -v[38:39]
	v_add_f64 v[78:79], v[78:79], -v[128:129]
	v_mov_b64_e32 v[38:39], v[136:137]
.LBB39_109:
	s_or_b64 exec, exec, s[2:3]
	v_cmp_eq_u32_e32 vcc, 12, v202
	s_waitcnt lgkmcnt(0)
	s_barrier
	s_and_saveexec_b64 s[4:5], vcc
	s_cbranch_execz .LBB39_116
; %bb.110:
	s_waitcnt vmcnt(7)
	ds_write2_b64 v203, v[32:33], v[34:35] offset1:1
	s_waitcnt vmcnt(6)
	ds_write2_b64 v204, v[28:29], v[30:31] offset0:26 offset1:27
	s_waitcnt vmcnt(5)
	ds_write2_b64 v204, v[24:25], v[26:27] offset0:28 offset1:29
	;; [unrolled: 2-line block ×7, first 2 shown]
	ds_read2_b64 v[128:131], v203 offset1:1
	s_waitcnt lgkmcnt(0)
	v_cmp_neq_f64_e32 vcc, 0, v[128:129]
	v_cmp_neq_f64_e64 s[2:3], 0, v[130:131]
	s_or_b64 s[2:3], vcc, s[2:3]
	s_and_b64 exec, exec, s[2:3]
	s_cbranch_execz .LBB39_116
; %bb.111:
	v_cmp_ngt_f64_e64 s[2:3], |v[128:129]|, |v[130:131]|
                                        ; implicit-def: $vgpr132_vgpr133
	s_and_saveexec_b64 s[10:11], s[2:3]
	s_xor_b64 s[2:3], exec, s[10:11]
                                        ; implicit-def: $vgpr134_vgpr135
	s_cbranch_execz .LBB39_113
; %bb.112:
	v_div_scale_f64 v[132:133], s[10:11], v[130:131], v[130:131], v[128:129]
	v_rcp_f64_e32 v[134:135], v[132:133]
	v_div_scale_f64 v[136:137], vcc, v[128:129], v[130:131], v[128:129]
	v_fma_f64 v[138:139], -v[132:133], v[134:135], 1.0
	v_fmac_f64_e32 v[134:135], v[134:135], v[138:139]
	v_fma_f64 v[138:139], -v[132:133], v[134:135], 1.0
	v_fmac_f64_e32 v[134:135], v[134:135], v[138:139]
	v_mul_f64 v[138:139], v[136:137], v[134:135]
	v_fma_f64 v[132:133], -v[132:133], v[138:139], v[136:137]
	v_div_fmas_f64 v[132:133], v[132:133], v[134:135], v[138:139]
	v_div_fixup_f64 v[132:133], v[132:133], v[130:131], v[128:129]
	v_fmac_f64_e32 v[130:131], v[128:129], v[132:133]
	v_div_scale_f64 v[128:129], s[10:11], v[130:131], v[130:131], 1.0
	v_rcp_f64_e32 v[134:135], v[128:129]
	s_nop 0
	v_fma_f64 v[136:137], -v[128:129], v[134:135], 1.0
	v_fmac_f64_e32 v[134:135], v[134:135], v[136:137]
	v_fma_f64 v[136:137], -v[128:129], v[134:135], 1.0
	v_fmac_f64_e32 v[134:135], v[134:135], v[136:137]
	v_div_scale_f64 v[136:137], vcc, 1.0, v[130:131], 1.0
	v_mul_f64 v[138:139], v[136:137], v[134:135]
	v_fma_f64 v[128:129], -v[128:129], v[138:139], v[136:137]
	s_nop 1
	v_div_fmas_f64 v[128:129], v[128:129], v[134:135], v[138:139]
	v_div_fixup_f64 v[134:135], v[128:129], v[130:131], 1.0
	v_mul_f64 v[132:133], v[132:133], v[134:135]
	v_xor_b32_e32 v135, 0x80000000, v135
                                        ; implicit-def: $vgpr128_vgpr129
.LBB39_113:
	s_andn2_saveexec_b64 s[2:3], s[2:3]
	s_cbranch_execz .LBB39_115
; %bb.114:
	v_div_scale_f64 v[132:133], s[10:11], v[128:129], v[128:129], v[130:131]
	v_rcp_f64_e32 v[134:135], v[132:133]
	v_div_scale_f64 v[136:137], vcc, v[130:131], v[128:129], v[130:131]
	v_fma_f64 v[138:139], -v[132:133], v[134:135], 1.0
	v_fmac_f64_e32 v[134:135], v[134:135], v[138:139]
	v_fma_f64 v[138:139], -v[132:133], v[134:135], 1.0
	v_fmac_f64_e32 v[134:135], v[134:135], v[138:139]
	v_mul_f64 v[138:139], v[136:137], v[134:135]
	v_fma_f64 v[132:133], -v[132:133], v[138:139], v[136:137]
	v_div_fmas_f64 v[132:133], v[132:133], v[134:135], v[138:139]
	v_div_fixup_f64 v[134:135], v[132:133], v[128:129], v[130:131]
	v_fmac_f64_e32 v[128:129], v[130:131], v[134:135]
	v_div_scale_f64 v[130:131], s[10:11], v[128:129], v[128:129], 1.0
	v_rcp_f64_e32 v[132:133], v[130:131]
	s_nop 0
	v_fma_f64 v[136:137], -v[130:131], v[132:133], 1.0
	v_fmac_f64_e32 v[132:133], v[132:133], v[136:137]
	v_fma_f64 v[136:137], -v[130:131], v[132:133], 1.0
	v_fmac_f64_e32 v[132:133], v[132:133], v[136:137]
	v_div_scale_f64 v[136:137], vcc, 1.0, v[128:129], 1.0
	v_mul_f64 v[138:139], v[136:137], v[132:133]
	v_fma_f64 v[130:131], -v[130:131], v[138:139], v[136:137]
	s_nop 1
	v_div_fmas_f64 v[130:131], v[130:131], v[132:133], v[138:139]
	v_div_fixup_f64 v[132:133], v[130:131], v[128:129], 1.0
	v_mul_f64 v[134:135], v[134:135], -v[132:133]
.LBB39_115:
	s_or_b64 exec, exec, s[2:3]
	ds_write2_b64 v203, v[132:133], v[134:135] offset1:1
.LBB39_116:
	s_or_b64 exec, exec, s[4:5]
	s_waitcnt lgkmcnt(0)
	s_barrier
	ds_read2_b64 v[128:131], v203 offset1:1
	v_cmp_lt_u32_e32 vcc, 12, v202
	s_and_saveexec_b64 s[2:3], vcc
	s_cbranch_execz .LBB39_118
; %bb.117:
	ds_read2_b64 v[132:135], v204 offset0:26 offset1:27
	ds_read2_b64 v[136:139], v204 offset0:28 offset1:29
	s_waitcnt vmcnt(7) lgkmcnt(2)
	v_mul_f64 v[140:141], v[128:129], v[34:35]
	v_fmac_f64_e32 v[140:141], v[130:131], v[32:33]
	v_mul_f64 v[34:35], v[130:131], v[34:35]
	v_fma_f64 v[32:33], v[128:129], v[32:33], -v[34:35]
	s_waitcnt lgkmcnt(1)
	v_mul_f64 v[34:35], v[134:135], v[140:141]
	v_fma_f64 v[34:35], v[132:133], v[32:33], -v[34:35]
	v_mul_f64 v[132:133], v[132:133], v[140:141]
	v_fmac_f64_e32 v[132:133], v[134:135], v[32:33]
	s_waitcnt vmcnt(6)
	v_add_f64 v[30:31], v[30:31], -v[132:133]
	ds_read2_b64 v[132:135], v204 offset0:30 offset1:31
	v_add_f64 v[28:29], v[28:29], -v[34:35]
	s_waitcnt lgkmcnt(1)
	v_mul_f64 v[34:35], v[138:139], v[140:141]
	v_fma_f64 v[34:35], v[136:137], v[32:33], -v[34:35]
	v_mul_f64 v[136:137], v[136:137], v[140:141]
	v_fmac_f64_e32 v[136:137], v[138:139], v[32:33]
	s_waitcnt vmcnt(5)
	v_add_f64 v[24:25], v[24:25], -v[34:35]
	v_add_f64 v[26:27], v[26:27], -v[136:137]
	ds_read2_b64 v[136:139], v204 offset0:32 offset1:33
	s_waitcnt lgkmcnt(1)
	v_mul_f64 v[34:35], v[134:135], v[140:141]
	v_fma_f64 v[34:35], v[132:133], v[32:33], -v[34:35]
	v_mul_f64 v[132:133], v[132:133], v[140:141]
	v_fmac_f64_e32 v[132:133], v[134:135], v[32:33]
	s_waitcnt vmcnt(4)
	v_add_f64 v[22:23], v[22:23], -v[132:133]
	ds_read2_b64 v[132:135], v204 offset0:34 offset1:35
	v_add_f64 v[20:21], v[20:21], -v[34:35]
	s_waitcnt lgkmcnt(1)
	v_mul_f64 v[34:35], v[138:139], v[140:141]
	v_fma_f64 v[34:35], v[136:137], v[32:33], -v[34:35]
	v_mul_f64 v[136:137], v[136:137], v[140:141]
	v_fmac_f64_e32 v[136:137], v[138:139], v[32:33]
	s_waitcnt vmcnt(3)
	v_add_f64 v[16:17], v[16:17], -v[34:35]
	v_add_f64 v[18:19], v[18:19], -v[136:137]
	ds_read2_b64 v[136:139], v204 offset0:36 offset1:37
	s_waitcnt lgkmcnt(1)
	v_mul_f64 v[34:35], v[134:135], v[140:141]
	v_fma_f64 v[34:35], v[132:133], v[32:33], -v[34:35]
	v_mul_f64 v[132:133], v[132:133], v[140:141]
	v_fmac_f64_e32 v[132:133], v[134:135], v[32:33]
	s_waitcnt vmcnt(2)
	v_add_f64 v[14:15], v[14:15], -v[132:133]
	ds_read2_b64 v[132:135], v204 offset0:38 offset1:39
	v_add_f64 v[12:13], v[12:13], -v[34:35]
	s_waitcnt lgkmcnt(1)
	v_mul_f64 v[34:35], v[138:139], v[140:141]
	v_fma_f64 v[34:35], v[136:137], v[32:33], -v[34:35]
	s_waitcnt vmcnt(1)
	v_add_f64 v[8:9], v[8:9], -v[34:35]
	s_waitcnt lgkmcnt(0)
	v_mul_f64 v[34:35], v[134:135], v[140:141]
	v_mul_f64 v[136:137], v[136:137], v[140:141]
	v_fma_f64 v[34:35], v[132:133], v[32:33], -v[34:35]
	v_mul_f64 v[132:133], v[132:133], v[140:141]
	v_fmac_f64_e32 v[136:137], v[138:139], v[32:33]
	v_fmac_f64_e32 v[132:133], v[134:135], v[32:33]
	v_add_f64 v[10:11], v[10:11], -v[136:137]
	s_waitcnt vmcnt(0)
	v_add_f64 v[76:77], v[76:77], -v[34:35]
	v_add_f64 v[78:79], v[78:79], -v[132:133]
	v_mov_b64_e32 v[34:35], v[140:141]
.LBB39_118:
	s_or_b64 exec, exec, s[2:3]
	v_cmp_eq_u32_e32 vcc, 13, v202
	s_waitcnt lgkmcnt(0)
	s_barrier
	s_and_saveexec_b64 s[4:5], vcc
	s_cbranch_execz .LBB39_125
; %bb.119:
	s_waitcnt vmcnt(6)
	ds_write2_b64 v203, v[28:29], v[30:31] offset1:1
	s_waitcnt vmcnt(5)
	ds_write2_b64 v204, v[24:25], v[26:27] offset0:28 offset1:29
	s_waitcnt vmcnt(4)
	ds_write2_b64 v204, v[20:21], v[22:23] offset0:30 offset1:31
	;; [unrolled: 2-line block ×6, first 2 shown]
	ds_read2_b64 v[132:135], v203 offset1:1
	s_waitcnt lgkmcnt(0)
	v_cmp_neq_f64_e32 vcc, 0, v[132:133]
	v_cmp_neq_f64_e64 s[2:3], 0, v[134:135]
	s_or_b64 s[2:3], vcc, s[2:3]
	s_and_b64 exec, exec, s[2:3]
	s_cbranch_execz .LBB39_125
; %bb.120:
	v_cmp_ngt_f64_e64 s[2:3], |v[132:133]|, |v[134:135]|
                                        ; implicit-def: $vgpr136_vgpr137
	s_and_saveexec_b64 s[10:11], s[2:3]
	s_xor_b64 s[2:3], exec, s[10:11]
                                        ; implicit-def: $vgpr138_vgpr139
	s_cbranch_execz .LBB39_122
; %bb.121:
	v_div_scale_f64 v[136:137], s[10:11], v[134:135], v[134:135], v[132:133]
	v_rcp_f64_e32 v[138:139], v[136:137]
	v_div_scale_f64 v[140:141], vcc, v[132:133], v[134:135], v[132:133]
	v_fma_f64 v[142:143], -v[136:137], v[138:139], 1.0
	v_fmac_f64_e32 v[138:139], v[138:139], v[142:143]
	v_fma_f64 v[142:143], -v[136:137], v[138:139], 1.0
	v_fmac_f64_e32 v[138:139], v[138:139], v[142:143]
	v_mul_f64 v[142:143], v[140:141], v[138:139]
	v_fma_f64 v[136:137], -v[136:137], v[142:143], v[140:141]
	v_div_fmas_f64 v[136:137], v[136:137], v[138:139], v[142:143]
	v_div_fixup_f64 v[136:137], v[136:137], v[134:135], v[132:133]
	v_fmac_f64_e32 v[134:135], v[132:133], v[136:137]
	v_div_scale_f64 v[132:133], s[10:11], v[134:135], v[134:135], 1.0
	v_rcp_f64_e32 v[138:139], v[132:133]
	s_nop 0
	v_fma_f64 v[140:141], -v[132:133], v[138:139], 1.0
	v_fmac_f64_e32 v[138:139], v[138:139], v[140:141]
	v_fma_f64 v[140:141], -v[132:133], v[138:139], 1.0
	v_fmac_f64_e32 v[138:139], v[138:139], v[140:141]
	v_div_scale_f64 v[140:141], vcc, 1.0, v[134:135], 1.0
	v_mul_f64 v[142:143], v[140:141], v[138:139]
	v_fma_f64 v[132:133], -v[132:133], v[142:143], v[140:141]
	s_nop 1
	v_div_fmas_f64 v[132:133], v[132:133], v[138:139], v[142:143]
	v_div_fixup_f64 v[138:139], v[132:133], v[134:135], 1.0
	v_mul_f64 v[136:137], v[136:137], v[138:139]
	v_xor_b32_e32 v139, 0x80000000, v139
                                        ; implicit-def: $vgpr132_vgpr133
.LBB39_122:
	s_andn2_saveexec_b64 s[2:3], s[2:3]
	s_cbranch_execz .LBB39_124
; %bb.123:
	v_div_scale_f64 v[136:137], s[10:11], v[132:133], v[132:133], v[134:135]
	v_rcp_f64_e32 v[138:139], v[136:137]
	v_div_scale_f64 v[140:141], vcc, v[134:135], v[132:133], v[134:135]
	v_fma_f64 v[142:143], -v[136:137], v[138:139], 1.0
	v_fmac_f64_e32 v[138:139], v[138:139], v[142:143]
	v_fma_f64 v[142:143], -v[136:137], v[138:139], 1.0
	v_fmac_f64_e32 v[138:139], v[138:139], v[142:143]
	v_mul_f64 v[142:143], v[140:141], v[138:139]
	v_fma_f64 v[136:137], -v[136:137], v[142:143], v[140:141]
	v_div_fmas_f64 v[136:137], v[136:137], v[138:139], v[142:143]
	v_div_fixup_f64 v[138:139], v[136:137], v[132:133], v[134:135]
	v_fmac_f64_e32 v[132:133], v[134:135], v[138:139]
	v_div_scale_f64 v[134:135], s[10:11], v[132:133], v[132:133], 1.0
	v_rcp_f64_e32 v[136:137], v[134:135]
	s_nop 0
	v_fma_f64 v[140:141], -v[134:135], v[136:137], 1.0
	v_fmac_f64_e32 v[136:137], v[136:137], v[140:141]
	v_fma_f64 v[140:141], -v[134:135], v[136:137], 1.0
	v_fmac_f64_e32 v[136:137], v[136:137], v[140:141]
	v_div_scale_f64 v[140:141], vcc, 1.0, v[132:133], 1.0
	v_mul_f64 v[142:143], v[140:141], v[136:137]
	v_fma_f64 v[134:135], -v[134:135], v[142:143], v[140:141]
	s_nop 1
	v_div_fmas_f64 v[134:135], v[134:135], v[136:137], v[142:143]
	v_div_fixup_f64 v[136:137], v[134:135], v[132:133], 1.0
	v_mul_f64 v[138:139], v[138:139], -v[136:137]
.LBB39_124:
	s_or_b64 exec, exec, s[2:3]
	ds_write2_b64 v203, v[136:137], v[138:139] offset1:1
.LBB39_125:
	s_or_b64 exec, exec, s[4:5]
	s_waitcnt lgkmcnt(0)
	s_barrier
	ds_read2_b64 v[132:135], v203 offset1:1
	v_cmp_lt_u32_e32 vcc, 13, v202
	s_and_saveexec_b64 s[2:3], vcc
	s_cbranch_execz .LBB39_127
; %bb.126:
	ds_read2_b64 v[136:139], v204 offset0:28 offset1:29
	ds_read2_b64 v[140:143], v204 offset0:30 offset1:31
	s_waitcnt vmcnt(6) lgkmcnt(2)
	v_mul_f64 v[144:145], v[132:133], v[30:31]
	v_fmac_f64_e32 v[144:145], v[134:135], v[28:29]
	v_mul_f64 v[30:31], v[134:135], v[30:31]
	v_fma_f64 v[28:29], v[132:133], v[28:29], -v[30:31]
	s_waitcnt lgkmcnt(1)
	v_mul_f64 v[30:31], v[138:139], v[144:145]
	v_fma_f64 v[30:31], v[136:137], v[28:29], -v[30:31]
	v_mul_f64 v[136:137], v[136:137], v[144:145]
	v_fmac_f64_e32 v[136:137], v[138:139], v[28:29]
	s_waitcnt vmcnt(5)
	v_add_f64 v[24:25], v[24:25], -v[30:31]
	v_add_f64 v[26:27], v[26:27], -v[136:137]
	s_waitcnt lgkmcnt(0)
	v_mul_f64 v[30:31], v[142:143], v[144:145]
	ds_read2_b64 v[136:139], v204 offset0:32 offset1:33
	v_fma_f64 v[30:31], v[140:141], v[28:29], -v[30:31]
	v_mul_f64 v[140:141], v[140:141], v[144:145]
	v_fmac_f64_e32 v[140:141], v[142:143], v[28:29]
	s_waitcnt vmcnt(4)
	v_add_f64 v[22:23], v[22:23], -v[140:141]
	ds_read2_b64 v[140:143], v204 offset0:34 offset1:35
	v_add_f64 v[20:21], v[20:21], -v[30:31]
	s_waitcnt lgkmcnt(1)
	v_mul_f64 v[30:31], v[138:139], v[144:145]
	v_fma_f64 v[30:31], v[136:137], v[28:29], -v[30:31]
	v_mul_f64 v[136:137], v[136:137], v[144:145]
	v_fmac_f64_e32 v[136:137], v[138:139], v[28:29]
	s_waitcnt vmcnt(3)
	v_add_f64 v[16:17], v[16:17], -v[30:31]
	v_add_f64 v[18:19], v[18:19], -v[136:137]
	s_waitcnt lgkmcnt(0)
	v_mul_f64 v[30:31], v[142:143], v[144:145]
	ds_read2_b64 v[136:139], v204 offset0:36 offset1:37
	v_fma_f64 v[30:31], v[140:141], v[28:29], -v[30:31]
	v_mul_f64 v[140:141], v[140:141], v[144:145]
	v_fmac_f64_e32 v[140:141], v[142:143], v[28:29]
	s_waitcnt vmcnt(2)
	v_add_f64 v[14:15], v[14:15], -v[140:141]
	ds_read2_b64 v[140:143], v204 offset0:38 offset1:39
	v_add_f64 v[12:13], v[12:13], -v[30:31]
	s_waitcnt lgkmcnt(1)
	v_mul_f64 v[30:31], v[138:139], v[144:145]
	v_fma_f64 v[30:31], v[136:137], v[28:29], -v[30:31]
	v_mul_f64 v[136:137], v[136:137], v[144:145]
	v_fmac_f64_e32 v[136:137], v[138:139], v[28:29]
	s_waitcnt vmcnt(1)
	v_add_f64 v[8:9], v[8:9], -v[30:31]
	v_add_f64 v[10:11], v[10:11], -v[136:137]
	s_waitcnt lgkmcnt(0)
	v_mul_f64 v[30:31], v[142:143], v[144:145]
	v_mul_f64 v[136:137], v[140:141], v[144:145]
	v_fma_f64 v[30:31], v[140:141], v[28:29], -v[30:31]
	v_fmac_f64_e32 v[136:137], v[142:143], v[28:29]
	s_waitcnt vmcnt(0)
	v_add_f64 v[76:77], v[76:77], -v[30:31]
	v_add_f64 v[78:79], v[78:79], -v[136:137]
	v_mov_b64_e32 v[30:31], v[144:145]
.LBB39_127:
	s_or_b64 exec, exec, s[2:3]
	v_cmp_eq_u32_e32 vcc, 14, v202
	s_waitcnt lgkmcnt(0)
	s_barrier
	s_and_saveexec_b64 s[4:5], vcc
	s_cbranch_execz .LBB39_134
; %bb.128:
	s_waitcnt vmcnt(5)
	ds_write2_b64 v203, v[24:25], v[26:27] offset1:1
	s_waitcnt vmcnt(4)
	ds_write2_b64 v204, v[20:21], v[22:23] offset0:30 offset1:31
	s_waitcnt vmcnt(3)
	ds_write2_b64 v204, v[16:17], v[18:19] offset0:32 offset1:33
	;; [unrolled: 2-line block ×5, first 2 shown]
	ds_read2_b64 v[136:139], v203 offset1:1
	s_waitcnt lgkmcnt(0)
	v_cmp_neq_f64_e32 vcc, 0, v[136:137]
	v_cmp_neq_f64_e64 s[2:3], 0, v[138:139]
	s_or_b64 s[2:3], vcc, s[2:3]
	s_and_b64 exec, exec, s[2:3]
	s_cbranch_execz .LBB39_134
; %bb.129:
	v_cmp_ngt_f64_e64 s[2:3], |v[136:137]|, |v[138:139]|
                                        ; implicit-def: $vgpr140_vgpr141
	s_and_saveexec_b64 s[10:11], s[2:3]
	s_xor_b64 s[2:3], exec, s[10:11]
                                        ; implicit-def: $vgpr142_vgpr143
	s_cbranch_execz .LBB39_131
; %bb.130:
	v_div_scale_f64 v[140:141], s[10:11], v[138:139], v[138:139], v[136:137]
	v_rcp_f64_e32 v[142:143], v[140:141]
	v_div_scale_f64 v[144:145], vcc, v[136:137], v[138:139], v[136:137]
	v_fma_f64 v[146:147], -v[140:141], v[142:143], 1.0
	v_fmac_f64_e32 v[142:143], v[142:143], v[146:147]
	v_fma_f64 v[146:147], -v[140:141], v[142:143], 1.0
	v_fmac_f64_e32 v[142:143], v[142:143], v[146:147]
	v_mul_f64 v[146:147], v[144:145], v[142:143]
	v_fma_f64 v[140:141], -v[140:141], v[146:147], v[144:145]
	v_div_fmas_f64 v[140:141], v[140:141], v[142:143], v[146:147]
	v_div_fixup_f64 v[140:141], v[140:141], v[138:139], v[136:137]
	v_fmac_f64_e32 v[138:139], v[136:137], v[140:141]
	v_div_scale_f64 v[136:137], s[10:11], v[138:139], v[138:139], 1.0
	v_rcp_f64_e32 v[142:143], v[136:137]
	s_nop 0
	v_fma_f64 v[144:145], -v[136:137], v[142:143], 1.0
	v_fmac_f64_e32 v[142:143], v[142:143], v[144:145]
	v_fma_f64 v[144:145], -v[136:137], v[142:143], 1.0
	v_fmac_f64_e32 v[142:143], v[142:143], v[144:145]
	v_div_scale_f64 v[144:145], vcc, 1.0, v[138:139], 1.0
	v_mul_f64 v[146:147], v[144:145], v[142:143]
	v_fma_f64 v[136:137], -v[136:137], v[146:147], v[144:145]
	s_nop 1
	v_div_fmas_f64 v[136:137], v[136:137], v[142:143], v[146:147]
	v_div_fixup_f64 v[142:143], v[136:137], v[138:139], 1.0
	v_mul_f64 v[140:141], v[140:141], v[142:143]
	v_xor_b32_e32 v143, 0x80000000, v143
                                        ; implicit-def: $vgpr136_vgpr137
.LBB39_131:
	s_andn2_saveexec_b64 s[2:3], s[2:3]
	s_cbranch_execz .LBB39_133
; %bb.132:
	v_div_scale_f64 v[140:141], s[10:11], v[136:137], v[136:137], v[138:139]
	v_rcp_f64_e32 v[142:143], v[140:141]
	v_div_scale_f64 v[144:145], vcc, v[138:139], v[136:137], v[138:139]
	v_fma_f64 v[146:147], -v[140:141], v[142:143], 1.0
	v_fmac_f64_e32 v[142:143], v[142:143], v[146:147]
	v_fma_f64 v[146:147], -v[140:141], v[142:143], 1.0
	v_fmac_f64_e32 v[142:143], v[142:143], v[146:147]
	v_mul_f64 v[146:147], v[144:145], v[142:143]
	v_fma_f64 v[140:141], -v[140:141], v[146:147], v[144:145]
	v_div_fmas_f64 v[140:141], v[140:141], v[142:143], v[146:147]
	v_div_fixup_f64 v[142:143], v[140:141], v[136:137], v[138:139]
	v_fmac_f64_e32 v[136:137], v[138:139], v[142:143]
	v_div_scale_f64 v[138:139], s[10:11], v[136:137], v[136:137], 1.0
	v_rcp_f64_e32 v[140:141], v[138:139]
	s_nop 0
	v_fma_f64 v[144:145], -v[138:139], v[140:141], 1.0
	v_fmac_f64_e32 v[140:141], v[140:141], v[144:145]
	v_fma_f64 v[144:145], -v[138:139], v[140:141], 1.0
	v_fmac_f64_e32 v[140:141], v[140:141], v[144:145]
	v_div_scale_f64 v[144:145], vcc, 1.0, v[136:137], 1.0
	v_mul_f64 v[146:147], v[144:145], v[140:141]
	v_fma_f64 v[138:139], -v[138:139], v[146:147], v[144:145]
	s_nop 1
	v_div_fmas_f64 v[138:139], v[138:139], v[140:141], v[146:147]
	v_div_fixup_f64 v[140:141], v[138:139], v[136:137], 1.0
	v_mul_f64 v[142:143], v[142:143], -v[140:141]
.LBB39_133:
	s_or_b64 exec, exec, s[2:3]
	ds_write2_b64 v203, v[140:141], v[142:143] offset1:1
.LBB39_134:
	s_or_b64 exec, exec, s[4:5]
	s_waitcnt lgkmcnt(0)
	s_barrier
	ds_read2_b64 v[136:139], v203 offset1:1
	v_cmp_lt_u32_e32 vcc, 14, v202
	s_and_saveexec_b64 s[2:3], vcc
	s_cbranch_execz .LBB39_136
; %bb.135:
	ds_read2_b64 v[140:143], v204 offset0:30 offset1:31
	ds_read2_b64 v[144:147], v204 offset0:32 offset1:33
	s_waitcnt vmcnt(5) lgkmcnt(2)
	v_mul_f64 v[148:149], v[136:137], v[26:27]
	v_fmac_f64_e32 v[148:149], v[138:139], v[24:25]
	v_mul_f64 v[26:27], v[138:139], v[26:27]
	v_fma_f64 v[24:25], v[136:137], v[24:25], -v[26:27]
	s_waitcnt lgkmcnt(1)
	v_mul_f64 v[26:27], v[142:143], v[148:149]
	v_fma_f64 v[26:27], v[140:141], v[24:25], -v[26:27]
	v_mul_f64 v[140:141], v[140:141], v[148:149]
	v_fmac_f64_e32 v[140:141], v[142:143], v[24:25]
	s_waitcnt vmcnt(4)
	v_add_f64 v[22:23], v[22:23], -v[140:141]
	ds_read2_b64 v[140:143], v204 offset0:34 offset1:35
	v_add_f64 v[20:21], v[20:21], -v[26:27]
	s_waitcnt lgkmcnt(1)
	v_mul_f64 v[26:27], v[146:147], v[148:149]
	v_fma_f64 v[26:27], v[144:145], v[24:25], -v[26:27]
	v_mul_f64 v[144:145], v[144:145], v[148:149]
	v_fmac_f64_e32 v[144:145], v[146:147], v[24:25]
	s_waitcnt vmcnt(3)
	v_add_f64 v[16:17], v[16:17], -v[26:27]
	v_add_f64 v[18:19], v[18:19], -v[144:145]
	ds_read2_b64 v[144:147], v204 offset0:36 offset1:37
	s_waitcnt lgkmcnt(1)
	v_mul_f64 v[26:27], v[142:143], v[148:149]
	v_fma_f64 v[26:27], v[140:141], v[24:25], -v[26:27]
	v_mul_f64 v[140:141], v[140:141], v[148:149]
	v_fmac_f64_e32 v[140:141], v[142:143], v[24:25]
	s_waitcnt vmcnt(2)
	v_add_f64 v[14:15], v[14:15], -v[140:141]
	ds_read2_b64 v[140:143], v204 offset0:38 offset1:39
	v_add_f64 v[12:13], v[12:13], -v[26:27]
	s_waitcnt lgkmcnt(1)
	v_mul_f64 v[26:27], v[146:147], v[148:149]
	v_fma_f64 v[26:27], v[144:145], v[24:25], -v[26:27]
	s_waitcnt vmcnt(1)
	v_add_f64 v[8:9], v[8:9], -v[26:27]
	s_waitcnt lgkmcnt(0)
	v_mul_f64 v[26:27], v[142:143], v[148:149]
	v_mul_f64 v[144:145], v[144:145], v[148:149]
	v_fma_f64 v[26:27], v[140:141], v[24:25], -v[26:27]
	v_mul_f64 v[140:141], v[140:141], v[148:149]
	v_fmac_f64_e32 v[144:145], v[146:147], v[24:25]
	v_fmac_f64_e32 v[140:141], v[142:143], v[24:25]
	v_add_f64 v[10:11], v[10:11], -v[144:145]
	s_waitcnt vmcnt(0)
	v_add_f64 v[76:77], v[76:77], -v[26:27]
	v_add_f64 v[78:79], v[78:79], -v[140:141]
	v_mov_b64_e32 v[26:27], v[148:149]
.LBB39_136:
	s_or_b64 exec, exec, s[2:3]
	v_cmp_eq_u32_e32 vcc, 15, v202
	s_waitcnt lgkmcnt(0)
	s_barrier
	s_and_saveexec_b64 s[4:5], vcc
	s_cbranch_execz .LBB39_143
; %bb.137:
	s_waitcnt vmcnt(4)
	ds_write2_b64 v203, v[20:21], v[22:23] offset1:1
	s_waitcnt vmcnt(3)
	ds_write2_b64 v204, v[16:17], v[18:19] offset0:32 offset1:33
	s_waitcnt vmcnt(2)
	ds_write2_b64 v204, v[12:13], v[14:15] offset0:34 offset1:35
	;; [unrolled: 2-line block ×4, first 2 shown]
	ds_read2_b64 v[140:143], v203 offset1:1
	s_waitcnt lgkmcnt(0)
	v_cmp_neq_f64_e32 vcc, 0, v[140:141]
	v_cmp_neq_f64_e64 s[2:3], 0, v[142:143]
	s_or_b64 s[2:3], vcc, s[2:3]
	s_and_b64 exec, exec, s[2:3]
	s_cbranch_execz .LBB39_143
; %bb.138:
	v_cmp_ngt_f64_e64 s[2:3], |v[140:141]|, |v[142:143]|
                                        ; implicit-def: $vgpr144_vgpr145
	s_and_saveexec_b64 s[10:11], s[2:3]
	s_xor_b64 s[2:3], exec, s[10:11]
                                        ; implicit-def: $vgpr146_vgpr147
	s_cbranch_execz .LBB39_140
; %bb.139:
	v_div_scale_f64 v[144:145], s[10:11], v[142:143], v[142:143], v[140:141]
	v_rcp_f64_e32 v[146:147], v[144:145]
	v_div_scale_f64 v[148:149], vcc, v[140:141], v[142:143], v[140:141]
	v_fma_f64 v[150:151], -v[144:145], v[146:147], 1.0
	v_fmac_f64_e32 v[146:147], v[146:147], v[150:151]
	v_fma_f64 v[150:151], -v[144:145], v[146:147], 1.0
	v_fmac_f64_e32 v[146:147], v[146:147], v[150:151]
	v_mul_f64 v[150:151], v[148:149], v[146:147]
	v_fma_f64 v[144:145], -v[144:145], v[150:151], v[148:149]
	v_div_fmas_f64 v[144:145], v[144:145], v[146:147], v[150:151]
	v_div_fixup_f64 v[144:145], v[144:145], v[142:143], v[140:141]
	v_fmac_f64_e32 v[142:143], v[140:141], v[144:145]
	v_div_scale_f64 v[140:141], s[10:11], v[142:143], v[142:143], 1.0
	v_rcp_f64_e32 v[146:147], v[140:141]
	s_nop 0
	v_fma_f64 v[148:149], -v[140:141], v[146:147], 1.0
	v_fmac_f64_e32 v[146:147], v[146:147], v[148:149]
	v_fma_f64 v[148:149], -v[140:141], v[146:147], 1.0
	v_fmac_f64_e32 v[146:147], v[146:147], v[148:149]
	v_div_scale_f64 v[148:149], vcc, 1.0, v[142:143], 1.0
	v_mul_f64 v[150:151], v[148:149], v[146:147]
	v_fma_f64 v[140:141], -v[140:141], v[150:151], v[148:149]
	s_nop 1
	v_div_fmas_f64 v[140:141], v[140:141], v[146:147], v[150:151]
	v_div_fixup_f64 v[146:147], v[140:141], v[142:143], 1.0
	v_mul_f64 v[144:145], v[144:145], v[146:147]
	v_xor_b32_e32 v147, 0x80000000, v147
                                        ; implicit-def: $vgpr140_vgpr141
.LBB39_140:
	s_andn2_saveexec_b64 s[2:3], s[2:3]
	s_cbranch_execz .LBB39_142
; %bb.141:
	v_div_scale_f64 v[144:145], s[10:11], v[140:141], v[140:141], v[142:143]
	v_rcp_f64_e32 v[146:147], v[144:145]
	v_div_scale_f64 v[148:149], vcc, v[142:143], v[140:141], v[142:143]
	v_fma_f64 v[150:151], -v[144:145], v[146:147], 1.0
	v_fmac_f64_e32 v[146:147], v[146:147], v[150:151]
	v_fma_f64 v[150:151], -v[144:145], v[146:147], 1.0
	v_fmac_f64_e32 v[146:147], v[146:147], v[150:151]
	v_mul_f64 v[150:151], v[148:149], v[146:147]
	v_fma_f64 v[144:145], -v[144:145], v[150:151], v[148:149]
	v_div_fmas_f64 v[144:145], v[144:145], v[146:147], v[150:151]
	v_div_fixup_f64 v[146:147], v[144:145], v[140:141], v[142:143]
	v_fmac_f64_e32 v[140:141], v[142:143], v[146:147]
	v_div_scale_f64 v[142:143], s[10:11], v[140:141], v[140:141], 1.0
	v_rcp_f64_e32 v[144:145], v[142:143]
	s_nop 0
	v_fma_f64 v[148:149], -v[142:143], v[144:145], 1.0
	v_fmac_f64_e32 v[144:145], v[144:145], v[148:149]
	v_fma_f64 v[148:149], -v[142:143], v[144:145], 1.0
	v_fmac_f64_e32 v[144:145], v[144:145], v[148:149]
	v_div_scale_f64 v[148:149], vcc, 1.0, v[140:141], 1.0
	v_mul_f64 v[150:151], v[148:149], v[144:145]
	v_fma_f64 v[142:143], -v[142:143], v[150:151], v[148:149]
	s_nop 1
	v_div_fmas_f64 v[142:143], v[142:143], v[144:145], v[150:151]
	v_div_fixup_f64 v[144:145], v[142:143], v[140:141], 1.0
	v_mul_f64 v[146:147], v[146:147], -v[144:145]
.LBB39_142:
	s_or_b64 exec, exec, s[2:3]
	ds_write2_b64 v203, v[144:145], v[146:147] offset1:1
.LBB39_143:
	s_or_b64 exec, exec, s[4:5]
	s_waitcnt lgkmcnt(0)
	s_barrier
	ds_read2_b64 v[140:143], v203 offset1:1
	v_cmp_lt_u32_e32 vcc, 15, v202
	s_and_saveexec_b64 s[2:3], vcc
	s_cbranch_execz .LBB39_145
; %bb.144:
	ds_read2_b64 v[144:147], v204 offset0:32 offset1:33
	ds_read2_b64 v[148:151], v204 offset0:34 offset1:35
	s_waitcnt vmcnt(4) lgkmcnt(2)
	v_mul_f64 v[152:153], v[140:141], v[22:23]
	v_fmac_f64_e32 v[152:153], v[142:143], v[20:21]
	v_mul_f64 v[22:23], v[142:143], v[22:23]
	v_fma_f64 v[20:21], v[140:141], v[20:21], -v[22:23]
	s_waitcnt lgkmcnt(1)
	v_mul_f64 v[22:23], v[146:147], v[152:153]
	v_fma_f64 v[22:23], v[144:145], v[20:21], -v[22:23]
	v_mul_f64 v[144:145], v[144:145], v[152:153]
	v_fmac_f64_e32 v[144:145], v[146:147], v[20:21]
	s_waitcnt vmcnt(3)
	v_add_f64 v[16:17], v[16:17], -v[22:23]
	v_add_f64 v[18:19], v[18:19], -v[144:145]
	s_waitcnt lgkmcnt(0)
	v_mul_f64 v[22:23], v[150:151], v[152:153]
	ds_read2_b64 v[144:147], v204 offset0:36 offset1:37
	v_fma_f64 v[22:23], v[148:149], v[20:21], -v[22:23]
	v_mul_f64 v[148:149], v[148:149], v[152:153]
	v_fmac_f64_e32 v[148:149], v[150:151], v[20:21]
	s_waitcnt vmcnt(2)
	v_add_f64 v[14:15], v[14:15], -v[148:149]
	ds_read2_b64 v[148:151], v204 offset0:38 offset1:39
	v_add_f64 v[12:13], v[12:13], -v[22:23]
	s_waitcnt lgkmcnt(1)
	v_mul_f64 v[22:23], v[146:147], v[152:153]
	v_fma_f64 v[22:23], v[144:145], v[20:21], -v[22:23]
	v_mul_f64 v[144:145], v[144:145], v[152:153]
	v_fmac_f64_e32 v[144:145], v[146:147], v[20:21]
	s_waitcnt vmcnt(1)
	v_add_f64 v[8:9], v[8:9], -v[22:23]
	v_add_f64 v[10:11], v[10:11], -v[144:145]
	s_waitcnt lgkmcnt(0)
	v_mul_f64 v[22:23], v[150:151], v[152:153]
	v_mul_f64 v[144:145], v[148:149], v[152:153]
	v_fma_f64 v[22:23], v[148:149], v[20:21], -v[22:23]
	v_fmac_f64_e32 v[144:145], v[150:151], v[20:21]
	s_waitcnt vmcnt(0)
	v_add_f64 v[76:77], v[76:77], -v[22:23]
	v_add_f64 v[78:79], v[78:79], -v[144:145]
	v_mov_b64_e32 v[22:23], v[152:153]
.LBB39_145:
	s_or_b64 exec, exec, s[2:3]
	v_cmp_eq_u32_e32 vcc, 16, v202
	s_waitcnt lgkmcnt(0)
	s_barrier
	s_and_saveexec_b64 s[4:5], vcc
	s_cbranch_execz .LBB39_152
; %bb.146:
	s_waitcnt vmcnt(3)
	ds_write2_b64 v203, v[16:17], v[18:19] offset1:1
	s_waitcnt vmcnt(2)
	ds_write2_b64 v204, v[12:13], v[14:15] offset0:34 offset1:35
	s_waitcnt vmcnt(1)
	ds_write2_b64 v204, v[8:9], v[10:11] offset0:36 offset1:37
	s_waitcnt vmcnt(0)
	ds_write2_b64 v204, v[76:77], v[78:79] offset0:38 offset1:39
	ds_read2_b64 v[144:147], v203 offset1:1
	s_waitcnt lgkmcnt(0)
	v_cmp_neq_f64_e32 vcc, 0, v[144:145]
	v_cmp_neq_f64_e64 s[2:3], 0, v[146:147]
	s_or_b64 s[2:3], vcc, s[2:3]
	s_and_b64 exec, exec, s[2:3]
	s_cbranch_execz .LBB39_152
; %bb.147:
	v_cmp_ngt_f64_e64 s[2:3], |v[144:145]|, |v[146:147]|
                                        ; implicit-def: $vgpr148_vgpr149
	s_and_saveexec_b64 s[10:11], s[2:3]
	s_xor_b64 s[2:3], exec, s[10:11]
                                        ; implicit-def: $vgpr150_vgpr151
	s_cbranch_execz .LBB39_149
; %bb.148:
	v_div_scale_f64 v[148:149], s[10:11], v[146:147], v[146:147], v[144:145]
	v_rcp_f64_e32 v[150:151], v[148:149]
	v_div_scale_f64 v[152:153], vcc, v[144:145], v[146:147], v[144:145]
	v_fma_f64 v[154:155], -v[148:149], v[150:151], 1.0
	v_fmac_f64_e32 v[150:151], v[150:151], v[154:155]
	v_fma_f64 v[154:155], -v[148:149], v[150:151], 1.0
	v_fmac_f64_e32 v[150:151], v[150:151], v[154:155]
	v_mul_f64 v[154:155], v[152:153], v[150:151]
	v_fma_f64 v[148:149], -v[148:149], v[154:155], v[152:153]
	v_div_fmas_f64 v[148:149], v[148:149], v[150:151], v[154:155]
	v_div_fixup_f64 v[148:149], v[148:149], v[146:147], v[144:145]
	v_fmac_f64_e32 v[146:147], v[144:145], v[148:149]
	v_div_scale_f64 v[144:145], s[10:11], v[146:147], v[146:147], 1.0
	v_rcp_f64_e32 v[150:151], v[144:145]
	s_nop 0
	v_fma_f64 v[152:153], -v[144:145], v[150:151], 1.0
	v_fmac_f64_e32 v[150:151], v[150:151], v[152:153]
	v_fma_f64 v[152:153], -v[144:145], v[150:151], 1.0
	v_fmac_f64_e32 v[150:151], v[150:151], v[152:153]
	v_div_scale_f64 v[152:153], vcc, 1.0, v[146:147], 1.0
	v_mul_f64 v[154:155], v[152:153], v[150:151]
	v_fma_f64 v[144:145], -v[144:145], v[154:155], v[152:153]
	s_nop 1
	v_div_fmas_f64 v[144:145], v[144:145], v[150:151], v[154:155]
	v_div_fixup_f64 v[150:151], v[144:145], v[146:147], 1.0
	v_mul_f64 v[148:149], v[148:149], v[150:151]
	v_xor_b32_e32 v151, 0x80000000, v151
                                        ; implicit-def: $vgpr144_vgpr145
.LBB39_149:
	s_andn2_saveexec_b64 s[2:3], s[2:3]
	s_cbranch_execz .LBB39_151
; %bb.150:
	v_div_scale_f64 v[148:149], s[10:11], v[144:145], v[144:145], v[146:147]
	v_rcp_f64_e32 v[150:151], v[148:149]
	v_div_scale_f64 v[152:153], vcc, v[146:147], v[144:145], v[146:147]
	v_fma_f64 v[154:155], -v[148:149], v[150:151], 1.0
	v_fmac_f64_e32 v[150:151], v[150:151], v[154:155]
	v_fma_f64 v[154:155], -v[148:149], v[150:151], 1.0
	v_fmac_f64_e32 v[150:151], v[150:151], v[154:155]
	v_mul_f64 v[154:155], v[152:153], v[150:151]
	v_fma_f64 v[148:149], -v[148:149], v[154:155], v[152:153]
	v_div_fmas_f64 v[148:149], v[148:149], v[150:151], v[154:155]
	v_div_fixup_f64 v[150:151], v[148:149], v[144:145], v[146:147]
	v_fmac_f64_e32 v[144:145], v[146:147], v[150:151]
	v_div_scale_f64 v[146:147], s[10:11], v[144:145], v[144:145], 1.0
	v_rcp_f64_e32 v[148:149], v[146:147]
	s_nop 0
	v_fma_f64 v[152:153], -v[146:147], v[148:149], 1.0
	v_fmac_f64_e32 v[148:149], v[148:149], v[152:153]
	v_fma_f64 v[152:153], -v[146:147], v[148:149], 1.0
	v_fmac_f64_e32 v[148:149], v[148:149], v[152:153]
	v_div_scale_f64 v[152:153], vcc, 1.0, v[144:145], 1.0
	v_mul_f64 v[154:155], v[152:153], v[148:149]
	v_fma_f64 v[146:147], -v[146:147], v[154:155], v[152:153]
	s_nop 1
	v_div_fmas_f64 v[146:147], v[146:147], v[148:149], v[154:155]
	v_div_fixup_f64 v[148:149], v[146:147], v[144:145], 1.0
	v_mul_f64 v[150:151], v[150:151], -v[148:149]
.LBB39_151:
	s_or_b64 exec, exec, s[2:3]
	ds_write2_b64 v203, v[148:149], v[150:151] offset1:1
.LBB39_152:
	s_or_b64 exec, exec, s[4:5]
	s_waitcnt lgkmcnt(0)
	s_barrier
	ds_read2_b64 v[144:147], v203 offset1:1
	v_cmp_lt_u32_e32 vcc, 16, v202
	s_and_saveexec_b64 s[2:3], vcc
	s_cbranch_execz .LBB39_154
; %bb.153:
	ds_read2_b64 v[148:151], v204 offset0:34 offset1:35
	ds_read2_b64 v[152:155], v204 offset0:36 offset1:37
	s_waitcnt vmcnt(3) lgkmcnt(2)
	v_mul_f64 v[156:157], v[144:145], v[18:19]
	v_fmac_f64_e32 v[156:157], v[146:147], v[16:17]
	v_mul_f64 v[18:19], v[146:147], v[18:19]
	v_fma_f64 v[16:17], v[144:145], v[16:17], -v[18:19]
	s_waitcnt lgkmcnt(1)
	v_mul_f64 v[18:19], v[150:151], v[156:157]
	v_fma_f64 v[18:19], v[148:149], v[16:17], -v[18:19]
	v_mul_f64 v[148:149], v[148:149], v[156:157]
	v_fmac_f64_e32 v[148:149], v[150:151], v[16:17]
	s_waitcnt vmcnt(2)
	v_add_f64 v[14:15], v[14:15], -v[148:149]
	ds_read2_b64 v[148:151], v204 offset0:38 offset1:39
	v_add_f64 v[12:13], v[12:13], -v[18:19]
	s_waitcnt lgkmcnt(1)
	v_mul_f64 v[18:19], v[154:155], v[156:157]
	v_fma_f64 v[18:19], v[152:153], v[16:17], -v[18:19]
	s_waitcnt vmcnt(1)
	v_add_f64 v[8:9], v[8:9], -v[18:19]
	s_waitcnt lgkmcnt(0)
	v_mul_f64 v[18:19], v[150:151], v[156:157]
	v_mul_f64 v[152:153], v[152:153], v[156:157]
	v_fma_f64 v[18:19], v[148:149], v[16:17], -v[18:19]
	v_mul_f64 v[148:149], v[148:149], v[156:157]
	v_fmac_f64_e32 v[152:153], v[154:155], v[16:17]
	v_fmac_f64_e32 v[148:149], v[150:151], v[16:17]
	v_add_f64 v[10:11], v[10:11], -v[152:153]
	s_waitcnt vmcnt(0)
	v_add_f64 v[76:77], v[76:77], -v[18:19]
	v_add_f64 v[78:79], v[78:79], -v[148:149]
	v_mov_b64_e32 v[18:19], v[156:157]
.LBB39_154:
	s_or_b64 exec, exec, s[2:3]
	v_cmp_eq_u32_e32 vcc, 17, v202
	s_waitcnt lgkmcnt(0)
	s_barrier
	s_and_saveexec_b64 s[4:5], vcc
	s_cbranch_execz .LBB39_161
; %bb.155:
	s_waitcnt vmcnt(2)
	ds_write2_b64 v203, v[12:13], v[14:15] offset1:1
	s_waitcnt vmcnt(1)
	ds_write2_b64 v204, v[8:9], v[10:11] offset0:36 offset1:37
	s_waitcnt vmcnt(0)
	ds_write2_b64 v204, v[76:77], v[78:79] offset0:38 offset1:39
	ds_read2_b64 v[148:151], v203 offset1:1
	s_waitcnt lgkmcnt(0)
	v_cmp_neq_f64_e32 vcc, 0, v[148:149]
	v_cmp_neq_f64_e64 s[2:3], 0, v[150:151]
	s_or_b64 s[2:3], vcc, s[2:3]
	s_and_b64 exec, exec, s[2:3]
	s_cbranch_execz .LBB39_161
; %bb.156:
	v_cmp_ngt_f64_e64 s[2:3], |v[148:149]|, |v[150:151]|
                                        ; implicit-def: $vgpr152_vgpr153
	s_and_saveexec_b64 s[10:11], s[2:3]
	s_xor_b64 s[2:3], exec, s[10:11]
                                        ; implicit-def: $vgpr154_vgpr155
	s_cbranch_execz .LBB39_158
; %bb.157:
	v_div_scale_f64 v[152:153], s[10:11], v[150:151], v[150:151], v[148:149]
	v_rcp_f64_e32 v[154:155], v[152:153]
	v_div_scale_f64 v[156:157], vcc, v[148:149], v[150:151], v[148:149]
	v_fma_f64 v[158:159], -v[152:153], v[154:155], 1.0
	v_fmac_f64_e32 v[154:155], v[154:155], v[158:159]
	v_fma_f64 v[158:159], -v[152:153], v[154:155], 1.0
	v_fmac_f64_e32 v[154:155], v[154:155], v[158:159]
	v_mul_f64 v[158:159], v[156:157], v[154:155]
	v_fma_f64 v[152:153], -v[152:153], v[158:159], v[156:157]
	v_div_fmas_f64 v[152:153], v[152:153], v[154:155], v[158:159]
	v_div_fixup_f64 v[152:153], v[152:153], v[150:151], v[148:149]
	v_fmac_f64_e32 v[150:151], v[148:149], v[152:153]
	v_div_scale_f64 v[148:149], s[10:11], v[150:151], v[150:151], 1.0
	v_rcp_f64_e32 v[154:155], v[148:149]
	s_nop 0
	v_fma_f64 v[156:157], -v[148:149], v[154:155], 1.0
	v_fmac_f64_e32 v[154:155], v[154:155], v[156:157]
	v_fma_f64 v[156:157], -v[148:149], v[154:155], 1.0
	v_fmac_f64_e32 v[154:155], v[154:155], v[156:157]
	v_div_scale_f64 v[156:157], vcc, 1.0, v[150:151], 1.0
	v_mul_f64 v[158:159], v[156:157], v[154:155]
	v_fma_f64 v[148:149], -v[148:149], v[158:159], v[156:157]
	s_nop 1
	v_div_fmas_f64 v[148:149], v[148:149], v[154:155], v[158:159]
	v_div_fixup_f64 v[154:155], v[148:149], v[150:151], 1.0
	v_mul_f64 v[152:153], v[152:153], v[154:155]
	v_xor_b32_e32 v155, 0x80000000, v155
                                        ; implicit-def: $vgpr148_vgpr149
.LBB39_158:
	s_andn2_saveexec_b64 s[2:3], s[2:3]
	s_cbranch_execz .LBB39_160
; %bb.159:
	v_div_scale_f64 v[152:153], s[10:11], v[148:149], v[148:149], v[150:151]
	v_rcp_f64_e32 v[154:155], v[152:153]
	v_div_scale_f64 v[156:157], vcc, v[150:151], v[148:149], v[150:151]
	v_fma_f64 v[158:159], -v[152:153], v[154:155], 1.0
	v_fmac_f64_e32 v[154:155], v[154:155], v[158:159]
	v_fma_f64 v[158:159], -v[152:153], v[154:155], 1.0
	v_fmac_f64_e32 v[154:155], v[154:155], v[158:159]
	v_mul_f64 v[158:159], v[156:157], v[154:155]
	v_fma_f64 v[152:153], -v[152:153], v[158:159], v[156:157]
	v_div_fmas_f64 v[152:153], v[152:153], v[154:155], v[158:159]
	v_div_fixup_f64 v[154:155], v[152:153], v[148:149], v[150:151]
	v_fmac_f64_e32 v[148:149], v[150:151], v[154:155]
	v_div_scale_f64 v[150:151], s[10:11], v[148:149], v[148:149], 1.0
	v_rcp_f64_e32 v[152:153], v[150:151]
	s_nop 0
	v_fma_f64 v[156:157], -v[150:151], v[152:153], 1.0
	v_fmac_f64_e32 v[152:153], v[152:153], v[156:157]
	v_fma_f64 v[156:157], -v[150:151], v[152:153], 1.0
	v_fmac_f64_e32 v[152:153], v[152:153], v[156:157]
	v_div_scale_f64 v[156:157], vcc, 1.0, v[148:149], 1.0
	v_mul_f64 v[158:159], v[156:157], v[152:153]
	v_fma_f64 v[150:151], -v[150:151], v[158:159], v[156:157]
	s_nop 1
	v_div_fmas_f64 v[150:151], v[150:151], v[152:153], v[158:159]
	v_div_fixup_f64 v[152:153], v[150:151], v[148:149], 1.0
	v_mul_f64 v[154:155], v[154:155], -v[152:153]
.LBB39_160:
	s_or_b64 exec, exec, s[2:3]
	ds_write2_b64 v203, v[152:153], v[154:155] offset1:1
.LBB39_161:
	s_or_b64 exec, exec, s[4:5]
	s_waitcnt lgkmcnt(0)
	s_barrier
	ds_read2_b64 v[148:151], v203 offset1:1
	v_cmp_lt_u32_e32 vcc, 17, v202
	s_and_saveexec_b64 s[2:3], vcc
	s_cbranch_execz .LBB39_163
; %bb.162:
	ds_read2_b64 v[152:155], v204 offset0:36 offset1:37
	ds_read2_b64 v[156:159], v204 offset0:38 offset1:39
	s_waitcnt vmcnt(2) lgkmcnt(2)
	v_mul_f64 v[206:207], v[148:149], v[14:15]
	v_fmac_f64_e32 v[206:207], v[150:151], v[12:13]
	v_mul_f64 v[14:15], v[150:151], v[14:15]
	v_fma_f64 v[12:13], v[148:149], v[12:13], -v[14:15]
	s_waitcnt lgkmcnt(1)
	v_mul_f64 v[14:15], v[154:155], v[206:207]
	v_fma_f64 v[14:15], v[152:153], v[12:13], -v[14:15]
	v_mul_f64 v[152:153], v[152:153], v[206:207]
	v_fmac_f64_e32 v[152:153], v[154:155], v[12:13]
	s_waitcnt vmcnt(1)
	v_add_f64 v[8:9], v[8:9], -v[14:15]
	v_add_f64 v[10:11], v[10:11], -v[152:153]
	s_waitcnt lgkmcnt(0)
	v_mul_f64 v[14:15], v[158:159], v[206:207]
	v_mul_f64 v[152:153], v[156:157], v[206:207]
	v_fma_f64 v[14:15], v[156:157], v[12:13], -v[14:15]
	v_fmac_f64_e32 v[152:153], v[158:159], v[12:13]
	s_waitcnt vmcnt(0)
	v_add_f64 v[76:77], v[76:77], -v[14:15]
	v_add_f64 v[78:79], v[78:79], -v[152:153]
	v_mov_b64_e32 v[14:15], v[206:207]
.LBB39_163:
	s_or_b64 exec, exec, s[2:3]
	v_cmp_eq_u32_e32 vcc, 18, v202
	s_waitcnt lgkmcnt(0)
	s_barrier
	s_and_saveexec_b64 s[4:5], vcc
	s_cbranch_execz .LBB39_170
; %bb.164:
	s_waitcnt vmcnt(1)
	ds_write2_b64 v203, v[8:9], v[10:11] offset1:1
	s_waitcnt vmcnt(0)
	ds_write2_b64 v204, v[76:77], v[78:79] offset0:38 offset1:39
	ds_read2_b64 v[152:155], v203 offset1:1
	s_waitcnt lgkmcnt(0)
	v_cmp_neq_f64_e32 vcc, 0, v[152:153]
	v_cmp_neq_f64_e64 s[2:3], 0, v[154:155]
	s_or_b64 s[2:3], vcc, s[2:3]
	s_and_b64 exec, exec, s[2:3]
	s_cbranch_execz .LBB39_170
; %bb.165:
	v_cmp_ngt_f64_e64 s[2:3], |v[152:153]|, |v[154:155]|
                                        ; implicit-def: $vgpr156_vgpr157
	s_and_saveexec_b64 s[10:11], s[2:3]
	s_xor_b64 s[2:3], exec, s[10:11]
                                        ; implicit-def: $vgpr158_vgpr159
	s_cbranch_execz .LBB39_167
; %bb.166:
	v_div_scale_f64 v[156:157], s[10:11], v[154:155], v[154:155], v[152:153]
	v_rcp_f64_e32 v[158:159], v[156:157]
	v_div_scale_f64 v[206:207], vcc, v[152:153], v[154:155], v[152:153]
	v_fma_f64 v[208:209], -v[156:157], v[158:159], 1.0
	v_fmac_f64_e32 v[158:159], v[158:159], v[208:209]
	v_fma_f64 v[208:209], -v[156:157], v[158:159], 1.0
	v_fmac_f64_e32 v[158:159], v[158:159], v[208:209]
	v_mul_f64 v[208:209], v[206:207], v[158:159]
	v_fma_f64 v[156:157], -v[156:157], v[208:209], v[206:207]
	v_div_fmas_f64 v[156:157], v[156:157], v[158:159], v[208:209]
	v_div_fixup_f64 v[156:157], v[156:157], v[154:155], v[152:153]
	v_fmac_f64_e32 v[154:155], v[152:153], v[156:157]
	v_div_scale_f64 v[152:153], s[10:11], v[154:155], v[154:155], 1.0
	v_rcp_f64_e32 v[158:159], v[152:153]
	s_nop 0
	v_fma_f64 v[206:207], -v[152:153], v[158:159], 1.0
	v_fmac_f64_e32 v[158:159], v[158:159], v[206:207]
	v_fma_f64 v[206:207], -v[152:153], v[158:159], 1.0
	v_fmac_f64_e32 v[158:159], v[158:159], v[206:207]
	v_div_scale_f64 v[206:207], vcc, 1.0, v[154:155], 1.0
	v_mul_f64 v[208:209], v[206:207], v[158:159]
	v_fma_f64 v[152:153], -v[152:153], v[208:209], v[206:207]
	s_nop 1
	v_div_fmas_f64 v[152:153], v[152:153], v[158:159], v[208:209]
	v_div_fixup_f64 v[158:159], v[152:153], v[154:155], 1.0
	v_mul_f64 v[156:157], v[156:157], v[158:159]
	v_xor_b32_e32 v159, 0x80000000, v159
                                        ; implicit-def: $vgpr152_vgpr153
.LBB39_167:
	s_andn2_saveexec_b64 s[2:3], s[2:3]
	s_cbranch_execz .LBB39_169
; %bb.168:
	v_div_scale_f64 v[156:157], s[10:11], v[152:153], v[152:153], v[154:155]
	v_rcp_f64_e32 v[158:159], v[156:157]
	v_div_scale_f64 v[206:207], vcc, v[154:155], v[152:153], v[154:155]
	v_fma_f64 v[208:209], -v[156:157], v[158:159], 1.0
	v_fmac_f64_e32 v[158:159], v[158:159], v[208:209]
	v_fma_f64 v[208:209], -v[156:157], v[158:159], 1.0
	v_fmac_f64_e32 v[158:159], v[158:159], v[208:209]
	v_mul_f64 v[208:209], v[206:207], v[158:159]
	v_fma_f64 v[156:157], -v[156:157], v[208:209], v[206:207]
	v_div_fmas_f64 v[156:157], v[156:157], v[158:159], v[208:209]
	v_div_fixup_f64 v[158:159], v[156:157], v[152:153], v[154:155]
	v_fmac_f64_e32 v[152:153], v[154:155], v[158:159]
	v_div_scale_f64 v[154:155], s[10:11], v[152:153], v[152:153], 1.0
	v_rcp_f64_e32 v[156:157], v[154:155]
	s_nop 0
	v_fma_f64 v[206:207], -v[154:155], v[156:157], 1.0
	v_fmac_f64_e32 v[156:157], v[156:157], v[206:207]
	v_fma_f64 v[206:207], -v[154:155], v[156:157], 1.0
	v_fmac_f64_e32 v[156:157], v[156:157], v[206:207]
	v_div_scale_f64 v[206:207], vcc, 1.0, v[152:153], 1.0
	v_mul_f64 v[208:209], v[206:207], v[156:157]
	v_fma_f64 v[154:155], -v[154:155], v[208:209], v[206:207]
	s_nop 1
	v_div_fmas_f64 v[154:155], v[154:155], v[156:157], v[208:209]
	v_div_fixup_f64 v[156:157], v[154:155], v[152:153], 1.0
	v_mul_f64 v[158:159], v[158:159], -v[156:157]
.LBB39_169:
	s_or_b64 exec, exec, s[2:3]
	ds_write2_b64 v203, v[156:157], v[158:159] offset1:1
.LBB39_170:
	s_or_b64 exec, exec, s[4:5]
	s_waitcnt lgkmcnt(0)
	s_barrier
	ds_read2_b64 v[152:155], v203 offset1:1
	v_cmp_lt_u32_e32 vcc, 18, v202
	s_and_saveexec_b64 s[2:3], vcc
	s_cbranch_execz .LBB39_172
; %bb.171:
	ds_read2_b64 v[156:159], v204 offset0:38 offset1:39
	s_waitcnt vmcnt(1) lgkmcnt(1)
	v_mul_f64 v[204:205], v[152:153], v[10:11]
	v_mul_f64 v[10:11], v[154:155], v[10:11]
	v_fmac_f64_e32 v[204:205], v[154:155], v[8:9]
	v_fma_f64 v[8:9], v[152:153], v[8:9], -v[10:11]
	s_waitcnt lgkmcnt(0)
	v_mul_f64 v[10:11], v[158:159], v[204:205]
	v_fma_f64 v[10:11], v[156:157], v[8:9], -v[10:11]
	v_mul_f64 v[156:157], v[156:157], v[204:205]
	v_fmac_f64_e32 v[156:157], v[158:159], v[8:9]
	s_waitcnt vmcnt(0)
	v_add_f64 v[76:77], v[76:77], -v[10:11]
	v_add_f64 v[78:79], v[78:79], -v[156:157]
	v_mov_b64_e32 v[10:11], v[204:205]
.LBB39_172:
	s_or_b64 exec, exec, s[2:3]
	v_cmp_eq_u32_e32 vcc, 19, v202
	s_waitcnt lgkmcnt(0)
	s_barrier
	s_and_saveexec_b64 s[4:5], vcc
	s_cbranch_execz .LBB39_179
; %bb.173:
	s_waitcnt vmcnt(0)
	v_cmp_neq_f64_e32 vcc, 0, v[76:77]
	v_cmp_neq_f64_e64 s[2:3], 0, v[78:79]
	s_or_b64 s[2:3], vcc, s[2:3]
	ds_write2_b64 v203, v[76:77], v[78:79] offset1:1
	s_and_b64 exec, exec, s[2:3]
	s_cbranch_execz .LBB39_179
; %bb.174:
	v_cmp_ngt_f64_e64 s[2:3], |v[76:77]|, |v[78:79]|
                                        ; implicit-def: $vgpr156_vgpr157
	s_and_saveexec_b64 s[10:11], s[2:3]
	s_xor_b64 s[2:3], exec, s[10:11]
                                        ; implicit-def: $vgpr158_vgpr159
	s_cbranch_execz .LBB39_176
; %bb.175:
	v_div_scale_f64 v[156:157], s[10:11], v[78:79], v[78:79], v[76:77]
	v_rcp_f64_e32 v[158:159], v[156:157]
	v_div_scale_f64 v[204:205], vcc, v[76:77], v[78:79], v[76:77]
	v_fma_f64 v[206:207], -v[156:157], v[158:159], 1.0
	v_fmac_f64_e32 v[158:159], v[158:159], v[206:207]
	v_fma_f64 v[206:207], -v[156:157], v[158:159], 1.0
	v_fmac_f64_e32 v[158:159], v[158:159], v[206:207]
	v_mul_f64 v[206:207], v[204:205], v[158:159]
	v_fma_f64 v[156:157], -v[156:157], v[206:207], v[204:205]
	v_div_fmas_f64 v[156:157], v[156:157], v[158:159], v[206:207]
	v_div_fixup_f64 v[156:157], v[156:157], v[78:79], v[76:77]
	v_fma_f64 v[158:159], v[76:77], v[156:157], v[78:79]
	v_div_scale_f64 v[204:205], s[10:11], v[158:159], v[158:159], 1.0
	v_rcp_f64_e32 v[206:207], v[204:205]
	s_nop 0
	v_fma_f64 v[208:209], -v[204:205], v[206:207], 1.0
	v_fmac_f64_e32 v[206:207], v[206:207], v[208:209]
	v_fma_f64 v[208:209], -v[204:205], v[206:207], 1.0
	v_fmac_f64_e32 v[206:207], v[206:207], v[208:209]
	v_div_scale_f64 v[208:209], vcc, 1.0, v[158:159], 1.0
	v_mul_f64 v[210:211], v[208:209], v[206:207]
	v_fma_f64 v[204:205], -v[204:205], v[210:211], v[208:209]
	s_nop 1
	v_div_fmas_f64 v[204:205], v[204:205], v[206:207], v[210:211]
	v_div_fixup_f64 v[158:159], v[204:205], v[158:159], 1.0
	v_mul_f64 v[156:157], v[156:157], v[158:159]
	v_xor_b32_e32 v159, 0x80000000, v159
.LBB39_176:
	s_andn2_saveexec_b64 s[2:3], s[2:3]
	s_cbranch_execz .LBB39_178
; %bb.177:
	v_div_scale_f64 v[156:157], s[10:11], v[76:77], v[76:77], v[78:79]
	v_rcp_f64_e32 v[158:159], v[156:157]
	v_div_scale_f64 v[204:205], vcc, v[78:79], v[76:77], v[78:79]
	v_fma_f64 v[206:207], -v[156:157], v[158:159], 1.0
	v_fmac_f64_e32 v[158:159], v[158:159], v[206:207]
	v_fma_f64 v[206:207], -v[156:157], v[158:159], 1.0
	v_fmac_f64_e32 v[158:159], v[158:159], v[206:207]
	v_mul_f64 v[206:207], v[204:205], v[158:159]
	v_fma_f64 v[156:157], -v[156:157], v[206:207], v[204:205]
	v_div_fmas_f64 v[156:157], v[156:157], v[158:159], v[206:207]
	v_div_fixup_f64 v[158:159], v[156:157], v[76:77], v[78:79]
	v_fma_f64 v[156:157], v[78:79], v[158:159], v[76:77]
	v_div_scale_f64 v[204:205], s[10:11], v[156:157], v[156:157], 1.0
	v_rcp_f64_e32 v[206:207], v[204:205]
	s_nop 0
	v_fma_f64 v[208:209], -v[204:205], v[206:207], 1.0
	v_fmac_f64_e32 v[206:207], v[206:207], v[208:209]
	v_fma_f64 v[208:209], -v[204:205], v[206:207], 1.0
	v_fmac_f64_e32 v[206:207], v[206:207], v[208:209]
	v_div_scale_f64 v[208:209], vcc, 1.0, v[156:157], 1.0
	v_mul_f64 v[210:211], v[208:209], v[206:207]
	v_fma_f64 v[204:205], -v[204:205], v[210:211], v[208:209]
	s_nop 1
	v_div_fmas_f64 v[204:205], v[204:205], v[206:207], v[210:211]
	v_div_fixup_f64 v[156:157], v[204:205], v[156:157], 1.0
	v_mul_f64 v[158:159], v[158:159], -v[156:157]
.LBB39_178:
	s_or_b64 exec, exec, s[2:3]
	ds_write2_b64 v203, v[156:157], v[158:159] offset1:1
.LBB39_179:
	s_or_b64 exec, exec, s[4:5]
	s_waitcnt lgkmcnt(0)
	s_barrier
	ds_read2_b64 v[156:159], v203 offset1:1
	s_waitcnt lgkmcnt(0)
	s_barrier
	s_and_saveexec_b64 s[2:3], s[0:1]
	s_cbranch_execz .LBB39_182
; %bb.180:
	v_cmp_eq_f64_e32 vcc, 0, v[80:81]
	v_cmp_eq_f64_e64 s[0:1], 0, v[82:83]
	s_and_b64 s[4:5], vcc, s[0:1]
	v_cmp_neq_f64_e32 vcc, 0, v[84:85]
	v_cmp_neq_f64_e64 s[0:1], 0, v[86:87]
	s_or_b64 s[0:1], vcc, s[0:1]
	v_cndmask_b32_e64 v80, 0, 1, s[4:5]
	s_or_b64 vcc, s[0:1], s[4:5]
	v_cndmask_b32_e32 v80, 2, v80, vcc
	v_cmp_eq_f64_e32 vcc, 0, v[88:89]
	v_cmp_eq_f64_e64 s[0:1], 0, v[90:91]
	s_and_b64 s[0:1], vcc, s[0:1]
	v_cmp_eq_u32_e32 vcc, 0, v80
	s_and_b64 s[0:1], s[0:1], vcc
	v_cndmask_b32_e64 v80, v80, 3, s[0:1]
	v_cmp_eq_f64_e32 vcc, 0, v[92:93]
	v_cmp_eq_f64_e64 s[0:1], 0, v[94:95]
	s_and_b64 s[0:1], vcc, s[0:1]
	v_cmp_eq_u32_e32 vcc, 0, v80
	s_and_b64 s[0:1], s[0:1], vcc
	v_cndmask_b32_e64 v80, v80, 4, s[0:1]
	;; [unrolled: 6-line block ×4, first 2 shown]
	v_mov_b32_e32 v80, s6
	v_mov_b32_e32 v81, s7
	v_lshl_add_u64 v[80:81], v[182:183], 2, v[80:81]
	global_load_dword v83, v[80:81], off
	v_cmp_eq_f64_e32 vcc, 0, v[104:105]
	v_cmp_eq_f64_e64 s[0:1], 0, v[106:107]
	s_and_b64 s[0:1], vcc, s[0:1]
	v_cmp_eq_u32_e32 vcc, 0, v82
	s_and_b64 s[0:1], s[0:1], vcc
	v_cndmask_b32_e64 v82, v82, 7, s[0:1]
	v_cmp_eq_f64_e32 vcc, 0, v[108:109]
	v_cmp_eq_f64_e64 s[0:1], 0, v[110:111]
	s_and_b64 s[0:1], vcc, s[0:1]
	v_cmp_eq_u32_e32 vcc, 0, v82
	s_and_b64 s[0:1], s[0:1], vcc
	v_cndmask_b32_e64 v82, v82, 8, s[0:1]
	;; [unrolled: 6-line block ×14, first 2 shown]
	s_waitcnt vmcnt(0)
	v_cmp_eq_u32_e32 vcc, 0, v83
	v_cmp_ne_u32_e64 s[0:1], 0, v82
	s_and_b64 s[0:1], vcc, s[0:1]
	s_and_b64 exec, exec, s[0:1]
	s_cbranch_execz .LBB39_182
; %bb.181:
	v_add_u32_e32 v82, s9, v82
	global_store_dword v[80:81], v82, off
.LBB39_182:
	s_or_b64 exec, exec, s[2:3]
	s_waitcnt vmcnt(0)
	v_mul_f64 v[80:81], v[158:159], v[78:79]
	v_mul_f64 v[82:83], v[156:157], v[78:79]
	v_fma_f64 v[80:81], v[156:157], v[76:77], -v[80:81]
	v_fmac_f64_e32 v[82:83], v[158:159], v[76:77]
	v_cmp_lt_u32_e32 vcc, 19, v202
	s_nop 1
	v_cndmask_b32_e32 v79, v79, v83, vcc
	v_cndmask_b32_e32 v78, v78, v82, vcc
	;; [unrolled: 1-line block ×4, first 2 shown]
	global_store_dwordx4 v[160:161], v[4:7], off
	global_store_dwordx4 v[162:163], v[0:3], off
	;; [unrolled: 1-line block ×20, first 2 shown]
.LBB39_183:
	s_endpgm
	.section	.rodata,"a",@progbits
	.p2align	6, 0x0
	.amdhsa_kernel _ZN9rocsolver6v33100L23getf2_npvt_small_kernelILi20E19rocblas_complex_numIdEiiPS3_EEvT1_T3_lS5_lPT2_S5_S5_
		.amdhsa_group_segment_fixed_size 0
		.amdhsa_private_segment_fixed_size 0
		.amdhsa_kernarg_size 312
		.amdhsa_user_sgpr_count 2
		.amdhsa_user_sgpr_dispatch_ptr 0
		.amdhsa_user_sgpr_queue_ptr 0
		.amdhsa_user_sgpr_kernarg_segment_ptr 1
		.amdhsa_user_sgpr_dispatch_id 0
		.amdhsa_user_sgpr_kernarg_preload_length 0
		.amdhsa_user_sgpr_kernarg_preload_offset 0
		.amdhsa_user_sgpr_private_segment_size 0
		.amdhsa_uses_dynamic_stack 0
		.amdhsa_enable_private_segment 0
		.amdhsa_system_sgpr_workgroup_id_x 1
		.amdhsa_system_sgpr_workgroup_id_y 1
		.amdhsa_system_sgpr_workgroup_id_z 0
		.amdhsa_system_sgpr_workgroup_info 0
		.amdhsa_system_vgpr_workitem_id 1
		.amdhsa_next_free_vgpr 212
		.amdhsa_next_free_sgpr 16
		.amdhsa_accum_offset 212
		.amdhsa_reserve_vcc 1
		.amdhsa_float_round_mode_32 0
		.amdhsa_float_round_mode_16_64 0
		.amdhsa_float_denorm_mode_32 3
		.amdhsa_float_denorm_mode_16_64 3
		.amdhsa_dx10_clamp 1
		.amdhsa_ieee_mode 1
		.amdhsa_fp16_overflow 0
		.amdhsa_tg_split 0
		.amdhsa_exception_fp_ieee_invalid_op 0
		.amdhsa_exception_fp_denorm_src 0
		.amdhsa_exception_fp_ieee_div_zero 0
		.amdhsa_exception_fp_ieee_overflow 0
		.amdhsa_exception_fp_ieee_underflow 0
		.amdhsa_exception_fp_ieee_inexact 0
		.amdhsa_exception_int_div_zero 0
	.end_amdhsa_kernel
	.section	.text._ZN9rocsolver6v33100L23getf2_npvt_small_kernelILi20E19rocblas_complex_numIdEiiPS3_EEvT1_T3_lS5_lPT2_S5_S5_,"axG",@progbits,_ZN9rocsolver6v33100L23getf2_npvt_small_kernelILi20E19rocblas_complex_numIdEiiPS3_EEvT1_T3_lS5_lPT2_S5_S5_,comdat
.Lfunc_end39:
	.size	_ZN9rocsolver6v33100L23getf2_npvt_small_kernelILi20E19rocblas_complex_numIdEiiPS3_EEvT1_T3_lS5_lPT2_S5_S5_, .Lfunc_end39-_ZN9rocsolver6v33100L23getf2_npvt_small_kernelILi20E19rocblas_complex_numIdEiiPS3_EEvT1_T3_lS5_lPT2_S5_S5_
                                        ; -- End function
	.set _ZN9rocsolver6v33100L23getf2_npvt_small_kernelILi20E19rocblas_complex_numIdEiiPS3_EEvT1_T3_lS5_lPT2_S5_S5_.num_vgpr, 212
	.set _ZN9rocsolver6v33100L23getf2_npvt_small_kernelILi20E19rocblas_complex_numIdEiiPS3_EEvT1_T3_lS5_lPT2_S5_S5_.num_agpr, 0
	.set _ZN9rocsolver6v33100L23getf2_npvt_small_kernelILi20E19rocblas_complex_numIdEiiPS3_EEvT1_T3_lS5_lPT2_S5_S5_.numbered_sgpr, 16
	.set _ZN9rocsolver6v33100L23getf2_npvt_small_kernelILi20E19rocblas_complex_numIdEiiPS3_EEvT1_T3_lS5_lPT2_S5_S5_.num_named_barrier, 0
	.set _ZN9rocsolver6v33100L23getf2_npvt_small_kernelILi20E19rocblas_complex_numIdEiiPS3_EEvT1_T3_lS5_lPT2_S5_S5_.private_seg_size, 0
	.set _ZN9rocsolver6v33100L23getf2_npvt_small_kernelILi20E19rocblas_complex_numIdEiiPS3_EEvT1_T3_lS5_lPT2_S5_S5_.uses_vcc, 1
	.set _ZN9rocsolver6v33100L23getf2_npvt_small_kernelILi20E19rocblas_complex_numIdEiiPS3_EEvT1_T3_lS5_lPT2_S5_S5_.uses_flat_scratch, 0
	.set _ZN9rocsolver6v33100L23getf2_npvt_small_kernelILi20E19rocblas_complex_numIdEiiPS3_EEvT1_T3_lS5_lPT2_S5_S5_.has_dyn_sized_stack, 0
	.set _ZN9rocsolver6v33100L23getf2_npvt_small_kernelILi20E19rocblas_complex_numIdEiiPS3_EEvT1_T3_lS5_lPT2_S5_S5_.has_recursion, 0
	.set _ZN9rocsolver6v33100L23getf2_npvt_small_kernelILi20E19rocblas_complex_numIdEiiPS3_EEvT1_T3_lS5_lPT2_S5_S5_.has_indirect_call, 0
	.section	.AMDGPU.csdata,"",@progbits
; Kernel info:
; codeLenInByte = 25848
; TotalNumSgprs: 22
; NumVgprs: 212
; NumAgprs: 0
; TotalNumVgprs: 212
; ScratchSize: 0
; MemoryBound: 1
; FloatMode: 240
; IeeeMode: 1
; LDSByteSize: 0 bytes/workgroup (compile time only)
; SGPRBlocks: 2
; VGPRBlocks: 26
; NumSGPRsForWavesPerEU: 22
; NumVGPRsForWavesPerEU: 212
; AccumOffset: 212
; Occupancy: 2
; WaveLimiterHint : 0
; COMPUTE_PGM_RSRC2:SCRATCH_EN: 0
; COMPUTE_PGM_RSRC2:USER_SGPR: 2
; COMPUTE_PGM_RSRC2:TRAP_HANDLER: 0
; COMPUTE_PGM_RSRC2:TGID_X_EN: 1
; COMPUTE_PGM_RSRC2:TGID_Y_EN: 1
; COMPUTE_PGM_RSRC2:TGID_Z_EN: 0
; COMPUTE_PGM_RSRC2:TIDIG_COMP_CNT: 1
; COMPUTE_PGM_RSRC3_GFX90A:ACCUM_OFFSET: 52
; COMPUTE_PGM_RSRC3_GFX90A:TG_SPLIT: 0
	.section	.text._ZN9rocsolver6v33100L18getf2_small_kernelILi21E19rocblas_complex_numIdEiiPS3_EEvT1_T3_lS5_lPS5_llPT2_S5_S5_S7_l,"axG",@progbits,_ZN9rocsolver6v33100L18getf2_small_kernelILi21E19rocblas_complex_numIdEiiPS3_EEvT1_T3_lS5_lPS5_llPT2_S5_S5_S7_l,comdat
	.globl	_ZN9rocsolver6v33100L18getf2_small_kernelILi21E19rocblas_complex_numIdEiiPS3_EEvT1_T3_lS5_lPS5_llPT2_S5_S5_S7_l ; -- Begin function _ZN9rocsolver6v33100L18getf2_small_kernelILi21E19rocblas_complex_numIdEiiPS3_EEvT1_T3_lS5_lPS5_llPT2_S5_S5_S7_l
	.p2align	8
	.type	_ZN9rocsolver6v33100L18getf2_small_kernelILi21E19rocblas_complex_numIdEiiPS3_EEvT1_T3_lS5_lPS5_llPT2_S5_S5_S7_l,@function
_ZN9rocsolver6v33100L18getf2_small_kernelILi21E19rocblas_complex_numIdEiiPS3_EEvT1_T3_lS5_lPS5_llPT2_S5_S5_S7_l: ; @_ZN9rocsolver6v33100L18getf2_small_kernelILi21E19rocblas_complex_numIdEiiPS3_EEvT1_T3_lS5_lPS5_llPT2_S5_S5_S7_l
; %bb.0:
	s_load_dword s2, s[0:1], 0x6c
	s_load_dwordx2 s[12:13], s[0:1], 0x48
	v_bfe_u32 v84, v0, 10, 10
	s_waitcnt lgkmcnt(0)
	s_lshr_b32 s2, s2, 16
	s_mul_i32 s3, s3, s2
	v_add_u32_e32 v90, s3, v84
	v_cmp_gt_i32_e32 vcc, s12, v90
	s_and_saveexec_b64 s[2:3], vcc
	s_cbranch_execz .LBB40_442
; %bb.1:
	s_load_dwordx4 s[4:7], s[0:1], 0x50
	v_ashrrev_i32_e32 v91, 31, v90
	v_mov_b64_e32 v[92:93], 0
	s_waitcnt lgkmcnt(0)
	s_cmp_eq_u64 s[4:5], 0
	s_cselect_b64 s[14:15], -1, 0
	s_and_b64 vcc, exec, s[14:15]
	s_cbranch_vccnz .LBB40_3
; %bb.2:
	v_mul_lo_u32 v1, s7, v90
	v_mul_lo_u32 v4, s6, v91
	v_mad_u64_u32 v[2:3], s[2:3], s6, v90, 0
	v_add3_u32 v3, v3, v4, v1
	v_lshl_add_u64 v[92:93], v[2:3], 2, s[4:5]
.LBB40_3:
	s_load_dwordx4 s[16:19], s[0:1], 0x8
	s_load_dwordx8 s[4:11], s[0:1], 0x20
	s_load_dword s2, s[0:1], 0x18
	s_load_dword s20, s[0:1], 0x0
	v_and_b32_e32 v98, 0x3ff, v0
	s_waitcnt lgkmcnt(0)
	v_mov_b32_e32 v2, s16
	v_mul_lo_u32 v1, s5, v90
	v_mul_lo_u32 v6, s4, v91
	v_mad_u64_u32 v[4:5], s[4:5], s4, v90, 0
	v_mov_b32_e32 v3, s17
	v_add3_u32 v5, v5, v6, v1
	v_lshl_add_u64 v[2:3], v[4:5], 4, v[2:3]
	s_add_i32 s12, s2, s2
	v_lshl_add_u64 v[88:89], s[18:19], 4, v[2:3]
	v_add_u32_e32 v2, s12, v98
	v_add_u32_e32 v4, s2, v2
	v_ashrrev_i32_e32 v3, 31, v2
	v_ashrrev_i32_e32 v5, 31, v4
	v_add_u32_e32 v6, s2, v4
	v_lshl_add_u64 v[2:3], v[2:3], 4, v[88:89]
	v_lshl_add_u64 v[4:5], v[4:5], 4, v[88:89]
	v_add_u32_e32 v8, s2, v6
	v_lshlrev_b32_e32 v94, 4, v98
	v_mov_b32_e32 v95, 0
	v_ashrrev_i32_e32 v7, 31, v6
	global_load_dwordx4 v[28:31], v[2:3], off
	global_load_dwordx4 v[20:23], v[4:5], off
	v_add_u32_e32 v4, s2, v8
	v_lshl_add_u64 v[0:1], v[88:89], 0, v[94:95]
	s_ashr_i32 s3, s2, 31
	v_lshl_add_u64 v[2:3], v[6:7], 4, v[88:89]
	v_ashrrev_i32_e32 v9, 31, v8
	v_add_u32_e32 v6, s2, v4
	v_lshl_add_u64 v[10:11], s[2:3], 4, v[0:1]
	global_load_dwordx4 v[44:47], v[0:1], off
	global_load_dwordx4 v[40:43], v[10:11], off
	v_lshl_add_u64 v[0:1], v[8:9], 4, v[88:89]
	v_add_u32_e32 v8, s2, v6
	v_ashrrev_i32_e32 v5, 31, v4
	v_ashrrev_i32_e32 v7, 31, v6
	global_load_dwordx4 v[72:75], v[2:3], off
	global_load_dwordx4 v[64:67], v[0:1], off
	v_add_u32_e32 v2, s2, v8
	v_lshl_add_u64 v[4:5], v[4:5], 4, v[88:89]
	v_lshl_add_u64 v[0:1], v[6:7], 4, v[88:89]
	v_add_u32_e32 v6, s2, v2
	v_ashrrev_i32_e32 v3, 31, v2
	global_load_dwordx4 v[60:63], v[4:5], off
	global_load_dwordx4 v[52:55], v[0:1], off
	v_add_u32_e32 v0, s2, v6
	v_lshl_add_u64 v[96:97], v[2:3], 4, v[88:89]
	v_ashrrev_i32_e32 v1, 31, v0
	v_add_u32_e32 v2, s2, v0
	v_lshl_add_u64 v[102:103], v[0:1], 4, v[88:89]
	v_ashrrev_i32_e32 v3, 31, v2
	;; [unrolled: 3-line block ×8, first 2 shown]
	v_add_u32_e32 v0, s2, v2
	v_ashrrev_i32_e32 v9, 31, v8
	v_lshl_add_u64 v[116:117], v[2:3], 4, v[88:89]
	v_add_u32_e32 v2, s2, v0
	v_lshl_add_u64 v[86:87], v[8:9], 4, v[88:89]
	v_ashrrev_i32_e32 v7, 31, v6
	v_ashrrev_i32_e32 v1, 31, v0
	;; [unrolled: 1-line block ×3, first 2 shown]
	v_lshl_add_u64 v[100:101], v[6:7], 4, v[88:89]
	v_lshl_add_u64 v[118:119], v[0:1], 4, v[88:89]
	;; [unrolled: 1-line block ×3, first 2 shown]
	global_load_dwordx4 v[76:79], v[86:87], off
	global_load_dwordx4 v[68:71], v[96:97], off
	;; [unrolled: 1-line block ×13, first 2 shown]
	s_load_dwordx2 s[4:5], s[0:1], 0x40
	s_max_i32 s0, s20, 21
	v_mul_lo_u32 v97, s0, v84
	v_lshl_add_u32 v96, v97, 4, 0
	v_add_u32_e32 v84, v96, v94
	s_cmp_lt_i32 s20, 2
	v_lshlrev_b32_e32 v100, 4, v97
	s_waitcnt vmcnt(18)
	ds_write2_b64 v84, v[44:45], v[46:47] offset1:1
	s_waitcnt lgkmcnt(0)
	s_barrier
	ds_read2_b64 v[84:87], v96 offset1:1
	s_cbranch_scc1 .LBB40_6
; %bb.4:
	v_add3_u32 v94, v100, 0, 16
	s_mov_b32 s16, 1
	v_mov_b32_e32 v95, 0
.LBB40_5:                               ; =>This Inner Loop Header: Depth=1
	ds_read2_b64 v[102:105], v94 offset1:1
	s_waitcnt lgkmcnt(1)
	v_xor_b32_e32 v97, 0x80000000, v85
	v_xor_b32_e32 v99, 0x80000000, v87
	v_cmp_gt_f64_e32 vcc, 0, v[86:87]
	v_cmp_gt_f64_e64 s[0:1], 0, v[84:85]
	v_mov_b32_e32 v106, v84
	v_mov_b32_e32 v108, v86
	v_cndmask_b32_e64 v107, v85, v97, s[0:1]
	v_cndmask_b32_e32 v109, v87, v99, vcc
	s_waitcnt lgkmcnt(0)
	v_xor_b32_e32 v97, 0x80000000, v103
	v_xor_b32_e32 v99, 0x80000000, v105
	v_cmp_gt_f64_e32 vcc, 0, v[104:105]
	v_cmp_gt_f64_e64 s[0:1], 0, v[102:103]
	v_add_f64 v[106:107], v[106:107], v[108:109]
	v_mov_b32_e32 v108, v102
	v_mov_b32_e32 v110, v104
	v_cndmask_b32_e64 v109, v103, v97, s[0:1]
	v_cndmask_b32_e32 v111, v105, v99, vcc
	v_add_f64 v[108:109], v[108:109], v[110:111]
	v_mov_b32_e32 v101, s16
	s_add_i32 s16, s16, 1
	v_cmp_lt_f64_e32 vcc, v[106:107], v[108:109]
	v_add_u32_e32 v94, 16, v94
	s_cmp_eq_u32 s20, s16
	v_cndmask_b32_e32 v85, v85, v103, vcc
	v_cndmask_b32_e32 v84, v84, v102, vcc
	;; [unrolled: 1-line block ×5, first 2 shown]
	s_cbranch_scc0 .LBB40_5
.LBB40_6:
	s_waitcnt lgkmcnt(0)
	v_cmp_neq_f64_e32 vcc, 0, v[84:85]
	v_cmp_neq_f64_e64 s[0:1], 0, v[86:87]
	s_or_b64 s[16:17], vcc, s[0:1]
	v_mov_b32_e32 v99, 1
	v_mov_b32_e32 v101, 1
	s_and_saveexec_b64 s[0:1], s[16:17]
	s_cbranch_execz .LBB40_12
; %bb.7:
	v_cmp_ngt_f64_e64 s[16:17], |v[84:85]|, |v[86:87]|
	s_and_saveexec_b64 s[18:19], s[16:17]
	s_xor_b64 s[16:17], exec, s[18:19]
	s_cbranch_execz .LBB40_9
; %bb.8:
	v_div_scale_f64 v[102:103], s[18:19], v[86:87], v[86:87], v[84:85]
	v_rcp_f64_e32 v[104:105], v[102:103]
	v_div_scale_f64 v[106:107], vcc, v[84:85], v[86:87], v[84:85]
	v_fma_f64 v[108:109], -v[102:103], v[104:105], 1.0
	v_fmac_f64_e32 v[104:105], v[104:105], v[108:109]
	v_fma_f64 v[108:109], -v[102:103], v[104:105], 1.0
	v_fmac_f64_e32 v[104:105], v[104:105], v[108:109]
	v_mul_f64 v[108:109], v[106:107], v[104:105]
	v_fma_f64 v[102:103], -v[102:103], v[108:109], v[106:107]
	v_div_fmas_f64 v[102:103], v[102:103], v[104:105], v[108:109]
	v_div_fixup_f64 v[102:103], v[102:103], v[86:87], v[84:85]
	v_fmac_f64_e32 v[86:87], v[84:85], v[102:103]
	v_div_scale_f64 v[84:85], s[18:19], v[86:87], v[86:87], 1.0
	v_rcp_f64_e32 v[104:105], v[84:85]
	s_nop 0
	v_fma_f64 v[106:107], -v[84:85], v[104:105], 1.0
	v_fmac_f64_e32 v[104:105], v[104:105], v[106:107]
	v_fma_f64 v[106:107], -v[84:85], v[104:105], 1.0
	v_fmac_f64_e32 v[104:105], v[104:105], v[106:107]
	v_div_scale_f64 v[106:107], vcc, 1.0, v[86:87], 1.0
	v_mul_f64 v[108:109], v[106:107], v[104:105]
	v_fma_f64 v[84:85], -v[84:85], v[108:109], v[106:107]
	s_nop 1
	v_div_fmas_f64 v[84:85], v[84:85], v[104:105], v[108:109]
	v_div_fixup_f64 v[86:87], v[84:85], v[86:87], 1.0
	v_mul_f64 v[84:85], v[102:103], v[86:87]
	v_xor_b32_e32 v87, 0x80000000, v87
.LBB40_9:
	s_andn2_saveexec_b64 s[16:17], s[16:17]
	s_cbranch_execz .LBB40_11
; %bb.10:
	v_div_scale_f64 v[102:103], s[18:19], v[84:85], v[84:85], v[86:87]
	v_rcp_f64_e32 v[104:105], v[102:103]
	v_div_scale_f64 v[106:107], vcc, v[86:87], v[84:85], v[86:87]
	v_fma_f64 v[108:109], -v[102:103], v[104:105], 1.0
	v_fmac_f64_e32 v[104:105], v[104:105], v[108:109]
	v_fma_f64 v[108:109], -v[102:103], v[104:105], 1.0
	v_fmac_f64_e32 v[104:105], v[104:105], v[108:109]
	v_mul_f64 v[108:109], v[106:107], v[104:105]
	v_fma_f64 v[102:103], -v[102:103], v[108:109], v[106:107]
	v_div_fmas_f64 v[102:103], v[102:103], v[104:105], v[108:109]
	v_div_fixup_f64 v[102:103], v[102:103], v[84:85], v[86:87]
	v_fmac_f64_e32 v[84:85], v[86:87], v[102:103]
	v_div_scale_f64 v[86:87], s[18:19], v[84:85], v[84:85], 1.0
	v_rcp_f64_e32 v[104:105], v[86:87]
	s_nop 0
	v_fma_f64 v[106:107], -v[86:87], v[104:105], 1.0
	v_fmac_f64_e32 v[104:105], v[104:105], v[106:107]
	v_fma_f64 v[106:107], -v[86:87], v[104:105], 1.0
	v_fmac_f64_e32 v[104:105], v[104:105], v[106:107]
	v_div_scale_f64 v[106:107], vcc, 1.0, v[84:85], 1.0
	v_mul_f64 v[108:109], v[106:107], v[104:105]
	v_fma_f64 v[86:87], -v[86:87], v[108:109], v[106:107]
	s_nop 1
	v_div_fmas_f64 v[86:87], v[86:87], v[104:105], v[108:109]
	v_div_fixup_f64 v[84:85], v[86:87], v[84:85], 1.0
	v_mul_f64 v[86:87], v[102:103], -v[84:85]
.LBB40_11:
	s_or_b64 exec, exec, s[16:17]
	v_mov_b32_e32 v101, 0
	v_mov_b32_e32 v99, 2
.LBB40_12:
	s_or_b64 exec, exec, s[0:1]
	v_cmp_ne_u32_e32 vcc, v98, v95
	s_and_saveexec_b64 s[0:1], vcc
	s_xor_b64 s[0:1], exec, s[0:1]
	s_cbranch_execz .LBB40_18
; %bb.13:
	v_cmp_eq_u32_e32 vcc, 0, v98
	s_and_saveexec_b64 s[16:17], vcc
	s_cbranch_execz .LBB40_17
; %bb.14:
	v_cmp_ne_u32_e32 vcc, 0, v95
	s_xor_b64 s[18:19], s[14:15], -1
	s_and_b64 s[22:23], s[18:19], vcc
	s_and_saveexec_b64 s[18:19], s[22:23]
	s_cbranch_execz .LBB40_16
; %bb.15:
	v_ashrrev_i32_e32 v103, 31, v95
	v_mov_b32_e32 v102, v95
	v_lshl_add_u64 v[102:103], v[102:103], 2, v[92:93]
	global_load_dword v94, v[102:103], off
	global_load_dword v97, v[92:93], off
	s_waitcnt vmcnt(1)
	global_store_dword v[92:93], v94, off
	s_waitcnt vmcnt(1)
	global_store_dword v[102:103], v97, off
.LBB40_16:
	s_or_b64 exec, exec, s[18:19]
	v_mov_b32_e32 v98, v95
.LBB40_17:
	s_or_b64 exec, exec, s[16:17]
.LBB40_18:
	s_or_saveexec_b64 s[0:1], s[0:1]
	v_mov_b32_e32 v97, v98
	s_xor_b64 exec, exec, s[0:1]
	s_cbranch_execz .LBB40_20
; %bb.19:
	v_mov_b32_e32 v97, 0
	s_waitcnt vmcnt(17)
	ds_write2_b64 v96, v[40:41], v[42:43] offset0:2 offset1:3
	ds_write2_b64 v96, v[28:29], v[30:31] offset0:4 offset1:5
	;; [unrolled: 1-line block ×3, first 2 shown]
	s_waitcnt vmcnt(16)
	ds_write2_b64 v96, v[72:73], v[74:75] offset0:8 offset1:9
	s_waitcnt vmcnt(15)
	ds_write2_b64 v96, v[64:65], v[66:67] offset0:10 offset1:11
	s_waitcnt vmcnt(14)
	ds_write2_b64 v96, v[60:61], v[62:63] offset0:12 offset1:13
	s_waitcnt vmcnt(13)
	ds_write2_b64 v96, v[52:53], v[54:55] offset0:14 offset1:15
	s_waitcnt vmcnt(12)
	ds_write2_b64 v96, v[76:77], v[78:79] offset0:16 offset1:17
	s_waitcnt vmcnt(11)
	ds_write2_b64 v96, v[68:69], v[70:71] offset0:18 offset1:19
	s_waitcnt vmcnt(10)
	ds_write2_b64 v96, v[56:57], v[58:59] offset0:20 offset1:21
	s_waitcnt vmcnt(9)
	ds_write2_b64 v96, v[48:49], v[50:51] offset0:22 offset1:23
	s_waitcnt vmcnt(8)
	ds_write2_b64 v96, v[36:37], v[38:39] offset0:24 offset1:25
	s_waitcnt vmcnt(7)
	ds_write2_b64 v96, v[32:33], v[34:35] offset0:26 offset1:27
	s_waitcnt vmcnt(6)
	ds_write2_b64 v96, v[24:25], v[26:27] offset0:28 offset1:29
	s_waitcnt vmcnt(5)
	ds_write2_b64 v96, v[16:17], v[18:19] offset0:30 offset1:31
	s_waitcnt vmcnt(4)
	ds_write2_b64 v96, v[12:13], v[14:15] offset0:32 offset1:33
	s_waitcnt vmcnt(3)
	ds_write2_b64 v96, v[8:9], v[10:11] offset0:34 offset1:35
	s_waitcnt vmcnt(2)
	ds_write2_b64 v96, v[4:5], v[6:7] offset0:36 offset1:37
	s_waitcnt vmcnt(1)
	ds_write2_b64 v96, v[0:1], v[2:3] offset0:38 offset1:39
	s_waitcnt vmcnt(0)
	ds_write2_b64 v96, v[80:81], v[82:83] offset0:40 offset1:41
.LBB40_20:
	s_or_b64 exec, exec, s[0:1]
	v_cmp_lt_i32_e32 vcc, 0, v97
	s_waitcnt lgkmcnt(0)
	s_barrier
	s_and_saveexec_b64 s[0:1], vcc
	s_cbranch_execz .LBB40_22
; %bb.21:
	ds_read2_b64 v[102:105], v96 offset0:2 offset1:3
	v_mul_f64 v[94:95], v[86:87], v[46:47]
	v_mul_f64 v[46:47], v[84:85], v[46:47]
	v_fma_f64 v[94:95], v[84:85], v[44:45], -v[94:95]
	v_fmac_f64_e32 v[46:47], v[86:87], v[44:45]
	ds_read2_b64 v[84:87], v96 offset0:4 offset1:5
	s_waitcnt lgkmcnt(1)
	v_mul_f64 v[44:45], v[104:105], v[46:47]
	v_fma_f64 v[44:45], v[102:103], v[94:95], -v[44:45]
	v_mul_f64 v[102:103], v[102:103], v[46:47]
	v_fmac_f64_e32 v[102:103], v[104:105], v[94:95]
	s_waitcnt vmcnt(17)
	v_add_f64 v[40:41], v[40:41], -v[44:45]
	s_waitcnt lgkmcnt(0)
	v_mul_f64 v[44:45], v[86:87], v[46:47]
	v_add_f64 v[42:43], v[42:43], -v[102:103]
	v_fma_f64 v[44:45], v[84:85], v[94:95], -v[44:45]
	v_mul_f64 v[84:85], v[84:85], v[46:47]
	ds_read2_b64 v[102:105], v96 offset0:6 offset1:7
	v_fmac_f64_e32 v[84:85], v[86:87], v[94:95]
	v_add_f64 v[30:31], v[30:31], -v[84:85]
	ds_read2_b64 v[84:87], v96 offset0:8 offset1:9
	v_add_f64 v[28:29], v[28:29], -v[44:45]
	s_waitcnt lgkmcnt(1)
	v_mul_f64 v[44:45], v[104:105], v[46:47]
	v_fma_f64 v[44:45], v[102:103], v[94:95], -v[44:45]
	v_mul_f64 v[102:103], v[102:103], v[46:47]
	v_fmac_f64_e32 v[102:103], v[104:105], v[94:95]
	v_add_f64 v[20:21], v[20:21], -v[44:45]
	s_waitcnt lgkmcnt(0)
	v_mul_f64 v[44:45], v[86:87], v[46:47]
	v_add_f64 v[22:23], v[22:23], -v[102:103]
	v_fma_f64 v[44:45], v[84:85], v[94:95], -v[44:45]
	v_mul_f64 v[84:85], v[84:85], v[46:47]
	ds_read2_b64 v[102:105], v96 offset0:10 offset1:11
	v_fmac_f64_e32 v[84:85], v[86:87], v[94:95]
	s_waitcnt vmcnt(16)
	v_add_f64 v[74:75], v[74:75], -v[84:85]
	ds_read2_b64 v[84:87], v96 offset0:12 offset1:13
	v_add_f64 v[72:73], v[72:73], -v[44:45]
	s_waitcnt lgkmcnt(1)
	v_mul_f64 v[44:45], v[104:105], v[46:47]
	v_fma_f64 v[44:45], v[102:103], v[94:95], -v[44:45]
	v_mul_f64 v[102:103], v[102:103], v[46:47]
	v_fmac_f64_e32 v[102:103], v[104:105], v[94:95]
	s_waitcnt vmcnt(15)
	v_add_f64 v[64:65], v[64:65], -v[44:45]
	s_waitcnt lgkmcnt(0)
	v_mul_f64 v[44:45], v[86:87], v[46:47]
	v_add_f64 v[66:67], v[66:67], -v[102:103]
	v_fma_f64 v[44:45], v[84:85], v[94:95], -v[44:45]
	v_mul_f64 v[84:85], v[84:85], v[46:47]
	ds_read2_b64 v[102:105], v96 offset0:14 offset1:15
	v_fmac_f64_e32 v[84:85], v[86:87], v[94:95]
	s_waitcnt vmcnt(14)
	v_add_f64 v[62:63], v[62:63], -v[84:85]
	ds_read2_b64 v[84:87], v96 offset0:16 offset1:17
	v_add_f64 v[60:61], v[60:61], -v[44:45]
	s_waitcnt lgkmcnt(1)
	v_mul_f64 v[44:45], v[104:105], v[46:47]
	v_fma_f64 v[44:45], v[102:103], v[94:95], -v[44:45]
	v_mul_f64 v[102:103], v[102:103], v[46:47]
	v_fmac_f64_e32 v[102:103], v[104:105], v[94:95]
	s_waitcnt vmcnt(13)
	;; [unrolled: 18-line block ×7, first 2 shown]
	v_add_f64 v[8:9], v[8:9], -v[44:45]
	s_waitcnt lgkmcnt(0)
	v_mul_f64 v[44:45], v[86:87], v[46:47]
	v_add_f64 v[10:11], v[10:11], -v[102:103]
	v_fma_f64 v[44:45], v[84:85], v[94:95], -v[44:45]
	v_mul_f64 v[84:85], v[84:85], v[46:47]
	ds_read2_b64 v[102:105], v96 offset0:38 offset1:39
	v_fmac_f64_e32 v[84:85], v[86:87], v[94:95]
	s_waitcnt vmcnt(2)
	v_add_f64 v[6:7], v[6:7], -v[84:85]
	ds_read2_b64 v[84:87], v96 offset0:40 offset1:41
	v_add_f64 v[4:5], v[4:5], -v[44:45]
	s_waitcnt lgkmcnt(1)
	v_mul_f64 v[44:45], v[104:105], v[46:47]
	v_fma_f64 v[44:45], v[102:103], v[94:95], -v[44:45]
	s_waitcnt vmcnt(1)
	v_add_f64 v[0:1], v[0:1], -v[44:45]
	s_waitcnt lgkmcnt(0)
	v_mul_f64 v[44:45], v[86:87], v[46:47]
	v_mul_f64 v[102:103], v[102:103], v[46:47]
	v_fma_f64 v[44:45], v[84:85], v[94:95], -v[44:45]
	v_mul_f64 v[84:85], v[84:85], v[46:47]
	v_fmac_f64_e32 v[102:103], v[104:105], v[94:95]
	v_fmac_f64_e32 v[84:85], v[86:87], v[94:95]
	v_add_f64 v[2:3], v[2:3], -v[102:103]
	s_waitcnt vmcnt(0)
	v_add_f64 v[80:81], v[80:81], -v[44:45]
	v_add_f64 v[82:83], v[82:83], -v[84:85]
	v_mov_b64_e32 v[44:45], v[94:95]
.LBB40_22:
	s_or_b64 exec, exec, s[0:1]
	v_lshl_add_u32 v84, v97, 4, v96
	s_barrier
	s_waitcnt vmcnt(17)
	ds_write2_b64 v84, v[40:41], v[42:43] offset1:1
	s_waitcnt lgkmcnt(0)
	s_barrier
	ds_read2_b64 v[84:87], v96 offset0:2 offset1:3
	s_cmp_lt_i32 s20, 3
	v_mov_b32_e32 v94, 1
	s_cbranch_scc1 .LBB40_25
; %bb.23:
	v_add3_u32 v95, v100, 0, 32
	s_mov_b32 s16, 2
	v_mov_b32_e32 v94, 1
.LBB40_24:                              ; =>This Inner Loop Header: Depth=1
	ds_read2_b64 v[102:105], v95 offset1:1
	s_waitcnt lgkmcnt(1)
	v_xor_b32_e32 v107, 0x80000000, v85
	v_xor_b32_e32 v109, 0x80000000, v87
	v_cmp_gt_f64_e32 vcc, 0, v[86:87]
	v_cmp_gt_f64_e64 s[0:1], 0, v[84:85]
	v_mov_b32_e32 v106, v84
	v_mov_b32_e32 v108, v86
	v_cndmask_b32_e64 v107, v85, v107, s[0:1]
	v_cndmask_b32_e32 v109, v87, v109, vcc
	v_add_f64 v[106:107], v[106:107], v[108:109]
	s_waitcnt lgkmcnt(0)
	v_xor_b32_e32 v109, 0x80000000, v103
	v_xor_b32_e32 v111, 0x80000000, v105
	v_cmp_gt_f64_e32 vcc, 0, v[104:105]
	v_cmp_gt_f64_e64 s[0:1], 0, v[102:103]
	v_mov_b32_e32 v108, v102
	v_mov_b32_e32 v110, v104
	v_cndmask_b32_e64 v109, v103, v109, s[0:1]
	v_cndmask_b32_e32 v111, v105, v111, vcc
	v_add_f64 v[108:109], v[108:109], v[110:111]
	v_mov_b32_e32 v112, s16
	s_add_i32 s16, s16, 1
	v_cmp_lt_f64_e32 vcc, v[106:107], v[108:109]
	v_add_u32_e32 v95, 16, v95
	s_cmp_lg_u32 s20, s16
	v_cndmask_b32_e32 v85, v85, v103, vcc
	v_cndmask_b32_e32 v84, v84, v102, vcc
	;; [unrolled: 1-line block ×5, first 2 shown]
	s_cbranch_scc1 .LBB40_24
.LBB40_25:
	s_waitcnt lgkmcnt(0)
	v_cmp_neq_f64_e32 vcc, 0, v[84:85]
	v_cmp_neq_f64_e64 s[0:1], 0, v[86:87]
	s_or_b64 s[16:17], vcc, s[0:1]
	s_and_saveexec_b64 s[0:1], s[16:17]
	s_cbranch_execz .LBB40_31
; %bb.26:
	v_cmp_ngt_f64_e64 s[16:17], |v[84:85]|, |v[86:87]|
	s_and_saveexec_b64 s[18:19], s[16:17]
	s_xor_b64 s[16:17], exec, s[18:19]
	s_cbranch_execz .LBB40_28
; %bb.27:
	v_div_scale_f64 v[102:103], s[18:19], v[86:87], v[86:87], v[84:85]
	v_rcp_f64_e32 v[104:105], v[102:103]
	v_div_scale_f64 v[106:107], vcc, v[84:85], v[86:87], v[84:85]
	v_fma_f64 v[108:109], -v[102:103], v[104:105], 1.0
	v_fmac_f64_e32 v[104:105], v[104:105], v[108:109]
	v_fma_f64 v[108:109], -v[102:103], v[104:105], 1.0
	v_fmac_f64_e32 v[104:105], v[104:105], v[108:109]
	v_mul_f64 v[108:109], v[106:107], v[104:105]
	v_fma_f64 v[102:103], -v[102:103], v[108:109], v[106:107]
	v_div_fmas_f64 v[102:103], v[102:103], v[104:105], v[108:109]
	v_div_fixup_f64 v[102:103], v[102:103], v[86:87], v[84:85]
	v_fmac_f64_e32 v[86:87], v[84:85], v[102:103]
	v_div_scale_f64 v[84:85], s[18:19], v[86:87], v[86:87], 1.0
	v_rcp_f64_e32 v[104:105], v[84:85]
	s_nop 0
	v_fma_f64 v[106:107], -v[84:85], v[104:105], 1.0
	v_fmac_f64_e32 v[104:105], v[104:105], v[106:107]
	v_fma_f64 v[106:107], -v[84:85], v[104:105], 1.0
	v_fmac_f64_e32 v[104:105], v[104:105], v[106:107]
	v_div_scale_f64 v[106:107], vcc, 1.0, v[86:87], 1.0
	v_mul_f64 v[108:109], v[106:107], v[104:105]
	v_fma_f64 v[84:85], -v[84:85], v[108:109], v[106:107]
	s_nop 1
	v_div_fmas_f64 v[84:85], v[84:85], v[104:105], v[108:109]
	v_div_fixup_f64 v[86:87], v[84:85], v[86:87], 1.0
	v_mul_f64 v[84:85], v[102:103], v[86:87]
	v_xor_b32_e32 v87, 0x80000000, v87
.LBB40_28:
	s_andn2_saveexec_b64 s[16:17], s[16:17]
	s_cbranch_execz .LBB40_30
; %bb.29:
	v_div_scale_f64 v[102:103], s[18:19], v[84:85], v[84:85], v[86:87]
	v_rcp_f64_e32 v[104:105], v[102:103]
	v_div_scale_f64 v[106:107], vcc, v[86:87], v[84:85], v[86:87]
	v_fma_f64 v[108:109], -v[102:103], v[104:105], 1.0
	v_fmac_f64_e32 v[104:105], v[104:105], v[108:109]
	v_fma_f64 v[108:109], -v[102:103], v[104:105], 1.0
	v_fmac_f64_e32 v[104:105], v[104:105], v[108:109]
	v_mul_f64 v[108:109], v[106:107], v[104:105]
	v_fma_f64 v[102:103], -v[102:103], v[108:109], v[106:107]
	v_div_fmas_f64 v[102:103], v[102:103], v[104:105], v[108:109]
	v_div_fixup_f64 v[102:103], v[102:103], v[84:85], v[86:87]
	v_fmac_f64_e32 v[84:85], v[86:87], v[102:103]
	v_div_scale_f64 v[86:87], s[18:19], v[84:85], v[84:85], 1.0
	v_rcp_f64_e32 v[104:105], v[86:87]
	s_nop 0
	v_fma_f64 v[106:107], -v[86:87], v[104:105], 1.0
	v_fmac_f64_e32 v[104:105], v[104:105], v[106:107]
	v_fma_f64 v[106:107], -v[86:87], v[104:105], 1.0
	v_fmac_f64_e32 v[104:105], v[104:105], v[106:107]
	v_div_scale_f64 v[106:107], vcc, 1.0, v[84:85], 1.0
	v_mul_f64 v[108:109], v[106:107], v[104:105]
	v_fma_f64 v[86:87], -v[86:87], v[108:109], v[106:107]
	s_nop 1
	v_div_fmas_f64 v[86:87], v[86:87], v[104:105], v[108:109]
	v_div_fixup_f64 v[84:85], v[86:87], v[84:85], 1.0
	v_mul_f64 v[86:87], v[102:103], -v[84:85]
.LBB40_30:
	s_or_b64 exec, exec, s[16:17]
	v_mov_b32_e32 v99, v101
.LBB40_31:
	s_or_b64 exec, exec, s[0:1]
	v_cmp_ne_u32_e32 vcc, v97, v94
	s_and_saveexec_b64 s[0:1], vcc
	s_xor_b64 s[0:1], exec, s[0:1]
	s_cbranch_execz .LBB40_37
; %bb.32:
	v_cmp_eq_u32_e32 vcc, 1, v97
	s_and_saveexec_b64 s[16:17], vcc
	s_cbranch_execz .LBB40_36
; %bb.33:
	v_cmp_ne_u32_e32 vcc, 1, v94
	s_xor_b64 s[18:19], s[14:15], -1
	s_and_b64 s[22:23], s[18:19], vcc
	s_and_saveexec_b64 s[18:19], s[22:23]
	s_cbranch_execz .LBB40_35
; %bb.34:
	v_ashrrev_i32_e32 v95, 31, v94
	v_lshl_add_u64 v[102:103], v[94:95], 2, v[92:93]
	global_load_dword v95, v[102:103], off
	global_load_dword v97, v[92:93], off offset:4
	s_waitcnt vmcnt(1)
	global_store_dword v[92:93], v95, off offset:4
	s_waitcnt vmcnt(1)
	global_store_dword v[102:103], v97, off
.LBB40_35:
	s_or_b64 exec, exec, s[18:19]
	v_mov_b32_e32 v97, v94
	v_mov_b32_e32 v98, v94
.LBB40_36:
	s_or_b64 exec, exec, s[16:17]
.LBB40_37:
	s_andn2_saveexec_b64 s[0:1], s[0:1]
	s_cbranch_execz .LBB40_39
; %bb.38:
	v_mov_b32_e32 v97, 1
	ds_write2_b64 v96, v[28:29], v[30:31] offset0:4 offset1:5
	ds_write2_b64 v96, v[20:21], v[22:23] offset0:6 offset1:7
	s_waitcnt vmcnt(16)
	ds_write2_b64 v96, v[72:73], v[74:75] offset0:8 offset1:9
	s_waitcnt vmcnt(15)
	;; [unrolled: 2-line block ×17, first 2 shown]
	ds_write2_b64 v96, v[80:81], v[82:83] offset0:40 offset1:41
.LBB40_39:
	s_or_b64 exec, exec, s[0:1]
	v_cmp_lt_i32_e32 vcc, 1, v97
	s_waitcnt lgkmcnt(0)
	s_barrier
	s_and_saveexec_b64 s[0:1], vcc
	s_cbranch_execz .LBB40_41
; %bb.40:
	ds_read2_b64 v[102:105], v96 offset0:4 offset1:5
	v_mul_f64 v[94:95], v[86:87], v[42:43]
	v_mul_f64 v[42:43], v[84:85], v[42:43]
	v_fmac_f64_e32 v[42:43], v[86:87], v[40:41]
	v_fma_f64 v[94:95], v[84:85], v[40:41], -v[94:95]
	ds_read2_b64 v[84:87], v96 offset0:6 offset1:7
	s_waitcnt lgkmcnt(1)
	v_mul_f64 v[40:41], v[104:105], v[42:43]
	v_fma_f64 v[40:41], v[102:103], v[94:95], -v[40:41]
	v_mul_f64 v[102:103], v[102:103], v[42:43]
	v_fmac_f64_e32 v[102:103], v[104:105], v[94:95]
	v_add_f64 v[30:31], v[30:31], -v[102:103]
	ds_read2_b64 v[102:105], v96 offset0:8 offset1:9
	v_add_f64 v[28:29], v[28:29], -v[40:41]
	s_waitcnt lgkmcnt(1)
	v_mul_f64 v[40:41], v[86:87], v[42:43]
	v_fma_f64 v[40:41], v[84:85], v[94:95], -v[40:41]
	v_mul_f64 v[84:85], v[84:85], v[42:43]
	v_fmac_f64_e32 v[84:85], v[86:87], v[94:95]
	v_add_f64 v[20:21], v[20:21], -v[40:41]
	v_add_f64 v[22:23], v[22:23], -v[84:85]
	ds_read2_b64 v[84:87], v96 offset0:10 offset1:11
	s_waitcnt lgkmcnt(1)
	v_mul_f64 v[40:41], v[104:105], v[42:43]
	v_fma_f64 v[40:41], v[102:103], v[94:95], -v[40:41]
	v_mul_f64 v[102:103], v[102:103], v[42:43]
	v_fmac_f64_e32 v[102:103], v[104:105], v[94:95]
	s_waitcnt vmcnt(16)
	v_add_f64 v[74:75], v[74:75], -v[102:103]
	ds_read2_b64 v[102:105], v96 offset0:12 offset1:13
	v_add_f64 v[72:73], v[72:73], -v[40:41]
	s_waitcnt lgkmcnt(1)
	v_mul_f64 v[40:41], v[86:87], v[42:43]
	v_fma_f64 v[40:41], v[84:85], v[94:95], -v[40:41]
	v_mul_f64 v[84:85], v[84:85], v[42:43]
	v_fmac_f64_e32 v[84:85], v[86:87], v[94:95]
	s_waitcnt vmcnt(15)
	v_add_f64 v[64:65], v[64:65], -v[40:41]
	v_add_f64 v[66:67], v[66:67], -v[84:85]
	ds_read2_b64 v[84:87], v96 offset0:14 offset1:15
	s_waitcnt lgkmcnt(1)
	v_mul_f64 v[40:41], v[104:105], v[42:43]
	v_fma_f64 v[40:41], v[102:103], v[94:95], -v[40:41]
	v_mul_f64 v[102:103], v[102:103], v[42:43]
	v_fmac_f64_e32 v[102:103], v[104:105], v[94:95]
	s_waitcnt vmcnt(14)
	v_add_f64 v[62:63], v[62:63], -v[102:103]
	ds_read2_b64 v[102:105], v96 offset0:16 offset1:17
	v_add_f64 v[60:61], v[60:61], -v[40:41]
	s_waitcnt lgkmcnt(1)
	v_mul_f64 v[40:41], v[86:87], v[42:43]
	v_fma_f64 v[40:41], v[84:85], v[94:95], -v[40:41]
	v_mul_f64 v[84:85], v[84:85], v[42:43]
	v_fmac_f64_e32 v[84:85], v[86:87], v[94:95]
	s_waitcnt vmcnt(13)
	;; [unrolled: 18-line block ×8, first 2 shown]
	v_add_f64 v[0:1], v[0:1], -v[40:41]
	v_add_f64 v[2:3], v[2:3], -v[84:85]
	s_waitcnt lgkmcnt(0)
	v_mul_f64 v[40:41], v[104:105], v[42:43]
	v_mul_f64 v[84:85], v[102:103], v[42:43]
	v_fma_f64 v[40:41], v[102:103], v[94:95], -v[40:41]
	v_fmac_f64_e32 v[84:85], v[104:105], v[94:95]
	s_waitcnt vmcnt(0)
	v_add_f64 v[80:81], v[80:81], -v[40:41]
	v_add_f64 v[82:83], v[82:83], -v[84:85]
	v_mov_b64_e32 v[40:41], v[94:95]
.LBB40_41:
	s_or_b64 exec, exec, s[0:1]
	v_lshl_add_u32 v84, v97, 4, v96
	s_barrier
	ds_write2_b64 v84, v[28:29], v[30:31] offset1:1
	s_waitcnt lgkmcnt(0)
	s_barrier
	ds_read2_b64 v[84:87], v96 offset0:4 offset1:5
	s_cmp_lt_i32 s20, 4
	v_mov_b32_e32 v94, 2
	s_cbranch_scc1 .LBB40_44
; %bb.42:
	v_add3_u32 v95, v100, 0, 48
	s_mov_b32 s16, 3
	v_mov_b32_e32 v94, 2
.LBB40_43:                              ; =>This Inner Loop Header: Depth=1
	ds_read2_b64 v[102:105], v95 offset1:1
	s_waitcnt lgkmcnt(1)
	v_xor_b32_e32 v101, 0x80000000, v85
	v_xor_b32_e32 v109, 0x80000000, v87
	v_cmp_gt_f64_e32 vcc, 0, v[86:87]
	v_cmp_gt_f64_e64 s[0:1], 0, v[84:85]
	v_mov_b32_e32 v106, v84
	v_mov_b32_e32 v108, v86
	v_cndmask_b32_e64 v107, v85, v101, s[0:1]
	v_cndmask_b32_e32 v109, v87, v109, vcc
	s_waitcnt lgkmcnt(0)
	v_xor_b32_e32 v101, 0x80000000, v103
	v_xor_b32_e32 v111, 0x80000000, v105
	v_cmp_gt_f64_e32 vcc, 0, v[104:105]
	v_cmp_gt_f64_e64 s[0:1], 0, v[102:103]
	v_add_f64 v[106:107], v[106:107], v[108:109]
	v_mov_b32_e32 v108, v102
	v_mov_b32_e32 v110, v104
	v_cndmask_b32_e64 v109, v103, v101, s[0:1]
	v_cndmask_b32_e32 v111, v105, v111, vcc
	v_add_f64 v[108:109], v[108:109], v[110:111]
	v_mov_b32_e32 v112, s16
	s_add_i32 s16, s16, 1
	v_cmp_lt_f64_e32 vcc, v[106:107], v[108:109]
	v_add_u32_e32 v95, 16, v95
	s_cmp_lg_u32 s20, s16
	v_cndmask_b32_e32 v85, v85, v103, vcc
	v_cndmask_b32_e32 v84, v84, v102, vcc
	;; [unrolled: 1-line block ×5, first 2 shown]
	s_cbranch_scc1 .LBB40_43
.LBB40_44:
	s_waitcnt lgkmcnt(0)
	v_cmp_eq_f64_e32 vcc, 0, v[84:85]
	v_cmp_eq_f64_e64 s[0:1], 0, v[86:87]
	s_and_b64 s[0:1], vcc, s[0:1]
	s_and_saveexec_b64 s[16:17], s[0:1]
	s_xor_b64 s[0:1], exec, s[16:17]
; %bb.45:
	v_cmp_ne_u32_e32 vcc, 0, v99
	s_nop 1
	v_cndmask_b32_e32 v99, 3, v99, vcc
; %bb.46:
	s_andn2_saveexec_b64 s[0:1], s[0:1]
	s_cbranch_execz .LBB40_52
; %bb.47:
	v_cmp_ngt_f64_e64 s[16:17], |v[84:85]|, |v[86:87]|
	s_and_saveexec_b64 s[18:19], s[16:17]
	s_xor_b64 s[16:17], exec, s[18:19]
	s_cbranch_execz .LBB40_49
; %bb.48:
	v_div_scale_f64 v[102:103], s[18:19], v[86:87], v[86:87], v[84:85]
	v_rcp_f64_e32 v[104:105], v[102:103]
	v_div_scale_f64 v[106:107], vcc, v[84:85], v[86:87], v[84:85]
	v_fma_f64 v[108:109], -v[102:103], v[104:105], 1.0
	v_fmac_f64_e32 v[104:105], v[104:105], v[108:109]
	v_fma_f64 v[108:109], -v[102:103], v[104:105], 1.0
	v_fmac_f64_e32 v[104:105], v[104:105], v[108:109]
	v_mul_f64 v[108:109], v[106:107], v[104:105]
	v_fma_f64 v[102:103], -v[102:103], v[108:109], v[106:107]
	v_div_fmas_f64 v[102:103], v[102:103], v[104:105], v[108:109]
	v_div_fixup_f64 v[102:103], v[102:103], v[86:87], v[84:85]
	v_fmac_f64_e32 v[86:87], v[84:85], v[102:103]
	v_div_scale_f64 v[84:85], s[18:19], v[86:87], v[86:87], 1.0
	v_rcp_f64_e32 v[104:105], v[84:85]
	s_nop 0
	v_fma_f64 v[106:107], -v[84:85], v[104:105], 1.0
	v_fmac_f64_e32 v[104:105], v[104:105], v[106:107]
	v_fma_f64 v[106:107], -v[84:85], v[104:105], 1.0
	v_fmac_f64_e32 v[104:105], v[104:105], v[106:107]
	v_div_scale_f64 v[106:107], vcc, 1.0, v[86:87], 1.0
	v_mul_f64 v[108:109], v[106:107], v[104:105]
	v_fma_f64 v[84:85], -v[84:85], v[108:109], v[106:107]
	s_nop 1
	v_div_fmas_f64 v[84:85], v[84:85], v[104:105], v[108:109]
	v_div_fixup_f64 v[86:87], v[84:85], v[86:87], 1.0
	v_mul_f64 v[84:85], v[102:103], v[86:87]
	v_xor_b32_e32 v87, 0x80000000, v87
.LBB40_49:
	s_andn2_saveexec_b64 s[16:17], s[16:17]
	s_cbranch_execz .LBB40_51
; %bb.50:
	v_div_scale_f64 v[102:103], s[18:19], v[84:85], v[84:85], v[86:87]
	v_rcp_f64_e32 v[104:105], v[102:103]
	v_div_scale_f64 v[106:107], vcc, v[86:87], v[84:85], v[86:87]
	v_fma_f64 v[108:109], -v[102:103], v[104:105], 1.0
	v_fmac_f64_e32 v[104:105], v[104:105], v[108:109]
	v_fma_f64 v[108:109], -v[102:103], v[104:105], 1.0
	v_fmac_f64_e32 v[104:105], v[104:105], v[108:109]
	v_mul_f64 v[108:109], v[106:107], v[104:105]
	v_fma_f64 v[102:103], -v[102:103], v[108:109], v[106:107]
	v_div_fmas_f64 v[102:103], v[102:103], v[104:105], v[108:109]
	v_div_fixup_f64 v[102:103], v[102:103], v[84:85], v[86:87]
	v_fmac_f64_e32 v[84:85], v[86:87], v[102:103]
	v_div_scale_f64 v[86:87], s[18:19], v[84:85], v[84:85], 1.0
	v_rcp_f64_e32 v[104:105], v[86:87]
	s_nop 0
	v_fma_f64 v[106:107], -v[86:87], v[104:105], 1.0
	v_fmac_f64_e32 v[104:105], v[104:105], v[106:107]
	v_fma_f64 v[106:107], -v[86:87], v[104:105], 1.0
	v_fmac_f64_e32 v[104:105], v[104:105], v[106:107]
	v_div_scale_f64 v[106:107], vcc, 1.0, v[84:85], 1.0
	v_mul_f64 v[108:109], v[106:107], v[104:105]
	v_fma_f64 v[86:87], -v[86:87], v[108:109], v[106:107]
	s_nop 1
	v_div_fmas_f64 v[86:87], v[86:87], v[104:105], v[108:109]
	v_div_fixup_f64 v[84:85], v[86:87], v[84:85], 1.0
	v_mul_f64 v[86:87], v[102:103], -v[84:85]
.LBB40_51:
	s_or_b64 exec, exec, s[16:17]
.LBB40_52:
	s_or_b64 exec, exec, s[0:1]
	v_cmp_ne_u32_e32 vcc, v97, v94
	s_and_saveexec_b64 s[0:1], vcc
	s_xor_b64 s[0:1], exec, s[0:1]
	s_cbranch_execz .LBB40_58
; %bb.53:
	v_cmp_eq_u32_e32 vcc, 2, v97
	s_and_saveexec_b64 s[16:17], vcc
	s_cbranch_execz .LBB40_57
; %bb.54:
	v_cmp_ne_u32_e32 vcc, 2, v94
	s_xor_b64 s[18:19], s[14:15], -1
	s_and_b64 s[22:23], s[18:19], vcc
	s_and_saveexec_b64 s[18:19], s[22:23]
	s_cbranch_execz .LBB40_56
; %bb.55:
	v_ashrrev_i32_e32 v95, 31, v94
	v_lshl_add_u64 v[102:103], v[94:95], 2, v[92:93]
	global_load_dword v95, v[102:103], off
	global_load_dword v97, v[92:93], off offset:8
	s_waitcnt vmcnt(1)
	global_store_dword v[92:93], v95, off offset:8
	s_waitcnt vmcnt(1)
	global_store_dword v[102:103], v97, off
.LBB40_56:
	s_or_b64 exec, exec, s[18:19]
	v_mov_b32_e32 v97, v94
	v_mov_b32_e32 v98, v94
.LBB40_57:
	s_or_b64 exec, exec, s[16:17]
.LBB40_58:
	s_andn2_saveexec_b64 s[0:1], s[0:1]
	s_cbranch_execz .LBB40_60
; %bb.59:
	v_mov_b32_e32 v97, 2
	ds_write2_b64 v96, v[20:21], v[22:23] offset0:6 offset1:7
	s_waitcnt vmcnt(16)
	ds_write2_b64 v96, v[72:73], v[74:75] offset0:8 offset1:9
	s_waitcnt vmcnt(15)
	;; [unrolled: 2-line block ×17, first 2 shown]
	ds_write2_b64 v96, v[80:81], v[82:83] offset0:40 offset1:41
.LBB40_60:
	s_or_b64 exec, exec, s[0:1]
	v_cmp_lt_i32_e32 vcc, 2, v97
	s_waitcnt lgkmcnt(0)
	s_barrier
	s_and_saveexec_b64 s[0:1], vcc
	s_cbranch_execz .LBB40_62
; %bb.61:
	ds_read2_b64 v[102:105], v96 offset0:6 offset1:7
	v_mul_f64 v[94:95], v[86:87], v[30:31]
	v_mul_f64 v[30:31], v[84:85], v[30:31]
	v_fma_f64 v[94:95], v[84:85], v[28:29], -v[94:95]
	v_fmac_f64_e32 v[30:31], v[86:87], v[28:29]
	ds_read2_b64 v[84:87], v96 offset0:8 offset1:9
	s_waitcnt lgkmcnt(1)
	v_mul_f64 v[28:29], v[104:105], v[30:31]
	v_fma_f64 v[28:29], v[102:103], v[94:95], -v[28:29]
	v_mul_f64 v[102:103], v[102:103], v[30:31]
	v_fmac_f64_e32 v[102:103], v[104:105], v[94:95]
	v_add_f64 v[20:21], v[20:21], -v[28:29]
	s_waitcnt lgkmcnt(0)
	v_mul_f64 v[28:29], v[86:87], v[30:31]
	v_add_f64 v[22:23], v[22:23], -v[102:103]
	v_fma_f64 v[28:29], v[84:85], v[94:95], -v[28:29]
	v_mul_f64 v[84:85], v[84:85], v[30:31]
	ds_read2_b64 v[102:105], v96 offset0:10 offset1:11
	v_fmac_f64_e32 v[84:85], v[86:87], v[94:95]
	s_waitcnt vmcnt(16)
	v_add_f64 v[74:75], v[74:75], -v[84:85]
	ds_read2_b64 v[84:87], v96 offset0:12 offset1:13
	v_add_f64 v[72:73], v[72:73], -v[28:29]
	s_waitcnt lgkmcnt(1)
	v_mul_f64 v[28:29], v[104:105], v[30:31]
	v_fma_f64 v[28:29], v[102:103], v[94:95], -v[28:29]
	v_mul_f64 v[102:103], v[102:103], v[30:31]
	v_fmac_f64_e32 v[102:103], v[104:105], v[94:95]
	s_waitcnt vmcnt(15)
	v_add_f64 v[64:65], v[64:65], -v[28:29]
	s_waitcnt lgkmcnt(0)
	v_mul_f64 v[28:29], v[86:87], v[30:31]
	v_add_f64 v[66:67], v[66:67], -v[102:103]
	v_fma_f64 v[28:29], v[84:85], v[94:95], -v[28:29]
	v_mul_f64 v[84:85], v[84:85], v[30:31]
	ds_read2_b64 v[102:105], v96 offset0:14 offset1:15
	v_fmac_f64_e32 v[84:85], v[86:87], v[94:95]
	s_waitcnt vmcnt(14)
	v_add_f64 v[62:63], v[62:63], -v[84:85]
	ds_read2_b64 v[84:87], v96 offset0:16 offset1:17
	v_add_f64 v[60:61], v[60:61], -v[28:29]
	s_waitcnt lgkmcnt(1)
	v_mul_f64 v[28:29], v[104:105], v[30:31]
	v_fma_f64 v[28:29], v[102:103], v[94:95], -v[28:29]
	v_mul_f64 v[102:103], v[102:103], v[30:31]
	v_fmac_f64_e32 v[102:103], v[104:105], v[94:95]
	s_waitcnt vmcnt(13)
	;; [unrolled: 18-line block ×7, first 2 shown]
	v_add_f64 v[8:9], v[8:9], -v[28:29]
	s_waitcnt lgkmcnt(0)
	v_mul_f64 v[28:29], v[86:87], v[30:31]
	v_add_f64 v[10:11], v[10:11], -v[102:103]
	v_fma_f64 v[28:29], v[84:85], v[94:95], -v[28:29]
	v_mul_f64 v[84:85], v[84:85], v[30:31]
	ds_read2_b64 v[102:105], v96 offset0:38 offset1:39
	v_fmac_f64_e32 v[84:85], v[86:87], v[94:95]
	s_waitcnt vmcnt(2)
	v_add_f64 v[6:7], v[6:7], -v[84:85]
	ds_read2_b64 v[84:87], v96 offset0:40 offset1:41
	v_add_f64 v[4:5], v[4:5], -v[28:29]
	s_waitcnt lgkmcnt(1)
	v_mul_f64 v[28:29], v[104:105], v[30:31]
	v_fma_f64 v[28:29], v[102:103], v[94:95], -v[28:29]
	s_waitcnt vmcnt(1)
	v_add_f64 v[0:1], v[0:1], -v[28:29]
	s_waitcnt lgkmcnt(0)
	v_mul_f64 v[28:29], v[86:87], v[30:31]
	v_mul_f64 v[102:103], v[102:103], v[30:31]
	v_fma_f64 v[28:29], v[84:85], v[94:95], -v[28:29]
	v_mul_f64 v[84:85], v[84:85], v[30:31]
	v_fmac_f64_e32 v[102:103], v[104:105], v[94:95]
	v_fmac_f64_e32 v[84:85], v[86:87], v[94:95]
	v_add_f64 v[2:3], v[2:3], -v[102:103]
	s_waitcnt vmcnt(0)
	v_add_f64 v[80:81], v[80:81], -v[28:29]
	v_add_f64 v[82:83], v[82:83], -v[84:85]
	v_mov_b64_e32 v[28:29], v[94:95]
.LBB40_62:
	s_or_b64 exec, exec, s[0:1]
	v_lshl_add_u32 v84, v97, 4, v96
	s_barrier
	ds_write2_b64 v84, v[20:21], v[22:23] offset1:1
	s_waitcnt lgkmcnt(0)
	s_barrier
	ds_read2_b64 v[84:87], v96 offset0:6 offset1:7
	s_mov_b32 s16, 4
	s_cmp_lt_i32 s20, 5
	v_mov_b32_e32 v94, 3
	s_cbranch_scc1 .LBB40_65
; %bb.63:
	v_add3_u32 v95, v100, 0, 64
	v_mov_b32_e32 v94, 3
.LBB40_64:                              ; =>This Inner Loop Header: Depth=1
	ds_read2_b64 v[100:103], v95 offset1:1
	s_waitcnt lgkmcnt(1)
	v_xor_b32_e32 v105, 0x80000000, v85
	v_xor_b32_e32 v107, 0x80000000, v87
	v_cmp_gt_f64_e32 vcc, 0, v[86:87]
	v_cmp_gt_f64_e64 s[0:1], 0, v[84:85]
	v_mov_b32_e32 v104, v84
	v_mov_b32_e32 v106, v86
	v_cndmask_b32_e64 v105, v85, v105, s[0:1]
	v_cndmask_b32_e32 v107, v87, v107, vcc
	v_add_f64 v[104:105], v[104:105], v[106:107]
	s_waitcnt lgkmcnt(0)
	v_xor_b32_e32 v107, 0x80000000, v101
	v_xor_b32_e32 v109, 0x80000000, v103
	v_cmp_gt_f64_e32 vcc, 0, v[102:103]
	v_cmp_gt_f64_e64 s[0:1], 0, v[100:101]
	v_mov_b32_e32 v106, v100
	v_mov_b32_e32 v108, v102
	v_cndmask_b32_e64 v107, v101, v107, s[0:1]
	v_cndmask_b32_e32 v109, v103, v109, vcc
	v_add_f64 v[106:107], v[106:107], v[108:109]
	v_mov_b32_e32 v110, s16
	s_add_i32 s16, s16, 1
	v_cmp_lt_f64_e32 vcc, v[104:105], v[106:107]
	v_add_u32_e32 v95, 16, v95
	s_cmp_lg_u32 s20, s16
	v_cndmask_b32_e32 v85, v85, v101, vcc
	v_cndmask_b32_e32 v84, v84, v100, vcc
	v_cndmask_b32_e32 v87, v87, v103, vcc
	v_cndmask_b32_e32 v86, v86, v102, vcc
	v_cndmask_b32_e32 v94, v94, v110, vcc
	s_cbranch_scc1 .LBB40_64
.LBB40_65:
	s_waitcnt lgkmcnt(0)
	v_cmp_eq_f64_e32 vcc, 0, v[84:85]
	v_cmp_eq_f64_e64 s[0:1], 0, v[86:87]
	s_and_b64 s[0:1], vcc, s[0:1]
	s_and_saveexec_b64 s[16:17], s[0:1]
	s_xor_b64 s[0:1], exec, s[16:17]
; %bb.66:
	v_cmp_ne_u32_e32 vcc, 0, v99
	s_nop 1
	v_cndmask_b32_e32 v99, 4, v99, vcc
; %bb.67:
	s_andn2_saveexec_b64 s[0:1], s[0:1]
	s_cbranch_execz .LBB40_73
; %bb.68:
	v_cmp_ngt_f64_e64 s[16:17], |v[84:85]|, |v[86:87]|
	s_and_saveexec_b64 s[18:19], s[16:17]
	s_xor_b64 s[16:17], exec, s[18:19]
	s_cbranch_execz .LBB40_70
; %bb.69:
	v_div_scale_f64 v[100:101], s[18:19], v[86:87], v[86:87], v[84:85]
	v_rcp_f64_e32 v[102:103], v[100:101]
	v_div_scale_f64 v[104:105], vcc, v[84:85], v[86:87], v[84:85]
	v_fma_f64 v[106:107], -v[100:101], v[102:103], 1.0
	v_fmac_f64_e32 v[102:103], v[102:103], v[106:107]
	v_fma_f64 v[106:107], -v[100:101], v[102:103], 1.0
	v_fmac_f64_e32 v[102:103], v[102:103], v[106:107]
	v_mul_f64 v[106:107], v[104:105], v[102:103]
	v_fma_f64 v[100:101], -v[100:101], v[106:107], v[104:105]
	v_div_fmas_f64 v[100:101], v[100:101], v[102:103], v[106:107]
	v_div_fixup_f64 v[100:101], v[100:101], v[86:87], v[84:85]
	v_fmac_f64_e32 v[86:87], v[84:85], v[100:101]
	v_div_scale_f64 v[84:85], s[18:19], v[86:87], v[86:87], 1.0
	v_rcp_f64_e32 v[102:103], v[84:85]
	s_nop 0
	v_fma_f64 v[104:105], -v[84:85], v[102:103], 1.0
	v_fmac_f64_e32 v[102:103], v[102:103], v[104:105]
	v_fma_f64 v[104:105], -v[84:85], v[102:103], 1.0
	v_fmac_f64_e32 v[102:103], v[102:103], v[104:105]
	v_div_scale_f64 v[104:105], vcc, 1.0, v[86:87], 1.0
	v_mul_f64 v[106:107], v[104:105], v[102:103]
	v_fma_f64 v[84:85], -v[84:85], v[106:107], v[104:105]
	s_nop 1
	v_div_fmas_f64 v[84:85], v[84:85], v[102:103], v[106:107]
	v_div_fixup_f64 v[86:87], v[84:85], v[86:87], 1.0
	v_mul_f64 v[84:85], v[100:101], v[86:87]
	v_xor_b32_e32 v87, 0x80000000, v87
.LBB40_70:
	s_andn2_saveexec_b64 s[16:17], s[16:17]
	s_cbranch_execz .LBB40_72
; %bb.71:
	v_div_scale_f64 v[100:101], s[18:19], v[84:85], v[84:85], v[86:87]
	v_rcp_f64_e32 v[102:103], v[100:101]
	v_div_scale_f64 v[104:105], vcc, v[86:87], v[84:85], v[86:87]
	v_fma_f64 v[106:107], -v[100:101], v[102:103], 1.0
	v_fmac_f64_e32 v[102:103], v[102:103], v[106:107]
	v_fma_f64 v[106:107], -v[100:101], v[102:103], 1.0
	v_fmac_f64_e32 v[102:103], v[102:103], v[106:107]
	v_mul_f64 v[106:107], v[104:105], v[102:103]
	v_fma_f64 v[100:101], -v[100:101], v[106:107], v[104:105]
	v_div_fmas_f64 v[100:101], v[100:101], v[102:103], v[106:107]
	v_div_fixup_f64 v[100:101], v[100:101], v[84:85], v[86:87]
	v_fmac_f64_e32 v[84:85], v[86:87], v[100:101]
	v_div_scale_f64 v[86:87], s[18:19], v[84:85], v[84:85], 1.0
	v_rcp_f64_e32 v[102:103], v[86:87]
	s_nop 0
	v_fma_f64 v[104:105], -v[86:87], v[102:103], 1.0
	v_fmac_f64_e32 v[102:103], v[102:103], v[104:105]
	v_fma_f64 v[104:105], -v[86:87], v[102:103], 1.0
	v_fmac_f64_e32 v[102:103], v[102:103], v[104:105]
	v_div_scale_f64 v[104:105], vcc, 1.0, v[84:85], 1.0
	v_mul_f64 v[106:107], v[104:105], v[102:103]
	v_fma_f64 v[86:87], -v[86:87], v[106:107], v[104:105]
	s_nop 1
	v_div_fmas_f64 v[86:87], v[86:87], v[102:103], v[106:107]
	v_div_fixup_f64 v[84:85], v[86:87], v[84:85], 1.0
	v_mul_f64 v[86:87], v[100:101], -v[84:85]
.LBB40_72:
	s_or_b64 exec, exec, s[16:17]
.LBB40_73:
	s_or_b64 exec, exec, s[0:1]
	v_cmp_ne_u32_e32 vcc, v97, v94
	s_and_saveexec_b64 s[0:1], vcc
	s_xor_b64 s[0:1], exec, s[0:1]
	s_cbranch_execz .LBB40_79
; %bb.74:
	v_cmp_eq_u32_e32 vcc, 3, v97
	s_and_saveexec_b64 s[16:17], vcc
	s_cbranch_execz .LBB40_78
; %bb.75:
	v_cmp_ne_u32_e32 vcc, 3, v94
	s_xor_b64 s[18:19], s[14:15], -1
	s_and_b64 s[22:23], s[18:19], vcc
	s_and_saveexec_b64 s[18:19], s[22:23]
	s_cbranch_execz .LBB40_77
; %bb.76:
	v_ashrrev_i32_e32 v95, 31, v94
	v_lshl_add_u64 v[100:101], v[94:95], 2, v[92:93]
	global_load_dword v95, v[100:101], off
	global_load_dword v97, v[92:93], off offset:12
	s_waitcnt vmcnt(1)
	global_store_dword v[92:93], v95, off offset:12
	s_waitcnt vmcnt(1)
	global_store_dword v[100:101], v97, off
.LBB40_77:
	s_or_b64 exec, exec, s[18:19]
	v_mov_b32_e32 v97, v94
	v_mov_b32_e32 v98, v94
.LBB40_78:
	s_or_b64 exec, exec, s[16:17]
.LBB40_79:
	s_andn2_saveexec_b64 s[0:1], s[0:1]
	s_cbranch_execz .LBB40_81
; %bb.80:
	v_mov_b32_e32 v97, 3
	s_waitcnt vmcnt(16)
	ds_write2_b64 v96, v[72:73], v[74:75] offset0:8 offset1:9
	s_waitcnt vmcnt(15)
	ds_write2_b64 v96, v[64:65], v[66:67] offset0:10 offset1:11
	;; [unrolled: 2-line block ×17, first 2 shown]
.LBB40_81:
	s_or_b64 exec, exec, s[0:1]
	v_cmp_lt_i32_e32 vcc, 3, v97
	s_waitcnt lgkmcnt(0)
	s_barrier
	s_and_saveexec_b64 s[0:1], vcc
	s_cbranch_execz .LBB40_83
; %bb.82:
	ds_read2_b64 v[100:103], v96 offset0:8 offset1:9
	v_mul_f64 v[94:95], v[86:87], v[22:23]
	v_mul_f64 v[22:23], v[84:85], v[22:23]
	v_fmac_f64_e32 v[22:23], v[86:87], v[20:21]
	v_fma_f64 v[94:95], v[84:85], v[20:21], -v[94:95]
	ds_read2_b64 v[84:87], v96 offset0:10 offset1:11
	s_waitcnt lgkmcnt(1)
	v_mul_f64 v[20:21], v[102:103], v[22:23]
	v_fma_f64 v[20:21], v[100:101], v[94:95], -v[20:21]
	v_mul_f64 v[100:101], v[100:101], v[22:23]
	v_fmac_f64_e32 v[100:101], v[102:103], v[94:95]
	s_waitcnt vmcnt(16)
	v_add_f64 v[74:75], v[74:75], -v[100:101]
	ds_read2_b64 v[100:103], v96 offset0:12 offset1:13
	v_add_f64 v[72:73], v[72:73], -v[20:21]
	s_waitcnt lgkmcnt(1)
	v_mul_f64 v[20:21], v[86:87], v[22:23]
	v_fma_f64 v[20:21], v[84:85], v[94:95], -v[20:21]
	v_mul_f64 v[84:85], v[84:85], v[22:23]
	v_fmac_f64_e32 v[84:85], v[86:87], v[94:95]
	s_waitcnt vmcnt(15)
	v_add_f64 v[64:65], v[64:65], -v[20:21]
	v_add_f64 v[66:67], v[66:67], -v[84:85]
	ds_read2_b64 v[84:87], v96 offset0:14 offset1:15
	s_waitcnt lgkmcnt(1)
	v_mul_f64 v[20:21], v[102:103], v[22:23]
	v_fma_f64 v[20:21], v[100:101], v[94:95], -v[20:21]
	v_mul_f64 v[100:101], v[100:101], v[22:23]
	v_fmac_f64_e32 v[100:101], v[102:103], v[94:95]
	s_waitcnt vmcnt(14)
	v_add_f64 v[62:63], v[62:63], -v[100:101]
	ds_read2_b64 v[100:103], v96 offset0:16 offset1:17
	v_add_f64 v[60:61], v[60:61], -v[20:21]
	s_waitcnt lgkmcnt(1)
	v_mul_f64 v[20:21], v[86:87], v[22:23]
	v_fma_f64 v[20:21], v[84:85], v[94:95], -v[20:21]
	v_mul_f64 v[84:85], v[84:85], v[22:23]
	v_fmac_f64_e32 v[84:85], v[86:87], v[94:95]
	s_waitcnt vmcnt(13)
	v_add_f64 v[52:53], v[52:53], -v[20:21]
	v_add_f64 v[54:55], v[54:55], -v[84:85]
	;; [unrolled: 18-line block ×8, first 2 shown]
	s_waitcnt lgkmcnt(0)
	v_mul_f64 v[20:21], v[102:103], v[22:23]
	v_mul_f64 v[84:85], v[100:101], v[22:23]
	v_fma_f64 v[20:21], v[100:101], v[94:95], -v[20:21]
	v_fmac_f64_e32 v[84:85], v[102:103], v[94:95]
	s_waitcnt vmcnt(0)
	v_add_f64 v[80:81], v[80:81], -v[20:21]
	v_add_f64 v[82:83], v[82:83], -v[84:85]
	v_mov_b64_e32 v[20:21], v[94:95]
.LBB40_83:
	s_or_b64 exec, exec, s[0:1]
	v_lshl_add_u32 v84, v97, 4, v96
	s_barrier
	s_waitcnt vmcnt(16)
	ds_write2_b64 v84, v[72:73], v[74:75] offset1:1
	s_waitcnt lgkmcnt(0)
	s_barrier
	ds_read2_b64 v[84:87], v96 offset0:8 offset1:9
	s_cmp_lt_i32 s20, 6
	v_mov_b32_e32 v94, 4
	s_cbranch_scc1 .LBB40_86
; %bb.84:
	v_mov_b32_e32 v94, 4
	v_add_u32_e32 v95, 0x50, v96
	s_mov_b32 s16, 5
.LBB40_85:                              ; =>This Inner Loop Header: Depth=1
	ds_read2_b64 v[100:103], v95 offset1:1
	s_waitcnt lgkmcnt(1)
	v_xor_b32_e32 v105, 0x80000000, v85
	v_xor_b32_e32 v107, 0x80000000, v87
	v_cmp_gt_f64_e32 vcc, 0, v[86:87]
	v_cmp_gt_f64_e64 s[0:1], 0, v[84:85]
	v_mov_b32_e32 v104, v84
	v_mov_b32_e32 v106, v86
	v_cndmask_b32_e64 v105, v85, v105, s[0:1]
	v_cndmask_b32_e32 v107, v87, v107, vcc
	v_add_f64 v[104:105], v[104:105], v[106:107]
	s_waitcnt lgkmcnt(0)
	v_xor_b32_e32 v107, 0x80000000, v101
	v_xor_b32_e32 v109, 0x80000000, v103
	v_cmp_gt_f64_e32 vcc, 0, v[102:103]
	v_cmp_gt_f64_e64 s[0:1], 0, v[100:101]
	v_mov_b32_e32 v106, v100
	v_mov_b32_e32 v108, v102
	v_cndmask_b32_e64 v107, v101, v107, s[0:1]
	v_cndmask_b32_e32 v109, v103, v109, vcc
	v_add_f64 v[106:107], v[106:107], v[108:109]
	v_mov_b32_e32 v110, s16
	s_add_i32 s16, s16, 1
	v_cmp_lt_f64_e32 vcc, v[104:105], v[106:107]
	v_add_u32_e32 v95, 16, v95
	s_cmp_lg_u32 s20, s16
	v_cndmask_b32_e32 v85, v85, v101, vcc
	v_cndmask_b32_e32 v84, v84, v100, vcc
	;; [unrolled: 1-line block ×5, first 2 shown]
	s_cbranch_scc1 .LBB40_85
.LBB40_86:
	s_waitcnt lgkmcnt(0)
	v_cmp_eq_f64_e32 vcc, 0, v[84:85]
	v_cmp_eq_f64_e64 s[0:1], 0, v[86:87]
	s_and_b64 s[0:1], vcc, s[0:1]
	s_and_saveexec_b64 s[16:17], s[0:1]
	s_xor_b64 s[0:1], exec, s[16:17]
; %bb.87:
	v_cmp_ne_u32_e32 vcc, 0, v99
	s_nop 1
	v_cndmask_b32_e32 v99, 5, v99, vcc
; %bb.88:
	s_andn2_saveexec_b64 s[0:1], s[0:1]
	s_cbranch_execz .LBB40_94
; %bb.89:
	v_cmp_ngt_f64_e64 s[16:17], |v[84:85]|, |v[86:87]|
	s_and_saveexec_b64 s[18:19], s[16:17]
	s_xor_b64 s[16:17], exec, s[18:19]
	s_cbranch_execz .LBB40_91
; %bb.90:
	v_div_scale_f64 v[100:101], s[18:19], v[86:87], v[86:87], v[84:85]
	v_rcp_f64_e32 v[102:103], v[100:101]
	v_div_scale_f64 v[104:105], vcc, v[84:85], v[86:87], v[84:85]
	v_fma_f64 v[106:107], -v[100:101], v[102:103], 1.0
	v_fmac_f64_e32 v[102:103], v[102:103], v[106:107]
	v_fma_f64 v[106:107], -v[100:101], v[102:103], 1.0
	v_fmac_f64_e32 v[102:103], v[102:103], v[106:107]
	v_mul_f64 v[106:107], v[104:105], v[102:103]
	v_fma_f64 v[100:101], -v[100:101], v[106:107], v[104:105]
	v_div_fmas_f64 v[100:101], v[100:101], v[102:103], v[106:107]
	v_div_fixup_f64 v[100:101], v[100:101], v[86:87], v[84:85]
	v_fmac_f64_e32 v[86:87], v[84:85], v[100:101]
	v_div_scale_f64 v[84:85], s[18:19], v[86:87], v[86:87], 1.0
	v_rcp_f64_e32 v[102:103], v[84:85]
	s_nop 0
	v_fma_f64 v[104:105], -v[84:85], v[102:103], 1.0
	v_fmac_f64_e32 v[102:103], v[102:103], v[104:105]
	v_fma_f64 v[104:105], -v[84:85], v[102:103], 1.0
	v_fmac_f64_e32 v[102:103], v[102:103], v[104:105]
	v_div_scale_f64 v[104:105], vcc, 1.0, v[86:87], 1.0
	v_mul_f64 v[106:107], v[104:105], v[102:103]
	v_fma_f64 v[84:85], -v[84:85], v[106:107], v[104:105]
	s_nop 1
	v_div_fmas_f64 v[84:85], v[84:85], v[102:103], v[106:107]
	v_div_fixup_f64 v[86:87], v[84:85], v[86:87], 1.0
	v_mul_f64 v[84:85], v[100:101], v[86:87]
	v_xor_b32_e32 v87, 0x80000000, v87
.LBB40_91:
	s_andn2_saveexec_b64 s[16:17], s[16:17]
	s_cbranch_execz .LBB40_93
; %bb.92:
	v_div_scale_f64 v[100:101], s[18:19], v[84:85], v[84:85], v[86:87]
	v_rcp_f64_e32 v[102:103], v[100:101]
	v_div_scale_f64 v[104:105], vcc, v[86:87], v[84:85], v[86:87]
	v_fma_f64 v[106:107], -v[100:101], v[102:103], 1.0
	v_fmac_f64_e32 v[102:103], v[102:103], v[106:107]
	v_fma_f64 v[106:107], -v[100:101], v[102:103], 1.0
	v_fmac_f64_e32 v[102:103], v[102:103], v[106:107]
	v_mul_f64 v[106:107], v[104:105], v[102:103]
	v_fma_f64 v[100:101], -v[100:101], v[106:107], v[104:105]
	v_div_fmas_f64 v[100:101], v[100:101], v[102:103], v[106:107]
	v_div_fixup_f64 v[100:101], v[100:101], v[84:85], v[86:87]
	v_fmac_f64_e32 v[84:85], v[86:87], v[100:101]
	v_div_scale_f64 v[86:87], s[18:19], v[84:85], v[84:85], 1.0
	v_rcp_f64_e32 v[102:103], v[86:87]
	s_nop 0
	v_fma_f64 v[104:105], -v[86:87], v[102:103], 1.0
	v_fmac_f64_e32 v[102:103], v[102:103], v[104:105]
	v_fma_f64 v[104:105], -v[86:87], v[102:103], 1.0
	v_fmac_f64_e32 v[102:103], v[102:103], v[104:105]
	v_div_scale_f64 v[104:105], vcc, 1.0, v[84:85], 1.0
	v_mul_f64 v[106:107], v[104:105], v[102:103]
	v_fma_f64 v[86:87], -v[86:87], v[106:107], v[104:105]
	s_nop 1
	v_div_fmas_f64 v[86:87], v[86:87], v[102:103], v[106:107]
	v_div_fixup_f64 v[84:85], v[86:87], v[84:85], 1.0
	v_mul_f64 v[86:87], v[100:101], -v[84:85]
.LBB40_93:
	s_or_b64 exec, exec, s[16:17]
.LBB40_94:
	s_or_b64 exec, exec, s[0:1]
	v_cmp_ne_u32_e32 vcc, v97, v94
	s_and_saveexec_b64 s[0:1], vcc
	s_xor_b64 s[0:1], exec, s[0:1]
	s_cbranch_execz .LBB40_100
; %bb.95:
	v_cmp_eq_u32_e32 vcc, 4, v97
	s_and_saveexec_b64 s[16:17], vcc
	s_cbranch_execz .LBB40_99
; %bb.96:
	v_cmp_ne_u32_e32 vcc, 4, v94
	s_xor_b64 s[18:19], s[14:15], -1
	s_and_b64 s[22:23], s[18:19], vcc
	s_and_saveexec_b64 s[18:19], s[22:23]
	s_cbranch_execz .LBB40_98
; %bb.97:
	v_ashrrev_i32_e32 v95, 31, v94
	v_lshl_add_u64 v[100:101], v[94:95], 2, v[92:93]
	global_load_dword v95, v[100:101], off
	global_load_dword v97, v[92:93], off offset:16
	s_waitcnt vmcnt(1)
	global_store_dword v[92:93], v95, off offset:16
	s_waitcnt vmcnt(1)
	global_store_dword v[100:101], v97, off
.LBB40_98:
	s_or_b64 exec, exec, s[18:19]
	v_mov_b32_e32 v97, v94
	v_mov_b32_e32 v98, v94
.LBB40_99:
	s_or_b64 exec, exec, s[16:17]
.LBB40_100:
	s_andn2_saveexec_b64 s[0:1], s[0:1]
	s_cbranch_execz .LBB40_102
; %bb.101:
	v_mov_b32_e32 v97, 4
	s_waitcnt vmcnt(15)
	ds_write2_b64 v96, v[64:65], v[66:67] offset0:10 offset1:11
	s_waitcnt vmcnt(14)
	ds_write2_b64 v96, v[60:61], v[62:63] offset0:12 offset1:13
	s_waitcnt vmcnt(13)
	ds_write2_b64 v96, v[52:53], v[54:55] offset0:14 offset1:15
	s_waitcnt vmcnt(12)
	ds_write2_b64 v96, v[76:77], v[78:79] offset0:16 offset1:17
	s_waitcnt vmcnt(11)
	ds_write2_b64 v96, v[68:69], v[70:71] offset0:18 offset1:19
	s_waitcnt vmcnt(10)
	ds_write2_b64 v96, v[56:57], v[58:59] offset0:20 offset1:21
	s_waitcnt vmcnt(9)
	ds_write2_b64 v96, v[48:49], v[50:51] offset0:22 offset1:23
	s_waitcnt vmcnt(8)
	ds_write2_b64 v96, v[36:37], v[38:39] offset0:24 offset1:25
	s_waitcnt vmcnt(7)
	ds_write2_b64 v96, v[32:33], v[34:35] offset0:26 offset1:27
	s_waitcnt vmcnt(6)
	ds_write2_b64 v96, v[24:25], v[26:27] offset0:28 offset1:29
	s_waitcnt vmcnt(5)
	ds_write2_b64 v96, v[16:17], v[18:19] offset0:30 offset1:31
	s_waitcnt vmcnt(4)
	ds_write2_b64 v96, v[12:13], v[14:15] offset0:32 offset1:33
	s_waitcnt vmcnt(3)
	ds_write2_b64 v96, v[8:9], v[10:11] offset0:34 offset1:35
	s_waitcnt vmcnt(2)
	ds_write2_b64 v96, v[4:5], v[6:7] offset0:36 offset1:37
	s_waitcnt vmcnt(1)
	ds_write2_b64 v96, v[0:1], v[2:3] offset0:38 offset1:39
	s_waitcnt vmcnt(0)
	ds_write2_b64 v96, v[80:81], v[82:83] offset0:40 offset1:41
.LBB40_102:
	s_or_b64 exec, exec, s[0:1]
	v_cmp_lt_i32_e32 vcc, 4, v97
	s_waitcnt lgkmcnt(0)
	s_barrier
	s_and_saveexec_b64 s[0:1], vcc
	s_cbranch_execz .LBB40_104
; %bb.103:
	ds_read2_b64 v[100:103], v96 offset0:10 offset1:11
	v_mul_f64 v[94:95], v[84:85], v[74:75]
	v_mul_f64 v[74:75], v[86:87], v[74:75]
	v_fmac_f64_e32 v[94:95], v[86:87], v[72:73]
	v_fma_f64 v[72:73], v[84:85], v[72:73], -v[74:75]
	ds_read2_b64 v[84:87], v96 offset0:12 offset1:13
	s_waitcnt lgkmcnt(1)
	v_mul_f64 v[74:75], v[102:103], v[94:95]
	v_fma_f64 v[74:75], v[100:101], v[72:73], -v[74:75]
	v_mul_f64 v[100:101], v[100:101], v[94:95]
	v_fmac_f64_e32 v[100:101], v[102:103], v[72:73]
	s_waitcnt vmcnt(15)
	v_add_f64 v[64:65], v[64:65], -v[74:75]
	s_waitcnt lgkmcnt(0)
	v_mul_f64 v[74:75], v[86:87], v[94:95]
	v_add_f64 v[66:67], v[66:67], -v[100:101]
	v_fma_f64 v[74:75], v[84:85], v[72:73], -v[74:75]
	v_mul_f64 v[84:85], v[84:85], v[94:95]
	ds_read2_b64 v[100:103], v96 offset0:14 offset1:15
	v_fmac_f64_e32 v[84:85], v[86:87], v[72:73]
	s_waitcnt vmcnt(14)
	v_add_f64 v[62:63], v[62:63], -v[84:85]
	ds_read2_b64 v[84:87], v96 offset0:16 offset1:17
	v_add_f64 v[60:61], v[60:61], -v[74:75]
	s_waitcnt lgkmcnt(1)
	v_mul_f64 v[74:75], v[102:103], v[94:95]
	v_fma_f64 v[74:75], v[100:101], v[72:73], -v[74:75]
	v_mul_f64 v[100:101], v[100:101], v[94:95]
	v_fmac_f64_e32 v[100:101], v[102:103], v[72:73]
	s_waitcnt vmcnt(13)
	v_add_f64 v[52:53], v[52:53], -v[74:75]
	s_waitcnt lgkmcnt(0)
	v_mul_f64 v[74:75], v[86:87], v[94:95]
	v_add_f64 v[54:55], v[54:55], -v[100:101]
	v_fma_f64 v[74:75], v[84:85], v[72:73], -v[74:75]
	v_mul_f64 v[84:85], v[84:85], v[94:95]
	ds_read2_b64 v[100:103], v96 offset0:18 offset1:19
	v_fmac_f64_e32 v[84:85], v[86:87], v[72:73]
	s_waitcnt vmcnt(12)
	v_add_f64 v[78:79], v[78:79], -v[84:85]
	ds_read2_b64 v[84:87], v96 offset0:20 offset1:21
	v_add_f64 v[76:77], v[76:77], -v[74:75]
	;; [unrolled: 18-line block ×7, first 2 shown]
	s_waitcnt lgkmcnt(1)
	v_mul_f64 v[74:75], v[102:103], v[94:95]
	v_fma_f64 v[74:75], v[100:101], v[72:73], -v[74:75]
	s_waitcnt vmcnt(1)
	v_add_f64 v[0:1], v[0:1], -v[74:75]
	s_waitcnt lgkmcnt(0)
	v_mul_f64 v[74:75], v[86:87], v[94:95]
	v_mul_f64 v[100:101], v[100:101], v[94:95]
	v_fma_f64 v[74:75], v[84:85], v[72:73], -v[74:75]
	v_mul_f64 v[84:85], v[84:85], v[94:95]
	v_fmac_f64_e32 v[100:101], v[102:103], v[72:73]
	v_fmac_f64_e32 v[84:85], v[86:87], v[72:73]
	v_add_f64 v[2:3], v[2:3], -v[100:101]
	s_waitcnt vmcnt(0)
	v_add_f64 v[80:81], v[80:81], -v[74:75]
	v_add_f64 v[82:83], v[82:83], -v[84:85]
	v_mov_b64_e32 v[74:75], v[94:95]
.LBB40_104:
	s_or_b64 exec, exec, s[0:1]
	v_lshl_add_u32 v84, v97, 4, v96
	s_barrier
	s_waitcnt vmcnt(15)
	ds_write2_b64 v84, v[64:65], v[66:67] offset1:1
	s_waitcnt lgkmcnt(0)
	s_barrier
	ds_read2_b64 v[84:87], v96 offset0:10 offset1:11
	s_cmp_lt_i32 s20, 7
	v_mov_b32_e32 v94, 5
	s_cbranch_scc1 .LBB40_107
; %bb.105:
	v_add_u32_e32 v95, 0x60, v96
	s_mov_b32 s16, 6
	v_mov_b32_e32 v94, 5
.LBB40_106:                             ; =>This Inner Loop Header: Depth=1
	ds_read2_b64 v[100:103], v95 offset1:1
	s_waitcnt lgkmcnt(1)
	v_xor_b32_e32 v105, 0x80000000, v85
	v_xor_b32_e32 v107, 0x80000000, v87
	v_cmp_gt_f64_e32 vcc, 0, v[86:87]
	v_cmp_gt_f64_e64 s[0:1], 0, v[84:85]
	v_mov_b32_e32 v104, v84
	v_mov_b32_e32 v106, v86
	v_cndmask_b32_e64 v105, v85, v105, s[0:1]
	v_cndmask_b32_e32 v107, v87, v107, vcc
	v_add_f64 v[104:105], v[104:105], v[106:107]
	s_waitcnt lgkmcnt(0)
	v_xor_b32_e32 v107, 0x80000000, v101
	v_xor_b32_e32 v109, 0x80000000, v103
	v_cmp_gt_f64_e32 vcc, 0, v[102:103]
	v_cmp_gt_f64_e64 s[0:1], 0, v[100:101]
	v_mov_b32_e32 v106, v100
	v_mov_b32_e32 v108, v102
	v_cndmask_b32_e64 v107, v101, v107, s[0:1]
	v_cndmask_b32_e32 v109, v103, v109, vcc
	v_add_f64 v[106:107], v[106:107], v[108:109]
	v_mov_b32_e32 v110, s16
	s_add_i32 s16, s16, 1
	v_cmp_lt_f64_e32 vcc, v[104:105], v[106:107]
	v_add_u32_e32 v95, 16, v95
	s_cmp_lg_u32 s20, s16
	v_cndmask_b32_e32 v85, v85, v101, vcc
	v_cndmask_b32_e32 v84, v84, v100, vcc
	;; [unrolled: 1-line block ×5, first 2 shown]
	s_cbranch_scc1 .LBB40_106
.LBB40_107:
	s_waitcnt lgkmcnt(0)
	v_cmp_eq_f64_e32 vcc, 0, v[84:85]
	v_cmp_eq_f64_e64 s[0:1], 0, v[86:87]
	s_and_b64 s[0:1], vcc, s[0:1]
	s_and_saveexec_b64 s[16:17], s[0:1]
	s_xor_b64 s[0:1], exec, s[16:17]
; %bb.108:
	v_cmp_ne_u32_e32 vcc, 0, v99
	s_nop 1
	v_cndmask_b32_e32 v99, 6, v99, vcc
; %bb.109:
	s_andn2_saveexec_b64 s[0:1], s[0:1]
	s_cbranch_execz .LBB40_115
; %bb.110:
	v_cmp_ngt_f64_e64 s[16:17], |v[84:85]|, |v[86:87]|
	s_and_saveexec_b64 s[18:19], s[16:17]
	s_xor_b64 s[16:17], exec, s[18:19]
	s_cbranch_execz .LBB40_112
; %bb.111:
	v_div_scale_f64 v[100:101], s[18:19], v[86:87], v[86:87], v[84:85]
	v_rcp_f64_e32 v[102:103], v[100:101]
	v_div_scale_f64 v[104:105], vcc, v[84:85], v[86:87], v[84:85]
	v_fma_f64 v[106:107], -v[100:101], v[102:103], 1.0
	v_fmac_f64_e32 v[102:103], v[102:103], v[106:107]
	v_fma_f64 v[106:107], -v[100:101], v[102:103], 1.0
	v_fmac_f64_e32 v[102:103], v[102:103], v[106:107]
	v_mul_f64 v[106:107], v[104:105], v[102:103]
	v_fma_f64 v[100:101], -v[100:101], v[106:107], v[104:105]
	v_div_fmas_f64 v[100:101], v[100:101], v[102:103], v[106:107]
	v_div_fixup_f64 v[100:101], v[100:101], v[86:87], v[84:85]
	v_fmac_f64_e32 v[86:87], v[84:85], v[100:101]
	v_div_scale_f64 v[84:85], s[18:19], v[86:87], v[86:87], 1.0
	v_rcp_f64_e32 v[102:103], v[84:85]
	s_nop 0
	v_fma_f64 v[104:105], -v[84:85], v[102:103], 1.0
	v_fmac_f64_e32 v[102:103], v[102:103], v[104:105]
	v_fma_f64 v[104:105], -v[84:85], v[102:103], 1.0
	v_fmac_f64_e32 v[102:103], v[102:103], v[104:105]
	v_div_scale_f64 v[104:105], vcc, 1.0, v[86:87], 1.0
	v_mul_f64 v[106:107], v[104:105], v[102:103]
	v_fma_f64 v[84:85], -v[84:85], v[106:107], v[104:105]
	s_nop 1
	v_div_fmas_f64 v[84:85], v[84:85], v[102:103], v[106:107]
	v_div_fixup_f64 v[86:87], v[84:85], v[86:87], 1.0
	v_mul_f64 v[84:85], v[100:101], v[86:87]
	v_xor_b32_e32 v87, 0x80000000, v87
.LBB40_112:
	s_andn2_saveexec_b64 s[16:17], s[16:17]
	s_cbranch_execz .LBB40_114
; %bb.113:
	v_div_scale_f64 v[100:101], s[18:19], v[84:85], v[84:85], v[86:87]
	v_rcp_f64_e32 v[102:103], v[100:101]
	v_div_scale_f64 v[104:105], vcc, v[86:87], v[84:85], v[86:87]
	v_fma_f64 v[106:107], -v[100:101], v[102:103], 1.0
	v_fmac_f64_e32 v[102:103], v[102:103], v[106:107]
	v_fma_f64 v[106:107], -v[100:101], v[102:103], 1.0
	v_fmac_f64_e32 v[102:103], v[102:103], v[106:107]
	v_mul_f64 v[106:107], v[104:105], v[102:103]
	v_fma_f64 v[100:101], -v[100:101], v[106:107], v[104:105]
	v_div_fmas_f64 v[100:101], v[100:101], v[102:103], v[106:107]
	v_div_fixup_f64 v[100:101], v[100:101], v[84:85], v[86:87]
	v_fmac_f64_e32 v[84:85], v[86:87], v[100:101]
	v_div_scale_f64 v[86:87], s[18:19], v[84:85], v[84:85], 1.0
	v_rcp_f64_e32 v[102:103], v[86:87]
	s_nop 0
	v_fma_f64 v[104:105], -v[86:87], v[102:103], 1.0
	v_fmac_f64_e32 v[102:103], v[102:103], v[104:105]
	v_fma_f64 v[104:105], -v[86:87], v[102:103], 1.0
	v_fmac_f64_e32 v[102:103], v[102:103], v[104:105]
	v_div_scale_f64 v[104:105], vcc, 1.0, v[84:85], 1.0
	v_mul_f64 v[106:107], v[104:105], v[102:103]
	v_fma_f64 v[86:87], -v[86:87], v[106:107], v[104:105]
	s_nop 1
	v_div_fmas_f64 v[86:87], v[86:87], v[102:103], v[106:107]
	v_div_fixup_f64 v[84:85], v[86:87], v[84:85], 1.0
	v_mul_f64 v[86:87], v[100:101], -v[84:85]
.LBB40_114:
	s_or_b64 exec, exec, s[16:17]
.LBB40_115:
	s_or_b64 exec, exec, s[0:1]
	v_cmp_ne_u32_e32 vcc, v97, v94
	s_and_saveexec_b64 s[0:1], vcc
	s_xor_b64 s[0:1], exec, s[0:1]
	s_cbranch_execz .LBB40_121
; %bb.116:
	v_cmp_eq_u32_e32 vcc, 5, v97
	s_and_saveexec_b64 s[16:17], vcc
	s_cbranch_execz .LBB40_120
; %bb.117:
	v_cmp_ne_u32_e32 vcc, 5, v94
	s_xor_b64 s[18:19], s[14:15], -1
	s_and_b64 s[22:23], s[18:19], vcc
	s_and_saveexec_b64 s[18:19], s[22:23]
	s_cbranch_execz .LBB40_119
; %bb.118:
	v_ashrrev_i32_e32 v95, 31, v94
	v_lshl_add_u64 v[100:101], v[94:95], 2, v[92:93]
	global_load_dword v95, v[100:101], off
	global_load_dword v97, v[92:93], off offset:20
	s_waitcnt vmcnt(1)
	global_store_dword v[92:93], v95, off offset:20
	s_waitcnt vmcnt(1)
	global_store_dword v[100:101], v97, off
.LBB40_119:
	s_or_b64 exec, exec, s[18:19]
	v_mov_b32_e32 v97, v94
	v_mov_b32_e32 v98, v94
.LBB40_120:
	s_or_b64 exec, exec, s[16:17]
.LBB40_121:
	s_andn2_saveexec_b64 s[0:1], s[0:1]
	s_cbranch_execz .LBB40_123
; %bb.122:
	v_mov_b32_e32 v97, 5
	s_waitcnt vmcnt(14)
	ds_write2_b64 v96, v[60:61], v[62:63] offset0:12 offset1:13
	s_waitcnt vmcnt(13)
	ds_write2_b64 v96, v[52:53], v[54:55] offset0:14 offset1:15
	s_waitcnt vmcnt(12)
	ds_write2_b64 v96, v[76:77], v[78:79] offset0:16 offset1:17
	s_waitcnt vmcnt(11)
	ds_write2_b64 v96, v[68:69], v[70:71] offset0:18 offset1:19
	s_waitcnt vmcnt(10)
	ds_write2_b64 v96, v[56:57], v[58:59] offset0:20 offset1:21
	s_waitcnt vmcnt(9)
	ds_write2_b64 v96, v[48:49], v[50:51] offset0:22 offset1:23
	s_waitcnt vmcnt(8)
	ds_write2_b64 v96, v[36:37], v[38:39] offset0:24 offset1:25
	s_waitcnt vmcnt(7)
	ds_write2_b64 v96, v[32:33], v[34:35] offset0:26 offset1:27
	s_waitcnt vmcnt(6)
	ds_write2_b64 v96, v[24:25], v[26:27] offset0:28 offset1:29
	s_waitcnt vmcnt(5)
	ds_write2_b64 v96, v[16:17], v[18:19] offset0:30 offset1:31
	s_waitcnt vmcnt(4)
	ds_write2_b64 v96, v[12:13], v[14:15] offset0:32 offset1:33
	s_waitcnt vmcnt(3)
	ds_write2_b64 v96, v[8:9], v[10:11] offset0:34 offset1:35
	s_waitcnt vmcnt(2)
	ds_write2_b64 v96, v[4:5], v[6:7] offset0:36 offset1:37
	s_waitcnt vmcnt(1)
	ds_write2_b64 v96, v[0:1], v[2:3] offset0:38 offset1:39
	s_waitcnt vmcnt(0)
	ds_write2_b64 v96, v[80:81], v[82:83] offset0:40 offset1:41
.LBB40_123:
	s_or_b64 exec, exec, s[0:1]
	v_cmp_lt_i32_e32 vcc, 5, v97
	s_waitcnt lgkmcnt(0)
	s_barrier
	s_and_saveexec_b64 s[0:1], vcc
	s_cbranch_execz .LBB40_125
; %bb.124:
	ds_read2_b64 v[100:103], v96 offset0:12 offset1:13
	v_mul_f64 v[94:95], v[84:85], v[66:67]
	v_fmac_f64_e32 v[94:95], v[86:87], v[64:65]
	v_mul_f64 v[66:67], v[86:87], v[66:67]
	v_fma_f64 v[64:65], v[84:85], v[64:65], -v[66:67]
	ds_read2_b64 v[84:87], v96 offset0:14 offset1:15
	s_waitcnt lgkmcnt(1)
	v_mul_f64 v[66:67], v[102:103], v[94:95]
	v_fma_f64 v[66:67], v[100:101], v[64:65], -v[66:67]
	v_mul_f64 v[100:101], v[100:101], v[94:95]
	v_fmac_f64_e32 v[100:101], v[102:103], v[64:65]
	s_waitcnt vmcnt(14)
	v_add_f64 v[62:63], v[62:63], -v[100:101]
	ds_read2_b64 v[100:103], v96 offset0:16 offset1:17
	v_add_f64 v[60:61], v[60:61], -v[66:67]
	s_waitcnt lgkmcnt(1)
	v_mul_f64 v[66:67], v[86:87], v[94:95]
	v_fma_f64 v[66:67], v[84:85], v[64:65], -v[66:67]
	v_mul_f64 v[84:85], v[84:85], v[94:95]
	v_fmac_f64_e32 v[84:85], v[86:87], v[64:65]
	s_waitcnt vmcnt(13)
	v_add_f64 v[52:53], v[52:53], -v[66:67]
	v_add_f64 v[54:55], v[54:55], -v[84:85]
	ds_read2_b64 v[84:87], v96 offset0:18 offset1:19
	s_waitcnt lgkmcnt(1)
	v_mul_f64 v[66:67], v[102:103], v[94:95]
	v_fma_f64 v[66:67], v[100:101], v[64:65], -v[66:67]
	v_mul_f64 v[100:101], v[100:101], v[94:95]
	v_fmac_f64_e32 v[100:101], v[102:103], v[64:65]
	s_waitcnt vmcnt(12)
	v_add_f64 v[78:79], v[78:79], -v[100:101]
	ds_read2_b64 v[100:103], v96 offset0:20 offset1:21
	v_add_f64 v[76:77], v[76:77], -v[66:67]
	s_waitcnt lgkmcnt(1)
	v_mul_f64 v[66:67], v[86:87], v[94:95]
	v_fma_f64 v[66:67], v[84:85], v[64:65], -v[66:67]
	v_mul_f64 v[84:85], v[84:85], v[94:95]
	v_fmac_f64_e32 v[84:85], v[86:87], v[64:65]
	s_waitcnt vmcnt(11)
	v_add_f64 v[68:69], v[68:69], -v[66:67]
	v_add_f64 v[70:71], v[70:71], -v[84:85]
	;; [unrolled: 18-line block ×7, first 2 shown]
	s_waitcnt lgkmcnt(0)
	v_mul_f64 v[66:67], v[102:103], v[94:95]
	v_mul_f64 v[84:85], v[100:101], v[94:95]
	v_fma_f64 v[66:67], v[100:101], v[64:65], -v[66:67]
	v_fmac_f64_e32 v[84:85], v[102:103], v[64:65]
	s_waitcnt vmcnt(0)
	v_add_f64 v[80:81], v[80:81], -v[66:67]
	v_add_f64 v[82:83], v[82:83], -v[84:85]
	v_mov_b64_e32 v[66:67], v[94:95]
.LBB40_125:
	s_or_b64 exec, exec, s[0:1]
	v_lshl_add_u32 v84, v97, 4, v96
	s_barrier
	s_waitcnt vmcnt(14)
	ds_write2_b64 v84, v[60:61], v[62:63] offset1:1
	s_waitcnt lgkmcnt(0)
	s_barrier
	ds_read2_b64 v[84:87], v96 offset0:12 offset1:13
	s_cmp_lt_i32 s20, 8
	v_mov_b32_e32 v94, 6
	s_cbranch_scc1 .LBB40_128
; %bb.126:
	v_add_u32_e32 v95, 0x70, v96
	s_mov_b32 s16, 7
	v_mov_b32_e32 v94, 6
.LBB40_127:                             ; =>This Inner Loop Header: Depth=1
	ds_read2_b64 v[100:103], v95 offset1:1
	s_waitcnt lgkmcnt(1)
	v_xor_b32_e32 v105, 0x80000000, v85
	v_xor_b32_e32 v107, 0x80000000, v87
	v_cmp_gt_f64_e32 vcc, 0, v[86:87]
	v_cmp_gt_f64_e64 s[0:1], 0, v[84:85]
	v_mov_b32_e32 v104, v84
	v_mov_b32_e32 v106, v86
	v_cndmask_b32_e64 v105, v85, v105, s[0:1]
	v_cndmask_b32_e32 v107, v87, v107, vcc
	v_add_f64 v[104:105], v[104:105], v[106:107]
	s_waitcnt lgkmcnt(0)
	v_xor_b32_e32 v107, 0x80000000, v101
	v_xor_b32_e32 v109, 0x80000000, v103
	v_cmp_gt_f64_e32 vcc, 0, v[102:103]
	v_cmp_gt_f64_e64 s[0:1], 0, v[100:101]
	v_mov_b32_e32 v106, v100
	v_mov_b32_e32 v108, v102
	v_cndmask_b32_e64 v107, v101, v107, s[0:1]
	v_cndmask_b32_e32 v109, v103, v109, vcc
	v_add_f64 v[106:107], v[106:107], v[108:109]
	v_mov_b32_e32 v110, s16
	s_add_i32 s16, s16, 1
	v_cmp_lt_f64_e32 vcc, v[104:105], v[106:107]
	v_add_u32_e32 v95, 16, v95
	s_cmp_lg_u32 s20, s16
	v_cndmask_b32_e32 v85, v85, v101, vcc
	v_cndmask_b32_e32 v84, v84, v100, vcc
	;; [unrolled: 1-line block ×5, first 2 shown]
	s_cbranch_scc1 .LBB40_127
.LBB40_128:
	s_waitcnt lgkmcnt(0)
	v_cmp_eq_f64_e32 vcc, 0, v[84:85]
	v_cmp_eq_f64_e64 s[0:1], 0, v[86:87]
	s_and_b64 s[0:1], vcc, s[0:1]
	s_and_saveexec_b64 s[16:17], s[0:1]
	s_xor_b64 s[0:1], exec, s[16:17]
; %bb.129:
	v_cmp_ne_u32_e32 vcc, 0, v99
	s_nop 1
	v_cndmask_b32_e32 v99, 7, v99, vcc
; %bb.130:
	s_andn2_saveexec_b64 s[0:1], s[0:1]
	s_cbranch_execz .LBB40_136
; %bb.131:
	v_cmp_ngt_f64_e64 s[16:17], |v[84:85]|, |v[86:87]|
	s_and_saveexec_b64 s[18:19], s[16:17]
	s_xor_b64 s[16:17], exec, s[18:19]
	s_cbranch_execz .LBB40_133
; %bb.132:
	v_div_scale_f64 v[100:101], s[18:19], v[86:87], v[86:87], v[84:85]
	v_rcp_f64_e32 v[102:103], v[100:101]
	v_div_scale_f64 v[104:105], vcc, v[84:85], v[86:87], v[84:85]
	v_fma_f64 v[106:107], -v[100:101], v[102:103], 1.0
	v_fmac_f64_e32 v[102:103], v[102:103], v[106:107]
	v_fma_f64 v[106:107], -v[100:101], v[102:103], 1.0
	v_fmac_f64_e32 v[102:103], v[102:103], v[106:107]
	v_mul_f64 v[106:107], v[104:105], v[102:103]
	v_fma_f64 v[100:101], -v[100:101], v[106:107], v[104:105]
	v_div_fmas_f64 v[100:101], v[100:101], v[102:103], v[106:107]
	v_div_fixup_f64 v[100:101], v[100:101], v[86:87], v[84:85]
	v_fmac_f64_e32 v[86:87], v[84:85], v[100:101]
	v_div_scale_f64 v[84:85], s[18:19], v[86:87], v[86:87], 1.0
	v_rcp_f64_e32 v[102:103], v[84:85]
	s_nop 0
	v_fma_f64 v[104:105], -v[84:85], v[102:103], 1.0
	v_fmac_f64_e32 v[102:103], v[102:103], v[104:105]
	v_fma_f64 v[104:105], -v[84:85], v[102:103], 1.0
	v_fmac_f64_e32 v[102:103], v[102:103], v[104:105]
	v_div_scale_f64 v[104:105], vcc, 1.0, v[86:87], 1.0
	v_mul_f64 v[106:107], v[104:105], v[102:103]
	v_fma_f64 v[84:85], -v[84:85], v[106:107], v[104:105]
	s_nop 1
	v_div_fmas_f64 v[84:85], v[84:85], v[102:103], v[106:107]
	v_div_fixup_f64 v[86:87], v[84:85], v[86:87], 1.0
	v_mul_f64 v[84:85], v[100:101], v[86:87]
	v_xor_b32_e32 v87, 0x80000000, v87
.LBB40_133:
	s_andn2_saveexec_b64 s[16:17], s[16:17]
	s_cbranch_execz .LBB40_135
; %bb.134:
	v_div_scale_f64 v[100:101], s[18:19], v[84:85], v[84:85], v[86:87]
	v_rcp_f64_e32 v[102:103], v[100:101]
	v_div_scale_f64 v[104:105], vcc, v[86:87], v[84:85], v[86:87]
	v_fma_f64 v[106:107], -v[100:101], v[102:103], 1.0
	v_fmac_f64_e32 v[102:103], v[102:103], v[106:107]
	v_fma_f64 v[106:107], -v[100:101], v[102:103], 1.0
	v_fmac_f64_e32 v[102:103], v[102:103], v[106:107]
	v_mul_f64 v[106:107], v[104:105], v[102:103]
	v_fma_f64 v[100:101], -v[100:101], v[106:107], v[104:105]
	v_div_fmas_f64 v[100:101], v[100:101], v[102:103], v[106:107]
	v_div_fixup_f64 v[100:101], v[100:101], v[84:85], v[86:87]
	v_fmac_f64_e32 v[84:85], v[86:87], v[100:101]
	v_div_scale_f64 v[86:87], s[18:19], v[84:85], v[84:85], 1.0
	v_rcp_f64_e32 v[102:103], v[86:87]
	s_nop 0
	v_fma_f64 v[104:105], -v[86:87], v[102:103], 1.0
	v_fmac_f64_e32 v[102:103], v[102:103], v[104:105]
	v_fma_f64 v[104:105], -v[86:87], v[102:103], 1.0
	v_fmac_f64_e32 v[102:103], v[102:103], v[104:105]
	v_div_scale_f64 v[104:105], vcc, 1.0, v[84:85], 1.0
	v_mul_f64 v[106:107], v[104:105], v[102:103]
	v_fma_f64 v[86:87], -v[86:87], v[106:107], v[104:105]
	s_nop 1
	v_div_fmas_f64 v[86:87], v[86:87], v[102:103], v[106:107]
	v_div_fixup_f64 v[84:85], v[86:87], v[84:85], 1.0
	v_mul_f64 v[86:87], v[100:101], -v[84:85]
.LBB40_135:
	s_or_b64 exec, exec, s[16:17]
.LBB40_136:
	s_or_b64 exec, exec, s[0:1]
	v_cmp_ne_u32_e32 vcc, v97, v94
	s_and_saveexec_b64 s[0:1], vcc
	s_xor_b64 s[0:1], exec, s[0:1]
	s_cbranch_execz .LBB40_142
; %bb.137:
	v_cmp_eq_u32_e32 vcc, 6, v97
	s_and_saveexec_b64 s[16:17], vcc
	s_cbranch_execz .LBB40_141
; %bb.138:
	v_cmp_ne_u32_e32 vcc, 6, v94
	s_xor_b64 s[18:19], s[14:15], -1
	s_and_b64 s[22:23], s[18:19], vcc
	s_and_saveexec_b64 s[18:19], s[22:23]
	s_cbranch_execz .LBB40_140
; %bb.139:
	v_ashrrev_i32_e32 v95, 31, v94
	v_lshl_add_u64 v[100:101], v[94:95], 2, v[92:93]
	global_load_dword v95, v[100:101], off
	global_load_dword v97, v[92:93], off offset:24
	s_waitcnt vmcnt(1)
	global_store_dword v[92:93], v95, off offset:24
	s_waitcnt vmcnt(1)
	global_store_dword v[100:101], v97, off
.LBB40_140:
	s_or_b64 exec, exec, s[18:19]
	v_mov_b32_e32 v97, v94
	v_mov_b32_e32 v98, v94
.LBB40_141:
	s_or_b64 exec, exec, s[16:17]
.LBB40_142:
	s_andn2_saveexec_b64 s[0:1], s[0:1]
	s_cbranch_execz .LBB40_144
; %bb.143:
	v_mov_b32_e32 v97, 6
	s_waitcnt vmcnt(13)
	ds_write2_b64 v96, v[52:53], v[54:55] offset0:14 offset1:15
	s_waitcnt vmcnt(12)
	ds_write2_b64 v96, v[76:77], v[78:79] offset0:16 offset1:17
	s_waitcnt vmcnt(11)
	ds_write2_b64 v96, v[68:69], v[70:71] offset0:18 offset1:19
	s_waitcnt vmcnt(10)
	ds_write2_b64 v96, v[56:57], v[58:59] offset0:20 offset1:21
	s_waitcnt vmcnt(9)
	ds_write2_b64 v96, v[48:49], v[50:51] offset0:22 offset1:23
	s_waitcnt vmcnt(8)
	ds_write2_b64 v96, v[36:37], v[38:39] offset0:24 offset1:25
	s_waitcnt vmcnt(7)
	ds_write2_b64 v96, v[32:33], v[34:35] offset0:26 offset1:27
	s_waitcnt vmcnt(6)
	ds_write2_b64 v96, v[24:25], v[26:27] offset0:28 offset1:29
	s_waitcnt vmcnt(5)
	ds_write2_b64 v96, v[16:17], v[18:19] offset0:30 offset1:31
	s_waitcnt vmcnt(4)
	ds_write2_b64 v96, v[12:13], v[14:15] offset0:32 offset1:33
	s_waitcnt vmcnt(3)
	ds_write2_b64 v96, v[8:9], v[10:11] offset0:34 offset1:35
	s_waitcnt vmcnt(2)
	ds_write2_b64 v96, v[4:5], v[6:7] offset0:36 offset1:37
	s_waitcnt vmcnt(1)
	ds_write2_b64 v96, v[0:1], v[2:3] offset0:38 offset1:39
	s_waitcnt vmcnt(0)
	ds_write2_b64 v96, v[80:81], v[82:83] offset0:40 offset1:41
.LBB40_144:
	s_or_b64 exec, exec, s[0:1]
	v_cmp_lt_i32_e32 vcc, 6, v97
	s_waitcnt lgkmcnt(0)
	s_barrier
	s_and_saveexec_b64 s[0:1], vcc
	s_cbranch_execz .LBB40_146
; %bb.145:
	ds_read2_b64 v[100:103], v96 offset0:14 offset1:15
	v_mul_f64 v[94:95], v[84:85], v[62:63]
	v_mul_f64 v[62:63], v[86:87], v[62:63]
	v_fmac_f64_e32 v[94:95], v[86:87], v[60:61]
	v_fma_f64 v[60:61], v[84:85], v[60:61], -v[62:63]
	ds_read2_b64 v[84:87], v96 offset0:16 offset1:17
	s_waitcnt lgkmcnt(1)
	v_mul_f64 v[62:63], v[102:103], v[94:95]
	v_fma_f64 v[62:63], v[100:101], v[60:61], -v[62:63]
	v_mul_f64 v[100:101], v[100:101], v[94:95]
	v_fmac_f64_e32 v[100:101], v[102:103], v[60:61]
	s_waitcnt vmcnt(13)
	v_add_f64 v[52:53], v[52:53], -v[62:63]
	s_waitcnt lgkmcnt(0)
	v_mul_f64 v[62:63], v[86:87], v[94:95]
	v_add_f64 v[54:55], v[54:55], -v[100:101]
	v_fma_f64 v[62:63], v[84:85], v[60:61], -v[62:63]
	v_mul_f64 v[84:85], v[84:85], v[94:95]
	ds_read2_b64 v[100:103], v96 offset0:18 offset1:19
	v_fmac_f64_e32 v[84:85], v[86:87], v[60:61]
	s_waitcnt vmcnt(12)
	v_add_f64 v[78:79], v[78:79], -v[84:85]
	ds_read2_b64 v[84:87], v96 offset0:20 offset1:21
	v_add_f64 v[76:77], v[76:77], -v[62:63]
	s_waitcnt lgkmcnt(1)
	v_mul_f64 v[62:63], v[102:103], v[94:95]
	v_fma_f64 v[62:63], v[100:101], v[60:61], -v[62:63]
	v_mul_f64 v[100:101], v[100:101], v[94:95]
	v_fmac_f64_e32 v[100:101], v[102:103], v[60:61]
	s_waitcnt vmcnt(11)
	v_add_f64 v[68:69], v[68:69], -v[62:63]
	s_waitcnt lgkmcnt(0)
	v_mul_f64 v[62:63], v[86:87], v[94:95]
	v_add_f64 v[70:71], v[70:71], -v[100:101]
	v_fma_f64 v[62:63], v[84:85], v[60:61], -v[62:63]
	v_mul_f64 v[84:85], v[84:85], v[94:95]
	ds_read2_b64 v[100:103], v96 offset0:22 offset1:23
	v_fmac_f64_e32 v[84:85], v[86:87], v[60:61]
	s_waitcnt vmcnt(10)
	v_add_f64 v[58:59], v[58:59], -v[84:85]
	ds_read2_b64 v[84:87], v96 offset0:24 offset1:25
	v_add_f64 v[56:57], v[56:57], -v[62:63]
	;; [unrolled: 18-line block ×6, first 2 shown]
	s_waitcnt lgkmcnt(1)
	v_mul_f64 v[62:63], v[102:103], v[94:95]
	v_fma_f64 v[62:63], v[100:101], v[60:61], -v[62:63]
	s_waitcnt vmcnt(1)
	v_add_f64 v[0:1], v[0:1], -v[62:63]
	s_waitcnt lgkmcnt(0)
	v_mul_f64 v[62:63], v[86:87], v[94:95]
	v_mul_f64 v[100:101], v[100:101], v[94:95]
	v_fma_f64 v[62:63], v[84:85], v[60:61], -v[62:63]
	v_mul_f64 v[84:85], v[84:85], v[94:95]
	v_fmac_f64_e32 v[100:101], v[102:103], v[60:61]
	v_fmac_f64_e32 v[84:85], v[86:87], v[60:61]
	v_add_f64 v[2:3], v[2:3], -v[100:101]
	s_waitcnt vmcnt(0)
	v_add_f64 v[80:81], v[80:81], -v[62:63]
	v_add_f64 v[82:83], v[82:83], -v[84:85]
	v_mov_b64_e32 v[62:63], v[94:95]
.LBB40_146:
	s_or_b64 exec, exec, s[0:1]
	v_lshl_add_u32 v84, v97, 4, v96
	s_barrier
	s_waitcnt vmcnt(13)
	ds_write2_b64 v84, v[52:53], v[54:55] offset1:1
	s_waitcnt lgkmcnt(0)
	s_barrier
	ds_read2_b64 v[84:87], v96 offset0:14 offset1:15
	s_cmp_lt_i32 s20, 9
	v_mov_b32_e32 v94, 7
	s_cbranch_scc1 .LBB40_149
; %bb.147:
	v_add_u32_e32 v95, 0x80, v96
	s_mov_b32 s16, 8
	v_mov_b32_e32 v94, 7
.LBB40_148:                             ; =>This Inner Loop Header: Depth=1
	ds_read2_b64 v[100:103], v95 offset1:1
	s_waitcnt lgkmcnt(1)
	v_xor_b32_e32 v105, 0x80000000, v85
	v_xor_b32_e32 v107, 0x80000000, v87
	v_cmp_gt_f64_e32 vcc, 0, v[86:87]
	v_cmp_gt_f64_e64 s[0:1], 0, v[84:85]
	v_mov_b32_e32 v104, v84
	v_mov_b32_e32 v106, v86
	v_cndmask_b32_e64 v105, v85, v105, s[0:1]
	v_cndmask_b32_e32 v107, v87, v107, vcc
	v_add_f64 v[104:105], v[104:105], v[106:107]
	s_waitcnt lgkmcnt(0)
	v_xor_b32_e32 v107, 0x80000000, v101
	v_xor_b32_e32 v109, 0x80000000, v103
	v_cmp_gt_f64_e32 vcc, 0, v[102:103]
	v_cmp_gt_f64_e64 s[0:1], 0, v[100:101]
	v_mov_b32_e32 v106, v100
	v_mov_b32_e32 v108, v102
	v_cndmask_b32_e64 v107, v101, v107, s[0:1]
	v_cndmask_b32_e32 v109, v103, v109, vcc
	v_add_f64 v[106:107], v[106:107], v[108:109]
	v_mov_b32_e32 v110, s16
	s_add_i32 s16, s16, 1
	v_cmp_lt_f64_e32 vcc, v[104:105], v[106:107]
	v_add_u32_e32 v95, 16, v95
	s_cmp_lg_u32 s20, s16
	v_cndmask_b32_e32 v85, v85, v101, vcc
	v_cndmask_b32_e32 v84, v84, v100, vcc
	;; [unrolled: 1-line block ×5, first 2 shown]
	s_cbranch_scc1 .LBB40_148
.LBB40_149:
	s_waitcnt lgkmcnt(0)
	v_cmp_eq_f64_e32 vcc, 0, v[84:85]
	v_cmp_eq_f64_e64 s[0:1], 0, v[86:87]
	s_and_b64 s[0:1], vcc, s[0:1]
	s_and_saveexec_b64 s[16:17], s[0:1]
	s_xor_b64 s[0:1], exec, s[16:17]
; %bb.150:
	v_cmp_ne_u32_e32 vcc, 0, v99
	s_nop 1
	v_cndmask_b32_e32 v99, 8, v99, vcc
; %bb.151:
	s_andn2_saveexec_b64 s[0:1], s[0:1]
	s_cbranch_execz .LBB40_157
; %bb.152:
	v_cmp_ngt_f64_e64 s[16:17], |v[84:85]|, |v[86:87]|
	s_and_saveexec_b64 s[18:19], s[16:17]
	s_xor_b64 s[16:17], exec, s[18:19]
	s_cbranch_execz .LBB40_154
; %bb.153:
	v_div_scale_f64 v[100:101], s[18:19], v[86:87], v[86:87], v[84:85]
	v_rcp_f64_e32 v[102:103], v[100:101]
	v_div_scale_f64 v[104:105], vcc, v[84:85], v[86:87], v[84:85]
	v_fma_f64 v[106:107], -v[100:101], v[102:103], 1.0
	v_fmac_f64_e32 v[102:103], v[102:103], v[106:107]
	v_fma_f64 v[106:107], -v[100:101], v[102:103], 1.0
	v_fmac_f64_e32 v[102:103], v[102:103], v[106:107]
	v_mul_f64 v[106:107], v[104:105], v[102:103]
	v_fma_f64 v[100:101], -v[100:101], v[106:107], v[104:105]
	v_div_fmas_f64 v[100:101], v[100:101], v[102:103], v[106:107]
	v_div_fixup_f64 v[100:101], v[100:101], v[86:87], v[84:85]
	v_fmac_f64_e32 v[86:87], v[84:85], v[100:101]
	v_div_scale_f64 v[84:85], s[18:19], v[86:87], v[86:87], 1.0
	v_rcp_f64_e32 v[102:103], v[84:85]
	s_nop 0
	v_fma_f64 v[104:105], -v[84:85], v[102:103], 1.0
	v_fmac_f64_e32 v[102:103], v[102:103], v[104:105]
	v_fma_f64 v[104:105], -v[84:85], v[102:103], 1.0
	v_fmac_f64_e32 v[102:103], v[102:103], v[104:105]
	v_div_scale_f64 v[104:105], vcc, 1.0, v[86:87], 1.0
	v_mul_f64 v[106:107], v[104:105], v[102:103]
	v_fma_f64 v[84:85], -v[84:85], v[106:107], v[104:105]
	s_nop 1
	v_div_fmas_f64 v[84:85], v[84:85], v[102:103], v[106:107]
	v_div_fixup_f64 v[86:87], v[84:85], v[86:87], 1.0
	v_mul_f64 v[84:85], v[100:101], v[86:87]
	v_xor_b32_e32 v87, 0x80000000, v87
.LBB40_154:
	s_andn2_saveexec_b64 s[16:17], s[16:17]
	s_cbranch_execz .LBB40_156
; %bb.155:
	v_div_scale_f64 v[100:101], s[18:19], v[84:85], v[84:85], v[86:87]
	v_rcp_f64_e32 v[102:103], v[100:101]
	v_div_scale_f64 v[104:105], vcc, v[86:87], v[84:85], v[86:87]
	v_fma_f64 v[106:107], -v[100:101], v[102:103], 1.0
	v_fmac_f64_e32 v[102:103], v[102:103], v[106:107]
	v_fma_f64 v[106:107], -v[100:101], v[102:103], 1.0
	v_fmac_f64_e32 v[102:103], v[102:103], v[106:107]
	v_mul_f64 v[106:107], v[104:105], v[102:103]
	v_fma_f64 v[100:101], -v[100:101], v[106:107], v[104:105]
	v_div_fmas_f64 v[100:101], v[100:101], v[102:103], v[106:107]
	v_div_fixup_f64 v[100:101], v[100:101], v[84:85], v[86:87]
	v_fmac_f64_e32 v[84:85], v[86:87], v[100:101]
	v_div_scale_f64 v[86:87], s[18:19], v[84:85], v[84:85], 1.0
	v_rcp_f64_e32 v[102:103], v[86:87]
	s_nop 0
	v_fma_f64 v[104:105], -v[86:87], v[102:103], 1.0
	v_fmac_f64_e32 v[102:103], v[102:103], v[104:105]
	v_fma_f64 v[104:105], -v[86:87], v[102:103], 1.0
	v_fmac_f64_e32 v[102:103], v[102:103], v[104:105]
	v_div_scale_f64 v[104:105], vcc, 1.0, v[84:85], 1.0
	v_mul_f64 v[106:107], v[104:105], v[102:103]
	v_fma_f64 v[86:87], -v[86:87], v[106:107], v[104:105]
	s_nop 1
	v_div_fmas_f64 v[86:87], v[86:87], v[102:103], v[106:107]
	v_div_fixup_f64 v[84:85], v[86:87], v[84:85], 1.0
	v_mul_f64 v[86:87], v[100:101], -v[84:85]
.LBB40_156:
	s_or_b64 exec, exec, s[16:17]
.LBB40_157:
	s_or_b64 exec, exec, s[0:1]
	v_cmp_ne_u32_e32 vcc, v97, v94
	s_and_saveexec_b64 s[0:1], vcc
	s_xor_b64 s[0:1], exec, s[0:1]
	s_cbranch_execz .LBB40_163
; %bb.158:
	v_cmp_eq_u32_e32 vcc, 7, v97
	s_and_saveexec_b64 s[16:17], vcc
	s_cbranch_execz .LBB40_162
; %bb.159:
	v_cmp_ne_u32_e32 vcc, 7, v94
	s_xor_b64 s[18:19], s[14:15], -1
	s_and_b64 s[22:23], s[18:19], vcc
	s_and_saveexec_b64 s[18:19], s[22:23]
	s_cbranch_execz .LBB40_161
; %bb.160:
	v_ashrrev_i32_e32 v95, 31, v94
	v_lshl_add_u64 v[100:101], v[94:95], 2, v[92:93]
	global_load_dword v95, v[100:101], off
	global_load_dword v97, v[92:93], off offset:28
	s_waitcnt vmcnt(1)
	global_store_dword v[92:93], v95, off offset:28
	s_waitcnt vmcnt(1)
	global_store_dword v[100:101], v97, off
.LBB40_161:
	s_or_b64 exec, exec, s[18:19]
	v_mov_b32_e32 v97, v94
	v_mov_b32_e32 v98, v94
.LBB40_162:
	s_or_b64 exec, exec, s[16:17]
.LBB40_163:
	s_andn2_saveexec_b64 s[0:1], s[0:1]
	s_cbranch_execz .LBB40_165
; %bb.164:
	v_mov_b32_e32 v97, 7
	s_waitcnt vmcnt(12)
	ds_write2_b64 v96, v[76:77], v[78:79] offset0:16 offset1:17
	s_waitcnt vmcnt(11)
	ds_write2_b64 v96, v[68:69], v[70:71] offset0:18 offset1:19
	;; [unrolled: 2-line block ×13, first 2 shown]
.LBB40_165:
	s_or_b64 exec, exec, s[0:1]
	v_cmp_lt_i32_e32 vcc, 7, v97
	s_waitcnt lgkmcnt(0)
	s_barrier
	s_and_saveexec_b64 s[0:1], vcc
	s_cbranch_execz .LBB40_167
; %bb.166:
	ds_read2_b64 v[100:103], v96 offset0:16 offset1:17
	v_mul_f64 v[94:95], v[84:85], v[54:55]
	v_fmac_f64_e32 v[94:95], v[86:87], v[52:53]
	v_mul_f64 v[54:55], v[86:87], v[54:55]
	v_fma_f64 v[52:53], v[84:85], v[52:53], -v[54:55]
	ds_read2_b64 v[84:87], v96 offset0:18 offset1:19
	s_waitcnt lgkmcnt(1)
	v_mul_f64 v[54:55], v[102:103], v[94:95]
	v_fma_f64 v[54:55], v[100:101], v[52:53], -v[54:55]
	v_mul_f64 v[100:101], v[100:101], v[94:95]
	v_fmac_f64_e32 v[100:101], v[102:103], v[52:53]
	s_waitcnt vmcnt(12)
	v_add_f64 v[78:79], v[78:79], -v[100:101]
	ds_read2_b64 v[100:103], v96 offset0:20 offset1:21
	v_add_f64 v[76:77], v[76:77], -v[54:55]
	s_waitcnt lgkmcnt(1)
	v_mul_f64 v[54:55], v[86:87], v[94:95]
	v_fma_f64 v[54:55], v[84:85], v[52:53], -v[54:55]
	v_mul_f64 v[84:85], v[84:85], v[94:95]
	v_fmac_f64_e32 v[84:85], v[86:87], v[52:53]
	s_waitcnt vmcnt(11)
	v_add_f64 v[68:69], v[68:69], -v[54:55]
	v_add_f64 v[70:71], v[70:71], -v[84:85]
	ds_read2_b64 v[84:87], v96 offset0:22 offset1:23
	s_waitcnt lgkmcnt(1)
	v_mul_f64 v[54:55], v[102:103], v[94:95]
	v_fma_f64 v[54:55], v[100:101], v[52:53], -v[54:55]
	v_mul_f64 v[100:101], v[100:101], v[94:95]
	v_fmac_f64_e32 v[100:101], v[102:103], v[52:53]
	s_waitcnt vmcnt(10)
	v_add_f64 v[58:59], v[58:59], -v[100:101]
	ds_read2_b64 v[100:103], v96 offset0:24 offset1:25
	v_add_f64 v[56:57], v[56:57], -v[54:55]
	s_waitcnt lgkmcnt(1)
	v_mul_f64 v[54:55], v[86:87], v[94:95]
	v_fma_f64 v[54:55], v[84:85], v[52:53], -v[54:55]
	v_mul_f64 v[84:85], v[84:85], v[94:95]
	v_fmac_f64_e32 v[84:85], v[86:87], v[52:53]
	s_waitcnt vmcnt(9)
	v_add_f64 v[48:49], v[48:49], -v[54:55]
	v_add_f64 v[50:51], v[50:51], -v[84:85]
	;; [unrolled: 18-line block ×6, first 2 shown]
	s_waitcnt lgkmcnt(0)
	v_mul_f64 v[54:55], v[102:103], v[94:95]
	v_mul_f64 v[84:85], v[100:101], v[94:95]
	v_fma_f64 v[54:55], v[100:101], v[52:53], -v[54:55]
	v_fmac_f64_e32 v[84:85], v[102:103], v[52:53]
	s_waitcnt vmcnt(0)
	v_add_f64 v[80:81], v[80:81], -v[54:55]
	v_add_f64 v[82:83], v[82:83], -v[84:85]
	v_mov_b64_e32 v[54:55], v[94:95]
.LBB40_167:
	s_or_b64 exec, exec, s[0:1]
	v_lshl_add_u32 v84, v97, 4, v96
	s_barrier
	s_waitcnt vmcnt(12)
	ds_write2_b64 v84, v[76:77], v[78:79] offset1:1
	s_waitcnt lgkmcnt(0)
	s_barrier
	ds_read2_b64 v[84:87], v96 offset0:16 offset1:17
	s_cmp_lt_i32 s20, 10
	v_mov_b32_e32 v94, 8
	s_cbranch_scc1 .LBB40_170
; %bb.168:
	v_add_u32_e32 v95, 0x90, v96
	s_mov_b32 s16, 9
	v_mov_b32_e32 v94, 8
.LBB40_169:                             ; =>This Inner Loop Header: Depth=1
	ds_read2_b64 v[100:103], v95 offset1:1
	s_waitcnt lgkmcnt(1)
	v_xor_b32_e32 v105, 0x80000000, v85
	v_xor_b32_e32 v107, 0x80000000, v87
	v_cmp_gt_f64_e32 vcc, 0, v[86:87]
	v_cmp_gt_f64_e64 s[0:1], 0, v[84:85]
	v_mov_b32_e32 v104, v84
	v_mov_b32_e32 v106, v86
	v_cndmask_b32_e64 v105, v85, v105, s[0:1]
	v_cndmask_b32_e32 v107, v87, v107, vcc
	v_add_f64 v[104:105], v[104:105], v[106:107]
	s_waitcnt lgkmcnt(0)
	v_xor_b32_e32 v107, 0x80000000, v101
	v_xor_b32_e32 v109, 0x80000000, v103
	v_cmp_gt_f64_e32 vcc, 0, v[102:103]
	v_cmp_gt_f64_e64 s[0:1], 0, v[100:101]
	v_mov_b32_e32 v106, v100
	v_mov_b32_e32 v108, v102
	v_cndmask_b32_e64 v107, v101, v107, s[0:1]
	v_cndmask_b32_e32 v109, v103, v109, vcc
	v_add_f64 v[106:107], v[106:107], v[108:109]
	v_mov_b32_e32 v110, s16
	s_add_i32 s16, s16, 1
	v_cmp_lt_f64_e32 vcc, v[104:105], v[106:107]
	v_add_u32_e32 v95, 16, v95
	s_cmp_lg_u32 s20, s16
	v_cndmask_b32_e32 v85, v85, v101, vcc
	v_cndmask_b32_e32 v84, v84, v100, vcc
	;; [unrolled: 1-line block ×5, first 2 shown]
	s_cbranch_scc1 .LBB40_169
.LBB40_170:
	s_waitcnt lgkmcnt(0)
	v_cmp_eq_f64_e32 vcc, 0, v[84:85]
	v_cmp_eq_f64_e64 s[0:1], 0, v[86:87]
	s_and_b64 s[0:1], vcc, s[0:1]
	s_and_saveexec_b64 s[16:17], s[0:1]
	s_xor_b64 s[0:1], exec, s[16:17]
; %bb.171:
	v_cmp_ne_u32_e32 vcc, 0, v99
	s_nop 1
	v_cndmask_b32_e32 v99, 9, v99, vcc
; %bb.172:
	s_andn2_saveexec_b64 s[0:1], s[0:1]
	s_cbranch_execz .LBB40_178
; %bb.173:
	v_cmp_ngt_f64_e64 s[16:17], |v[84:85]|, |v[86:87]|
	s_and_saveexec_b64 s[18:19], s[16:17]
	s_xor_b64 s[16:17], exec, s[18:19]
	s_cbranch_execz .LBB40_175
; %bb.174:
	v_div_scale_f64 v[100:101], s[18:19], v[86:87], v[86:87], v[84:85]
	v_rcp_f64_e32 v[102:103], v[100:101]
	v_div_scale_f64 v[104:105], vcc, v[84:85], v[86:87], v[84:85]
	v_fma_f64 v[106:107], -v[100:101], v[102:103], 1.0
	v_fmac_f64_e32 v[102:103], v[102:103], v[106:107]
	v_fma_f64 v[106:107], -v[100:101], v[102:103], 1.0
	v_fmac_f64_e32 v[102:103], v[102:103], v[106:107]
	v_mul_f64 v[106:107], v[104:105], v[102:103]
	v_fma_f64 v[100:101], -v[100:101], v[106:107], v[104:105]
	v_div_fmas_f64 v[100:101], v[100:101], v[102:103], v[106:107]
	v_div_fixup_f64 v[100:101], v[100:101], v[86:87], v[84:85]
	v_fmac_f64_e32 v[86:87], v[84:85], v[100:101]
	v_div_scale_f64 v[84:85], s[18:19], v[86:87], v[86:87], 1.0
	v_rcp_f64_e32 v[102:103], v[84:85]
	s_nop 0
	v_fma_f64 v[104:105], -v[84:85], v[102:103], 1.0
	v_fmac_f64_e32 v[102:103], v[102:103], v[104:105]
	v_fma_f64 v[104:105], -v[84:85], v[102:103], 1.0
	v_fmac_f64_e32 v[102:103], v[102:103], v[104:105]
	v_div_scale_f64 v[104:105], vcc, 1.0, v[86:87], 1.0
	v_mul_f64 v[106:107], v[104:105], v[102:103]
	v_fma_f64 v[84:85], -v[84:85], v[106:107], v[104:105]
	s_nop 1
	v_div_fmas_f64 v[84:85], v[84:85], v[102:103], v[106:107]
	v_div_fixup_f64 v[86:87], v[84:85], v[86:87], 1.0
	v_mul_f64 v[84:85], v[100:101], v[86:87]
	v_xor_b32_e32 v87, 0x80000000, v87
.LBB40_175:
	s_andn2_saveexec_b64 s[16:17], s[16:17]
	s_cbranch_execz .LBB40_177
; %bb.176:
	v_div_scale_f64 v[100:101], s[18:19], v[84:85], v[84:85], v[86:87]
	v_rcp_f64_e32 v[102:103], v[100:101]
	v_div_scale_f64 v[104:105], vcc, v[86:87], v[84:85], v[86:87]
	v_fma_f64 v[106:107], -v[100:101], v[102:103], 1.0
	v_fmac_f64_e32 v[102:103], v[102:103], v[106:107]
	v_fma_f64 v[106:107], -v[100:101], v[102:103], 1.0
	v_fmac_f64_e32 v[102:103], v[102:103], v[106:107]
	v_mul_f64 v[106:107], v[104:105], v[102:103]
	v_fma_f64 v[100:101], -v[100:101], v[106:107], v[104:105]
	v_div_fmas_f64 v[100:101], v[100:101], v[102:103], v[106:107]
	v_div_fixup_f64 v[100:101], v[100:101], v[84:85], v[86:87]
	v_fmac_f64_e32 v[84:85], v[86:87], v[100:101]
	v_div_scale_f64 v[86:87], s[18:19], v[84:85], v[84:85], 1.0
	v_rcp_f64_e32 v[102:103], v[86:87]
	s_nop 0
	v_fma_f64 v[104:105], -v[86:87], v[102:103], 1.0
	v_fmac_f64_e32 v[102:103], v[102:103], v[104:105]
	v_fma_f64 v[104:105], -v[86:87], v[102:103], 1.0
	v_fmac_f64_e32 v[102:103], v[102:103], v[104:105]
	v_div_scale_f64 v[104:105], vcc, 1.0, v[84:85], 1.0
	v_mul_f64 v[106:107], v[104:105], v[102:103]
	v_fma_f64 v[86:87], -v[86:87], v[106:107], v[104:105]
	s_nop 1
	v_div_fmas_f64 v[86:87], v[86:87], v[102:103], v[106:107]
	v_div_fixup_f64 v[84:85], v[86:87], v[84:85], 1.0
	v_mul_f64 v[86:87], v[100:101], -v[84:85]
.LBB40_177:
	s_or_b64 exec, exec, s[16:17]
.LBB40_178:
	s_or_b64 exec, exec, s[0:1]
	v_cmp_ne_u32_e32 vcc, v97, v94
	s_and_saveexec_b64 s[0:1], vcc
	s_xor_b64 s[0:1], exec, s[0:1]
	s_cbranch_execz .LBB40_184
; %bb.179:
	v_cmp_eq_u32_e32 vcc, 8, v97
	s_and_saveexec_b64 s[16:17], vcc
	s_cbranch_execz .LBB40_183
; %bb.180:
	v_cmp_ne_u32_e32 vcc, 8, v94
	s_xor_b64 s[18:19], s[14:15], -1
	s_and_b64 s[22:23], s[18:19], vcc
	s_and_saveexec_b64 s[18:19], s[22:23]
	s_cbranch_execz .LBB40_182
; %bb.181:
	v_ashrrev_i32_e32 v95, 31, v94
	v_lshl_add_u64 v[100:101], v[94:95], 2, v[92:93]
	global_load_dword v95, v[100:101], off
	global_load_dword v97, v[92:93], off offset:32
	s_waitcnt vmcnt(1)
	global_store_dword v[92:93], v95, off offset:32
	s_waitcnt vmcnt(1)
	global_store_dword v[100:101], v97, off
.LBB40_182:
	s_or_b64 exec, exec, s[18:19]
	v_mov_b32_e32 v97, v94
	v_mov_b32_e32 v98, v94
.LBB40_183:
	s_or_b64 exec, exec, s[16:17]
.LBB40_184:
	s_andn2_saveexec_b64 s[0:1], s[0:1]
	s_cbranch_execz .LBB40_186
; %bb.185:
	v_mov_b32_e32 v97, 8
	s_waitcnt vmcnt(11)
	ds_write2_b64 v96, v[68:69], v[70:71] offset0:18 offset1:19
	s_waitcnt vmcnt(10)
	ds_write2_b64 v96, v[56:57], v[58:59] offset0:20 offset1:21
	;; [unrolled: 2-line block ×12, first 2 shown]
.LBB40_186:
	s_or_b64 exec, exec, s[0:1]
	v_cmp_lt_i32_e32 vcc, 8, v97
	s_waitcnt lgkmcnt(0)
	s_barrier
	s_and_saveexec_b64 s[0:1], vcc
	s_cbranch_execz .LBB40_188
; %bb.187:
	ds_read2_b64 v[100:103], v96 offset0:18 offset1:19
	v_mul_f64 v[94:95], v[84:85], v[78:79]
	v_mul_f64 v[78:79], v[86:87], v[78:79]
	v_fmac_f64_e32 v[94:95], v[86:87], v[76:77]
	v_fma_f64 v[76:77], v[84:85], v[76:77], -v[78:79]
	ds_read2_b64 v[84:87], v96 offset0:20 offset1:21
	s_waitcnt lgkmcnt(1)
	v_mul_f64 v[78:79], v[102:103], v[94:95]
	v_fma_f64 v[78:79], v[100:101], v[76:77], -v[78:79]
	v_mul_f64 v[100:101], v[100:101], v[94:95]
	v_fmac_f64_e32 v[100:101], v[102:103], v[76:77]
	s_waitcnt vmcnt(11)
	v_add_f64 v[68:69], v[68:69], -v[78:79]
	s_waitcnt lgkmcnt(0)
	v_mul_f64 v[78:79], v[86:87], v[94:95]
	v_add_f64 v[70:71], v[70:71], -v[100:101]
	v_fma_f64 v[78:79], v[84:85], v[76:77], -v[78:79]
	v_mul_f64 v[84:85], v[84:85], v[94:95]
	ds_read2_b64 v[100:103], v96 offset0:22 offset1:23
	v_fmac_f64_e32 v[84:85], v[86:87], v[76:77]
	s_waitcnt vmcnt(10)
	v_add_f64 v[58:59], v[58:59], -v[84:85]
	ds_read2_b64 v[84:87], v96 offset0:24 offset1:25
	v_add_f64 v[56:57], v[56:57], -v[78:79]
	s_waitcnt lgkmcnt(1)
	v_mul_f64 v[78:79], v[102:103], v[94:95]
	v_fma_f64 v[78:79], v[100:101], v[76:77], -v[78:79]
	v_mul_f64 v[100:101], v[100:101], v[94:95]
	v_fmac_f64_e32 v[100:101], v[102:103], v[76:77]
	s_waitcnt vmcnt(9)
	v_add_f64 v[48:49], v[48:49], -v[78:79]
	s_waitcnt lgkmcnt(0)
	v_mul_f64 v[78:79], v[86:87], v[94:95]
	v_add_f64 v[50:51], v[50:51], -v[100:101]
	v_fma_f64 v[78:79], v[84:85], v[76:77], -v[78:79]
	v_mul_f64 v[84:85], v[84:85], v[94:95]
	ds_read2_b64 v[100:103], v96 offset0:26 offset1:27
	v_fmac_f64_e32 v[84:85], v[86:87], v[76:77]
	s_waitcnt vmcnt(8)
	v_add_f64 v[38:39], v[38:39], -v[84:85]
	ds_read2_b64 v[84:87], v96 offset0:28 offset1:29
	v_add_f64 v[36:37], v[36:37], -v[78:79]
	;; [unrolled: 18-line block ×5, first 2 shown]
	s_waitcnt lgkmcnt(1)
	v_mul_f64 v[78:79], v[102:103], v[94:95]
	v_fma_f64 v[78:79], v[100:101], v[76:77], -v[78:79]
	s_waitcnt vmcnt(1)
	v_add_f64 v[0:1], v[0:1], -v[78:79]
	s_waitcnt lgkmcnt(0)
	v_mul_f64 v[78:79], v[86:87], v[94:95]
	v_mul_f64 v[100:101], v[100:101], v[94:95]
	v_fma_f64 v[78:79], v[84:85], v[76:77], -v[78:79]
	v_mul_f64 v[84:85], v[84:85], v[94:95]
	v_fmac_f64_e32 v[100:101], v[102:103], v[76:77]
	v_fmac_f64_e32 v[84:85], v[86:87], v[76:77]
	v_add_f64 v[2:3], v[2:3], -v[100:101]
	s_waitcnt vmcnt(0)
	v_add_f64 v[80:81], v[80:81], -v[78:79]
	v_add_f64 v[82:83], v[82:83], -v[84:85]
	v_mov_b64_e32 v[78:79], v[94:95]
.LBB40_188:
	s_or_b64 exec, exec, s[0:1]
	v_lshl_add_u32 v84, v97, 4, v96
	s_barrier
	s_waitcnt vmcnt(11)
	ds_write2_b64 v84, v[68:69], v[70:71] offset1:1
	s_waitcnt lgkmcnt(0)
	s_barrier
	ds_read2_b64 v[84:87], v96 offset0:18 offset1:19
	s_cmp_lt_i32 s20, 11
	v_mov_b32_e32 v94, 9
	s_cbranch_scc1 .LBB40_191
; %bb.189:
	v_add_u32_e32 v95, 0xa0, v96
	s_mov_b32 s16, 10
	v_mov_b32_e32 v94, 9
.LBB40_190:                             ; =>This Inner Loop Header: Depth=1
	ds_read2_b64 v[100:103], v95 offset1:1
	s_waitcnt lgkmcnt(1)
	v_xor_b32_e32 v105, 0x80000000, v85
	v_xor_b32_e32 v107, 0x80000000, v87
	v_cmp_gt_f64_e32 vcc, 0, v[86:87]
	v_cmp_gt_f64_e64 s[0:1], 0, v[84:85]
	v_mov_b32_e32 v104, v84
	v_mov_b32_e32 v106, v86
	v_cndmask_b32_e64 v105, v85, v105, s[0:1]
	v_cndmask_b32_e32 v107, v87, v107, vcc
	v_add_f64 v[104:105], v[104:105], v[106:107]
	s_waitcnt lgkmcnt(0)
	v_xor_b32_e32 v107, 0x80000000, v101
	v_xor_b32_e32 v109, 0x80000000, v103
	v_cmp_gt_f64_e32 vcc, 0, v[102:103]
	v_cmp_gt_f64_e64 s[0:1], 0, v[100:101]
	v_mov_b32_e32 v106, v100
	v_mov_b32_e32 v108, v102
	v_cndmask_b32_e64 v107, v101, v107, s[0:1]
	v_cndmask_b32_e32 v109, v103, v109, vcc
	v_add_f64 v[106:107], v[106:107], v[108:109]
	v_mov_b32_e32 v110, s16
	s_add_i32 s16, s16, 1
	v_cmp_lt_f64_e32 vcc, v[104:105], v[106:107]
	v_add_u32_e32 v95, 16, v95
	s_cmp_lg_u32 s20, s16
	v_cndmask_b32_e32 v85, v85, v101, vcc
	v_cndmask_b32_e32 v84, v84, v100, vcc
	;; [unrolled: 1-line block ×5, first 2 shown]
	s_cbranch_scc1 .LBB40_190
.LBB40_191:
	s_waitcnt lgkmcnt(0)
	v_cmp_eq_f64_e32 vcc, 0, v[84:85]
	v_cmp_eq_f64_e64 s[0:1], 0, v[86:87]
	s_and_b64 s[0:1], vcc, s[0:1]
	s_and_saveexec_b64 s[16:17], s[0:1]
	s_xor_b64 s[0:1], exec, s[16:17]
; %bb.192:
	v_cmp_ne_u32_e32 vcc, 0, v99
	s_nop 1
	v_cndmask_b32_e32 v99, 10, v99, vcc
; %bb.193:
	s_andn2_saveexec_b64 s[0:1], s[0:1]
	s_cbranch_execz .LBB40_199
; %bb.194:
	v_cmp_ngt_f64_e64 s[16:17], |v[84:85]|, |v[86:87]|
	s_and_saveexec_b64 s[18:19], s[16:17]
	s_xor_b64 s[16:17], exec, s[18:19]
	s_cbranch_execz .LBB40_196
; %bb.195:
	v_div_scale_f64 v[100:101], s[18:19], v[86:87], v[86:87], v[84:85]
	v_rcp_f64_e32 v[102:103], v[100:101]
	v_div_scale_f64 v[104:105], vcc, v[84:85], v[86:87], v[84:85]
	v_fma_f64 v[106:107], -v[100:101], v[102:103], 1.0
	v_fmac_f64_e32 v[102:103], v[102:103], v[106:107]
	v_fma_f64 v[106:107], -v[100:101], v[102:103], 1.0
	v_fmac_f64_e32 v[102:103], v[102:103], v[106:107]
	v_mul_f64 v[106:107], v[104:105], v[102:103]
	v_fma_f64 v[100:101], -v[100:101], v[106:107], v[104:105]
	v_div_fmas_f64 v[100:101], v[100:101], v[102:103], v[106:107]
	v_div_fixup_f64 v[100:101], v[100:101], v[86:87], v[84:85]
	v_fmac_f64_e32 v[86:87], v[84:85], v[100:101]
	v_div_scale_f64 v[84:85], s[18:19], v[86:87], v[86:87], 1.0
	v_rcp_f64_e32 v[102:103], v[84:85]
	s_nop 0
	v_fma_f64 v[104:105], -v[84:85], v[102:103], 1.0
	v_fmac_f64_e32 v[102:103], v[102:103], v[104:105]
	v_fma_f64 v[104:105], -v[84:85], v[102:103], 1.0
	v_fmac_f64_e32 v[102:103], v[102:103], v[104:105]
	v_div_scale_f64 v[104:105], vcc, 1.0, v[86:87], 1.0
	v_mul_f64 v[106:107], v[104:105], v[102:103]
	v_fma_f64 v[84:85], -v[84:85], v[106:107], v[104:105]
	s_nop 1
	v_div_fmas_f64 v[84:85], v[84:85], v[102:103], v[106:107]
	v_div_fixup_f64 v[86:87], v[84:85], v[86:87], 1.0
	v_mul_f64 v[84:85], v[100:101], v[86:87]
	v_xor_b32_e32 v87, 0x80000000, v87
.LBB40_196:
	s_andn2_saveexec_b64 s[16:17], s[16:17]
	s_cbranch_execz .LBB40_198
; %bb.197:
	v_div_scale_f64 v[100:101], s[18:19], v[84:85], v[84:85], v[86:87]
	v_rcp_f64_e32 v[102:103], v[100:101]
	v_div_scale_f64 v[104:105], vcc, v[86:87], v[84:85], v[86:87]
	v_fma_f64 v[106:107], -v[100:101], v[102:103], 1.0
	v_fmac_f64_e32 v[102:103], v[102:103], v[106:107]
	v_fma_f64 v[106:107], -v[100:101], v[102:103], 1.0
	v_fmac_f64_e32 v[102:103], v[102:103], v[106:107]
	v_mul_f64 v[106:107], v[104:105], v[102:103]
	v_fma_f64 v[100:101], -v[100:101], v[106:107], v[104:105]
	v_div_fmas_f64 v[100:101], v[100:101], v[102:103], v[106:107]
	v_div_fixup_f64 v[100:101], v[100:101], v[84:85], v[86:87]
	v_fmac_f64_e32 v[84:85], v[86:87], v[100:101]
	v_div_scale_f64 v[86:87], s[18:19], v[84:85], v[84:85], 1.0
	v_rcp_f64_e32 v[102:103], v[86:87]
	s_nop 0
	v_fma_f64 v[104:105], -v[86:87], v[102:103], 1.0
	v_fmac_f64_e32 v[102:103], v[102:103], v[104:105]
	v_fma_f64 v[104:105], -v[86:87], v[102:103], 1.0
	v_fmac_f64_e32 v[102:103], v[102:103], v[104:105]
	v_div_scale_f64 v[104:105], vcc, 1.0, v[84:85], 1.0
	v_mul_f64 v[106:107], v[104:105], v[102:103]
	v_fma_f64 v[86:87], -v[86:87], v[106:107], v[104:105]
	s_nop 1
	v_div_fmas_f64 v[86:87], v[86:87], v[102:103], v[106:107]
	v_div_fixup_f64 v[84:85], v[86:87], v[84:85], 1.0
	v_mul_f64 v[86:87], v[100:101], -v[84:85]
.LBB40_198:
	s_or_b64 exec, exec, s[16:17]
.LBB40_199:
	s_or_b64 exec, exec, s[0:1]
	v_cmp_ne_u32_e32 vcc, v97, v94
	s_and_saveexec_b64 s[0:1], vcc
	s_xor_b64 s[0:1], exec, s[0:1]
	s_cbranch_execz .LBB40_205
; %bb.200:
	v_cmp_eq_u32_e32 vcc, 9, v97
	s_and_saveexec_b64 s[16:17], vcc
	s_cbranch_execz .LBB40_204
; %bb.201:
	v_cmp_ne_u32_e32 vcc, 9, v94
	s_xor_b64 s[18:19], s[14:15], -1
	s_and_b64 s[22:23], s[18:19], vcc
	s_and_saveexec_b64 s[18:19], s[22:23]
	s_cbranch_execz .LBB40_203
; %bb.202:
	v_ashrrev_i32_e32 v95, 31, v94
	v_lshl_add_u64 v[100:101], v[94:95], 2, v[92:93]
	global_load_dword v95, v[100:101], off
	global_load_dword v97, v[92:93], off offset:36
	s_waitcnt vmcnt(1)
	global_store_dword v[92:93], v95, off offset:36
	s_waitcnt vmcnt(1)
	global_store_dword v[100:101], v97, off
.LBB40_203:
	s_or_b64 exec, exec, s[18:19]
	v_mov_b32_e32 v97, v94
	v_mov_b32_e32 v98, v94
.LBB40_204:
	s_or_b64 exec, exec, s[16:17]
.LBB40_205:
	s_andn2_saveexec_b64 s[0:1], s[0:1]
	s_cbranch_execz .LBB40_207
; %bb.206:
	v_mov_b32_e32 v97, 9
	s_waitcnt vmcnt(10)
	ds_write2_b64 v96, v[56:57], v[58:59] offset0:20 offset1:21
	s_waitcnt vmcnt(9)
	ds_write2_b64 v96, v[48:49], v[50:51] offset0:22 offset1:23
	;; [unrolled: 2-line block ×11, first 2 shown]
.LBB40_207:
	s_or_b64 exec, exec, s[0:1]
	v_cmp_lt_i32_e32 vcc, 9, v97
	s_waitcnt lgkmcnt(0)
	s_barrier
	s_and_saveexec_b64 s[0:1], vcc
	s_cbranch_execz .LBB40_209
; %bb.208:
	ds_read2_b64 v[100:103], v96 offset0:20 offset1:21
	v_mul_f64 v[94:95], v[84:85], v[70:71]
	v_fmac_f64_e32 v[94:95], v[86:87], v[68:69]
	v_mul_f64 v[70:71], v[86:87], v[70:71]
	v_fma_f64 v[68:69], v[84:85], v[68:69], -v[70:71]
	ds_read2_b64 v[84:87], v96 offset0:22 offset1:23
	s_waitcnt lgkmcnt(1)
	v_mul_f64 v[70:71], v[102:103], v[94:95]
	v_fma_f64 v[70:71], v[100:101], v[68:69], -v[70:71]
	v_mul_f64 v[100:101], v[100:101], v[94:95]
	v_fmac_f64_e32 v[100:101], v[102:103], v[68:69]
	s_waitcnt vmcnt(10)
	v_add_f64 v[58:59], v[58:59], -v[100:101]
	ds_read2_b64 v[100:103], v96 offset0:24 offset1:25
	v_add_f64 v[56:57], v[56:57], -v[70:71]
	s_waitcnt lgkmcnt(1)
	v_mul_f64 v[70:71], v[86:87], v[94:95]
	v_fma_f64 v[70:71], v[84:85], v[68:69], -v[70:71]
	v_mul_f64 v[84:85], v[84:85], v[94:95]
	v_fmac_f64_e32 v[84:85], v[86:87], v[68:69]
	s_waitcnt vmcnt(9)
	v_add_f64 v[48:49], v[48:49], -v[70:71]
	v_add_f64 v[50:51], v[50:51], -v[84:85]
	ds_read2_b64 v[84:87], v96 offset0:26 offset1:27
	s_waitcnt lgkmcnt(1)
	v_mul_f64 v[70:71], v[102:103], v[94:95]
	v_fma_f64 v[70:71], v[100:101], v[68:69], -v[70:71]
	v_mul_f64 v[100:101], v[100:101], v[94:95]
	v_fmac_f64_e32 v[100:101], v[102:103], v[68:69]
	s_waitcnt vmcnt(8)
	v_add_f64 v[38:39], v[38:39], -v[100:101]
	ds_read2_b64 v[100:103], v96 offset0:28 offset1:29
	v_add_f64 v[36:37], v[36:37], -v[70:71]
	s_waitcnt lgkmcnt(1)
	v_mul_f64 v[70:71], v[86:87], v[94:95]
	v_fma_f64 v[70:71], v[84:85], v[68:69], -v[70:71]
	v_mul_f64 v[84:85], v[84:85], v[94:95]
	v_fmac_f64_e32 v[84:85], v[86:87], v[68:69]
	s_waitcnt vmcnt(7)
	v_add_f64 v[32:33], v[32:33], -v[70:71]
	v_add_f64 v[34:35], v[34:35], -v[84:85]
	ds_read2_b64 v[84:87], v96 offset0:30 offset1:31
	s_waitcnt lgkmcnt(1)
	v_mul_f64 v[70:71], v[102:103], v[94:95]
	v_fma_f64 v[70:71], v[100:101], v[68:69], -v[70:71]
	v_mul_f64 v[100:101], v[100:101], v[94:95]
	v_fmac_f64_e32 v[100:101], v[102:103], v[68:69]
	s_waitcnt vmcnt(6)
	v_add_f64 v[26:27], v[26:27], -v[100:101]
	ds_read2_b64 v[100:103], v96 offset0:32 offset1:33
	v_add_f64 v[24:25], v[24:25], -v[70:71]
	s_waitcnt lgkmcnt(1)
	v_mul_f64 v[70:71], v[86:87], v[94:95]
	v_fma_f64 v[70:71], v[84:85], v[68:69], -v[70:71]
	v_mul_f64 v[84:85], v[84:85], v[94:95]
	v_fmac_f64_e32 v[84:85], v[86:87], v[68:69]
	s_waitcnt vmcnt(5)
	v_add_f64 v[16:17], v[16:17], -v[70:71]
	v_add_f64 v[18:19], v[18:19], -v[84:85]
	ds_read2_b64 v[84:87], v96 offset0:34 offset1:35
	s_waitcnt lgkmcnt(1)
	v_mul_f64 v[70:71], v[102:103], v[94:95]
	v_fma_f64 v[70:71], v[100:101], v[68:69], -v[70:71]
	v_mul_f64 v[100:101], v[100:101], v[94:95]
	v_fmac_f64_e32 v[100:101], v[102:103], v[68:69]
	s_waitcnt vmcnt(4)
	v_add_f64 v[14:15], v[14:15], -v[100:101]
	ds_read2_b64 v[100:103], v96 offset0:36 offset1:37
	v_add_f64 v[12:13], v[12:13], -v[70:71]
	s_waitcnt lgkmcnt(1)
	v_mul_f64 v[70:71], v[86:87], v[94:95]
	v_fma_f64 v[70:71], v[84:85], v[68:69], -v[70:71]
	v_mul_f64 v[84:85], v[84:85], v[94:95]
	v_fmac_f64_e32 v[84:85], v[86:87], v[68:69]
	s_waitcnt vmcnt(3)
	v_add_f64 v[8:9], v[8:9], -v[70:71]
	v_add_f64 v[10:11], v[10:11], -v[84:85]
	ds_read2_b64 v[84:87], v96 offset0:38 offset1:39
	s_waitcnt lgkmcnt(1)
	v_mul_f64 v[70:71], v[102:103], v[94:95]
	v_fma_f64 v[70:71], v[100:101], v[68:69], -v[70:71]
	v_mul_f64 v[100:101], v[100:101], v[94:95]
	v_fmac_f64_e32 v[100:101], v[102:103], v[68:69]
	s_waitcnt vmcnt(2)
	v_add_f64 v[6:7], v[6:7], -v[100:101]
	ds_read2_b64 v[100:103], v96 offset0:40 offset1:41
	v_add_f64 v[4:5], v[4:5], -v[70:71]
	s_waitcnt lgkmcnt(1)
	v_mul_f64 v[70:71], v[86:87], v[94:95]
	v_fma_f64 v[70:71], v[84:85], v[68:69], -v[70:71]
	v_mul_f64 v[84:85], v[84:85], v[94:95]
	v_fmac_f64_e32 v[84:85], v[86:87], v[68:69]
	s_waitcnt vmcnt(1)
	v_add_f64 v[0:1], v[0:1], -v[70:71]
	v_add_f64 v[2:3], v[2:3], -v[84:85]
	s_waitcnt lgkmcnt(0)
	v_mul_f64 v[70:71], v[102:103], v[94:95]
	v_mul_f64 v[84:85], v[100:101], v[94:95]
	v_fma_f64 v[70:71], v[100:101], v[68:69], -v[70:71]
	v_fmac_f64_e32 v[84:85], v[102:103], v[68:69]
	s_waitcnt vmcnt(0)
	v_add_f64 v[80:81], v[80:81], -v[70:71]
	v_add_f64 v[82:83], v[82:83], -v[84:85]
	v_mov_b64_e32 v[70:71], v[94:95]
.LBB40_209:
	s_or_b64 exec, exec, s[0:1]
	v_lshl_add_u32 v84, v97, 4, v96
	s_barrier
	s_waitcnt vmcnt(10)
	ds_write2_b64 v84, v[56:57], v[58:59] offset1:1
	s_waitcnt lgkmcnt(0)
	s_barrier
	ds_read2_b64 v[84:87], v96 offset0:20 offset1:21
	s_cmp_lt_i32 s20, 12
	v_mov_b32_e32 v94, 10
	s_cbranch_scc1 .LBB40_212
; %bb.210:
	v_add_u32_e32 v95, 0xb0, v96
	s_mov_b32 s16, 11
	v_mov_b32_e32 v94, 10
.LBB40_211:                             ; =>This Inner Loop Header: Depth=1
	ds_read2_b64 v[100:103], v95 offset1:1
	s_waitcnt lgkmcnt(1)
	v_xor_b32_e32 v105, 0x80000000, v85
	v_xor_b32_e32 v107, 0x80000000, v87
	v_cmp_gt_f64_e32 vcc, 0, v[86:87]
	v_cmp_gt_f64_e64 s[0:1], 0, v[84:85]
	v_mov_b32_e32 v104, v84
	v_mov_b32_e32 v106, v86
	v_cndmask_b32_e64 v105, v85, v105, s[0:1]
	v_cndmask_b32_e32 v107, v87, v107, vcc
	v_add_f64 v[104:105], v[104:105], v[106:107]
	s_waitcnt lgkmcnt(0)
	v_xor_b32_e32 v107, 0x80000000, v101
	v_xor_b32_e32 v109, 0x80000000, v103
	v_cmp_gt_f64_e32 vcc, 0, v[102:103]
	v_cmp_gt_f64_e64 s[0:1], 0, v[100:101]
	v_mov_b32_e32 v106, v100
	v_mov_b32_e32 v108, v102
	v_cndmask_b32_e64 v107, v101, v107, s[0:1]
	v_cndmask_b32_e32 v109, v103, v109, vcc
	v_add_f64 v[106:107], v[106:107], v[108:109]
	v_mov_b32_e32 v110, s16
	s_add_i32 s16, s16, 1
	v_cmp_lt_f64_e32 vcc, v[104:105], v[106:107]
	v_add_u32_e32 v95, 16, v95
	s_cmp_lg_u32 s20, s16
	v_cndmask_b32_e32 v85, v85, v101, vcc
	v_cndmask_b32_e32 v84, v84, v100, vcc
	;; [unrolled: 1-line block ×5, first 2 shown]
	s_cbranch_scc1 .LBB40_211
.LBB40_212:
	s_waitcnt lgkmcnt(0)
	v_cmp_eq_f64_e32 vcc, 0, v[84:85]
	v_cmp_eq_f64_e64 s[0:1], 0, v[86:87]
	s_and_b64 s[0:1], vcc, s[0:1]
	s_and_saveexec_b64 s[16:17], s[0:1]
	s_xor_b64 s[0:1], exec, s[16:17]
; %bb.213:
	v_cmp_ne_u32_e32 vcc, 0, v99
	s_nop 1
	v_cndmask_b32_e32 v99, 11, v99, vcc
; %bb.214:
	s_andn2_saveexec_b64 s[0:1], s[0:1]
	s_cbranch_execz .LBB40_220
; %bb.215:
	v_cmp_ngt_f64_e64 s[16:17], |v[84:85]|, |v[86:87]|
	s_and_saveexec_b64 s[18:19], s[16:17]
	s_xor_b64 s[16:17], exec, s[18:19]
	s_cbranch_execz .LBB40_217
; %bb.216:
	v_div_scale_f64 v[100:101], s[18:19], v[86:87], v[86:87], v[84:85]
	v_rcp_f64_e32 v[102:103], v[100:101]
	v_div_scale_f64 v[104:105], vcc, v[84:85], v[86:87], v[84:85]
	v_fma_f64 v[106:107], -v[100:101], v[102:103], 1.0
	v_fmac_f64_e32 v[102:103], v[102:103], v[106:107]
	v_fma_f64 v[106:107], -v[100:101], v[102:103], 1.0
	v_fmac_f64_e32 v[102:103], v[102:103], v[106:107]
	v_mul_f64 v[106:107], v[104:105], v[102:103]
	v_fma_f64 v[100:101], -v[100:101], v[106:107], v[104:105]
	v_div_fmas_f64 v[100:101], v[100:101], v[102:103], v[106:107]
	v_div_fixup_f64 v[100:101], v[100:101], v[86:87], v[84:85]
	v_fmac_f64_e32 v[86:87], v[84:85], v[100:101]
	v_div_scale_f64 v[84:85], s[18:19], v[86:87], v[86:87], 1.0
	v_rcp_f64_e32 v[102:103], v[84:85]
	s_nop 0
	v_fma_f64 v[104:105], -v[84:85], v[102:103], 1.0
	v_fmac_f64_e32 v[102:103], v[102:103], v[104:105]
	v_fma_f64 v[104:105], -v[84:85], v[102:103], 1.0
	v_fmac_f64_e32 v[102:103], v[102:103], v[104:105]
	v_div_scale_f64 v[104:105], vcc, 1.0, v[86:87], 1.0
	v_mul_f64 v[106:107], v[104:105], v[102:103]
	v_fma_f64 v[84:85], -v[84:85], v[106:107], v[104:105]
	s_nop 1
	v_div_fmas_f64 v[84:85], v[84:85], v[102:103], v[106:107]
	v_div_fixup_f64 v[86:87], v[84:85], v[86:87], 1.0
	v_mul_f64 v[84:85], v[100:101], v[86:87]
	v_xor_b32_e32 v87, 0x80000000, v87
.LBB40_217:
	s_andn2_saveexec_b64 s[16:17], s[16:17]
	s_cbranch_execz .LBB40_219
; %bb.218:
	v_div_scale_f64 v[100:101], s[18:19], v[84:85], v[84:85], v[86:87]
	v_rcp_f64_e32 v[102:103], v[100:101]
	v_div_scale_f64 v[104:105], vcc, v[86:87], v[84:85], v[86:87]
	v_fma_f64 v[106:107], -v[100:101], v[102:103], 1.0
	v_fmac_f64_e32 v[102:103], v[102:103], v[106:107]
	v_fma_f64 v[106:107], -v[100:101], v[102:103], 1.0
	v_fmac_f64_e32 v[102:103], v[102:103], v[106:107]
	v_mul_f64 v[106:107], v[104:105], v[102:103]
	v_fma_f64 v[100:101], -v[100:101], v[106:107], v[104:105]
	v_div_fmas_f64 v[100:101], v[100:101], v[102:103], v[106:107]
	v_div_fixup_f64 v[100:101], v[100:101], v[84:85], v[86:87]
	v_fmac_f64_e32 v[84:85], v[86:87], v[100:101]
	v_div_scale_f64 v[86:87], s[18:19], v[84:85], v[84:85], 1.0
	v_rcp_f64_e32 v[102:103], v[86:87]
	s_nop 0
	v_fma_f64 v[104:105], -v[86:87], v[102:103], 1.0
	v_fmac_f64_e32 v[102:103], v[102:103], v[104:105]
	v_fma_f64 v[104:105], -v[86:87], v[102:103], 1.0
	v_fmac_f64_e32 v[102:103], v[102:103], v[104:105]
	v_div_scale_f64 v[104:105], vcc, 1.0, v[84:85], 1.0
	v_mul_f64 v[106:107], v[104:105], v[102:103]
	v_fma_f64 v[86:87], -v[86:87], v[106:107], v[104:105]
	s_nop 1
	v_div_fmas_f64 v[86:87], v[86:87], v[102:103], v[106:107]
	v_div_fixup_f64 v[84:85], v[86:87], v[84:85], 1.0
	v_mul_f64 v[86:87], v[100:101], -v[84:85]
.LBB40_219:
	s_or_b64 exec, exec, s[16:17]
.LBB40_220:
	s_or_b64 exec, exec, s[0:1]
	v_cmp_ne_u32_e32 vcc, v97, v94
	s_and_saveexec_b64 s[0:1], vcc
	s_xor_b64 s[0:1], exec, s[0:1]
	s_cbranch_execz .LBB40_226
; %bb.221:
	v_cmp_eq_u32_e32 vcc, 10, v97
	s_and_saveexec_b64 s[16:17], vcc
	s_cbranch_execz .LBB40_225
; %bb.222:
	v_cmp_ne_u32_e32 vcc, 10, v94
	s_xor_b64 s[18:19], s[14:15], -1
	s_and_b64 s[22:23], s[18:19], vcc
	s_and_saveexec_b64 s[18:19], s[22:23]
	s_cbranch_execz .LBB40_224
; %bb.223:
	v_ashrrev_i32_e32 v95, 31, v94
	v_lshl_add_u64 v[100:101], v[94:95], 2, v[92:93]
	global_load_dword v95, v[100:101], off
	global_load_dword v97, v[92:93], off offset:40
	s_waitcnt vmcnt(1)
	global_store_dword v[92:93], v95, off offset:40
	s_waitcnt vmcnt(1)
	global_store_dword v[100:101], v97, off
.LBB40_224:
	s_or_b64 exec, exec, s[18:19]
	v_mov_b32_e32 v97, v94
	v_mov_b32_e32 v98, v94
.LBB40_225:
	s_or_b64 exec, exec, s[16:17]
.LBB40_226:
	s_andn2_saveexec_b64 s[0:1], s[0:1]
	s_cbranch_execz .LBB40_228
; %bb.227:
	v_mov_b32_e32 v97, 10
	s_waitcnt vmcnt(9)
	ds_write2_b64 v96, v[48:49], v[50:51] offset0:22 offset1:23
	s_waitcnt vmcnt(8)
	ds_write2_b64 v96, v[36:37], v[38:39] offset0:24 offset1:25
	;; [unrolled: 2-line block ×10, first 2 shown]
.LBB40_228:
	s_or_b64 exec, exec, s[0:1]
	v_cmp_lt_i32_e32 vcc, 10, v97
	s_waitcnt lgkmcnt(0)
	s_barrier
	s_and_saveexec_b64 s[0:1], vcc
	s_cbranch_execz .LBB40_230
; %bb.229:
	ds_read2_b64 v[100:103], v96 offset0:22 offset1:23
	v_mul_f64 v[94:95], v[84:85], v[58:59]
	v_mul_f64 v[58:59], v[86:87], v[58:59]
	v_fmac_f64_e32 v[94:95], v[86:87], v[56:57]
	v_fma_f64 v[56:57], v[84:85], v[56:57], -v[58:59]
	ds_read2_b64 v[84:87], v96 offset0:24 offset1:25
	s_waitcnt lgkmcnt(1)
	v_mul_f64 v[58:59], v[102:103], v[94:95]
	v_fma_f64 v[58:59], v[100:101], v[56:57], -v[58:59]
	v_mul_f64 v[100:101], v[100:101], v[94:95]
	v_fmac_f64_e32 v[100:101], v[102:103], v[56:57]
	s_waitcnt vmcnt(9)
	v_add_f64 v[48:49], v[48:49], -v[58:59]
	s_waitcnt lgkmcnt(0)
	v_mul_f64 v[58:59], v[86:87], v[94:95]
	v_add_f64 v[50:51], v[50:51], -v[100:101]
	v_fma_f64 v[58:59], v[84:85], v[56:57], -v[58:59]
	v_mul_f64 v[84:85], v[84:85], v[94:95]
	ds_read2_b64 v[100:103], v96 offset0:26 offset1:27
	v_fmac_f64_e32 v[84:85], v[86:87], v[56:57]
	s_waitcnt vmcnt(8)
	v_add_f64 v[38:39], v[38:39], -v[84:85]
	ds_read2_b64 v[84:87], v96 offset0:28 offset1:29
	v_add_f64 v[36:37], v[36:37], -v[58:59]
	s_waitcnt lgkmcnt(1)
	v_mul_f64 v[58:59], v[102:103], v[94:95]
	v_fma_f64 v[58:59], v[100:101], v[56:57], -v[58:59]
	v_mul_f64 v[100:101], v[100:101], v[94:95]
	v_fmac_f64_e32 v[100:101], v[102:103], v[56:57]
	s_waitcnt vmcnt(7)
	v_add_f64 v[32:33], v[32:33], -v[58:59]
	s_waitcnt lgkmcnt(0)
	v_mul_f64 v[58:59], v[86:87], v[94:95]
	v_add_f64 v[34:35], v[34:35], -v[100:101]
	v_fma_f64 v[58:59], v[84:85], v[56:57], -v[58:59]
	v_mul_f64 v[84:85], v[84:85], v[94:95]
	ds_read2_b64 v[100:103], v96 offset0:30 offset1:31
	v_fmac_f64_e32 v[84:85], v[86:87], v[56:57]
	s_waitcnt vmcnt(6)
	v_add_f64 v[26:27], v[26:27], -v[84:85]
	ds_read2_b64 v[84:87], v96 offset0:32 offset1:33
	v_add_f64 v[24:25], v[24:25], -v[58:59]
	;; [unrolled: 18-line block ×4, first 2 shown]
	s_waitcnt lgkmcnt(1)
	v_mul_f64 v[58:59], v[102:103], v[94:95]
	v_fma_f64 v[58:59], v[100:101], v[56:57], -v[58:59]
	s_waitcnt vmcnt(1)
	v_add_f64 v[0:1], v[0:1], -v[58:59]
	s_waitcnt lgkmcnt(0)
	v_mul_f64 v[58:59], v[86:87], v[94:95]
	v_mul_f64 v[100:101], v[100:101], v[94:95]
	v_fma_f64 v[58:59], v[84:85], v[56:57], -v[58:59]
	v_mul_f64 v[84:85], v[84:85], v[94:95]
	v_fmac_f64_e32 v[100:101], v[102:103], v[56:57]
	v_fmac_f64_e32 v[84:85], v[86:87], v[56:57]
	v_add_f64 v[2:3], v[2:3], -v[100:101]
	s_waitcnt vmcnt(0)
	v_add_f64 v[80:81], v[80:81], -v[58:59]
	v_add_f64 v[82:83], v[82:83], -v[84:85]
	v_mov_b64_e32 v[58:59], v[94:95]
.LBB40_230:
	s_or_b64 exec, exec, s[0:1]
	v_lshl_add_u32 v84, v97, 4, v96
	s_barrier
	s_waitcnt vmcnt(9)
	ds_write2_b64 v84, v[48:49], v[50:51] offset1:1
	s_waitcnt lgkmcnt(0)
	s_barrier
	ds_read2_b64 v[84:87], v96 offset0:22 offset1:23
	s_cmp_lt_i32 s20, 13
	v_mov_b32_e32 v94, 11
	s_cbranch_scc1 .LBB40_233
; %bb.231:
	v_add_u32_e32 v95, 0xc0, v96
	s_mov_b32 s16, 12
	v_mov_b32_e32 v94, 11
.LBB40_232:                             ; =>This Inner Loop Header: Depth=1
	ds_read2_b64 v[100:103], v95 offset1:1
	s_waitcnt lgkmcnt(1)
	v_xor_b32_e32 v105, 0x80000000, v85
	v_xor_b32_e32 v107, 0x80000000, v87
	v_cmp_gt_f64_e32 vcc, 0, v[86:87]
	v_cmp_gt_f64_e64 s[0:1], 0, v[84:85]
	v_mov_b32_e32 v104, v84
	v_mov_b32_e32 v106, v86
	v_cndmask_b32_e64 v105, v85, v105, s[0:1]
	v_cndmask_b32_e32 v107, v87, v107, vcc
	v_add_f64 v[104:105], v[104:105], v[106:107]
	s_waitcnt lgkmcnt(0)
	v_xor_b32_e32 v107, 0x80000000, v101
	v_xor_b32_e32 v109, 0x80000000, v103
	v_cmp_gt_f64_e32 vcc, 0, v[102:103]
	v_cmp_gt_f64_e64 s[0:1], 0, v[100:101]
	v_mov_b32_e32 v106, v100
	v_mov_b32_e32 v108, v102
	v_cndmask_b32_e64 v107, v101, v107, s[0:1]
	v_cndmask_b32_e32 v109, v103, v109, vcc
	v_add_f64 v[106:107], v[106:107], v[108:109]
	v_mov_b32_e32 v110, s16
	s_add_i32 s16, s16, 1
	v_cmp_lt_f64_e32 vcc, v[104:105], v[106:107]
	v_add_u32_e32 v95, 16, v95
	s_cmp_lg_u32 s20, s16
	v_cndmask_b32_e32 v85, v85, v101, vcc
	v_cndmask_b32_e32 v84, v84, v100, vcc
	;; [unrolled: 1-line block ×5, first 2 shown]
	s_cbranch_scc1 .LBB40_232
.LBB40_233:
	s_waitcnt lgkmcnt(0)
	v_cmp_eq_f64_e32 vcc, 0, v[84:85]
	v_cmp_eq_f64_e64 s[0:1], 0, v[86:87]
	s_and_b64 s[0:1], vcc, s[0:1]
	s_and_saveexec_b64 s[16:17], s[0:1]
	s_xor_b64 s[0:1], exec, s[16:17]
; %bb.234:
	v_cmp_ne_u32_e32 vcc, 0, v99
	s_nop 1
	v_cndmask_b32_e32 v99, 12, v99, vcc
; %bb.235:
	s_andn2_saveexec_b64 s[0:1], s[0:1]
	s_cbranch_execz .LBB40_241
; %bb.236:
	v_cmp_ngt_f64_e64 s[16:17], |v[84:85]|, |v[86:87]|
	s_and_saveexec_b64 s[18:19], s[16:17]
	s_xor_b64 s[16:17], exec, s[18:19]
	s_cbranch_execz .LBB40_238
; %bb.237:
	v_div_scale_f64 v[100:101], s[18:19], v[86:87], v[86:87], v[84:85]
	v_rcp_f64_e32 v[102:103], v[100:101]
	v_div_scale_f64 v[104:105], vcc, v[84:85], v[86:87], v[84:85]
	v_fma_f64 v[106:107], -v[100:101], v[102:103], 1.0
	v_fmac_f64_e32 v[102:103], v[102:103], v[106:107]
	v_fma_f64 v[106:107], -v[100:101], v[102:103], 1.0
	v_fmac_f64_e32 v[102:103], v[102:103], v[106:107]
	v_mul_f64 v[106:107], v[104:105], v[102:103]
	v_fma_f64 v[100:101], -v[100:101], v[106:107], v[104:105]
	v_div_fmas_f64 v[100:101], v[100:101], v[102:103], v[106:107]
	v_div_fixup_f64 v[100:101], v[100:101], v[86:87], v[84:85]
	v_fmac_f64_e32 v[86:87], v[84:85], v[100:101]
	v_div_scale_f64 v[84:85], s[18:19], v[86:87], v[86:87], 1.0
	v_rcp_f64_e32 v[102:103], v[84:85]
	s_nop 0
	v_fma_f64 v[104:105], -v[84:85], v[102:103], 1.0
	v_fmac_f64_e32 v[102:103], v[102:103], v[104:105]
	v_fma_f64 v[104:105], -v[84:85], v[102:103], 1.0
	v_fmac_f64_e32 v[102:103], v[102:103], v[104:105]
	v_div_scale_f64 v[104:105], vcc, 1.0, v[86:87], 1.0
	v_mul_f64 v[106:107], v[104:105], v[102:103]
	v_fma_f64 v[84:85], -v[84:85], v[106:107], v[104:105]
	s_nop 1
	v_div_fmas_f64 v[84:85], v[84:85], v[102:103], v[106:107]
	v_div_fixup_f64 v[86:87], v[84:85], v[86:87], 1.0
	v_mul_f64 v[84:85], v[100:101], v[86:87]
	v_xor_b32_e32 v87, 0x80000000, v87
.LBB40_238:
	s_andn2_saveexec_b64 s[16:17], s[16:17]
	s_cbranch_execz .LBB40_240
; %bb.239:
	v_div_scale_f64 v[100:101], s[18:19], v[84:85], v[84:85], v[86:87]
	v_rcp_f64_e32 v[102:103], v[100:101]
	v_div_scale_f64 v[104:105], vcc, v[86:87], v[84:85], v[86:87]
	v_fma_f64 v[106:107], -v[100:101], v[102:103], 1.0
	v_fmac_f64_e32 v[102:103], v[102:103], v[106:107]
	v_fma_f64 v[106:107], -v[100:101], v[102:103], 1.0
	v_fmac_f64_e32 v[102:103], v[102:103], v[106:107]
	v_mul_f64 v[106:107], v[104:105], v[102:103]
	v_fma_f64 v[100:101], -v[100:101], v[106:107], v[104:105]
	v_div_fmas_f64 v[100:101], v[100:101], v[102:103], v[106:107]
	v_div_fixup_f64 v[100:101], v[100:101], v[84:85], v[86:87]
	v_fmac_f64_e32 v[84:85], v[86:87], v[100:101]
	v_div_scale_f64 v[86:87], s[18:19], v[84:85], v[84:85], 1.0
	v_rcp_f64_e32 v[102:103], v[86:87]
	s_nop 0
	v_fma_f64 v[104:105], -v[86:87], v[102:103], 1.0
	v_fmac_f64_e32 v[102:103], v[102:103], v[104:105]
	v_fma_f64 v[104:105], -v[86:87], v[102:103], 1.0
	v_fmac_f64_e32 v[102:103], v[102:103], v[104:105]
	v_div_scale_f64 v[104:105], vcc, 1.0, v[84:85], 1.0
	v_mul_f64 v[106:107], v[104:105], v[102:103]
	v_fma_f64 v[86:87], -v[86:87], v[106:107], v[104:105]
	s_nop 1
	v_div_fmas_f64 v[86:87], v[86:87], v[102:103], v[106:107]
	v_div_fixup_f64 v[84:85], v[86:87], v[84:85], 1.0
	v_mul_f64 v[86:87], v[100:101], -v[84:85]
.LBB40_240:
	s_or_b64 exec, exec, s[16:17]
.LBB40_241:
	s_or_b64 exec, exec, s[0:1]
	v_cmp_ne_u32_e32 vcc, v97, v94
	s_and_saveexec_b64 s[0:1], vcc
	s_xor_b64 s[0:1], exec, s[0:1]
	s_cbranch_execz .LBB40_247
; %bb.242:
	v_cmp_eq_u32_e32 vcc, 11, v97
	s_and_saveexec_b64 s[16:17], vcc
	s_cbranch_execz .LBB40_246
; %bb.243:
	v_cmp_ne_u32_e32 vcc, 11, v94
	s_xor_b64 s[18:19], s[14:15], -1
	s_and_b64 s[22:23], s[18:19], vcc
	s_and_saveexec_b64 s[18:19], s[22:23]
	s_cbranch_execz .LBB40_245
; %bb.244:
	v_ashrrev_i32_e32 v95, 31, v94
	v_lshl_add_u64 v[100:101], v[94:95], 2, v[92:93]
	global_load_dword v95, v[100:101], off
	global_load_dword v97, v[92:93], off offset:44
	s_waitcnt vmcnt(1)
	global_store_dword v[92:93], v95, off offset:44
	s_waitcnt vmcnt(1)
	global_store_dword v[100:101], v97, off
.LBB40_245:
	s_or_b64 exec, exec, s[18:19]
	v_mov_b32_e32 v97, v94
	v_mov_b32_e32 v98, v94
.LBB40_246:
	s_or_b64 exec, exec, s[16:17]
.LBB40_247:
	s_andn2_saveexec_b64 s[0:1], s[0:1]
	s_cbranch_execz .LBB40_249
; %bb.248:
	v_mov_b32_e32 v97, 11
	s_waitcnt vmcnt(8)
	ds_write2_b64 v96, v[36:37], v[38:39] offset0:24 offset1:25
	s_waitcnt vmcnt(7)
	ds_write2_b64 v96, v[32:33], v[34:35] offset0:26 offset1:27
	;; [unrolled: 2-line block ×9, first 2 shown]
.LBB40_249:
	s_or_b64 exec, exec, s[0:1]
	v_cmp_lt_i32_e32 vcc, 11, v97
	s_waitcnt lgkmcnt(0)
	s_barrier
	s_and_saveexec_b64 s[0:1], vcc
	s_cbranch_execz .LBB40_251
; %bb.250:
	ds_read2_b64 v[100:103], v96 offset0:24 offset1:25
	v_mul_f64 v[94:95], v[84:85], v[50:51]
	v_fmac_f64_e32 v[94:95], v[86:87], v[48:49]
	v_mul_f64 v[50:51], v[86:87], v[50:51]
	v_fma_f64 v[48:49], v[84:85], v[48:49], -v[50:51]
	ds_read2_b64 v[84:87], v96 offset0:26 offset1:27
	s_waitcnt lgkmcnt(1)
	v_mul_f64 v[50:51], v[102:103], v[94:95]
	v_fma_f64 v[50:51], v[100:101], v[48:49], -v[50:51]
	v_mul_f64 v[100:101], v[100:101], v[94:95]
	v_fmac_f64_e32 v[100:101], v[102:103], v[48:49]
	s_waitcnt vmcnt(8)
	v_add_f64 v[38:39], v[38:39], -v[100:101]
	ds_read2_b64 v[100:103], v96 offset0:28 offset1:29
	v_add_f64 v[36:37], v[36:37], -v[50:51]
	s_waitcnt lgkmcnt(1)
	v_mul_f64 v[50:51], v[86:87], v[94:95]
	v_fma_f64 v[50:51], v[84:85], v[48:49], -v[50:51]
	v_mul_f64 v[84:85], v[84:85], v[94:95]
	v_fmac_f64_e32 v[84:85], v[86:87], v[48:49]
	s_waitcnt vmcnt(7)
	v_add_f64 v[32:33], v[32:33], -v[50:51]
	v_add_f64 v[34:35], v[34:35], -v[84:85]
	ds_read2_b64 v[84:87], v96 offset0:30 offset1:31
	s_waitcnt lgkmcnt(1)
	v_mul_f64 v[50:51], v[102:103], v[94:95]
	v_fma_f64 v[50:51], v[100:101], v[48:49], -v[50:51]
	v_mul_f64 v[100:101], v[100:101], v[94:95]
	v_fmac_f64_e32 v[100:101], v[102:103], v[48:49]
	s_waitcnt vmcnt(6)
	v_add_f64 v[26:27], v[26:27], -v[100:101]
	ds_read2_b64 v[100:103], v96 offset0:32 offset1:33
	v_add_f64 v[24:25], v[24:25], -v[50:51]
	s_waitcnt lgkmcnt(1)
	v_mul_f64 v[50:51], v[86:87], v[94:95]
	v_fma_f64 v[50:51], v[84:85], v[48:49], -v[50:51]
	v_mul_f64 v[84:85], v[84:85], v[94:95]
	v_fmac_f64_e32 v[84:85], v[86:87], v[48:49]
	s_waitcnt vmcnt(5)
	v_add_f64 v[16:17], v[16:17], -v[50:51]
	v_add_f64 v[18:19], v[18:19], -v[84:85]
	;; [unrolled: 18-line block ×4, first 2 shown]
	s_waitcnt lgkmcnt(0)
	v_mul_f64 v[50:51], v[102:103], v[94:95]
	v_mul_f64 v[84:85], v[100:101], v[94:95]
	v_fma_f64 v[50:51], v[100:101], v[48:49], -v[50:51]
	v_fmac_f64_e32 v[84:85], v[102:103], v[48:49]
	s_waitcnt vmcnt(0)
	v_add_f64 v[80:81], v[80:81], -v[50:51]
	v_add_f64 v[82:83], v[82:83], -v[84:85]
	v_mov_b64_e32 v[50:51], v[94:95]
.LBB40_251:
	s_or_b64 exec, exec, s[0:1]
	v_lshl_add_u32 v84, v97, 4, v96
	s_barrier
	s_waitcnt vmcnt(8)
	ds_write2_b64 v84, v[36:37], v[38:39] offset1:1
	s_waitcnt lgkmcnt(0)
	s_barrier
	ds_read2_b64 v[84:87], v96 offset0:24 offset1:25
	s_cmp_lt_i32 s20, 14
	v_mov_b32_e32 v94, 12
	s_cbranch_scc1 .LBB40_254
; %bb.252:
	v_add_u32_e32 v95, 0xd0, v96
	s_mov_b32 s16, 13
	v_mov_b32_e32 v94, 12
.LBB40_253:                             ; =>This Inner Loop Header: Depth=1
	ds_read2_b64 v[100:103], v95 offset1:1
	s_waitcnt lgkmcnt(1)
	v_xor_b32_e32 v105, 0x80000000, v85
	v_xor_b32_e32 v107, 0x80000000, v87
	v_cmp_gt_f64_e32 vcc, 0, v[86:87]
	v_cmp_gt_f64_e64 s[0:1], 0, v[84:85]
	v_mov_b32_e32 v104, v84
	v_mov_b32_e32 v106, v86
	v_cndmask_b32_e64 v105, v85, v105, s[0:1]
	v_cndmask_b32_e32 v107, v87, v107, vcc
	v_add_f64 v[104:105], v[104:105], v[106:107]
	s_waitcnt lgkmcnt(0)
	v_xor_b32_e32 v107, 0x80000000, v101
	v_xor_b32_e32 v109, 0x80000000, v103
	v_cmp_gt_f64_e32 vcc, 0, v[102:103]
	v_cmp_gt_f64_e64 s[0:1], 0, v[100:101]
	v_mov_b32_e32 v106, v100
	v_mov_b32_e32 v108, v102
	v_cndmask_b32_e64 v107, v101, v107, s[0:1]
	v_cndmask_b32_e32 v109, v103, v109, vcc
	v_add_f64 v[106:107], v[106:107], v[108:109]
	v_mov_b32_e32 v110, s16
	s_add_i32 s16, s16, 1
	v_cmp_lt_f64_e32 vcc, v[104:105], v[106:107]
	v_add_u32_e32 v95, 16, v95
	s_cmp_lg_u32 s20, s16
	v_cndmask_b32_e32 v85, v85, v101, vcc
	v_cndmask_b32_e32 v84, v84, v100, vcc
	;; [unrolled: 1-line block ×5, first 2 shown]
	s_cbranch_scc1 .LBB40_253
.LBB40_254:
	s_waitcnt lgkmcnt(0)
	v_cmp_eq_f64_e32 vcc, 0, v[84:85]
	v_cmp_eq_f64_e64 s[0:1], 0, v[86:87]
	s_and_b64 s[0:1], vcc, s[0:1]
	s_and_saveexec_b64 s[16:17], s[0:1]
	s_xor_b64 s[0:1], exec, s[16:17]
; %bb.255:
	v_cmp_ne_u32_e32 vcc, 0, v99
	s_nop 1
	v_cndmask_b32_e32 v99, 13, v99, vcc
; %bb.256:
	s_andn2_saveexec_b64 s[0:1], s[0:1]
	s_cbranch_execz .LBB40_262
; %bb.257:
	v_cmp_ngt_f64_e64 s[16:17], |v[84:85]|, |v[86:87]|
	s_and_saveexec_b64 s[18:19], s[16:17]
	s_xor_b64 s[16:17], exec, s[18:19]
	s_cbranch_execz .LBB40_259
; %bb.258:
	v_div_scale_f64 v[100:101], s[18:19], v[86:87], v[86:87], v[84:85]
	v_rcp_f64_e32 v[102:103], v[100:101]
	v_div_scale_f64 v[104:105], vcc, v[84:85], v[86:87], v[84:85]
	v_fma_f64 v[106:107], -v[100:101], v[102:103], 1.0
	v_fmac_f64_e32 v[102:103], v[102:103], v[106:107]
	v_fma_f64 v[106:107], -v[100:101], v[102:103], 1.0
	v_fmac_f64_e32 v[102:103], v[102:103], v[106:107]
	v_mul_f64 v[106:107], v[104:105], v[102:103]
	v_fma_f64 v[100:101], -v[100:101], v[106:107], v[104:105]
	v_div_fmas_f64 v[100:101], v[100:101], v[102:103], v[106:107]
	v_div_fixup_f64 v[100:101], v[100:101], v[86:87], v[84:85]
	v_fmac_f64_e32 v[86:87], v[84:85], v[100:101]
	v_div_scale_f64 v[84:85], s[18:19], v[86:87], v[86:87], 1.0
	v_rcp_f64_e32 v[102:103], v[84:85]
	s_nop 0
	v_fma_f64 v[104:105], -v[84:85], v[102:103], 1.0
	v_fmac_f64_e32 v[102:103], v[102:103], v[104:105]
	v_fma_f64 v[104:105], -v[84:85], v[102:103], 1.0
	v_fmac_f64_e32 v[102:103], v[102:103], v[104:105]
	v_div_scale_f64 v[104:105], vcc, 1.0, v[86:87], 1.0
	v_mul_f64 v[106:107], v[104:105], v[102:103]
	v_fma_f64 v[84:85], -v[84:85], v[106:107], v[104:105]
	s_nop 1
	v_div_fmas_f64 v[84:85], v[84:85], v[102:103], v[106:107]
	v_div_fixup_f64 v[86:87], v[84:85], v[86:87], 1.0
	v_mul_f64 v[84:85], v[100:101], v[86:87]
	v_xor_b32_e32 v87, 0x80000000, v87
.LBB40_259:
	s_andn2_saveexec_b64 s[16:17], s[16:17]
	s_cbranch_execz .LBB40_261
; %bb.260:
	v_div_scale_f64 v[100:101], s[18:19], v[84:85], v[84:85], v[86:87]
	v_rcp_f64_e32 v[102:103], v[100:101]
	v_div_scale_f64 v[104:105], vcc, v[86:87], v[84:85], v[86:87]
	v_fma_f64 v[106:107], -v[100:101], v[102:103], 1.0
	v_fmac_f64_e32 v[102:103], v[102:103], v[106:107]
	v_fma_f64 v[106:107], -v[100:101], v[102:103], 1.0
	v_fmac_f64_e32 v[102:103], v[102:103], v[106:107]
	v_mul_f64 v[106:107], v[104:105], v[102:103]
	v_fma_f64 v[100:101], -v[100:101], v[106:107], v[104:105]
	v_div_fmas_f64 v[100:101], v[100:101], v[102:103], v[106:107]
	v_div_fixup_f64 v[100:101], v[100:101], v[84:85], v[86:87]
	v_fmac_f64_e32 v[84:85], v[86:87], v[100:101]
	v_div_scale_f64 v[86:87], s[18:19], v[84:85], v[84:85], 1.0
	v_rcp_f64_e32 v[102:103], v[86:87]
	s_nop 0
	v_fma_f64 v[104:105], -v[86:87], v[102:103], 1.0
	v_fmac_f64_e32 v[102:103], v[102:103], v[104:105]
	v_fma_f64 v[104:105], -v[86:87], v[102:103], 1.0
	v_fmac_f64_e32 v[102:103], v[102:103], v[104:105]
	v_div_scale_f64 v[104:105], vcc, 1.0, v[84:85], 1.0
	v_mul_f64 v[106:107], v[104:105], v[102:103]
	v_fma_f64 v[86:87], -v[86:87], v[106:107], v[104:105]
	s_nop 1
	v_div_fmas_f64 v[86:87], v[86:87], v[102:103], v[106:107]
	v_div_fixup_f64 v[84:85], v[86:87], v[84:85], 1.0
	v_mul_f64 v[86:87], v[100:101], -v[84:85]
.LBB40_261:
	s_or_b64 exec, exec, s[16:17]
.LBB40_262:
	s_or_b64 exec, exec, s[0:1]
	v_cmp_ne_u32_e32 vcc, v97, v94
	s_and_saveexec_b64 s[0:1], vcc
	s_xor_b64 s[0:1], exec, s[0:1]
	s_cbranch_execz .LBB40_268
; %bb.263:
	v_cmp_eq_u32_e32 vcc, 12, v97
	s_and_saveexec_b64 s[16:17], vcc
	s_cbranch_execz .LBB40_267
; %bb.264:
	v_cmp_ne_u32_e32 vcc, 12, v94
	s_xor_b64 s[18:19], s[14:15], -1
	s_and_b64 s[22:23], s[18:19], vcc
	s_and_saveexec_b64 s[18:19], s[22:23]
	s_cbranch_execz .LBB40_266
; %bb.265:
	v_ashrrev_i32_e32 v95, 31, v94
	v_lshl_add_u64 v[100:101], v[94:95], 2, v[92:93]
	global_load_dword v95, v[100:101], off
	global_load_dword v97, v[92:93], off offset:48
	s_waitcnt vmcnt(1)
	global_store_dword v[92:93], v95, off offset:48
	s_waitcnt vmcnt(1)
	global_store_dword v[100:101], v97, off
.LBB40_266:
	s_or_b64 exec, exec, s[18:19]
	v_mov_b32_e32 v97, v94
	v_mov_b32_e32 v98, v94
.LBB40_267:
	s_or_b64 exec, exec, s[16:17]
.LBB40_268:
	s_andn2_saveexec_b64 s[0:1], s[0:1]
	s_cbranch_execz .LBB40_270
; %bb.269:
	v_mov_b32_e32 v97, 12
	s_waitcnt vmcnt(7)
	ds_write2_b64 v96, v[32:33], v[34:35] offset0:26 offset1:27
	s_waitcnt vmcnt(6)
	ds_write2_b64 v96, v[24:25], v[26:27] offset0:28 offset1:29
	;; [unrolled: 2-line block ×8, first 2 shown]
.LBB40_270:
	s_or_b64 exec, exec, s[0:1]
	v_cmp_lt_i32_e32 vcc, 12, v97
	s_waitcnt lgkmcnt(0)
	s_barrier
	s_and_saveexec_b64 s[0:1], vcc
	s_cbranch_execz .LBB40_272
; %bb.271:
	ds_read2_b64 v[100:103], v96 offset0:26 offset1:27
	v_mul_f64 v[94:95], v[84:85], v[38:39]
	v_mul_f64 v[38:39], v[86:87], v[38:39]
	v_fmac_f64_e32 v[94:95], v[86:87], v[36:37]
	v_fma_f64 v[36:37], v[84:85], v[36:37], -v[38:39]
	ds_read2_b64 v[84:87], v96 offset0:28 offset1:29
	s_waitcnt lgkmcnt(1)
	v_mul_f64 v[38:39], v[102:103], v[94:95]
	v_fma_f64 v[38:39], v[100:101], v[36:37], -v[38:39]
	v_mul_f64 v[100:101], v[100:101], v[94:95]
	v_fmac_f64_e32 v[100:101], v[102:103], v[36:37]
	s_waitcnt vmcnt(7)
	v_add_f64 v[32:33], v[32:33], -v[38:39]
	s_waitcnt lgkmcnt(0)
	v_mul_f64 v[38:39], v[86:87], v[94:95]
	v_add_f64 v[34:35], v[34:35], -v[100:101]
	v_fma_f64 v[38:39], v[84:85], v[36:37], -v[38:39]
	v_mul_f64 v[84:85], v[84:85], v[94:95]
	ds_read2_b64 v[100:103], v96 offset0:30 offset1:31
	v_fmac_f64_e32 v[84:85], v[86:87], v[36:37]
	s_waitcnt vmcnt(6)
	v_add_f64 v[26:27], v[26:27], -v[84:85]
	ds_read2_b64 v[84:87], v96 offset0:32 offset1:33
	v_add_f64 v[24:25], v[24:25], -v[38:39]
	s_waitcnt lgkmcnt(1)
	v_mul_f64 v[38:39], v[102:103], v[94:95]
	v_fma_f64 v[38:39], v[100:101], v[36:37], -v[38:39]
	v_mul_f64 v[100:101], v[100:101], v[94:95]
	v_fmac_f64_e32 v[100:101], v[102:103], v[36:37]
	s_waitcnt vmcnt(5)
	v_add_f64 v[16:17], v[16:17], -v[38:39]
	s_waitcnt lgkmcnt(0)
	v_mul_f64 v[38:39], v[86:87], v[94:95]
	v_add_f64 v[18:19], v[18:19], -v[100:101]
	v_fma_f64 v[38:39], v[84:85], v[36:37], -v[38:39]
	v_mul_f64 v[84:85], v[84:85], v[94:95]
	ds_read2_b64 v[100:103], v96 offset0:34 offset1:35
	v_fmac_f64_e32 v[84:85], v[86:87], v[36:37]
	s_waitcnt vmcnt(4)
	v_add_f64 v[14:15], v[14:15], -v[84:85]
	ds_read2_b64 v[84:87], v96 offset0:36 offset1:37
	v_add_f64 v[12:13], v[12:13], -v[38:39]
	;; [unrolled: 18-line block ×3, first 2 shown]
	s_waitcnt lgkmcnt(1)
	v_mul_f64 v[38:39], v[102:103], v[94:95]
	v_fma_f64 v[38:39], v[100:101], v[36:37], -v[38:39]
	s_waitcnt vmcnt(1)
	v_add_f64 v[0:1], v[0:1], -v[38:39]
	s_waitcnt lgkmcnt(0)
	v_mul_f64 v[38:39], v[86:87], v[94:95]
	v_mul_f64 v[100:101], v[100:101], v[94:95]
	v_fma_f64 v[38:39], v[84:85], v[36:37], -v[38:39]
	v_mul_f64 v[84:85], v[84:85], v[94:95]
	v_fmac_f64_e32 v[100:101], v[102:103], v[36:37]
	v_fmac_f64_e32 v[84:85], v[86:87], v[36:37]
	v_add_f64 v[2:3], v[2:3], -v[100:101]
	s_waitcnt vmcnt(0)
	v_add_f64 v[80:81], v[80:81], -v[38:39]
	v_add_f64 v[82:83], v[82:83], -v[84:85]
	v_mov_b64_e32 v[38:39], v[94:95]
.LBB40_272:
	s_or_b64 exec, exec, s[0:1]
	v_lshl_add_u32 v84, v97, 4, v96
	s_barrier
	s_waitcnt vmcnt(7)
	ds_write2_b64 v84, v[32:33], v[34:35] offset1:1
	s_waitcnt lgkmcnt(0)
	s_barrier
	ds_read2_b64 v[84:87], v96 offset0:26 offset1:27
	s_cmp_lt_i32 s20, 15
	v_mov_b32_e32 v94, 13
	s_cbranch_scc1 .LBB40_275
; %bb.273:
	v_add_u32_e32 v95, 0xe0, v96
	s_mov_b32 s16, 14
	v_mov_b32_e32 v94, 13
.LBB40_274:                             ; =>This Inner Loop Header: Depth=1
	ds_read2_b64 v[100:103], v95 offset1:1
	s_waitcnt lgkmcnt(1)
	v_xor_b32_e32 v105, 0x80000000, v85
	v_xor_b32_e32 v107, 0x80000000, v87
	v_cmp_gt_f64_e32 vcc, 0, v[86:87]
	v_cmp_gt_f64_e64 s[0:1], 0, v[84:85]
	v_mov_b32_e32 v104, v84
	v_mov_b32_e32 v106, v86
	v_cndmask_b32_e64 v105, v85, v105, s[0:1]
	v_cndmask_b32_e32 v107, v87, v107, vcc
	v_add_f64 v[104:105], v[104:105], v[106:107]
	s_waitcnt lgkmcnt(0)
	v_xor_b32_e32 v107, 0x80000000, v101
	v_xor_b32_e32 v109, 0x80000000, v103
	v_cmp_gt_f64_e32 vcc, 0, v[102:103]
	v_cmp_gt_f64_e64 s[0:1], 0, v[100:101]
	v_mov_b32_e32 v106, v100
	v_mov_b32_e32 v108, v102
	v_cndmask_b32_e64 v107, v101, v107, s[0:1]
	v_cndmask_b32_e32 v109, v103, v109, vcc
	v_add_f64 v[106:107], v[106:107], v[108:109]
	v_mov_b32_e32 v110, s16
	s_add_i32 s16, s16, 1
	v_cmp_lt_f64_e32 vcc, v[104:105], v[106:107]
	v_add_u32_e32 v95, 16, v95
	s_cmp_lg_u32 s20, s16
	v_cndmask_b32_e32 v85, v85, v101, vcc
	v_cndmask_b32_e32 v84, v84, v100, vcc
	;; [unrolled: 1-line block ×5, first 2 shown]
	s_cbranch_scc1 .LBB40_274
.LBB40_275:
	s_waitcnt lgkmcnt(0)
	v_cmp_eq_f64_e32 vcc, 0, v[84:85]
	v_cmp_eq_f64_e64 s[0:1], 0, v[86:87]
	s_and_b64 s[0:1], vcc, s[0:1]
	s_and_saveexec_b64 s[16:17], s[0:1]
	s_xor_b64 s[0:1], exec, s[16:17]
; %bb.276:
	v_cmp_ne_u32_e32 vcc, 0, v99
	s_nop 1
	v_cndmask_b32_e32 v99, 14, v99, vcc
; %bb.277:
	s_andn2_saveexec_b64 s[0:1], s[0:1]
	s_cbranch_execz .LBB40_283
; %bb.278:
	v_cmp_ngt_f64_e64 s[16:17], |v[84:85]|, |v[86:87]|
	s_and_saveexec_b64 s[18:19], s[16:17]
	s_xor_b64 s[16:17], exec, s[18:19]
	s_cbranch_execz .LBB40_280
; %bb.279:
	v_div_scale_f64 v[100:101], s[18:19], v[86:87], v[86:87], v[84:85]
	v_rcp_f64_e32 v[102:103], v[100:101]
	v_div_scale_f64 v[104:105], vcc, v[84:85], v[86:87], v[84:85]
	v_fma_f64 v[106:107], -v[100:101], v[102:103], 1.0
	v_fmac_f64_e32 v[102:103], v[102:103], v[106:107]
	v_fma_f64 v[106:107], -v[100:101], v[102:103], 1.0
	v_fmac_f64_e32 v[102:103], v[102:103], v[106:107]
	v_mul_f64 v[106:107], v[104:105], v[102:103]
	v_fma_f64 v[100:101], -v[100:101], v[106:107], v[104:105]
	v_div_fmas_f64 v[100:101], v[100:101], v[102:103], v[106:107]
	v_div_fixup_f64 v[100:101], v[100:101], v[86:87], v[84:85]
	v_fmac_f64_e32 v[86:87], v[84:85], v[100:101]
	v_div_scale_f64 v[84:85], s[18:19], v[86:87], v[86:87], 1.0
	v_rcp_f64_e32 v[102:103], v[84:85]
	s_nop 0
	v_fma_f64 v[104:105], -v[84:85], v[102:103], 1.0
	v_fmac_f64_e32 v[102:103], v[102:103], v[104:105]
	v_fma_f64 v[104:105], -v[84:85], v[102:103], 1.0
	v_fmac_f64_e32 v[102:103], v[102:103], v[104:105]
	v_div_scale_f64 v[104:105], vcc, 1.0, v[86:87], 1.0
	v_mul_f64 v[106:107], v[104:105], v[102:103]
	v_fma_f64 v[84:85], -v[84:85], v[106:107], v[104:105]
	s_nop 1
	v_div_fmas_f64 v[84:85], v[84:85], v[102:103], v[106:107]
	v_div_fixup_f64 v[86:87], v[84:85], v[86:87], 1.0
	v_mul_f64 v[84:85], v[100:101], v[86:87]
	v_xor_b32_e32 v87, 0x80000000, v87
.LBB40_280:
	s_andn2_saveexec_b64 s[16:17], s[16:17]
	s_cbranch_execz .LBB40_282
; %bb.281:
	v_div_scale_f64 v[100:101], s[18:19], v[84:85], v[84:85], v[86:87]
	v_rcp_f64_e32 v[102:103], v[100:101]
	v_div_scale_f64 v[104:105], vcc, v[86:87], v[84:85], v[86:87]
	v_fma_f64 v[106:107], -v[100:101], v[102:103], 1.0
	v_fmac_f64_e32 v[102:103], v[102:103], v[106:107]
	v_fma_f64 v[106:107], -v[100:101], v[102:103], 1.0
	v_fmac_f64_e32 v[102:103], v[102:103], v[106:107]
	v_mul_f64 v[106:107], v[104:105], v[102:103]
	v_fma_f64 v[100:101], -v[100:101], v[106:107], v[104:105]
	v_div_fmas_f64 v[100:101], v[100:101], v[102:103], v[106:107]
	v_div_fixup_f64 v[100:101], v[100:101], v[84:85], v[86:87]
	v_fmac_f64_e32 v[84:85], v[86:87], v[100:101]
	v_div_scale_f64 v[86:87], s[18:19], v[84:85], v[84:85], 1.0
	v_rcp_f64_e32 v[102:103], v[86:87]
	s_nop 0
	v_fma_f64 v[104:105], -v[86:87], v[102:103], 1.0
	v_fmac_f64_e32 v[102:103], v[102:103], v[104:105]
	v_fma_f64 v[104:105], -v[86:87], v[102:103], 1.0
	v_fmac_f64_e32 v[102:103], v[102:103], v[104:105]
	v_div_scale_f64 v[104:105], vcc, 1.0, v[84:85], 1.0
	v_mul_f64 v[106:107], v[104:105], v[102:103]
	v_fma_f64 v[86:87], -v[86:87], v[106:107], v[104:105]
	s_nop 1
	v_div_fmas_f64 v[86:87], v[86:87], v[102:103], v[106:107]
	v_div_fixup_f64 v[84:85], v[86:87], v[84:85], 1.0
	v_mul_f64 v[86:87], v[100:101], -v[84:85]
.LBB40_282:
	s_or_b64 exec, exec, s[16:17]
.LBB40_283:
	s_or_b64 exec, exec, s[0:1]
	v_cmp_ne_u32_e32 vcc, v97, v94
	s_and_saveexec_b64 s[0:1], vcc
	s_xor_b64 s[0:1], exec, s[0:1]
	s_cbranch_execz .LBB40_289
; %bb.284:
	v_cmp_eq_u32_e32 vcc, 13, v97
	s_and_saveexec_b64 s[16:17], vcc
	s_cbranch_execz .LBB40_288
; %bb.285:
	v_cmp_ne_u32_e32 vcc, 13, v94
	s_xor_b64 s[18:19], s[14:15], -1
	s_and_b64 s[22:23], s[18:19], vcc
	s_and_saveexec_b64 s[18:19], s[22:23]
	s_cbranch_execz .LBB40_287
; %bb.286:
	v_ashrrev_i32_e32 v95, 31, v94
	v_lshl_add_u64 v[100:101], v[94:95], 2, v[92:93]
	global_load_dword v95, v[100:101], off
	global_load_dword v97, v[92:93], off offset:52
	s_waitcnt vmcnt(1)
	global_store_dword v[92:93], v95, off offset:52
	s_waitcnt vmcnt(1)
	global_store_dword v[100:101], v97, off
.LBB40_287:
	s_or_b64 exec, exec, s[18:19]
	v_mov_b32_e32 v97, v94
	v_mov_b32_e32 v98, v94
.LBB40_288:
	s_or_b64 exec, exec, s[16:17]
.LBB40_289:
	s_andn2_saveexec_b64 s[0:1], s[0:1]
	s_cbranch_execz .LBB40_291
; %bb.290:
	v_mov_b32_e32 v97, 13
	s_waitcnt vmcnt(6)
	ds_write2_b64 v96, v[24:25], v[26:27] offset0:28 offset1:29
	s_waitcnt vmcnt(5)
	ds_write2_b64 v96, v[16:17], v[18:19] offset0:30 offset1:31
	;; [unrolled: 2-line block ×7, first 2 shown]
.LBB40_291:
	s_or_b64 exec, exec, s[0:1]
	v_cmp_lt_i32_e32 vcc, 13, v97
	s_waitcnt lgkmcnt(0)
	s_barrier
	s_and_saveexec_b64 s[0:1], vcc
	s_cbranch_execz .LBB40_293
; %bb.292:
	ds_read2_b64 v[100:103], v96 offset0:28 offset1:29
	v_mul_f64 v[94:95], v[84:85], v[34:35]
	v_fmac_f64_e32 v[94:95], v[86:87], v[32:33]
	v_mul_f64 v[34:35], v[86:87], v[34:35]
	v_fma_f64 v[32:33], v[84:85], v[32:33], -v[34:35]
	ds_read2_b64 v[84:87], v96 offset0:30 offset1:31
	s_waitcnt lgkmcnt(1)
	v_mul_f64 v[34:35], v[102:103], v[94:95]
	v_fma_f64 v[34:35], v[100:101], v[32:33], -v[34:35]
	v_mul_f64 v[100:101], v[100:101], v[94:95]
	v_fmac_f64_e32 v[100:101], v[102:103], v[32:33]
	s_waitcnt vmcnt(6)
	v_add_f64 v[26:27], v[26:27], -v[100:101]
	ds_read2_b64 v[100:103], v96 offset0:32 offset1:33
	v_add_f64 v[24:25], v[24:25], -v[34:35]
	s_waitcnt lgkmcnt(1)
	v_mul_f64 v[34:35], v[86:87], v[94:95]
	v_fma_f64 v[34:35], v[84:85], v[32:33], -v[34:35]
	v_mul_f64 v[84:85], v[84:85], v[94:95]
	v_fmac_f64_e32 v[84:85], v[86:87], v[32:33]
	s_waitcnt vmcnt(5)
	v_add_f64 v[16:17], v[16:17], -v[34:35]
	v_add_f64 v[18:19], v[18:19], -v[84:85]
	ds_read2_b64 v[84:87], v96 offset0:34 offset1:35
	s_waitcnt lgkmcnt(1)
	v_mul_f64 v[34:35], v[102:103], v[94:95]
	v_fma_f64 v[34:35], v[100:101], v[32:33], -v[34:35]
	v_mul_f64 v[100:101], v[100:101], v[94:95]
	v_fmac_f64_e32 v[100:101], v[102:103], v[32:33]
	s_waitcnt vmcnt(4)
	v_add_f64 v[14:15], v[14:15], -v[100:101]
	ds_read2_b64 v[100:103], v96 offset0:36 offset1:37
	v_add_f64 v[12:13], v[12:13], -v[34:35]
	s_waitcnt lgkmcnt(1)
	v_mul_f64 v[34:35], v[86:87], v[94:95]
	v_fma_f64 v[34:35], v[84:85], v[32:33], -v[34:35]
	v_mul_f64 v[84:85], v[84:85], v[94:95]
	v_fmac_f64_e32 v[84:85], v[86:87], v[32:33]
	s_waitcnt vmcnt(3)
	v_add_f64 v[8:9], v[8:9], -v[34:35]
	v_add_f64 v[10:11], v[10:11], -v[84:85]
	;; [unrolled: 18-line block ×3, first 2 shown]
	s_waitcnt lgkmcnt(0)
	v_mul_f64 v[34:35], v[102:103], v[94:95]
	v_mul_f64 v[84:85], v[100:101], v[94:95]
	v_fma_f64 v[34:35], v[100:101], v[32:33], -v[34:35]
	v_fmac_f64_e32 v[84:85], v[102:103], v[32:33]
	s_waitcnt vmcnt(0)
	v_add_f64 v[80:81], v[80:81], -v[34:35]
	v_add_f64 v[82:83], v[82:83], -v[84:85]
	v_mov_b64_e32 v[34:35], v[94:95]
.LBB40_293:
	s_or_b64 exec, exec, s[0:1]
	v_lshl_add_u32 v84, v97, 4, v96
	s_barrier
	s_waitcnt vmcnt(6)
	ds_write2_b64 v84, v[24:25], v[26:27] offset1:1
	s_waitcnt lgkmcnt(0)
	s_barrier
	ds_read2_b64 v[84:87], v96 offset0:28 offset1:29
	s_cmp_lt_i32 s20, 16
	v_mov_b32_e32 v94, 14
	s_cbranch_scc1 .LBB40_296
; %bb.294:
	v_add_u32_e32 v95, 0xf0, v96
	s_mov_b32 s16, 15
	v_mov_b32_e32 v94, 14
.LBB40_295:                             ; =>This Inner Loop Header: Depth=1
	ds_read2_b64 v[100:103], v95 offset1:1
	s_waitcnt lgkmcnt(1)
	v_xor_b32_e32 v105, 0x80000000, v85
	v_xor_b32_e32 v107, 0x80000000, v87
	v_cmp_gt_f64_e32 vcc, 0, v[86:87]
	v_cmp_gt_f64_e64 s[0:1], 0, v[84:85]
	v_mov_b32_e32 v104, v84
	v_mov_b32_e32 v106, v86
	v_cndmask_b32_e64 v105, v85, v105, s[0:1]
	v_cndmask_b32_e32 v107, v87, v107, vcc
	v_add_f64 v[104:105], v[104:105], v[106:107]
	s_waitcnt lgkmcnt(0)
	v_xor_b32_e32 v107, 0x80000000, v101
	v_xor_b32_e32 v109, 0x80000000, v103
	v_cmp_gt_f64_e32 vcc, 0, v[102:103]
	v_cmp_gt_f64_e64 s[0:1], 0, v[100:101]
	v_mov_b32_e32 v106, v100
	v_mov_b32_e32 v108, v102
	v_cndmask_b32_e64 v107, v101, v107, s[0:1]
	v_cndmask_b32_e32 v109, v103, v109, vcc
	v_add_f64 v[106:107], v[106:107], v[108:109]
	v_mov_b32_e32 v110, s16
	s_add_i32 s16, s16, 1
	v_cmp_lt_f64_e32 vcc, v[104:105], v[106:107]
	v_add_u32_e32 v95, 16, v95
	s_cmp_lg_u32 s20, s16
	v_cndmask_b32_e32 v85, v85, v101, vcc
	v_cndmask_b32_e32 v84, v84, v100, vcc
	;; [unrolled: 1-line block ×5, first 2 shown]
	s_cbranch_scc1 .LBB40_295
.LBB40_296:
	s_waitcnt lgkmcnt(0)
	v_cmp_eq_f64_e32 vcc, 0, v[84:85]
	v_cmp_eq_f64_e64 s[0:1], 0, v[86:87]
	s_and_b64 s[0:1], vcc, s[0:1]
	s_and_saveexec_b64 s[16:17], s[0:1]
	s_xor_b64 s[0:1], exec, s[16:17]
; %bb.297:
	v_cmp_ne_u32_e32 vcc, 0, v99
	s_nop 1
	v_cndmask_b32_e32 v99, 15, v99, vcc
; %bb.298:
	s_andn2_saveexec_b64 s[0:1], s[0:1]
	s_cbranch_execz .LBB40_304
; %bb.299:
	v_cmp_ngt_f64_e64 s[16:17], |v[84:85]|, |v[86:87]|
	s_and_saveexec_b64 s[18:19], s[16:17]
	s_xor_b64 s[16:17], exec, s[18:19]
	s_cbranch_execz .LBB40_301
; %bb.300:
	v_div_scale_f64 v[100:101], s[18:19], v[86:87], v[86:87], v[84:85]
	v_rcp_f64_e32 v[102:103], v[100:101]
	v_div_scale_f64 v[104:105], vcc, v[84:85], v[86:87], v[84:85]
	v_fma_f64 v[106:107], -v[100:101], v[102:103], 1.0
	v_fmac_f64_e32 v[102:103], v[102:103], v[106:107]
	v_fma_f64 v[106:107], -v[100:101], v[102:103], 1.0
	v_fmac_f64_e32 v[102:103], v[102:103], v[106:107]
	v_mul_f64 v[106:107], v[104:105], v[102:103]
	v_fma_f64 v[100:101], -v[100:101], v[106:107], v[104:105]
	v_div_fmas_f64 v[100:101], v[100:101], v[102:103], v[106:107]
	v_div_fixup_f64 v[100:101], v[100:101], v[86:87], v[84:85]
	v_fmac_f64_e32 v[86:87], v[84:85], v[100:101]
	v_div_scale_f64 v[84:85], s[18:19], v[86:87], v[86:87], 1.0
	v_rcp_f64_e32 v[102:103], v[84:85]
	s_nop 0
	v_fma_f64 v[104:105], -v[84:85], v[102:103], 1.0
	v_fmac_f64_e32 v[102:103], v[102:103], v[104:105]
	v_fma_f64 v[104:105], -v[84:85], v[102:103], 1.0
	v_fmac_f64_e32 v[102:103], v[102:103], v[104:105]
	v_div_scale_f64 v[104:105], vcc, 1.0, v[86:87], 1.0
	v_mul_f64 v[106:107], v[104:105], v[102:103]
	v_fma_f64 v[84:85], -v[84:85], v[106:107], v[104:105]
	s_nop 1
	v_div_fmas_f64 v[84:85], v[84:85], v[102:103], v[106:107]
	v_div_fixup_f64 v[86:87], v[84:85], v[86:87], 1.0
	v_mul_f64 v[84:85], v[100:101], v[86:87]
	v_xor_b32_e32 v87, 0x80000000, v87
.LBB40_301:
	s_andn2_saveexec_b64 s[16:17], s[16:17]
	s_cbranch_execz .LBB40_303
; %bb.302:
	v_div_scale_f64 v[100:101], s[18:19], v[84:85], v[84:85], v[86:87]
	v_rcp_f64_e32 v[102:103], v[100:101]
	v_div_scale_f64 v[104:105], vcc, v[86:87], v[84:85], v[86:87]
	v_fma_f64 v[106:107], -v[100:101], v[102:103], 1.0
	v_fmac_f64_e32 v[102:103], v[102:103], v[106:107]
	v_fma_f64 v[106:107], -v[100:101], v[102:103], 1.0
	v_fmac_f64_e32 v[102:103], v[102:103], v[106:107]
	v_mul_f64 v[106:107], v[104:105], v[102:103]
	v_fma_f64 v[100:101], -v[100:101], v[106:107], v[104:105]
	v_div_fmas_f64 v[100:101], v[100:101], v[102:103], v[106:107]
	v_div_fixup_f64 v[100:101], v[100:101], v[84:85], v[86:87]
	v_fmac_f64_e32 v[84:85], v[86:87], v[100:101]
	v_div_scale_f64 v[86:87], s[18:19], v[84:85], v[84:85], 1.0
	v_rcp_f64_e32 v[102:103], v[86:87]
	s_nop 0
	v_fma_f64 v[104:105], -v[86:87], v[102:103], 1.0
	v_fmac_f64_e32 v[102:103], v[102:103], v[104:105]
	v_fma_f64 v[104:105], -v[86:87], v[102:103], 1.0
	v_fmac_f64_e32 v[102:103], v[102:103], v[104:105]
	v_div_scale_f64 v[104:105], vcc, 1.0, v[84:85], 1.0
	v_mul_f64 v[106:107], v[104:105], v[102:103]
	v_fma_f64 v[86:87], -v[86:87], v[106:107], v[104:105]
	s_nop 1
	v_div_fmas_f64 v[86:87], v[86:87], v[102:103], v[106:107]
	v_div_fixup_f64 v[84:85], v[86:87], v[84:85], 1.0
	v_mul_f64 v[86:87], v[100:101], -v[84:85]
.LBB40_303:
	s_or_b64 exec, exec, s[16:17]
.LBB40_304:
	s_or_b64 exec, exec, s[0:1]
	v_cmp_ne_u32_e32 vcc, v97, v94
	s_and_saveexec_b64 s[0:1], vcc
	s_xor_b64 s[0:1], exec, s[0:1]
	s_cbranch_execz .LBB40_310
; %bb.305:
	v_cmp_eq_u32_e32 vcc, 14, v97
	s_and_saveexec_b64 s[16:17], vcc
	s_cbranch_execz .LBB40_309
; %bb.306:
	v_cmp_ne_u32_e32 vcc, 14, v94
	s_xor_b64 s[18:19], s[14:15], -1
	s_and_b64 s[22:23], s[18:19], vcc
	s_and_saveexec_b64 s[18:19], s[22:23]
	s_cbranch_execz .LBB40_308
; %bb.307:
	v_ashrrev_i32_e32 v95, 31, v94
	v_lshl_add_u64 v[100:101], v[94:95], 2, v[92:93]
	global_load_dword v95, v[100:101], off
	global_load_dword v97, v[92:93], off offset:56
	s_waitcnt vmcnt(1)
	global_store_dword v[92:93], v95, off offset:56
	s_waitcnt vmcnt(1)
	global_store_dword v[100:101], v97, off
.LBB40_308:
	s_or_b64 exec, exec, s[18:19]
	v_mov_b32_e32 v97, v94
	v_mov_b32_e32 v98, v94
.LBB40_309:
	s_or_b64 exec, exec, s[16:17]
.LBB40_310:
	s_andn2_saveexec_b64 s[0:1], s[0:1]
	s_cbranch_execz .LBB40_312
; %bb.311:
	v_mov_b32_e32 v97, 14
	s_waitcnt vmcnt(5)
	ds_write2_b64 v96, v[16:17], v[18:19] offset0:30 offset1:31
	s_waitcnt vmcnt(4)
	ds_write2_b64 v96, v[12:13], v[14:15] offset0:32 offset1:33
	;; [unrolled: 2-line block ×6, first 2 shown]
.LBB40_312:
	s_or_b64 exec, exec, s[0:1]
	v_cmp_lt_i32_e32 vcc, 14, v97
	s_waitcnt lgkmcnt(0)
	s_barrier
	s_and_saveexec_b64 s[0:1], vcc
	s_cbranch_execz .LBB40_314
; %bb.313:
	ds_read2_b64 v[100:103], v96 offset0:30 offset1:31
	v_mul_f64 v[94:95], v[84:85], v[26:27]
	v_mul_f64 v[26:27], v[86:87], v[26:27]
	v_fmac_f64_e32 v[94:95], v[86:87], v[24:25]
	v_fma_f64 v[24:25], v[84:85], v[24:25], -v[26:27]
	ds_read2_b64 v[84:87], v96 offset0:32 offset1:33
	s_waitcnt lgkmcnt(1)
	v_mul_f64 v[26:27], v[102:103], v[94:95]
	v_fma_f64 v[26:27], v[100:101], v[24:25], -v[26:27]
	v_mul_f64 v[100:101], v[100:101], v[94:95]
	v_fmac_f64_e32 v[100:101], v[102:103], v[24:25]
	s_waitcnt vmcnt(5)
	v_add_f64 v[16:17], v[16:17], -v[26:27]
	s_waitcnt lgkmcnt(0)
	v_mul_f64 v[26:27], v[86:87], v[94:95]
	v_add_f64 v[18:19], v[18:19], -v[100:101]
	v_fma_f64 v[26:27], v[84:85], v[24:25], -v[26:27]
	v_mul_f64 v[84:85], v[84:85], v[94:95]
	ds_read2_b64 v[100:103], v96 offset0:34 offset1:35
	v_fmac_f64_e32 v[84:85], v[86:87], v[24:25]
	s_waitcnt vmcnt(4)
	v_add_f64 v[14:15], v[14:15], -v[84:85]
	ds_read2_b64 v[84:87], v96 offset0:36 offset1:37
	v_add_f64 v[12:13], v[12:13], -v[26:27]
	s_waitcnt lgkmcnt(1)
	v_mul_f64 v[26:27], v[102:103], v[94:95]
	v_fma_f64 v[26:27], v[100:101], v[24:25], -v[26:27]
	v_mul_f64 v[100:101], v[100:101], v[94:95]
	v_fmac_f64_e32 v[100:101], v[102:103], v[24:25]
	s_waitcnt vmcnt(3)
	v_add_f64 v[8:9], v[8:9], -v[26:27]
	s_waitcnt lgkmcnt(0)
	v_mul_f64 v[26:27], v[86:87], v[94:95]
	v_add_f64 v[10:11], v[10:11], -v[100:101]
	v_fma_f64 v[26:27], v[84:85], v[24:25], -v[26:27]
	v_mul_f64 v[84:85], v[84:85], v[94:95]
	ds_read2_b64 v[100:103], v96 offset0:38 offset1:39
	v_fmac_f64_e32 v[84:85], v[86:87], v[24:25]
	s_waitcnt vmcnt(2)
	v_add_f64 v[6:7], v[6:7], -v[84:85]
	ds_read2_b64 v[84:87], v96 offset0:40 offset1:41
	v_add_f64 v[4:5], v[4:5], -v[26:27]
	s_waitcnt lgkmcnt(1)
	v_mul_f64 v[26:27], v[102:103], v[94:95]
	v_fma_f64 v[26:27], v[100:101], v[24:25], -v[26:27]
	s_waitcnt vmcnt(1)
	v_add_f64 v[0:1], v[0:1], -v[26:27]
	s_waitcnt lgkmcnt(0)
	v_mul_f64 v[26:27], v[86:87], v[94:95]
	v_mul_f64 v[100:101], v[100:101], v[94:95]
	v_fma_f64 v[26:27], v[84:85], v[24:25], -v[26:27]
	v_mul_f64 v[84:85], v[84:85], v[94:95]
	v_fmac_f64_e32 v[100:101], v[102:103], v[24:25]
	v_fmac_f64_e32 v[84:85], v[86:87], v[24:25]
	v_add_f64 v[2:3], v[2:3], -v[100:101]
	s_waitcnt vmcnt(0)
	v_add_f64 v[80:81], v[80:81], -v[26:27]
	v_add_f64 v[82:83], v[82:83], -v[84:85]
	v_mov_b64_e32 v[26:27], v[94:95]
.LBB40_314:
	s_or_b64 exec, exec, s[0:1]
	v_lshl_add_u32 v84, v97, 4, v96
	s_barrier
	s_waitcnt vmcnt(5)
	ds_write2_b64 v84, v[16:17], v[18:19] offset1:1
	s_waitcnt lgkmcnt(0)
	s_barrier
	ds_read2_b64 v[84:87], v96 offset0:30 offset1:31
	s_cmp_lt_i32 s20, 17
	v_mov_b32_e32 v94, 15
	s_cbranch_scc1 .LBB40_317
; %bb.315:
	v_add_u32_e32 v95, 0x100, v96
	s_mov_b32 s16, 16
	v_mov_b32_e32 v94, 15
.LBB40_316:                             ; =>This Inner Loop Header: Depth=1
	ds_read2_b64 v[100:103], v95 offset1:1
	s_waitcnt lgkmcnt(1)
	v_xor_b32_e32 v105, 0x80000000, v85
	v_xor_b32_e32 v107, 0x80000000, v87
	v_cmp_gt_f64_e32 vcc, 0, v[86:87]
	v_cmp_gt_f64_e64 s[0:1], 0, v[84:85]
	v_mov_b32_e32 v104, v84
	v_mov_b32_e32 v106, v86
	v_cndmask_b32_e64 v105, v85, v105, s[0:1]
	v_cndmask_b32_e32 v107, v87, v107, vcc
	v_add_f64 v[104:105], v[104:105], v[106:107]
	s_waitcnt lgkmcnt(0)
	v_xor_b32_e32 v107, 0x80000000, v101
	v_xor_b32_e32 v109, 0x80000000, v103
	v_cmp_gt_f64_e32 vcc, 0, v[102:103]
	v_cmp_gt_f64_e64 s[0:1], 0, v[100:101]
	v_mov_b32_e32 v106, v100
	v_mov_b32_e32 v108, v102
	v_cndmask_b32_e64 v107, v101, v107, s[0:1]
	v_cndmask_b32_e32 v109, v103, v109, vcc
	v_add_f64 v[106:107], v[106:107], v[108:109]
	v_mov_b32_e32 v110, s16
	s_add_i32 s16, s16, 1
	v_cmp_lt_f64_e32 vcc, v[104:105], v[106:107]
	v_add_u32_e32 v95, 16, v95
	s_cmp_lg_u32 s20, s16
	v_cndmask_b32_e32 v85, v85, v101, vcc
	v_cndmask_b32_e32 v84, v84, v100, vcc
	;; [unrolled: 1-line block ×5, first 2 shown]
	s_cbranch_scc1 .LBB40_316
.LBB40_317:
	s_waitcnt lgkmcnt(0)
	v_cmp_eq_f64_e32 vcc, 0, v[84:85]
	v_cmp_eq_f64_e64 s[0:1], 0, v[86:87]
	s_and_b64 s[0:1], vcc, s[0:1]
	s_and_saveexec_b64 s[16:17], s[0:1]
	s_xor_b64 s[0:1], exec, s[16:17]
; %bb.318:
	v_cmp_ne_u32_e32 vcc, 0, v99
	s_nop 1
	v_cndmask_b32_e32 v99, 16, v99, vcc
; %bb.319:
	s_andn2_saveexec_b64 s[0:1], s[0:1]
	s_cbranch_execz .LBB40_325
; %bb.320:
	v_cmp_ngt_f64_e64 s[16:17], |v[84:85]|, |v[86:87]|
	s_and_saveexec_b64 s[18:19], s[16:17]
	s_xor_b64 s[16:17], exec, s[18:19]
	s_cbranch_execz .LBB40_322
; %bb.321:
	v_div_scale_f64 v[100:101], s[18:19], v[86:87], v[86:87], v[84:85]
	v_rcp_f64_e32 v[102:103], v[100:101]
	v_div_scale_f64 v[104:105], vcc, v[84:85], v[86:87], v[84:85]
	v_fma_f64 v[106:107], -v[100:101], v[102:103], 1.0
	v_fmac_f64_e32 v[102:103], v[102:103], v[106:107]
	v_fma_f64 v[106:107], -v[100:101], v[102:103], 1.0
	v_fmac_f64_e32 v[102:103], v[102:103], v[106:107]
	v_mul_f64 v[106:107], v[104:105], v[102:103]
	v_fma_f64 v[100:101], -v[100:101], v[106:107], v[104:105]
	v_div_fmas_f64 v[100:101], v[100:101], v[102:103], v[106:107]
	v_div_fixup_f64 v[100:101], v[100:101], v[86:87], v[84:85]
	v_fmac_f64_e32 v[86:87], v[84:85], v[100:101]
	v_div_scale_f64 v[84:85], s[18:19], v[86:87], v[86:87], 1.0
	v_rcp_f64_e32 v[102:103], v[84:85]
	s_nop 0
	v_fma_f64 v[104:105], -v[84:85], v[102:103], 1.0
	v_fmac_f64_e32 v[102:103], v[102:103], v[104:105]
	v_fma_f64 v[104:105], -v[84:85], v[102:103], 1.0
	v_fmac_f64_e32 v[102:103], v[102:103], v[104:105]
	v_div_scale_f64 v[104:105], vcc, 1.0, v[86:87], 1.0
	v_mul_f64 v[106:107], v[104:105], v[102:103]
	v_fma_f64 v[84:85], -v[84:85], v[106:107], v[104:105]
	s_nop 1
	v_div_fmas_f64 v[84:85], v[84:85], v[102:103], v[106:107]
	v_div_fixup_f64 v[86:87], v[84:85], v[86:87], 1.0
	v_mul_f64 v[84:85], v[100:101], v[86:87]
	v_xor_b32_e32 v87, 0x80000000, v87
.LBB40_322:
	s_andn2_saveexec_b64 s[16:17], s[16:17]
	s_cbranch_execz .LBB40_324
; %bb.323:
	v_div_scale_f64 v[100:101], s[18:19], v[84:85], v[84:85], v[86:87]
	v_rcp_f64_e32 v[102:103], v[100:101]
	v_div_scale_f64 v[104:105], vcc, v[86:87], v[84:85], v[86:87]
	v_fma_f64 v[106:107], -v[100:101], v[102:103], 1.0
	v_fmac_f64_e32 v[102:103], v[102:103], v[106:107]
	v_fma_f64 v[106:107], -v[100:101], v[102:103], 1.0
	v_fmac_f64_e32 v[102:103], v[102:103], v[106:107]
	v_mul_f64 v[106:107], v[104:105], v[102:103]
	v_fma_f64 v[100:101], -v[100:101], v[106:107], v[104:105]
	v_div_fmas_f64 v[100:101], v[100:101], v[102:103], v[106:107]
	v_div_fixup_f64 v[100:101], v[100:101], v[84:85], v[86:87]
	v_fmac_f64_e32 v[84:85], v[86:87], v[100:101]
	v_div_scale_f64 v[86:87], s[18:19], v[84:85], v[84:85], 1.0
	v_rcp_f64_e32 v[102:103], v[86:87]
	s_nop 0
	v_fma_f64 v[104:105], -v[86:87], v[102:103], 1.0
	v_fmac_f64_e32 v[102:103], v[102:103], v[104:105]
	v_fma_f64 v[104:105], -v[86:87], v[102:103], 1.0
	v_fmac_f64_e32 v[102:103], v[102:103], v[104:105]
	v_div_scale_f64 v[104:105], vcc, 1.0, v[84:85], 1.0
	v_mul_f64 v[106:107], v[104:105], v[102:103]
	v_fma_f64 v[86:87], -v[86:87], v[106:107], v[104:105]
	s_nop 1
	v_div_fmas_f64 v[86:87], v[86:87], v[102:103], v[106:107]
	v_div_fixup_f64 v[84:85], v[86:87], v[84:85], 1.0
	v_mul_f64 v[86:87], v[100:101], -v[84:85]
.LBB40_324:
	s_or_b64 exec, exec, s[16:17]
.LBB40_325:
	s_or_b64 exec, exec, s[0:1]
	v_cmp_ne_u32_e32 vcc, v97, v94
	s_and_saveexec_b64 s[0:1], vcc
	s_xor_b64 s[0:1], exec, s[0:1]
	s_cbranch_execz .LBB40_331
; %bb.326:
	v_cmp_eq_u32_e32 vcc, 15, v97
	s_and_saveexec_b64 s[16:17], vcc
	s_cbranch_execz .LBB40_330
; %bb.327:
	v_cmp_ne_u32_e32 vcc, 15, v94
	s_xor_b64 s[18:19], s[14:15], -1
	s_and_b64 s[22:23], s[18:19], vcc
	s_and_saveexec_b64 s[18:19], s[22:23]
	s_cbranch_execz .LBB40_329
; %bb.328:
	v_ashrrev_i32_e32 v95, 31, v94
	v_lshl_add_u64 v[100:101], v[94:95], 2, v[92:93]
	global_load_dword v95, v[100:101], off
	global_load_dword v97, v[92:93], off offset:60
	s_waitcnt vmcnt(1)
	global_store_dword v[92:93], v95, off offset:60
	s_waitcnt vmcnt(1)
	global_store_dword v[100:101], v97, off
.LBB40_329:
	s_or_b64 exec, exec, s[18:19]
	v_mov_b32_e32 v97, v94
	v_mov_b32_e32 v98, v94
.LBB40_330:
	s_or_b64 exec, exec, s[16:17]
.LBB40_331:
	s_andn2_saveexec_b64 s[0:1], s[0:1]
	s_cbranch_execz .LBB40_333
; %bb.332:
	v_mov_b32_e32 v97, 15
	s_waitcnt vmcnt(4)
	ds_write2_b64 v96, v[12:13], v[14:15] offset0:32 offset1:33
	s_waitcnt vmcnt(3)
	ds_write2_b64 v96, v[8:9], v[10:11] offset0:34 offset1:35
	;; [unrolled: 2-line block ×5, first 2 shown]
.LBB40_333:
	s_or_b64 exec, exec, s[0:1]
	v_cmp_lt_i32_e32 vcc, 15, v97
	s_waitcnt lgkmcnt(0)
	s_barrier
	s_and_saveexec_b64 s[0:1], vcc
	s_cbranch_execz .LBB40_335
; %bb.334:
	ds_read2_b64 v[100:103], v96 offset0:32 offset1:33
	v_mul_f64 v[94:95], v[84:85], v[18:19]
	v_fmac_f64_e32 v[94:95], v[86:87], v[16:17]
	v_mul_f64 v[18:19], v[86:87], v[18:19]
	v_fma_f64 v[16:17], v[84:85], v[16:17], -v[18:19]
	ds_read2_b64 v[84:87], v96 offset0:34 offset1:35
	s_waitcnt lgkmcnt(1)
	v_mul_f64 v[18:19], v[102:103], v[94:95]
	v_fma_f64 v[18:19], v[100:101], v[16:17], -v[18:19]
	v_mul_f64 v[100:101], v[100:101], v[94:95]
	v_fmac_f64_e32 v[100:101], v[102:103], v[16:17]
	s_waitcnt vmcnt(4)
	v_add_f64 v[14:15], v[14:15], -v[100:101]
	ds_read2_b64 v[100:103], v96 offset0:36 offset1:37
	v_add_f64 v[12:13], v[12:13], -v[18:19]
	s_waitcnt lgkmcnt(1)
	v_mul_f64 v[18:19], v[86:87], v[94:95]
	v_fma_f64 v[18:19], v[84:85], v[16:17], -v[18:19]
	v_mul_f64 v[84:85], v[84:85], v[94:95]
	v_fmac_f64_e32 v[84:85], v[86:87], v[16:17]
	s_waitcnt vmcnt(3)
	v_add_f64 v[8:9], v[8:9], -v[18:19]
	v_add_f64 v[10:11], v[10:11], -v[84:85]
	ds_read2_b64 v[84:87], v96 offset0:38 offset1:39
	s_waitcnt lgkmcnt(1)
	v_mul_f64 v[18:19], v[102:103], v[94:95]
	v_fma_f64 v[18:19], v[100:101], v[16:17], -v[18:19]
	v_mul_f64 v[100:101], v[100:101], v[94:95]
	v_fmac_f64_e32 v[100:101], v[102:103], v[16:17]
	s_waitcnt vmcnt(2)
	v_add_f64 v[6:7], v[6:7], -v[100:101]
	ds_read2_b64 v[100:103], v96 offset0:40 offset1:41
	v_add_f64 v[4:5], v[4:5], -v[18:19]
	s_waitcnt lgkmcnt(1)
	v_mul_f64 v[18:19], v[86:87], v[94:95]
	v_fma_f64 v[18:19], v[84:85], v[16:17], -v[18:19]
	v_mul_f64 v[84:85], v[84:85], v[94:95]
	v_fmac_f64_e32 v[84:85], v[86:87], v[16:17]
	s_waitcnt vmcnt(1)
	v_add_f64 v[0:1], v[0:1], -v[18:19]
	v_add_f64 v[2:3], v[2:3], -v[84:85]
	s_waitcnt lgkmcnt(0)
	v_mul_f64 v[18:19], v[102:103], v[94:95]
	v_mul_f64 v[84:85], v[100:101], v[94:95]
	v_fma_f64 v[18:19], v[100:101], v[16:17], -v[18:19]
	v_fmac_f64_e32 v[84:85], v[102:103], v[16:17]
	s_waitcnt vmcnt(0)
	v_add_f64 v[80:81], v[80:81], -v[18:19]
	v_add_f64 v[82:83], v[82:83], -v[84:85]
	v_mov_b64_e32 v[18:19], v[94:95]
.LBB40_335:
	s_or_b64 exec, exec, s[0:1]
	v_lshl_add_u32 v84, v97, 4, v96
	s_barrier
	s_waitcnt vmcnt(4)
	ds_write2_b64 v84, v[12:13], v[14:15] offset1:1
	s_waitcnt lgkmcnt(0)
	s_barrier
	ds_read2_b64 v[84:87], v96 offset0:32 offset1:33
	s_cmp_lt_i32 s20, 18
	v_mov_b32_e32 v94, 16
	s_cbranch_scc1 .LBB40_338
; %bb.336:
	v_add_u32_e32 v95, 0x110, v96
	s_mov_b32 s16, 17
	v_mov_b32_e32 v94, 16
.LBB40_337:                             ; =>This Inner Loop Header: Depth=1
	ds_read2_b64 v[100:103], v95 offset1:1
	s_waitcnt lgkmcnt(1)
	v_xor_b32_e32 v105, 0x80000000, v85
	v_xor_b32_e32 v107, 0x80000000, v87
	v_cmp_gt_f64_e32 vcc, 0, v[86:87]
	v_cmp_gt_f64_e64 s[0:1], 0, v[84:85]
	v_mov_b32_e32 v104, v84
	v_mov_b32_e32 v106, v86
	v_cndmask_b32_e64 v105, v85, v105, s[0:1]
	v_cndmask_b32_e32 v107, v87, v107, vcc
	v_add_f64 v[104:105], v[104:105], v[106:107]
	s_waitcnt lgkmcnt(0)
	v_xor_b32_e32 v107, 0x80000000, v101
	v_xor_b32_e32 v109, 0x80000000, v103
	v_cmp_gt_f64_e32 vcc, 0, v[102:103]
	v_cmp_gt_f64_e64 s[0:1], 0, v[100:101]
	v_mov_b32_e32 v106, v100
	v_mov_b32_e32 v108, v102
	v_cndmask_b32_e64 v107, v101, v107, s[0:1]
	v_cndmask_b32_e32 v109, v103, v109, vcc
	v_add_f64 v[106:107], v[106:107], v[108:109]
	v_mov_b32_e32 v110, s16
	s_add_i32 s16, s16, 1
	v_cmp_lt_f64_e32 vcc, v[104:105], v[106:107]
	v_add_u32_e32 v95, 16, v95
	s_cmp_lg_u32 s20, s16
	v_cndmask_b32_e32 v85, v85, v101, vcc
	v_cndmask_b32_e32 v84, v84, v100, vcc
	;; [unrolled: 1-line block ×5, first 2 shown]
	s_cbranch_scc1 .LBB40_337
.LBB40_338:
	s_waitcnt lgkmcnt(0)
	v_cmp_eq_f64_e32 vcc, 0, v[84:85]
	v_cmp_eq_f64_e64 s[0:1], 0, v[86:87]
	s_and_b64 s[0:1], vcc, s[0:1]
	s_and_saveexec_b64 s[16:17], s[0:1]
	s_xor_b64 s[0:1], exec, s[16:17]
; %bb.339:
	v_cmp_ne_u32_e32 vcc, 0, v99
	s_nop 1
	v_cndmask_b32_e32 v99, 17, v99, vcc
; %bb.340:
	s_andn2_saveexec_b64 s[0:1], s[0:1]
	s_cbranch_execz .LBB40_346
; %bb.341:
	v_cmp_ngt_f64_e64 s[16:17], |v[84:85]|, |v[86:87]|
	s_and_saveexec_b64 s[18:19], s[16:17]
	s_xor_b64 s[16:17], exec, s[18:19]
	s_cbranch_execz .LBB40_343
; %bb.342:
	v_div_scale_f64 v[100:101], s[18:19], v[86:87], v[86:87], v[84:85]
	v_rcp_f64_e32 v[102:103], v[100:101]
	v_div_scale_f64 v[104:105], vcc, v[84:85], v[86:87], v[84:85]
	v_fma_f64 v[106:107], -v[100:101], v[102:103], 1.0
	v_fmac_f64_e32 v[102:103], v[102:103], v[106:107]
	v_fma_f64 v[106:107], -v[100:101], v[102:103], 1.0
	v_fmac_f64_e32 v[102:103], v[102:103], v[106:107]
	v_mul_f64 v[106:107], v[104:105], v[102:103]
	v_fma_f64 v[100:101], -v[100:101], v[106:107], v[104:105]
	v_div_fmas_f64 v[100:101], v[100:101], v[102:103], v[106:107]
	v_div_fixup_f64 v[100:101], v[100:101], v[86:87], v[84:85]
	v_fmac_f64_e32 v[86:87], v[84:85], v[100:101]
	v_div_scale_f64 v[84:85], s[18:19], v[86:87], v[86:87], 1.0
	v_rcp_f64_e32 v[102:103], v[84:85]
	s_nop 0
	v_fma_f64 v[104:105], -v[84:85], v[102:103], 1.0
	v_fmac_f64_e32 v[102:103], v[102:103], v[104:105]
	v_fma_f64 v[104:105], -v[84:85], v[102:103], 1.0
	v_fmac_f64_e32 v[102:103], v[102:103], v[104:105]
	v_div_scale_f64 v[104:105], vcc, 1.0, v[86:87], 1.0
	v_mul_f64 v[106:107], v[104:105], v[102:103]
	v_fma_f64 v[84:85], -v[84:85], v[106:107], v[104:105]
	s_nop 1
	v_div_fmas_f64 v[84:85], v[84:85], v[102:103], v[106:107]
	v_div_fixup_f64 v[86:87], v[84:85], v[86:87], 1.0
	v_mul_f64 v[84:85], v[100:101], v[86:87]
	v_xor_b32_e32 v87, 0x80000000, v87
.LBB40_343:
	s_andn2_saveexec_b64 s[16:17], s[16:17]
	s_cbranch_execz .LBB40_345
; %bb.344:
	v_div_scale_f64 v[100:101], s[18:19], v[84:85], v[84:85], v[86:87]
	v_rcp_f64_e32 v[102:103], v[100:101]
	v_div_scale_f64 v[104:105], vcc, v[86:87], v[84:85], v[86:87]
	v_fma_f64 v[106:107], -v[100:101], v[102:103], 1.0
	v_fmac_f64_e32 v[102:103], v[102:103], v[106:107]
	v_fma_f64 v[106:107], -v[100:101], v[102:103], 1.0
	v_fmac_f64_e32 v[102:103], v[102:103], v[106:107]
	v_mul_f64 v[106:107], v[104:105], v[102:103]
	v_fma_f64 v[100:101], -v[100:101], v[106:107], v[104:105]
	v_div_fmas_f64 v[100:101], v[100:101], v[102:103], v[106:107]
	v_div_fixup_f64 v[100:101], v[100:101], v[84:85], v[86:87]
	v_fmac_f64_e32 v[84:85], v[86:87], v[100:101]
	v_div_scale_f64 v[86:87], s[18:19], v[84:85], v[84:85], 1.0
	v_rcp_f64_e32 v[102:103], v[86:87]
	s_nop 0
	v_fma_f64 v[104:105], -v[86:87], v[102:103], 1.0
	v_fmac_f64_e32 v[102:103], v[102:103], v[104:105]
	v_fma_f64 v[104:105], -v[86:87], v[102:103], 1.0
	v_fmac_f64_e32 v[102:103], v[102:103], v[104:105]
	v_div_scale_f64 v[104:105], vcc, 1.0, v[84:85], 1.0
	v_mul_f64 v[106:107], v[104:105], v[102:103]
	v_fma_f64 v[86:87], -v[86:87], v[106:107], v[104:105]
	s_nop 1
	v_div_fmas_f64 v[86:87], v[86:87], v[102:103], v[106:107]
	v_div_fixup_f64 v[84:85], v[86:87], v[84:85], 1.0
	v_mul_f64 v[86:87], v[100:101], -v[84:85]
.LBB40_345:
	s_or_b64 exec, exec, s[16:17]
.LBB40_346:
	s_or_b64 exec, exec, s[0:1]
	v_cmp_ne_u32_e32 vcc, v97, v94
	s_and_saveexec_b64 s[0:1], vcc
	s_xor_b64 s[0:1], exec, s[0:1]
	s_cbranch_execz .LBB40_352
; %bb.347:
	v_cmp_eq_u32_e32 vcc, 16, v97
	s_and_saveexec_b64 s[16:17], vcc
	s_cbranch_execz .LBB40_351
; %bb.348:
	v_cmp_ne_u32_e32 vcc, 16, v94
	s_xor_b64 s[18:19], s[14:15], -1
	s_and_b64 s[22:23], s[18:19], vcc
	s_and_saveexec_b64 s[18:19], s[22:23]
	s_cbranch_execz .LBB40_350
; %bb.349:
	v_ashrrev_i32_e32 v95, 31, v94
	v_lshl_add_u64 v[100:101], v[94:95], 2, v[92:93]
	global_load_dword v95, v[100:101], off
	global_load_dword v97, v[92:93], off offset:64
	s_waitcnt vmcnt(1)
	global_store_dword v[92:93], v95, off offset:64
	s_waitcnt vmcnt(1)
	global_store_dword v[100:101], v97, off
.LBB40_350:
	s_or_b64 exec, exec, s[18:19]
	v_mov_b32_e32 v97, v94
	v_mov_b32_e32 v98, v94
.LBB40_351:
	s_or_b64 exec, exec, s[16:17]
.LBB40_352:
	s_andn2_saveexec_b64 s[0:1], s[0:1]
	s_cbranch_execz .LBB40_354
; %bb.353:
	v_mov_b32_e32 v97, 16
	s_waitcnt vmcnt(3)
	ds_write2_b64 v96, v[8:9], v[10:11] offset0:34 offset1:35
	s_waitcnt vmcnt(2)
	ds_write2_b64 v96, v[4:5], v[6:7] offset0:36 offset1:37
	s_waitcnt vmcnt(1)
	ds_write2_b64 v96, v[0:1], v[2:3] offset0:38 offset1:39
	s_waitcnt vmcnt(0)
	ds_write2_b64 v96, v[80:81], v[82:83] offset0:40 offset1:41
.LBB40_354:
	s_or_b64 exec, exec, s[0:1]
	v_cmp_lt_i32_e32 vcc, 16, v97
	s_waitcnt lgkmcnt(0)
	s_barrier
	s_and_saveexec_b64 s[0:1], vcc
	s_cbranch_execz .LBB40_356
; %bb.355:
	ds_read2_b64 v[100:103], v96 offset0:34 offset1:35
	v_mul_f64 v[94:95], v[84:85], v[14:15]
	v_mul_f64 v[14:15], v[86:87], v[14:15]
	v_fmac_f64_e32 v[94:95], v[86:87], v[12:13]
	v_fma_f64 v[12:13], v[84:85], v[12:13], -v[14:15]
	ds_read2_b64 v[84:87], v96 offset0:36 offset1:37
	s_waitcnt lgkmcnt(1)
	v_mul_f64 v[14:15], v[102:103], v[94:95]
	v_fma_f64 v[14:15], v[100:101], v[12:13], -v[14:15]
	v_mul_f64 v[100:101], v[100:101], v[94:95]
	v_fmac_f64_e32 v[100:101], v[102:103], v[12:13]
	s_waitcnt vmcnt(3)
	v_add_f64 v[8:9], v[8:9], -v[14:15]
	s_waitcnt lgkmcnt(0)
	v_mul_f64 v[14:15], v[86:87], v[94:95]
	v_add_f64 v[10:11], v[10:11], -v[100:101]
	v_fma_f64 v[14:15], v[84:85], v[12:13], -v[14:15]
	v_mul_f64 v[84:85], v[84:85], v[94:95]
	ds_read2_b64 v[100:103], v96 offset0:38 offset1:39
	v_fmac_f64_e32 v[84:85], v[86:87], v[12:13]
	s_waitcnt vmcnt(2)
	v_add_f64 v[6:7], v[6:7], -v[84:85]
	ds_read2_b64 v[84:87], v96 offset0:40 offset1:41
	v_add_f64 v[4:5], v[4:5], -v[14:15]
	s_waitcnt lgkmcnt(1)
	v_mul_f64 v[14:15], v[102:103], v[94:95]
	v_fma_f64 v[14:15], v[100:101], v[12:13], -v[14:15]
	s_waitcnt vmcnt(1)
	v_add_f64 v[0:1], v[0:1], -v[14:15]
	s_waitcnt lgkmcnt(0)
	v_mul_f64 v[14:15], v[86:87], v[94:95]
	v_mul_f64 v[100:101], v[100:101], v[94:95]
	v_fma_f64 v[14:15], v[84:85], v[12:13], -v[14:15]
	v_mul_f64 v[84:85], v[84:85], v[94:95]
	v_fmac_f64_e32 v[100:101], v[102:103], v[12:13]
	v_fmac_f64_e32 v[84:85], v[86:87], v[12:13]
	v_add_f64 v[2:3], v[2:3], -v[100:101]
	s_waitcnt vmcnt(0)
	v_add_f64 v[80:81], v[80:81], -v[14:15]
	v_add_f64 v[82:83], v[82:83], -v[84:85]
	v_mov_b64_e32 v[14:15], v[94:95]
.LBB40_356:
	s_or_b64 exec, exec, s[0:1]
	v_lshl_add_u32 v84, v97, 4, v96
	s_barrier
	s_waitcnt vmcnt(3)
	ds_write2_b64 v84, v[8:9], v[10:11] offset1:1
	s_waitcnt lgkmcnt(0)
	s_barrier
	ds_read2_b64 v[84:87], v96 offset0:34 offset1:35
	s_cmp_lt_i32 s20, 19
	v_mov_b32_e32 v94, 17
	s_cbranch_scc1 .LBB40_359
; %bb.357:
	v_add_u32_e32 v95, 0x120, v96
	s_mov_b32 s16, 18
	v_mov_b32_e32 v94, 17
.LBB40_358:                             ; =>This Inner Loop Header: Depth=1
	ds_read2_b64 v[100:103], v95 offset1:1
	s_waitcnt lgkmcnt(1)
	v_xor_b32_e32 v105, 0x80000000, v85
	v_xor_b32_e32 v107, 0x80000000, v87
	v_cmp_gt_f64_e32 vcc, 0, v[86:87]
	v_cmp_gt_f64_e64 s[0:1], 0, v[84:85]
	v_mov_b32_e32 v104, v84
	v_mov_b32_e32 v106, v86
	v_cndmask_b32_e64 v105, v85, v105, s[0:1]
	v_cndmask_b32_e32 v107, v87, v107, vcc
	v_add_f64 v[104:105], v[104:105], v[106:107]
	s_waitcnt lgkmcnt(0)
	v_xor_b32_e32 v107, 0x80000000, v101
	v_xor_b32_e32 v109, 0x80000000, v103
	v_cmp_gt_f64_e32 vcc, 0, v[102:103]
	v_cmp_gt_f64_e64 s[0:1], 0, v[100:101]
	v_mov_b32_e32 v106, v100
	v_mov_b32_e32 v108, v102
	v_cndmask_b32_e64 v107, v101, v107, s[0:1]
	v_cndmask_b32_e32 v109, v103, v109, vcc
	v_add_f64 v[106:107], v[106:107], v[108:109]
	v_mov_b32_e32 v110, s16
	s_add_i32 s16, s16, 1
	v_cmp_lt_f64_e32 vcc, v[104:105], v[106:107]
	v_add_u32_e32 v95, 16, v95
	s_cmp_lg_u32 s20, s16
	v_cndmask_b32_e32 v85, v85, v101, vcc
	v_cndmask_b32_e32 v84, v84, v100, vcc
	;; [unrolled: 1-line block ×5, first 2 shown]
	s_cbranch_scc1 .LBB40_358
.LBB40_359:
	s_waitcnt lgkmcnt(0)
	v_cmp_eq_f64_e32 vcc, 0, v[84:85]
	v_cmp_eq_f64_e64 s[0:1], 0, v[86:87]
	s_and_b64 s[0:1], vcc, s[0:1]
	s_and_saveexec_b64 s[16:17], s[0:1]
	s_xor_b64 s[0:1], exec, s[16:17]
; %bb.360:
	v_cmp_ne_u32_e32 vcc, 0, v99
	s_nop 1
	v_cndmask_b32_e32 v99, 18, v99, vcc
; %bb.361:
	s_andn2_saveexec_b64 s[0:1], s[0:1]
	s_cbranch_execz .LBB40_367
; %bb.362:
	v_cmp_ngt_f64_e64 s[16:17], |v[84:85]|, |v[86:87]|
	s_and_saveexec_b64 s[18:19], s[16:17]
	s_xor_b64 s[16:17], exec, s[18:19]
	s_cbranch_execz .LBB40_364
; %bb.363:
	v_div_scale_f64 v[100:101], s[18:19], v[86:87], v[86:87], v[84:85]
	v_rcp_f64_e32 v[102:103], v[100:101]
	v_div_scale_f64 v[104:105], vcc, v[84:85], v[86:87], v[84:85]
	v_fma_f64 v[106:107], -v[100:101], v[102:103], 1.0
	v_fmac_f64_e32 v[102:103], v[102:103], v[106:107]
	v_fma_f64 v[106:107], -v[100:101], v[102:103], 1.0
	v_fmac_f64_e32 v[102:103], v[102:103], v[106:107]
	v_mul_f64 v[106:107], v[104:105], v[102:103]
	v_fma_f64 v[100:101], -v[100:101], v[106:107], v[104:105]
	v_div_fmas_f64 v[100:101], v[100:101], v[102:103], v[106:107]
	v_div_fixup_f64 v[100:101], v[100:101], v[86:87], v[84:85]
	v_fmac_f64_e32 v[86:87], v[84:85], v[100:101]
	v_div_scale_f64 v[84:85], s[18:19], v[86:87], v[86:87], 1.0
	v_rcp_f64_e32 v[102:103], v[84:85]
	s_nop 0
	v_fma_f64 v[104:105], -v[84:85], v[102:103], 1.0
	v_fmac_f64_e32 v[102:103], v[102:103], v[104:105]
	v_fma_f64 v[104:105], -v[84:85], v[102:103], 1.0
	v_fmac_f64_e32 v[102:103], v[102:103], v[104:105]
	v_div_scale_f64 v[104:105], vcc, 1.0, v[86:87], 1.0
	v_mul_f64 v[106:107], v[104:105], v[102:103]
	v_fma_f64 v[84:85], -v[84:85], v[106:107], v[104:105]
	s_nop 1
	v_div_fmas_f64 v[84:85], v[84:85], v[102:103], v[106:107]
	v_div_fixup_f64 v[86:87], v[84:85], v[86:87], 1.0
	v_mul_f64 v[84:85], v[100:101], v[86:87]
	v_xor_b32_e32 v87, 0x80000000, v87
.LBB40_364:
	s_andn2_saveexec_b64 s[16:17], s[16:17]
	s_cbranch_execz .LBB40_366
; %bb.365:
	v_div_scale_f64 v[100:101], s[18:19], v[84:85], v[84:85], v[86:87]
	v_rcp_f64_e32 v[102:103], v[100:101]
	v_div_scale_f64 v[104:105], vcc, v[86:87], v[84:85], v[86:87]
	v_fma_f64 v[106:107], -v[100:101], v[102:103], 1.0
	v_fmac_f64_e32 v[102:103], v[102:103], v[106:107]
	v_fma_f64 v[106:107], -v[100:101], v[102:103], 1.0
	v_fmac_f64_e32 v[102:103], v[102:103], v[106:107]
	v_mul_f64 v[106:107], v[104:105], v[102:103]
	v_fma_f64 v[100:101], -v[100:101], v[106:107], v[104:105]
	v_div_fmas_f64 v[100:101], v[100:101], v[102:103], v[106:107]
	v_div_fixup_f64 v[100:101], v[100:101], v[84:85], v[86:87]
	v_fmac_f64_e32 v[84:85], v[86:87], v[100:101]
	v_div_scale_f64 v[86:87], s[18:19], v[84:85], v[84:85], 1.0
	v_rcp_f64_e32 v[102:103], v[86:87]
	s_nop 0
	v_fma_f64 v[104:105], -v[86:87], v[102:103], 1.0
	v_fmac_f64_e32 v[102:103], v[102:103], v[104:105]
	v_fma_f64 v[104:105], -v[86:87], v[102:103], 1.0
	v_fmac_f64_e32 v[102:103], v[102:103], v[104:105]
	v_div_scale_f64 v[104:105], vcc, 1.0, v[84:85], 1.0
	v_mul_f64 v[106:107], v[104:105], v[102:103]
	v_fma_f64 v[86:87], -v[86:87], v[106:107], v[104:105]
	s_nop 1
	v_div_fmas_f64 v[86:87], v[86:87], v[102:103], v[106:107]
	v_div_fixup_f64 v[84:85], v[86:87], v[84:85], 1.0
	v_mul_f64 v[86:87], v[100:101], -v[84:85]
.LBB40_366:
	s_or_b64 exec, exec, s[16:17]
.LBB40_367:
	s_or_b64 exec, exec, s[0:1]
	v_cmp_ne_u32_e32 vcc, v97, v94
	s_and_saveexec_b64 s[0:1], vcc
	s_xor_b64 s[0:1], exec, s[0:1]
	s_cbranch_execz .LBB40_373
; %bb.368:
	v_cmp_eq_u32_e32 vcc, 17, v97
	s_and_saveexec_b64 s[16:17], vcc
	s_cbranch_execz .LBB40_372
; %bb.369:
	v_cmp_ne_u32_e32 vcc, 17, v94
	s_xor_b64 s[18:19], s[14:15], -1
	s_and_b64 s[22:23], s[18:19], vcc
	s_and_saveexec_b64 s[18:19], s[22:23]
	s_cbranch_execz .LBB40_371
; %bb.370:
	v_ashrrev_i32_e32 v95, 31, v94
	v_lshl_add_u64 v[100:101], v[94:95], 2, v[92:93]
	global_load_dword v95, v[100:101], off
	global_load_dword v97, v[92:93], off offset:68
	s_waitcnt vmcnt(1)
	global_store_dword v[92:93], v95, off offset:68
	s_waitcnt vmcnt(1)
	global_store_dword v[100:101], v97, off
.LBB40_371:
	s_or_b64 exec, exec, s[18:19]
	v_mov_b32_e32 v97, v94
	v_mov_b32_e32 v98, v94
.LBB40_372:
	s_or_b64 exec, exec, s[16:17]
.LBB40_373:
	s_andn2_saveexec_b64 s[0:1], s[0:1]
	s_cbranch_execz .LBB40_375
; %bb.374:
	v_mov_b32_e32 v97, 17
	s_waitcnt vmcnt(2)
	ds_write2_b64 v96, v[4:5], v[6:7] offset0:36 offset1:37
	s_waitcnt vmcnt(1)
	ds_write2_b64 v96, v[0:1], v[2:3] offset0:38 offset1:39
	;; [unrolled: 2-line block ×3, first 2 shown]
.LBB40_375:
	s_or_b64 exec, exec, s[0:1]
	v_cmp_lt_i32_e32 vcc, 17, v97
	s_waitcnt lgkmcnt(0)
	s_barrier
	s_and_saveexec_b64 s[0:1], vcc
	s_cbranch_execz .LBB40_377
; %bb.376:
	ds_read2_b64 v[100:103], v96 offset0:36 offset1:37
	v_mul_f64 v[94:95], v[84:85], v[10:11]
	v_fmac_f64_e32 v[94:95], v[86:87], v[8:9]
	v_mul_f64 v[10:11], v[86:87], v[10:11]
	v_fma_f64 v[8:9], v[84:85], v[8:9], -v[10:11]
	ds_read2_b64 v[84:87], v96 offset0:38 offset1:39
	s_waitcnt lgkmcnt(1)
	v_mul_f64 v[10:11], v[102:103], v[94:95]
	v_fma_f64 v[10:11], v[100:101], v[8:9], -v[10:11]
	v_mul_f64 v[100:101], v[100:101], v[94:95]
	v_fmac_f64_e32 v[100:101], v[102:103], v[8:9]
	s_waitcnt vmcnt(2)
	v_add_f64 v[6:7], v[6:7], -v[100:101]
	ds_read2_b64 v[100:103], v96 offset0:40 offset1:41
	v_add_f64 v[4:5], v[4:5], -v[10:11]
	s_waitcnt lgkmcnt(1)
	v_mul_f64 v[10:11], v[86:87], v[94:95]
	v_fma_f64 v[10:11], v[84:85], v[8:9], -v[10:11]
	v_mul_f64 v[84:85], v[84:85], v[94:95]
	v_fmac_f64_e32 v[84:85], v[86:87], v[8:9]
	s_waitcnt vmcnt(1)
	v_add_f64 v[0:1], v[0:1], -v[10:11]
	v_add_f64 v[2:3], v[2:3], -v[84:85]
	s_waitcnt lgkmcnt(0)
	v_mul_f64 v[10:11], v[102:103], v[94:95]
	v_mul_f64 v[84:85], v[100:101], v[94:95]
	v_fma_f64 v[10:11], v[100:101], v[8:9], -v[10:11]
	v_fmac_f64_e32 v[84:85], v[102:103], v[8:9]
	s_waitcnt vmcnt(0)
	v_add_f64 v[80:81], v[80:81], -v[10:11]
	v_add_f64 v[82:83], v[82:83], -v[84:85]
	v_mov_b64_e32 v[10:11], v[94:95]
.LBB40_377:
	s_or_b64 exec, exec, s[0:1]
	v_lshl_add_u32 v84, v97, 4, v96
	s_barrier
	s_waitcnt vmcnt(2)
	ds_write2_b64 v84, v[4:5], v[6:7] offset1:1
	s_waitcnt lgkmcnt(0)
	s_barrier
	ds_read2_b64 v[84:87], v96 offset0:36 offset1:37
	s_cmp_lt_i32 s20, 20
	v_mov_b32_e32 v94, 18
	s_cbranch_scc1 .LBB40_380
; %bb.378:
	v_add_u32_e32 v95, 0x130, v96
	s_mov_b32 s16, 19
	v_mov_b32_e32 v94, 18
.LBB40_379:                             ; =>This Inner Loop Header: Depth=1
	ds_read2_b64 v[100:103], v95 offset1:1
	s_waitcnt lgkmcnt(1)
	v_xor_b32_e32 v105, 0x80000000, v85
	v_xor_b32_e32 v107, 0x80000000, v87
	v_cmp_gt_f64_e32 vcc, 0, v[86:87]
	v_cmp_gt_f64_e64 s[0:1], 0, v[84:85]
	v_mov_b32_e32 v104, v84
	v_mov_b32_e32 v106, v86
	v_cndmask_b32_e64 v105, v85, v105, s[0:1]
	v_cndmask_b32_e32 v107, v87, v107, vcc
	v_add_f64 v[104:105], v[104:105], v[106:107]
	s_waitcnt lgkmcnt(0)
	v_xor_b32_e32 v107, 0x80000000, v101
	v_xor_b32_e32 v109, 0x80000000, v103
	v_cmp_gt_f64_e32 vcc, 0, v[102:103]
	v_cmp_gt_f64_e64 s[0:1], 0, v[100:101]
	v_mov_b32_e32 v106, v100
	v_mov_b32_e32 v108, v102
	v_cndmask_b32_e64 v107, v101, v107, s[0:1]
	v_cndmask_b32_e32 v109, v103, v109, vcc
	v_add_f64 v[106:107], v[106:107], v[108:109]
	v_mov_b32_e32 v110, s16
	s_add_i32 s16, s16, 1
	v_cmp_lt_f64_e32 vcc, v[104:105], v[106:107]
	v_add_u32_e32 v95, 16, v95
	s_cmp_lg_u32 s20, s16
	v_cndmask_b32_e32 v85, v85, v101, vcc
	v_cndmask_b32_e32 v84, v84, v100, vcc
	v_cndmask_b32_e32 v87, v87, v103, vcc
	v_cndmask_b32_e32 v86, v86, v102, vcc
	v_cndmask_b32_e32 v94, v94, v110, vcc
	s_cbranch_scc1 .LBB40_379
.LBB40_380:
	s_waitcnt lgkmcnt(0)
	v_cmp_eq_f64_e32 vcc, 0, v[84:85]
	v_cmp_eq_f64_e64 s[0:1], 0, v[86:87]
	s_and_b64 s[0:1], vcc, s[0:1]
	s_and_saveexec_b64 s[16:17], s[0:1]
	s_xor_b64 s[0:1], exec, s[16:17]
; %bb.381:
	v_cmp_ne_u32_e32 vcc, 0, v99
	s_nop 1
	v_cndmask_b32_e32 v99, 19, v99, vcc
; %bb.382:
	s_andn2_saveexec_b64 s[0:1], s[0:1]
	s_cbranch_execz .LBB40_388
; %bb.383:
	v_cmp_ngt_f64_e64 s[16:17], |v[84:85]|, |v[86:87]|
	s_and_saveexec_b64 s[18:19], s[16:17]
	s_xor_b64 s[16:17], exec, s[18:19]
	s_cbranch_execz .LBB40_385
; %bb.384:
	v_div_scale_f64 v[100:101], s[18:19], v[86:87], v[86:87], v[84:85]
	v_rcp_f64_e32 v[102:103], v[100:101]
	v_div_scale_f64 v[104:105], vcc, v[84:85], v[86:87], v[84:85]
	v_fma_f64 v[106:107], -v[100:101], v[102:103], 1.0
	v_fmac_f64_e32 v[102:103], v[102:103], v[106:107]
	v_fma_f64 v[106:107], -v[100:101], v[102:103], 1.0
	v_fmac_f64_e32 v[102:103], v[102:103], v[106:107]
	v_mul_f64 v[106:107], v[104:105], v[102:103]
	v_fma_f64 v[100:101], -v[100:101], v[106:107], v[104:105]
	v_div_fmas_f64 v[100:101], v[100:101], v[102:103], v[106:107]
	v_div_fixup_f64 v[100:101], v[100:101], v[86:87], v[84:85]
	v_fmac_f64_e32 v[86:87], v[84:85], v[100:101]
	v_div_scale_f64 v[84:85], s[18:19], v[86:87], v[86:87], 1.0
	v_rcp_f64_e32 v[102:103], v[84:85]
	s_nop 0
	v_fma_f64 v[104:105], -v[84:85], v[102:103], 1.0
	v_fmac_f64_e32 v[102:103], v[102:103], v[104:105]
	v_fma_f64 v[104:105], -v[84:85], v[102:103], 1.0
	v_fmac_f64_e32 v[102:103], v[102:103], v[104:105]
	v_div_scale_f64 v[104:105], vcc, 1.0, v[86:87], 1.0
	v_mul_f64 v[106:107], v[104:105], v[102:103]
	v_fma_f64 v[84:85], -v[84:85], v[106:107], v[104:105]
	s_nop 1
	v_div_fmas_f64 v[84:85], v[84:85], v[102:103], v[106:107]
	v_div_fixup_f64 v[86:87], v[84:85], v[86:87], 1.0
	v_mul_f64 v[84:85], v[100:101], v[86:87]
	v_xor_b32_e32 v87, 0x80000000, v87
.LBB40_385:
	s_andn2_saveexec_b64 s[16:17], s[16:17]
	s_cbranch_execz .LBB40_387
; %bb.386:
	v_div_scale_f64 v[100:101], s[18:19], v[84:85], v[84:85], v[86:87]
	v_rcp_f64_e32 v[102:103], v[100:101]
	v_div_scale_f64 v[104:105], vcc, v[86:87], v[84:85], v[86:87]
	v_fma_f64 v[106:107], -v[100:101], v[102:103], 1.0
	v_fmac_f64_e32 v[102:103], v[102:103], v[106:107]
	v_fma_f64 v[106:107], -v[100:101], v[102:103], 1.0
	v_fmac_f64_e32 v[102:103], v[102:103], v[106:107]
	v_mul_f64 v[106:107], v[104:105], v[102:103]
	v_fma_f64 v[100:101], -v[100:101], v[106:107], v[104:105]
	v_div_fmas_f64 v[100:101], v[100:101], v[102:103], v[106:107]
	v_div_fixup_f64 v[100:101], v[100:101], v[84:85], v[86:87]
	v_fmac_f64_e32 v[84:85], v[86:87], v[100:101]
	v_div_scale_f64 v[86:87], s[18:19], v[84:85], v[84:85], 1.0
	v_rcp_f64_e32 v[102:103], v[86:87]
	s_nop 0
	v_fma_f64 v[104:105], -v[86:87], v[102:103], 1.0
	v_fmac_f64_e32 v[102:103], v[102:103], v[104:105]
	v_fma_f64 v[104:105], -v[86:87], v[102:103], 1.0
	v_fmac_f64_e32 v[102:103], v[102:103], v[104:105]
	v_div_scale_f64 v[104:105], vcc, 1.0, v[84:85], 1.0
	v_mul_f64 v[106:107], v[104:105], v[102:103]
	v_fma_f64 v[86:87], -v[86:87], v[106:107], v[104:105]
	s_nop 1
	v_div_fmas_f64 v[86:87], v[86:87], v[102:103], v[106:107]
	v_div_fixup_f64 v[84:85], v[86:87], v[84:85], 1.0
	v_mul_f64 v[86:87], v[100:101], -v[84:85]
.LBB40_387:
	s_or_b64 exec, exec, s[16:17]
.LBB40_388:
	s_or_b64 exec, exec, s[0:1]
	v_cmp_ne_u32_e32 vcc, v97, v94
	s_and_saveexec_b64 s[0:1], vcc
	s_xor_b64 s[0:1], exec, s[0:1]
	s_cbranch_execz .LBB40_394
; %bb.389:
	v_cmp_eq_u32_e32 vcc, 18, v97
	s_and_saveexec_b64 s[16:17], vcc
	s_cbranch_execz .LBB40_393
; %bb.390:
	v_cmp_ne_u32_e32 vcc, 18, v94
	s_xor_b64 s[18:19], s[14:15], -1
	s_and_b64 s[22:23], s[18:19], vcc
	s_and_saveexec_b64 s[18:19], s[22:23]
	s_cbranch_execz .LBB40_392
; %bb.391:
	v_ashrrev_i32_e32 v95, 31, v94
	v_lshl_add_u64 v[100:101], v[94:95], 2, v[92:93]
	global_load_dword v95, v[100:101], off
	global_load_dword v97, v[92:93], off offset:72
	s_waitcnt vmcnt(1)
	global_store_dword v[92:93], v95, off offset:72
	s_waitcnt vmcnt(1)
	global_store_dword v[100:101], v97, off
.LBB40_392:
	s_or_b64 exec, exec, s[18:19]
	v_mov_b32_e32 v97, v94
	v_mov_b32_e32 v98, v94
.LBB40_393:
	s_or_b64 exec, exec, s[16:17]
.LBB40_394:
	s_andn2_saveexec_b64 s[0:1], s[0:1]
	s_cbranch_execz .LBB40_396
; %bb.395:
	v_mov_b32_e32 v97, 18
	s_waitcnt vmcnt(1)
	ds_write2_b64 v96, v[0:1], v[2:3] offset0:38 offset1:39
	s_waitcnt vmcnt(0)
	ds_write2_b64 v96, v[80:81], v[82:83] offset0:40 offset1:41
.LBB40_396:
	s_or_b64 exec, exec, s[0:1]
	v_cmp_lt_i32_e32 vcc, 18, v97
	s_waitcnt lgkmcnt(0)
	s_barrier
	s_and_saveexec_b64 s[0:1], vcc
	s_cbranch_execz .LBB40_398
; %bb.397:
	ds_read2_b64 v[100:103], v96 offset0:38 offset1:39
	v_mul_f64 v[94:95], v[84:85], v[6:7]
	v_mul_f64 v[6:7], v[86:87], v[6:7]
	v_fmac_f64_e32 v[94:95], v[86:87], v[4:5]
	v_fma_f64 v[4:5], v[84:85], v[4:5], -v[6:7]
	ds_read2_b64 v[84:87], v96 offset0:40 offset1:41
	s_waitcnt lgkmcnt(1)
	v_mul_f64 v[6:7], v[102:103], v[94:95]
	v_fma_f64 v[6:7], v[100:101], v[4:5], -v[6:7]
	s_waitcnt vmcnt(1)
	v_add_f64 v[0:1], v[0:1], -v[6:7]
	v_mul_f64 v[100:101], v[100:101], v[94:95]
	s_waitcnt lgkmcnt(0)
	v_mul_f64 v[6:7], v[86:87], v[94:95]
	v_fma_f64 v[6:7], v[84:85], v[4:5], -v[6:7]
	v_mul_f64 v[84:85], v[84:85], v[94:95]
	v_fmac_f64_e32 v[100:101], v[102:103], v[4:5]
	v_fmac_f64_e32 v[84:85], v[86:87], v[4:5]
	v_add_f64 v[2:3], v[2:3], -v[100:101]
	s_waitcnt vmcnt(0)
	v_add_f64 v[80:81], v[80:81], -v[6:7]
	v_add_f64 v[82:83], v[82:83], -v[84:85]
	v_mov_b64_e32 v[6:7], v[94:95]
.LBB40_398:
	s_or_b64 exec, exec, s[0:1]
	v_lshl_add_u32 v84, v97, 4, v96
	s_barrier
	s_waitcnt vmcnt(1)
	ds_write2_b64 v84, v[0:1], v[2:3] offset1:1
	s_waitcnt lgkmcnt(0)
	s_barrier
	ds_read2_b64 v[84:87], v96 offset0:38 offset1:39
	s_cmp_lt_i32 s20, 21
	v_mov_b32_e32 v94, 19
	s_cbranch_scc1 .LBB40_401
; %bb.399:
	v_add_u32_e32 v95, 0x140, v96
	s_mov_b32 s16, 20
	v_mov_b32_e32 v94, 19
.LBB40_400:                             ; =>This Inner Loop Header: Depth=1
	ds_read2_b64 v[100:103], v95 offset1:1
	s_waitcnt lgkmcnt(1)
	v_xor_b32_e32 v105, 0x80000000, v85
	v_xor_b32_e32 v107, 0x80000000, v87
	v_cmp_gt_f64_e32 vcc, 0, v[86:87]
	v_cmp_gt_f64_e64 s[0:1], 0, v[84:85]
	v_mov_b32_e32 v104, v84
	v_mov_b32_e32 v106, v86
	v_cndmask_b32_e64 v105, v85, v105, s[0:1]
	v_cndmask_b32_e32 v107, v87, v107, vcc
	v_add_f64 v[104:105], v[104:105], v[106:107]
	s_waitcnt lgkmcnt(0)
	v_xor_b32_e32 v107, 0x80000000, v101
	v_xor_b32_e32 v109, 0x80000000, v103
	v_cmp_gt_f64_e32 vcc, 0, v[102:103]
	v_cmp_gt_f64_e64 s[0:1], 0, v[100:101]
	v_mov_b32_e32 v106, v100
	v_mov_b32_e32 v108, v102
	v_cndmask_b32_e64 v107, v101, v107, s[0:1]
	v_cndmask_b32_e32 v109, v103, v109, vcc
	v_add_f64 v[106:107], v[106:107], v[108:109]
	v_mov_b32_e32 v110, s16
	s_add_i32 s16, s16, 1
	v_cmp_lt_f64_e32 vcc, v[104:105], v[106:107]
	v_add_u32_e32 v95, 16, v95
	s_cmp_lg_u32 s20, s16
	v_cndmask_b32_e32 v85, v85, v101, vcc
	v_cndmask_b32_e32 v84, v84, v100, vcc
	;; [unrolled: 1-line block ×5, first 2 shown]
	s_cbranch_scc1 .LBB40_400
.LBB40_401:
	s_waitcnt lgkmcnt(0)
	v_cmp_eq_f64_e32 vcc, 0, v[84:85]
	v_cmp_eq_f64_e64 s[0:1], 0, v[86:87]
	s_and_b64 s[0:1], vcc, s[0:1]
	s_and_saveexec_b64 s[16:17], s[0:1]
	s_xor_b64 s[0:1], exec, s[16:17]
; %bb.402:
	v_cmp_ne_u32_e32 vcc, 0, v99
	s_nop 1
	v_cndmask_b32_e32 v99, 20, v99, vcc
; %bb.403:
	s_andn2_saveexec_b64 s[0:1], s[0:1]
	s_cbranch_execz .LBB40_409
; %bb.404:
	v_cmp_ngt_f64_e64 s[16:17], |v[84:85]|, |v[86:87]|
	s_and_saveexec_b64 s[18:19], s[16:17]
	s_xor_b64 s[16:17], exec, s[18:19]
	s_cbranch_execz .LBB40_406
; %bb.405:
	v_div_scale_f64 v[100:101], s[18:19], v[86:87], v[86:87], v[84:85]
	v_rcp_f64_e32 v[102:103], v[100:101]
	v_div_scale_f64 v[104:105], vcc, v[84:85], v[86:87], v[84:85]
	v_fma_f64 v[106:107], -v[100:101], v[102:103], 1.0
	v_fmac_f64_e32 v[102:103], v[102:103], v[106:107]
	v_fma_f64 v[106:107], -v[100:101], v[102:103], 1.0
	v_fmac_f64_e32 v[102:103], v[102:103], v[106:107]
	v_mul_f64 v[106:107], v[104:105], v[102:103]
	v_fma_f64 v[100:101], -v[100:101], v[106:107], v[104:105]
	v_div_fmas_f64 v[100:101], v[100:101], v[102:103], v[106:107]
	v_div_fixup_f64 v[100:101], v[100:101], v[86:87], v[84:85]
	v_fmac_f64_e32 v[86:87], v[84:85], v[100:101]
	v_div_scale_f64 v[84:85], s[18:19], v[86:87], v[86:87], 1.0
	v_rcp_f64_e32 v[102:103], v[84:85]
	s_nop 0
	v_fma_f64 v[104:105], -v[84:85], v[102:103], 1.0
	v_fmac_f64_e32 v[102:103], v[102:103], v[104:105]
	v_fma_f64 v[104:105], -v[84:85], v[102:103], 1.0
	v_fmac_f64_e32 v[102:103], v[102:103], v[104:105]
	v_div_scale_f64 v[104:105], vcc, 1.0, v[86:87], 1.0
	v_mul_f64 v[106:107], v[104:105], v[102:103]
	v_fma_f64 v[84:85], -v[84:85], v[106:107], v[104:105]
	s_nop 1
	v_div_fmas_f64 v[84:85], v[84:85], v[102:103], v[106:107]
	v_div_fixup_f64 v[86:87], v[84:85], v[86:87], 1.0
	v_mul_f64 v[84:85], v[100:101], v[86:87]
	v_xor_b32_e32 v87, 0x80000000, v87
.LBB40_406:
	s_andn2_saveexec_b64 s[16:17], s[16:17]
	s_cbranch_execz .LBB40_408
; %bb.407:
	v_div_scale_f64 v[100:101], s[18:19], v[84:85], v[84:85], v[86:87]
	v_rcp_f64_e32 v[102:103], v[100:101]
	v_div_scale_f64 v[104:105], vcc, v[86:87], v[84:85], v[86:87]
	v_fma_f64 v[106:107], -v[100:101], v[102:103], 1.0
	v_fmac_f64_e32 v[102:103], v[102:103], v[106:107]
	v_fma_f64 v[106:107], -v[100:101], v[102:103], 1.0
	v_fmac_f64_e32 v[102:103], v[102:103], v[106:107]
	v_mul_f64 v[106:107], v[104:105], v[102:103]
	v_fma_f64 v[100:101], -v[100:101], v[106:107], v[104:105]
	v_div_fmas_f64 v[100:101], v[100:101], v[102:103], v[106:107]
	v_div_fixup_f64 v[100:101], v[100:101], v[84:85], v[86:87]
	v_fmac_f64_e32 v[84:85], v[86:87], v[100:101]
	v_div_scale_f64 v[86:87], s[18:19], v[84:85], v[84:85], 1.0
	v_rcp_f64_e32 v[102:103], v[86:87]
	s_nop 0
	v_fma_f64 v[104:105], -v[86:87], v[102:103], 1.0
	v_fmac_f64_e32 v[102:103], v[102:103], v[104:105]
	v_fma_f64 v[104:105], -v[86:87], v[102:103], 1.0
	v_fmac_f64_e32 v[102:103], v[102:103], v[104:105]
	v_div_scale_f64 v[104:105], vcc, 1.0, v[84:85], 1.0
	v_mul_f64 v[106:107], v[104:105], v[102:103]
	v_fma_f64 v[86:87], -v[86:87], v[106:107], v[104:105]
	s_nop 1
	v_div_fmas_f64 v[86:87], v[86:87], v[102:103], v[106:107]
	v_div_fixup_f64 v[84:85], v[86:87], v[84:85], 1.0
	v_mul_f64 v[86:87], v[100:101], -v[84:85]
.LBB40_408:
	s_or_b64 exec, exec, s[16:17]
.LBB40_409:
	s_or_b64 exec, exec, s[0:1]
	v_cmp_ne_u32_e32 vcc, v97, v94
	s_and_saveexec_b64 s[0:1], vcc
	s_xor_b64 s[0:1], exec, s[0:1]
	s_cbranch_execz .LBB40_415
; %bb.410:
	v_cmp_eq_u32_e32 vcc, 19, v97
	s_and_saveexec_b64 s[16:17], vcc
	s_cbranch_execz .LBB40_414
; %bb.411:
	v_cmp_ne_u32_e32 vcc, 19, v94
	s_xor_b64 s[18:19], s[14:15], -1
	s_and_b64 s[22:23], s[18:19], vcc
	s_and_saveexec_b64 s[18:19], s[22:23]
	s_cbranch_execz .LBB40_413
; %bb.412:
	v_ashrrev_i32_e32 v95, 31, v94
	v_lshl_add_u64 v[100:101], v[94:95], 2, v[92:93]
	global_load_dword v95, v[100:101], off
	global_load_dword v97, v[92:93], off offset:76
	s_waitcnt vmcnt(1)
	global_store_dword v[92:93], v95, off offset:76
	s_waitcnt vmcnt(1)
	global_store_dword v[100:101], v97, off
.LBB40_413:
	s_or_b64 exec, exec, s[18:19]
	v_mov_b32_e32 v97, v94
	v_mov_b32_e32 v98, v94
.LBB40_414:
	s_or_b64 exec, exec, s[16:17]
.LBB40_415:
	s_andn2_saveexec_b64 s[0:1], s[0:1]
	s_cbranch_execz .LBB40_417
; %bb.416:
	v_mov_b32_e32 v97, 19
	s_waitcnt vmcnt(0)
	ds_write2_b64 v96, v[80:81], v[82:83] offset0:40 offset1:41
.LBB40_417:
	s_or_b64 exec, exec, s[0:1]
	v_cmp_lt_i32_e32 vcc, 19, v97
	s_waitcnt lgkmcnt(0)
	s_barrier
	s_and_saveexec_b64 s[0:1], vcc
	s_cbranch_execz .LBB40_419
; %bb.418:
	ds_read2_b64 v[100:103], v96 offset0:40 offset1:41
	v_mul_f64 v[94:95], v[84:85], v[2:3]
	v_mul_f64 v[2:3], v[86:87], v[2:3]
	v_fmac_f64_e32 v[94:95], v[86:87], v[0:1]
	v_fma_f64 v[0:1], v[84:85], v[0:1], -v[2:3]
	s_waitcnt lgkmcnt(0)
	v_mul_f64 v[2:3], v[102:103], v[94:95]
	v_mul_f64 v[84:85], v[100:101], v[94:95]
	v_fma_f64 v[2:3], v[100:101], v[0:1], -v[2:3]
	v_fmac_f64_e32 v[84:85], v[102:103], v[0:1]
	s_waitcnt vmcnt(0)
	v_add_f64 v[80:81], v[80:81], -v[2:3]
	v_add_f64 v[82:83], v[82:83], -v[84:85]
	v_mov_b64_e32 v[2:3], v[94:95]
.LBB40_419:
	s_or_b64 exec, exec, s[0:1]
	v_lshl_add_u32 v84, v97, 4, v96
	s_barrier
	s_waitcnt vmcnt(0)
	ds_write2_b64 v84, v[80:81], v[82:83] offset1:1
	s_waitcnt lgkmcnt(0)
	s_barrier
	ds_read2_b64 v[84:87], v96 offset0:40 offset1:41
	s_cmp_lt_i32 s20, 22
	v_mov_b32_e32 v94, 20
	s_cbranch_scc1 .LBB40_422
; %bb.420:
	v_add_u32_e32 v95, 0x150, v96
	s_mov_b32 s16, 21
	v_mov_b32_e32 v94, 20
.LBB40_421:                             ; =>This Inner Loop Header: Depth=1
	ds_read2_b64 v[100:103], v95 offset1:1
	s_waitcnt lgkmcnt(1)
	v_xor_b32_e32 v96, 0x80000000, v85
	v_xor_b32_e32 v107, 0x80000000, v87
	v_cmp_gt_f64_e32 vcc, 0, v[86:87]
	v_cmp_gt_f64_e64 s[0:1], 0, v[84:85]
	v_mov_b32_e32 v104, v84
	v_mov_b32_e32 v106, v86
	v_cndmask_b32_e64 v105, v85, v96, s[0:1]
	v_cndmask_b32_e32 v107, v87, v107, vcc
	s_waitcnt lgkmcnt(0)
	v_xor_b32_e32 v96, 0x80000000, v101
	v_xor_b32_e32 v109, 0x80000000, v103
	v_cmp_gt_f64_e32 vcc, 0, v[102:103]
	v_cmp_gt_f64_e64 s[0:1], 0, v[100:101]
	v_add_f64 v[104:105], v[104:105], v[106:107]
	v_mov_b32_e32 v106, v100
	v_mov_b32_e32 v108, v102
	v_cndmask_b32_e64 v107, v101, v96, s[0:1]
	v_cndmask_b32_e32 v109, v103, v109, vcc
	v_add_f64 v[106:107], v[106:107], v[108:109]
	v_mov_b32_e32 v110, s16
	s_add_i32 s16, s16, 1
	v_cmp_lt_f64_e32 vcc, v[104:105], v[106:107]
	v_add_u32_e32 v95, 16, v95
	s_cmp_lg_u32 s20, s16
	v_cndmask_b32_e32 v85, v85, v101, vcc
	v_cndmask_b32_e32 v84, v84, v100, vcc
	;; [unrolled: 1-line block ×5, first 2 shown]
	s_cbranch_scc1 .LBB40_421
.LBB40_422:
	s_waitcnt lgkmcnt(0)
	v_cmp_eq_f64_e32 vcc, 0, v[84:85]
	v_cmp_eq_f64_e64 s[0:1], 0, v[86:87]
	s_and_b64 s[0:1], vcc, s[0:1]
	s_and_saveexec_b64 s[16:17], s[0:1]
	s_xor_b64 s[0:1], exec, s[16:17]
; %bb.423:
	v_cmp_ne_u32_e32 vcc, 0, v99
	s_nop 1
	v_cndmask_b32_e32 v99, 21, v99, vcc
; %bb.424:
	s_andn2_saveexec_b64 s[0:1], s[0:1]
	s_cbranch_execz .LBB40_430
; %bb.425:
	v_cmp_ngt_f64_e64 s[16:17], |v[84:85]|, |v[86:87]|
	s_and_saveexec_b64 s[18:19], s[16:17]
	s_xor_b64 s[16:17], exec, s[18:19]
	s_cbranch_execz .LBB40_427
; %bb.426:
	v_div_scale_f64 v[100:101], s[18:19], v[86:87], v[86:87], v[84:85]
	v_rcp_f64_e32 v[102:103], v[100:101]
	v_div_scale_f64 v[104:105], vcc, v[84:85], v[86:87], v[84:85]
	v_fma_f64 v[106:107], -v[100:101], v[102:103], 1.0
	v_fmac_f64_e32 v[102:103], v[102:103], v[106:107]
	v_fma_f64 v[106:107], -v[100:101], v[102:103], 1.0
	v_fmac_f64_e32 v[102:103], v[102:103], v[106:107]
	v_mul_f64 v[106:107], v[104:105], v[102:103]
	v_fma_f64 v[100:101], -v[100:101], v[106:107], v[104:105]
	v_div_fmas_f64 v[100:101], v[100:101], v[102:103], v[106:107]
	v_div_fixup_f64 v[100:101], v[100:101], v[86:87], v[84:85]
	v_fmac_f64_e32 v[86:87], v[84:85], v[100:101]
	v_div_scale_f64 v[84:85], s[18:19], v[86:87], v[86:87], 1.0
	v_rcp_f64_e32 v[102:103], v[84:85]
	s_nop 0
	v_fma_f64 v[104:105], -v[84:85], v[102:103], 1.0
	v_fmac_f64_e32 v[102:103], v[102:103], v[104:105]
	v_fma_f64 v[104:105], -v[84:85], v[102:103], 1.0
	v_fmac_f64_e32 v[102:103], v[102:103], v[104:105]
	v_div_scale_f64 v[104:105], vcc, 1.0, v[86:87], 1.0
	v_mul_f64 v[106:107], v[104:105], v[102:103]
	v_fma_f64 v[84:85], -v[84:85], v[106:107], v[104:105]
	s_nop 1
	v_div_fmas_f64 v[84:85], v[84:85], v[102:103], v[106:107]
	v_div_fixup_f64 v[86:87], v[84:85], v[86:87], 1.0
	v_mul_f64 v[84:85], v[100:101], v[86:87]
	v_xor_b32_e32 v87, 0x80000000, v87
.LBB40_427:
	s_andn2_saveexec_b64 s[16:17], s[16:17]
	s_cbranch_execz .LBB40_429
; %bb.428:
	v_div_scale_f64 v[100:101], s[18:19], v[84:85], v[84:85], v[86:87]
	v_rcp_f64_e32 v[102:103], v[100:101]
	v_div_scale_f64 v[104:105], vcc, v[86:87], v[84:85], v[86:87]
	v_fma_f64 v[106:107], -v[100:101], v[102:103], 1.0
	v_fmac_f64_e32 v[102:103], v[102:103], v[106:107]
	v_fma_f64 v[106:107], -v[100:101], v[102:103], 1.0
	v_fmac_f64_e32 v[102:103], v[102:103], v[106:107]
	v_mul_f64 v[106:107], v[104:105], v[102:103]
	v_fma_f64 v[100:101], -v[100:101], v[106:107], v[104:105]
	v_div_fmas_f64 v[100:101], v[100:101], v[102:103], v[106:107]
	v_div_fixup_f64 v[100:101], v[100:101], v[84:85], v[86:87]
	v_fmac_f64_e32 v[84:85], v[86:87], v[100:101]
	v_div_scale_f64 v[86:87], s[18:19], v[84:85], v[84:85], 1.0
	v_rcp_f64_e32 v[102:103], v[86:87]
	s_nop 0
	v_fma_f64 v[104:105], -v[86:87], v[102:103], 1.0
	v_fmac_f64_e32 v[102:103], v[102:103], v[104:105]
	v_fma_f64 v[104:105], -v[86:87], v[102:103], 1.0
	v_fmac_f64_e32 v[102:103], v[102:103], v[104:105]
	v_div_scale_f64 v[104:105], vcc, 1.0, v[84:85], 1.0
	v_mul_f64 v[106:107], v[104:105], v[102:103]
	v_fma_f64 v[86:87], -v[86:87], v[106:107], v[104:105]
	s_nop 1
	v_div_fmas_f64 v[86:87], v[86:87], v[102:103], v[106:107]
	v_div_fixup_f64 v[84:85], v[86:87], v[84:85], 1.0
	v_mul_f64 v[86:87], v[100:101], -v[84:85]
.LBB40_429:
	s_or_b64 exec, exec, s[16:17]
.LBB40_430:
	s_or_b64 exec, exec, s[0:1]
	v_cmp_ne_u32_e32 vcc, v97, v94
	v_mov_b32_e32 v96, 20
	s_and_saveexec_b64 s[0:1], vcc
	s_cbranch_execz .LBB40_436
; %bb.431:
	v_cmp_eq_u32_e32 vcc, 20, v97
	s_and_saveexec_b64 s[16:17], vcc
	s_cbranch_execz .LBB40_435
; %bb.432:
	v_cmp_ne_u32_e32 vcc, 20, v94
	s_xor_b64 s[14:15], s[14:15], -1
	s_and_b64 s[18:19], s[14:15], vcc
	s_and_saveexec_b64 s[14:15], s[18:19]
	s_cbranch_execz .LBB40_434
; %bb.433:
	v_ashrrev_i32_e32 v95, 31, v94
	v_lshl_add_u64 v[96:97], v[94:95], 2, v[92:93]
	global_load_dword v95, v[96:97], off
	global_load_dword v98, v[92:93], off offset:80
	s_waitcnt vmcnt(1)
	global_store_dword v[92:93], v95, off offset:80
	s_waitcnt vmcnt(1)
	global_store_dword v[96:97], v98, off
.LBB40_434:
	s_or_b64 exec, exec, s[14:15]
	v_mov_b32_e32 v97, v94
	v_mov_b32_e32 v98, v94
.LBB40_435:
	s_or_b64 exec, exec, s[16:17]
	v_mov_b32_e32 v96, v97
.LBB40_436:
	s_or_b64 exec, exec, s[0:1]
	v_cmp_gt_i32_e32 vcc, 21, v96
	v_ashrrev_i32_e32 v97, 31, v96
	s_barrier
	s_barrier
	s_and_saveexec_b64 s[0:1], vcc
	s_cbranch_execz .LBB40_438
; %bb.437:
	v_mov_b32_e32 v92, s6
	v_mov_b32_e32 v93, s7
	v_mul_lo_u32 v100, s11, v90
	v_mul_lo_u32 v101, s10, v91
	v_mad_u64_u32 v[94:95], s[6:7], s10, v90, 0
	v_add3_u32 v95, v95, v101, v100
	v_lshl_add_u64 v[92:93], v[94:95], 2, v[92:93]
	v_lshl_add_u64 v[92:93], s[8:9], 2, v[92:93]
	;; [unrolled: 1-line block ×3, first 2 shown]
	v_add3_u32 v94, v98, s13, 1
	global_store_dword v[92:93], v94, off
.LBB40_438:
	s_or_b64 exec, exec, s[0:1]
	v_cmp_eq_u32_e32 vcc, 0, v96
	s_and_saveexec_b64 s[6:7], vcc
	s_cbranch_execz .LBB40_441
; %bb.439:
	v_mov_b32_e32 v92, s4
	v_mov_b32_e32 v93, s5
	v_lshl_add_u64 v[90:91], v[90:91], 2, v[92:93]
	global_load_dword v92, v[90:91], off
	v_cmp_ne_u32_e64 s[0:1], 0, v99
	s_waitcnt vmcnt(0)
	v_cmp_eq_u32_e32 vcc, 0, v92
	s_and_b64 s[0:1], vcc, s[0:1]
	s_and_b64 exec, exec, s[0:1]
	s_cbranch_execz .LBB40_441
; %bb.440:
	v_add_u32_e32 v92, s13, v99
	global_store_dword v[90:91], v92, off
.LBB40_441:
	s_or_b64 exec, exec, s[6:7]
	v_mul_f64 v[90:91], v[86:87], v[82:83]
	v_fma_f64 v[90:91], v[84:85], v[80:81], -v[90:91]
	v_mul_f64 v[84:85], v[84:85], v[82:83]
	v_fmac_f64_e32 v[84:85], v[86:87], v[80:81]
	v_cmp_lt_i32_e32 vcc, 20, v96
	s_nop 1
	v_cndmask_b32_e32 v83, v83, v85, vcc
	v_cndmask_b32_e32 v82, v82, v84, vcc
	v_lshl_add_u64 v[84:85], v[96:97], 4, v[88:89]
	global_store_dwordx4 v[84:85], v[44:47], off
	v_cndmask_b32_e32 v81, v81, v91, vcc
	v_cndmask_b32_e32 v80, v80, v90, vcc
	v_lshl_add_u64 v[44:45], s[2:3], 4, v[84:85]
	global_store_dwordx4 v[44:45], v[40:43], off
	s_nop 1
	v_add_u32_e32 v40, s12, v96
	v_ashrrev_i32_e32 v41, 31, v40
	v_lshl_add_u64 v[42:43], v[40:41], 4, v[88:89]
	global_store_dwordx4 v[42:43], v[28:31], off
	s_nop 1
	v_add_u32_e32 v28, s2, v40
	v_ashrrev_i32_e32 v29, 31, v28
	;; [unrolled: 5-line block ×3, first 2 shown]
	v_lshl_add_u64 v[22:23], v[20:21], 4, v[88:89]
	v_add_u32_e32 v20, s2, v20
	v_ashrrev_i32_e32 v21, 31, v20
	global_store_dwordx4 v[22:23], v[72:75], off
	v_lshl_add_u64 v[22:23], v[20:21], 4, v[88:89]
	v_add_u32_e32 v20, s2, v20
	v_ashrrev_i32_e32 v21, 31, v20
	global_store_dwordx4 v[22:23], v[64:67], off
	;; [unrolled: 4-line block ×11, first 2 shown]
	v_lshl_add_u64 v[22:23], v[20:21], 4, v[88:89]
	global_store_dwordx4 v[22:23], v[16:19], off
	s_nop 1
	v_add_u32_e32 v16, s2, v20
	v_ashrrev_i32_e32 v17, 31, v16
	v_lshl_add_u64 v[18:19], v[16:17], 4, v[88:89]
	global_store_dwordx4 v[18:19], v[12:15], off
	s_nop 1
	v_add_u32_e32 v12, s2, v16
	v_ashrrev_i32_e32 v13, 31, v12
	;; [unrolled: 5-line block ×5, first 2 shown]
	v_lshl_add_u64 v[0:1], v[0:1], 4, v[88:89]
	global_store_dwordx4 v[0:1], v[80:83], off
.LBB40_442:
	s_endpgm
	.section	.rodata,"a",@progbits
	.p2align	6, 0x0
	.amdhsa_kernel _ZN9rocsolver6v33100L18getf2_small_kernelILi21E19rocblas_complex_numIdEiiPS3_EEvT1_T3_lS5_lPS5_llPT2_S5_S5_S7_l
		.amdhsa_group_segment_fixed_size 0
		.amdhsa_private_segment_fixed_size 0
		.amdhsa_kernarg_size 352
		.amdhsa_user_sgpr_count 2
		.amdhsa_user_sgpr_dispatch_ptr 0
		.amdhsa_user_sgpr_queue_ptr 0
		.amdhsa_user_sgpr_kernarg_segment_ptr 1
		.amdhsa_user_sgpr_dispatch_id 0
		.amdhsa_user_sgpr_kernarg_preload_length 0
		.amdhsa_user_sgpr_kernarg_preload_offset 0
		.amdhsa_user_sgpr_private_segment_size 0
		.amdhsa_uses_dynamic_stack 0
		.amdhsa_enable_private_segment 0
		.amdhsa_system_sgpr_workgroup_id_x 1
		.amdhsa_system_sgpr_workgroup_id_y 1
		.amdhsa_system_sgpr_workgroup_id_z 0
		.amdhsa_system_sgpr_workgroup_info 0
		.amdhsa_system_vgpr_workitem_id 1
		.amdhsa_next_free_vgpr 122
		.amdhsa_next_free_sgpr 24
		.amdhsa_accum_offset 124
		.amdhsa_reserve_vcc 1
		.amdhsa_float_round_mode_32 0
		.amdhsa_float_round_mode_16_64 0
		.amdhsa_float_denorm_mode_32 3
		.amdhsa_float_denorm_mode_16_64 3
		.amdhsa_dx10_clamp 1
		.amdhsa_ieee_mode 1
		.amdhsa_fp16_overflow 0
		.amdhsa_tg_split 0
		.amdhsa_exception_fp_ieee_invalid_op 0
		.amdhsa_exception_fp_denorm_src 0
		.amdhsa_exception_fp_ieee_div_zero 0
		.amdhsa_exception_fp_ieee_overflow 0
		.amdhsa_exception_fp_ieee_underflow 0
		.amdhsa_exception_fp_ieee_inexact 0
		.amdhsa_exception_int_div_zero 0
	.end_amdhsa_kernel
	.section	.text._ZN9rocsolver6v33100L18getf2_small_kernelILi21E19rocblas_complex_numIdEiiPS3_EEvT1_T3_lS5_lPS5_llPT2_S5_S5_S7_l,"axG",@progbits,_ZN9rocsolver6v33100L18getf2_small_kernelILi21E19rocblas_complex_numIdEiiPS3_EEvT1_T3_lS5_lPS5_llPT2_S5_S5_S7_l,comdat
.Lfunc_end40:
	.size	_ZN9rocsolver6v33100L18getf2_small_kernelILi21E19rocblas_complex_numIdEiiPS3_EEvT1_T3_lS5_lPS5_llPT2_S5_S5_S7_l, .Lfunc_end40-_ZN9rocsolver6v33100L18getf2_small_kernelILi21E19rocblas_complex_numIdEiiPS3_EEvT1_T3_lS5_lPS5_llPT2_S5_S5_S7_l
                                        ; -- End function
	.set _ZN9rocsolver6v33100L18getf2_small_kernelILi21E19rocblas_complex_numIdEiiPS3_EEvT1_T3_lS5_lPS5_llPT2_S5_S5_S7_l.num_vgpr, 122
	.set _ZN9rocsolver6v33100L18getf2_small_kernelILi21E19rocblas_complex_numIdEiiPS3_EEvT1_T3_lS5_lPS5_llPT2_S5_S5_S7_l.num_agpr, 0
	.set _ZN9rocsolver6v33100L18getf2_small_kernelILi21E19rocblas_complex_numIdEiiPS3_EEvT1_T3_lS5_lPS5_llPT2_S5_S5_S7_l.numbered_sgpr, 24
	.set _ZN9rocsolver6v33100L18getf2_small_kernelILi21E19rocblas_complex_numIdEiiPS3_EEvT1_T3_lS5_lPS5_llPT2_S5_S5_S7_l.num_named_barrier, 0
	.set _ZN9rocsolver6v33100L18getf2_small_kernelILi21E19rocblas_complex_numIdEiiPS3_EEvT1_T3_lS5_lPS5_llPT2_S5_S5_S7_l.private_seg_size, 0
	.set _ZN9rocsolver6v33100L18getf2_small_kernelILi21E19rocblas_complex_numIdEiiPS3_EEvT1_T3_lS5_lPS5_llPT2_S5_S5_S7_l.uses_vcc, 1
	.set _ZN9rocsolver6v33100L18getf2_small_kernelILi21E19rocblas_complex_numIdEiiPS3_EEvT1_T3_lS5_lPS5_llPT2_S5_S5_S7_l.uses_flat_scratch, 0
	.set _ZN9rocsolver6v33100L18getf2_small_kernelILi21E19rocblas_complex_numIdEiiPS3_EEvT1_T3_lS5_lPS5_llPT2_S5_S5_S7_l.has_dyn_sized_stack, 0
	.set _ZN9rocsolver6v33100L18getf2_small_kernelILi21E19rocblas_complex_numIdEiiPS3_EEvT1_T3_lS5_lPS5_llPT2_S5_S5_S7_l.has_recursion, 0
	.set _ZN9rocsolver6v33100L18getf2_small_kernelILi21E19rocblas_complex_numIdEiiPS3_EEvT1_T3_lS5_lPS5_llPT2_S5_S5_S7_l.has_indirect_call, 0
	.section	.AMDGPU.csdata,"",@progbits
; Kernel info:
; codeLenInByte = 34656
; TotalNumSgprs: 30
; NumVgprs: 122
; NumAgprs: 0
; TotalNumVgprs: 122
; ScratchSize: 0
; MemoryBound: 0
; FloatMode: 240
; IeeeMode: 1
; LDSByteSize: 0 bytes/workgroup (compile time only)
; SGPRBlocks: 3
; VGPRBlocks: 15
; NumSGPRsForWavesPerEU: 30
; NumVGPRsForWavesPerEU: 122
; AccumOffset: 124
; Occupancy: 4
; WaveLimiterHint : 0
; COMPUTE_PGM_RSRC2:SCRATCH_EN: 0
; COMPUTE_PGM_RSRC2:USER_SGPR: 2
; COMPUTE_PGM_RSRC2:TRAP_HANDLER: 0
; COMPUTE_PGM_RSRC2:TGID_X_EN: 1
; COMPUTE_PGM_RSRC2:TGID_Y_EN: 1
; COMPUTE_PGM_RSRC2:TGID_Z_EN: 0
; COMPUTE_PGM_RSRC2:TIDIG_COMP_CNT: 1
; COMPUTE_PGM_RSRC3_GFX90A:ACCUM_OFFSET: 30
; COMPUTE_PGM_RSRC3_GFX90A:TG_SPLIT: 0
	.section	.text._ZN9rocsolver6v33100L23getf2_npvt_small_kernelILi21E19rocblas_complex_numIdEiiPS3_EEvT1_T3_lS5_lPT2_S5_S5_,"axG",@progbits,_ZN9rocsolver6v33100L23getf2_npvt_small_kernelILi21E19rocblas_complex_numIdEiiPS3_EEvT1_T3_lS5_lPT2_S5_S5_,comdat
	.globl	_ZN9rocsolver6v33100L23getf2_npvt_small_kernelILi21E19rocblas_complex_numIdEiiPS3_EEvT1_T3_lS5_lPT2_S5_S5_ ; -- Begin function _ZN9rocsolver6v33100L23getf2_npvt_small_kernelILi21E19rocblas_complex_numIdEiiPS3_EEvT1_T3_lS5_lPT2_S5_S5_
	.p2align	8
	.type	_ZN9rocsolver6v33100L23getf2_npvt_small_kernelILi21E19rocblas_complex_numIdEiiPS3_EEvT1_T3_lS5_lPT2_S5_S5_,@function
_ZN9rocsolver6v33100L23getf2_npvt_small_kernelILi21E19rocblas_complex_numIdEiiPS3_EEvT1_T3_lS5_lPT2_S5_S5_: ; @_ZN9rocsolver6v33100L23getf2_npvt_small_kernelILi21E19rocblas_complex_numIdEiiPS3_EEvT1_T3_lS5_lPT2_S5_S5_
; %bb.0:
	s_load_dword s2, s[0:1], 0x44
	s_load_dwordx2 s[8:9], s[0:1], 0x30
	v_bfe_u32 v84, v0, 10, 10
	s_waitcnt lgkmcnt(0)
	s_lshr_b32 s10, s2, 16
	s_mul_i32 s3, s3, s10
	v_add_u32_e32 v190, s3, v84
	v_cmp_gt_i32_e32 vcc, s8, v190
	s_and_saveexec_b64 s[2:3], vcc
	s_cbranch_execz .LBB41_192
; %bb.1:
	s_load_dwordx4 s[12:15], s[0:1], 0x8
	s_load_dword s2, s[0:1], 0x18
	s_load_dwordx4 s[4:7], s[0:1], 0x20
	v_ashrrev_i32_e32 v191, 31, v190
	v_and_b32_e32 v212, 0x3ff, v0
	s_waitcnt lgkmcnt(0)
	v_mov_b32_e32 v2, s12
	v_mov_b32_e32 v3, s13
	v_mul_lo_u32 v4, s5, v190
	v_mul_lo_u32 v5, s4, v191
	v_mad_u64_u32 v[0:1], s[0:1], s4, v190, 0
	v_add3_u32 v1, v1, v5, v4
	s_add_i32 s0, s2, s2
	v_lshl_add_u64 v[0:1], v[0:1], 4, v[2:3]
	v_add_u32_e32 v10, s0, v212
	v_lshl_add_u64 v[8:9], s[14:15], 4, v[0:1]
	v_ashrrev_i32_e32 v11, 31, v10
	v_lshl_add_u64 v[172:173], v[10:11], 4, v[8:9]
	v_add_u32_e32 v10, s2, v10
	v_ashrrev_i32_e32 v11, 31, v10
	v_lshl_add_u64 v[174:175], v[10:11], 4, v[8:9]
	v_add_u32_e32 v10, s2, v10
	;; [unrolled: 3-line block ×17, first 2 shown]
	v_ashrrev_i32_e32 v11, 31, v10
	v_lshlrev_b32_e32 v0, 4, v212
	v_mov_b32_e32 v1, 0
	v_lshl_add_u64 v[208:209], v[10:11], 4, v[8:9]
	v_add_u32_e32 v10, s2, v10
	s_ashr_i32 s3, s2, 31
	v_lshl_add_u64 v[168:169], v[8:9], 0, v[0:1]
	v_ashrrev_i32_e32 v11, 31, v10
	v_lshl_add_u64 v[170:171], s[2:3], 4, v[168:169]
	global_load_dwordx4 v[4:7], v[168:169], off
	global_load_dwordx4 v[0:3], v[170:171], off
	v_lshl_add_u64 v[210:211], v[10:11], 4, v[8:9]
	global_load_dwordx4 v[76:79], v[172:173], off
	global_load_dwordx4 v[72:75], v[174:175], off
	;; [unrolled: 1-line block ×19, first 2 shown]
	s_mulk_i32 s10, 0x150
	s_movk_i32 s0, 0x150
	s_add_i32 s1, s10, 0
	v_mad_u32_u24 v214, v84, s0, 0
	v_lshl_add_u32 v213, v84, 4, s1
	v_cmp_ne_u32_e64 s[2:3], 0, v212
	v_cmp_eq_u32_e64 s[0:1], 0, v212
	s_and_saveexec_b64 s[10:11], s[0:1]
	s_cbranch_execz .LBB41_8
; %bb.2:
	s_waitcnt vmcnt(20)
	ds_write2_b64 v213, v[4:5], v[6:7] offset1:1
	s_waitcnt vmcnt(19)
	ds_write2_b64 v214, v[0:1], v[2:3] offset0:2 offset1:3
	s_waitcnt vmcnt(18)
	ds_write2_b64 v214, v[76:77], v[78:79] offset0:4 offset1:5
	;; [unrolled: 2-line block ×20, first 2 shown]
	ds_read2_b64 v[84:87], v213 offset1:1
	s_waitcnt lgkmcnt(0)
	v_cmp_neq_f64_e32 vcc, 0, v[84:85]
	v_cmp_neq_f64_e64 s[4:5], 0, v[86:87]
	s_or_b64 s[4:5], vcc, s[4:5]
	s_and_b64 exec, exec, s[4:5]
	s_cbranch_execz .LBB41_8
; %bb.3:
	v_cmp_ngt_f64_e64 s[4:5], |v[84:85]|, |v[86:87]|
                                        ; implicit-def: $vgpr88_vgpr89
	s_and_saveexec_b64 s[12:13], s[4:5]
	s_xor_b64 s[4:5], exec, s[12:13]
                                        ; implicit-def: $vgpr90_vgpr91
	s_cbranch_execz .LBB41_5
; %bb.4:
	v_div_scale_f64 v[88:89], s[12:13], v[86:87], v[86:87], v[84:85]
	v_rcp_f64_e32 v[90:91], v[88:89]
	v_div_scale_f64 v[92:93], vcc, v[84:85], v[86:87], v[84:85]
	v_fma_f64 v[94:95], -v[88:89], v[90:91], 1.0
	v_fmac_f64_e32 v[90:91], v[90:91], v[94:95]
	v_fma_f64 v[94:95], -v[88:89], v[90:91], 1.0
	v_fmac_f64_e32 v[90:91], v[90:91], v[94:95]
	v_mul_f64 v[94:95], v[92:93], v[90:91]
	v_fma_f64 v[88:89], -v[88:89], v[94:95], v[92:93]
	v_div_fmas_f64 v[88:89], v[88:89], v[90:91], v[94:95]
	v_div_fixup_f64 v[88:89], v[88:89], v[86:87], v[84:85]
	v_fmac_f64_e32 v[86:87], v[84:85], v[88:89]
	v_div_scale_f64 v[84:85], s[12:13], v[86:87], v[86:87], 1.0
	v_rcp_f64_e32 v[90:91], v[84:85]
	s_nop 0
	v_fma_f64 v[92:93], -v[84:85], v[90:91], 1.0
	v_fmac_f64_e32 v[90:91], v[90:91], v[92:93]
	v_fma_f64 v[92:93], -v[84:85], v[90:91], 1.0
	v_fmac_f64_e32 v[90:91], v[90:91], v[92:93]
	v_div_scale_f64 v[92:93], vcc, 1.0, v[86:87], 1.0
	v_mul_f64 v[94:95], v[92:93], v[90:91]
	v_fma_f64 v[84:85], -v[84:85], v[94:95], v[92:93]
	s_nop 1
	v_div_fmas_f64 v[84:85], v[84:85], v[90:91], v[94:95]
	v_div_fixup_f64 v[90:91], v[84:85], v[86:87], 1.0
	v_mul_f64 v[88:89], v[88:89], v[90:91]
	v_xor_b32_e32 v91, 0x80000000, v91
                                        ; implicit-def: $vgpr84_vgpr85
.LBB41_5:
	s_andn2_saveexec_b64 s[4:5], s[4:5]
	s_cbranch_execz .LBB41_7
; %bb.6:
	v_div_scale_f64 v[88:89], s[12:13], v[84:85], v[84:85], v[86:87]
	v_rcp_f64_e32 v[90:91], v[88:89]
	v_div_scale_f64 v[92:93], vcc, v[86:87], v[84:85], v[86:87]
	v_fma_f64 v[94:95], -v[88:89], v[90:91], 1.0
	v_fmac_f64_e32 v[90:91], v[90:91], v[94:95]
	v_fma_f64 v[94:95], -v[88:89], v[90:91], 1.0
	v_fmac_f64_e32 v[90:91], v[90:91], v[94:95]
	v_mul_f64 v[94:95], v[92:93], v[90:91]
	v_fma_f64 v[88:89], -v[88:89], v[94:95], v[92:93]
	v_div_fmas_f64 v[88:89], v[88:89], v[90:91], v[94:95]
	v_div_fixup_f64 v[90:91], v[88:89], v[84:85], v[86:87]
	v_fmac_f64_e32 v[84:85], v[86:87], v[90:91]
	v_div_scale_f64 v[86:87], s[12:13], v[84:85], v[84:85], 1.0
	v_rcp_f64_e32 v[88:89], v[86:87]
	s_nop 0
	v_fma_f64 v[92:93], -v[86:87], v[88:89], 1.0
	v_fmac_f64_e32 v[88:89], v[88:89], v[92:93]
	v_fma_f64 v[92:93], -v[86:87], v[88:89], 1.0
	v_fmac_f64_e32 v[88:89], v[88:89], v[92:93]
	v_div_scale_f64 v[92:93], vcc, 1.0, v[84:85], 1.0
	v_mul_f64 v[94:95], v[92:93], v[88:89]
	v_fma_f64 v[86:87], -v[86:87], v[94:95], v[92:93]
	s_nop 1
	v_div_fmas_f64 v[86:87], v[86:87], v[88:89], v[94:95]
	v_div_fixup_f64 v[88:89], v[86:87], v[84:85], 1.0
	v_mul_f64 v[90:91], v[90:91], -v[88:89]
.LBB41_7:
	s_or_b64 exec, exec, s[4:5]
	ds_write2_b64 v213, v[88:89], v[90:91] offset1:1
.LBB41_8:
	s_or_b64 exec, exec, s[10:11]
	s_waitcnt lgkmcnt(0)
	s_barrier
	ds_read2_b64 v[84:87], v213 offset1:1
	s_and_saveexec_b64 s[4:5], s[2:3]
	s_cbranch_execz .LBB41_10
; %bb.9:
	ds_read2_b64 v[90:93], v214 offset0:2 offset1:3
	ds_read2_b64 v[94:97], v214 offset0:4 offset1:5
	s_waitcnt vmcnt(20) lgkmcnt(2)
	v_mul_f64 v[88:89], v[86:87], v[6:7]
	v_mul_f64 v[6:7], v[84:85], v[6:7]
	v_fmac_f64_e32 v[6:7], v[86:87], v[4:5]
	v_fma_f64 v[88:89], v[84:85], v[4:5], -v[88:89]
	s_waitcnt lgkmcnt(1)
	v_mul_f64 v[4:5], v[92:93], v[6:7]
	v_fma_f64 v[4:5], v[90:91], v[88:89], -v[4:5]
	v_mul_f64 v[90:91], v[90:91], v[6:7]
	v_fmac_f64_e32 v[90:91], v[92:93], v[88:89]
	s_waitcnt vmcnt(19)
	v_add_f64 v[0:1], v[0:1], -v[4:5]
	v_add_f64 v[2:3], v[2:3], -v[90:91]
	s_waitcnt lgkmcnt(0)
	v_mul_f64 v[4:5], v[96:97], v[6:7]
	ds_read2_b64 v[90:93], v214 offset0:6 offset1:7
	v_fma_f64 v[4:5], v[94:95], v[88:89], -v[4:5]
	v_mul_f64 v[94:95], v[94:95], v[6:7]
	v_fmac_f64_e32 v[94:95], v[96:97], v[88:89]
	s_waitcnt vmcnt(18)
	v_add_f64 v[78:79], v[78:79], -v[94:95]
	ds_read2_b64 v[94:97], v214 offset0:8 offset1:9
	v_add_f64 v[76:77], v[76:77], -v[4:5]
	s_waitcnt lgkmcnt(1)
	v_mul_f64 v[4:5], v[92:93], v[6:7]
	v_fma_f64 v[4:5], v[90:91], v[88:89], -v[4:5]
	v_mul_f64 v[90:91], v[90:91], v[6:7]
	v_fmac_f64_e32 v[90:91], v[92:93], v[88:89]
	s_waitcnt vmcnt(17)
	v_add_f64 v[72:73], v[72:73], -v[4:5]
	v_add_f64 v[74:75], v[74:75], -v[90:91]
	s_waitcnt lgkmcnt(0)
	v_mul_f64 v[4:5], v[96:97], v[6:7]
	ds_read2_b64 v[90:93], v214 offset0:10 offset1:11
	v_fma_f64 v[4:5], v[94:95], v[88:89], -v[4:5]
	v_mul_f64 v[94:95], v[94:95], v[6:7]
	v_fmac_f64_e32 v[94:95], v[96:97], v[88:89]
	s_waitcnt vmcnt(16)
	v_add_f64 v[70:71], v[70:71], -v[94:95]
	ds_read2_b64 v[94:97], v214 offset0:12 offset1:13
	v_add_f64 v[68:69], v[68:69], -v[4:5]
	;; [unrolled: 18-line block ×9, first 2 shown]
	s_waitcnt lgkmcnt(1)
	v_mul_f64 v[4:5], v[92:93], v[6:7]
	v_fma_f64 v[4:5], v[90:91], v[88:89], -v[4:5]
	v_mul_f64 v[90:91], v[90:91], v[6:7]
	v_fmac_f64_e32 v[90:91], v[92:93], v[88:89]
	s_waitcnt vmcnt(1)
	v_add_f64 v[8:9], v[8:9], -v[4:5]
	v_add_f64 v[10:11], v[10:11], -v[90:91]
	s_waitcnt lgkmcnt(0)
	v_mul_f64 v[4:5], v[96:97], v[6:7]
	v_mul_f64 v[90:91], v[94:95], v[6:7]
	v_fma_f64 v[4:5], v[94:95], v[88:89], -v[4:5]
	v_fmac_f64_e32 v[90:91], v[96:97], v[88:89]
	s_waitcnt vmcnt(0)
	v_add_f64 v[80:81], v[80:81], -v[4:5]
	v_add_f64 v[82:83], v[82:83], -v[90:91]
	v_mov_b64_e32 v[4:5], v[88:89]
.LBB41_10:
	s_or_b64 exec, exec, s[4:5]
	v_cmp_eq_u32_e32 vcc, 1, v212
	s_waitcnt lgkmcnt(0)
	s_barrier
	s_and_saveexec_b64 s[4:5], vcc
	s_cbranch_execz .LBB41_17
; %bb.11:
	s_waitcnt vmcnt(19)
	ds_write2_b64 v213, v[0:1], v[2:3] offset1:1
	s_waitcnt vmcnt(18)
	ds_write2_b64 v214, v[76:77], v[78:79] offset0:4 offset1:5
	s_waitcnt vmcnt(17)
	ds_write2_b64 v214, v[72:73], v[74:75] offset0:6 offset1:7
	;; [unrolled: 2-line block ×19, first 2 shown]
	ds_read2_b64 v[88:91], v213 offset1:1
	s_waitcnt lgkmcnt(0)
	v_cmp_neq_f64_e32 vcc, 0, v[88:89]
	v_cmp_neq_f64_e64 s[2:3], 0, v[90:91]
	s_or_b64 s[2:3], vcc, s[2:3]
	s_and_b64 exec, exec, s[2:3]
	s_cbranch_execz .LBB41_17
; %bb.12:
	v_cmp_ngt_f64_e64 s[2:3], |v[88:89]|, |v[90:91]|
                                        ; implicit-def: $vgpr92_vgpr93
	s_and_saveexec_b64 s[10:11], s[2:3]
	s_xor_b64 s[2:3], exec, s[10:11]
                                        ; implicit-def: $vgpr94_vgpr95
	s_cbranch_execz .LBB41_14
; %bb.13:
	v_div_scale_f64 v[92:93], s[10:11], v[90:91], v[90:91], v[88:89]
	v_rcp_f64_e32 v[94:95], v[92:93]
	v_div_scale_f64 v[96:97], vcc, v[88:89], v[90:91], v[88:89]
	v_fma_f64 v[98:99], -v[92:93], v[94:95], 1.0
	v_fmac_f64_e32 v[94:95], v[94:95], v[98:99]
	v_fma_f64 v[98:99], -v[92:93], v[94:95], 1.0
	v_fmac_f64_e32 v[94:95], v[94:95], v[98:99]
	v_mul_f64 v[98:99], v[96:97], v[94:95]
	v_fma_f64 v[92:93], -v[92:93], v[98:99], v[96:97]
	v_div_fmas_f64 v[92:93], v[92:93], v[94:95], v[98:99]
	v_div_fixup_f64 v[92:93], v[92:93], v[90:91], v[88:89]
	v_fmac_f64_e32 v[90:91], v[88:89], v[92:93]
	v_div_scale_f64 v[88:89], s[10:11], v[90:91], v[90:91], 1.0
	v_rcp_f64_e32 v[94:95], v[88:89]
	s_nop 0
	v_fma_f64 v[96:97], -v[88:89], v[94:95], 1.0
	v_fmac_f64_e32 v[94:95], v[94:95], v[96:97]
	v_fma_f64 v[96:97], -v[88:89], v[94:95], 1.0
	v_fmac_f64_e32 v[94:95], v[94:95], v[96:97]
	v_div_scale_f64 v[96:97], vcc, 1.0, v[90:91], 1.0
	v_mul_f64 v[98:99], v[96:97], v[94:95]
	v_fma_f64 v[88:89], -v[88:89], v[98:99], v[96:97]
	s_nop 1
	v_div_fmas_f64 v[88:89], v[88:89], v[94:95], v[98:99]
	v_div_fixup_f64 v[94:95], v[88:89], v[90:91], 1.0
	v_mul_f64 v[92:93], v[92:93], v[94:95]
	v_xor_b32_e32 v95, 0x80000000, v95
                                        ; implicit-def: $vgpr88_vgpr89
.LBB41_14:
	s_andn2_saveexec_b64 s[2:3], s[2:3]
	s_cbranch_execz .LBB41_16
; %bb.15:
	v_div_scale_f64 v[92:93], s[10:11], v[88:89], v[88:89], v[90:91]
	v_rcp_f64_e32 v[94:95], v[92:93]
	v_div_scale_f64 v[96:97], vcc, v[90:91], v[88:89], v[90:91]
	v_fma_f64 v[98:99], -v[92:93], v[94:95], 1.0
	v_fmac_f64_e32 v[94:95], v[94:95], v[98:99]
	v_fma_f64 v[98:99], -v[92:93], v[94:95], 1.0
	v_fmac_f64_e32 v[94:95], v[94:95], v[98:99]
	v_mul_f64 v[98:99], v[96:97], v[94:95]
	v_fma_f64 v[92:93], -v[92:93], v[98:99], v[96:97]
	v_div_fmas_f64 v[92:93], v[92:93], v[94:95], v[98:99]
	v_div_fixup_f64 v[94:95], v[92:93], v[88:89], v[90:91]
	v_fmac_f64_e32 v[88:89], v[90:91], v[94:95]
	v_div_scale_f64 v[90:91], s[10:11], v[88:89], v[88:89], 1.0
	v_rcp_f64_e32 v[92:93], v[90:91]
	s_nop 0
	v_fma_f64 v[96:97], -v[90:91], v[92:93], 1.0
	v_fmac_f64_e32 v[92:93], v[92:93], v[96:97]
	v_fma_f64 v[96:97], -v[90:91], v[92:93], 1.0
	v_fmac_f64_e32 v[92:93], v[92:93], v[96:97]
	v_div_scale_f64 v[96:97], vcc, 1.0, v[88:89], 1.0
	v_mul_f64 v[98:99], v[96:97], v[92:93]
	v_fma_f64 v[90:91], -v[90:91], v[98:99], v[96:97]
	s_nop 1
	v_div_fmas_f64 v[90:91], v[90:91], v[92:93], v[98:99]
	v_div_fixup_f64 v[92:93], v[90:91], v[88:89], 1.0
	v_mul_f64 v[94:95], v[94:95], -v[92:93]
.LBB41_16:
	s_or_b64 exec, exec, s[2:3]
	ds_write2_b64 v213, v[92:93], v[94:95] offset1:1
.LBB41_17:
	s_or_b64 exec, exec, s[4:5]
	s_waitcnt lgkmcnt(0)
	s_barrier
	ds_read2_b64 v[88:91], v213 offset1:1
	v_cmp_lt_u32_e32 vcc, 1, v212
	s_and_saveexec_b64 s[2:3], vcc
	s_cbranch_execz .LBB41_19
; %bb.18:
	ds_read2_b64 v[94:97], v214 offset0:4 offset1:5
	ds_read2_b64 v[98:101], v214 offset0:6 offset1:7
	s_waitcnt vmcnt(19) lgkmcnt(2)
	v_mul_f64 v[92:93], v[90:91], v[2:3]
	v_mul_f64 v[2:3], v[88:89], v[2:3]
	v_fmac_f64_e32 v[2:3], v[90:91], v[0:1]
	v_fma_f64 v[92:93], v[88:89], v[0:1], -v[92:93]
	s_waitcnt lgkmcnt(1)
	v_mul_f64 v[0:1], v[96:97], v[2:3]
	v_fma_f64 v[0:1], v[94:95], v[92:93], -v[0:1]
	v_mul_f64 v[94:95], v[94:95], v[2:3]
	v_fmac_f64_e32 v[94:95], v[96:97], v[92:93]
	s_waitcnt vmcnt(18)
	v_add_f64 v[78:79], v[78:79], -v[94:95]
	ds_read2_b64 v[94:97], v214 offset0:8 offset1:9
	v_add_f64 v[76:77], v[76:77], -v[0:1]
	s_waitcnt lgkmcnt(1)
	v_mul_f64 v[0:1], v[100:101], v[2:3]
	v_fma_f64 v[0:1], v[98:99], v[92:93], -v[0:1]
	v_mul_f64 v[98:99], v[98:99], v[2:3]
	v_fmac_f64_e32 v[98:99], v[100:101], v[92:93]
	s_waitcnt vmcnt(17)
	v_add_f64 v[72:73], v[72:73], -v[0:1]
	v_add_f64 v[74:75], v[74:75], -v[98:99]
	ds_read2_b64 v[98:101], v214 offset0:10 offset1:11
	s_waitcnt lgkmcnt(1)
	v_mul_f64 v[0:1], v[96:97], v[2:3]
	v_fma_f64 v[0:1], v[94:95], v[92:93], -v[0:1]
	v_mul_f64 v[94:95], v[94:95], v[2:3]
	v_fmac_f64_e32 v[94:95], v[96:97], v[92:93]
	s_waitcnt vmcnt(16)
	v_add_f64 v[70:71], v[70:71], -v[94:95]
	ds_read2_b64 v[94:97], v214 offset0:12 offset1:13
	v_add_f64 v[68:69], v[68:69], -v[0:1]
	s_waitcnt lgkmcnt(1)
	v_mul_f64 v[0:1], v[100:101], v[2:3]
	v_fma_f64 v[0:1], v[98:99], v[92:93], -v[0:1]
	v_mul_f64 v[98:99], v[98:99], v[2:3]
	v_fmac_f64_e32 v[98:99], v[100:101], v[92:93]
	s_waitcnt vmcnt(15)
	v_add_f64 v[64:65], v[64:65], -v[0:1]
	v_add_f64 v[66:67], v[66:67], -v[98:99]
	ds_read2_b64 v[98:101], v214 offset0:14 offset1:15
	;; [unrolled: 18-line block ×8, first 2 shown]
	s_waitcnt lgkmcnt(1)
	v_mul_f64 v[0:1], v[96:97], v[2:3]
	v_fma_f64 v[0:1], v[94:95], v[92:93], -v[0:1]
	v_mul_f64 v[94:95], v[94:95], v[2:3]
	v_fmac_f64_e32 v[94:95], v[96:97], v[92:93]
	s_waitcnt vmcnt(2)
	v_add_f64 v[14:15], v[14:15], -v[94:95]
	ds_read2_b64 v[94:97], v214 offset0:40 offset1:41
	v_add_f64 v[12:13], v[12:13], -v[0:1]
	s_waitcnt lgkmcnt(1)
	v_mul_f64 v[0:1], v[100:101], v[2:3]
	v_fma_f64 v[0:1], v[98:99], v[92:93], -v[0:1]
	s_waitcnt vmcnt(1)
	v_add_f64 v[8:9], v[8:9], -v[0:1]
	s_waitcnt lgkmcnt(0)
	v_mul_f64 v[0:1], v[96:97], v[2:3]
	v_mul_f64 v[98:99], v[98:99], v[2:3]
	v_fma_f64 v[0:1], v[94:95], v[92:93], -v[0:1]
	v_mul_f64 v[94:95], v[94:95], v[2:3]
	v_fmac_f64_e32 v[98:99], v[100:101], v[92:93]
	v_fmac_f64_e32 v[94:95], v[96:97], v[92:93]
	v_add_f64 v[10:11], v[10:11], -v[98:99]
	s_waitcnt vmcnt(0)
	v_add_f64 v[80:81], v[80:81], -v[0:1]
	v_add_f64 v[82:83], v[82:83], -v[94:95]
	v_mov_b64_e32 v[0:1], v[92:93]
.LBB41_19:
	s_or_b64 exec, exec, s[2:3]
	v_cmp_eq_u32_e32 vcc, 2, v212
	s_waitcnt lgkmcnt(0)
	s_barrier
	s_and_saveexec_b64 s[4:5], vcc
	s_cbranch_execz .LBB41_26
; %bb.20:
	s_waitcnt vmcnt(18)
	ds_write2_b64 v213, v[76:77], v[78:79] offset1:1
	s_waitcnt vmcnt(17)
	ds_write2_b64 v214, v[72:73], v[74:75] offset0:6 offset1:7
	s_waitcnt vmcnt(16)
	ds_write2_b64 v214, v[68:69], v[70:71] offset0:8 offset1:9
	;; [unrolled: 2-line block ×18, first 2 shown]
	ds_read2_b64 v[92:95], v213 offset1:1
	s_waitcnt lgkmcnt(0)
	v_cmp_neq_f64_e32 vcc, 0, v[92:93]
	v_cmp_neq_f64_e64 s[2:3], 0, v[94:95]
	s_or_b64 s[2:3], vcc, s[2:3]
	s_and_b64 exec, exec, s[2:3]
	s_cbranch_execz .LBB41_26
; %bb.21:
	v_cmp_ngt_f64_e64 s[2:3], |v[92:93]|, |v[94:95]|
                                        ; implicit-def: $vgpr96_vgpr97
	s_and_saveexec_b64 s[10:11], s[2:3]
	s_xor_b64 s[2:3], exec, s[10:11]
                                        ; implicit-def: $vgpr98_vgpr99
	s_cbranch_execz .LBB41_23
; %bb.22:
	v_div_scale_f64 v[96:97], s[10:11], v[94:95], v[94:95], v[92:93]
	v_rcp_f64_e32 v[98:99], v[96:97]
	v_div_scale_f64 v[100:101], vcc, v[92:93], v[94:95], v[92:93]
	v_fma_f64 v[102:103], -v[96:97], v[98:99], 1.0
	v_fmac_f64_e32 v[98:99], v[98:99], v[102:103]
	v_fma_f64 v[102:103], -v[96:97], v[98:99], 1.0
	v_fmac_f64_e32 v[98:99], v[98:99], v[102:103]
	v_mul_f64 v[102:103], v[100:101], v[98:99]
	v_fma_f64 v[96:97], -v[96:97], v[102:103], v[100:101]
	v_div_fmas_f64 v[96:97], v[96:97], v[98:99], v[102:103]
	v_div_fixup_f64 v[96:97], v[96:97], v[94:95], v[92:93]
	v_fmac_f64_e32 v[94:95], v[92:93], v[96:97]
	v_div_scale_f64 v[92:93], s[10:11], v[94:95], v[94:95], 1.0
	v_rcp_f64_e32 v[98:99], v[92:93]
	s_nop 0
	v_fma_f64 v[100:101], -v[92:93], v[98:99], 1.0
	v_fmac_f64_e32 v[98:99], v[98:99], v[100:101]
	v_fma_f64 v[100:101], -v[92:93], v[98:99], 1.0
	v_fmac_f64_e32 v[98:99], v[98:99], v[100:101]
	v_div_scale_f64 v[100:101], vcc, 1.0, v[94:95], 1.0
	v_mul_f64 v[102:103], v[100:101], v[98:99]
	v_fma_f64 v[92:93], -v[92:93], v[102:103], v[100:101]
	s_nop 1
	v_div_fmas_f64 v[92:93], v[92:93], v[98:99], v[102:103]
	v_div_fixup_f64 v[98:99], v[92:93], v[94:95], 1.0
	v_mul_f64 v[96:97], v[96:97], v[98:99]
	v_xor_b32_e32 v99, 0x80000000, v99
                                        ; implicit-def: $vgpr92_vgpr93
.LBB41_23:
	s_andn2_saveexec_b64 s[2:3], s[2:3]
	s_cbranch_execz .LBB41_25
; %bb.24:
	v_div_scale_f64 v[96:97], s[10:11], v[92:93], v[92:93], v[94:95]
	v_rcp_f64_e32 v[98:99], v[96:97]
	v_div_scale_f64 v[100:101], vcc, v[94:95], v[92:93], v[94:95]
	v_fma_f64 v[102:103], -v[96:97], v[98:99], 1.0
	v_fmac_f64_e32 v[98:99], v[98:99], v[102:103]
	v_fma_f64 v[102:103], -v[96:97], v[98:99], 1.0
	v_fmac_f64_e32 v[98:99], v[98:99], v[102:103]
	v_mul_f64 v[102:103], v[100:101], v[98:99]
	v_fma_f64 v[96:97], -v[96:97], v[102:103], v[100:101]
	v_div_fmas_f64 v[96:97], v[96:97], v[98:99], v[102:103]
	v_div_fixup_f64 v[98:99], v[96:97], v[92:93], v[94:95]
	v_fmac_f64_e32 v[92:93], v[94:95], v[98:99]
	v_div_scale_f64 v[94:95], s[10:11], v[92:93], v[92:93], 1.0
	v_rcp_f64_e32 v[96:97], v[94:95]
	s_nop 0
	v_fma_f64 v[100:101], -v[94:95], v[96:97], 1.0
	v_fmac_f64_e32 v[96:97], v[96:97], v[100:101]
	v_fma_f64 v[100:101], -v[94:95], v[96:97], 1.0
	v_fmac_f64_e32 v[96:97], v[96:97], v[100:101]
	v_div_scale_f64 v[100:101], vcc, 1.0, v[92:93], 1.0
	v_mul_f64 v[102:103], v[100:101], v[96:97]
	v_fma_f64 v[94:95], -v[94:95], v[102:103], v[100:101]
	s_nop 1
	v_div_fmas_f64 v[94:95], v[94:95], v[96:97], v[102:103]
	v_div_fixup_f64 v[96:97], v[94:95], v[92:93], 1.0
	v_mul_f64 v[98:99], v[98:99], -v[96:97]
.LBB41_25:
	s_or_b64 exec, exec, s[2:3]
	ds_write2_b64 v213, v[96:97], v[98:99] offset1:1
.LBB41_26:
	s_or_b64 exec, exec, s[4:5]
	s_waitcnt lgkmcnt(0)
	s_barrier
	ds_read2_b64 v[92:95], v213 offset1:1
	v_cmp_lt_u32_e32 vcc, 2, v212
	s_and_saveexec_b64 s[2:3], vcc
	s_cbranch_execz .LBB41_28
; %bb.27:
	ds_read2_b64 v[98:101], v214 offset0:6 offset1:7
	ds_read2_b64 v[102:105], v214 offset0:8 offset1:9
	s_waitcnt vmcnt(18) lgkmcnt(2)
	v_mul_f64 v[96:97], v[94:95], v[78:79]
	v_mul_f64 v[78:79], v[92:93], v[78:79]
	v_fmac_f64_e32 v[78:79], v[94:95], v[76:77]
	v_fma_f64 v[96:97], v[92:93], v[76:77], -v[96:97]
	s_waitcnt lgkmcnt(1)
	v_mul_f64 v[76:77], v[100:101], v[78:79]
	v_fma_f64 v[76:77], v[98:99], v[96:97], -v[76:77]
	v_mul_f64 v[98:99], v[98:99], v[78:79]
	v_fmac_f64_e32 v[98:99], v[100:101], v[96:97]
	s_waitcnt vmcnt(17)
	v_add_f64 v[72:73], v[72:73], -v[76:77]
	v_add_f64 v[74:75], v[74:75], -v[98:99]
	s_waitcnt lgkmcnt(0)
	v_mul_f64 v[76:77], v[104:105], v[78:79]
	ds_read2_b64 v[98:101], v214 offset0:10 offset1:11
	v_fma_f64 v[76:77], v[102:103], v[96:97], -v[76:77]
	v_mul_f64 v[102:103], v[102:103], v[78:79]
	v_fmac_f64_e32 v[102:103], v[104:105], v[96:97]
	s_waitcnt vmcnt(16)
	v_add_f64 v[70:71], v[70:71], -v[102:103]
	ds_read2_b64 v[102:105], v214 offset0:12 offset1:13
	v_add_f64 v[68:69], v[68:69], -v[76:77]
	s_waitcnt lgkmcnt(1)
	v_mul_f64 v[76:77], v[100:101], v[78:79]
	v_fma_f64 v[76:77], v[98:99], v[96:97], -v[76:77]
	v_mul_f64 v[98:99], v[98:99], v[78:79]
	v_fmac_f64_e32 v[98:99], v[100:101], v[96:97]
	s_waitcnt vmcnt(15)
	v_add_f64 v[64:65], v[64:65], -v[76:77]
	v_add_f64 v[66:67], v[66:67], -v[98:99]
	s_waitcnt lgkmcnt(0)
	v_mul_f64 v[76:77], v[104:105], v[78:79]
	ds_read2_b64 v[98:101], v214 offset0:14 offset1:15
	v_fma_f64 v[76:77], v[102:103], v[96:97], -v[76:77]
	v_mul_f64 v[102:103], v[102:103], v[78:79]
	v_fmac_f64_e32 v[102:103], v[104:105], v[96:97]
	s_waitcnt vmcnt(14)
	v_add_f64 v[62:63], v[62:63], -v[102:103]
	ds_read2_b64 v[102:105], v214 offset0:16 offset1:17
	v_add_f64 v[60:61], v[60:61], -v[76:77]
	;; [unrolled: 18-line block ×8, first 2 shown]
	s_waitcnt lgkmcnt(1)
	v_mul_f64 v[76:77], v[100:101], v[78:79]
	v_fma_f64 v[76:77], v[98:99], v[96:97], -v[76:77]
	v_mul_f64 v[98:99], v[98:99], v[78:79]
	v_fmac_f64_e32 v[98:99], v[100:101], v[96:97]
	s_waitcnt vmcnt(1)
	v_add_f64 v[8:9], v[8:9], -v[76:77]
	v_add_f64 v[10:11], v[10:11], -v[98:99]
	s_waitcnt lgkmcnt(0)
	v_mul_f64 v[76:77], v[104:105], v[78:79]
	v_mul_f64 v[98:99], v[102:103], v[78:79]
	v_fma_f64 v[76:77], v[102:103], v[96:97], -v[76:77]
	v_fmac_f64_e32 v[98:99], v[104:105], v[96:97]
	s_waitcnt vmcnt(0)
	v_add_f64 v[80:81], v[80:81], -v[76:77]
	v_add_f64 v[82:83], v[82:83], -v[98:99]
	v_mov_b64_e32 v[76:77], v[96:97]
.LBB41_28:
	s_or_b64 exec, exec, s[2:3]
	v_cmp_eq_u32_e32 vcc, 3, v212
	s_waitcnt lgkmcnt(0)
	s_barrier
	s_and_saveexec_b64 s[4:5], vcc
	s_cbranch_execz .LBB41_35
; %bb.29:
	s_waitcnt vmcnt(17)
	ds_write2_b64 v213, v[72:73], v[74:75] offset1:1
	s_waitcnt vmcnt(16)
	ds_write2_b64 v214, v[68:69], v[70:71] offset0:8 offset1:9
	s_waitcnt vmcnt(15)
	ds_write2_b64 v214, v[64:65], v[66:67] offset0:10 offset1:11
	;; [unrolled: 2-line block ×17, first 2 shown]
	ds_read2_b64 v[96:99], v213 offset1:1
	s_waitcnt lgkmcnt(0)
	v_cmp_neq_f64_e32 vcc, 0, v[96:97]
	v_cmp_neq_f64_e64 s[2:3], 0, v[98:99]
	s_or_b64 s[2:3], vcc, s[2:3]
	s_and_b64 exec, exec, s[2:3]
	s_cbranch_execz .LBB41_35
; %bb.30:
	v_cmp_ngt_f64_e64 s[2:3], |v[96:97]|, |v[98:99]|
                                        ; implicit-def: $vgpr100_vgpr101
	s_and_saveexec_b64 s[10:11], s[2:3]
	s_xor_b64 s[2:3], exec, s[10:11]
                                        ; implicit-def: $vgpr102_vgpr103
	s_cbranch_execz .LBB41_32
; %bb.31:
	v_div_scale_f64 v[100:101], s[10:11], v[98:99], v[98:99], v[96:97]
	v_rcp_f64_e32 v[102:103], v[100:101]
	v_div_scale_f64 v[104:105], vcc, v[96:97], v[98:99], v[96:97]
	v_fma_f64 v[106:107], -v[100:101], v[102:103], 1.0
	v_fmac_f64_e32 v[102:103], v[102:103], v[106:107]
	v_fma_f64 v[106:107], -v[100:101], v[102:103], 1.0
	v_fmac_f64_e32 v[102:103], v[102:103], v[106:107]
	v_mul_f64 v[106:107], v[104:105], v[102:103]
	v_fma_f64 v[100:101], -v[100:101], v[106:107], v[104:105]
	v_div_fmas_f64 v[100:101], v[100:101], v[102:103], v[106:107]
	v_div_fixup_f64 v[100:101], v[100:101], v[98:99], v[96:97]
	v_fmac_f64_e32 v[98:99], v[96:97], v[100:101]
	v_div_scale_f64 v[96:97], s[10:11], v[98:99], v[98:99], 1.0
	v_rcp_f64_e32 v[102:103], v[96:97]
	s_nop 0
	v_fma_f64 v[104:105], -v[96:97], v[102:103], 1.0
	v_fmac_f64_e32 v[102:103], v[102:103], v[104:105]
	v_fma_f64 v[104:105], -v[96:97], v[102:103], 1.0
	v_fmac_f64_e32 v[102:103], v[102:103], v[104:105]
	v_div_scale_f64 v[104:105], vcc, 1.0, v[98:99], 1.0
	v_mul_f64 v[106:107], v[104:105], v[102:103]
	v_fma_f64 v[96:97], -v[96:97], v[106:107], v[104:105]
	s_nop 1
	v_div_fmas_f64 v[96:97], v[96:97], v[102:103], v[106:107]
	v_div_fixup_f64 v[102:103], v[96:97], v[98:99], 1.0
	v_mul_f64 v[100:101], v[100:101], v[102:103]
	v_xor_b32_e32 v103, 0x80000000, v103
                                        ; implicit-def: $vgpr96_vgpr97
.LBB41_32:
	s_andn2_saveexec_b64 s[2:3], s[2:3]
	s_cbranch_execz .LBB41_34
; %bb.33:
	v_div_scale_f64 v[100:101], s[10:11], v[96:97], v[96:97], v[98:99]
	v_rcp_f64_e32 v[102:103], v[100:101]
	v_div_scale_f64 v[104:105], vcc, v[98:99], v[96:97], v[98:99]
	v_fma_f64 v[106:107], -v[100:101], v[102:103], 1.0
	v_fmac_f64_e32 v[102:103], v[102:103], v[106:107]
	v_fma_f64 v[106:107], -v[100:101], v[102:103], 1.0
	v_fmac_f64_e32 v[102:103], v[102:103], v[106:107]
	v_mul_f64 v[106:107], v[104:105], v[102:103]
	v_fma_f64 v[100:101], -v[100:101], v[106:107], v[104:105]
	v_div_fmas_f64 v[100:101], v[100:101], v[102:103], v[106:107]
	v_div_fixup_f64 v[102:103], v[100:101], v[96:97], v[98:99]
	v_fmac_f64_e32 v[96:97], v[98:99], v[102:103]
	v_div_scale_f64 v[98:99], s[10:11], v[96:97], v[96:97], 1.0
	v_rcp_f64_e32 v[100:101], v[98:99]
	s_nop 0
	v_fma_f64 v[104:105], -v[98:99], v[100:101], 1.0
	v_fmac_f64_e32 v[100:101], v[100:101], v[104:105]
	v_fma_f64 v[104:105], -v[98:99], v[100:101], 1.0
	v_fmac_f64_e32 v[100:101], v[100:101], v[104:105]
	v_div_scale_f64 v[104:105], vcc, 1.0, v[96:97], 1.0
	v_mul_f64 v[106:107], v[104:105], v[100:101]
	v_fma_f64 v[98:99], -v[98:99], v[106:107], v[104:105]
	s_nop 1
	v_div_fmas_f64 v[98:99], v[98:99], v[100:101], v[106:107]
	v_div_fixup_f64 v[100:101], v[98:99], v[96:97], 1.0
	v_mul_f64 v[102:103], v[102:103], -v[100:101]
.LBB41_34:
	s_or_b64 exec, exec, s[2:3]
	ds_write2_b64 v213, v[100:101], v[102:103] offset1:1
.LBB41_35:
	s_or_b64 exec, exec, s[4:5]
	s_waitcnt lgkmcnt(0)
	s_barrier
	ds_read2_b64 v[96:99], v213 offset1:1
	v_cmp_lt_u32_e32 vcc, 3, v212
	s_and_saveexec_b64 s[2:3], vcc
	s_cbranch_execz .LBB41_37
; %bb.36:
	ds_read2_b64 v[102:105], v214 offset0:8 offset1:9
	ds_read2_b64 v[106:109], v214 offset0:10 offset1:11
	s_waitcnt vmcnt(17) lgkmcnt(2)
	v_mul_f64 v[100:101], v[98:99], v[74:75]
	v_mul_f64 v[74:75], v[96:97], v[74:75]
	v_fmac_f64_e32 v[74:75], v[98:99], v[72:73]
	v_fma_f64 v[100:101], v[96:97], v[72:73], -v[100:101]
	s_waitcnt lgkmcnt(1)
	v_mul_f64 v[72:73], v[104:105], v[74:75]
	v_fma_f64 v[72:73], v[102:103], v[100:101], -v[72:73]
	v_mul_f64 v[102:103], v[102:103], v[74:75]
	v_fmac_f64_e32 v[102:103], v[104:105], v[100:101]
	s_waitcnt vmcnt(16)
	v_add_f64 v[70:71], v[70:71], -v[102:103]
	ds_read2_b64 v[102:105], v214 offset0:12 offset1:13
	v_add_f64 v[68:69], v[68:69], -v[72:73]
	s_waitcnt lgkmcnt(1)
	v_mul_f64 v[72:73], v[108:109], v[74:75]
	v_fma_f64 v[72:73], v[106:107], v[100:101], -v[72:73]
	v_mul_f64 v[106:107], v[106:107], v[74:75]
	v_fmac_f64_e32 v[106:107], v[108:109], v[100:101]
	s_waitcnt vmcnt(15)
	v_add_f64 v[64:65], v[64:65], -v[72:73]
	v_add_f64 v[66:67], v[66:67], -v[106:107]
	ds_read2_b64 v[106:109], v214 offset0:14 offset1:15
	s_waitcnt lgkmcnt(1)
	v_mul_f64 v[72:73], v[104:105], v[74:75]
	v_fma_f64 v[72:73], v[102:103], v[100:101], -v[72:73]
	v_mul_f64 v[102:103], v[102:103], v[74:75]
	v_fmac_f64_e32 v[102:103], v[104:105], v[100:101]
	s_waitcnt vmcnt(14)
	v_add_f64 v[62:63], v[62:63], -v[102:103]
	ds_read2_b64 v[102:105], v214 offset0:16 offset1:17
	v_add_f64 v[60:61], v[60:61], -v[72:73]
	s_waitcnt lgkmcnt(1)
	v_mul_f64 v[72:73], v[108:109], v[74:75]
	v_fma_f64 v[72:73], v[106:107], v[100:101], -v[72:73]
	v_mul_f64 v[106:107], v[106:107], v[74:75]
	v_fmac_f64_e32 v[106:107], v[108:109], v[100:101]
	s_waitcnt vmcnt(13)
	v_add_f64 v[56:57], v[56:57], -v[72:73]
	v_add_f64 v[58:59], v[58:59], -v[106:107]
	ds_read2_b64 v[106:109], v214 offset0:18 offset1:19
	s_waitcnt lgkmcnt(1)
	v_mul_f64 v[72:73], v[104:105], v[74:75]
	v_fma_f64 v[72:73], v[102:103], v[100:101], -v[72:73]
	v_mul_f64 v[102:103], v[102:103], v[74:75]
	v_fmac_f64_e32 v[102:103], v[104:105], v[100:101]
	s_waitcnt vmcnt(12)
	v_add_f64 v[54:55], v[54:55], -v[102:103]
	ds_read2_b64 v[102:105], v214 offset0:20 offset1:21
	v_add_f64 v[52:53], v[52:53], -v[72:73]
	s_waitcnt lgkmcnt(1)
	v_mul_f64 v[72:73], v[108:109], v[74:75]
	v_fma_f64 v[72:73], v[106:107], v[100:101], -v[72:73]
	v_mul_f64 v[106:107], v[106:107], v[74:75]
	v_fmac_f64_e32 v[106:107], v[108:109], v[100:101]
	s_waitcnt vmcnt(11)
	v_add_f64 v[48:49], v[48:49], -v[72:73]
	v_add_f64 v[50:51], v[50:51], -v[106:107]
	ds_read2_b64 v[106:109], v214 offset0:22 offset1:23
	s_waitcnt lgkmcnt(1)
	v_mul_f64 v[72:73], v[104:105], v[74:75]
	v_fma_f64 v[72:73], v[102:103], v[100:101], -v[72:73]
	v_mul_f64 v[102:103], v[102:103], v[74:75]
	v_fmac_f64_e32 v[102:103], v[104:105], v[100:101]
	s_waitcnt vmcnt(10)
	v_add_f64 v[46:47], v[46:47], -v[102:103]
	ds_read2_b64 v[102:105], v214 offset0:24 offset1:25
	v_add_f64 v[44:45], v[44:45], -v[72:73]
	s_waitcnt lgkmcnt(1)
	v_mul_f64 v[72:73], v[108:109], v[74:75]
	v_fma_f64 v[72:73], v[106:107], v[100:101], -v[72:73]
	v_mul_f64 v[106:107], v[106:107], v[74:75]
	v_fmac_f64_e32 v[106:107], v[108:109], v[100:101]
	s_waitcnt vmcnt(9)
	v_add_f64 v[40:41], v[40:41], -v[72:73]
	v_add_f64 v[42:43], v[42:43], -v[106:107]
	ds_read2_b64 v[106:109], v214 offset0:26 offset1:27
	s_waitcnt lgkmcnt(1)
	v_mul_f64 v[72:73], v[104:105], v[74:75]
	v_fma_f64 v[72:73], v[102:103], v[100:101], -v[72:73]
	v_mul_f64 v[102:103], v[102:103], v[74:75]
	v_fmac_f64_e32 v[102:103], v[104:105], v[100:101]
	s_waitcnt vmcnt(8)
	v_add_f64 v[38:39], v[38:39], -v[102:103]
	ds_read2_b64 v[102:105], v214 offset0:28 offset1:29
	v_add_f64 v[36:37], v[36:37], -v[72:73]
	s_waitcnt lgkmcnt(1)
	v_mul_f64 v[72:73], v[108:109], v[74:75]
	v_fma_f64 v[72:73], v[106:107], v[100:101], -v[72:73]
	v_mul_f64 v[106:107], v[106:107], v[74:75]
	v_fmac_f64_e32 v[106:107], v[108:109], v[100:101]
	s_waitcnt vmcnt(7)
	v_add_f64 v[32:33], v[32:33], -v[72:73]
	v_add_f64 v[34:35], v[34:35], -v[106:107]
	ds_read2_b64 v[106:109], v214 offset0:30 offset1:31
	s_waitcnt lgkmcnt(1)
	v_mul_f64 v[72:73], v[104:105], v[74:75]
	v_fma_f64 v[72:73], v[102:103], v[100:101], -v[72:73]
	v_mul_f64 v[102:103], v[102:103], v[74:75]
	v_fmac_f64_e32 v[102:103], v[104:105], v[100:101]
	s_waitcnt vmcnt(6)
	v_add_f64 v[30:31], v[30:31], -v[102:103]
	ds_read2_b64 v[102:105], v214 offset0:32 offset1:33
	v_add_f64 v[28:29], v[28:29], -v[72:73]
	s_waitcnt lgkmcnt(1)
	v_mul_f64 v[72:73], v[108:109], v[74:75]
	v_fma_f64 v[72:73], v[106:107], v[100:101], -v[72:73]
	v_mul_f64 v[106:107], v[106:107], v[74:75]
	v_fmac_f64_e32 v[106:107], v[108:109], v[100:101]
	s_waitcnt vmcnt(5)
	v_add_f64 v[24:25], v[24:25], -v[72:73]
	v_add_f64 v[26:27], v[26:27], -v[106:107]
	ds_read2_b64 v[106:109], v214 offset0:34 offset1:35
	s_waitcnt lgkmcnt(1)
	v_mul_f64 v[72:73], v[104:105], v[74:75]
	v_fma_f64 v[72:73], v[102:103], v[100:101], -v[72:73]
	v_mul_f64 v[102:103], v[102:103], v[74:75]
	v_fmac_f64_e32 v[102:103], v[104:105], v[100:101]
	s_waitcnt vmcnt(4)
	v_add_f64 v[22:23], v[22:23], -v[102:103]
	ds_read2_b64 v[102:105], v214 offset0:36 offset1:37
	v_add_f64 v[20:21], v[20:21], -v[72:73]
	s_waitcnt lgkmcnt(1)
	v_mul_f64 v[72:73], v[108:109], v[74:75]
	v_fma_f64 v[72:73], v[106:107], v[100:101], -v[72:73]
	v_mul_f64 v[106:107], v[106:107], v[74:75]
	v_fmac_f64_e32 v[106:107], v[108:109], v[100:101]
	s_waitcnt vmcnt(3)
	v_add_f64 v[16:17], v[16:17], -v[72:73]
	v_add_f64 v[18:19], v[18:19], -v[106:107]
	ds_read2_b64 v[106:109], v214 offset0:38 offset1:39
	s_waitcnt lgkmcnt(1)
	v_mul_f64 v[72:73], v[104:105], v[74:75]
	v_fma_f64 v[72:73], v[102:103], v[100:101], -v[72:73]
	v_mul_f64 v[102:103], v[102:103], v[74:75]
	v_fmac_f64_e32 v[102:103], v[104:105], v[100:101]
	s_waitcnt vmcnt(2)
	v_add_f64 v[14:15], v[14:15], -v[102:103]
	ds_read2_b64 v[102:105], v214 offset0:40 offset1:41
	v_add_f64 v[12:13], v[12:13], -v[72:73]
	s_waitcnt lgkmcnt(1)
	v_mul_f64 v[72:73], v[108:109], v[74:75]
	v_fma_f64 v[72:73], v[106:107], v[100:101], -v[72:73]
	s_waitcnt vmcnt(1)
	v_add_f64 v[8:9], v[8:9], -v[72:73]
	s_waitcnt lgkmcnt(0)
	v_mul_f64 v[72:73], v[104:105], v[74:75]
	v_mul_f64 v[106:107], v[106:107], v[74:75]
	v_fma_f64 v[72:73], v[102:103], v[100:101], -v[72:73]
	v_mul_f64 v[102:103], v[102:103], v[74:75]
	v_fmac_f64_e32 v[106:107], v[108:109], v[100:101]
	v_fmac_f64_e32 v[102:103], v[104:105], v[100:101]
	v_add_f64 v[10:11], v[10:11], -v[106:107]
	s_waitcnt vmcnt(0)
	v_add_f64 v[80:81], v[80:81], -v[72:73]
	v_add_f64 v[82:83], v[82:83], -v[102:103]
	v_mov_b64_e32 v[72:73], v[100:101]
.LBB41_37:
	s_or_b64 exec, exec, s[2:3]
	v_cmp_eq_u32_e32 vcc, 4, v212
	s_waitcnt lgkmcnt(0)
	s_barrier
	s_and_saveexec_b64 s[4:5], vcc
	s_cbranch_execz .LBB41_44
; %bb.38:
	s_waitcnt vmcnt(16)
	ds_write2_b64 v213, v[68:69], v[70:71] offset1:1
	s_waitcnt vmcnt(15)
	ds_write2_b64 v214, v[64:65], v[66:67] offset0:10 offset1:11
	s_waitcnt vmcnt(14)
	ds_write2_b64 v214, v[60:61], v[62:63] offset0:12 offset1:13
	;; [unrolled: 2-line block ×16, first 2 shown]
	ds_read2_b64 v[100:103], v213 offset1:1
	s_waitcnt lgkmcnt(0)
	v_cmp_neq_f64_e32 vcc, 0, v[100:101]
	v_cmp_neq_f64_e64 s[2:3], 0, v[102:103]
	s_or_b64 s[2:3], vcc, s[2:3]
	s_and_b64 exec, exec, s[2:3]
	s_cbranch_execz .LBB41_44
; %bb.39:
	v_cmp_ngt_f64_e64 s[2:3], |v[100:101]|, |v[102:103]|
                                        ; implicit-def: $vgpr104_vgpr105
	s_and_saveexec_b64 s[10:11], s[2:3]
	s_xor_b64 s[2:3], exec, s[10:11]
                                        ; implicit-def: $vgpr106_vgpr107
	s_cbranch_execz .LBB41_41
; %bb.40:
	v_div_scale_f64 v[104:105], s[10:11], v[102:103], v[102:103], v[100:101]
	v_rcp_f64_e32 v[106:107], v[104:105]
	v_div_scale_f64 v[108:109], vcc, v[100:101], v[102:103], v[100:101]
	v_fma_f64 v[110:111], -v[104:105], v[106:107], 1.0
	v_fmac_f64_e32 v[106:107], v[106:107], v[110:111]
	v_fma_f64 v[110:111], -v[104:105], v[106:107], 1.0
	v_fmac_f64_e32 v[106:107], v[106:107], v[110:111]
	v_mul_f64 v[110:111], v[108:109], v[106:107]
	v_fma_f64 v[104:105], -v[104:105], v[110:111], v[108:109]
	v_div_fmas_f64 v[104:105], v[104:105], v[106:107], v[110:111]
	v_div_fixup_f64 v[104:105], v[104:105], v[102:103], v[100:101]
	v_fmac_f64_e32 v[102:103], v[100:101], v[104:105]
	v_div_scale_f64 v[100:101], s[10:11], v[102:103], v[102:103], 1.0
	v_rcp_f64_e32 v[106:107], v[100:101]
	s_nop 0
	v_fma_f64 v[108:109], -v[100:101], v[106:107], 1.0
	v_fmac_f64_e32 v[106:107], v[106:107], v[108:109]
	v_fma_f64 v[108:109], -v[100:101], v[106:107], 1.0
	v_fmac_f64_e32 v[106:107], v[106:107], v[108:109]
	v_div_scale_f64 v[108:109], vcc, 1.0, v[102:103], 1.0
	v_mul_f64 v[110:111], v[108:109], v[106:107]
	v_fma_f64 v[100:101], -v[100:101], v[110:111], v[108:109]
	s_nop 1
	v_div_fmas_f64 v[100:101], v[100:101], v[106:107], v[110:111]
	v_div_fixup_f64 v[106:107], v[100:101], v[102:103], 1.0
	v_mul_f64 v[104:105], v[104:105], v[106:107]
	v_xor_b32_e32 v107, 0x80000000, v107
                                        ; implicit-def: $vgpr100_vgpr101
.LBB41_41:
	s_andn2_saveexec_b64 s[2:3], s[2:3]
	s_cbranch_execz .LBB41_43
; %bb.42:
	v_div_scale_f64 v[104:105], s[10:11], v[100:101], v[100:101], v[102:103]
	v_rcp_f64_e32 v[106:107], v[104:105]
	v_div_scale_f64 v[108:109], vcc, v[102:103], v[100:101], v[102:103]
	v_fma_f64 v[110:111], -v[104:105], v[106:107], 1.0
	v_fmac_f64_e32 v[106:107], v[106:107], v[110:111]
	v_fma_f64 v[110:111], -v[104:105], v[106:107], 1.0
	v_fmac_f64_e32 v[106:107], v[106:107], v[110:111]
	v_mul_f64 v[110:111], v[108:109], v[106:107]
	v_fma_f64 v[104:105], -v[104:105], v[110:111], v[108:109]
	v_div_fmas_f64 v[104:105], v[104:105], v[106:107], v[110:111]
	v_div_fixup_f64 v[106:107], v[104:105], v[100:101], v[102:103]
	v_fmac_f64_e32 v[100:101], v[102:103], v[106:107]
	v_div_scale_f64 v[102:103], s[10:11], v[100:101], v[100:101], 1.0
	v_rcp_f64_e32 v[104:105], v[102:103]
	s_nop 0
	v_fma_f64 v[108:109], -v[102:103], v[104:105], 1.0
	v_fmac_f64_e32 v[104:105], v[104:105], v[108:109]
	v_fma_f64 v[108:109], -v[102:103], v[104:105], 1.0
	v_fmac_f64_e32 v[104:105], v[104:105], v[108:109]
	v_div_scale_f64 v[108:109], vcc, 1.0, v[100:101], 1.0
	v_mul_f64 v[110:111], v[108:109], v[104:105]
	v_fma_f64 v[102:103], -v[102:103], v[110:111], v[108:109]
	s_nop 1
	v_div_fmas_f64 v[102:103], v[102:103], v[104:105], v[110:111]
	v_div_fixup_f64 v[104:105], v[102:103], v[100:101], 1.0
	v_mul_f64 v[106:107], v[106:107], -v[104:105]
.LBB41_43:
	s_or_b64 exec, exec, s[2:3]
	ds_write2_b64 v213, v[104:105], v[106:107] offset1:1
.LBB41_44:
	s_or_b64 exec, exec, s[4:5]
	s_waitcnt lgkmcnt(0)
	s_barrier
	ds_read2_b64 v[100:103], v213 offset1:1
	v_cmp_lt_u32_e32 vcc, 4, v212
	s_and_saveexec_b64 s[2:3], vcc
	s_cbranch_execz .LBB41_46
; %bb.45:
	ds_read2_b64 v[106:109], v214 offset0:10 offset1:11
	ds_read2_b64 v[110:113], v214 offset0:12 offset1:13
	s_waitcnt vmcnt(16) lgkmcnt(2)
	v_mul_f64 v[104:105], v[100:101], v[70:71]
	v_fmac_f64_e32 v[104:105], v[102:103], v[68:69]
	v_mul_f64 v[70:71], v[102:103], v[70:71]
	v_fma_f64 v[68:69], v[100:101], v[68:69], -v[70:71]
	s_waitcnt lgkmcnt(1)
	v_mul_f64 v[70:71], v[108:109], v[104:105]
	v_fma_f64 v[70:71], v[106:107], v[68:69], -v[70:71]
	v_mul_f64 v[106:107], v[106:107], v[104:105]
	v_fmac_f64_e32 v[106:107], v[108:109], v[68:69]
	s_waitcnt vmcnt(15)
	v_add_f64 v[64:65], v[64:65], -v[70:71]
	v_add_f64 v[66:67], v[66:67], -v[106:107]
	s_waitcnt lgkmcnt(0)
	v_mul_f64 v[70:71], v[112:113], v[104:105]
	ds_read2_b64 v[106:109], v214 offset0:14 offset1:15
	v_fma_f64 v[70:71], v[110:111], v[68:69], -v[70:71]
	v_mul_f64 v[110:111], v[110:111], v[104:105]
	v_fmac_f64_e32 v[110:111], v[112:113], v[68:69]
	s_waitcnt vmcnt(14)
	v_add_f64 v[62:63], v[62:63], -v[110:111]
	ds_read2_b64 v[110:113], v214 offset0:16 offset1:17
	v_add_f64 v[60:61], v[60:61], -v[70:71]
	s_waitcnt lgkmcnt(1)
	v_mul_f64 v[70:71], v[108:109], v[104:105]
	v_fma_f64 v[70:71], v[106:107], v[68:69], -v[70:71]
	v_mul_f64 v[106:107], v[106:107], v[104:105]
	v_fmac_f64_e32 v[106:107], v[108:109], v[68:69]
	s_waitcnt vmcnt(13)
	v_add_f64 v[56:57], v[56:57], -v[70:71]
	v_add_f64 v[58:59], v[58:59], -v[106:107]
	s_waitcnt lgkmcnt(0)
	v_mul_f64 v[70:71], v[112:113], v[104:105]
	ds_read2_b64 v[106:109], v214 offset0:18 offset1:19
	v_fma_f64 v[70:71], v[110:111], v[68:69], -v[70:71]
	v_mul_f64 v[110:111], v[110:111], v[104:105]
	v_fmac_f64_e32 v[110:111], v[112:113], v[68:69]
	s_waitcnt vmcnt(12)
	v_add_f64 v[54:55], v[54:55], -v[110:111]
	ds_read2_b64 v[110:113], v214 offset0:20 offset1:21
	v_add_f64 v[52:53], v[52:53], -v[70:71]
	;; [unrolled: 18-line block ×7, first 2 shown]
	s_waitcnt lgkmcnt(1)
	v_mul_f64 v[70:71], v[108:109], v[104:105]
	v_fma_f64 v[70:71], v[106:107], v[68:69], -v[70:71]
	v_mul_f64 v[106:107], v[106:107], v[104:105]
	v_fmac_f64_e32 v[106:107], v[108:109], v[68:69]
	s_waitcnt vmcnt(1)
	v_add_f64 v[8:9], v[8:9], -v[70:71]
	v_add_f64 v[10:11], v[10:11], -v[106:107]
	s_waitcnt lgkmcnt(0)
	v_mul_f64 v[70:71], v[112:113], v[104:105]
	v_mul_f64 v[106:107], v[110:111], v[104:105]
	v_fma_f64 v[70:71], v[110:111], v[68:69], -v[70:71]
	v_fmac_f64_e32 v[106:107], v[112:113], v[68:69]
	s_waitcnt vmcnt(0)
	v_add_f64 v[80:81], v[80:81], -v[70:71]
	v_add_f64 v[82:83], v[82:83], -v[106:107]
	v_mov_b64_e32 v[70:71], v[104:105]
.LBB41_46:
	s_or_b64 exec, exec, s[2:3]
	v_cmp_eq_u32_e32 vcc, 5, v212
	s_waitcnt lgkmcnt(0)
	s_barrier
	s_and_saveexec_b64 s[4:5], vcc
	s_cbranch_execz .LBB41_53
; %bb.47:
	s_waitcnt vmcnt(15)
	ds_write2_b64 v213, v[64:65], v[66:67] offset1:1
	s_waitcnt vmcnt(14)
	ds_write2_b64 v214, v[60:61], v[62:63] offset0:12 offset1:13
	s_waitcnt vmcnt(13)
	ds_write2_b64 v214, v[56:57], v[58:59] offset0:14 offset1:15
	s_waitcnt vmcnt(12)
	ds_write2_b64 v214, v[52:53], v[54:55] offset0:16 offset1:17
	s_waitcnt vmcnt(11)
	ds_write2_b64 v214, v[48:49], v[50:51] offset0:18 offset1:19
	s_waitcnt vmcnt(10)
	ds_write2_b64 v214, v[44:45], v[46:47] offset0:20 offset1:21
	s_waitcnt vmcnt(9)
	ds_write2_b64 v214, v[40:41], v[42:43] offset0:22 offset1:23
	s_waitcnt vmcnt(8)
	ds_write2_b64 v214, v[36:37], v[38:39] offset0:24 offset1:25
	s_waitcnt vmcnt(7)
	ds_write2_b64 v214, v[32:33], v[34:35] offset0:26 offset1:27
	s_waitcnt vmcnt(6)
	ds_write2_b64 v214, v[28:29], v[30:31] offset0:28 offset1:29
	s_waitcnt vmcnt(5)
	ds_write2_b64 v214, v[24:25], v[26:27] offset0:30 offset1:31
	s_waitcnt vmcnt(4)
	ds_write2_b64 v214, v[20:21], v[22:23] offset0:32 offset1:33
	s_waitcnt vmcnt(3)
	ds_write2_b64 v214, v[16:17], v[18:19] offset0:34 offset1:35
	s_waitcnt vmcnt(2)
	ds_write2_b64 v214, v[12:13], v[14:15] offset0:36 offset1:37
	s_waitcnt vmcnt(1)
	ds_write2_b64 v214, v[8:9], v[10:11] offset0:38 offset1:39
	s_waitcnt vmcnt(0)
	ds_write2_b64 v214, v[80:81], v[82:83] offset0:40 offset1:41
	ds_read2_b64 v[104:107], v213 offset1:1
	s_waitcnt lgkmcnt(0)
	v_cmp_neq_f64_e32 vcc, 0, v[104:105]
	v_cmp_neq_f64_e64 s[2:3], 0, v[106:107]
	s_or_b64 s[2:3], vcc, s[2:3]
	s_and_b64 exec, exec, s[2:3]
	s_cbranch_execz .LBB41_53
; %bb.48:
	v_cmp_ngt_f64_e64 s[2:3], |v[104:105]|, |v[106:107]|
                                        ; implicit-def: $vgpr108_vgpr109
	s_and_saveexec_b64 s[10:11], s[2:3]
	s_xor_b64 s[2:3], exec, s[10:11]
                                        ; implicit-def: $vgpr110_vgpr111
	s_cbranch_execz .LBB41_50
; %bb.49:
	v_div_scale_f64 v[108:109], s[10:11], v[106:107], v[106:107], v[104:105]
	v_rcp_f64_e32 v[110:111], v[108:109]
	v_div_scale_f64 v[112:113], vcc, v[104:105], v[106:107], v[104:105]
	v_fma_f64 v[114:115], -v[108:109], v[110:111], 1.0
	v_fmac_f64_e32 v[110:111], v[110:111], v[114:115]
	v_fma_f64 v[114:115], -v[108:109], v[110:111], 1.0
	v_fmac_f64_e32 v[110:111], v[110:111], v[114:115]
	v_mul_f64 v[114:115], v[112:113], v[110:111]
	v_fma_f64 v[108:109], -v[108:109], v[114:115], v[112:113]
	v_div_fmas_f64 v[108:109], v[108:109], v[110:111], v[114:115]
	v_div_fixup_f64 v[108:109], v[108:109], v[106:107], v[104:105]
	v_fmac_f64_e32 v[106:107], v[104:105], v[108:109]
	v_div_scale_f64 v[104:105], s[10:11], v[106:107], v[106:107], 1.0
	v_rcp_f64_e32 v[110:111], v[104:105]
	s_nop 0
	v_fma_f64 v[112:113], -v[104:105], v[110:111], 1.0
	v_fmac_f64_e32 v[110:111], v[110:111], v[112:113]
	v_fma_f64 v[112:113], -v[104:105], v[110:111], 1.0
	v_fmac_f64_e32 v[110:111], v[110:111], v[112:113]
	v_div_scale_f64 v[112:113], vcc, 1.0, v[106:107], 1.0
	v_mul_f64 v[114:115], v[112:113], v[110:111]
	v_fma_f64 v[104:105], -v[104:105], v[114:115], v[112:113]
	s_nop 1
	v_div_fmas_f64 v[104:105], v[104:105], v[110:111], v[114:115]
	v_div_fixup_f64 v[110:111], v[104:105], v[106:107], 1.0
	v_mul_f64 v[108:109], v[108:109], v[110:111]
	v_xor_b32_e32 v111, 0x80000000, v111
                                        ; implicit-def: $vgpr104_vgpr105
.LBB41_50:
	s_andn2_saveexec_b64 s[2:3], s[2:3]
	s_cbranch_execz .LBB41_52
; %bb.51:
	v_div_scale_f64 v[108:109], s[10:11], v[104:105], v[104:105], v[106:107]
	v_rcp_f64_e32 v[110:111], v[108:109]
	v_div_scale_f64 v[112:113], vcc, v[106:107], v[104:105], v[106:107]
	v_fma_f64 v[114:115], -v[108:109], v[110:111], 1.0
	v_fmac_f64_e32 v[110:111], v[110:111], v[114:115]
	v_fma_f64 v[114:115], -v[108:109], v[110:111], 1.0
	v_fmac_f64_e32 v[110:111], v[110:111], v[114:115]
	v_mul_f64 v[114:115], v[112:113], v[110:111]
	v_fma_f64 v[108:109], -v[108:109], v[114:115], v[112:113]
	v_div_fmas_f64 v[108:109], v[108:109], v[110:111], v[114:115]
	v_div_fixup_f64 v[110:111], v[108:109], v[104:105], v[106:107]
	v_fmac_f64_e32 v[104:105], v[106:107], v[110:111]
	v_div_scale_f64 v[106:107], s[10:11], v[104:105], v[104:105], 1.0
	v_rcp_f64_e32 v[108:109], v[106:107]
	s_nop 0
	v_fma_f64 v[112:113], -v[106:107], v[108:109], 1.0
	v_fmac_f64_e32 v[108:109], v[108:109], v[112:113]
	v_fma_f64 v[112:113], -v[106:107], v[108:109], 1.0
	v_fmac_f64_e32 v[108:109], v[108:109], v[112:113]
	v_div_scale_f64 v[112:113], vcc, 1.0, v[104:105], 1.0
	v_mul_f64 v[114:115], v[112:113], v[108:109]
	v_fma_f64 v[106:107], -v[106:107], v[114:115], v[112:113]
	s_nop 1
	v_div_fmas_f64 v[106:107], v[106:107], v[108:109], v[114:115]
	v_div_fixup_f64 v[108:109], v[106:107], v[104:105], 1.0
	v_mul_f64 v[110:111], v[110:111], -v[108:109]
.LBB41_52:
	s_or_b64 exec, exec, s[2:3]
	ds_write2_b64 v213, v[108:109], v[110:111] offset1:1
.LBB41_53:
	s_or_b64 exec, exec, s[4:5]
	s_waitcnt lgkmcnt(0)
	s_barrier
	ds_read2_b64 v[104:107], v213 offset1:1
	v_cmp_lt_u32_e32 vcc, 5, v212
	s_and_saveexec_b64 s[2:3], vcc
	s_cbranch_execz .LBB41_55
; %bb.54:
	ds_read2_b64 v[110:113], v214 offset0:12 offset1:13
	ds_read2_b64 v[114:117], v214 offset0:14 offset1:15
	s_waitcnt vmcnt(15) lgkmcnt(2)
	v_mul_f64 v[108:109], v[104:105], v[66:67]
	v_fmac_f64_e32 v[108:109], v[106:107], v[64:65]
	v_mul_f64 v[66:67], v[106:107], v[66:67]
	v_fma_f64 v[64:65], v[104:105], v[64:65], -v[66:67]
	s_waitcnt lgkmcnt(1)
	v_mul_f64 v[66:67], v[112:113], v[108:109]
	v_fma_f64 v[66:67], v[110:111], v[64:65], -v[66:67]
	v_mul_f64 v[110:111], v[110:111], v[108:109]
	v_fmac_f64_e32 v[110:111], v[112:113], v[64:65]
	s_waitcnt vmcnt(14)
	v_add_f64 v[62:63], v[62:63], -v[110:111]
	ds_read2_b64 v[110:113], v214 offset0:16 offset1:17
	v_add_f64 v[60:61], v[60:61], -v[66:67]
	s_waitcnt lgkmcnt(1)
	v_mul_f64 v[66:67], v[116:117], v[108:109]
	v_fma_f64 v[66:67], v[114:115], v[64:65], -v[66:67]
	v_mul_f64 v[114:115], v[114:115], v[108:109]
	v_fmac_f64_e32 v[114:115], v[116:117], v[64:65]
	s_waitcnt vmcnt(13)
	v_add_f64 v[56:57], v[56:57], -v[66:67]
	v_add_f64 v[58:59], v[58:59], -v[114:115]
	ds_read2_b64 v[114:117], v214 offset0:18 offset1:19
	s_waitcnt lgkmcnt(1)
	v_mul_f64 v[66:67], v[112:113], v[108:109]
	v_fma_f64 v[66:67], v[110:111], v[64:65], -v[66:67]
	v_mul_f64 v[110:111], v[110:111], v[108:109]
	v_fmac_f64_e32 v[110:111], v[112:113], v[64:65]
	s_waitcnt vmcnt(12)
	v_add_f64 v[54:55], v[54:55], -v[110:111]
	ds_read2_b64 v[110:113], v214 offset0:20 offset1:21
	v_add_f64 v[52:53], v[52:53], -v[66:67]
	s_waitcnt lgkmcnt(1)
	v_mul_f64 v[66:67], v[116:117], v[108:109]
	v_fma_f64 v[66:67], v[114:115], v[64:65], -v[66:67]
	v_mul_f64 v[114:115], v[114:115], v[108:109]
	v_fmac_f64_e32 v[114:115], v[116:117], v[64:65]
	s_waitcnt vmcnt(11)
	v_add_f64 v[48:49], v[48:49], -v[66:67]
	v_add_f64 v[50:51], v[50:51], -v[114:115]
	ds_read2_b64 v[114:117], v214 offset0:22 offset1:23
	;; [unrolled: 18-line block ×6, first 2 shown]
	s_waitcnt lgkmcnt(1)
	v_mul_f64 v[66:67], v[112:113], v[108:109]
	v_fma_f64 v[66:67], v[110:111], v[64:65], -v[66:67]
	v_mul_f64 v[110:111], v[110:111], v[108:109]
	v_fmac_f64_e32 v[110:111], v[112:113], v[64:65]
	s_waitcnt vmcnt(2)
	v_add_f64 v[14:15], v[14:15], -v[110:111]
	ds_read2_b64 v[110:113], v214 offset0:40 offset1:41
	v_add_f64 v[12:13], v[12:13], -v[66:67]
	s_waitcnt lgkmcnt(1)
	v_mul_f64 v[66:67], v[116:117], v[108:109]
	v_fma_f64 v[66:67], v[114:115], v[64:65], -v[66:67]
	s_waitcnt vmcnt(1)
	v_add_f64 v[8:9], v[8:9], -v[66:67]
	s_waitcnt lgkmcnt(0)
	v_mul_f64 v[66:67], v[112:113], v[108:109]
	v_mul_f64 v[114:115], v[114:115], v[108:109]
	v_fma_f64 v[66:67], v[110:111], v[64:65], -v[66:67]
	v_mul_f64 v[110:111], v[110:111], v[108:109]
	v_fmac_f64_e32 v[114:115], v[116:117], v[64:65]
	v_fmac_f64_e32 v[110:111], v[112:113], v[64:65]
	v_add_f64 v[10:11], v[10:11], -v[114:115]
	s_waitcnt vmcnt(0)
	v_add_f64 v[80:81], v[80:81], -v[66:67]
	v_add_f64 v[82:83], v[82:83], -v[110:111]
	v_mov_b64_e32 v[66:67], v[108:109]
.LBB41_55:
	s_or_b64 exec, exec, s[2:3]
	v_cmp_eq_u32_e32 vcc, 6, v212
	s_waitcnt lgkmcnt(0)
	s_barrier
	s_and_saveexec_b64 s[4:5], vcc
	s_cbranch_execz .LBB41_62
; %bb.56:
	s_waitcnt vmcnt(14)
	ds_write2_b64 v213, v[60:61], v[62:63] offset1:1
	s_waitcnt vmcnt(13)
	ds_write2_b64 v214, v[56:57], v[58:59] offset0:14 offset1:15
	s_waitcnt vmcnt(12)
	ds_write2_b64 v214, v[52:53], v[54:55] offset0:16 offset1:17
	;; [unrolled: 2-line block ×14, first 2 shown]
	ds_read2_b64 v[108:111], v213 offset1:1
	s_waitcnt lgkmcnt(0)
	v_cmp_neq_f64_e32 vcc, 0, v[108:109]
	v_cmp_neq_f64_e64 s[2:3], 0, v[110:111]
	s_or_b64 s[2:3], vcc, s[2:3]
	s_and_b64 exec, exec, s[2:3]
	s_cbranch_execz .LBB41_62
; %bb.57:
	v_cmp_ngt_f64_e64 s[2:3], |v[108:109]|, |v[110:111]|
                                        ; implicit-def: $vgpr112_vgpr113
	s_and_saveexec_b64 s[10:11], s[2:3]
	s_xor_b64 s[2:3], exec, s[10:11]
                                        ; implicit-def: $vgpr114_vgpr115
	s_cbranch_execz .LBB41_59
; %bb.58:
	v_div_scale_f64 v[112:113], s[10:11], v[110:111], v[110:111], v[108:109]
	v_rcp_f64_e32 v[114:115], v[112:113]
	v_div_scale_f64 v[116:117], vcc, v[108:109], v[110:111], v[108:109]
	v_fma_f64 v[118:119], -v[112:113], v[114:115], 1.0
	v_fmac_f64_e32 v[114:115], v[114:115], v[118:119]
	v_fma_f64 v[118:119], -v[112:113], v[114:115], 1.0
	v_fmac_f64_e32 v[114:115], v[114:115], v[118:119]
	v_mul_f64 v[118:119], v[116:117], v[114:115]
	v_fma_f64 v[112:113], -v[112:113], v[118:119], v[116:117]
	v_div_fmas_f64 v[112:113], v[112:113], v[114:115], v[118:119]
	v_div_fixup_f64 v[112:113], v[112:113], v[110:111], v[108:109]
	v_fmac_f64_e32 v[110:111], v[108:109], v[112:113]
	v_div_scale_f64 v[108:109], s[10:11], v[110:111], v[110:111], 1.0
	v_rcp_f64_e32 v[114:115], v[108:109]
	s_nop 0
	v_fma_f64 v[116:117], -v[108:109], v[114:115], 1.0
	v_fmac_f64_e32 v[114:115], v[114:115], v[116:117]
	v_fma_f64 v[116:117], -v[108:109], v[114:115], 1.0
	v_fmac_f64_e32 v[114:115], v[114:115], v[116:117]
	v_div_scale_f64 v[116:117], vcc, 1.0, v[110:111], 1.0
	v_mul_f64 v[118:119], v[116:117], v[114:115]
	v_fma_f64 v[108:109], -v[108:109], v[118:119], v[116:117]
	s_nop 1
	v_div_fmas_f64 v[108:109], v[108:109], v[114:115], v[118:119]
	v_div_fixup_f64 v[114:115], v[108:109], v[110:111], 1.0
	v_mul_f64 v[112:113], v[112:113], v[114:115]
	v_xor_b32_e32 v115, 0x80000000, v115
                                        ; implicit-def: $vgpr108_vgpr109
.LBB41_59:
	s_andn2_saveexec_b64 s[2:3], s[2:3]
	s_cbranch_execz .LBB41_61
; %bb.60:
	v_div_scale_f64 v[112:113], s[10:11], v[108:109], v[108:109], v[110:111]
	v_rcp_f64_e32 v[114:115], v[112:113]
	v_div_scale_f64 v[116:117], vcc, v[110:111], v[108:109], v[110:111]
	v_fma_f64 v[118:119], -v[112:113], v[114:115], 1.0
	v_fmac_f64_e32 v[114:115], v[114:115], v[118:119]
	v_fma_f64 v[118:119], -v[112:113], v[114:115], 1.0
	v_fmac_f64_e32 v[114:115], v[114:115], v[118:119]
	v_mul_f64 v[118:119], v[116:117], v[114:115]
	v_fma_f64 v[112:113], -v[112:113], v[118:119], v[116:117]
	v_div_fmas_f64 v[112:113], v[112:113], v[114:115], v[118:119]
	v_div_fixup_f64 v[114:115], v[112:113], v[108:109], v[110:111]
	v_fmac_f64_e32 v[108:109], v[110:111], v[114:115]
	v_div_scale_f64 v[110:111], s[10:11], v[108:109], v[108:109], 1.0
	v_rcp_f64_e32 v[112:113], v[110:111]
	s_nop 0
	v_fma_f64 v[116:117], -v[110:111], v[112:113], 1.0
	v_fmac_f64_e32 v[112:113], v[112:113], v[116:117]
	v_fma_f64 v[116:117], -v[110:111], v[112:113], 1.0
	v_fmac_f64_e32 v[112:113], v[112:113], v[116:117]
	v_div_scale_f64 v[116:117], vcc, 1.0, v[108:109], 1.0
	v_mul_f64 v[118:119], v[116:117], v[112:113]
	v_fma_f64 v[110:111], -v[110:111], v[118:119], v[116:117]
	s_nop 1
	v_div_fmas_f64 v[110:111], v[110:111], v[112:113], v[118:119]
	v_div_fixup_f64 v[112:113], v[110:111], v[108:109], 1.0
	v_mul_f64 v[114:115], v[114:115], -v[112:113]
.LBB41_61:
	s_or_b64 exec, exec, s[2:3]
	ds_write2_b64 v213, v[112:113], v[114:115] offset1:1
.LBB41_62:
	s_or_b64 exec, exec, s[4:5]
	s_waitcnt lgkmcnt(0)
	s_barrier
	ds_read2_b64 v[108:111], v213 offset1:1
	v_cmp_lt_u32_e32 vcc, 6, v212
	s_and_saveexec_b64 s[2:3], vcc
	s_cbranch_execz .LBB41_64
; %bb.63:
	ds_read2_b64 v[114:117], v214 offset0:14 offset1:15
	ds_read2_b64 v[118:121], v214 offset0:16 offset1:17
	s_waitcnt vmcnt(14) lgkmcnt(2)
	v_mul_f64 v[112:113], v[108:109], v[62:63]
	v_fmac_f64_e32 v[112:113], v[110:111], v[60:61]
	v_mul_f64 v[62:63], v[110:111], v[62:63]
	v_fma_f64 v[60:61], v[108:109], v[60:61], -v[62:63]
	s_waitcnt lgkmcnt(1)
	v_mul_f64 v[62:63], v[116:117], v[112:113]
	v_fma_f64 v[62:63], v[114:115], v[60:61], -v[62:63]
	v_mul_f64 v[114:115], v[114:115], v[112:113]
	v_fmac_f64_e32 v[114:115], v[116:117], v[60:61]
	s_waitcnt vmcnt(13)
	v_add_f64 v[56:57], v[56:57], -v[62:63]
	v_add_f64 v[58:59], v[58:59], -v[114:115]
	s_waitcnt lgkmcnt(0)
	v_mul_f64 v[62:63], v[120:121], v[112:113]
	ds_read2_b64 v[114:117], v214 offset0:18 offset1:19
	v_fma_f64 v[62:63], v[118:119], v[60:61], -v[62:63]
	v_mul_f64 v[118:119], v[118:119], v[112:113]
	v_fmac_f64_e32 v[118:119], v[120:121], v[60:61]
	s_waitcnt vmcnt(12)
	v_add_f64 v[54:55], v[54:55], -v[118:119]
	ds_read2_b64 v[118:121], v214 offset0:20 offset1:21
	v_add_f64 v[52:53], v[52:53], -v[62:63]
	s_waitcnt lgkmcnt(1)
	v_mul_f64 v[62:63], v[116:117], v[112:113]
	v_fma_f64 v[62:63], v[114:115], v[60:61], -v[62:63]
	v_mul_f64 v[114:115], v[114:115], v[112:113]
	v_fmac_f64_e32 v[114:115], v[116:117], v[60:61]
	s_waitcnt vmcnt(11)
	v_add_f64 v[48:49], v[48:49], -v[62:63]
	v_add_f64 v[50:51], v[50:51], -v[114:115]
	s_waitcnt lgkmcnt(0)
	v_mul_f64 v[62:63], v[120:121], v[112:113]
	ds_read2_b64 v[114:117], v214 offset0:22 offset1:23
	v_fma_f64 v[62:63], v[118:119], v[60:61], -v[62:63]
	v_mul_f64 v[118:119], v[118:119], v[112:113]
	v_fmac_f64_e32 v[118:119], v[120:121], v[60:61]
	s_waitcnt vmcnt(10)
	v_add_f64 v[46:47], v[46:47], -v[118:119]
	ds_read2_b64 v[118:121], v214 offset0:24 offset1:25
	v_add_f64 v[44:45], v[44:45], -v[62:63]
	;; [unrolled: 18-line block ×6, first 2 shown]
	s_waitcnt lgkmcnt(1)
	v_mul_f64 v[62:63], v[116:117], v[112:113]
	v_fma_f64 v[62:63], v[114:115], v[60:61], -v[62:63]
	v_mul_f64 v[114:115], v[114:115], v[112:113]
	v_fmac_f64_e32 v[114:115], v[116:117], v[60:61]
	s_waitcnt vmcnt(1)
	v_add_f64 v[8:9], v[8:9], -v[62:63]
	v_add_f64 v[10:11], v[10:11], -v[114:115]
	s_waitcnt lgkmcnt(0)
	v_mul_f64 v[62:63], v[120:121], v[112:113]
	v_mul_f64 v[114:115], v[118:119], v[112:113]
	v_fma_f64 v[62:63], v[118:119], v[60:61], -v[62:63]
	v_fmac_f64_e32 v[114:115], v[120:121], v[60:61]
	s_waitcnt vmcnt(0)
	v_add_f64 v[80:81], v[80:81], -v[62:63]
	v_add_f64 v[82:83], v[82:83], -v[114:115]
	v_mov_b64_e32 v[62:63], v[112:113]
.LBB41_64:
	s_or_b64 exec, exec, s[2:3]
	v_cmp_eq_u32_e32 vcc, 7, v212
	s_waitcnt lgkmcnt(0)
	s_barrier
	s_and_saveexec_b64 s[4:5], vcc
	s_cbranch_execz .LBB41_71
; %bb.65:
	s_waitcnt vmcnt(13)
	ds_write2_b64 v213, v[56:57], v[58:59] offset1:1
	s_waitcnt vmcnt(12)
	ds_write2_b64 v214, v[52:53], v[54:55] offset0:16 offset1:17
	s_waitcnt vmcnt(11)
	ds_write2_b64 v214, v[48:49], v[50:51] offset0:18 offset1:19
	;; [unrolled: 2-line block ×13, first 2 shown]
	ds_read2_b64 v[112:115], v213 offset1:1
	s_waitcnt lgkmcnt(0)
	v_cmp_neq_f64_e32 vcc, 0, v[112:113]
	v_cmp_neq_f64_e64 s[2:3], 0, v[114:115]
	s_or_b64 s[2:3], vcc, s[2:3]
	s_and_b64 exec, exec, s[2:3]
	s_cbranch_execz .LBB41_71
; %bb.66:
	v_cmp_ngt_f64_e64 s[2:3], |v[112:113]|, |v[114:115]|
                                        ; implicit-def: $vgpr116_vgpr117
	s_and_saveexec_b64 s[10:11], s[2:3]
	s_xor_b64 s[2:3], exec, s[10:11]
                                        ; implicit-def: $vgpr118_vgpr119
	s_cbranch_execz .LBB41_68
; %bb.67:
	v_div_scale_f64 v[116:117], s[10:11], v[114:115], v[114:115], v[112:113]
	v_rcp_f64_e32 v[118:119], v[116:117]
	v_div_scale_f64 v[120:121], vcc, v[112:113], v[114:115], v[112:113]
	v_fma_f64 v[122:123], -v[116:117], v[118:119], 1.0
	v_fmac_f64_e32 v[118:119], v[118:119], v[122:123]
	v_fma_f64 v[122:123], -v[116:117], v[118:119], 1.0
	v_fmac_f64_e32 v[118:119], v[118:119], v[122:123]
	v_mul_f64 v[122:123], v[120:121], v[118:119]
	v_fma_f64 v[116:117], -v[116:117], v[122:123], v[120:121]
	v_div_fmas_f64 v[116:117], v[116:117], v[118:119], v[122:123]
	v_div_fixup_f64 v[116:117], v[116:117], v[114:115], v[112:113]
	v_fmac_f64_e32 v[114:115], v[112:113], v[116:117]
	v_div_scale_f64 v[112:113], s[10:11], v[114:115], v[114:115], 1.0
	v_rcp_f64_e32 v[118:119], v[112:113]
	s_nop 0
	v_fma_f64 v[120:121], -v[112:113], v[118:119], 1.0
	v_fmac_f64_e32 v[118:119], v[118:119], v[120:121]
	v_fma_f64 v[120:121], -v[112:113], v[118:119], 1.0
	v_fmac_f64_e32 v[118:119], v[118:119], v[120:121]
	v_div_scale_f64 v[120:121], vcc, 1.0, v[114:115], 1.0
	v_mul_f64 v[122:123], v[120:121], v[118:119]
	v_fma_f64 v[112:113], -v[112:113], v[122:123], v[120:121]
	s_nop 1
	v_div_fmas_f64 v[112:113], v[112:113], v[118:119], v[122:123]
	v_div_fixup_f64 v[118:119], v[112:113], v[114:115], 1.0
	v_mul_f64 v[116:117], v[116:117], v[118:119]
	v_xor_b32_e32 v119, 0x80000000, v119
                                        ; implicit-def: $vgpr112_vgpr113
.LBB41_68:
	s_andn2_saveexec_b64 s[2:3], s[2:3]
	s_cbranch_execz .LBB41_70
; %bb.69:
	v_div_scale_f64 v[116:117], s[10:11], v[112:113], v[112:113], v[114:115]
	v_rcp_f64_e32 v[118:119], v[116:117]
	v_div_scale_f64 v[120:121], vcc, v[114:115], v[112:113], v[114:115]
	v_fma_f64 v[122:123], -v[116:117], v[118:119], 1.0
	v_fmac_f64_e32 v[118:119], v[118:119], v[122:123]
	v_fma_f64 v[122:123], -v[116:117], v[118:119], 1.0
	v_fmac_f64_e32 v[118:119], v[118:119], v[122:123]
	v_mul_f64 v[122:123], v[120:121], v[118:119]
	v_fma_f64 v[116:117], -v[116:117], v[122:123], v[120:121]
	v_div_fmas_f64 v[116:117], v[116:117], v[118:119], v[122:123]
	v_div_fixup_f64 v[118:119], v[116:117], v[112:113], v[114:115]
	v_fmac_f64_e32 v[112:113], v[114:115], v[118:119]
	v_div_scale_f64 v[114:115], s[10:11], v[112:113], v[112:113], 1.0
	v_rcp_f64_e32 v[116:117], v[114:115]
	s_nop 0
	v_fma_f64 v[120:121], -v[114:115], v[116:117], 1.0
	v_fmac_f64_e32 v[116:117], v[116:117], v[120:121]
	v_fma_f64 v[120:121], -v[114:115], v[116:117], 1.0
	v_fmac_f64_e32 v[116:117], v[116:117], v[120:121]
	v_div_scale_f64 v[120:121], vcc, 1.0, v[112:113], 1.0
	v_mul_f64 v[122:123], v[120:121], v[116:117]
	v_fma_f64 v[114:115], -v[114:115], v[122:123], v[120:121]
	s_nop 1
	v_div_fmas_f64 v[114:115], v[114:115], v[116:117], v[122:123]
	v_div_fixup_f64 v[116:117], v[114:115], v[112:113], 1.0
	v_mul_f64 v[118:119], v[118:119], -v[116:117]
.LBB41_70:
	s_or_b64 exec, exec, s[2:3]
	ds_write2_b64 v213, v[116:117], v[118:119] offset1:1
.LBB41_71:
	s_or_b64 exec, exec, s[4:5]
	s_waitcnt lgkmcnt(0)
	s_barrier
	ds_read2_b64 v[112:115], v213 offset1:1
	v_cmp_lt_u32_e32 vcc, 7, v212
	s_and_saveexec_b64 s[2:3], vcc
	s_cbranch_execz .LBB41_73
; %bb.72:
	ds_read2_b64 v[116:119], v214 offset0:16 offset1:17
	ds_read2_b64 v[120:123], v214 offset0:18 offset1:19
	s_waitcnt vmcnt(13) lgkmcnt(2)
	v_mul_f64 v[124:125], v[112:113], v[58:59]
	v_fmac_f64_e32 v[124:125], v[114:115], v[56:57]
	v_mul_f64 v[58:59], v[114:115], v[58:59]
	v_fma_f64 v[56:57], v[112:113], v[56:57], -v[58:59]
	s_waitcnt lgkmcnt(1)
	v_mul_f64 v[58:59], v[118:119], v[124:125]
	v_fma_f64 v[58:59], v[116:117], v[56:57], -v[58:59]
	v_mul_f64 v[116:117], v[116:117], v[124:125]
	v_fmac_f64_e32 v[116:117], v[118:119], v[56:57]
	s_waitcnt vmcnt(12)
	v_add_f64 v[54:55], v[54:55], -v[116:117]
	ds_read2_b64 v[116:119], v214 offset0:20 offset1:21
	v_add_f64 v[52:53], v[52:53], -v[58:59]
	s_waitcnt lgkmcnt(1)
	v_mul_f64 v[58:59], v[122:123], v[124:125]
	v_fma_f64 v[58:59], v[120:121], v[56:57], -v[58:59]
	v_mul_f64 v[120:121], v[120:121], v[124:125]
	v_fmac_f64_e32 v[120:121], v[122:123], v[56:57]
	s_waitcnt vmcnt(11)
	v_add_f64 v[48:49], v[48:49], -v[58:59]
	v_add_f64 v[50:51], v[50:51], -v[120:121]
	ds_read2_b64 v[120:123], v214 offset0:22 offset1:23
	s_waitcnt lgkmcnt(1)
	v_mul_f64 v[58:59], v[118:119], v[124:125]
	v_fma_f64 v[58:59], v[116:117], v[56:57], -v[58:59]
	v_mul_f64 v[116:117], v[116:117], v[124:125]
	v_fmac_f64_e32 v[116:117], v[118:119], v[56:57]
	s_waitcnt vmcnt(10)
	v_add_f64 v[46:47], v[46:47], -v[116:117]
	ds_read2_b64 v[116:119], v214 offset0:24 offset1:25
	v_add_f64 v[44:45], v[44:45], -v[58:59]
	s_waitcnt lgkmcnt(1)
	v_mul_f64 v[58:59], v[122:123], v[124:125]
	v_fma_f64 v[58:59], v[120:121], v[56:57], -v[58:59]
	v_mul_f64 v[120:121], v[120:121], v[124:125]
	v_fmac_f64_e32 v[120:121], v[122:123], v[56:57]
	s_waitcnt vmcnt(9)
	v_add_f64 v[40:41], v[40:41], -v[58:59]
	v_add_f64 v[42:43], v[42:43], -v[120:121]
	ds_read2_b64 v[120:123], v214 offset0:26 offset1:27
	;; [unrolled: 18-line block ×5, first 2 shown]
	s_waitcnt lgkmcnt(1)
	v_mul_f64 v[58:59], v[118:119], v[124:125]
	v_fma_f64 v[58:59], v[116:117], v[56:57], -v[58:59]
	v_mul_f64 v[116:117], v[116:117], v[124:125]
	v_fmac_f64_e32 v[116:117], v[118:119], v[56:57]
	s_waitcnt vmcnt(2)
	v_add_f64 v[14:15], v[14:15], -v[116:117]
	ds_read2_b64 v[116:119], v214 offset0:40 offset1:41
	v_add_f64 v[12:13], v[12:13], -v[58:59]
	s_waitcnt lgkmcnt(1)
	v_mul_f64 v[58:59], v[122:123], v[124:125]
	v_fma_f64 v[58:59], v[120:121], v[56:57], -v[58:59]
	s_waitcnt vmcnt(1)
	v_add_f64 v[8:9], v[8:9], -v[58:59]
	s_waitcnt lgkmcnt(0)
	v_mul_f64 v[58:59], v[118:119], v[124:125]
	v_mul_f64 v[120:121], v[120:121], v[124:125]
	v_fma_f64 v[58:59], v[116:117], v[56:57], -v[58:59]
	v_mul_f64 v[116:117], v[116:117], v[124:125]
	v_fmac_f64_e32 v[120:121], v[122:123], v[56:57]
	v_fmac_f64_e32 v[116:117], v[118:119], v[56:57]
	v_add_f64 v[10:11], v[10:11], -v[120:121]
	s_waitcnt vmcnt(0)
	v_add_f64 v[80:81], v[80:81], -v[58:59]
	v_add_f64 v[82:83], v[82:83], -v[116:117]
	v_mov_b64_e32 v[58:59], v[124:125]
.LBB41_73:
	s_or_b64 exec, exec, s[2:3]
	v_cmp_eq_u32_e32 vcc, 8, v212
	s_waitcnt lgkmcnt(0)
	s_barrier
	s_and_saveexec_b64 s[4:5], vcc
	s_cbranch_execz .LBB41_80
; %bb.74:
	s_waitcnt vmcnt(12)
	ds_write2_b64 v213, v[52:53], v[54:55] offset1:1
	s_waitcnt vmcnt(11)
	ds_write2_b64 v214, v[48:49], v[50:51] offset0:18 offset1:19
	s_waitcnt vmcnt(10)
	ds_write2_b64 v214, v[44:45], v[46:47] offset0:20 offset1:21
	;; [unrolled: 2-line block ×12, first 2 shown]
	ds_read2_b64 v[116:119], v213 offset1:1
	s_waitcnt lgkmcnt(0)
	v_cmp_neq_f64_e32 vcc, 0, v[116:117]
	v_cmp_neq_f64_e64 s[2:3], 0, v[118:119]
	s_or_b64 s[2:3], vcc, s[2:3]
	s_and_b64 exec, exec, s[2:3]
	s_cbranch_execz .LBB41_80
; %bb.75:
	v_cmp_ngt_f64_e64 s[2:3], |v[116:117]|, |v[118:119]|
                                        ; implicit-def: $vgpr120_vgpr121
	s_and_saveexec_b64 s[10:11], s[2:3]
	s_xor_b64 s[2:3], exec, s[10:11]
                                        ; implicit-def: $vgpr122_vgpr123
	s_cbranch_execz .LBB41_77
; %bb.76:
	v_div_scale_f64 v[120:121], s[10:11], v[118:119], v[118:119], v[116:117]
	v_rcp_f64_e32 v[122:123], v[120:121]
	v_div_scale_f64 v[124:125], vcc, v[116:117], v[118:119], v[116:117]
	v_fma_f64 v[126:127], -v[120:121], v[122:123], 1.0
	v_fmac_f64_e32 v[122:123], v[122:123], v[126:127]
	v_fma_f64 v[126:127], -v[120:121], v[122:123], 1.0
	v_fmac_f64_e32 v[122:123], v[122:123], v[126:127]
	v_mul_f64 v[126:127], v[124:125], v[122:123]
	v_fma_f64 v[120:121], -v[120:121], v[126:127], v[124:125]
	v_div_fmas_f64 v[120:121], v[120:121], v[122:123], v[126:127]
	v_div_fixup_f64 v[120:121], v[120:121], v[118:119], v[116:117]
	v_fmac_f64_e32 v[118:119], v[116:117], v[120:121]
	v_div_scale_f64 v[116:117], s[10:11], v[118:119], v[118:119], 1.0
	v_rcp_f64_e32 v[122:123], v[116:117]
	s_nop 0
	v_fma_f64 v[124:125], -v[116:117], v[122:123], 1.0
	v_fmac_f64_e32 v[122:123], v[122:123], v[124:125]
	v_fma_f64 v[124:125], -v[116:117], v[122:123], 1.0
	v_fmac_f64_e32 v[122:123], v[122:123], v[124:125]
	v_div_scale_f64 v[124:125], vcc, 1.0, v[118:119], 1.0
	v_mul_f64 v[126:127], v[124:125], v[122:123]
	v_fma_f64 v[116:117], -v[116:117], v[126:127], v[124:125]
	s_nop 1
	v_div_fmas_f64 v[116:117], v[116:117], v[122:123], v[126:127]
	v_div_fixup_f64 v[122:123], v[116:117], v[118:119], 1.0
	v_mul_f64 v[120:121], v[120:121], v[122:123]
	v_xor_b32_e32 v123, 0x80000000, v123
                                        ; implicit-def: $vgpr116_vgpr117
.LBB41_77:
	s_andn2_saveexec_b64 s[2:3], s[2:3]
	s_cbranch_execz .LBB41_79
; %bb.78:
	v_div_scale_f64 v[120:121], s[10:11], v[116:117], v[116:117], v[118:119]
	v_rcp_f64_e32 v[122:123], v[120:121]
	v_div_scale_f64 v[124:125], vcc, v[118:119], v[116:117], v[118:119]
	v_fma_f64 v[126:127], -v[120:121], v[122:123], 1.0
	v_fmac_f64_e32 v[122:123], v[122:123], v[126:127]
	v_fma_f64 v[126:127], -v[120:121], v[122:123], 1.0
	v_fmac_f64_e32 v[122:123], v[122:123], v[126:127]
	v_mul_f64 v[126:127], v[124:125], v[122:123]
	v_fma_f64 v[120:121], -v[120:121], v[126:127], v[124:125]
	v_div_fmas_f64 v[120:121], v[120:121], v[122:123], v[126:127]
	v_div_fixup_f64 v[122:123], v[120:121], v[116:117], v[118:119]
	v_fmac_f64_e32 v[116:117], v[118:119], v[122:123]
	v_div_scale_f64 v[118:119], s[10:11], v[116:117], v[116:117], 1.0
	v_rcp_f64_e32 v[120:121], v[118:119]
	s_nop 0
	v_fma_f64 v[124:125], -v[118:119], v[120:121], 1.0
	v_fmac_f64_e32 v[120:121], v[120:121], v[124:125]
	v_fma_f64 v[124:125], -v[118:119], v[120:121], 1.0
	v_fmac_f64_e32 v[120:121], v[120:121], v[124:125]
	v_div_scale_f64 v[124:125], vcc, 1.0, v[116:117], 1.0
	v_mul_f64 v[126:127], v[124:125], v[120:121]
	v_fma_f64 v[118:119], -v[118:119], v[126:127], v[124:125]
	s_nop 1
	v_div_fmas_f64 v[118:119], v[118:119], v[120:121], v[126:127]
	v_div_fixup_f64 v[120:121], v[118:119], v[116:117], 1.0
	v_mul_f64 v[122:123], v[122:123], -v[120:121]
.LBB41_79:
	s_or_b64 exec, exec, s[2:3]
	ds_write2_b64 v213, v[120:121], v[122:123] offset1:1
.LBB41_80:
	s_or_b64 exec, exec, s[4:5]
	s_waitcnt lgkmcnt(0)
	s_barrier
	ds_read2_b64 v[116:119], v213 offset1:1
	v_cmp_lt_u32_e32 vcc, 8, v212
	s_and_saveexec_b64 s[2:3], vcc
	s_cbranch_execz .LBB41_82
; %bb.81:
	ds_read2_b64 v[120:123], v214 offset0:18 offset1:19
	ds_read2_b64 v[124:127], v214 offset0:20 offset1:21
	s_waitcnt vmcnt(12) lgkmcnt(2)
	v_mul_f64 v[128:129], v[116:117], v[54:55]
	v_fmac_f64_e32 v[128:129], v[118:119], v[52:53]
	v_mul_f64 v[54:55], v[118:119], v[54:55]
	v_fma_f64 v[52:53], v[116:117], v[52:53], -v[54:55]
	s_waitcnt lgkmcnt(1)
	v_mul_f64 v[54:55], v[122:123], v[128:129]
	v_fma_f64 v[54:55], v[120:121], v[52:53], -v[54:55]
	v_mul_f64 v[120:121], v[120:121], v[128:129]
	v_fmac_f64_e32 v[120:121], v[122:123], v[52:53]
	s_waitcnt vmcnt(11)
	v_add_f64 v[48:49], v[48:49], -v[54:55]
	v_add_f64 v[50:51], v[50:51], -v[120:121]
	s_waitcnt lgkmcnt(0)
	v_mul_f64 v[54:55], v[126:127], v[128:129]
	ds_read2_b64 v[120:123], v214 offset0:22 offset1:23
	v_fma_f64 v[54:55], v[124:125], v[52:53], -v[54:55]
	v_mul_f64 v[124:125], v[124:125], v[128:129]
	v_fmac_f64_e32 v[124:125], v[126:127], v[52:53]
	s_waitcnt vmcnt(10)
	v_add_f64 v[46:47], v[46:47], -v[124:125]
	ds_read2_b64 v[124:127], v214 offset0:24 offset1:25
	v_add_f64 v[44:45], v[44:45], -v[54:55]
	s_waitcnt lgkmcnt(1)
	v_mul_f64 v[54:55], v[122:123], v[128:129]
	v_fma_f64 v[54:55], v[120:121], v[52:53], -v[54:55]
	v_mul_f64 v[120:121], v[120:121], v[128:129]
	v_fmac_f64_e32 v[120:121], v[122:123], v[52:53]
	s_waitcnt vmcnt(9)
	v_add_f64 v[40:41], v[40:41], -v[54:55]
	v_add_f64 v[42:43], v[42:43], -v[120:121]
	s_waitcnt lgkmcnt(0)
	v_mul_f64 v[54:55], v[126:127], v[128:129]
	ds_read2_b64 v[120:123], v214 offset0:26 offset1:27
	v_fma_f64 v[54:55], v[124:125], v[52:53], -v[54:55]
	v_mul_f64 v[124:125], v[124:125], v[128:129]
	v_fmac_f64_e32 v[124:125], v[126:127], v[52:53]
	s_waitcnt vmcnt(8)
	v_add_f64 v[38:39], v[38:39], -v[124:125]
	ds_read2_b64 v[124:127], v214 offset0:28 offset1:29
	v_add_f64 v[36:37], v[36:37], -v[54:55]
	;; [unrolled: 18-line block ×5, first 2 shown]
	s_waitcnt lgkmcnt(1)
	v_mul_f64 v[54:55], v[122:123], v[128:129]
	v_fma_f64 v[54:55], v[120:121], v[52:53], -v[54:55]
	v_mul_f64 v[120:121], v[120:121], v[128:129]
	v_fmac_f64_e32 v[120:121], v[122:123], v[52:53]
	s_waitcnt vmcnt(1)
	v_add_f64 v[8:9], v[8:9], -v[54:55]
	v_add_f64 v[10:11], v[10:11], -v[120:121]
	s_waitcnt lgkmcnt(0)
	v_mul_f64 v[54:55], v[126:127], v[128:129]
	v_mul_f64 v[120:121], v[124:125], v[128:129]
	v_fma_f64 v[54:55], v[124:125], v[52:53], -v[54:55]
	v_fmac_f64_e32 v[120:121], v[126:127], v[52:53]
	s_waitcnt vmcnt(0)
	v_add_f64 v[80:81], v[80:81], -v[54:55]
	v_add_f64 v[82:83], v[82:83], -v[120:121]
	v_mov_b64_e32 v[54:55], v[128:129]
.LBB41_82:
	s_or_b64 exec, exec, s[2:3]
	v_cmp_eq_u32_e32 vcc, 9, v212
	s_waitcnt lgkmcnt(0)
	s_barrier
	s_and_saveexec_b64 s[4:5], vcc
	s_cbranch_execz .LBB41_89
; %bb.83:
	s_waitcnt vmcnt(11)
	ds_write2_b64 v213, v[48:49], v[50:51] offset1:1
	s_waitcnt vmcnt(10)
	ds_write2_b64 v214, v[44:45], v[46:47] offset0:20 offset1:21
	s_waitcnt vmcnt(9)
	ds_write2_b64 v214, v[40:41], v[42:43] offset0:22 offset1:23
	;; [unrolled: 2-line block ×11, first 2 shown]
	ds_read2_b64 v[120:123], v213 offset1:1
	s_waitcnt lgkmcnt(0)
	v_cmp_neq_f64_e32 vcc, 0, v[120:121]
	v_cmp_neq_f64_e64 s[2:3], 0, v[122:123]
	s_or_b64 s[2:3], vcc, s[2:3]
	s_and_b64 exec, exec, s[2:3]
	s_cbranch_execz .LBB41_89
; %bb.84:
	v_cmp_ngt_f64_e64 s[2:3], |v[120:121]|, |v[122:123]|
                                        ; implicit-def: $vgpr124_vgpr125
	s_and_saveexec_b64 s[10:11], s[2:3]
	s_xor_b64 s[2:3], exec, s[10:11]
                                        ; implicit-def: $vgpr126_vgpr127
	s_cbranch_execz .LBB41_86
; %bb.85:
	v_div_scale_f64 v[124:125], s[10:11], v[122:123], v[122:123], v[120:121]
	v_rcp_f64_e32 v[126:127], v[124:125]
	v_div_scale_f64 v[128:129], vcc, v[120:121], v[122:123], v[120:121]
	v_fma_f64 v[130:131], -v[124:125], v[126:127], 1.0
	v_fmac_f64_e32 v[126:127], v[126:127], v[130:131]
	v_fma_f64 v[130:131], -v[124:125], v[126:127], 1.0
	v_fmac_f64_e32 v[126:127], v[126:127], v[130:131]
	v_mul_f64 v[130:131], v[128:129], v[126:127]
	v_fma_f64 v[124:125], -v[124:125], v[130:131], v[128:129]
	v_div_fmas_f64 v[124:125], v[124:125], v[126:127], v[130:131]
	v_div_fixup_f64 v[124:125], v[124:125], v[122:123], v[120:121]
	v_fmac_f64_e32 v[122:123], v[120:121], v[124:125]
	v_div_scale_f64 v[120:121], s[10:11], v[122:123], v[122:123], 1.0
	v_rcp_f64_e32 v[126:127], v[120:121]
	s_nop 0
	v_fma_f64 v[128:129], -v[120:121], v[126:127], 1.0
	v_fmac_f64_e32 v[126:127], v[126:127], v[128:129]
	v_fma_f64 v[128:129], -v[120:121], v[126:127], 1.0
	v_fmac_f64_e32 v[126:127], v[126:127], v[128:129]
	v_div_scale_f64 v[128:129], vcc, 1.0, v[122:123], 1.0
	v_mul_f64 v[130:131], v[128:129], v[126:127]
	v_fma_f64 v[120:121], -v[120:121], v[130:131], v[128:129]
	s_nop 1
	v_div_fmas_f64 v[120:121], v[120:121], v[126:127], v[130:131]
	v_div_fixup_f64 v[126:127], v[120:121], v[122:123], 1.0
	v_mul_f64 v[124:125], v[124:125], v[126:127]
	v_xor_b32_e32 v127, 0x80000000, v127
                                        ; implicit-def: $vgpr120_vgpr121
.LBB41_86:
	s_andn2_saveexec_b64 s[2:3], s[2:3]
	s_cbranch_execz .LBB41_88
; %bb.87:
	v_div_scale_f64 v[124:125], s[10:11], v[120:121], v[120:121], v[122:123]
	v_rcp_f64_e32 v[126:127], v[124:125]
	v_div_scale_f64 v[128:129], vcc, v[122:123], v[120:121], v[122:123]
	v_fma_f64 v[130:131], -v[124:125], v[126:127], 1.0
	v_fmac_f64_e32 v[126:127], v[126:127], v[130:131]
	v_fma_f64 v[130:131], -v[124:125], v[126:127], 1.0
	v_fmac_f64_e32 v[126:127], v[126:127], v[130:131]
	v_mul_f64 v[130:131], v[128:129], v[126:127]
	v_fma_f64 v[124:125], -v[124:125], v[130:131], v[128:129]
	v_div_fmas_f64 v[124:125], v[124:125], v[126:127], v[130:131]
	v_div_fixup_f64 v[126:127], v[124:125], v[120:121], v[122:123]
	v_fmac_f64_e32 v[120:121], v[122:123], v[126:127]
	v_div_scale_f64 v[122:123], s[10:11], v[120:121], v[120:121], 1.0
	v_rcp_f64_e32 v[124:125], v[122:123]
	s_nop 0
	v_fma_f64 v[128:129], -v[122:123], v[124:125], 1.0
	v_fmac_f64_e32 v[124:125], v[124:125], v[128:129]
	v_fma_f64 v[128:129], -v[122:123], v[124:125], 1.0
	v_fmac_f64_e32 v[124:125], v[124:125], v[128:129]
	v_div_scale_f64 v[128:129], vcc, 1.0, v[120:121], 1.0
	v_mul_f64 v[130:131], v[128:129], v[124:125]
	v_fma_f64 v[122:123], -v[122:123], v[130:131], v[128:129]
	s_nop 1
	v_div_fmas_f64 v[122:123], v[122:123], v[124:125], v[130:131]
	v_div_fixup_f64 v[124:125], v[122:123], v[120:121], 1.0
	v_mul_f64 v[126:127], v[126:127], -v[124:125]
.LBB41_88:
	s_or_b64 exec, exec, s[2:3]
	ds_write2_b64 v213, v[124:125], v[126:127] offset1:1
.LBB41_89:
	s_or_b64 exec, exec, s[4:5]
	s_waitcnt lgkmcnt(0)
	s_barrier
	ds_read2_b64 v[120:123], v213 offset1:1
	v_cmp_lt_u32_e32 vcc, 9, v212
	s_and_saveexec_b64 s[2:3], vcc
	s_cbranch_execz .LBB41_91
; %bb.90:
	ds_read2_b64 v[124:127], v214 offset0:20 offset1:21
	ds_read2_b64 v[128:131], v214 offset0:22 offset1:23
	s_waitcnt vmcnt(11) lgkmcnt(2)
	v_mul_f64 v[132:133], v[120:121], v[50:51]
	v_fmac_f64_e32 v[132:133], v[122:123], v[48:49]
	v_mul_f64 v[50:51], v[122:123], v[50:51]
	v_fma_f64 v[48:49], v[120:121], v[48:49], -v[50:51]
	s_waitcnt lgkmcnt(1)
	v_mul_f64 v[50:51], v[126:127], v[132:133]
	v_fma_f64 v[50:51], v[124:125], v[48:49], -v[50:51]
	v_mul_f64 v[124:125], v[124:125], v[132:133]
	v_fmac_f64_e32 v[124:125], v[126:127], v[48:49]
	s_waitcnt vmcnt(10)
	v_add_f64 v[46:47], v[46:47], -v[124:125]
	ds_read2_b64 v[124:127], v214 offset0:24 offset1:25
	v_add_f64 v[44:45], v[44:45], -v[50:51]
	s_waitcnt lgkmcnt(1)
	v_mul_f64 v[50:51], v[130:131], v[132:133]
	v_fma_f64 v[50:51], v[128:129], v[48:49], -v[50:51]
	v_mul_f64 v[128:129], v[128:129], v[132:133]
	v_fmac_f64_e32 v[128:129], v[130:131], v[48:49]
	s_waitcnt vmcnt(9)
	v_add_f64 v[40:41], v[40:41], -v[50:51]
	v_add_f64 v[42:43], v[42:43], -v[128:129]
	ds_read2_b64 v[128:131], v214 offset0:26 offset1:27
	s_waitcnt lgkmcnt(1)
	v_mul_f64 v[50:51], v[126:127], v[132:133]
	v_fma_f64 v[50:51], v[124:125], v[48:49], -v[50:51]
	v_mul_f64 v[124:125], v[124:125], v[132:133]
	v_fmac_f64_e32 v[124:125], v[126:127], v[48:49]
	s_waitcnt vmcnt(8)
	v_add_f64 v[38:39], v[38:39], -v[124:125]
	ds_read2_b64 v[124:127], v214 offset0:28 offset1:29
	v_add_f64 v[36:37], v[36:37], -v[50:51]
	s_waitcnt lgkmcnt(1)
	v_mul_f64 v[50:51], v[130:131], v[132:133]
	v_fma_f64 v[50:51], v[128:129], v[48:49], -v[50:51]
	v_mul_f64 v[128:129], v[128:129], v[132:133]
	v_fmac_f64_e32 v[128:129], v[130:131], v[48:49]
	s_waitcnt vmcnt(7)
	v_add_f64 v[32:33], v[32:33], -v[50:51]
	v_add_f64 v[34:35], v[34:35], -v[128:129]
	ds_read2_b64 v[128:131], v214 offset0:30 offset1:31
	;; [unrolled: 18-line block ×4, first 2 shown]
	s_waitcnt lgkmcnt(1)
	v_mul_f64 v[50:51], v[126:127], v[132:133]
	v_fma_f64 v[50:51], v[124:125], v[48:49], -v[50:51]
	v_mul_f64 v[124:125], v[124:125], v[132:133]
	v_fmac_f64_e32 v[124:125], v[126:127], v[48:49]
	s_waitcnt vmcnt(2)
	v_add_f64 v[14:15], v[14:15], -v[124:125]
	ds_read2_b64 v[124:127], v214 offset0:40 offset1:41
	v_add_f64 v[12:13], v[12:13], -v[50:51]
	s_waitcnt lgkmcnt(1)
	v_mul_f64 v[50:51], v[130:131], v[132:133]
	v_fma_f64 v[50:51], v[128:129], v[48:49], -v[50:51]
	s_waitcnt vmcnt(1)
	v_add_f64 v[8:9], v[8:9], -v[50:51]
	s_waitcnt lgkmcnt(0)
	v_mul_f64 v[50:51], v[126:127], v[132:133]
	v_mul_f64 v[128:129], v[128:129], v[132:133]
	v_fma_f64 v[50:51], v[124:125], v[48:49], -v[50:51]
	v_mul_f64 v[124:125], v[124:125], v[132:133]
	v_fmac_f64_e32 v[128:129], v[130:131], v[48:49]
	v_fmac_f64_e32 v[124:125], v[126:127], v[48:49]
	v_add_f64 v[10:11], v[10:11], -v[128:129]
	s_waitcnt vmcnt(0)
	v_add_f64 v[80:81], v[80:81], -v[50:51]
	v_add_f64 v[82:83], v[82:83], -v[124:125]
	v_mov_b64_e32 v[50:51], v[132:133]
.LBB41_91:
	s_or_b64 exec, exec, s[2:3]
	v_cmp_eq_u32_e32 vcc, 10, v212
	s_waitcnt lgkmcnt(0)
	s_barrier
	s_and_saveexec_b64 s[4:5], vcc
	s_cbranch_execz .LBB41_98
; %bb.92:
	s_waitcnt vmcnt(10)
	ds_write2_b64 v213, v[44:45], v[46:47] offset1:1
	s_waitcnt vmcnt(9)
	ds_write2_b64 v214, v[40:41], v[42:43] offset0:22 offset1:23
	s_waitcnt vmcnt(8)
	ds_write2_b64 v214, v[36:37], v[38:39] offset0:24 offset1:25
	;; [unrolled: 2-line block ×10, first 2 shown]
	ds_read2_b64 v[124:127], v213 offset1:1
	s_waitcnt lgkmcnt(0)
	v_cmp_neq_f64_e32 vcc, 0, v[124:125]
	v_cmp_neq_f64_e64 s[2:3], 0, v[126:127]
	s_or_b64 s[2:3], vcc, s[2:3]
	s_and_b64 exec, exec, s[2:3]
	s_cbranch_execz .LBB41_98
; %bb.93:
	v_cmp_ngt_f64_e64 s[2:3], |v[124:125]|, |v[126:127]|
                                        ; implicit-def: $vgpr128_vgpr129
	s_and_saveexec_b64 s[10:11], s[2:3]
	s_xor_b64 s[2:3], exec, s[10:11]
                                        ; implicit-def: $vgpr130_vgpr131
	s_cbranch_execz .LBB41_95
; %bb.94:
	v_div_scale_f64 v[128:129], s[10:11], v[126:127], v[126:127], v[124:125]
	v_rcp_f64_e32 v[130:131], v[128:129]
	v_div_scale_f64 v[132:133], vcc, v[124:125], v[126:127], v[124:125]
	v_fma_f64 v[134:135], -v[128:129], v[130:131], 1.0
	v_fmac_f64_e32 v[130:131], v[130:131], v[134:135]
	v_fma_f64 v[134:135], -v[128:129], v[130:131], 1.0
	v_fmac_f64_e32 v[130:131], v[130:131], v[134:135]
	v_mul_f64 v[134:135], v[132:133], v[130:131]
	v_fma_f64 v[128:129], -v[128:129], v[134:135], v[132:133]
	v_div_fmas_f64 v[128:129], v[128:129], v[130:131], v[134:135]
	v_div_fixup_f64 v[128:129], v[128:129], v[126:127], v[124:125]
	v_fmac_f64_e32 v[126:127], v[124:125], v[128:129]
	v_div_scale_f64 v[124:125], s[10:11], v[126:127], v[126:127], 1.0
	v_rcp_f64_e32 v[130:131], v[124:125]
	s_nop 0
	v_fma_f64 v[132:133], -v[124:125], v[130:131], 1.0
	v_fmac_f64_e32 v[130:131], v[130:131], v[132:133]
	v_fma_f64 v[132:133], -v[124:125], v[130:131], 1.0
	v_fmac_f64_e32 v[130:131], v[130:131], v[132:133]
	v_div_scale_f64 v[132:133], vcc, 1.0, v[126:127], 1.0
	v_mul_f64 v[134:135], v[132:133], v[130:131]
	v_fma_f64 v[124:125], -v[124:125], v[134:135], v[132:133]
	s_nop 1
	v_div_fmas_f64 v[124:125], v[124:125], v[130:131], v[134:135]
	v_div_fixup_f64 v[130:131], v[124:125], v[126:127], 1.0
	v_mul_f64 v[128:129], v[128:129], v[130:131]
	v_xor_b32_e32 v131, 0x80000000, v131
                                        ; implicit-def: $vgpr124_vgpr125
.LBB41_95:
	s_andn2_saveexec_b64 s[2:3], s[2:3]
	s_cbranch_execz .LBB41_97
; %bb.96:
	v_div_scale_f64 v[128:129], s[10:11], v[124:125], v[124:125], v[126:127]
	v_rcp_f64_e32 v[130:131], v[128:129]
	v_div_scale_f64 v[132:133], vcc, v[126:127], v[124:125], v[126:127]
	v_fma_f64 v[134:135], -v[128:129], v[130:131], 1.0
	v_fmac_f64_e32 v[130:131], v[130:131], v[134:135]
	v_fma_f64 v[134:135], -v[128:129], v[130:131], 1.0
	v_fmac_f64_e32 v[130:131], v[130:131], v[134:135]
	v_mul_f64 v[134:135], v[132:133], v[130:131]
	v_fma_f64 v[128:129], -v[128:129], v[134:135], v[132:133]
	v_div_fmas_f64 v[128:129], v[128:129], v[130:131], v[134:135]
	v_div_fixup_f64 v[130:131], v[128:129], v[124:125], v[126:127]
	v_fmac_f64_e32 v[124:125], v[126:127], v[130:131]
	v_div_scale_f64 v[126:127], s[10:11], v[124:125], v[124:125], 1.0
	v_rcp_f64_e32 v[128:129], v[126:127]
	s_nop 0
	v_fma_f64 v[132:133], -v[126:127], v[128:129], 1.0
	v_fmac_f64_e32 v[128:129], v[128:129], v[132:133]
	v_fma_f64 v[132:133], -v[126:127], v[128:129], 1.0
	v_fmac_f64_e32 v[128:129], v[128:129], v[132:133]
	v_div_scale_f64 v[132:133], vcc, 1.0, v[124:125], 1.0
	v_mul_f64 v[134:135], v[132:133], v[128:129]
	v_fma_f64 v[126:127], -v[126:127], v[134:135], v[132:133]
	s_nop 1
	v_div_fmas_f64 v[126:127], v[126:127], v[128:129], v[134:135]
	v_div_fixup_f64 v[128:129], v[126:127], v[124:125], 1.0
	v_mul_f64 v[130:131], v[130:131], -v[128:129]
.LBB41_97:
	s_or_b64 exec, exec, s[2:3]
	ds_write2_b64 v213, v[128:129], v[130:131] offset1:1
.LBB41_98:
	s_or_b64 exec, exec, s[4:5]
	s_waitcnt lgkmcnt(0)
	s_barrier
	ds_read2_b64 v[124:127], v213 offset1:1
	v_cmp_lt_u32_e32 vcc, 10, v212
	s_and_saveexec_b64 s[2:3], vcc
	s_cbranch_execz .LBB41_100
; %bb.99:
	ds_read2_b64 v[128:131], v214 offset0:22 offset1:23
	ds_read2_b64 v[132:135], v214 offset0:24 offset1:25
	s_waitcnt vmcnt(10) lgkmcnt(2)
	v_mul_f64 v[136:137], v[124:125], v[46:47]
	v_fmac_f64_e32 v[136:137], v[126:127], v[44:45]
	v_mul_f64 v[46:47], v[126:127], v[46:47]
	v_fma_f64 v[44:45], v[124:125], v[44:45], -v[46:47]
	s_waitcnt lgkmcnt(1)
	v_mul_f64 v[46:47], v[130:131], v[136:137]
	v_fma_f64 v[46:47], v[128:129], v[44:45], -v[46:47]
	v_mul_f64 v[128:129], v[128:129], v[136:137]
	v_fmac_f64_e32 v[128:129], v[130:131], v[44:45]
	s_waitcnt vmcnt(9)
	v_add_f64 v[40:41], v[40:41], -v[46:47]
	v_add_f64 v[42:43], v[42:43], -v[128:129]
	s_waitcnt lgkmcnt(0)
	v_mul_f64 v[46:47], v[134:135], v[136:137]
	ds_read2_b64 v[128:131], v214 offset0:26 offset1:27
	v_fma_f64 v[46:47], v[132:133], v[44:45], -v[46:47]
	v_mul_f64 v[132:133], v[132:133], v[136:137]
	v_fmac_f64_e32 v[132:133], v[134:135], v[44:45]
	s_waitcnt vmcnt(8)
	v_add_f64 v[38:39], v[38:39], -v[132:133]
	ds_read2_b64 v[132:135], v214 offset0:28 offset1:29
	v_add_f64 v[36:37], v[36:37], -v[46:47]
	s_waitcnt lgkmcnt(1)
	v_mul_f64 v[46:47], v[130:131], v[136:137]
	v_fma_f64 v[46:47], v[128:129], v[44:45], -v[46:47]
	v_mul_f64 v[128:129], v[128:129], v[136:137]
	v_fmac_f64_e32 v[128:129], v[130:131], v[44:45]
	s_waitcnt vmcnt(7)
	v_add_f64 v[32:33], v[32:33], -v[46:47]
	v_add_f64 v[34:35], v[34:35], -v[128:129]
	s_waitcnt lgkmcnt(0)
	v_mul_f64 v[46:47], v[134:135], v[136:137]
	ds_read2_b64 v[128:131], v214 offset0:30 offset1:31
	v_fma_f64 v[46:47], v[132:133], v[44:45], -v[46:47]
	v_mul_f64 v[132:133], v[132:133], v[136:137]
	v_fmac_f64_e32 v[132:133], v[134:135], v[44:45]
	s_waitcnt vmcnt(6)
	v_add_f64 v[30:31], v[30:31], -v[132:133]
	ds_read2_b64 v[132:135], v214 offset0:32 offset1:33
	v_add_f64 v[28:29], v[28:29], -v[46:47]
	;; [unrolled: 18-line block ×4, first 2 shown]
	s_waitcnt lgkmcnt(1)
	v_mul_f64 v[46:47], v[130:131], v[136:137]
	v_fma_f64 v[46:47], v[128:129], v[44:45], -v[46:47]
	v_mul_f64 v[128:129], v[128:129], v[136:137]
	v_fmac_f64_e32 v[128:129], v[130:131], v[44:45]
	s_waitcnt vmcnt(1)
	v_add_f64 v[8:9], v[8:9], -v[46:47]
	v_add_f64 v[10:11], v[10:11], -v[128:129]
	s_waitcnt lgkmcnt(0)
	v_mul_f64 v[46:47], v[134:135], v[136:137]
	v_mul_f64 v[128:129], v[132:133], v[136:137]
	v_fma_f64 v[46:47], v[132:133], v[44:45], -v[46:47]
	v_fmac_f64_e32 v[128:129], v[134:135], v[44:45]
	s_waitcnt vmcnt(0)
	v_add_f64 v[80:81], v[80:81], -v[46:47]
	v_add_f64 v[82:83], v[82:83], -v[128:129]
	v_mov_b64_e32 v[46:47], v[136:137]
.LBB41_100:
	s_or_b64 exec, exec, s[2:3]
	v_cmp_eq_u32_e32 vcc, 11, v212
	s_waitcnt lgkmcnt(0)
	s_barrier
	s_and_saveexec_b64 s[4:5], vcc
	s_cbranch_execz .LBB41_107
; %bb.101:
	s_waitcnt vmcnt(9)
	ds_write2_b64 v213, v[40:41], v[42:43] offset1:1
	s_waitcnt vmcnt(8)
	ds_write2_b64 v214, v[36:37], v[38:39] offset0:24 offset1:25
	s_waitcnt vmcnt(7)
	ds_write2_b64 v214, v[32:33], v[34:35] offset0:26 offset1:27
	;; [unrolled: 2-line block ×9, first 2 shown]
	ds_read2_b64 v[128:131], v213 offset1:1
	s_waitcnt lgkmcnt(0)
	v_cmp_neq_f64_e32 vcc, 0, v[128:129]
	v_cmp_neq_f64_e64 s[2:3], 0, v[130:131]
	s_or_b64 s[2:3], vcc, s[2:3]
	s_and_b64 exec, exec, s[2:3]
	s_cbranch_execz .LBB41_107
; %bb.102:
	v_cmp_ngt_f64_e64 s[2:3], |v[128:129]|, |v[130:131]|
                                        ; implicit-def: $vgpr132_vgpr133
	s_and_saveexec_b64 s[10:11], s[2:3]
	s_xor_b64 s[2:3], exec, s[10:11]
                                        ; implicit-def: $vgpr134_vgpr135
	s_cbranch_execz .LBB41_104
; %bb.103:
	v_div_scale_f64 v[132:133], s[10:11], v[130:131], v[130:131], v[128:129]
	v_rcp_f64_e32 v[134:135], v[132:133]
	v_div_scale_f64 v[136:137], vcc, v[128:129], v[130:131], v[128:129]
	v_fma_f64 v[138:139], -v[132:133], v[134:135], 1.0
	v_fmac_f64_e32 v[134:135], v[134:135], v[138:139]
	v_fma_f64 v[138:139], -v[132:133], v[134:135], 1.0
	v_fmac_f64_e32 v[134:135], v[134:135], v[138:139]
	v_mul_f64 v[138:139], v[136:137], v[134:135]
	v_fma_f64 v[132:133], -v[132:133], v[138:139], v[136:137]
	v_div_fmas_f64 v[132:133], v[132:133], v[134:135], v[138:139]
	v_div_fixup_f64 v[132:133], v[132:133], v[130:131], v[128:129]
	v_fmac_f64_e32 v[130:131], v[128:129], v[132:133]
	v_div_scale_f64 v[128:129], s[10:11], v[130:131], v[130:131], 1.0
	v_rcp_f64_e32 v[134:135], v[128:129]
	s_nop 0
	v_fma_f64 v[136:137], -v[128:129], v[134:135], 1.0
	v_fmac_f64_e32 v[134:135], v[134:135], v[136:137]
	v_fma_f64 v[136:137], -v[128:129], v[134:135], 1.0
	v_fmac_f64_e32 v[134:135], v[134:135], v[136:137]
	v_div_scale_f64 v[136:137], vcc, 1.0, v[130:131], 1.0
	v_mul_f64 v[138:139], v[136:137], v[134:135]
	v_fma_f64 v[128:129], -v[128:129], v[138:139], v[136:137]
	s_nop 1
	v_div_fmas_f64 v[128:129], v[128:129], v[134:135], v[138:139]
	v_div_fixup_f64 v[134:135], v[128:129], v[130:131], 1.0
	v_mul_f64 v[132:133], v[132:133], v[134:135]
	v_xor_b32_e32 v135, 0x80000000, v135
                                        ; implicit-def: $vgpr128_vgpr129
.LBB41_104:
	s_andn2_saveexec_b64 s[2:3], s[2:3]
	s_cbranch_execz .LBB41_106
; %bb.105:
	v_div_scale_f64 v[132:133], s[10:11], v[128:129], v[128:129], v[130:131]
	v_rcp_f64_e32 v[134:135], v[132:133]
	v_div_scale_f64 v[136:137], vcc, v[130:131], v[128:129], v[130:131]
	v_fma_f64 v[138:139], -v[132:133], v[134:135], 1.0
	v_fmac_f64_e32 v[134:135], v[134:135], v[138:139]
	v_fma_f64 v[138:139], -v[132:133], v[134:135], 1.0
	v_fmac_f64_e32 v[134:135], v[134:135], v[138:139]
	v_mul_f64 v[138:139], v[136:137], v[134:135]
	v_fma_f64 v[132:133], -v[132:133], v[138:139], v[136:137]
	v_div_fmas_f64 v[132:133], v[132:133], v[134:135], v[138:139]
	v_div_fixup_f64 v[134:135], v[132:133], v[128:129], v[130:131]
	v_fmac_f64_e32 v[128:129], v[130:131], v[134:135]
	v_div_scale_f64 v[130:131], s[10:11], v[128:129], v[128:129], 1.0
	v_rcp_f64_e32 v[132:133], v[130:131]
	s_nop 0
	v_fma_f64 v[136:137], -v[130:131], v[132:133], 1.0
	v_fmac_f64_e32 v[132:133], v[132:133], v[136:137]
	v_fma_f64 v[136:137], -v[130:131], v[132:133], 1.0
	v_fmac_f64_e32 v[132:133], v[132:133], v[136:137]
	v_div_scale_f64 v[136:137], vcc, 1.0, v[128:129], 1.0
	v_mul_f64 v[138:139], v[136:137], v[132:133]
	v_fma_f64 v[130:131], -v[130:131], v[138:139], v[136:137]
	s_nop 1
	v_div_fmas_f64 v[130:131], v[130:131], v[132:133], v[138:139]
	v_div_fixup_f64 v[132:133], v[130:131], v[128:129], 1.0
	v_mul_f64 v[134:135], v[134:135], -v[132:133]
.LBB41_106:
	s_or_b64 exec, exec, s[2:3]
	ds_write2_b64 v213, v[132:133], v[134:135] offset1:1
.LBB41_107:
	s_or_b64 exec, exec, s[4:5]
	s_waitcnt lgkmcnt(0)
	s_barrier
	ds_read2_b64 v[128:131], v213 offset1:1
	v_cmp_lt_u32_e32 vcc, 11, v212
	s_and_saveexec_b64 s[2:3], vcc
	s_cbranch_execz .LBB41_109
; %bb.108:
	ds_read2_b64 v[132:135], v214 offset0:24 offset1:25
	ds_read2_b64 v[136:139], v214 offset0:26 offset1:27
	s_waitcnt vmcnt(9) lgkmcnt(2)
	v_mul_f64 v[140:141], v[128:129], v[42:43]
	v_fmac_f64_e32 v[140:141], v[130:131], v[40:41]
	v_mul_f64 v[42:43], v[130:131], v[42:43]
	v_fma_f64 v[40:41], v[128:129], v[40:41], -v[42:43]
	s_waitcnt lgkmcnt(1)
	v_mul_f64 v[42:43], v[134:135], v[140:141]
	v_fma_f64 v[42:43], v[132:133], v[40:41], -v[42:43]
	v_mul_f64 v[132:133], v[132:133], v[140:141]
	v_fmac_f64_e32 v[132:133], v[134:135], v[40:41]
	s_waitcnt vmcnt(8)
	v_add_f64 v[38:39], v[38:39], -v[132:133]
	ds_read2_b64 v[132:135], v214 offset0:28 offset1:29
	v_add_f64 v[36:37], v[36:37], -v[42:43]
	s_waitcnt lgkmcnt(1)
	v_mul_f64 v[42:43], v[138:139], v[140:141]
	v_fma_f64 v[42:43], v[136:137], v[40:41], -v[42:43]
	v_mul_f64 v[136:137], v[136:137], v[140:141]
	v_fmac_f64_e32 v[136:137], v[138:139], v[40:41]
	s_waitcnt vmcnt(7)
	v_add_f64 v[32:33], v[32:33], -v[42:43]
	v_add_f64 v[34:35], v[34:35], -v[136:137]
	ds_read2_b64 v[136:139], v214 offset0:30 offset1:31
	s_waitcnt lgkmcnt(1)
	v_mul_f64 v[42:43], v[134:135], v[140:141]
	v_fma_f64 v[42:43], v[132:133], v[40:41], -v[42:43]
	v_mul_f64 v[132:133], v[132:133], v[140:141]
	v_fmac_f64_e32 v[132:133], v[134:135], v[40:41]
	s_waitcnt vmcnt(6)
	v_add_f64 v[30:31], v[30:31], -v[132:133]
	ds_read2_b64 v[132:135], v214 offset0:32 offset1:33
	v_add_f64 v[28:29], v[28:29], -v[42:43]
	s_waitcnt lgkmcnt(1)
	v_mul_f64 v[42:43], v[138:139], v[140:141]
	v_fma_f64 v[42:43], v[136:137], v[40:41], -v[42:43]
	v_mul_f64 v[136:137], v[136:137], v[140:141]
	v_fmac_f64_e32 v[136:137], v[138:139], v[40:41]
	s_waitcnt vmcnt(5)
	v_add_f64 v[24:25], v[24:25], -v[42:43]
	v_add_f64 v[26:27], v[26:27], -v[136:137]
	ds_read2_b64 v[136:139], v214 offset0:34 offset1:35
	;; [unrolled: 18-line block ×3, first 2 shown]
	s_waitcnt lgkmcnt(1)
	v_mul_f64 v[42:43], v[134:135], v[140:141]
	v_fma_f64 v[42:43], v[132:133], v[40:41], -v[42:43]
	v_mul_f64 v[132:133], v[132:133], v[140:141]
	v_fmac_f64_e32 v[132:133], v[134:135], v[40:41]
	s_waitcnt vmcnt(2)
	v_add_f64 v[14:15], v[14:15], -v[132:133]
	ds_read2_b64 v[132:135], v214 offset0:40 offset1:41
	v_add_f64 v[12:13], v[12:13], -v[42:43]
	s_waitcnt lgkmcnt(1)
	v_mul_f64 v[42:43], v[138:139], v[140:141]
	v_fma_f64 v[42:43], v[136:137], v[40:41], -v[42:43]
	s_waitcnt vmcnt(1)
	v_add_f64 v[8:9], v[8:9], -v[42:43]
	s_waitcnt lgkmcnt(0)
	v_mul_f64 v[42:43], v[134:135], v[140:141]
	v_mul_f64 v[136:137], v[136:137], v[140:141]
	v_fma_f64 v[42:43], v[132:133], v[40:41], -v[42:43]
	v_mul_f64 v[132:133], v[132:133], v[140:141]
	v_fmac_f64_e32 v[136:137], v[138:139], v[40:41]
	v_fmac_f64_e32 v[132:133], v[134:135], v[40:41]
	v_add_f64 v[10:11], v[10:11], -v[136:137]
	s_waitcnt vmcnt(0)
	v_add_f64 v[80:81], v[80:81], -v[42:43]
	v_add_f64 v[82:83], v[82:83], -v[132:133]
	v_mov_b64_e32 v[42:43], v[140:141]
.LBB41_109:
	s_or_b64 exec, exec, s[2:3]
	v_cmp_eq_u32_e32 vcc, 12, v212
	s_waitcnt lgkmcnt(0)
	s_barrier
	s_and_saveexec_b64 s[4:5], vcc
	s_cbranch_execz .LBB41_116
; %bb.110:
	s_waitcnt vmcnt(8)
	ds_write2_b64 v213, v[36:37], v[38:39] offset1:1
	s_waitcnt vmcnt(7)
	ds_write2_b64 v214, v[32:33], v[34:35] offset0:26 offset1:27
	s_waitcnt vmcnt(6)
	ds_write2_b64 v214, v[28:29], v[30:31] offset0:28 offset1:29
	s_waitcnt vmcnt(5)
	ds_write2_b64 v214, v[24:25], v[26:27] offset0:30 offset1:31
	s_waitcnt vmcnt(4)
	ds_write2_b64 v214, v[20:21], v[22:23] offset0:32 offset1:33
	s_waitcnt vmcnt(3)
	ds_write2_b64 v214, v[16:17], v[18:19] offset0:34 offset1:35
	s_waitcnt vmcnt(2)
	ds_write2_b64 v214, v[12:13], v[14:15] offset0:36 offset1:37
	s_waitcnt vmcnt(1)
	ds_write2_b64 v214, v[8:9], v[10:11] offset0:38 offset1:39
	s_waitcnt vmcnt(0)
	ds_write2_b64 v214, v[80:81], v[82:83] offset0:40 offset1:41
	ds_read2_b64 v[132:135], v213 offset1:1
	s_waitcnt lgkmcnt(0)
	v_cmp_neq_f64_e32 vcc, 0, v[132:133]
	v_cmp_neq_f64_e64 s[2:3], 0, v[134:135]
	s_or_b64 s[2:3], vcc, s[2:3]
	s_and_b64 exec, exec, s[2:3]
	s_cbranch_execz .LBB41_116
; %bb.111:
	v_cmp_ngt_f64_e64 s[2:3], |v[132:133]|, |v[134:135]|
                                        ; implicit-def: $vgpr136_vgpr137
	s_and_saveexec_b64 s[10:11], s[2:3]
	s_xor_b64 s[2:3], exec, s[10:11]
                                        ; implicit-def: $vgpr138_vgpr139
	s_cbranch_execz .LBB41_113
; %bb.112:
	v_div_scale_f64 v[136:137], s[10:11], v[134:135], v[134:135], v[132:133]
	v_rcp_f64_e32 v[138:139], v[136:137]
	v_div_scale_f64 v[140:141], vcc, v[132:133], v[134:135], v[132:133]
	v_fma_f64 v[142:143], -v[136:137], v[138:139], 1.0
	v_fmac_f64_e32 v[138:139], v[138:139], v[142:143]
	v_fma_f64 v[142:143], -v[136:137], v[138:139], 1.0
	v_fmac_f64_e32 v[138:139], v[138:139], v[142:143]
	v_mul_f64 v[142:143], v[140:141], v[138:139]
	v_fma_f64 v[136:137], -v[136:137], v[142:143], v[140:141]
	v_div_fmas_f64 v[136:137], v[136:137], v[138:139], v[142:143]
	v_div_fixup_f64 v[136:137], v[136:137], v[134:135], v[132:133]
	v_fmac_f64_e32 v[134:135], v[132:133], v[136:137]
	v_div_scale_f64 v[132:133], s[10:11], v[134:135], v[134:135], 1.0
	v_rcp_f64_e32 v[138:139], v[132:133]
	s_nop 0
	v_fma_f64 v[140:141], -v[132:133], v[138:139], 1.0
	v_fmac_f64_e32 v[138:139], v[138:139], v[140:141]
	v_fma_f64 v[140:141], -v[132:133], v[138:139], 1.0
	v_fmac_f64_e32 v[138:139], v[138:139], v[140:141]
	v_div_scale_f64 v[140:141], vcc, 1.0, v[134:135], 1.0
	v_mul_f64 v[142:143], v[140:141], v[138:139]
	v_fma_f64 v[132:133], -v[132:133], v[142:143], v[140:141]
	s_nop 1
	v_div_fmas_f64 v[132:133], v[132:133], v[138:139], v[142:143]
	v_div_fixup_f64 v[138:139], v[132:133], v[134:135], 1.0
	v_mul_f64 v[136:137], v[136:137], v[138:139]
	v_xor_b32_e32 v139, 0x80000000, v139
                                        ; implicit-def: $vgpr132_vgpr133
.LBB41_113:
	s_andn2_saveexec_b64 s[2:3], s[2:3]
	s_cbranch_execz .LBB41_115
; %bb.114:
	v_div_scale_f64 v[136:137], s[10:11], v[132:133], v[132:133], v[134:135]
	v_rcp_f64_e32 v[138:139], v[136:137]
	v_div_scale_f64 v[140:141], vcc, v[134:135], v[132:133], v[134:135]
	v_fma_f64 v[142:143], -v[136:137], v[138:139], 1.0
	v_fmac_f64_e32 v[138:139], v[138:139], v[142:143]
	v_fma_f64 v[142:143], -v[136:137], v[138:139], 1.0
	v_fmac_f64_e32 v[138:139], v[138:139], v[142:143]
	v_mul_f64 v[142:143], v[140:141], v[138:139]
	v_fma_f64 v[136:137], -v[136:137], v[142:143], v[140:141]
	v_div_fmas_f64 v[136:137], v[136:137], v[138:139], v[142:143]
	v_div_fixup_f64 v[138:139], v[136:137], v[132:133], v[134:135]
	v_fmac_f64_e32 v[132:133], v[134:135], v[138:139]
	v_div_scale_f64 v[134:135], s[10:11], v[132:133], v[132:133], 1.0
	v_rcp_f64_e32 v[136:137], v[134:135]
	s_nop 0
	v_fma_f64 v[140:141], -v[134:135], v[136:137], 1.0
	v_fmac_f64_e32 v[136:137], v[136:137], v[140:141]
	v_fma_f64 v[140:141], -v[134:135], v[136:137], 1.0
	v_fmac_f64_e32 v[136:137], v[136:137], v[140:141]
	v_div_scale_f64 v[140:141], vcc, 1.0, v[132:133], 1.0
	v_mul_f64 v[142:143], v[140:141], v[136:137]
	v_fma_f64 v[134:135], -v[134:135], v[142:143], v[140:141]
	s_nop 1
	v_div_fmas_f64 v[134:135], v[134:135], v[136:137], v[142:143]
	v_div_fixup_f64 v[136:137], v[134:135], v[132:133], 1.0
	v_mul_f64 v[138:139], v[138:139], -v[136:137]
.LBB41_115:
	s_or_b64 exec, exec, s[2:3]
	ds_write2_b64 v213, v[136:137], v[138:139] offset1:1
.LBB41_116:
	s_or_b64 exec, exec, s[4:5]
	s_waitcnt lgkmcnt(0)
	s_barrier
	ds_read2_b64 v[132:135], v213 offset1:1
	v_cmp_lt_u32_e32 vcc, 12, v212
	s_and_saveexec_b64 s[2:3], vcc
	s_cbranch_execz .LBB41_118
; %bb.117:
	ds_read2_b64 v[136:139], v214 offset0:26 offset1:27
	ds_read2_b64 v[140:143], v214 offset0:28 offset1:29
	s_waitcnt vmcnt(8) lgkmcnt(2)
	v_mul_f64 v[144:145], v[132:133], v[38:39]
	v_fmac_f64_e32 v[144:145], v[134:135], v[36:37]
	v_mul_f64 v[38:39], v[134:135], v[38:39]
	v_fma_f64 v[36:37], v[132:133], v[36:37], -v[38:39]
	s_waitcnt lgkmcnt(1)
	v_mul_f64 v[38:39], v[138:139], v[144:145]
	v_fma_f64 v[38:39], v[136:137], v[36:37], -v[38:39]
	v_mul_f64 v[136:137], v[136:137], v[144:145]
	v_fmac_f64_e32 v[136:137], v[138:139], v[36:37]
	s_waitcnt vmcnt(7)
	v_add_f64 v[32:33], v[32:33], -v[38:39]
	v_add_f64 v[34:35], v[34:35], -v[136:137]
	s_waitcnt lgkmcnt(0)
	v_mul_f64 v[38:39], v[142:143], v[144:145]
	ds_read2_b64 v[136:139], v214 offset0:30 offset1:31
	v_fma_f64 v[38:39], v[140:141], v[36:37], -v[38:39]
	v_mul_f64 v[140:141], v[140:141], v[144:145]
	v_fmac_f64_e32 v[140:141], v[142:143], v[36:37]
	s_waitcnt vmcnt(6)
	v_add_f64 v[30:31], v[30:31], -v[140:141]
	ds_read2_b64 v[140:143], v214 offset0:32 offset1:33
	v_add_f64 v[28:29], v[28:29], -v[38:39]
	s_waitcnt lgkmcnt(1)
	v_mul_f64 v[38:39], v[138:139], v[144:145]
	v_fma_f64 v[38:39], v[136:137], v[36:37], -v[38:39]
	v_mul_f64 v[136:137], v[136:137], v[144:145]
	v_fmac_f64_e32 v[136:137], v[138:139], v[36:37]
	s_waitcnt vmcnt(5)
	v_add_f64 v[24:25], v[24:25], -v[38:39]
	v_add_f64 v[26:27], v[26:27], -v[136:137]
	s_waitcnt lgkmcnt(0)
	v_mul_f64 v[38:39], v[142:143], v[144:145]
	ds_read2_b64 v[136:139], v214 offset0:34 offset1:35
	v_fma_f64 v[38:39], v[140:141], v[36:37], -v[38:39]
	v_mul_f64 v[140:141], v[140:141], v[144:145]
	v_fmac_f64_e32 v[140:141], v[142:143], v[36:37]
	s_waitcnt vmcnt(4)
	v_add_f64 v[22:23], v[22:23], -v[140:141]
	ds_read2_b64 v[140:143], v214 offset0:36 offset1:37
	v_add_f64 v[20:21], v[20:21], -v[38:39]
	;; [unrolled: 18-line block ×3, first 2 shown]
	s_waitcnt lgkmcnt(1)
	v_mul_f64 v[38:39], v[138:139], v[144:145]
	v_fma_f64 v[38:39], v[136:137], v[36:37], -v[38:39]
	v_mul_f64 v[136:137], v[136:137], v[144:145]
	v_fmac_f64_e32 v[136:137], v[138:139], v[36:37]
	s_waitcnt vmcnt(1)
	v_add_f64 v[8:9], v[8:9], -v[38:39]
	v_add_f64 v[10:11], v[10:11], -v[136:137]
	s_waitcnt lgkmcnt(0)
	v_mul_f64 v[38:39], v[142:143], v[144:145]
	v_mul_f64 v[136:137], v[140:141], v[144:145]
	v_fma_f64 v[38:39], v[140:141], v[36:37], -v[38:39]
	v_fmac_f64_e32 v[136:137], v[142:143], v[36:37]
	s_waitcnt vmcnt(0)
	v_add_f64 v[80:81], v[80:81], -v[38:39]
	v_add_f64 v[82:83], v[82:83], -v[136:137]
	v_mov_b64_e32 v[38:39], v[144:145]
.LBB41_118:
	s_or_b64 exec, exec, s[2:3]
	v_cmp_eq_u32_e32 vcc, 13, v212
	s_waitcnt lgkmcnt(0)
	s_barrier
	s_and_saveexec_b64 s[4:5], vcc
	s_cbranch_execz .LBB41_125
; %bb.119:
	s_waitcnt vmcnt(7)
	ds_write2_b64 v213, v[32:33], v[34:35] offset1:1
	s_waitcnt vmcnt(6)
	ds_write2_b64 v214, v[28:29], v[30:31] offset0:28 offset1:29
	s_waitcnt vmcnt(5)
	ds_write2_b64 v214, v[24:25], v[26:27] offset0:30 offset1:31
	s_waitcnt vmcnt(4)
	ds_write2_b64 v214, v[20:21], v[22:23] offset0:32 offset1:33
	s_waitcnt vmcnt(3)
	ds_write2_b64 v214, v[16:17], v[18:19] offset0:34 offset1:35
	s_waitcnt vmcnt(2)
	ds_write2_b64 v214, v[12:13], v[14:15] offset0:36 offset1:37
	s_waitcnt vmcnt(1)
	ds_write2_b64 v214, v[8:9], v[10:11] offset0:38 offset1:39
	s_waitcnt vmcnt(0)
	ds_write2_b64 v214, v[80:81], v[82:83] offset0:40 offset1:41
	ds_read2_b64 v[136:139], v213 offset1:1
	s_waitcnt lgkmcnt(0)
	v_cmp_neq_f64_e32 vcc, 0, v[136:137]
	v_cmp_neq_f64_e64 s[2:3], 0, v[138:139]
	s_or_b64 s[2:3], vcc, s[2:3]
	s_and_b64 exec, exec, s[2:3]
	s_cbranch_execz .LBB41_125
; %bb.120:
	v_cmp_ngt_f64_e64 s[2:3], |v[136:137]|, |v[138:139]|
                                        ; implicit-def: $vgpr140_vgpr141
	s_and_saveexec_b64 s[10:11], s[2:3]
	s_xor_b64 s[2:3], exec, s[10:11]
                                        ; implicit-def: $vgpr142_vgpr143
	s_cbranch_execz .LBB41_122
; %bb.121:
	v_div_scale_f64 v[140:141], s[10:11], v[138:139], v[138:139], v[136:137]
	v_rcp_f64_e32 v[142:143], v[140:141]
	v_div_scale_f64 v[144:145], vcc, v[136:137], v[138:139], v[136:137]
	v_fma_f64 v[146:147], -v[140:141], v[142:143], 1.0
	v_fmac_f64_e32 v[142:143], v[142:143], v[146:147]
	v_fma_f64 v[146:147], -v[140:141], v[142:143], 1.0
	v_fmac_f64_e32 v[142:143], v[142:143], v[146:147]
	v_mul_f64 v[146:147], v[144:145], v[142:143]
	v_fma_f64 v[140:141], -v[140:141], v[146:147], v[144:145]
	v_div_fmas_f64 v[140:141], v[140:141], v[142:143], v[146:147]
	v_div_fixup_f64 v[140:141], v[140:141], v[138:139], v[136:137]
	v_fmac_f64_e32 v[138:139], v[136:137], v[140:141]
	v_div_scale_f64 v[136:137], s[10:11], v[138:139], v[138:139], 1.0
	v_rcp_f64_e32 v[142:143], v[136:137]
	s_nop 0
	v_fma_f64 v[144:145], -v[136:137], v[142:143], 1.0
	v_fmac_f64_e32 v[142:143], v[142:143], v[144:145]
	v_fma_f64 v[144:145], -v[136:137], v[142:143], 1.0
	v_fmac_f64_e32 v[142:143], v[142:143], v[144:145]
	v_div_scale_f64 v[144:145], vcc, 1.0, v[138:139], 1.0
	v_mul_f64 v[146:147], v[144:145], v[142:143]
	v_fma_f64 v[136:137], -v[136:137], v[146:147], v[144:145]
	s_nop 1
	v_div_fmas_f64 v[136:137], v[136:137], v[142:143], v[146:147]
	v_div_fixup_f64 v[142:143], v[136:137], v[138:139], 1.0
	v_mul_f64 v[140:141], v[140:141], v[142:143]
	v_xor_b32_e32 v143, 0x80000000, v143
                                        ; implicit-def: $vgpr136_vgpr137
.LBB41_122:
	s_andn2_saveexec_b64 s[2:3], s[2:3]
	s_cbranch_execz .LBB41_124
; %bb.123:
	v_div_scale_f64 v[140:141], s[10:11], v[136:137], v[136:137], v[138:139]
	v_rcp_f64_e32 v[142:143], v[140:141]
	v_div_scale_f64 v[144:145], vcc, v[138:139], v[136:137], v[138:139]
	v_fma_f64 v[146:147], -v[140:141], v[142:143], 1.0
	v_fmac_f64_e32 v[142:143], v[142:143], v[146:147]
	v_fma_f64 v[146:147], -v[140:141], v[142:143], 1.0
	v_fmac_f64_e32 v[142:143], v[142:143], v[146:147]
	v_mul_f64 v[146:147], v[144:145], v[142:143]
	v_fma_f64 v[140:141], -v[140:141], v[146:147], v[144:145]
	v_div_fmas_f64 v[140:141], v[140:141], v[142:143], v[146:147]
	v_div_fixup_f64 v[142:143], v[140:141], v[136:137], v[138:139]
	v_fmac_f64_e32 v[136:137], v[138:139], v[142:143]
	v_div_scale_f64 v[138:139], s[10:11], v[136:137], v[136:137], 1.0
	v_rcp_f64_e32 v[140:141], v[138:139]
	s_nop 0
	v_fma_f64 v[144:145], -v[138:139], v[140:141], 1.0
	v_fmac_f64_e32 v[140:141], v[140:141], v[144:145]
	v_fma_f64 v[144:145], -v[138:139], v[140:141], 1.0
	v_fmac_f64_e32 v[140:141], v[140:141], v[144:145]
	v_div_scale_f64 v[144:145], vcc, 1.0, v[136:137], 1.0
	v_mul_f64 v[146:147], v[144:145], v[140:141]
	v_fma_f64 v[138:139], -v[138:139], v[146:147], v[144:145]
	s_nop 1
	v_div_fmas_f64 v[138:139], v[138:139], v[140:141], v[146:147]
	v_div_fixup_f64 v[140:141], v[138:139], v[136:137], 1.0
	v_mul_f64 v[142:143], v[142:143], -v[140:141]
.LBB41_124:
	s_or_b64 exec, exec, s[2:3]
	ds_write2_b64 v213, v[140:141], v[142:143] offset1:1
.LBB41_125:
	s_or_b64 exec, exec, s[4:5]
	s_waitcnt lgkmcnt(0)
	s_barrier
	ds_read2_b64 v[136:139], v213 offset1:1
	v_cmp_lt_u32_e32 vcc, 13, v212
	s_and_saveexec_b64 s[2:3], vcc
	s_cbranch_execz .LBB41_127
; %bb.126:
	ds_read2_b64 v[140:143], v214 offset0:28 offset1:29
	ds_read2_b64 v[144:147], v214 offset0:30 offset1:31
	s_waitcnt vmcnt(7) lgkmcnt(2)
	v_mul_f64 v[148:149], v[136:137], v[34:35]
	v_fmac_f64_e32 v[148:149], v[138:139], v[32:33]
	v_mul_f64 v[34:35], v[138:139], v[34:35]
	v_fma_f64 v[32:33], v[136:137], v[32:33], -v[34:35]
	s_waitcnt lgkmcnt(1)
	v_mul_f64 v[34:35], v[142:143], v[148:149]
	v_fma_f64 v[34:35], v[140:141], v[32:33], -v[34:35]
	v_mul_f64 v[140:141], v[140:141], v[148:149]
	v_fmac_f64_e32 v[140:141], v[142:143], v[32:33]
	s_waitcnt vmcnt(6)
	v_add_f64 v[30:31], v[30:31], -v[140:141]
	ds_read2_b64 v[140:143], v214 offset0:32 offset1:33
	v_add_f64 v[28:29], v[28:29], -v[34:35]
	s_waitcnt lgkmcnt(1)
	v_mul_f64 v[34:35], v[146:147], v[148:149]
	v_fma_f64 v[34:35], v[144:145], v[32:33], -v[34:35]
	v_mul_f64 v[144:145], v[144:145], v[148:149]
	v_fmac_f64_e32 v[144:145], v[146:147], v[32:33]
	s_waitcnt vmcnt(5)
	v_add_f64 v[24:25], v[24:25], -v[34:35]
	v_add_f64 v[26:27], v[26:27], -v[144:145]
	ds_read2_b64 v[144:147], v214 offset0:34 offset1:35
	s_waitcnt lgkmcnt(1)
	v_mul_f64 v[34:35], v[142:143], v[148:149]
	v_fma_f64 v[34:35], v[140:141], v[32:33], -v[34:35]
	v_mul_f64 v[140:141], v[140:141], v[148:149]
	v_fmac_f64_e32 v[140:141], v[142:143], v[32:33]
	s_waitcnt vmcnt(4)
	v_add_f64 v[22:23], v[22:23], -v[140:141]
	ds_read2_b64 v[140:143], v214 offset0:36 offset1:37
	v_add_f64 v[20:21], v[20:21], -v[34:35]
	s_waitcnt lgkmcnt(1)
	v_mul_f64 v[34:35], v[146:147], v[148:149]
	v_fma_f64 v[34:35], v[144:145], v[32:33], -v[34:35]
	v_mul_f64 v[144:145], v[144:145], v[148:149]
	v_fmac_f64_e32 v[144:145], v[146:147], v[32:33]
	s_waitcnt vmcnt(3)
	v_add_f64 v[16:17], v[16:17], -v[34:35]
	v_add_f64 v[18:19], v[18:19], -v[144:145]
	ds_read2_b64 v[144:147], v214 offset0:38 offset1:39
	s_waitcnt lgkmcnt(1)
	v_mul_f64 v[34:35], v[142:143], v[148:149]
	v_fma_f64 v[34:35], v[140:141], v[32:33], -v[34:35]
	v_mul_f64 v[140:141], v[140:141], v[148:149]
	v_fmac_f64_e32 v[140:141], v[142:143], v[32:33]
	s_waitcnt vmcnt(2)
	v_add_f64 v[14:15], v[14:15], -v[140:141]
	ds_read2_b64 v[140:143], v214 offset0:40 offset1:41
	v_add_f64 v[12:13], v[12:13], -v[34:35]
	s_waitcnt lgkmcnt(1)
	v_mul_f64 v[34:35], v[146:147], v[148:149]
	v_fma_f64 v[34:35], v[144:145], v[32:33], -v[34:35]
	s_waitcnt vmcnt(1)
	v_add_f64 v[8:9], v[8:9], -v[34:35]
	s_waitcnt lgkmcnt(0)
	v_mul_f64 v[34:35], v[142:143], v[148:149]
	v_mul_f64 v[144:145], v[144:145], v[148:149]
	v_fma_f64 v[34:35], v[140:141], v[32:33], -v[34:35]
	v_mul_f64 v[140:141], v[140:141], v[148:149]
	v_fmac_f64_e32 v[144:145], v[146:147], v[32:33]
	v_fmac_f64_e32 v[140:141], v[142:143], v[32:33]
	v_add_f64 v[10:11], v[10:11], -v[144:145]
	s_waitcnt vmcnt(0)
	v_add_f64 v[80:81], v[80:81], -v[34:35]
	v_add_f64 v[82:83], v[82:83], -v[140:141]
	v_mov_b64_e32 v[34:35], v[148:149]
.LBB41_127:
	s_or_b64 exec, exec, s[2:3]
	v_cmp_eq_u32_e32 vcc, 14, v212
	s_waitcnt lgkmcnt(0)
	s_barrier
	s_and_saveexec_b64 s[4:5], vcc
	s_cbranch_execz .LBB41_134
; %bb.128:
	s_waitcnt vmcnt(6)
	ds_write2_b64 v213, v[28:29], v[30:31] offset1:1
	s_waitcnt vmcnt(5)
	ds_write2_b64 v214, v[24:25], v[26:27] offset0:30 offset1:31
	s_waitcnt vmcnt(4)
	ds_write2_b64 v214, v[20:21], v[22:23] offset0:32 offset1:33
	s_waitcnt vmcnt(3)
	ds_write2_b64 v214, v[16:17], v[18:19] offset0:34 offset1:35
	s_waitcnt vmcnt(2)
	ds_write2_b64 v214, v[12:13], v[14:15] offset0:36 offset1:37
	s_waitcnt vmcnt(1)
	ds_write2_b64 v214, v[8:9], v[10:11] offset0:38 offset1:39
	s_waitcnt vmcnt(0)
	ds_write2_b64 v214, v[80:81], v[82:83] offset0:40 offset1:41
	ds_read2_b64 v[140:143], v213 offset1:1
	s_waitcnt lgkmcnt(0)
	v_cmp_neq_f64_e32 vcc, 0, v[140:141]
	v_cmp_neq_f64_e64 s[2:3], 0, v[142:143]
	s_or_b64 s[2:3], vcc, s[2:3]
	s_and_b64 exec, exec, s[2:3]
	s_cbranch_execz .LBB41_134
; %bb.129:
	v_cmp_ngt_f64_e64 s[2:3], |v[140:141]|, |v[142:143]|
                                        ; implicit-def: $vgpr144_vgpr145
	s_and_saveexec_b64 s[10:11], s[2:3]
	s_xor_b64 s[2:3], exec, s[10:11]
                                        ; implicit-def: $vgpr146_vgpr147
	s_cbranch_execz .LBB41_131
; %bb.130:
	v_div_scale_f64 v[144:145], s[10:11], v[142:143], v[142:143], v[140:141]
	v_rcp_f64_e32 v[146:147], v[144:145]
	v_div_scale_f64 v[148:149], vcc, v[140:141], v[142:143], v[140:141]
	v_fma_f64 v[150:151], -v[144:145], v[146:147], 1.0
	v_fmac_f64_e32 v[146:147], v[146:147], v[150:151]
	v_fma_f64 v[150:151], -v[144:145], v[146:147], 1.0
	v_fmac_f64_e32 v[146:147], v[146:147], v[150:151]
	v_mul_f64 v[150:151], v[148:149], v[146:147]
	v_fma_f64 v[144:145], -v[144:145], v[150:151], v[148:149]
	v_div_fmas_f64 v[144:145], v[144:145], v[146:147], v[150:151]
	v_div_fixup_f64 v[144:145], v[144:145], v[142:143], v[140:141]
	v_fmac_f64_e32 v[142:143], v[140:141], v[144:145]
	v_div_scale_f64 v[140:141], s[10:11], v[142:143], v[142:143], 1.0
	v_rcp_f64_e32 v[146:147], v[140:141]
	s_nop 0
	v_fma_f64 v[148:149], -v[140:141], v[146:147], 1.0
	v_fmac_f64_e32 v[146:147], v[146:147], v[148:149]
	v_fma_f64 v[148:149], -v[140:141], v[146:147], 1.0
	v_fmac_f64_e32 v[146:147], v[146:147], v[148:149]
	v_div_scale_f64 v[148:149], vcc, 1.0, v[142:143], 1.0
	v_mul_f64 v[150:151], v[148:149], v[146:147]
	v_fma_f64 v[140:141], -v[140:141], v[150:151], v[148:149]
	s_nop 1
	v_div_fmas_f64 v[140:141], v[140:141], v[146:147], v[150:151]
	v_div_fixup_f64 v[146:147], v[140:141], v[142:143], 1.0
	v_mul_f64 v[144:145], v[144:145], v[146:147]
	v_xor_b32_e32 v147, 0x80000000, v147
                                        ; implicit-def: $vgpr140_vgpr141
.LBB41_131:
	s_andn2_saveexec_b64 s[2:3], s[2:3]
	s_cbranch_execz .LBB41_133
; %bb.132:
	v_div_scale_f64 v[144:145], s[10:11], v[140:141], v[140:141], v[142:143]
	v_rcp_f64_e32 v[146:147], v[144:145]
	v_div_scale_f64 v[148:149], vcc, v[142:143], v[140:141], v[142:143]
	v_fma_f64 v[150:151], -v[144:145], v[146:147], 1.0
	v_fmac_f64_e32 v[146:147], v[146:147], v[150:151]
	v_fma_f64 v[150:151], -v[144:145], v[146:147], 1.0
	v_fmac_f64_e32 v[146:147], v[146:147], v[150:151]
	v_mul_f64 v[150:151], v[148:149], v[146:147]
	v_fma_f64 v[144:145], -v[144:145], v[150:151], v[148:149]
	v_div_fmas_f64 v[144:145], v[144:145], v[146:147], v[150:151]
	v_div_fixup_f64 v[146:147], v[144:145], v[140:141], v[142:143]
	v_fmac_f64_e32 v[140:141], v[142:143], v[146:147]
	v_div_scale_f64 v[142:143], s[10:11], v[140:141], v[140:141], 1.0
	v_rcp_f64_e32 v[144:145], v[142:143]
	s_nop 0
	v_fma_f64 v[148:149], -v[142:143], v[144:145], 1.0
	v_fmac_f64_e32 v[144:145], v[144:145], v[148:149]
	v_fma_f64 v[148:149], -v[142:143], v[144:145], 1.0
	v_fmac_f64_e32 v[144:145], v[144:145], v[148:149]
	v_div_scale_f64 v[148:149], vcc, 1.0, v[140:141], 1.0
	v_mul_f64 v[150:151], v[148:149], v[144:145]
	v_fma_f64 v[142:143], -v[142:143], v[150:151], v[148:149]
	s_nop 1
	v_div_fmas_f64 v[142:143], v[142:143], v[144:145], v[150:151]
	v_div_fixup_f64 v[144:145], v[142:143], v[140:141], 1.0
	v_mul_f64 v[146:147], v[146:147], -v[144:145]
.LBB41_133:
	s_or_b64 exec, exec, s[2:3]
	ds_write2_b64 v213, v[144:145], v[146:147] offset1:1
.LBB41_134:
	s_or_b64 exec, exec, s[4:5]
	s_waitcnt lgkmcnt(0)
	s_barrier
	ds_read2_b64 v[140:143], v213 offset1:1
	v_cmp_lt_u32_e32 vcc, 14, v212
	s_and_saveexec_b64 s[2:3], vcc
	s_cbranch_execz .LBB41_136
; %bb.135:
	ds_read2_b64 v[144:147], v214 offset0:30 offset1:31
	ds_read2_b64 v[148:151], v214 offset0:32 offset1:33
	s_waitcnt vmcnt(6) lgkmcnt(2)
	v_mul_f64 v[152:153], v[140:141], v[30:31]
	v_fmac_f64_e32 v[152:153], v[142:143], v[28:29]
	v_mul_f64 v[30:31], v[142:143], v[30:31]
	v_fma_f64 v[28:29], v[140:141], v[28:29], -v[30:31]
	s_waitcnt lgkmcnt(1)
	v_mul_f64 v[30:31], v[146:147], v[152:153]
	v_fma_f64 v[30:31], v[144:145], v[28:29], -v[30:31]
	v_mul_f64 v[144:145], v[144:145], v[152:153]
	v_fmac_f64_e32 v[144:145], v[146:147], v[28:29]
	s_waitcnt vmcnt(5)
	v_add_f64 v[24:25], v[24:25], -v[30:31]
	v_add_f64 v[26:27], v[26:27], -v[144:145]
	s_waitcnt lgkmcnt(0)
	v_mul_f64 v[30:31], v[150:151], v[152:153]
	ds_read2_b64 v[144:147], v214 offset0:34 offset1:35
	v_fma_f64 v[30:31], v[148:149], v[28:29], -v[30:31]
	v_mul_f64 v[148:149], v[148:149], v[152:153]
	v_fmac_f64_e32 v[148:149], v[150:151], v[28:29]
	s_waitcnt vmcnt(4)
	v_add_f64 v[22:23], v[22:23], -v[148:149]
	ds_read2_b64 v[148:151], v214 offset0:36 offset1:37
	v_add_f64 v[20:21], v[20:21], -v[30:31]
	s_waitcnt lgkmcnt(1)
	v_mul_f64 v[30:31], v[146:147], v[152:153]
	v_fma_f64 v[30:31], v[144:145], v[28:29], -v[30:31]
	v_mul_f64 v[144:145], v[144:145], v[152:153]
	v_fmac_f64_e32 v[144:145], v[146:147], v[28:29]
	s_waitcnt vmcnt(3)
	v_add_f64 v[16:17], v[16:17], -v[30:31]
	v_add_f64 v[18:19], v[18:19], -v[144:145]
	s_waitcnt lgkmcnt(0)
	v_mul_f64 v[30:31], v[150:151], v[152:153]
	ds_read2_b64 v[144:147], v214 offset0:38 offset1:39
	v_fma_f64 v[30:31], v[148:149], v[28:29], -v[30:31]
	v_mul_f64 v[148:149], v[148:149], v[152:153]
	v_fmac_f64_e32 v[148:149], v[150:151], v[28:29]
	s_waitcnt vmcnt(2)
	v_add_f64 v[14:15], v[14:15], -v[148:149]
	ds_read2_b64 v[148:151], v214 offset0:40 offset1:41
	v_add_f64 v[12:13], v[12:13], -v[30:31]
	s_waitcnt lgkmcnt(1)
	v_mul_f64 v[30:31], v[146:147], v[152:153]
	v_fma_f64 v[30:31], v[144:145], v[28:29], -v[30:31]
	v_mul_f64 v[144:145], v[144:145], v[152:153]
	v_fmac_f64_e32 v[144:145], v[146:147], v[28:29]
	s_waitcnt vmcnt(1)
	v_add_f64 v[8:9], v[8:9], -v[30:31]
	v_add_f64 v[10:11], v[10:11], -v[144:145]
	s_waitcnt lgkmcnt(0)
	v_mul_f64 v[30:31], v[150:151], v[152:153]
	v_mul_f64 v[144:145], v[148:149], v[152:153]
	v_fma_f64 v[30:31], v[148:149], v[28:29], -v[30:31]
	v_fmac_f64_e32 v[144:145], v[150:151], v[28:29]
	s_waitcnt vmcnt(0)
	v_add_f64 v[80:81], v[80:81], -v[30:31]
	v_add_f64 v[82:83], v[82:83], -v[144:145]
	v_mov_b64_e32 v[30:31], v[152:153]
.LBB41_136:
	s_or_b64 exec, exec, s[2:3]
	v_cmp_eq_u32_e32 vcc, 15, v212
	s_waitcnt lgkmcnt(0)
	s_barrier
	s_and_saveexec_b64 s[4:5], vcc
	s_cbranch_execz .LBB41_143
; %bb.137:
	s_waitcnt vmcnt(5)
	ds_write2_b64 v213, v[24:25], v[26:27] offset1:1
	s_waitcnt vmcnt(4)
	ds_write2_b64 v214, v[20:21], v[22:23] offset0:32 offset1:33
	s_waitcnt vmcnt(3)
	ds_write2_b64 v214, v[16:17], v[18:19] offset0:34 offset1:35
	;; [unrolled: 2-line block ×5, first 2 shown]
	ds_read2_b64 v[144:147], v213 offset1:1
	s_waitcnt lgkmcnt(0)
	v_cmp_neq_f64_e32 vcc, 0, v[144:145]
	v_cmp_neq_f64_e64 s[2:3], 0, v[146:147]
	s_or_b64 s[2:3], vcc, s[2:3]
	s_and_b64 exec, exec, s[2:3]
	s_cbranch_execz .LBB41_143
; %bb.138:
	v_cmp_ngt_f64_e64 s[2:3], |v[144:145]|, |v[146:147]|
                                        ; implicit-def: $vgpr148_vgpr149
	s_and_saveexec_b64 s[10:11], s[2:3]
	s_xor_b64 s[2:3], exec, s[10:11]
                                        ; implicit-def: $vgpr150_vgpr151
	s_cbranch_execz .LBB41_140
; %bb.139:
	v_div_scale_f64 v[148:149], s[10:11], v[146:147], v[146:147], v[144:145]
	v_rcp_f64_e32 v[150:151], v[148:149]
	v_div_scale_f64 v[152:153], vcc, v[144:145], v[146:147], v[144:145]
	v_fma_f64 v[154:155], -v[148:149], v[150:151], 1.0
	v_fmac_f64_e32 v[150:151], v[150:151], v[154:155]
	v_fma_f64 v[154:155], -v[148:149], v[150:151], 1.0
	v_fmac_f64_e32 v[150:151], v[150:151], v[154:155]
	v_mul_f64 v[154:155], v[152:153], v[150:151]
	v_fma_f64 v[148:149], -v[148:149], v[154:155], v[152:153]
	v_div_fmas_f64 v[148:149], v[148:149], v[150:151], v[154:155]
	v_div_fixup_f64 v[148:149], v[148:149], v[146:147], v[144:145]
	v_fmac_f64_e32 v[146:147], v[144:145], v[148:149]
	v_div_scale_f64 v[144:145], s[10:11], v[146:147], v[146:147], 1.0
	v_rcp_f64_e32 v[150:151], v[144:145]
	s_nop 0
	v_fma_f64 v[152:153], -v[144:145], v[150:151], 1.0
	v_fmac_f64_e32 v[150:151], v[150:151], v[152:153]
	v_fma_f64 v[152:153], -v[144:145], v[150:151], 1.0
	v_fmac_f64_e32 v[150:151], v[150:151], v[152:153]
	v_div_scale_f64 v[152:153], vcc, 1.0, v[146:147], 1.0
	v_mul_f64 v[154:155], v[152:153], v[150:151]
	v_fma_f64 v[144:145], -v[144:145], v[154:155], v[152:153]
	s_nop 1
	v_div_fmas_f64 v[144:145], v[144:145], v[150:151], v[154:155]
	v_div_fixup_f64 v[150:151], v[144:145], v[146:147], 1.0
	v_mul_f64 v[148:149], v[148:149], v[150:151]
	v_xor_b32_e32 v151, 0x80000000, v151
                                        ; implicit-def: $vgpr144_vgpr145
.LBB41_140:
	s_andn2_saveexec_b64 s[2:3], s[2:3]
	s_cbranch_execz .LBB41_142
; %bb.141:
	v_div_scale_f64 v[148:149], s[10:11], v[144:145], v[144:145], v[146:147]
	v_rcp_f64_e32 v[150:151], v[148:149]
	v_div_scale_f64 v[152:153], vcc, v[146:147], v[144:145], v[146:147]
	v_fma_f64 v[154:155], -v[148:149], v[150:151], 1.0
	v_fmac_f64_e32 v[150:151], v[150:151], v[154:155]
	v_fma_f64 v[154:155], -v[148:149], v[150:151], 1.0
	v_fmac_f64_e32 v[150:151], v[150:151], v[154:155]
	v_mul_f64 v[154:155], v[152:153], v[150:151]
	v_fma_f64 v[148:149], -v[148:149], v[154:155], v[152:153]
	v_div_fmas_f64 v[148:149], v[148:149], v[150:151], v[154:155]
	v_div_fixup_f64 v[150:151], v[148:149], v[144:145], v[146:147]
	v_fmac_f64_e32 v[144:145], v[146:147], v[150:151]
	v_div_scale_f64 v[146:147], s[10:11], v[144:145], v[144:145], 1.0
	v_rcp_f64_e32 v[148:149], v[146:147]
	s_nop 0
	v_fma_f64 v[152:153], -v[146:147], v[148:149], 1.0
	v_fmac_f64_e32 v[148:149], v[148:149], v[152:153]
	v_fma_f64 v[152:153], -v[146:147], v[148:149], 1.0
	v_fmac_f64_e32 v[148:149], v[148:149], v[152:153]
	v_div_scale_f64 v[152:153], vcc, 1.0, v[144:145], 1.0
	v_mul_f64 v[154:155], v[152:153], v[148:149]
	v_fma_f64 v[146:147], -v[146:147], v[154:155], v[152:153]
	s_nop 1
	v_div_fmas_f64 v[146:147], v[146:147], v[148:149], v[154:155]
	v_div_fixup_f64 v[148:149], v[146:147], v[144:145], 1.0
	v_mul_f64 v[150:151], v[150:151], -v[148:149]
.LBB41_142:
	s_or_b64 exec, exec, s[2:3]
	ds_write2_b64 v213, v[148:149], v[150:151] offset1:1
.LBB41_143:
	s_or_b64 exec, exec, s[4:5]
	s_waitcnt lgkmcnt(0)
	s_barrier
	ds_read2_b64 v[144:147], v213 offset1:1
	v_cmp_lt_u32_e32 vcc, 15, v212
	s_and_saveexec_b64 s[2:3], vcc
	s_cbranch_execz .LBB41_145
; %bb.144:
	ds_read2_b64 v[148:151], v214 offset0:32 offset1:33
	ds_read2_b64 v[152:155], v214 offset0:34 offset1:35
	s_waitcnt vmcnt(5) lgkmcnt(2)
	v_mul_f64 v[156:157], v[144:145], v[26:27]
	v_fmac_f64_e32 v[156:157], v[146:147], v[24:25]
	v_mul_f64 v[26:27], v[146:147], v[26:27]
	v_fma_f64 v[24:25], v[144:145], v[24:25], -v[26:27]
	s_waitcnt lgkmcnt(1)
	v_mul_f64 v[26:27], v[150:151], v[156:157]
	v_fma_f64 v[26:27], v[148:149], v[24:25], -v[26:27]
	v_mul_f64 v[148:149], v[148:149], v[156:157]
	v_fmac_f64_e32 v[148:149], v[150:151], v[24:25]
	s_waitcnt vmcnt(4)
	v_add_f64 v[22:23], v[22:23], -v[148:149]
	ds_read2_b64 v[148:151], v214 offset0:36 offset1:37
	v_add_f64 v[20:21], v[20:21], -v[26:27]
	s_waitcnt lgkmcnt(1)
	v_mul_f64 v[26:27], v[154:155], v[156:157]
	v_fma_f64 v[26:27], v[152:153], v[24:25], -v[26:27]
	v_mul_f64 v[152:153], v[152:153], v[156:157]
	v_fmac_f64_e32 v[152:153], v[154:155], v[24:25]
	s_waitcnt vmcnt(3)
	v_add_f64 v[16:17], v[16:17], -v[26:27]
	v_add_f64 v[18:19], v[18:19], -v[152:153]
	ds_read2_b64 v[152:155], v214 offset0:38 offset1:39
	s_waitcnt lgkmcnt(1)
	v_mul_f64 v[26:27], v[150:151], v[156:157]
	v_fma_f64 v[26:27], v[148:149], v[24:25], -v[26:27]
	v_mul_f64 v[148:149], v[148:149], v[156:157]
	v_fmac_f64_e32 v[148:149], v[150:151], v[24:25]
	s_waitcnt vmcnt(2)
	v_add_f64 v[14:15], v[14:15], -v[148:149]
	ds_read2_b64 v[148:151], v214 offset0:40 offset1:41
	v_add_f64 v[12:13], v[12:13], -v[26:27]
	s_waitcnt lgkmcnt(1)
	v_mul_f64 v[26:27], v[154:155], v[156:157]
	v_fma_f64 v[26:27], v[152:153], v[24:25], -v[26:27]
	s_waitcnt vmcnt(1)
	v_add_f64 v[8:9], v[8:9], -v[26:27]
	s_waitcnt lgkmcnt(0)
	v_mul_f64 v[26:27], v[150:151], v[156:157]
	v_mul_f64 v[152:153], v[152:153], v[156:157]
	v_fma_f64 v[26:27], v[148:149], v[24:25], -v[26:27]
	v_mul_f64 v[148:149], v[148:149], v[156:157]
	v_fmac_f64_e32 v[152:153], v[154:155], v[24:25]
	v_fmac_f64_e32 v[148:149], v[150:151], v[24:25]
	v_add_f64 v[10:11], v[10:11], -v[152:153]
	s_waitcnt vmcnt(0)
	v_add_f64 v[80:81], v[80:81], -v[26:27]
	v_add_f64 v[82:83], v[82:83], -v[148:149]
	v_mov_b64_e32 v[26:27], v[156:157]
.LBB41_145:
	s_or_b64 exec, exec, s[2:3]
	v_cmp_eq_u32_e32 vcc, 16, v212
	s_waitcnt lgkmcnt(0)
	s_barrier
	s_and_saveexec_b64 s[4:5], vcc
	s_cbranch_execz .LBB41_152
; %bb.146:
	s_waitcnt vmcnt(4)
	ds_write2_b64 v213, v[20:21], v[22:23] offset1:1
	s_waitcnt vmcnt(3)
	ds_write2_b64 v214, v[16:17], v[18:19] offset0:34 offset1:35
	s_waitcnt vmcnt(2)
	ds_write2_b64 v214, v[12:13], v[14:15] offset0:36 offset1:37
	;; [unrolled: 2-line block ×4, first 2 shown]
	ds_read2_b64 v[148:151], v213 offset1:1
	s_waitcnt lgkmcnt(0)
	v_cmp_neq_f64_e32 vcc, 0, v[148:149]
	v_cmp_neq_f64_e64 s[2:3], 0, v[150:151]
	s_or_b64 s[2:3], vcc, s[2:3]
	s_and_b64 exec, exec, s[2:3]
	s_cbranch_execz .LBB41_152
; %bb.147:
	v_cmp_ngt_f64_e64 s[2:3], |v[148:149]|, |v[150:151]|
                                        ; implicit-def: $vgpr152_vgpr153
	s_and_saveexec_b64 s[10:11], s[2:3]
	s_xor_b64 s[2:3], exec, s[10:11]
                                        ; implicit-def: $vgpr154_vgpr155
	s_cbranch_execz .LBB41_149
; %bb.148:
	v_div_scale_f64 v[152:153], s[10:11], v[150:151], v[150:151], v[148:149]
	v_rcp_f64_e32 v[154:155], v[152:153]
	v_div_scale_f64 v[156:157], vcc, v[148:149], v[150:151], v[148:149]
	v_fma_f64 v[158:159], -v[152:153], v[154:155], 1.0
	v_fmac_f64_e32 v[154:155], v[154:155], v[158:159]
	v_fma_f64 v[158:159], -v[152:153], v[154:155], 1.0
	v_fmac_f64_e32 v[154:155], v[154:155], v[158:159]
	v_mul_f64 v[158:159], v[156:157], v[154:155]
	v_fma_f64 v[152:153], -v[152:153], v[158:159], v[156:157]
	v_div_fmas_f64 v[152:153], v[152:153], v[154:155], v[158:159]
	v_div_fixup_f64 v[152:153], v[152:153], v[150:151], v[148:149]
	v_fmac_f64_e32 v[150:151], v[148:149], v[152:153]
	v_div_scale_f64 v[148:149], s[10:11], v[150:151], v[150:151], 1.0
	v_rcp_f64_e32 v[154:155], v[148:149]
	s_nop 0
	v_fma_f64 v[156:157], -v[148:149], v[154:155], 1.0
	v_fmac_f64_e32 v[154:155], v[154:155], v[156:157]
	v_fma_f64 v[156:157], -v[148:149], v[154:155], 1.0
	v_fmac_f64_e32 v[154:155], v[154:155], v[156:157]
	v_div_scale_f64 v[156:157], vcc, 1.0, v[150:151], 1.0
	v_mul_f64 v[158:159], v[156:157], v[154:155]
	v_fma_f64 v[148:149], -v[148:149], v[158:159], v[156:157]
	s_nop 1
	v_div_fmas_f64 v[148:149], v[148:149], v[154:155], v[158:159]
	v_div_fixup_f64 v[154:155], v[148:149], v[150:151], 1.0
	v_mul_f64 v[152:153], v[152:153], v[154:155]
	v_xor_b32_e32 v155, 0x80000000, v155
                                        ; implicit-def: $vgpr148_vgpr149
.LBB41_149:
	s_andn2_saveexec_b64 s[2:3], s[2:3]
	s_cbranch_execz .LBB41_151
; %bb.150:
	v_div_scale_f64 v[152:153], s[10:11], v[148:149], v[148:149], v[150:151]
	v_rcp_f64_e32 v[154:155], v[152:153]
	v_div_scale_f64 v[156:157], vcc, v[150:151], v[148:149], v[150:151]
	v_fma_f64 v[158:159], -v[152:153], v[154:155], 1.0
	v_fmac_f64_e32 v[154:155], v[154:155], v[158:159]
	v_fma_f64 v[158:159], -v[152:153], v[154:155], 1.0
	v_fmac_f64_e32 v[154:155], v[154:155], v[158:159]
	v_mul_f64 v[158:159], v[156:157], v[154:155]
	v_fma_f64 v[152:153], -v[152:153], v[158:159], v[156:157]
	v_div_fmas_f64 v[152:153], v[152:153], v[154:155], v[158:159]
	v_div_fixup_f64 v[154:155], v[152:153], v[148:149], v[150:151]
	v_fmac_f64_e32 v[148:149], v[150:151], v[154:155]
	v_div_scale_f64 v[150:151], s[10:11], v[148:149], v[148:149], 1.0
	v_rcp_f64_e32 v[152:153], v[150:151]
	s_nop 0
	v_fma_f64 v[156:157], -v[150:151], v[152:153], 1.0
	v_fmac_f64_e32 v[152:153], v[152:153], v[156:157]
	v_fma_f64 v[156:157], -v[150:151], v[152:153], 1.0
	v_fmac_f64_e32 v[152:153], v[152:153], v[156:157]
	v_div_scale_f64 v[156:157], vcc, 1.0, v[148:149], 1.0
	v_mul_f64 v[158:159], v[156:157], v[152:153]
	v_fma_f64 v[150:151], -v[150:151], v[158:159], v[156:157]
	s_nop 1
	v_div_fmas_f64 v[150:151], v[150:151], v[152:153], v[158:159]
	v_div_fixup_f64 v[152:153], v[150:151], v[148:149], 1.0
	v_mul_f64 v[154:155], v[154:155], -v[152:153]
.LBB41_151:
	s_or_b64 exec, exec, s[2:3]
	ds_write2_b64 v213, v[152:153], v[154:155] offset1:1
.LBB41_152:
	s_or_b64 exec, exec, s[4:5]
	s_waitcnt lgkmcnt(0)
	s_barrier
	ds_read2_b64 v[148:151], v213 offset1:1
	v_cmp_lt_u32_e32 vcc, 16, v212
	s_and_saveexec_b64 s[2:3], vcc
	s_cbranch_execz .LBB41_154
; %bb.153:
	ds_read2_b64 v[152:155], v214 offset0:34 offset1:35
	ds_read2_b64 v[156:159], v214 offset0:36 offset1:37
	s_waitcnt vmcnt(4) lgkmcnt(2)
	v_mul_f64 v[160:161], v[148:149], v[22:23]
	v_fmac_f64_e32 v[160:161], v[150:151], v[20:21]
	v_mul_f64 v[22:23], v[150:151], v[22:23]
	v_fma_f64 v[20:21], v[148:149], v[20:21], -v[22:23]
	s_waitcnt lgkmcnt(1)
	v_mul_f64 v[22:23], v[154:155], v[160:161]
	v_fma_f64 v[22:23], v[152:153], v[20:21], -v[22:23]
	v_mul_f64 v[152:153], v[152:153], v[160:161]
	v_fmac_f64_e32 v[152:153], v[154:155], v[20:21]
	s_waitcnt vmcnt(3)
	v_add_f64 v[16:17], v[16:17], -v[22:23]
	v_add_f64 v[18:19], v[18:19], -v[152:153]
	s_waitcnt lgkmcnt(0)
	v_mul_f64 v[22:23], v[158:159], v[160:161]
	ds_read2_b64 v[152:155], v214 offset0:38 offset1:39
	v_fma_f64 v[22:23], v[156:157], v[20:21], -v[22:23]
	v_mul_f64 v[156:157], v[156:157], v[160:161]
	v_fmac_f64_e32 v[156:157], v[158:159], v[20:21]
	s_waitcnt vmcnt(2)
	v_add_f64 v[14:15], v[14:15], -v[156:157]
	ds_read2_b64 v[156:159], v214 offset0:40 offset1:41
	v_add_f64 v[12:13], v[12:13], -v[22:23]
	s_waitcnt lgkmcnt(1)
	v_mul_f64 v[22:23], v[154:155], v[160:161]
	v_fma_f64 v[22:23], v[152:153], v[20:21], -v[22:23]
	v_mul_f64 v[152:153], v[152:153], v[160:161]
	v_fmac_f64_e32 v[152:153], v[154:155], v[20:21]
	s_waitcnt vmcnt(1)
	v_add_f64 v[8:9], v[8:9], -v[22:23]
	v_add_f64 v[10:11], v[10:11], -v[152:153]
	s_waitcnt lgkmcnt(0)
	v_mul_f64 v[22:23], v[158:159], v[160:161]
	v_mul_f64 v[152:153], v[156:157], v[160:161]
	v_fma_f64 v[22:23], v[156:157], v[20:21], -v[22:23]
	v_fmac_f64_e32 v[152:153], v[158:159], v[20:21]
	s_waitcnt vmcnt(0)
	v_add_f64 v[80:81], v[80:81], -v[22:23]
	v_add_f64 v[82:83], v[82:83], -v[152:153]
	v_mov_b64_e32 v[22:23], v[160:161]
.LBB41_154:
	s_or_b64 exec, exec, s[2:3]
	v_cmp_eq_u32_e32 vcc, 17, v212
	s_waitcnt lgkmcnt(0)
	s_barrier
	s_and_saveexec_b64 s[4:5], vcc
	s_cbranch_execz .LBB41_161
; %bb.155:
	s_waitcnt vmcnt(3)
	ds_write2_b64 v213, v[16:17], v[18:19] offset1:1
	s_waitcnt vmcnt(2)
	ds_write2_b64 v214, v[12:13], v[14:15] offset0:36 offset1:37
	s_waitcnt vmcnt(1)
	ds_write2_b64 v214, v[8:9], v[10:11] offset0:38 offset1:39
	;; [unrolled: 2-line block ×3, first 2 shown]
	ds_read2_b64 v[152:155], v213 offset1:1
	s_waitcnt lgkmcnt(0)
	v_cmp_neq_f64_e32 vcc, 0, v[152:153]
	v_cmp_neq_f64_e64 s[2:3], 0, v[154:155]
	s_or_b64 s[2:3], vcc, s[2:3]
	s_and_b64 exec, exec, s[2:3]
	s_cbranch_execz .LBB41_161
; %bb.156:
	v_cmp_ngt_f64_e64 s[2:3], |v[152:153]|, |v[154:155]|
                                        ; implicit-def: $vgpr156_vgpr157
	s_and_saveexec_b64 s[10:11], s[2:3]
	s_xor_b64 s[2:3], exec, s[10:11]
                                        ; implicit-def: $vgpr158_vgpr159
	s_cbranch_execz .LBB41_158
; %bb.157:
	v_div_scale_f64 v[156:157], s[10:11], v[154:155], v[154:155], v[152:153]
	v_rcp_f64_e32 v[158:159], v[156:157]
	v_div_scale_f64 v[160:161], vcc, v[152:153], v[154:155], v[152:153]
	v_fma_f64 v[162:163], -v[156:157], v[158:159], 1.0
	v_fmac_f64_e32 v[158:159], v[158:159], v[162:163]
	v_fma_f64 v[162:163], -v[156:157], v[158:159], 1.0
	v_fmac_f64_e32 v[158:159], v[158:159], v[162:163]
	v_mul_f64 v[162:163], v[160:161], v[158:159]
	v_fma_f64 v[156:157], -v[156:157], v[162:163], v[160:161]
	v_div_fmas_f64 v[156:157], v[156:157], v[158:159], v[162:163]
	v_div_fixup_f64 v[156:157], v[156:157], v[154:155], v[152:153]
	v_fmac_f64_e32 v[154:155], v[152:153], v[156:157]
	v_div_scale_f64 v[152:153], s[10:11], v[154:155], v[154:155], 1.0
	v_rcp_f64_e32 v[158:159], v[152:153]
	s_nop 0
	v_fma_f64 v[160:161], -v[152:153], v[158:159], 1.0
	v_fmac_f64_e32 v[158:159], v[158:159], v[160:161]
	v_fma_f64 v[160:161], -v[152:153], v[158:159], 1.0
	v_fmac_f64_e32 v[158:159], v[158:159], v[160:161]
	v_div_scale_f64 v[160:161], vcc, 1.0, v[154:155], 1.0
	v_mul_f64 v[162:163], v[160:161], v[158:159]
	v_fma_f64 v[152:153], -v[152:153], v[162:163], v[160:161]
	s_nop 1
	v_div_fmas_f64 v[152:153], v[152:153], v[158:159], v[162:163]
	v_div_fixup_f64 v[158:159], v[152:153], v[154:155], 1.0
	v_mul_f64 v[156:157], v[156:157], v[158:159]
	v_xor_b32_e32 v159, 0x80000000, v159
                                        ; implicit-def: $vgpr152_vgpr153
.LBB41_158:
	s_andn2_saveexec_b64 s[2:3], s[2:3]
	s_cbranch_execz .LBB41_160
; %bb.159:
	v_div_scale_f64 v[156:157], s[10:11], v[152:153], v[152:153], v[154:155]
	v_rcp_f64_e32 v[158:159], v[156:157]
	v_div_scale_f64 v[160:161], vcc, v[154:155], v[152:153], v[154:155]
	v_fma_f64 v[162:163], -v[156:157], v[158:159], 1.0
	v_fmac_f64_e32 v[158:159], v[158:159], v[162:163]
	v_fma_f64 v[162:163], -v[156:157], v[158:159], 1.0
	v_fmac_f64_e32 v[158:159], v[158:159], v[162:163]
	v_mul_f64 v[162:163], v[160:161], v[158:159]
	v_fma_f64 v[156:157], -v[156:157], v[162:163], v[160:161]
	v_div_fmas_f64 v[156:157], v[156:157], v[158:159], v[162:163]
	v_div_fixup_f64 v[158:159], v[156:157], v[152:153], v[154:155]
	v_fmac_f64_e32 v[152:153], v[154:155], v[158:159]
	v_div_scale_f64 v[154:155], s[10:11], v[152:153], v[152:153], 1.0
	v_rcp_f64_e32 v[156:157], v[154:155]
	s_nop 0
	v_fma_f64 v[160:161], -v[154:155], v[156:157], 1.0
	v_fmac_f64_e32 v[156:157], v[156:157], v[160:161]
	v_fma_f64 v[160:161], -v[154:155], v[156:157], 1.0
	v_fmac_f64_e32 v[156:157], v[156:157], v[160:161]
	v_div_scale_f64 v[160:161], vcc, 1.0, v[152:153], 1.0
	v_mul_f64 v[162:163], v[160:161], v[156:157]
	v_fma_f64 v[154:155], -v[154:155], v[162:163], v[160:161]
	s_nop 1
	v_div_fmas_f64 v[154:155], v[154:155], v[156:157], v[162:163]
	v_div_fixup_f64 v[156:157], v[154:155], v[152:153], 1.0
	v_mul_f64 v[158:159], v[158:159], -v[156:157]
.LBB41_160:
	s_or_b64 exec, exec, s[2:3]
	ds_write2_b64 v213, v[156:157], v[158:159] offset1:1
.LBB41_161:
	s_or_b64 exec, exec, s[4:5]
	s_waitcnt lgkmcnt(0)
	s_barrier
	ds_read2_b64 v[152:155], v213 offset1:1
	v_cmp_lt_u32_e32 vcc, 17, v212
	s_and_saveexec_b64 s[2:3], vcc
	s_cbranch_execz .LBB41_163
; %bb.162:
	ds_read2_b64 v[156:159], v214 offset0:36 offset1:37
	ds_read2_b64 v[160:163], v214 offset0:38 offset1:39
	s_waitcnt vmcnt(3) lgkmcnt(2)
	v_mul_f64 v[164:165], v[152:153], v[18:19]
	v_fmac_f64_e32 v[164:165], v[154:155], v[16:17]
	v_mul_f64 v[18:19], v[154:155], v[18:19]
	v_fma_f64 v[16:17], v[152:153], v[16:17], -v[18:19]
	s_waitcnt lgkmcnt(1)
	v_mul_f64 v[18:19], v[158:159], v[164:165]
	v_fma_f64 v[18:19], v[156:157], v[16:17], -v[18:19]
	v_mul_f64 v[156:157], v[156:157], v[164:165]
	v_fmac_f64_e32 v[156:157], v[158:159], v[16:17]
	s_waitcnt vmcnt(2)
	v_add_f64 v[14:15], v[14:15], -v[156:157]
	ds_read2_b64 v[156:159], v214 offset0:40 offset1:41
	v_add_f64 v[12:13], v[12:13], -v[18:19]
	s_waitcnt lgkmcnt(1)
	v_mul_f64 v[18:19], v[162:163], v[164:165]
	v_fma_f64 v[18:19], v[160:161], v[16:17], -v[18:19]
	s_waitcnt vmcnt(1)
	v_add_f64 v[8:9], v[8:9], -v[18:19]
	s_waitcnt lgkmcnt(0)
	v_mul_f64 v[18:19], v[158:159], v[164:165]
	v_mul_f64 v[160:161], v[160:161], v[164:165]
	v_fma_f64 v[18:19], v[156:157], v[16:17], -v[18:19]
	v_mul_f64 v[156:157], v[156:157], v[164:165]
	v_fmac_f64_e32 v[160:161], v[162:163], v[16:17]
	v_fmac_f64_e32 v[156:157], v[158:159], v[16:17]
	v_add_f64 v[10:11], v[10:11], -v[160:161]
	s_waitcnt vmcnt(0)
	v_add_f64 v[80:81], v[80:81], -v[18:19]
	v_add_f64 v[82:83], v[82:83], -v[156:157]
	v_mov_b64_e32 v[18:19], v[164:165]
.LBB41_163:
	s_or_b64 exec, exec, s[2:3]
	v_cmp_eq_u32_e32 vcc, 18, v212
	s_waitcnt lgkmcnt(0)
	s_barrier
	s_and_saveexec_b64 s[4:5], vcc
	s_cbranch_execz .LBB41_170
; %bb.164:
	s_waitcnt vmcnt(2)
	ds_write2_b64 v213, v[12:13], v[14:15] offset1:1
	s_waitcnt vmcnt(1)
	ds_write2_b64 v214, v[8:9], v[10:11] offset0:38 offset1:39
	s_waitcnt vmcnt(0)
	ds_write2_b64 v214, v[80:81], v[82:83] offset0:40 offset1:41
	ds_read2_b64 v[156:159], v213 offset1:1
	s_waitcnt lgkmcnt(0)
	v_cmp_neq_f64_e32 vcc, 0, v[156:157]
	v_cmp_neq_f64_e64 s[2:3], 0, v[158:159]
	s_or_b64 s[2:3], vcc, s[2:3]
	s_and_b64 exec, exec, s[2:3]
	s_cbranch_execz .LBB41_170
; %bb.165:
	v_cmp_ngt_f64_e64 s[2:3], |v[156:157]|, |v[158:159]|
                                        ; implicit-def: $vgpr160_vgpr161
	s_and_saveexec_b64 s[10:11], s[2:3]
	s_xor_b64 s[2:3], exec, s[10:11]
                                        ; implicit-def: $vgpr162_vgpr163
	s_cbranch_execz .LBB41_167
; %bb.166:
	v_div_scale_f64 v[160:161], s[10:11], v[158:159], v[158:159], v[156:157]
	v_rcp_f64_e32 v[162:163], v[160:161]
	v_div_scale_f64 v[164:165], vcc, v[156:157], v[158:159], v[156:157]
	v_fma_f64 v[166:167], -v[160:161], v[162:163], 1.0
	v_fmac_f64_e32 v[162:163], v[162:163], v[166:167]
	v_fma_f64 v[166:167], -v[160:161], v[162:163], 1.0
	v_fmac_f64_e32 v[162:163], v[162:163], v[166:167]
	v_mul_f64 v[166:167], v[164:165], v[162:163]
	v_fma_f64 v[160:161], -v[160:161], v[166:167], v[164:165]
	v_div_fmas_f64 v[160:161], v[160:161], v[162:163], v[166:167]
	v_div_fixup_f64 v[160:161], v[160:161], v[158:159], v[156:157]
	v_fmac_f64_e32 v[158:159], v[156:157], v[160:161]
	v_div_scale_f64 v[156:157], s[10:11], v[158:159], v[158:159], 1.0
	v_rcp_f64_e32 v[162:163], v[156:157]
	s_nop 0
	v_fma_f64 v[164:165], -v[156:157], v[162:163], 1.0
	v_fmac_f64_e32 v[162:163], v[162:163], v[164:165]
	v_fma_f64 v[164:165], -v[156:157], v[162:163], 1.0
	v_fmac_f64_e32 v[162:163], v[162:163], v[164:165]
	v_div_scale_f64 v[164:165], vcc, 1.0, v[158:159], 1.0
	v_mul_f64 v[166:167], v[164:165], v[162:163]
	v_fma_f64 v[156:157], -v[156:157], v[166:167], v[164:165]
	s_nop 1
	v_div_fmas_f64 v[156:157], v[156:157], v[162:163], v[166:167]
	v_div_fixup_f64 v[162:163], v[156:157], v[158:159], 1.0
	v_mul_f64 v[160:161], v[160:161], v[162:163]
	v_xor_b32_e32 v163, 0x80000000, v163
                                        ; implicit-def: $vgpr156_vgpr157
.LBB41_167:
	s_andn2_saveexec_b64 s[2:3], s[2:3]
	s_cbranch_execz .LBB41_169
; %bb.168:
	v_div_scale_f64 v[160:161], s[10:11], v[156:157], v[156:157], v[158:159]
	v_rcp_f64_e32 v[162:163], v[160:161]
	v_div_scale_f64 v[164:165], vcc, v[158:159], v[156:157], v[158:159]
	v_fma_f64 v[166:167], -v[160:161], v[162:163], 1.0
	v_fmac_f64_e32 v[162:163], v[162:163], v[166:167]
	v_fma_f64 v[166:167], -v[160:161], v[162:163], 1.0
	v_fmac_f64_e32 v[162:163], v[162:163], v[166:167]
	v_mul_f64 v[166:167], v[164:165], v[162:163]
	v_fma_f64 v[160:161], -v[160:161], v[166:167], v[164:165]
	v_div_fmas_f64 v[160:161], v[160:161], v[162:163], v[166:167]
	v_div_fixup_f64 v[162:163], v[160:161], v[156:157], v[158:159]
	v_fmac_f64_e32 v[156:157], v[158:159], v[162:163]
	v_div_scale_f64 v[158:159], s[10:11], v[156:157], v[156:157], 1.0
	v_rcp_f64_e32 v[160:161], v[158:159]
	s_nop 0
	v_fma_f64 v[164:165], -v[158:159], v[160:161], 1.0
	v_fmac_f64_e32 v[160:161], v[160:161], v[164:165]
	v_fma_f64 v[164:165], -v[158:159], v[160:161], 1.0
	v_fmac_f64_e32 v[160:161], v[160:161], v[164:165]
	v_div_scale_f64 v[164:165], vcc, 1.0, v[156:157], 1.0
	v_mul_f64 v[166:167], v[164:165], v[160:161]
	v_fma_f64 v[158:159], -v[158:159], v[166:167], v[164:165]
	s_nop 1
	v_div_fmas_f64 v[158:159], v[158:159], v[160:161], v[166:167]
	v_div_fixup_f64 v[160:161], v[158:159], v[156:157], 1.0
	v_mul_f64 v[162:163], v[162:163], -v[160:161]
.LBB41_169:
	s_or_b64 exec, exec, s[2:3]
	ds_write2_b64 v213, v[160:161], v[162:163] offset1:1
.LBB41_170:
	s_or_b64 exec, exec, s[4:5]
	s_waitcnt lgkmcnt(0)
	s_barrier
	ds_read2_b64 v[156:159], v213 offset1:1
	v_cmp_lt_u32_e32 vcc, 18, v212
	s_and_saveexec_b64 s[2:3], vcc
	s_cbranch_execz .LBB41_172
; %bb.171:
	ds_read2_b64 v[160:163], v214 offset0:38 offset1:39
	ds_read2_b64 v[164:167], v214 offset0:40 offset1:41
	s_waitcnt vmcnt(2) lgkmcnt(2)
	v_mul_f64 v[216:217], v[156:157], v[14:15]
	v_fmac_f64_e32 v[216:217], v[158:159], v[12:13]
	v_mul_f64 v[14:15], v[158:159], v[14:15]
	v_fma_f64 v[12:13], v[156:157], v[12:13], -v[14:15]
	s_waitcnt lgkmcnt(1)
	v_mul_f64 v[14:15], v[162:163], v[216:217]
	v_fma_f64 v[14:15], v[160:161], v[12:13], -v[14:15]
	v_mul_f64 v[160:161], v[160:161], v[216:217]
	v_fmac_f64_e32 v[160:161], v[162:163], v[12:13]
	s_waitcnt vmcnt(1)
	v_add_f64 v[8:9], v[8:9], -v[14:15]
	v_add_f64 v[10:11], v[10:11], -v[160:161]
	s_waitcnt lgkmcnt(0)
	v_mul_f64 v[14:15], v[166:167], v[216:217]
	v_mul_f64 v[160:161], v[164:165], v[216:217]
	v_fma_f64 v[14:15], v[164:165], v[12:13], -v[14:15]
	v_fmac_f64_e32 v[160:161], v[166:167], v[12:13]
	s_waitcnt vmcnt(0)
	v_add_f64 v[80:81], v[80:81], -v[14:15]
	v_add_f64 v[82:83], v[82:83], -v[160:161]
	v_mov_b64_e32 v[14:15], v[216:217]
.LBB41_172:
	s_or_b64 exec, exec, s[2:3]
	v_cmp_eq_u32_e32 vcc, 19, v212
	s_waitcnt lgkmcnt(0)
	s_barrier
	s_and_saveexec_b64 s[4:5], vcc
	s_cbranch_execz .LBB41_179
; %bb.173:
	s_waitcnt vmcnt(1)
	ds_write2_b64 v213, v[8:9], v[10:11] offset1:1
	s_waitcnt vmcnt(0)
	ds_write2_b64 v214, v[80:81], v[82:83] offset0:40 offset1:41
	ds_read2_b64 v[160:163], v213 offset1:1
	s_waitcnt lgkmcnt(0)
	v_cmp_neq_f64_e32 vcc, 0, v[160:161]
	v_cmp_neq_f64_e64 s[2:3], 0, v[162:163]
	s_or_b64 s[2:3], vcc, s[2:3]
	s_and_b64 exec, exec, s[2:3]
	s_cbranch_execz .LBB41_179
; %bb.174:
	v_cmp_ngt_f64_e64 s[2:3], |v[160:161]|, |v[162:163]|
                                        ; implicit-def: $vgpr164_vgpr165
	s_and_saveexec_b64 s[10:11], s[2:3]
	s_xor_b64 s[2:3], exec, s[10:11]
                                        ; implicit-def: $vgpr166_vgpr167
	s_cbranch_execz .LBB41_176
; %bb.175:
	v_div_scale_f64 v[164:165], s[10:11], v[162:163], v[162:163], v[160:161]
	v_rcp_f64_e32 v[166:167], v[164:165]
	v_div_scale_f64 v[216:217], vcc, v[160:161], v[162:163], v[160:161]
	v_fma_f64 v[218:219], -v[164:165], v[166:167], 1.0
	v_fmac_f64_e32 v[166:167], v[166:167], v[218:219]
	v_fma_f64 v[218:219], -v[164:165], v[166:167], 1.0
	v_fmac_f64_e32 v[166:167], v[166:167], v[218:219]
	v_mul_f64 v[218:219], v[216:217], v[166:167]
	v_fma_f64 v[164:165], -v[164:165], v[218:219], v[216:217]
	v_div_fmas_f64 v[164:165], v[164:165], v[166:167], v[218:219]
	v_div_fixup_f64 v[164:165], v[164:165], v[162:163], v[160:161]
	v_fmac_f64_e32 v[162:163], v[160:161], v[164:165]
	v_div_scale_f64 v[160:161], s[10:11], v[162:163], v[162:163], 1.0
	v_rcp_f64_e32 v[166:167], v[160:161]
	s_nop 0
	v_fma_f64 v[216:217], -v[160:161], v[166:167], 1.0
	v_fmac_f64_e32 v[166:167], v[166:167], v[216:217]
	v_fma_f64 v[216:217], -v[160:161], v[166:167], 1.0
	v_fmac_f64_e32 v[166:167], v[166:167], v[216:217]
	v_div_scale_f64 v[216:217], vcc, 1.0, v[162:163], 1.0
	v_mul_f64 v[218:219], v[216:217], v[166:167]
	v_fma_f64 v[160:161], -v[160:161], v[218:219], v[216:217]
	s_nop 1
	v_div_fmas_f64 v[160:161], v[160:161], v[166:167], v[218:219]
	v_div_fixup_f64 v[166:167], v[160:161], v[162:163], 1.0
	v_mul_f64 v[164:165], v[164:165], v[166:167]
	v_xor_b32_e32 v167, 0x80000000, v167
                                        ; implicit-def: $vgpr160_vgpr161
.LBB41_176:
	s_andn2_saveexec_b64 s[2:3], s[2:3]
	s_cbranch_execz .LBB41_178
; %bb.177:
	v_div_scale_f64 v[164:165], s[10:11], v[160:161], v[160:161], v[162:163]
	v_rcp_f64_e32 v[166:167], v[164:165]
	v_div_scale_f64 v[216:217], vcc, v[162:163], v[160:161], v[162:163]
	v_fma_f64 v[218:219], -v[164:165], v[166:167], 1.0
	v_fmac_f64_e32 v[166:167], v[166:167], v[218:219]
	v_fma_f64 v[218:219], -v[164:165], v[166:167], 1.0
	v_fmac_f64_e32 v[166:167], v[166:167], v[218:219]
	v_mul_f64 v[218:219], v[216:217], v[166:167]
	v_fma_f64 v[164:165], -v[164:165], v[218:219], v[216:217]
	v_div_fmas_f64 v[164:165], v[164:165], v[166:167], v[218:219]
	v_div_fixup_f64 v[166:167], v[164:165], v[160:161], v[162:163]
	v_fmac_f64_e32 v[160:161], v[162:163], v[166:167]
	v_div_scale_f64 v[162:163], s[10:11], v[160:161], v[160:161], 1.0
	v_rcp_f64_e32 v[164:165], v[162:163]
	s_nop 0
	v_fma_f64 v[216:217], -v[162:163], v[164:165], 1.0
	v_fmac_f64_e32 v[164:165], v[164:165], v[216:217]
	v_fma_f64 v[216:217], -v[162:163], v[164:165], 1.0
	v_fmac_f64_e32 v[164:165], v[164:165], v[216:217]
	v_div_scale_f64 v[216:217], vcc, 1.0, v[160:161], 1.0
	v_mul_f64 v[218:219], v[216:217], v[164:165]
	v_fma_f64 v[162:163], -v[162:163], v[218:219], v[216:217]
	s_nop 1
	v_div_fmas_f64 v[162:163], v[162:163], v[164:165], v[218:219]
	v_div_fixup_f64 v[164:165], v[162:163], v[160:161], 1.0
	v_mul_f64 v[166:167], v[166:167], -v[164:165]
.LBB41_178:
	s_or_b64 exec, exec, s[2:3]
	ds_write2_b64 v213, v[164:165], v[166:167] offset1:1
.LBB41_179:
	s_or_b64 exec, exec, s[4:5]
	s_waitcnt lgkmcnt(0)
	s_barrier
	ds_read2_b64 v[160:163], v213 offset1:1
	v_cmp_lt_u32_e32 vcc, 19, v212
	s_and_saveexec_b64 s[2:3], vcc
	s_cbranch_execz .LBB41_181
; %bb.180:
	ds_read2_b64 v[164:167], v214 offset0:40 offset1:41
	s_waitcnt vmcnt(1) lgkmcnt(1)
	v_mul_f64 v[214:215], v[160:161], v[10:11]
	v_mul_f64 v[10:11], v[162:163], v[10:11]
	v_fmac_f64_e32 v[214:215], v[162:163], v[8:9]
	v_fma_f64 v[8:9], v[160:161], v[8:9], -v[10:11]
	s_waitcnt lgkmcnt(0)
	v_mul_f64 v[10:11], v[166:167], v[214:215]
	v_fma_f64 v[10:11], v[164:165], v[8:9], -v[10:11]
	v_mul_f64 v[164:165], v[164:165], v[214:215]
	v_fmac_f64_e32 v[164:165], v[166:167], v[8:9]
	s_waitcnt vmcnt(0)
	v_add_f64 v[80:81], v[80:81], -v[10:11]
	v_add_f64 v[82:83], v[82:83], -v[164:165]
	v_mov_b64_e32 v[10:11], v[214:215]
.LBB41_181:
	s_or_b64 exec, exec, s[2:3]
	v_cmp_eq_u32_e32 vcc, 20, v212
	s_waitcnt lgkmcnt(0)
	s_barrier
	s_and_saveexec_b64 s[4:5], vcc
	s_cbranch_execz .LBB41_188
; %bb.182:
	s_waitcnt vmcnt(0)
	v_cmp_neq_f64_e32 vcc, 0, v[80:81]
	v_cmp_neq_f64_e64 s[2:3], 0, v[82:83]
	s_or_b64 s[2:3], vcc, s[2:3]
	ds_write2_b64 v213, v[80:81], v[82:83] offset1:1
	s_and_b64 exec, exec, s[2:3]
	s_cbranch_execz .LBB41_188
; %bb.183:
	v_cmp_ngt_f64_e64 s[2:3], |v[80:81]|, |v[82:83]|
                                        ; implicit-def: $vgpr164_vgpr165
	s_and_saveexec_b64 s[10:11], s[2:3]
	s_xor_b64 s[2:3], exec, s[10:11]
                                        ; implicit-def: $vgpr166_vgpr167
	s_cbranch_execz .LBB41_185
; %bb.184:
	v_div_scale_f64 v[164:165], s[10:11], v[82:83], v[82:83], v[80:81]
	v_rcp_f64_e32 v[166:167], v[164:165]
	v_div_scale_f64 v[214:215], vcc, v[80:81], v[82:83], v[80:81]
	v_fma_f64 v[216:217], -v[164:165], v[166:167], 1.0
	v_fmac_f64_e32 v[166:167], v[166:167], v[216:217]
	v_fma_f64 v[216:217], -v[164:165], v[166:167], 1.0
	v_fmac_f64_e32 v[166:167], v[166:167], v[216:217]
	v_mul_f64 v[216:217], v[214:215], v[166:167]
	v_fma_f64 v[164:165], -v[164:165], v[216:217], v[214:215]
	v_div_fmas_f64 v[164:165], v[164:165], v[166:167], v[216:217]
	v_div_fixup_f64 v[164:165], v[164:165], v[82:83], v[80:81]
	v_fma_f64 v[166:167], v[80:81], v[164:165], v[82:83]
	v_div_scale_f64 v[214:215], s[10:11], v[166:167], v[166:167], 1.0
	v_rcp_f64_e32 v[216:217], v[214:215]
	s_nop 0
	v_fma_f64 v[218:219], -v[214:215], v[216:217], 1.0
	v_fmac_f64_e32 v[216:217], v[216:217], v[218:219]
	v_fma_f64 v[218:219], -v[214:215], v[216:217], 1.0
	v_fmac_f64_e32 v[216:217], v[216:217], v[218:219]
	v_div_scale_f64 v[218:219], vcc, 1.0, v[166:167], 1.0
	v_mul_f64 v[220:221], v[218:219], v[216:217]
	v_fma_f64 v[214:215], -v[214:215], v[220:221], v[218:219]
	s_nop 1
	v_div_fmas_f64 v[214:215], v[214:215], v[216:217], v[220:221]
	v_div_fixup_f64 v[166:167], v[214:215], v[166:167], 1.0
	v_mul_f64 v[164:165], v[164:165], v[166:167]
	v_xor_b32_e32 v167, 0x80000000, v167
.LBB41_185:
	s_andn2_saveexec_b64 s[2:3], s[2:3]
	s_cbranch_execz .LBB41_187
; %bb.186:
	v_div_scale_f64 v[164:165], s[10:11], v[80:81], v[80:81], v[82:83]
	v_rcp_f64_e32 v[166:167], v[164:165]
	v_div_scale_f64 v[214:215], vcc, v[82:83], v[80:81], v[82:83]
	v_fma_f64 v[216:217], -v[164:165], v[166:167], 1.0
	v_fmac_f64_e32 v[166:167], v[166:167], v[216:217]
	v_fma_f64 v[216:217], -v[164:165], v[166:167], 1.0
	v_fmac_f64_e32 v[166:167], v[166:167], v[216:217]
	v_mul_f64 v[216:217], v[214:215], v[166:167]
	v_fma_f64 v[164:165], -v[164:165], v[216:217], v[214:215]
	v_div_fmas_f64 v[164:165], v[164:165], v[166:167], v[216:217]
	v_div_fixup_f64 v[166:167], v[164:165], v[80:81], v[82:83]
	v_fma_f64 v[164:165], v[82:83], v[166:167], v[80:81]
	v_div_scale_f64 v[214:215], s[10:11], v[164:165], v[164:165], 1.0
	v_rcp_f64_e32 v[216:217], v[214:215]
	s_nop 0
	v_fma_f64 v[218:219], -v[214:215], v[216:217], 1.0
	v_fmac_f64_e32 v[216:217], v[216:217], v[218:219]
	v_fma_f64 v[218:219], -v[214:215], v[216:217], 1.0
	v_fmac_f64_e32 v[216:217], v[216:217], v[218:219]
	v_div_scale_f64 v[218:219], vcc, 1.0, v[164:165], 1.0
	v_mul_f64 v[220:221], v[218:219], v[216:217]
	v_fma_f64 v[214:215], -v[214:215], v[220:221], v[218:219]
	s_nop 1
	v_div_fmas_f64 v[214:215], v[214:215], v[216:217], v[220:221]
	v_div_fixup_f64 v[164:165], v[214:215], v[164:165], 1.0
	v_mul_f64 v[166:167], v[166:167], -v[164:165]
.LBB41_187:
	s_or_b64 exec, exec, s[2:3]
	ds_write2_b64 v213, v[164:165], v[166:167] offset1:1
.LBB41_188:
	s_or_b64 exec, exec, s[4:5]
	s_waitcnt lgkmcnt(0)
	s_barrier
	ds_read2_b64 v[164:167], v213 offset1:1
	s_waitcnt lgkmcnt(0)
	s_barrier
	s_and_saveexec_b64 s[2:3], s[0:1]
	s_cbranch_execz .LBB41_191
; %bb.189:
	v_cmp_eq_f64_e32 vcc, 0, v[84:85]
	v_cmp_eq_f64_e64 s[0:1], 0, v[86:87]
	s_and_b64 s[4:5], vcc, s[0:1]
	v_cmp_neq_f64_e32 vcc, 0, v[88:89]
	v_cmp_neq_f64_e64 s[0:1], 0, v[90:91]
	s_or_b64 s[0:1], vcc, s[0:1]
	v_cndmask_b32_e64 v84, 0, 1, s[4:5]
	s_or_b64 vcc, s[0:1], s[4:5]
	v_cndmask_b32_e32 v84, 2, v84, vcc
	v_cmp_eq_f64_e32 vcc, 0, v[92:93]
	v_cmp_eq_f64_e64 s[0:1], 0, v[94:95]
	s_and_b64 s[0:1], vcc, s[0:1]
	v_cmp_eq_u32_e32 vcc, 0, v84
	s_and_b64 s[0:1], s[0:1], vcc
	v_cndmask_b32_e64 v84, v84, 3, s[0:1]
	v_cmp_eq_f64_e32 vcc, 0, v[96:97]
	v_cmp_eq_f64_e64 s[0:1], 0, v[98:99]
	s_and_b64 s[0:1], vcc, s[0:1]
	v_cmp_eq_u32_e32 vcc, 0, v84
	s_and_b64 s[0:1], s[0:1], vcc
	v_cndmask_b32_e64 v84, v84, 4, s[0:1]
	;; [unrolled: 6-line block ×5, first 2 shown]
	v_mov_b32_e32 v84, s6
	v_mov_b32_e32 v85, s7
	v_lshl_add_u64 v[84:85], v[190:191], 2, v[84:85]
	global_load_dword v87, v[84:85], off
	v_cmp_eq_f64_e32 vcc, 0, v[112:113]
	v_cmp_eq_f64_e64 s[0:1], 0, v[114:115]
	s_and_b64 s[0:1], vcc, s[0:1]
	v_cmp_eq_u32_e32 vcc, 0, v86
	s_and_b64 s[0:1], s[0:1], vcc
	v_cndmask_b32_e64 v86, v86, 8, s[0:1]
	v_cmp_eq_f64_e32 vcc, 0, v[116:117]
	v_cmp_eq_f64_e64 s[0:1], 0, v[118:119]
	s_and_b64 s[0:1], vcc, s[0:1]
	v_cmp_eq_u32_e32 vcc, 0, v86
	s_and_b64 s[0:1], s[0:1], vcc
	v_cndmask_b32_e64 v86, v86, 9, s[0:1]
	;; [unrolled: 6-line block ×14, first 2 shown]
	s_waitcnt vmcnt(0)
	v_cmp_eq_u32_e32 vcc, 0, v87
	v_cmp_ne_u32_e64 s[0:1], 0, v86
	s_and_b64 s[0:1], vcc, s[0:1]
	s_and_b64 exec, exec, s[0:1]
	s_cbranch_execz .LBB41_191
; %bb.190:
	v_add_u32_e32 v86, s9, v86
	global_store_dword v[84:85], v86, off
.LBB41_191:
	s_or_b64 exec, exec, s[2:3]
	s_waitcnt vmcnt(0)
	v_mul_f64 v[84:85], v[166:167], v[82:83]
	v_mul_f64 v[86:87], v[164:165], v[82:83]
	v_fma_f64 v[84:85], v[164:165], v[80:81], -v[84:85]
	v_fmac_f64_e32 v[86:87], v[166:167], v[80:81]
	v_cmp_lt_u32_e32 vcc, 20, v212
	s_nop 1
	v_cndmask_b32_e32 v83, v83, v87, vcc
	v_cndmask_b32_e32 v82, v82, v86, vcc
	;; [unrolled: 1-line block ×4, first 2 shown]
	global_store_dwordx4 v[168:169], v[4:7], off
	global_store_dwordx4 v[170:171], v[0:3], off
	;; [unrolled: 1-line block ×21, first 2 shown]
.LBB41_192:
	s_endpgm
	.section	.rodata,"a",@progbits
	.p2align	6, 0x0
	.amdhsa_kernel _ZN9rocsolver6v33100L23getf2_npvt_small_kernelILi21E19rocblas_complex_numIdEiiPS3_EEvT1_T3_lS5_lPT2_S5_S5_
		.amdhsa_group_segment_fixed_size 0
		.amdhsa_private_segment_fixed_size 0
		.amdhsa_kernarg_size 312
		.amdhsa_user_sgpr_count 2
		.amdhsa_user_sgpr_dispatch_ptr 0
		.amdhsa_user_sgpr_queue_ptr 0
		.amdhsa_user_sgpr_kernarg_segment_ptr 1
		.amdhsa_user_sgpr_dispatch_id 0
		.amdhsa_user_sgpr_kernarg_preload_length 0
		.amdhsa_user_sgpr_kernarg_preload_offset 0
		.amdhsa_user_sgpr_private_segment_size 0
		.amdhsa_uses_dynamic_stack 0
		.amdhsa_enable_private_segment 0
		.amdhsa_system_sgpr_workgroup_id_x 1
		.amdhsa_system_sgpr_workgroup_id_y 1
		.amdhsa_system_sgpr_workgroup_id_z 0
		.amdhsa_system_sgpr_workgroup_info 0
		.amdhsa_system_vgpr_workitem_id 1
		.amdhsa_next_free_vgpr 222
		.amdhsa_next_free_sgpr 16
		.amdhsa_accum_offset 224
		.amdhsa_reserve_vcc 1
		.amdhsa_float_round_mode_32 0
		.amdhsa_float_round_mode_16_64 0
		.amdhsa_float_denorm_mode_32 3
		.amdhsa_float_denorm_mode_16_64 3
		.amdhsa_dx10_clamp 1
		.amdhsa_ieee_mode 1
		.amdhsa_fp16_overflow 0
		.amdhsa_tg_split 0
		.amdhsa_exception_fp_ieee_invalid_op 0
		.amdhsa_exception_fp_denorm_src 0
		.amdhsa_exception_fp_ieee_div_zero 0
		.amdhsa_exception_fp_ieee_overflow 0
		.amdhsa_exception_fp_ieee_underflow 0
		.amdhsa_exception_fp_ieee_inexact 0
		.amdhsa_exception_int_div_zero 0
	.end_amdhsa_kernel
	.section	.text._ZN9rocsolver6v33100L23getf2_npvt_small_kernelILi21E19rocblas_complex_numIdEiiPS3_EEvT1_T3_lS5_lPT2_S5_S5_,"axG",@progbits,_ZN9rocsolver6v33100L23getf2_npvt_small_kernelILi21E19rocblas_complex_numIdEiiPS3_EEvT1_T3_lS5_lPT2_S5_S5_,comdat
.Lfunc_end41:
	.size	_ZN9rocsolver6v33100L23getf2_npvt_small_kernelILi21E19rocblas_complex_numIdEiiPS3_EEvT1_T3_lS5_lPT2_S5_S5_, .Lfunc_end41-_ZN9rocsolver6v33100L23getf2_npvt_small_kernelILi21E19rocblas_complex_numIdEiiPS3_EEvT1_T3_lS5_lPT2_S5_S5_
                                        ; -- End function
	.set _ZN9rocsolver6v33100L23getf2_npvt_small_kernelILi21E19rocblas_complex_numIdEiiPS3_EEvT1_T3_lS5_lPT2_S5_S5_.num_vgpr, 222
	.set _ZN9rocsolver6v33100L23getf2_npvt_small_kernelILi21E19rocblas_complex_numIdEiiPS3_EEvT1_T3_lS5_lPT2_S5_S5_.num_agpr, 0
	.set _ZN9rocsolver6v33100L23getf2_npvt_small_kernelILi21E19rocblas_complex_numIdEiiPS3_EEvT1_T3_lS5_lPT2_S5_S5_.numbered_sgpr, 16
	.set _ZN9rocsolver6v33100L23getf2_npvt_small_kernelILi21E19rocblas_complex_numIdEiiPS3_EEvT1_T3_lS5_lPT2_S5_S5_.num_named_barrier, 0
	.set _ZN9rocsolver6v33100L23getf2_npvt_small_kernelILi21E19rocblas_complex_numIdEiiPS3_EEvT1_T3_lS5_lPT2_S5_S5_.private_seg_size, 0
	.set _ZN9rocsolver6v33100L23getf2_npvt_small_kernelILi21E19rocblas_complex_numIdEiiPS3_EEvT1_T3_lS5_lPT2_S5_S5_.uses_vcc, 1
	.set _ZN9rocsolver6v33100L23getf2_npvt_small_kernelILi21E19rocblas_complex_numIdEiiPS3_EEvT1_T3_lS5_lPT2_S5_S5_.uses_flat_scratch, 0
	.set _ZN9rocsolver6v33100L23getf2_npvt_small_kernelILi21E19rocblas_complex_numIdEiiPS3_EEvT1_T3_lS5_lPT2_S5_S5_.has_dyn_sized_stack, 0
	.set _ZN9rocsolver6v33100L23getf2_npvt_small_kernelILi21E19rocblas_complex_numIdEiiPS3_EEvT1_T3_lS5_lPT2_S5_S5_.has_recursion, 0
	.set _ZN9rocsolver6v33100L23getf2_npvt_small_kernelILi21E19rocblas_complex_numIdEiiPS3_EEvT1_T3_lS5_lPT2_S5_S5_.has_indirect_call, 0
	.section	.AMDGPU.csdata,"",@progbits
; Kernel info:
; codeLenInByte = 27884
; TotalNumSgprs: 22
; NumVgprs: 222
; NumAgprs: 0
; TotalNumVgprs: 222
; ScratchSize: 0
; MemoryBound: 1
; FloatMode: 240
; IeeeMode: 1
; LDSByteSize: 0 bytes/workgroup (compile time only)
; SGPRBlocks: 2
; VGPRBlocks: 27
; NumSGPRsForWavesPerEU: 22
; NumVGPRsForWavesPerEU: 222
; AccumOffset: 224
; Occupancy: 2
; WaveLimiterHint : 0
; COMPUTE_PGM_RSRC2:SCRATCH_EN: 0
; COMPUTE_PGM_RSRC2:USER_SGPR: 2
; COMPUTE_PGM_RSRC2:TRAP_HANDLER: 0
; COMPUTE_PGM_RSRC2:TGID_X_EN: 1
; COMPUTE_PGM_RSRC2:TGID_Y_EN: 1
; COMPUTE_PGM_RSRC2:TGID_Z_EN: 0
; COMPUTE_PGM_RSRC2:TIDIG_COMP_CNT: 1
; COMPUTE_PGM_RSRC3_GFX90A:ACCUM_OFFSET: 55
; COMPUTE_PGM_RSRC3_GFX90A:TG_SPLIT: 0
	.section	.text._ZN9rocsolver6v33100L18getf2_small_kernelILi22E19rocblas_complex_numIdEiiPS3_EEvT1_T3_lS5_lPS5_llPT2_S5_S5_S7_l,"axG",@progbits,_ZN9rocsolver6v33100L18getf2_small_kernelILi22E19rocblas_complex_numIdEiiPS3_EEvT1_T3_lS5_lPS5_llPT2_S5_S5_S7_l,comdat
	.globl	_ZN9rocsolver6v33100L18getf2_small_kernelILi22E19rocblas_complex_numIdEiiPS3_EEvT1_T3_lS5_lPS5_llPT2_S5_S5_S7_l ; -- Begin function _ZN9rocsolver6v33100L18getf2_small_kernelILi22E19rocblas_complex_numIdEiiPS3_EEvT1_T3_lS5_lPS5_llPT2_S5_S5_S7_l
	.p2align	8
	.type	_ZN9rocsolver6v33100L18getf2_small_kernelILi22E19rocblas_complex_numIdEiiPS3_EEvT1_T3_lS5_lPS5_llPT2_S5_S5_S7_l,@function
_ZN9rocsolver6v33100L18getf2_small_kernelILi22E19rocblas_complex_numIdEiiPS3_EEvT1_T3_lS5_lPS5_llPT2_S5_S5_S7_l: ; @_ZN9rocsolver6v33100L18getf2_small_kernelILi22E19rocblas_complex_numIdEiiPS3_EEvT1_T3_lS5_lPS5_llPT2_S5_S5_S7_l
; %bb.0:
	s_load_dword s2, s[0:1], 0x6c
	s_load_dwordx2 s[12:13], s[0:1], 0x48
	v_bfe_u32 v88, v0, 10, 10
	s_waitcnt lgkmcnt(0)
	s_lshr_b32 s2, s2, 16
	s_mul_i32 s3, s3, s2
	v_add_u32_e32 v94, s3, v88
	v_cmp_gt_i32_e32 vcc, s12, v94
	s_and_saveexec_b64 s[2:3], vcc
	s_cbranch_execz .LBB42_463
; %bb.1:
	s_load_dwordx4 s[4:7], s[0:1], 0x50
	v_ashrrev_i32_e32 v95, 31, v94
	v_mov_b64_e32 v[96:97], 0
	s_waitcnt lgkmcnt(0)
	s_cmp_eq_u64 s[4:5], 0
	s_cselect_b64 s[14:15], -1, 0
	s_and_b64 vcc, exec, s[14:15]
	s_cbranch_vccnz .LBB42_3
; %bb.2:
	v_mul_lo_u32 v1, s7, v94
	v_mul_lo_u32 v4, s6, v95
	v_mad_u64_u32 v[2:3], s[2:3], s6, v94, 0
	v_add3_u32 v3, v3, v4, v1
	v_lshl_add_u64 v[96:97], v[2:3], 2, s[4:5]
.LBB42_3:
	s_load_dwordx4 s[16:19], s[0:1], 0x8
	s_load_dwordx8 s[4:11], s[0:1], 0x20
	s_load_dword s2, s[0:1], 0x18
	s_load_dword s20, s[0:1], 0x0
	v_and_b32_e32 v102, 0x3ff, v0
	s_waitcnt lgkmcnt(0)
	v_mov_b32_e32 v2, s16
	v_mul_lo_u32 v1, s5, v94
	v_mul_lo_u32 v6, s4, v95
	v_mad_u64_u32 v[4:5], s[4:5], s4, v94, 0
	v_mov_b32_e32 v3, s17
	v_add3_u32 v5, v5, v6, v1
	v_lshl_add_u64 v[2:3], v[4:5], 4, v[2:3]
	s_add_i32 s12, s2, s2
	v_lshl_add_u64 v[92:93], s[18:19], 4, v[2:3]
	v_add_u32_e32 v2, s12, v102
	v_add_u32_e32 v4, s2, v2
	;; [unrolled: 1-line block ×3, first 2 shown]
	v_lshlrev_b32_e32 v98, 4, v102
	v_mov_b32_e32 v99, 0
	v_ashrrev_i32_e32 v3, 31, v2
	v_ashrrev_i32_e32 v7, 31, v6
	v_add_u32_e32 v8, s2, v6
	v_lshl_add_u64 v[0:1], v[92:93], 0, v[98:99]
	s_ashr_i32 s3, s2, 31
	v_ashrrev_i32_e32 v5, 31, v4
	v_lshl_add_u64 v[2:3], v[2:3], 4, v[92:93]
	v_lshl_add_u64 v[84:85], v[6:7], 4, v[92:93]
	v_add_u32_e32 v6, s2, v8
	v_lshl_add_u64 v[4:5], v[4:5], 4, v[92:93]
	v_lshl_add_u64 v[10:11], s[2:3], 4, v[0:1]
	global_load_dwordx4 v[52:55], v[2:3], off
	global_load_dwordx4 v[44:47], v[4:5], off
	;; [unrolled: 1-line block ×4, first 2 shown]
	v_add_u32_e32 v2, s2, v6
	v_ashrrev_i32_e32 v9, 31, v8
	v_ashrrev_i32_e32 v7, 31, v6
	v_add_u32_e32 v4, s2, v2
	v_lshl_add_u64 v[0:1], v[8:9], 4, v[92:93]
	v_lshl_add_u64 v[8:9], v[6:7], 4, v[92:93]
	v_ashrrev_i32_e32 v5, 31, v4
	v_add_u32_e32 v6, s2, v4
	v_lshl_add_u64 v[10:11], v[4:5], 4, v[92:93]
	v_ashrrev_i32_e32 v7, 31, v6
	v_add_u32_e32 v4, s2, v6
	;; [unrolled: 3-line block ×12, first 2 shown]
	v_ashrrev_i32_e32 v3, 31, v2
	v_lshl_add_u64 v[118:119], v[6:7], 4, v[92:93]
	v_add_u32_e32 v6, s2, v4
	v_lshl_add_u64 v[2:3], v[2:3], 4, v[92:93]
	v_ashrrev_i32_e32 v5, 31, v4
	v_ashrrev_i32_e32 v7, 31, v6
	v_lshl_add_u64 v[120:121], v[4:5], 4, v[92:93]
	v_lshl_add_u64 v[122:123], v[6:7], 4, v[92:93]
	global_load_dwordx4 v[80:83], v[84:85], off
	global_load_dwordx4 v[76:79], v[0:1], off
	;; [unrolled: 1-line block ×15, first 2 shown]
                                        ; kill: killed $vgpr110_vgpr111
                                        ; kill: killed $vgpr8_vgpr9
                                        ; kill: killed $vgpr112_vgpr113
                                        ; kill: killed $vgpr2_vgpr3
                                        ; kill: killed $vgpr114_vgpr115
                                        ; kill: killed $vgpr10_vgpr11
                                        ; kill: killed $vgpr116_vgpr117
                                        ; kill: killed $vgpr86_vgpr87
                                        ; kill: killed $vgpr90_vgpr91
                                        ; kill: killed $vgpr100_vgpr101
                                        ; kill: killed $vgpr104_vgpr105
                                        ; kill: killed $vgpr106_vgpr107
                                        ; kill: killed $vgpr84_vgpr85
                                        ; kill: killed $vgpr108_vgpr109
                                        ; kill: killed $vgpr0_vgpr1
	global_load_dwordx4 v[8:11], v[118:119], off
	global_load_dwordx4 v[0:3], v[120:121], off
	;; [unrolled: 1-line block ×3, first 2 shown]
	s_load_dwordx2 s[4:5], s[0:1], 0x40
	s_max_i32 s0, s20, 22
	v_mul_lo_u32 v101, s0, v88
	v_lshl_add_u32 v100, v101, 4, 0
	v_add_u32_e32 v88, v100, v98
	s_cmp_lt_i32 s20, 2
	v_lshlrev_b32_e32 v104, 4, v101
	s_waitcnt vmcnt(19)
	ds_write2_b64 v88, v[68:69], v[70:71] offset1:1
	s_waitcnt lgkmcnt(0)
	s_barrier
	ds_read2_b64 v[88:91], v100 offset1:1
	s_cbranch_scc1 .LBB42_6
; %bb.4:
	v_add3_u32 v98, v104, 0, 16
	s_mov_b32 s16, 1
	v_mov_b32_e32 v99, 0
.LBB42_5:                               ; =>This Inner Loop Header: Depth=1
	ds_read2_b64 v[106:109], v98 offset1:1
	s_waitcnt lgkmcnt(1)
	v_xor_b32_e32 v101, 0x80000000, v89
	v_xor_b32_e32 v103, 0x80000000, v91
	v_cmp_gt_f64_e32 vcc, 0, v[90:91]
	v_cmp_gt_f64_e64 s[0:1], 0, v[88:89]
	v_mov_b32_e32 v110, v88
	v_mov_b32_e32 v112, v90
	v_cndmask_b32_e64 v111, v89, v101, s[0:1]
	v_cndmask_b32_e32 v113, v91, v103, vcc
	s_waitcnt lgkmcnt(0)
	v_xor_b32_e32 v101, 0x80000000, v107
	v_xor_b32_e32 v103, 0x80000000, v109
	v_cmp_gt_f64_e32 vcc, 0, v[108:109]
	v_cmp_gt_f64_e64 s[0:1], 0, v[106:107]
	v_add_f64 v[110:111], v[110:111], v[112:113]
	v_mov_b32_e32 v112, v106
	v_mov_b32_e32 v114, v108
	v_cndmask_b32_e64 v113, v107, v101, s[0:1]
	v_cndmask_b32_e32 v115, v109, v103, vcc
	v_add_f64 v[112:113], v[112:113], v[114:115]
	v_mov_b32_e32 v105, s16
	s_add_i32 s16, s16, 1
	v_cmp_lt_f64_e32 vcc, v[110:111], v[112:113]
	v_add_u32_e32 v98, 16, v98
	s_cmp_eq_u32 s20, s16
	v_cndmask_b32_e32 v89, v89, v107, vcc
	v_cndmask_b32_e32 v88, v88, v106, vcc
	;; [unrolled: 1-line block ×5, first 2 shown]
	s_cbranch_scc0 .LBB42_5
.LBB42_6:
	s_waitcnt lgkmcnt(0)
	v_cmp_neq_f64_e32 vcc, 0, v[88:89]
	v_cmp_neq_f64_e64 s[0:1], 0, v[90:91]
	s_or_b64 s[16:17], vcc, s[0:1]
	v_mov_b32_e32 v103, 1
	v_mov_b32_e32 v105, 1
	s_and_saveexec_b64 s[0:1], s[16:17]
	s_cbranch_execz .LBB42_12
; %bb.7:
	v_cmp_ngt_f64_e64 s[16:17], |v[88:89]|, |v[90:91]|
	s_and_saveexec_b64 s[18:19], s[16:17]
	s_xor_b64 s[16:17], exec, s[18:19]
	s_cbranch_execz .LBB42_9
; %bb.8:
	v_div_scale_f64 v[106:107], s[18:19], v[90:91], v[90:91], v[88:89]
	v_rcp_f64_e32 v[108:109], v[106:107]
	v_div_scale_f64 v[110:111], vcc, v[88:89], v[90:91], v[88:89]
	v_fma_f64 v[112:113], -v[106:107], v[108:109], 1.0
	v_fmac_f64_e32 v[108:109], v[108:109], v[112:113]
	v_fma_f64 v[112:113], -v[106:107], v[108:109], 1.0
	v_fmac_f64_e32 v[108:109], v[108:109], v[112:113]
	v_mul_f64 v[112:113], v[110:111], v[108:109]
	v_fma_f64 v[106:107], -v[106:107], v[112:113], v[110:111]
	v_div_fmas_f64 v[106:107], v[106:107], v[108:109], v[112:113]
	v_div_fixup_f64 v[106:107], v[106:107], v[90:91], v[88:89]
	v_fmac_f64_e32 v[90:91], v[88:89], v[106:107]
	v_div_scale_f64 v[88:89], s[18:19], v[90:91], v[90:91], 1.0
	v_rcp_f64_e32 v[108:109], v[88:89]
	s_nop 0
	v_fma_f64 v[110:111], -v[88:89], v[108:109], 1.0
	v_fmac_f64_e32 v[108:109], v[108:109], v[110:111]
	v_fma_f64 v[110:111], -v[88:89], v[108:109], 1.0
	v_fmac_f64_e32 v[108:109], v[108:109], v[110:111]
	v_div_scale_f64 v[110:111], vcc, 1.0, v[90:91], 1.0
	v_mul_f64 v[112:113], v[110:111], v[108:109]
	v_fma_f64 v[88:89], -v[88:89], v[112:113], v[110:111]
	s_nop 1
	v_div_fmas_f64 v[88:89], v[88:89], v[108:109], v[112:113]
	v_div_fixup_f64 v[90:91], v[88:89], v[90:91], 1.0
	v_mul_f64 v[88:89], v[106:107], v[90:91]
	v_xor_b32_e32 v91, 0x80000000, v91
.LBB42_9:
	s_andn2_saveexec_b64 s[16:17], s[16:17]
	s_cbranch_execz .LBB42_11
; %bb.10:
	v_div_scale_f64 v[106:107], s[18:19], v[88:89], v[88:89], v[90:91]
	v_rcp_f64_e32 v[108:109], v[106:107]
	v_div_scale_f64 v[110:111], vcc, v[90:91], v[88:89], v[90:91]
	v_fma_f64 v[112:113], -v[106:107], v[108:109], 1.0
	v_fmac_f64_e32 v[108:109], v[108:109], v[112:113]
	v_fma_f64 v[112:113], -v[106:107], v[108:109], 1.0
	v_fmac_f64_e32 v[108:109], v[108:109], v[112:113]
	v_mul_f64 v[112:113], v[110:111], v[108:109]
	v_fma_f64 v[106:107], -v[106:107], v[112:113], v[110:111]
	v_div_fmas_f64 v[106:107], v[106:107], v[108:109], v[112:113]
	v_div_fixup_f64 v[106:107], v[106:107], v[88:89], v[90:91]
	v_fmac_f64_e32 v[88:89], v[90:91], v[106:107]
	v_div_scale_f64 v[90:91], s[18:19], v[88:89], v[88:89], 1.0
	v_rcp_f64_e32 v[108:109], v[90:91]
	s_nop 0
	v_fma_f64 v[110:111], -v[90:91], v[108:109], 1.0
	v_fmac_f64_e32 v[108:109], v[108:109], v[110:111]
	v_fma_f64 v[110:111], -v[90:91], v[108:109], 1.0
	v_fmac_f64_e32 v[108:109], v[108:109], v[110:111]
	v_div_scale_f64 v[110:111], vcc, 1.0, v[88:89], 1.0
	v_mul_f64 v[112:113], v[110:111], v[108:109]
	v_fma_f64 v[90:91], -v[90:91], v[112:113], v[110:111]
	s_nop 1
	v_div_fmas_f64 v[90:91], v[90:91], v[108:109], v[112:113]
	v_div_fixup_f64 v[88:89], v[90:91], v[88:89], 1.0
	v_mul_f64 v[90:91], v[106:107], -v[88:89]
.LBB42_11:
	s_or_b64 exec, exec, s[16:17]
	v_mov_b32_e32 v105, 0
	v_mov_b32_e32 v103, 2
.LBB42_12:
	s_or_b64 exec, exec, s[0:1]
	v_cmp_ne_u32_e32 vcc, v102, v99
	s_and_saveexec_b64 s[0:1], vcc
	s_xor_b64 s[0:1], exec, s[0:1]
	s_cbranch_execz .LBB42_18
; %bb.13:
	v_cmp_eq_u32_e32 vcc, 0, v102
	s_and_saveexec_b64 s[16:17], vcc
	s_cbranch_execz .LBB42_17
; %bb.14:
	v_cmp_ne_u32_e32 vcc, 0, v99
	s_xor_b64 s[18:19], s[14:15], -1
	s_and_b64 s[22:23], s[18:19], vcc
	s_and_saveexec_b64 s[18:19], s[22:23]
	s_cbranch_execz .LBB42_16
; %bb.15:
	v_ashrrev_i32_e32 v107, 31, v99
	v_mov_b32_e32 v106, v99
	v_lshl_add_u64 v[106:107], v[106:107], 2, v[96:97]
	global_load_dword v98, v[106:107], off
	global_load_dword v101, v[96:97], off
	s_waitcnt vmcnt(1)
	global_store_dword v[96:97], v98, off
	s_waitcnt vmcnt(1)
	global_store_dword v[106:107], v101, off
.LBB42_16:
	s_or_b64 exec, exec, s[18:19]
	v_mov_b32_e32 v102, v99
.LBB42_17:
	s_or_b64 exec, exec, s[16:17]
.LBB42_18:
	s_or_saveexec_b64 s[0:1], s[0:1]
	v_mov_b32_e32 v101, v102
	s_xor_b64 exec, exec, s[0:1]
	s_cbranch_execz .LBB42_20
; %bb.19:
	v_mov_b32_e32 v101, 0
	s_waitcnt vmcnt(18)
	ds_write2_b64 v100, v[64:65], v[66:67] offset0:2 offset1:3
	ds_write2_b64 v100, v[52:53], v[54:55] offset0:4 offset1:5
	;; [unrolled: 1-line block ×3, first 2 shown]
	s_waitcnt vmcnt(17)
	ds_write2_b64 v100, v[80:81], v[82:83] offset0:8 offset1:9
	s_waitcnt vmcnt(16)
	ds_write2_b64 v100, v[76:77], v[78:79] offset0:10 offset1:11
	;; [unrolled: 2-line block ×18, first 2 shown]
.LBB42_20:
	s_or_b64 exec, exec, s[0:1]
	v_cmp_lt_i32_e32 vcc, 0, v101
	s_waitcnt lgkmcnt(0)
	s_barrier
	s_and_saveexec_b64 s[0:1], vcc
	s_cbranch_execz .LBB42_22
; %bb.21:
	ds_read2_b64 v[106:109], v100 offset0:2 offset1:3
	v_mul_f64 v[98:99], v[90:91], v[70:71]
	v_mul_f64 v[70:71], v[88:89], v[70:71]
	v_fmac_f64_e32 v[70:71], v[90:91], v[68:69]
	v_fma_f64 v[98:99], v[88:89], v[68:69], -v[98:99]
	ds_read2_b64 v[88:91], v100 offset0:4 offset1:5
	s_waitcnt lgkmcnt(1)
	v_mul_f64 v[68:69], v[108:109], v[70:71]
	v_fma_f64 v[68:69], v[106:107], v[98:99], -v[68:69]
	v_mul_f64 v[106:107], v[106:107], v[70:71]
	v_fmac_f64_e32 v[106:107], v[108:109], v[98:99]
	s_waitcnt vmcnt(18)
	v_add_f64 v[66:67], v[66:67], -v[106:107]
	ds_read2_b64 v[106:109], v100 offset0:6 offset1:7
	v_add_f64 v[64:65], v[64:65], -v[68:69]
	s_waitcnt lgkmcnt(1)
	v_mul_f64 v[68:69], v[90:91], v[70:71]
	v_fma_f64 v[68:69], v[88:89], v[98:99], -v[68:69]
	v_mul_f64 v[88:89], v[88:89], v[70:71]
	v_fmac_f64_e32 v[88:89], v[90:91], v[98:99]
	v_add_f64 v[52:53], v[52:53], -v[68:69]
	v_add_f64 v[54:55], v[54:55], -v[88:89]
	ds_read2_b64 v[88:91], v100 offset0:8 offset1:9
	s_waitcnt lgkmcnt(1)
	v_mul_f64 v[68:69], v[108:109], v[70:71]
	v_fma_f64 v[68:69], v[106:107], v[98:99], -v[68:69]
	v_mul_f64 v[106:107], v[106:107], v[70:71]
	v_fmac_f64_e32 v[106:107], v[108:109], v[98:99]
	v_add_f64 v[46:47], v[46:47], -v[106:107]
	ds_read2_b64 v[106:109], v100 offset0:10 offset1:11
	v_add_f64 v[44:45], v[44:45], -v[68:69]
	s_waitcnt lgkmcnt(1)
	v_mul_f64 v[68:69], v[90:91], v[70:71]
	v_fma_f64 v[68:69], v[88:89], v[98:99], -v[68:69]
	v_mul_f64 v[88:89], v[88:89], v[70:71]
	v_fmac_f64_e32 v[88:89], v[90:91], v[98:99]
	s_waitcnt vmcnt(17)
	v_add_f64 v[80:81], v[80:81], -v[68:69]
	v_add_f64 v[82:83], v[82:83], -v[88:89]
	ds_read2_b64 v[88:91], v100 offset0:12 offset1:13
	s_waitcnt lgkmcnt(1)
	v_mul_f64 v[68:69], v[108:109], v[70:71]
	v_fma_f64 v[68:69], v[106:107], v[98:99], -v[68:69]
	v_mul_f64 v[106:107], v[106:107], v[70:71]
	v_fmac_f64_e32 v[106:107], v[108:109], v[98:99]
	s_waitcnt vmcnt(16)
	v_add_f64 v[78:79], v[78:79], -v[106:107]
	ds_read2_b64 v[106:109], v100 offset0:14 offset1:15
	v_add_f64 v[76:77], v[76:77], -v[68:69]
	s_waitcnt lgkmcnt(1)
	v_mul_f64 v[68:69], v[90:91], v[70:71]
	v_fma_f64 v[68:69], v[88:89], v[98:99], -v[68:69]
	v_mul_f64 v[88:89], v[88:89], v[70:71]
	v_fmac_f64_e32 v[88:89], v[90:91], v[98:99]
	s_waitcnt vmcnt(15)
	v_add_f64 v[72:73], v[72:73], -v[68:69]
	v_add_f64 v[74:75], v[74:75], -v[88:89]
	ds_read2_b64 v[88:91], v100 offset0:16 offset1:17
	s_waitcnt lgkmcnt(1)
	v_mul_f64 v[68:69], v[108:109], v[70:71]
	v_fma_f64 v[68:69], v[106:107], v[98:99], -v[68:69]
	v_mul_f64 v[106:107], v[106:107], v[70:71]
	v_fmac_f64_e32 v[106:107], v[108:109], v[98:99]
	s_waitcnt vmcnt(14)
	;; [unrolled: 18-line block ×8, first 2 shown]
	v_add_f64 v[10:11], v[10:11], -v[106:107]
	ds_read2_b64 v[106:109], v100 offset0:42 offset1:43
	v_add_f64 v[8:9], v[8:9], -v[68:69]
	s_waitcnt lgkmcnt(1)
	v_mul_f64 v[68:69], v[90:91], v[70:71]
	v_fma_f64 v[68:69], v[88:89], v[98:99], -v[68:69]
	v_mul_f64 v[88:89], v[88:89], v[70:71]
	v_fmac_f64_e32 v[88:89], v[90:91], v[98:99]
	s_waitcnt vmcnt(1)
	v_add_f64 v[0:1], v[0:1], -v[68:69]
	v_add_f64 v[2:3], v[2:3], -v[88:89]
	s_waitcnt lgkmcnt(0)
	v_mul_f64 v[68:69], v[108:109], v[70:71]
	v_mul_f64 v[88:89], v[106:107], v[70:71]
	v_fma_f64 v[68:69], v[106:107], v[98:99], -v[68:69]
	v_fmac_f64_e32 v[88:89], v[108:109], v[98:99]
	s_waitcnt vmcnt(0)
	v_add_f64 v[84:85], v[84:85], -v[68:69]
	v_add_f64 v[86:87], v[86:87], -v[88:89]
	v_mov_b64_e32 v[68:69], v[98:99]
.LBB42_22:
	s_or_b64 exec, exec, s[0:1]
	v_lshl_add_u32 v88, v101, 4, v100
	s_barrier
	s_waitcnt vmcnt(18)
	ds_write2_b64 v88, v[64:65], v[66:67] offset1:1
	s_waitcnt lgkmcnt(0)
	s_barrier
	ds_read2_b64 v[88:91], v100 offset0:2 offset1:3
	s_cmp_lt_i32 s20, 3
	v_mov_b32_e32 v98, 1
	s_cbranch_scc1 .LBB42_25
; %bb.23:
	v_add3_u32 v99, v104, 0, 32
	s_mov_b32 s16, 2
	v_mov_b32_e32 v98, 1
.LBB42_24:                              ; =>This Inner Loop Header: Depth=1
	ds_read2_b64 v[106:109], v99 offset1:1
	s_waitcnt lgkmcnt(1)
	v_xor_b32_e32 v111, 0x80000000, v89
	v_xor_b32_e32 v113, 0x80000000, v91
	v_cmp_gt_f64_e32 vcc, 0, v[90:91]
	v_cmp_gt_f64_e64 s[0:1], 0, v[88:89]
	v_mov_b32_e32 v110, v88
	v_mov_b32_e32 v112, v90
	v_cndmask_b32_e64 v111, v89, v111, s[0:1]
	v_cndmask_b32_e32 v113, v91, v113, vcc
	v_add_f64 v[110:111], v[110:111], v[112:113]
	s_waitcnt lgkmcnt(0)
	v_xor_b32_e32 v113, 0x80000000, v107
	v_xor_b32_e32 v115, 0x80000000, v109
	v_cmp_gt_f64_e32 vcc, 0, v[108:109]
	v_cmp_gt_f64_e64 s[0:1], 0, v[106:107]
	v_mov_b32_e32 v112, v106
	v_mov_b32_e32 v114, v108
	v_cndmask_b32_e64 v113, v107, v113, s[0:1]
	v_cndmask_b32_e32 v115, v109, v115, vcc
	v_add_f64 v[112:113], v[112:113], v[114:115]
	v_mov_b32_e32 v116, s16
	s_add_i32 s16, s16, 1
	v_cmp_lt_f64_e32 vcc, v[110:111], v[112:113]
	v_add_u32_e32 v99, 16, v99
	s_cmp_lg_u32 s20, s16
	v_cndmask_b32_e32 v89, v89, v107, vcc
	v_cndmask_b32_e32 v88, v88, v106, vcc
	;; [unrolled: 1-line block ×5, first 2 shown]
	s_cbranch_scc1 .LBB42_24
.LBB42_25:
	s_waitcnt lgkmcnt(0)
	v_cmp_neq_f64_e32 vcc, 0, v[88:89]
	v_cmp_neq_f64_e64 s[0:1], 0, v[90:91]
	s_or_b64 s[16:17], vcc, s[0:1]
	s_and_saveexec_b64 s[0:1], s[16:17]
	s_cbranch_execz .LBB42_31
; %bb.26:
	v_cmp_ngt_f64_e64 s[16:17], |v[88:89]|, |v[90:91]|
	s_and_saveexec_b64 s[18:19], s[16:17]
	s_xor_b64 s[16:17], exec, s[18:19]
	s_cbranch_execz .LBB42_28
; %bb.27:
	v_div_scale_f64 v[106:107], s[18:19], v[90:91], v[90:91], v[88:89]
	v_rcp_f64_e32 v[108:109], v[106:107]
	v_div_scale_f64 v[110:111], vcc, v[88:89], v[90:91], v[88:89]
	v_fma_f64 v[112:113], -v[106:107], v[108:109], 1.0
	v_fmac_f64_e32 v[108:109], v[108:109], v[112:113]
	v_fma_f64 v[112:113], -v[106:107], v[108:109], 1.0
	v_fmac_f64_e32 v[108:109], v[108:109], v[112:113]
	v_mul_f64 v[112:113], v[110:111], v[108:109]
	v_fma_f64 v[106:107], -v[106:107], v[112:113], v[110:111]
	v_div_fmas_f64 v[106:107], v[106:107], v[108:109], v[112:113]
	v_div_fixup_f64 v[106:107], v[106:107], v[90:91], v[88:89]
	v_fmac_f64_e32 v[90:91], v[88:89], v[106:107]
	v_div_scale_f64 v[88:89], s[18:19], v[90:91], v[90:91], 1.0
	v_rcp_f64_e32 v[108:109], v[88:89]
	s_nop 0
	v_fma_f64 v[110:111], -v[88:89], v[108:109], 1.0
	v_fmac_f64_e32 v[108:109], v[108:109], v[110:111]
	v_fma_f64 v[110:111], -v[88:89], v[108:109], 1.0
	v_fmac_f64_e32 v[108:109], v[108:109], v[110:111]
	v_div_scale_f64 v[110:111], vcc, 1.0, v[90:91], 1.0
	v_mul_f64 v[112:113], v[110:111], v[108:109]
	v_fma_f64 v[88:89], -v[88:89], v[112:113], v[110:111]
	s_nop 1
	v_div_fmas_f64 v[88:89], v[88:89], v[108:109], v[112:113]
	v_div_fixup_f64 v[90:91], v[88:89], v[90:91], 1.0
	v_mul_f64 v[88:89], v[106:107], v[90:91]
	v_xor_b32_e32 v91, 0x80000000, v91
.LBB42_28:
	s_andn2_saveexec_b64 s[16:17], s[16:17]
	s_cbranch_execz .LBB42_30
; %bb.29:
	v_div_scale_f64 v[106:107], s[18:19], v[88:89], v[88:89], v[90:91]
	v_rcp_f64_e32 v[108:109], v[106:107]
	v_div_scale_f64 v[110:111], vcc, v[90:91], v[88:89], v[90:91]
	v_fma_f64 v[112:113], -v[106:107], v[108:109], 1.0
	v_fmac_f64_e32 v[108:109], v[108:109], v[112:113]
	v_fma_f64 v[112:113], -v[106:107], v[108:109], 1.0
	v_fmac_f64_e32 v[108:109], v[108:109], v[112:113]
	v_mul_f64 v[112:113], v[110:111], v[108:109]
	v_fma_f64 v[106:107], -v[106:107], v[112:113], v[110:111]
	v_div_fmas_f64 v[106:107], v[106:107], v[108:109], v[112:113]
	v_div_fixup_f64 v[106:107], v[106:107], v[88:89], v[90:91]
	v_fmac_f64_e32 v[88:89], v[90:91], v[106:107]
	v_div_scale_f64 v[90:91], s[18:19], v[88:89], v[88:89], 1.0
	v_rcp_f64_e32 v[108:109], v[90:91]
	s_nop 0
	v_fma_f64 v[110:111], -v[90:91], v[108:109], 1.0
	v_fmac_f64_e32 v[108:109], v[108:109], v[110:111]
	v_fma_f64 v[110:111], -v[90:91], v[108:109], 1.0
	v_fmac_f64_e32 v[108:109], v[108:109], v[110:111]
	v_div_scale_f64 v[110:111], vcc, 1.0, v[88:89], 1.0
	v_mul_f64 v[112:113], v[110:111], v[108:109]
	v_fma_f64 v[90:91], -v[90:91], v[112:113], v[110:111]
	s_nop 1
	v_div_fmas_f64 v[90:91], v[90:91], v[108:109], v[112:113]
	v_div_fixup_f64 v[88:89], v[90:91], v[88:89], 1.0
	v_mul_f64 v[90:91], v[106:107], -v[88:89]
.LBB42_30:
	s_or_b64 exec, exec, s[16:17]
	v_mov_b32_e32 v103, v105
.LBB42_31:
	s_or_b64 exec, exec, s[0:1]
	v_cmp_ne_u32_e32 vcc, v101, v98
	s_and_saveexec_b64 s[0:1], vcc
	s_xor_b64 s[0:1], exec, s[0:1]
	s_cbranch_execz .LBB42_37
; %bb.32:
	v_cmp_eq_u32_e32 vcc, 1, v101
	s_and_saveexec_b64 s[16:17], vcc
	s_cbranch_execz .LBB42_36
; %bb.33:
	v_cmp_ne_u32_e32 vcc, 1, v98
	s_xor_b64 s[18:19], s[14:15], -1
	s_and_b64 s[22:23], s[18:19], vcc
	s_and_saveexec_b64 s[18:19], s[22:23]
	s_cbranch_execz .LBB42_35
; %bb.34:
	v_ashrrev_i32_e32 v99, 31, v98
	v_lshl_add_u64 v[106:107], v[98:99], 2, v[96:97]
	global_load_dword v99, v[106:107], off
	global_load_dword v101, v[96:97], off offset:4
	s_waitcnt vmcnt(1)
	global_store_dword v[96:97], v99, off offset:4
	s_waitcnt vmcnt(1)
	global_store_dword v[106:107], v101, off
.LBB42_35:
	s_or_b64 exec, exec, s[18:19]
	v_mov_b32_e32 v101, v98
	v_mov_b32_e32 v102, v98
.LBB42_36:
	s_or_b64 exec, exec, s[16:17]
.LBB42_37:
	s_andn2_saveexec_b64 s[0:1], s[0:1]
	s_cbranch_execz .LBB42_39
; %bb.38:
	v_mov_b32_e32 v101, 1
	ds_write2_b64 v100, v[52:53], v[54:55] offset0:4 offset1:5
	ds_write2_b64 v100, v[44:45], v[46:47] offset0:6 offset1:7
	s_waitcnt vmcnt(17)
	ds_write2_b64 v100, v[80:81], v[82:83] offset0:8 offset1:9
	s_waitcnt vmcnt(16)
	;; [unrolled: 2-line block ×18, first 2 shown]
	ds_write2_b64 v100, v[84:85], v[86:87] offset0:42 offset1:43
.LBB42_39:
	s_or_b64 exec, exec, s[0:1]
	v_cmp_lt_i32_e32 vcc, 1, v101
	s_waitcnt lgkmcnt(0)
	s_barrier
	s_and_saveexec_b64 s[0:1], vcc
	s_cbranch_execz .LBB42_41
; %bb.40:
	ds_read2_b64 v[106:109], v100 offset0:4 offset1:5
	v_mul_f64 v[98:99], v[90:91], v[66:67]
	v_mul_f64 v[66:67], v[88:89], v[66:67]
	v_fma_f64 v[98:99], v[88:89], v[64:65], -v[98:99]
	v_fmac_f64_e32 v[66:67], v[90:91], v[64:65]
	ds_read2_b64 v[88:91], v100 offset0:6 offset1:7
	s_waitcnt lgkmcnt(1)
	v_mul_f64 v[64:65], v[108:109], v[66:67]
	v_fma_f64 v[64:65], v[106:107], v[98:99], -v[64:65]
	v_mul_f64 v[106:107], v[106:107], v[66:67]
	v_fmac_f64_e32 v[106:107], v[108:109], v[98:99]
	v_add_f64 v[52:53], v[52:53], -v[64:65]
	s_waitcnt lgkmcnt(0)
	v_mul_f64 v[64:65], v[90:91], v[66:67]
	v_add_f64 v[54:55], v[54:55], -v[106:107]
	v_fma_f64 v[64:65], v[88:89], v[98:99], -v[64:65]
	v_mul_f64 v[88:89], v[88:89], v[66:67]
	ds_read2_b64 v[106:109], v100 offset0:8 offset1:9
	v_fmac_f64_e32 v[88:89], v[90:91], v[98:99]
	v_add_f64 v[46:47], v[46:47], -v[88:89]
	ds_read2_b64 v[88:91], v100 offset0:10 offset1:11
	v_add_f64 v[44:45], v[44:45], -v[64:65]
	s_waitcnt lgkmcnt(1)
	v_mul_f64 v[64:65], v[108:109], v[66:67]
	v_fma_f64 v[64:65], v[106:107], v[98:99], -v[64:65]
	v_mul_f64 v[106:107], v[106:107], v[66:67]
	v_fmac_f64_e32 v[106:107], v[108:109], v[98:99]
	s_waitcnt vmcnt(17)
	v_add_f64 v[80:81], v[80:81], -v[64:65]
	s_waitcnt lgkmcnt(0)
	v_mul_f64 v[64:65], v[90:91], v[66:67]
	v_add_f64 v[82:83], v[82:83], -v[106:107]
	v_fma_f64 v[64:65], v[88:89], v[98:99], -v[64:65]
	v_mul_f64 v[88:89], v[88:89], v[66:67]
	ds_read2_b64 v[106:109], v100 offset0:12 offset1:13
	v_fmac_f64_e32 v[88:89], v[90:91], v[98:99]
	s_waitcnt vmcnt(16)
	v_add_f64 v[78:79], v[78:79], -v[88:89]
	ds_read2_b64 v[88:91], v100 offset0:14 offset1:15
	v_add_f64 v[76:77], v[76:77], -v[64:65]
	s_waitcnt lgkmcnt(1)
	v_mul_f64 v[64:65], v[108:109], v[66:67]
	v_fma_f64 v[64:65], v[106:107], v[98:99], -v[64:65]
	v_mul_f64 v[106:107], v[106:107], v[66:67]
	v_fmac_f64_e32 v[106:107], v[108:109], v[98:99]
	s_waitcnt vmcnt(15)
	v_add_f64 v[72:73], v[72:73], -v[64:65]
	s_waitcnt lgkmcnt(0)
	v_mul_f64 v[64:65], v[90:91], v[66:67]
	v_add_f64 v[74:75], v[74:75], -v[106:107]
	v_fma_f64 v[64:65], v[88:89], v[98:99], -v[64:65]
	v_mul_f64 v[88:89], v[88:89], v[66:67]
	ds_read2_b64 v[106:109], v100 offset0:16 offset1:17
	v_fmac_f64_e32 v[88:89], v[90:91], v[98:99]
	s_waitcnt vmcnt(14)
	;; [unrolled: 18-line block ×8, first 2 shown]
	v_add_f64 v[10:11], v[10:11], -v[88:89]
	ds_read2_b64 v[88:91], v100 offset0:42 offset1:43
	v_add_f64 v[8:9], v[8:9], -v[64:65]
	s_waitcnt lgkmcnt(1)
	v_mul_f64 v[64:65], v[108:109], v[66:67]
	v_fma_f64 v[64:65], v[106:107], v[98:99], -v[64:65]
	s_waitcnt vmcnt(1)
	v_add_f64 v[0:1], v[0:1], -v[64:65]
	s_waitcnt lgkmcnt(0)
	v_mul_f64 v[64:65], v[90:91], v[66:67]
	v_mul_f64 v[106:107], v[106:107], v[66:67]
	v_fma_f64 v[64:65], v[88:89], v[98:99], -v[64:65]
	v_mul_f64 v[88:89], v[88:89], v[66:67]
	v_fmac_f64_e32 v[106:107], v[108:109], v[98:99]
	v_fmac_f64_e32 v[88:89], v[90:91], v[98:99]
	v_add_f64 v[2:3], v[2:3], -v[106:107]
	s_waitcnt vmcnt(0)
	v_add_f64 v[84:85], v[84:85], -v[64:65]
	v_add_f64 v[86:87], v[86:87], -v[88:89]
	v_mov_b64_e32 v[64:65], v[98:99]
.LBB42_41:
	s_or_b64 exec, exec, s[0:1]
	v_lshl_add_u32 v88, v101, 4, v100
	s_barrier
	ds_write2_b64 v88, v[52:53], v[54:55] offset1:1
	s_waitcnt lgkmcnt(0)
	s_barrier
	ds_read2_b64 v[88:91], v100 offset0:4 offset1:5
	s_cmp_lt_i32 s20, 4
	v_mov_b32_e32 v98, 2
	s_cbranch_scc1 .LBB42_44
; %bb.42:
	v_add3_u32 v99, v104, 0, 48
	s_mov_b32 s16, 3
	v_mov_b32_e32 v98, 2
.LBB42_43:                              ; =>This Inner Loop Header: Depth=1
	ds_read2_b64 v[106:109], v99 offset1:1
	s_waitcnt lgkmcnt(1)
	v_xor_b32_e32 v105, 0x80000000, v89
	v_xor_b32_e32 v113, 0x80000000, v91
	v_cmp_gt_f64_e32 vcc, 0, v[90:91]
	v_cmp_gt_f64_e64 s[0:1], 0, v[88:89]
	v_mov_b32_e32 v110, v88
	v_mov_b32_e32 v112, v90
	v_cndmask_b32_e64 v111, v89, v105, s[0:1]
	v_cndmask_b32_e32 v113, v91, v113, vcc
	s_waitcnt lgkmcnt(0)
	v_xor_b32_e32 v105, 0x80000000, v107
	v_xor_b32_e32 v115, 0x80000000, v109
	v_cmp_gt_f64_e32 vcc, 0, v[108:109]
	v_cmp_gt_f64_e64 s[0:1], 0, v[106:107]
	v_add_f64 v[110:111], v[110:111], v[112:113]
	v_mov_b32_e32 v112, v106
	v_mov_b32_e32 v114, v108
	v_cndmask_b32_e64 v113, v107, v105, s[0:1]
	v_cndmask_b32_e32 v115, v109, v115, vcc
	v_add_f64 v[112:113], v[112:113], v[114:115]
	v_mov_b32_e32 v116, s16
	s_add_i32 s16, s16, 1
	v_cmp_lt_f64_e32 vcc, v[110:111], v[112:113]
	v_add_u32_e32 v99, 16, v99
	s_cmp_lg_u32 s20, s16
	v_cndmask_b32_e32 v89, v89, v107, vcc
	v_cndmask_b32_e32 v88, v88, v106, vcc
	;; [unrolled: 1-line block ×5, first 2 shown]
	s_cbranch_scc1 .LBB42_43
.LBB42_44:
	s_waitcnt lgkmcnt(0)
	v_cmp_eq_f64_e32 vcc, 0, v[88:89]
	v_cmp_eq_f64_e64 s[0:1], 0, v[90:91]
	s_and_b64 s[0:1], vcc, s[0:1]
	s_and_saveexec_b64 s[16:17], s[0:1]
	s_xor_b64 s[0:1], exec, s[16:17]
; %bb.45:
	v_cmp_ne_u32_e32 vcc, 0, v103
	s_nop 1
	v_cndmask_b32_e32 v103, 3, v103, vcc
; %bb.46:
	s_andn2_saveexec_b64 s[0:1], s[0:1]
	s_cbranch_execz .LBB42_52
; %bb.47:
	v_cmp_ngt_f64_e64 s[16:17], |v[88:89]|, |v[90:91]|
	s_and_saveexec_b64 s[18:19], s[16:17]
	s_xor_b64 s[16:17], exec, s[18:19]
	s_cbranch_execz .LBB42_49
; %bb.48:
	v_div_scale_f64 v[106:107], s[18:19], v[90:91], v[90:91], v[88:89]
	v_rcp_f64_e32 v[108:109], v[106:107]
	v_div_scale_f64 v[110:111], vcc, v[88:89], v[90:91], v[88:89]
	v_fma_f64 v[112:113], -v[106:107], v[108:109], 1.0
	v_fmac_f64_e32 v[108:109], v[108:109], v[112:113]
	v_fma_f64 v[112:113], -v[106:107], v[108:109], 1.0
	v_fmac_f64_e32 v[108:109], v[108:109], v[112:113]
	v_mul_f64 v[112:113], v[110:111], v[108:109]
	v_fma_f64 v[106:107], -v[106:107], v[112:113], v[110:111]
	v_div_fmas_f64 v[106:107], v[106:107], v[108:109], v[112:113]
	v_div_fixup_f64 v[106:107], v[106:107], v[90:91], v[88:89]
	v_fmac_f64_e32 v[90:91], v[88:89], v[106:107]
	v_div_scale_f64 v[88:89], s[18:19], v[90:91], v[90:91], 1.0
	v_rcp_f64_e32 v[108:109], v[88:89]
	s_nop 0
	v_fma_f64 v[110:111], -v[88:89], v[108:109], 1.0
	v_fmac_f64_e32 v[108:109], v[108:109], v[110:111]
	v_fma_f64 v[110:111], -v[88:89], v[108:109], 1.0
	v_fmac_f64_e32 v[108:109], v[108:109], v[110:111]
	v_div_scale_f64 v[110:111], vcc, 1.0, v[90:91], 1.0
	v_mul_f64 v[112:113], v[110:111], v[108:109]
	v_fma_f64 v[88:89], -v[88:89], v[112:113], v[110:111]
	s_nop 1
	v_div_fmas_f64 v[88:89], v[88:89], v[108:109], v[112:113]
	v_div_fixup_f64 v[90:91], v[88:89], v[90:91], 1.0
	v_mul_f64 v[88:89], v[106:107], v[90:91]
	v_xor_b32_e32 v91, 0x80000000, v91
.LBB42_49:
	s_andn2_saveexec_b64 s[16:17], s[16:17]
	s_cbranch_execz .LBB42_51
; %bb.50:
	v_div_scale_f64 v[106:107], s[18:19], v[88:89], v[88:89], v[90:91]
	v_rcp_f64_e32 v[108:109], v[106:107]
	v_div_scale_f64 v[110:111], vcc, v[90:91], v[88:89], v[90:91]
	v_fma_f64 v[112:113], -v[106:107], v[108:109], 1.0
	v_fmac_f64_e32 v[108:109], v[108:109], v[112:113]
	v_fma_f64 v[112:113], -v[106:107], v[108:109], 1.0
	v_fmac_f64_e32 v[108:109], v[108:109], v[112:113]
	v_mul_f64 v[112:113], v[110:111], v[108:109]
	v_fma_f64 v[106:107], -v[106:107], v[112:113], v[110:111]
	v_div_fmas_f64 v[106:107], v[106:107], v[108:109], v[112:113]
	v_div_fixup_f64 v[106:107], v[106:107], v[88:89], v[90:91]
	v_fmac_f64_e32 v[88:89], v[90:91], v[106:107]
	v_div_scale_f64 v[90:91], s[18:19], v[88:89], v[88:89], 1.0
	v_rcp_f64_e32 v[108:109], v[90:91]
	s_nop 0
	v_fma_f64 v[110:111], -v[90:91], v[108:109], 1.0
	v_fmac_f64_e32 v[108:109], v[108:109], v[110:111]
	v_fma_f64 v[110:111], -v[90:91], v[108:109], 1.0
	v_fmac_f64_e32 v[108:109], v[108:109], v[110:111]
	v_div_scale_f64 v[110:111], vcc, 1.0, v[88:89], 1.0
	v_mul_f64 v[112:113], v[110:111], v[108:109]
	v_fma_f64 v[90:91], -v[90:91], v[112:113], v[110:111]
	s_nop 1
	v_div_fmas_f64 v[90:91], v[90:91], v[108:109], v[112:113]
	v_div_fixup_f64 v[88:89], v[90:91], v[88:89], 1.0
	v_mul_f64 v[90:91], v[106:107], -v[88:89]
.LBB42_51:
	s_or_b64 exec, exec, s[16:17]
.LBB42_52:
	s_or_b64 exec, exec, s[0:1]
	v_cmp_ne_u32_e32 vcc, v101, v98
	s_and_saveexec_b64 s[0:1], vcc
	s_xor_b64 s[0:1], exec, s[0:1]
	s_cbranch_execz .LBB42_58
; %bb.53:
	v_cmp_eq_u32_e32 vcc, 2, v101
	s_and_saveexec_b64 s[16:17], vcc
	s_cbranch_execz .LBB42_57
; %bb.54:
	v_cmp_ne_u32_e32 vcc, 2, v98
	s_xor_b64 s[18:19], s[14:15], -1
	s_and_b64 s[22:23], s[18:19], vcc
	s_and_saveexec_b64 s[18:19], s[22:23]
	s_cbranch_execz .LBB42_56
; %bb.55:
	v_ashrrev_i32_e32 v99, 31, v98
	v_lshl_add_u64 v[106:107], v[98:99], 2, v[96:97]
	global_load_dword v99, v[106:107], off
	global_load_dword v101, v[96:97], off offset:8
	s_waitcnt vmcnt(1)
	global_store_dword v[96:97], v99, off offset:8
	s_waitcnt vmcnt(1)
	global_store_dword v[106:107], v101, off
.LBB42_56:
	s_or_b64 exec, exec, s[18:19]
	v_mov_b32_e32 v101, v98
	v_mov_b32_e32 v102, v98
.LBB42_57:
	s_or_b64 exec, exec, s[16:17]
.LBB42_58:
	s_andn2_saveexec_b64 s[0:1], s[0:1]
	s_cbranch_execz .LBB42_60
; %bb.59:
	v_mov_b32_e32 v101, 2
	ds_write2_b64 v100, v[44:45], v[46:47] offset0:6 offset1:7
	s_waitcnt vmcnt(17)
	ds_write2_b64 v100, v[80:81], v[82:83] offset0:8 offset1:9
	s_waitcnt vmcnt(16)
	;; [unrolled: 2-line block ×18, first 2 shown]
	ds_write2_b64 v100, v[84:85], v[86:87] offset0:42 offset1:43
.LBB42_60:
	s_or_b64 exec, exec, s[0:1]
	v_cmp_lt_i32_e32 vcc, 2, v101
	s_waitcnt lgkmcnt(0)
	s_barrier
	s_and_saveexec_b64 s[0:1], vcc
	s_cbranch_execz .LBB42_62
; %bb.61:
	ds_read2_b64 v[106:109], v100 offset0:6 offset1:7
	v_mul_f64 v[98:99], v[90:91], v[54:55]
	v_mul_f64 v[54:55], v[88:89], v[54:55]
	v_fmac_f64_e32 v[54:55], v[90:91], v[52:53]
	v_fma_f64 v[98:99], v[88:89], v[52:53], -v[98:99]
	ds_read2_b64 v[88:91], v100 offset0:8 offset1:9
	s_waitcnt lgkmcnt(1)
	v_mul_f64 v[52:53], v[108:109], v[54:55]
	v_fma_f64 v[52:53], v[106:107], v[98:99], -v[52:53]
	v_mul_f64 v[106:107], v[106:107], v[54:55]
	v_fmac_f64_e32 v[106:107], v[108:109], v[98:99]
	v_add_f64 v[46:47], v[46:47], -v[106:107]
	ds_read2_b64 v[106:109], v100 offset0:10 offset1:11
	v_add_f64 v[44:45], v[44:45], -v[52:53]
	s_waitcnt lgkmcnt(1)
	v_mul_f64 v[52:53], v[90:91], v[54:55]
	v_fma_f64 v[52:53], v[88:89], v[98:99], -v[52:53]
	v_mul_f64 v[88:89], v[88:89], v[54:55]
	v_fmac_f64_e32 v[88:89], v[90:91], v[98:99]
	s_waitcnt vmcnt(17)
	v_add_f64 v[80:81], v[80:81], -v[52:53]
	v_add_f64 v[82:83], v[82:83], -v[88:89]
	ds_read2_b64 v[88:91], v100 offset0:12 offset1:13
	s_waitcnt lgkmcnt(1)
	v_mul_f64 v[52:53], v[108:109], v[54:55]
	v_fma_f64 v[52:53], v[106:107], v[98:99], -v[52:53]
	v_mul_f64 v[106:107], v[106:107], v[54:55]
	v_fmac_f64_e32 v[106:107], v[108:109], v[98:99]
	s_waitcnt vmcnt(16)
	v_add_f64 v[78:79], v[78:79], -v[106:107]
	ds_read2_b64 v[106:109], v100 offset0:14 offset1:15
	v_add_f64 v[76:77], v[76:77], -v[52:53]
	s_waitcnt lgkmcnt(1)
	v_mul_f64 v[52:53], v[90:91], v[54:55]
	v_fma_f64 v[52:53], v[88:89], v[98:99], -v[52:53]
	v_mul_f64 v[88:89], v[88:89], v[54:55]
	v_fmac_f64_e32 v[88:89], v[90:91], v[98:99]
	s_waitcnt vmcnt(15)
	v_add_f64 v[72:73], v[72:73], -v[52:53]
	v_add_f64 v[74:75], v[74:75], -v[88:89]
	ds_read2_b64 v[88:91], v100 offset0:16 offset1:17
	s_waitcnt lgkmcnt(1)
	v_mul_f64 v[52:53], v[108:109], v[54:55]
	v_fma_f64 v[52:53], v[106:107], v[98:99], -v[52:53]
	v_mul_f64 v[106:107], v[106:107], v[54:55]
	v_fmac_f64_e32 v[106:107], v[108:109], v[98:99]
	s_waitcnt vmcnt(14)
	;; [unrolled: 18-line block ×8, first 2 shown]
	v_add_f64 v[10:11], v[10:11], -v[106:107]
	ds_read2_b64 v[106:109], v100 offset0:42 offset1:43
	v_add_f64 v[8:9], v[8:9], -v[52:53]
	s_waitcnt lgkmcnt(1)
	v_mul_f64 v[52:53], v[90:91], v[54:55]
	v_fma_f64 v[52:53], v[88:89], v[98:99], -v[52:53]
	v_mul_f64 v[88:89], v[88:89], v[54:55]
	v_fmac_f64_e32 v[88:89], v[90:91], v[98:99]
	s_waitcnt vmcnt(1)
	v_add_f64 v[0:1], v[0:1], -v[52:53]
	v_add_f64 v[2:3], v[2:3], -v[88:89]
	s_waitcnt lgkmcnt(0)
	v_mul_f64 v[52:53], v[108:109], v[54:55]
	v_mul_f64 v[88:89], v[106:107], v[54:55]
	v_fma_f64 v[52:53], v[106:107], v[98:99], -v[52:53]
	v_fmac_f64_e32 v[88:89], v[108:109], v[98:99]
	s_waitcnt vmcnt(0)
	v_add_f64 v[84:85], v[84:85], -v[52:53]
	v_add_f64 v[86:87], v[86:87], -v[88:89]
	v_mov_b64_e32 v[52:53], v[98:99]
.LBB42_62:
	s_or_b64 exec, exec, s[0:1]
	v_lshl_add_u32 v88, v101, 4, v100
	s_barrier
	ds_write2_b64 v88, v[44:45], v[46:47] offset1:1
	s_waitcnt lgkmcnt(0)
	s_barrier
	ds_read2_b64 v[88:91], v100 offset0:6 offset1:7
	s_mov_b32 s16, 4
	s_cmp_lt_i32 s20, 5
	v_mov_b32_e32 v98, 3
	s_cbranch_scc1 .LBB42_65
; %bb.63:
	v_add3_u32 v99, v104, 0, 64
	v_mov_b32_e32 v98, 3
.LBB42_64:                              ; =>This Inner Loop Header: Depth=1
	ds_read2_b64 v[104:107], v99 offset1:1
	s_waitcnt lgkmcnt(1)
	v_xor_b32_e32 v109, 0x80000000, v89
	v_xor_b32_e32 v111, 0x80000000, v91
	v_cmp_gt_f64_e32 vcc, 0, v[90:91]
	v_cmp_gt_f64_e64 s[0:1], 0, v[88:89]
	v_mov_b32_e32 v108, v88
	v_mov_b32_e32 v110, v90
	v_cndmask_b32_e64 v109, v89, v109, s[0:1]
	v_cndmask_b32_e32 v111, v91, v111, vcc
	v_add_f64 v[108:109], v[108:109], v[110:111]
	s_waitcnt lgkmcnt(0)
	v_xor_b32_e32 v111, 0x80000000, v105
	v_xor_b32_e32 v113, 0x80000000, v107
	v_cmp_gt_f64_e32 vcc, 0, v[106:107]
	v_cmp_gt_f64_e64 s[0:1], 0, v[104:105]
	v_mov_b32_e32 v110, v104
	v_mov_b32_e32 v112, v106
	v_cndmask_b32_e64 v111, v105, v111, s[0:1]
	v_cndmask_b32_e32 v113, v107, v113, vcc
	v_add_f64 v[110:111], v[110:111], v[112:113]
	v_mov_b32_e32 v114, s16
	s_add_i32 s16, s16, 1
	v_cmp_lt_f64_e32 vcc, v[108:109], v[110:111]
	v_add_u32_e32 v99, 16, v99
	s_cmp_lg_u32 s20, s16
	v_cndmask_b32_e32 v89, v89, v105, vcc
	v_cndmask_b32_e32 v88, v88, v104, vcc
	;; [unrolled: 1-line block ×5, first 2 shown]
	s_cbranch_scc1 .LBB42_64
.LBB42_65:
	s_waitcnt lgkmcnt(0)
	v_cmp_eq_f64_e32 vcc, 0, v[88:89]
	v_cmp_eq_f64_e64 s[0:1], 0, v[90:91]
	s_and_b64 s[0:1], vcc, s[0:1]
	s_and_saveexec_b64 s[16:17], s[0:1]
	s_xor_b64 s[0:1], exec, s[16:17]
; %bb.66:
	v_cmp_ne_u32_e32 vcc, 0, v103
	s_nop 1
	v_cndmask_b32_e32 v103, 4, v103, vcc
; %bb.67:
	s_andn2_saveexec_b64 s[0:1], s[0:1]
	s_cbranch_execz .LBB42_73
; %bb.68:
	v_cmp_ngt_f64_e64 s[16:17], |v[88:89]|, |v[90:91]|
	s_and_saveexec_b64 s[18:19], s[16:17]
	s_xor_b64 s[16:17], exec, s[18:19]
	s_cbranch_execz .LBB42_70
; %bb.69:
	v_div_scale_f64 v[104:105], s[18:19], v[90:91], v[90:91], v[88:89]
	v_rcp_f64_e32 v[106:107], v[104:105]
	v_div_scale_f64 v[108:109], vcc, v[88:89], v[90:91], v[88:89]
	v_fma_f64 v[110:111], -v[104:105], v[106:107], 1.0
	v_fmac_f64_e32 v[106:107], v[106:107], v[110:111]
	v_fma_f64 v[110:111], -v[104:105], v[106:107], 1.0
	v_fmac_f64_e32 v[106:107], v[106:107], v[110:111]
	v_mul_f64 v[110:111], v[108:109], v[106:107]
	v_fma_f64 v[104:105], -v[104:105], v[110:111], v[108:109]
	v_div_fmas_f64 v[104:105], v[104:105], v[106:107], v[110:111]
	v_div_fixup_f64 v[104:105], v[104:105], v[90:91], v[88:89]
	v_fmac_f64_e32 v[90:91], v[88:89], v[104:105]
	v_div_scale_f64 v[88:89], s[18:19], v[90:91], v[90:91], 1.0
	v_rcp_f64_e32 v[106:107], v[88:89]
	s_nop 0
	v_fma_f64 v[108:109], -v[88:89], v[106:107], 1.0
	v_fmac_f64_e32 v[106:107], v[106:107], v[108:109]
	v_fma_f64 v[108:109], -v[88:89], v[106:107], 1.0
	v_fmac_f64_e32 v[106:107], v[106:107], v[108:109]
	v_div_scale_f64 v[108:109], vcc, 1.0, v[90:91], 1.0
	v_mul_f64 v[110:111], v[108:109], v[106:107]
	v_fma_f64 v[88:89], -v[88:89], v[110:111], v[108:109]
	s_nop 1
	v_div_fmas_f64 v[88:89], v[88:89], v[106:107], v[110:111]
	v_div_fixup_f64 v[90:91], v[88:89], v[90:91], 1.0
	v_mul_f64 v[88:89], v[104:105], v[90:91]
	v_xor_b32_e32 v91, 0x80000000, v91
.LBB42_70:
	s_andn2_saveexec_b64 s[16:17], s[16:17]
	s_cbranch_execz .LBB42_72
; %bb.71:
	v_div_scale_f64 v[104:105], s[18:19], v[88:89], v[88:89], v[90:91]
	v_rcp_f64_e32 v[106:107], v[104:105]
	v_div_scale_f64 v[108:109], vcc, v[90:91], v[88:89], v[90:91]
	v_fma_f64 v[110:111], -v[104:105], v[106:107], 1.0
	v_fmac_f64_e32 v[106:107], v[106:107], v[110:111]
	v_fma_f64 v[110:111], -v[104:105], v[106:107], 1.0
	v_fmac_f64_e32 v[106:107], v[106:107], v[110:111]
	v_mul_f64 v[110:111], v[108:109], v[106:107]
	v_fma_f64 v[104:105], -v[104:105], v[110:111], v[108:109]
	v_div_fmas_f64 v[104:105], v[104:105], v[106:107], v[110:111]
	v_div_fixup_f64 v[104:105], v[104:105], v[88:89], v[90:91]
	v_fmac_f64_e32 v[88:89], v[90:91], v[104:105]
	v_div_scale_f64 v[90:91], s[18:19], v[88:89], v[88:89], 1.0
	v_rcp_f64_e32 v[106:107], v[90:91]
	s_nop 0
	v_fma_f64 v[108:109], -v[90:91], v[106:107], 1.0
	v_fmac_f64_e32 v[106:107], v[106:107], v[108:109]
	v_fma_f64 v[108:109], -v[90:91], v[106:107], 1.0
	v_fmac_f64_e32 v[106:107], v[106:107], v[108:109]
	v_div_scale_f64 v[108:109], vcc, 1.0, v[88:89], 1.0
	v_mul_f64 v[110:111], v[108:109], v[106:107]
	v_fma_f64 v[90:91], -v[90:91], v[110:111], v[108:109]
	s_nop 1
	v_div_fmas_f64 v[90:91], v[90:91], v[106:107], v[110:111]
	v_div_fixup_f64 v[88:89], v[90:91], v[88:89], 1.0
	v_mul_f64 v[90:91], v[104:105], -v[88:89]
.LBB42_72:
	s_or_b64 exec, exec, s[16:17]
.LBB42_73:
	s_or_b64 exec, exec, s[0:1]
	v_cmp_ne_u32_e32 vcc, v101, v98
	s_and_saveexec_b64 s[0:1], vcc
	s_xor_b64 s[0:1], exec, s[0:1]
	s_cbranch_execz .LBB42_79
; %bb.74:
	v_cmp_eq_u32_e32 vcc, 3, v101
	s_and_saveexec_b64 s[16:17], vcc
	s_cbranch_execz .LBB42_78
; %bb.75:
	v_cmp_ne_u32_e32 vcc, 3, v98
	s_xor_b64 s[18:19], s[14:15], -1
	s_and_b64 s[22:23], s[18:19], vcc
	s_and_saveexec_b64 s[18:19], s[22:23]
	s_cbranch_execz .LBB42_77
; %bb.76:
	v_ashrrev_i32_e32 v99, 31, v98
	v_lshl_add_u64 v[104:105], v[98:99], 2, v[96:97]
	global_load_dword v99, v[104:105], off
	global_load_dword v101, v[96:97], off offset:12
	s_waitcnt vmcnt(1)
	global_store_dword v[96:97], v99, off offset:12
	s_waitcnt vmcnt(1)
	global_store_dword v[104:105], v101, off
.LBB42_77:
	s_or_b64 exec, exec, s[18:19]
	v_mov_b32_e32 v101, v98
	v_mov_b32_e32 v102, v98
.LBB42_78:
	s_or_b64 exec, exec, s[16:17]
.LBB42_79:
	s_andn2_saveexec_b64 s[0:1], s[0:1]
	s_cbranch_execz .LBB42_81
; %bb.80:
	v_mov_b32_e32 v101, 3
	s_waitcnt vmcnt(17)
	ds_write2_b64 v100, v[80:81], v[82:83] offset0:8 offset1:9
	s_waitcnt vmcnt(16)
	ds_write2_b64 v100, v[76:77], v[78:79] offset0:10 offset1:11
	;; [unrolled: 2-line block ×18, first 2 shown]
.LBB42_81:
	s_or_b64 exec, exec, s[0:1]
	v_cmp_lt_i32_e32 vcc, 3, v101
	s_waitcnt lgkmcnt(0)
	s_barrier
	s_and_saveexec_b64 s[0:1], vcc
	s_cbranch_execz .LBB42_83
; %bb.82:
	ds_read2_b64 v[104:107], v100 offset0:8 offset1:9
	v_mul_f64 v[98:99], v[90:91], v[46:47]
	v_mul_f64 v[46:47], v[88:89], v[46:47]
	v_fma_f64 v[98:99], v[88:89], v[44:45], -v[98:99]
	v_fmac_f64_e32 v[46:47], v[90:91], v[44:45]
	ds_read2_b64 v[88:91], v100 offset0:10 offset1:11
	s_waitcnt lgkmcnt(1)
	v_mul_f64 v[44:45], v[106:107], v[46:47]
	v_fma_f64 v[44:45], v[104:105], v[98:99], -v[44:45]
	v_mul_f64 v[104:105], v[104:105], v[46:47]
	v_fmac_f64_e32 v[104:105], v[106:107], v[98:99]
	s_waitcnt vmcnt(17)
	v_add_f64 v[80:81], v[80:81], -v[44:45]
	s_waitcnt lgkmcnt(0)
	v_mul_f64 v[44:45], v[90:91], v[46:47]
	v_add_f64 v[82:83], v[82:83], -v[104:105]
	v_fma_f64 v[44:45], v[88:89], v[98:99], -v[44:45]
	v_mul_f64 v[88:89], v[88:89], v[46:47]
	ds_read2_b64 v[104:107], v100 offset0:12 offset1:13
	v_fmac_f64_e32 v[88:89], v[90:91], v[98:99]
	s_waitcnt vmcnt(16)
	v_add_f64 v[78:79], v[78:79], -v[88:89]
	ds_read2_b64 v[88:91], v100 offset0:14 offset1:15
	v_add_f64 v[76:77], v[76:77], -v[44:45]
	s_waitcnt lgkmcnt(1)
	v_mul_f64 v[44:45], v[106:107], v[46:47]
	v_fma_f64 v[44:45], v[104:105], v[98:99], -v[44:45]
	v_mul_f64 v[104:105], v[104:105], v[46:47]
	v_fmac_f64_e32 v[104:105], v[106:107], v[98:99]
	s_waitcnt vmcnt(15)
	v_add_f64 v[72:73], v[72:73], -v[44:45]
	s_waitcnt lgkmcnt(0)
	v_mul_f64 v[44:45], v[90:91], v[46:47]
	v_add_f64 v[74:75], v[74:75], -v[104:105]
	v_fma_f64 v[44:45], v[88:89], v[98:99], -v[44:45]
	v_mul_f64 v[88:89], v[88:89], v[46:47]
	ds_read2_b64 v[104:107], v100 offset0:16 offset1:17
	v_fmac_f64_e32 v[88:89], v[90:91], v[98:99]
	s_waitcnt vmcnt(14)
	v_add_f64 v[62:63], v[62:63], -v[88:89]
	ds_read2_b64 v[88:91], v100 offset0:18 offset1:19
	v_add_f64 v[60:61], v[60:61], -v[44:45]
	;; [unrolled: 18-line block ×8, first 2 shown]
	s_waitcnt lgkmcnt(1)
	v_mul_f64 v[44:45], v[106:107], v[46:47]
	v_fma_f64 v[44:45], v[104:105], v[98:99], -v[44:45]
	s_waitcnt vmcnt(1)
	v_add_f64 v[0:1], v[0:1], -v[44:45]
	s_waitcnt lgkmcnt(0)
	v_mul_f64 v[44:45], v[90:91], v[46:47]
	v_mul_f64 v[104:105], v[104:105], v[46:47]
	v_fma_f64 v[44:45], v[88:89], v[98:99], -v[44:45]
	v_mul_f64 v[88:89], v[88:89], v[46:47]
	v_fmac_f64_e32 v[104:105], v[106:107], v[98:99]
	v_fmac_f64_e32 v[88:89], v[90:91], v[98:99]
	v_add_f64 v[2:3], v[2:3], -v[104:105]
	s_waitcnt vmcnt(0)
	v_add_f64 v[84:85], v[84:85], -v[44:45]
	v_add_f64 v[86:87], v[86:87], -v[88:89]
	v_mov_b64_e32 v[44:45], v[98:99]
.LBB42_83:
	s_or_b64 exec, exec, s[0:1]
	v_lshl_add_u32 v88, v101, 4, v100
	s_barrier
	s_waitcnt vmcnt(17)
	ds_write2_b64 v88, v[80:81], v[82:83] offset1:1
	s_waitcnt lgkmcnt(0)
	s_barrier
	ds_read2_b64 v[88:91], v100 offset0:8 offset1:9
	s_cmp_lt_i32 s20, 6
	v_mov_b32_e32 v98, 4
	s_cbranch_scc1 .LBB42_86
; %bb.84:
	v_mov_b32_e32 v98, 4
	v_add_u32_e32 v99, 0x50, v100
	s_mov_b32 s16, 5
.LBB42_85:                              ; =>This Inner Loop Header: Depth=1
	ds_read2_b64 v[104:107], v99 offset1:1
	s_waitcnt lgkmcnt(1)
	v_xor_b32_e32 v109, 0x80000000, v89
	v_xor_b32_e32 v111, 0x80000000, v91
	v_cmp_gt_f64_e32 vcc, 0, v[90:91]
	v_cmp_gt_f64_e64 s[0:1], 0, v[88:89]
	v_mov_b32_e32 v108, v88
	v_mov_b32_e32 v110, v90
	v_cndmask_b32_e64 v109, v89, v109, s[0:1]
	v_cndmask_b32_e32 v111, v91, v111, vcc
	v_add_f64 v[108:109], v[108:109], v[110:111]
	s_waitcnt lgkmcnt(0)
	v_xor_b32_e32 v111, 0x80000000, v105
	v_xor_b32_e32 v113, 0x80000000, v107
	v_cmp_gt_f64_e32 vcc, 0, v[106:107]
	v_cmp_gt_f64_e64 s[0:1], 0, v[104:105]
	v_mov_b32_e32 v110, v104
	v_mov_b32_e32 v112, v106
	v_cndmask_b32_e64 v111, v105, v111, s[0:1]
	v_cndmask_b32_e32 v113, v107, v113, vcc
	v_add_f64 v[110:111], v[110:111], v[112:113]
	v_mov_b32_e32 v114, s16
	s_add_i32 s16, s16, 1
	v_cmp_lt_f64_e32 vcc, v[108:109], v[110:111]
	v_add_u32_e32 v99, 16, v99
	s_cmp_lg_u32 s20, s16
	v_cndmask_b32_e32 v89, v89, v105, vcc
	v_cndmask_b32_e32 v88, v88, v104, vcc
	;; [unrolled: 1-line block ×5, first 2 shown]
	s_cbranch_scc1 .LBB42_85
.LBB42_86:
	s_waitcnt lgkmcnt(0)
	v_cmp_eq_f64_e32 vcc, 0, v[88:89]
	v_cmp_eq_f64_e64 s[0:1], 0, v[90:91]
	s_and_b64 s[0:1], vcc, s[0:1]
	s_and_saveexec_b64 s[16:17], s[0:1]
	s_xor_b64 s[0:1], exec, s[16:17]
; %bb.87:
	v_cmp_ne_u32_e32 vcc, 0, v103
	s_nop 1
	v_cndmask_b32_e32 v103, 5, v103, vcc
; %bb.88:
	s_andn2_saveexec_b64 s[0:1], s[0:1]
	s_cbranch_execz .LBB42_94
; %bb.89:
	v_cmp_ngt_f64_e64 s[16:17], |v[88:89]|, |v[90:91]|
	s_and_saveexec_b64 s[18:19], s[16:17]
	s_xor_b64 s[16:17], exec, s[18:19]
	s_cbranch_execz .LBB42_91
; %bb.90:
	v_div_scale_f64 v[104:105], s[18:19], v[90:91], v[90:91], v[88:89]
	v_rcp_f64_e32 v[106:107], v[104:105]
	v_div_scale_f64 v[108:109], vcc, v[88:89], v[90:91], v[88:89]
	v_fma_f64 v[110:111], -v[104:105], v[106:107], 1.0
	v_fmac_f64_e32 v[106:107], v[106:107], v[110:111]
	v_fma_f64 v[110:111], -v[104:105], v[106:107], 1.0
	v_fmac_f64_e32 v[106:107], v[106:107], v[110:111]
	v_mul_f64 v[110:111], v[108:109], v[106:107]
	v_fma_f64 v[104:105], -v[104:105], v[110:111], v[108:109]
	v_div_fmas_f64 v[104:105], v[104:105], v[106:107], v[110:111]
	v_div_fixup_f64 v[104:105], v[104:105], v[90:91], v[88:89]
	v_fmac_f64_e32 v[90:91], v[88:89], v[104:105]
	v_div_scale_f64 v[88:89], s[18:19], v[90:91], v[90:91], 1.0
	v_rcp_f64_e32 v[106:107], v[88:89]
	s_nop 0
	v_fma_f64 v[108:109], -v[88:89], v[106:107], 1.0
	v_fmac_f64_e32 v[106:107], v[106:107], v[108:109]
	v_fma_f64 v[108:109], -v[88:89], v[106:107], 1.0
	v_fmac_f64_e32 v[106:107], v[106:107], v[108:109]
	v_div_scale_f64 v[108:109], vcc, 1.0, v[90:91], 1.0
	v_mul_f64 v[110:111], v[108:109], v[106:107]
	v_fma_f64 v[88:89], -v[88:89], v[110:111], v[108:109]
	s_nop 1
	v_div_fmas_f64 v[88:89], v[88:89], v[106:107], v[110:111]
	v_div_fixup_f64 v[90:91], v[88:89], v[90:91], 1.0
	v_mul_f64 v[88:89], v[104:105], v[90:91]
	v_xor_b32_e32 v91, 0x80000000, v91
.LBB42_91:
	s_andn2_saveexec_b64 s[16:17], s[16:17]
	s_cbranch_execz .LBB42_93
; %bb.92:
	v_div_scale_f64 v[104:105], s[18:19], v[88:89], v[88:89], v[90:91]
	v_rcp_f64_e32 v[106:107], v[104:105]
	v_div_scale_f64 v[108:109], vcc, v[90:91], v[88:89], v[90:91]
	v_fma_f64 v[110:111], -v[104:105], v[106:107], 1.0
	v_fmac_f64_e32 v[106:107], v[106:107], v[110:111]
	v_fma_f64 v[110:111], -v[104:105], v[106:107], 1.0
	v_fmac_f64_e32 v[106:107], v[106:107], v[110:111]
	v_mul_f64 v[110:111], v[108:109], v[106:107]
	v_fma_f64 v[104:105], -v[104:105], v[110:111], v[108:109]
	v_div_fmas_f64 v[104:105], v[104:105], v[106:107], v[110:111]
	v_div_fixup_f64 v[104:105], v[104:105], v[88:89], v[90:91]
	v_fmac_f64_e32 v[88:89], v[90:91], v[104:105]
	v_div_scale_f64 v[90:91], s[18:19], v[88:89], v[88:89], 1.0
	v_rcp_f64_e32 v[106:107], v[90:91]
	s_nop 0
	v_fma_f64 v[108:109], -v[90:91], v[106:107], 1.0
	v_fmac_f64_e32 v[106:107], v[106:107], v[108:109]
	v_fma_f64 v[108:109], -v[90:91], v[106:107], 1.0
	v_fmac_f64_e32 v[106:107], v[106:107], v[108:109]
	v_div_scale_f64 v[108:109], vcc, 1.0, v[88:89], 1.0
	v_mul_f64 v[110:111], v[108:109], v[106:107]
	v_fma_f64 v[90:91], -v[90:91], v[110:111], v[108:109]
	s_nop 1
	v_div_fmas_f64 v[90:91], v[90:91], v[106:107], v[110:111]
	v_div_fixup_f64 v[88:89], v[90:91], v[88:89], 1.0
	v_mul_f64 v[90:91], v[104:105], -v[88:89]
.LBB42_93:
	s_or_b64 exec, exec, s[16:17]
.LBB42_94:
	s_or_b64 exec, exec, s[0:1]
	v_cmp_ne_u32_e32 vcc, v101, v98
	s_and_saveexec_b64 s[0:1], vcc
	s_xor_b64 s[0:1], exec, s[0:1]
	s_cbranch_execz .LBB42_100
; %bb.95:
	v_cmp_eq_u32_e32 vcc, 4, v101
	s_and_saveexec_b64 s[16:17], vcc
	s_cbranch_execz .LBB42_99
; %bb.96:
	v_cmp_ne_u32_e32 vcc, 4, v98
	s_xor_b64 s[18:19], s[14:15], -1
	s_and_b64 s[22:23], s[18:19], vcc
	s_and_saveexec_b64 s[18:19], s[22:23]
	s_cbranch_execz .LBB42_98
; %bb.97:
	v_ashrrev_i32_e32 v99, 31, v98
	v_lshl_add_u64 v[104:105], v[98:99], 2, v[96:97]
	global_load_dword v99, v[104:105], off
	global_load_dword v101, v[96:97], off offset:16
	s_waitcnt vmcnt(1)
	global_store_dword v[96:97], v99, off offset:16
	s_waitcnt vmcnt(1)
	global_store_dword v[104:105], v101, off
.LBB42_98:
	s_or_b64 exec, exec, s[18:19]
	v_mov_b32_e32 v101, v98
	v_mov_b32_e32 v102, v98
.LBB42_99:
	s_or_b64 exec, exec, s[16:17]
.LBB42_100:
	s_andn2_saveexec_b64 s[0:1], s[0:1]
	s_cbranch_execz .LBB42_102
; %bb.101:
	v_mov_b32_e32 v101, 4
	s_waitcnt vmcnt(16)
	ds_write2_b64 v100, v[76:77], v[78:79] offset0:10 offset1:11
	s_waitcnt vmcnt(15)
	ds_write2_b64 v100, v[72:73], v[74:75] offset0:12 offset1:13
	;; [unrolled: 2-line block ×17, first 2 shown]
.LBB42_102:
	s_or_b64 exec, exec, s[0:1]
	v_cmp_lt_i32_e32 vcc, 4, v101
	s_waitcnt lgkmcnt(0)
	s_barrier
	s_and_saveexec_b64 s[0:1], vcc
	s_cbranch_execz .LBB42_104
; %bb.103:
	ds_read2_b64 v[104:107], v100 offset0:10 offset1:11
	v_mul_f64 v[98:99], v[90:91], v[82:83]
	v_mul_f64 v[82:83], v[88:89], v[82:83]
	v_fmac_f64_e32 v[82:83], v[90:91], v[80:81]
	v_fma_f64 v[98:99], v[88:89], v[80:81], -v[98:99]
	ds_read2_b64 v[88:91], v100 offset0:12 offset1:13
	s_waitcnt lgkmcnt(1)
	v_mul_f64 v[80:81], v[106:107], v[82:83]
	v_fma_f64 v[80:81], v[104:105], v[98:99], -v[80:81]
	v_mul_f64 v[104:105], v[104:105], v[82:83]
	v_fmac_f64_e32 v[104:105], v[106:107], v[98:99]
	s_waitcnt vmcnt(16)
	v_add_f64 v[78:79], v[78:79], -v[104:105]
	ds_read2_b64 v[104:107], v100 offset0:14 offset1:15
	v_add_f64 v[76:77], v[76:77], -v[80:81]
	s_waitcnt lgkmcnt(1)
	v_mul_f64 v[80:81], v[90:91], v[82:83]
	v_fma_f64 v[80:81], v[88:89], v[98:99], -v[80:81]
	v_mul_f64 v[88:89], v[88:89], v[82:83]
	v_fmac_f64_e32 v[88:89], v[90:91], v[98:99]
	s_waitcnt vmcnt(15)
	v_add_f64 v[72:73], v[72:73], -v[80:81]
	v_add_f64 v[74:75], v[74:75], -v[88:89]
	ds_read2_b64 v[88:91], v100 offset0:16 offset1:17
	s_waitcnt lgkmcnt(1)
	v_mul_f64 v[80:81], v[106:107], v[82:83]
	v_fma_f64 v[80:81], v[104:105], v[98:99], -v[80:81]
	v_mul_f64 v[104:105], v[104:105], v[82:83]
	v_fmac_f64_e32 v[104:105], v[106:107], v[98:99]
	s_waitcnt vmcnt(14)
	v_add_f64 v[62:63], v[62:63], -v[104:105]
	ds_read2_b64 v[104:107], v100 offset0:18 offset1:19
	v_add_f64 v[60:61], v[60:61], -v[80:81]
	s_waitcnt lgkmcnt(1)
	v_mul_f64 v[80:81], v[90:91], v[82:83]
	v_fma_f64 v[80:81], v[88:89], v[98:99], -v[80:81]
	v_mul_f64 v[88:89], v[88:89], v[82:83]
	v_fmac_f64_e32 v[88:89], v[90:91], v[98:99]
	s_waitcnt vmcnt(13)
	v_add_f64 v[56:57], v[56:57], -v[80:81]
	v_add_f64 v[58:59], v[58:59], -v[88:89]
	;; [unrolled: 18-line block ×8, first 2 shown]
	s_waitcnt lgkmcnt(0)
	v_mul_f64 v[80:81], v[106:107], v[82:83]
	v_mul_f64 v[88:89], v[104:105], v[82:83]
	v_fma_f64 v[80:81], v[104:105], v[98:99], -v[80:81]
	v_fmac_f64_e32 v[88:89], v[106:107], v[98:99]
	s_waitcnt vmcnt(0)
	v_add_f64 v[84:85], v[84:85], -v[80:81]
	v_add_f64 v[86:87], v[86:87], -v[88:89]
	v_mov_b64_e32 v[80:81], v[98:99]
.LBB42_104:
	s_or_b64 exec, exec, s[0:1]
	v_lshl_add_u32 v88, v101, 4, v100
	s_barrier
	s_waitcnt vmcnt(16)
	ds_write2_b64 v88, v[76:77], v[78:79] offset1:1
	s_waitcnt lgkmcnt(0)
	s_barrier
	ds_read2_b64 v[88:91], v100 offset0:10 offset1:11
	s_cmp_lt_i32 s20, 7
	v_mov_b32_e32 v98, 5
	s_cbranch_scc1 .LBB42_107
; %bb.105:
	v_add_u32_e32 v99, 0x60, v100
	s_mov_b32 s16, 6
	v_mov_b32_e32 v98, 5
.LBB42_106:                             ; =>This Inner Loop Header: Depth=1
	ds_read2_b64 v[104:107], v99 offset1:1
	s_waitcnt lgkmcnt(1)
	v_xor_b32_e32 v109, 0x80000000, v89
	v_xor_b32_e32 v111, 0x80000000, v91
	v_cmp_gt_f64_e32 vcc, 0, v[90:91]
	v_cmp_gt_f64_e64 s[0:1], 0, v[88:89]
	v_mov_b32_e32 v108, v88
	v_mov_b32_e32 v110, v90
	v_cndmask_b32_e64 v109, v89, v109, s[0:1]
	v_cndmask_b32_e32 v111, v91, v111, vcc
	v_add_f64 v[108:109], v[108:109], v[110:111]
	s_waitcnt lgkmcnt(0)
	v_xor_b32_e32 v111, 0x80000000, v105
	v_xor_b32_e32 v113, 0x80000000, v107
	v_cmp_gt_f64_e32 vcc, 0, v[106:107]
	v_cmp_gt_f64_e64 s[0:1], 0, v[104:105]
	v_mov_b32_e32 v110, v104
	v_mov_b32_e32 v112, v106
	v_cndmask_b32_e64 v111, v105, v111, s[0:1]
	v_cndmask_b32_e32 v113, v107, v113, vcc
	v_add_f64 v[110:111], v[110:111], v[112:113]
	v_mov_b32_e32 v114, s16
	s_add_i32 s16, s16, 1
	v_cmp_lt_f64_e32 vcc, v[108:109], v[110:111]
	v_add_u32_e32 v99, 16, v99
	s_cmp_lg_u32 s20, s16
	v_cndmask_b32_e32 v89, v89, v105, vcc
	v_cndmask_b32_e32 v88, v88, v104, vcc
	;; [unrolled: 1-line block ×5, first 2 shown]
	s_cbranch_scc1 .LBB42_106
.LBB42_107:
	s_waitcnt lgkmcnt(0)
	v_cmp_eq_f64_e32 vcc, 0, v[88:89]
	v_cmp_eq_f64_e64 s[0:1], 0, v[90:91]
	s_and_b64 s[0:1], vcc, s[0:1]
	s_and_saveexec_b64 s[16:17], s[0:1]
	s_xor_b64 s[0:1], exec, s[16:17]
; %bb.108:
	v_cmp_ne_u32_e32 vcc, 0, v103
	s_nop 1
	v_cndmask_b32_e32 v103, 6, v103, vcc
; %bb.109:
	s_andn2_saveexec_b64 s[0:1], s[0:1]
	s_cbranch_execz .LBB42_115
; %bb.110:
	v_cmp_ngt_f64_e64 s[16:17], |v[88:89]|, |v[90:91]|
	s_and_saveexec_b64 s[18:19], s[16:17]
	s_xor_b64 s[16:17], exec, s[18:19]
	s_cbranch_execz .LBB42_112
; %bb.111:
	v_div_scale_f64 v[104:105], s[18:19], v[90:91], v[90:91], v[88:89]
	v_rcp_f64_e32 v[106:107], v[104:105]
	v_div_scale_f64 v[108:109], vcc, v[88:89], v[90:91], v[88:89]
	v_fma_f64 v[110:111], -v[104:105], v[106:107], 1.0
	v_fmac_f64_e32 v[106:107], v[106:107], v[110:111]
	v_fma_f64 v[110:111], -v[104:105], v[106:107], 1.0
	v_fmac_f64_e32 v[106:107], v[106:107], v[110:111]
	v_mul_f64 v[110:111], v[108:109], v[106:107]
	v_fma_f64 v[104:105], -v[104:105], v[110:111], v[108:109]
	v_div_fmas_f64 v[104:105], v[104:105], v[106:107], v[110:111]
	v_div_fixup_f64 v[104:105], v[104:105], v[90:91], v[88:89]
	v_fmac_f64_e32 v[90:91], v[88:89], v[104:105]
	v_div_scale_f64 v[88:89], s[18:19], v[90:91], v[90:91], 1.0
	v_rcp_f64_e32 v[106:107], v[88:89]
	s_nop 0
	v_fma_f64 v[108:109], -v[88:89], v[106:107], 1.0
	v_fmac_f64_e32 v[106:107], v[106:107], v[108:109]
	v_fma_f64 v[108:109], -v[88:89], v[106:107], 1.0
	v_fmac_f64_e32 v[106:107], v[106:107], v[108:109]
	v_div_scale_f64 v[108:109], vcc, 1.0, v[90:91], 1.0
	v_mul_f64 v[110:111], v[108:109], v[106:107]
	v_fma_f64 v[88:89], -v[88:89], v[110:111], v[108:109]
	s_nop 1
	v_div_fmas_f64 v[88:89], v[88:89], v[106:107], v[110:111]
	v_div_fixup_f64 v[90:91], v[88:89], v[90:91], 1.0
	v_mul_f64 v[88:89], v[104:105], v[90:91]
	v_xor_b32_e32 v91, 0x80000000, v91
.LBB42_112:
	s_andn2_saveexec_b64 s[16:17], s[16:17]
	s_cbranch_execz .LBB42_114
; %bb.113:
	v_div_scale_f64 v[104:105], s[18:19], v[88:89], v[88:89], v[90:91]
	v_rcp_f64_e32 v[106:107], v[104:105]
	v_div_scale_f64 v[108:109], vcc, v[90:91], v[88:89], v[90:91]
	v_fma_f64 v[110:111], -v[104:105], v[106:107], 1.0
	v_fmac_f64_e32 v[106:107], v[106:107], v[110:111]
	v_fma_f64 v[110:111], -v[104:105], v[106:107], 1.0
	v_fmac_f64_e32 v[106:107], v[106:107], v[110:111]
	v_mul_f64 v[110:111], v[108:109], v[106:107]
	v_fma_f64 v[104:105], -v[104:105], v[110:111], v[108:109]
	v_div_fmas_f64 v[104:105], v[104:105], v[106:107], v[110:111]
	v_div_fixup_f64 v[104:105], v[104:105], v[88:89], v[90:91]
	v_fmac_f64_e32 v[88:89], v[90:91], v[104:105]
	v_div_scale_f64 v[90:91], s[18:19], v[88:89], v[88:89], 1.0
	v_rcp_f64_e32 v[106:107], v[90:91]
	s_nop 0
	v_fma_f64 v[108:109], -v[90:91], v[106:107], 1.0
	v_fmac_f64_e32 v[106:107], v[106:107], v[108:109]
	v_fma_f64 v[108:109], -v[90:91], v[106:107], 1.0
	v_fmac_f64_e32 v[106:107], v[106:107], v[108:109]
	v_div_scale_f64 v[108:109], vcc, 1.0, v[88:89], 1.0
	v_mul_f64 v[110:111], v[108:109], v[106:107]
	v_fma_f64 v[90:91], -v[90:91], v[110:111], v[108:109]
	s_nop 1
	v_div_fmas_f64 v[90:91], v[90:91], v[106:107], v[110:111]
	v_div_fixup_f64 v[88:89], v[90:91], v[88:89], 1.0
	v_mul_f64 v[90:91], v[104:105], -v[88:89]
.LBB42_114:
	s_or_b64 exec, exec, s[16:17]
.LBB42_115:
	s_or_b64 exec, exec, s[0:1]
	v_cmp_ne_u32_e32 vcc, v101, v98
	s_and_saveexec_b64 s[0:1], vcc
	s_xor_b64 s[0:1], exec, s[0:1]
	s_cbranch_execz .LBB42_121
; %bb.116:
	v_cmp_eq_u32_e32 vcc, 5, v101
	s_and_saveexec_b64 s[16:17], vcc
	s_cbranch_execz .LBB42_120
; %bb.117:
	v_cmp_ne_u32_e32 vcc, 5, v98
	s_xor_b64 s[18:19], s[14:15], -1
	s_and_b64 s[22:23], s[18:19], vcc
	s_and_saveexec_b64 s[18:19], s[22:23]
	s_cbranch_execz .LBB42_119
; %bb.118:
	v_ashrrev_i32_e32 v99, 31, v98
	v_lshl_add_u64 v[104:105], v[98:99], 2, v[96:97]
	global_load_dword v99, v[104:105], off
	global_load_dword v101, v[96:97], off offset:20
	s_waitcnt vmcnt(1)
	global_store_dword v[96:97], v99, off offset:20
	s_waitcnt vmcnt(1)
	global_store_dword v[104:105], v101, off
.LBB42_119:
	s_or_b64 exec, exec, s[18:19]
	v_mov_b32_e32 v101, v98
	v_mov_b32_e32 v102, v98
.LBB42_120:
	s_or_b64 exec, exec, s[16:17]
.LBB42_121:
	s_andn2_saveexec_b64 s[0:1], s[0:1]
	s_cbranch_execz .LBB42_123
; %bb.122:
	v_mov_b32_e32 v101, 5
	s_waitcnt vmcnt(15)
	ds_write2_b64 v100, v[72:73], v[74:75] offset0:12 offset1:13
	s_waitcnt vmcnt(14)
	ds_write2_b64 v100, v[60:61], v[62:63] offset0:14 offset1:15
	;; [unrolled: 2-line block ×16, first 2 shown]
.LBB42_123:
	s_or_b64 exec, exec, s[0:1]
	v_cmp_lt_i32_e32 vcc, 5, v101
	s_waitcnt lgkmcnt(0)
	s_barrier
	s_and_saveexec_b64 s[0:1], vcc
	s_cbranch_execz .LBB42_125
; %bb.124:
	ds_read2_b64 v[104:107], v100 offset0:12 offset1:13
	v_mul_f64 v[98:99], v[88:89], v[78:79]
	v_mul_f64 v[78:79], v[90:91], v[78:79]
	v_fmac_f64_e32 v[98:99], v[90:91], v[76:77]
	v_fma_f64 v[76:77], v[88:89], v[76:77], -v[78:79]
	ds_read2_b64 v[88:91], v100 offset0:14 offset1:15
	s_waitcnt lgkmcnt(1)
	v_mul_f64 v[78:79], v[106:107], v[98:99]
	v_fma_f64 v[78:79], v[104:105], v[76:77], -v[78:79]
	v_mul_f64 v[104:105], v[104:105], v[98:99]
	v_fmac_f64_e32 v[104:105], v[106:107], v[76:77]
	s_waitcnt vmcnt(15)
	v_add_f64 v[72:73], v[72:73], -v[78:79]
	s_waitcnt lgkmcnt(0)
	v_mul_f64 v[78:79], v[90:91], v[98:99]
	v_add_f64 v[74:75], v[74:75], -v[104:105]
	v_fma_f64 v[78:79], v[88:89], v[76:77], -v[78:79]
	v_mul_f64 v[88:89], v[88:89], v[98:99]
	ds_read2_b64 v[104:107], v100 offset0:16 offset1:17
	v_fmac_f64_e32 v[88:89], v[90:91], v[76:77]
	s_waitcnt vmcnt(14)
	v_add_f64 v[62:63], v[62:63], -v[88:89]
	ds_read2_b64 v[88:91], v100 offset0:18 offset1:19
	v_add_f64 v[60:61], v[60:61], -v[78:79]
	s_waitcnt lgkmcnt(1)
	v_mul_f64 v[78:79], v[106:107], v[98:99]
	v_fma_f64 v[78:79], v[104:105], v[76:77], -v[78:79]
	v_mul_f64 v[104:105], v[104:105], v[98:99]
	v_fmac_f64_e32 v[104:105], v[106:107], v[76:77]
	s_waitcnt vmcnt(13)
	v_add_f64 v[56:57], v[56:57], -v[78:79]
	s_waitcnt lgkmcnt(0)
	v_mul_f64 v[78:79], v[90:91], v[98:99]
	v_add_f64 v[58:59], v[58:59], -v[104:105]
	v_fma_f64 v[78:79], v[88:89], v[76:77], -v[78:79]
	v_mul_f64 v[88:89], v[88:89], v[98:99]
	ds_read2_b64 v[104:107], v100 offset0:20 offset1:21
	v_fmac_f64_e32 v[88:89], v[90:91], v[76:77]
	s_waitcnt vmcnt(12)
	v_add_f64 v[50:51], v[50:51], -v[88:89]
	ds_read2_b64 v[88:91], v100 offset0:22 offset1:23
	v_add_f64 v[48:49], v[48:49], -v[78:79]
	;; [unrolled: 18-line block ×7, first 2 shown]
	s_waitcnt lgkmcnt(1)
	v_mul_f64 v[78:79], v[106:107], v[98:99]
	v_fma_f64 v[78:79], v[104:105], v[76:77], -v[78:79]
	s_waitcnt vmcnt(1)
	v_add_f64 v[0:1], v[0:1], -v[78:79]
	s_waitcnt lgkmcnt(0)
	v_mul_f64 v[78:79], v[90:91], v[98:99]
	v_mul_f64 v[104:105], v[104:105], v[98:99]
	v_fma_f64 v[78:79], v[88:89], v[76:77], -v[78:79]
	v_mul_f64 v[88:89], v[88:89], v[98:99]
	v_fmac_f64_e32 v[104:105], v[106:107], v[76:77]
	v_fmac_f64_e32 v[88:89], v[90:91], v[76:77]
	v_add_f64 v[2:3], v[2:3], -v[104:105]
	s_waitcnt vmcnt(0)
	v_add_f64 v[84:85], v[84:85], -v[78:79]
	v_add_f64 v[86:87], v[86:87], -v[88:89]
	v_mov_b64_e32 v[78:79], v[98:99]
.LBB42_125:
	s_or_b64 exec, exec, s[0:1]
	v_lshl_add_u32 v88, v101, 4, v100
	s_barrier
	s_waitcnt vmcnt(15)
	ds_write2_b64 v88, v[72:73], v[74:75] offset1:1
	s_waitcnt lgkmcnt(0)
	s_barrier
	ds_read2_b64 v[88:91], v100 offset0:12 offset1:13
	s_cmp_lt_i32 s20, 8
	v_mov_b32_e32 v98, 6
	s_cbranch_scc1 .LBB42_128
; %bb.126:
	v_add_u32_e32 v99, 0x70, v100
	s_mov_b32 s16, 7
	v_mov_b32_e32 v98, 6
.LBB42_127:                             ; =>This Inner Loop Header: Depth=1
	ds_read2_b64 v[104:107], v99 offset1:1
	s_waitcnt lgkmcnt(1)
	v_xor_b32_e32 v109, 0x80000000, v89
	v_xor_b32_e32 v111, 0x80000000, v91
	v_cmp_gt_f64_e32 vcc, 0, v[90:91]
	v_cmp_gt_f64_e64 s[0:1], 0, v[88:89]
	v_mov_b32_e32 v108, v88
	v_mov_b32_e32 v110, v90
	v_cndmask_b32_e64 v109, v89, v109, s[0:1]
	v_cndmask_b32_e32 v111, v91, v111, vcc
	v_add_f64 v[108:109], v[108:109], v[110:111]
	s_waitcnt lgkmcnt(0)
	v_xor_b32_e32 v111, 0x80000000, v105
	v_xor_b32_e32 v113, 0x80000000, v107
	v_cmp_gt_f64_e32 vcc, 0, v[106:107]
	v_cmp_gt_f64_e64 s[0:1], 0, v[104:105]
	v_mov_b32_e32 v110, v104
	v_mov_b32_e32 v112, v106
	v_cndmask_b32_e64 v111, v105, v111, s[0:1]
	v_cndmask_b32_e32 v113, v107, v113, vcc
	v_add_f64 v[110:111], v[110:111], v[112:113]
	v_mov_b32_e32 v114, s16
	s_add_i32 s16, s16, 1
	v_cmp_lt_f64_e32 vcc, v[108:109], v[110:111]
	v_add_u32_e32 v99, 16, v99
	s_cmp_lg_u32 s20, s16
	v_cndmask_b32_e32 v89, v89, v105, vcc
	v_cndmask_b32_e32 v88, v88, v104, vcc
	;; [unrolled: 1-line block ×5, first 2 shown]
	s_cbranch_scc1 .LBB42_127
.LBB42_128:
	s_waitcnt lgkmcnt(0)
	v_cmp_eq_f64_e32 vcc, 0, v[88:89]
	v_cmp_eq_f64_e64 s[0:1], 0, v[90:91]
	s_and_b64 s[0:1], vcc, s[0:1]
	s_and_saveexec_b64 s[16:17], s[0:1]
	s_xor_b64 s[0:1], exec, s[16:17]
; %bb.129:
	v_cmp_ne_u32_e32 vcc, 0, v103
	s_nop 1
	v_cndmask_b32_e32 v103, 7, v103, vcc
; %bb.130:
	s_andn2_saveexec_b64 s[0:1], s[0:1]
	s_cbranch_execz .LBB42_136
; %bb.131:
	v_cmp_ngt_f64_e64 s[16:17], |v[88:89]|, |v[90:91]|
	s_and_saveexec_b64 s[18:19], s[16:17]
	s_xor_b64 s[16:17], exec, s[18:19]
	s_cbranch_execz .LBB42_133
; %bb.132:
	v_div_scale_f64 v[104:105], s[18:19], v[90:91], v[90:91], v[88:89]
	v_rcp_f64_e32 v[106:107], v[104:105]
	v_div_scale_f64 v[108:109], vcc, v[88:89], v[90:91], v[88:89]
	v_fma_f64 v[110:111], -v[104:105], v[106:107], 1.0
	v_fmac_f64_e32 v[106:107], v[106:107], v[110:111]
	v_fma_f64 v[110:111], -v[104:105], v[106:107], 1.0
	v_fmac_f64_e32 v[106:107], v[106:107], v[110:111]
	v_mul_f64 v[110:111], v[108:109], v[106:107]
	v_fma_f64 v[104:105], -v[104:105], v[110:111], v[108:109]
	v_div_fmas_f64 v[104:105], v[104:105], v[106:107], v[110:111]
	v_div_fixup_f64 v[104:105], v[104:105], v[90:91], v[88:89]
	v_fmac_f64_e32 v[90:91], v[88:89], v[104:105]
	v_div_scale_f64 v[88:89], s[18:19], v[90:91], v[90:91], 1.0
	v_rcp_f64_e32 v[106:107], v[88:89]
	s_nop 0
	v_fma_f64 v[108:109], -v[88:89], v[106:107], 1.0
	v_fmac_f64_e32 v[106:107], v[106:107], v[108:109]
	v_fma_f64 v[108:109], -v[88:89], v[106:107], 1.0
	v_fmac_f64_e32 v[106:107], v[106:107], v[108:109]
	v_div_scale_f64 v[108:109], vcc, 1.0, v[90:91], 1.0
	v_mul_f64 v[110:111], v[108:109], v[106:107]
	v_fma_f64 v[88:89], -v[88:89], v[110:111], v[108:109]
	s_nop 1
	v_div_fmas_f64 v[88:89], v[88:89], v[106:107], v[110:111]
	v_div_fixup_f64 v[90:91], v[88:89], v[90:91], 1.0
	v_mul_f64 v[88:89], v[104:105], v[90:91]
	v_xor_b32_e32 v91, 0x80000000, v91
.LBB42_133:
	s_andn2_saveexec_b64 s[16:17], s[16:17]
	s_cbranch_execz .LBB42_135
; %bb.134:
	v_div_scale_f64 v[104:105], s[18:19], v[88:89], v[88:89], v[90:91]
	v_rcp_f64_e32 v[106:107], v[104:105]
	v_div_scale_f64 v[108:109], vcc, v[90:91], v[88:89], v[90:91]
	v_fma_f64 v[110:111], -v[104:105], v[106:107], 1.0
	v_fmac_f64_e32 v[106:107], v[106:107], v[110:111]
	v_fma_f64 v[110:111], -v[104:105], v[106:107], 1.0
	v_fmac_f64_e32 v[106:107], v[106:107], v[110:111]
	v_mul_f64 v[110:111], v[108:109], v[106:107]
	v_fma_f64 v[104:105], -v[104:105], v[110:111], v[108:109]
	v_div_fmas_f64 v[104:105], v[104:105], v[106:107], v[110:111]
	v_div_fixup_f64 v[104:105], v[104:105], v[88:89], v[90:91]
	v_fmac_f64_e32 v[88:89], v[90:91], v[104:105]
	v_div_scale_f64 v[90:91], s[18:19], v[88:89], v[88:89], 1.0
	v_rcp_f64_e32 v[106:107], v[90:91]
	s_nop 0
	v_fma_f64 v[108:109], -v[90:91], v[106:107], 1.0
	v_fmac_f64_e32 v[106:107], v[106:107], v[108:109]
	v_fma_f64 v[108:109], -v[90:91], v[106:107], 1.0
	v_fmac_f64_e32 v[106:107], v[106:107], v[108:109]
	v_div_scale_f64 v[108:109], vcc, 1.0, v[88:89], 1.0
	v_mul_f64 v[110:111], v[108:109], v[106:107]
	v_fma_f64 v[90:91], -v[90:91], v[110:111], v[108:109]
	s_nop 1
	v_div_fmas_f64 v[90:91], v[90:91], v[106:107], v[110:111]
	v_div_fixup_f64 v[88:89], v[90:91], v[88:89], 1.0
	v_mul_f64 v[90:91], v[104:105], -v[88:89]
.LBB42_135:
	s_or_b64 exec, exec, s[16:17]
.LBB42_136:
	s_or_b64 exec, exec, s[0:1]
	v_cmp_ne_u32_e32 vcc, v101, v98
	s_and_saveexec_b64 s[0:1], vcc
	s_xor_b64 s[0:1], exec, s[0:1]
	s_cbranch_execz .LBB42_142
; %bb.137:
	v_cmp_eq_u32_e32 vcc, 6, v101
	s_and_saveexec_b64 s[16:17], vcc
	s_cbranch_execz .LBB42_141
; %bb.138:
	v_cmp_ne_u32_e32 vcc, 6, v98
	s_xor_b64 s[18:19], s[14:15], -1
	s_and_b64 s[22:23], s[18:19], vcc
	s_and_saveexec_b64 s[18:19], s[22:23]
	s_cbranch_execz .LBB42_140
; %bb.139:
	v_ashrrev_i32_e32 v99, 31, v98
	v_lshl_add_u64 v[104:105], v[98:99], 2, v[96:97]
	global_load_dword v99, v[104:105], off
	global_load_dword v101, v[96:97], off offset:24
	s_waitcnt vmcnt(1)
	global_store_dword v[96:97], v99, off offset:24
	s_waitcnt vmcnt(1)
	global_store_dword v[104:105], v101, off
.LBB42_140:
	s_or_b64 exec, exec, s[18:19]
	v_mov_b32_e32 v101, v98
	v_mov_b32_e32 v102, v98
.LBB42_141:
	s_or_b64 exec, exec, s[16:17]
.LBB42_142:
	s_andn2_saveexec_b64 s[0:1], s[0:1]
	s_cbranch_execz .LBB42_144
; %bb.143:
	v_mov_b32_e32 v101, 6
	s_waitcnt vmcnt(14)
	ds_write2_b64 v100, v[60:61], v[62:63] offset0:14 offset1:15
	s_waitcnt vmcnt(13)
	ds_write2_b64 v100, v[56:57], v[58:59] offset0:16 offset1:17
	s_waitcnt vmcnt(12)
	ds_write2_b64 v100, v[48:49], v[50:51] offset0:18 offset1:19
	s_waitcnt vmcnt(11)
	ds_write2_b64 v100, v[40:41], v[42:43] offset0:20 offset1:21
	s_waitcnt vmcnt(10)
	ds_write2_b64 v100, v[36:37], v[38:39] offset0:22 offset1:23
	s_waitcnt vmcnt(9)
	ds_write2_b64 v100, v[32:33], v[34:35] offset0:24 offset1:25
	s_waitcnt vmcnt(8)
	ds_write2_b64 v100, v[28:29], v[30:31] offset0:26 offset1:27
	s_waitcnt vmcnt(7)
	ds_write2_b64 v100, v[24:25], v[26:27] offset0:28 offset1:29
	s_waitcnt vmcnt(6)
	ds_write2_b64 v100, v[20:21], v[22:23] offset0:30 offset1:31
	s_waitcnt vmcnt(5)
	ds_write2_b64 v100, v[16:17], v[18:19] offset0:32 offset1:33
	s_waitcnt vmcnt(4)
	ds_write2_b64 v100, v[12:13], v[14:15] offset0:34 offset1:35
	s_waitcnt vmcnt(3)
	ds_write2_b64 v100, v[4:5], v[6:7] offset0:36 offset1:37
	s_waitcnt vmcnt(2)
	ds_write2_b64 v100, v[8:9], v[10:11] offset0:38 offset1:39
	s_waitcnt vmcnt(1)
	ds_write2_b64 v100, v[0:1], v[2:3] offset0:40 offset1:41
	s_waitcnt vmcnt(0)
	ds_write2_b64 v100, v[84:85], v[86:87] offset0:42 offset1:43
.LBB42_144:
	s_or_b64 exec, exec, s[0:1]
	v_cmp_lt_i32_e32 vcc, 6, v101
	s_waitcnt lgkmcnt(0)
	s_barrier
	s_and_saveexec_b64 s[0:1], vcc
	s_cbranch_execz .LBB42_146
; %bb.145:
	ds_read2_b64 v[104:107], v100 offset0:14 offset1:15
	v_mul_f64 v[98:99], v[88:89], v[74:75]
	v_fmac_f64_e32 v[98:99], v[90:91], v[72:73]
	v_mul_f64 v[74:75], v[90:91], v[74:75]
	v_fma_f64 v[72:73], v[88:89], v[72:73], -v[74:75]
	ds_read2_b64 v[88:91], v100 offset0:16 offset1:17
	s_waitcnt lgkmcnt(1)
	v_mul_f64 v[74:75], v[106:107], v[98:99]
	v_fma_f64 v[74:75], v[104:105], v[72:73], -v[74:75]
	v_mul_f64 v[104:105], v[104:105], v[98:99]
	v_fmac_f64_e32 v[104:105], v[106:107], v[72:73]
	s_waitcnt vmcnt(14)
	v_add_f64 v[62:63], v[62:63], -v[104:105]
	ds_read2_b64 v[104:107], v100 offset0:18 offset1:19
	v_add_f64 v[60:61], v[60:61], -v[74:75]
	s_waitcnt lgkmcnt(1)
	v_mul_f64 v[74:75], v[90:91], v[98:99]
	v_fma_f64 v[74:75], v[88:89], v[72:73], -v[74:75]
	v_mul_f64 v[88:89], v[88:89], v[98:99]
	v_fmac_f64_e32 v[88:89], v[90:91], v[72:73]
	s_waitcnt vmcnt(13)
	v_add_f64 v[56:57], v[56:57], -v[74:75]
	v_add_f64 v[58:59], v[58:59], -v[88:89]
	ds_read2_b64 v[88:91], v100 offset0:20 offset1:21
	s_waitcnt lgkmcnt(1)
	v_mul_f64 v[74:75], v[106:107], v[98:99]
	v_fma_f64 v[74:75], v[104:105], v[72:73], -v[74:75]
	v_mul_f64 v[104:105], v[104:105], v[98:99]
	v_fmac_f64_e32 v[104:105], v[106:107], v[72:73]
	s_waitcnt vmcnt(12)
	v_add_f64 v[50:51], v[50:51], -v[104:105]
	ds_read2_b64 v[104:107], v100 offset0:22 offset1:23
	v_add_f64 v[48:49], v[48:49], -v[74:75]
	s_waitcnt lgkmcnt(1)
	v_mul_f64 v[74:75], v[90:91], v[98:99]
	v_fma_f64 v[74:75], v[88:89], v[72:73], -v[74:75]
	v_mul_f64 v[88:89], v[88:89], v[98:99]
	v_fmac_f64_e32 v[88:89], v[90:91], v[72:73]
	s_waitcnt vmcnt(11)
	v_add_f64 v[40:41], v[40:41], -v[74:75]
	v_add_f64 v[42:43], v[42:43], -v[88:89]
	;; [unrolled: 18-line block ×7, first 2 shown]
	s_waitcnt lgkmcnt(0)
	v_mul_f64 v[74:75], v[106:107], v[98:99]
	v_mul_f64 v[88:89], v[104:105], v[98:99]
	v_fma_f64 v[74:75], v[104:105], v[72:73], -v[74:75]
	v_fmac_f64_e32 v[88:89], v[106:107], v[72:73]
	s_waitcnt vmcnt(0)
	v_add_f64 v[84:85], v[84:85], -v[74:75]
	v_add_f64 v[86:87], v[86:87], -v[88:89]
	v_mov_b64_e32 v[74:75], v[98:99]
.LBB42_146:
	s_or_b64 exec, exec, s[0:1]
	v_lshl_add_u32 v88, v101, 4, v100
	s_barrier
	s_waitcnt vmcnt(14)
	ds_write2_b64 v88, v[60:61], v[62:63] offset1:1
	s_waitcnt lgkmcnt(0)
	s_barrier
	ds_read2_b64 v[88:91], v100 offset0:14 offset1:15
	s_cmp_lt_i32 s20, 9
	v_mov_b32_e32 v98, 7
	s_cbranch_scc1 .LBB42_149
; %bb.147:
	v_add_u32_e32 v99, 0x80, v100
	s_mov_b32 s16, 8
	v_mov_b32_e32 v98, 7
.LBB42_148:                             ; =>This Inner Loop Header: Depth=1
	ds_read2_b64 v[104:107], v99 offset1:1
	s_waitcnt lgkmcnt(1)
	v_xor_b32_e32 v109, 0x80000000, v89
	v_xor_b32_e32 v111, 0x80000000, v91
	v_cmp_gt_f64_e32 vcc, 0, v[90:91]
	v_cmp_gt_f64_e64 s[0:1], 0, v[88:89]
	v_mov_b32_e32 v108, v88
	v_mov_b32_e32 v110, v90
	v_cndmask_b32_e64 v109, v89, v109, s[0:1]
	v_cndmask_b32_e32 v111, v91, v111, vcc
	v_add_f64 v[108:109], v[108:109], v[110:111]
	s_waitcnt lgkmcnt(0)
	v_xor_b32_e32 v111, 0x80000000, v105
	v_xor_b32_e32 v113, 0x80000000, v107
	v_cmp_gt_f64_e32 vcc, 0, v[106:107]
	v_cmp_gt_f64_e64 s[0:1], 0, v[104:105]
	v_mov_b32_e32 v110, v104
	v_mov_b32_e32 v112, v106
	v_cndmask_b32_e64 v111, v105, v111, s[0:1]
	v_cndmask_b32_e32 v113, v107, v113, vcc
	v_add_f64 v[110:111], v[110:111], v[112:113]
	v_mov_b32_e32 v114, s16
	s_add_i32 s16, s16, 1
	v_cmp_lt_f64_e32 vcc, v[108:109], v[110:111]
	v_add_u32_e32 v99, 16, v99
	s_cmp_lg_u32 s20, s16
	v_cndmask_b32_e32 v89, v89, v105, vcc
	v_cndmask_b32_e32 v88, v88, v104, vcc
	;; [unrolled: 1-line block ×5, first 2 shown]
	s_cbranch_scc1 .LBB42_148
.LBB42_149:
	s_waitcnt lgkmcnt(0)
	v_cmp_eq_f64_e32 vcc, 0, v[88:89]
	v_cmp_eq_f64_e64 s[0:1], 0, v[90:91]
	s_and_b64 s[0:1], vcc, s[0:1]
	s_and_saveexec_b64 s[16:17], s[0:1]
	s_xor_b64 s[0:1], exec, s[16:17]
; %bb.150:
	v_cmp_ne_u32_e32 vcc, 0, v103
	s_nop 1
	v_cndmask_b32_e32 v103, 8, v103, vcc
; %bb.151:
	s_andn2_saveexec_b64 s[0:1], s[0:1]
	s_cbranch_execz .LBB42_157
; %bb.152:
	v_cmp_ngt_f64_e64 s[16:17], |v[88:89]|, |v[90:91]|
	s_and_saveexec_b64 s[18:19], s[16:17]
	s_xor_b64 s[16:17], exec, s[18:19]
	s_cbranch_execz .LBB42_154
; %bb.153:
	v_div_scale_f64 v[104:105], s[18:19], v[90:91], v[90:91], v[88:89]
	v_rcp_f64_e32 v[106:107], v[104:105]
	v_div_scale_f64 v[108:109], vcc, v[88:89], v[90:91], v[88:89]
	v_fma_f64 v[110:111], -v[104:105], v[106:107], 1.0
	v_fmac_f64_e32 v[106:107], v[106:107], v[110:111]
	v_fma_f64 v[110:111], -v[104:105], v[106:107], 1.0
	v_fmac_f64_e32 v[106:107], v[106:107], v[110:111]
	v_mul_f64 v[110:111], v[108:109], v[106:107]
	v_fma_f64 v[104:105], -v[104:105], v[110:111], v[108:109]
	v_div_fmas_f64 v[104:105], v[104:105], v[106:107], v[110:111]
	v_div_fixup_f64 v[104:105], v[104:105], v[90:91], v[88:89]
	v_fmac_f64_e32 v[90:91], v[88:89], v[104:105]
	v_div_scale_f64 v[88:89], s[18:19], v[90:91], v[90:91], 1.0
	v_rcp_f64_e32 v[106:107], v[88:89]
	s_nop 0
	v_fma_f64 v[108:109], -v[88:89], v[106:107], 1.0
	v_fmac_f64_e32 v[106:107], v[106:107], v[108:109]
	v_fma_f64 v[108:109], -v[88:89], v[106:107], 1.0
	v_fmac_f64_e32 v[106:107], v[106:107], v[108:109]
	v_div_scale_f64 v[108:109], vcc, 1.0, v[90:91], 1.0
	v_mul_f64 v[110:111], v[108:109], v[106:107]
	v_fma_f64 v[88:89], -v[88:89], v[110:111], v[108:109]
	s_nop 1
	v_div_fmas_f64 v[88:89], v[88:89], v[106:107], v[110:111]
	v_div_fixup_f64 v[90:91], v[88:89], v[90:91], 1.0
	v_mul_f64 v[88:89], v[104:105], v[90:91]
	v_xor_b32_e32 v91, 0x80000000, v91
.LBB42_154:
	s_andn2_saveexec_b64 s[16:17], s[16:17]
	s_cbranch_execz .LBB42_156
; %bb.155:
	v_div_scale_f64 v[104:105], s[18:19], v[88:89], v[88:89], v[90:91]
	v_rcp_f64_e32 v[106:107], v[104:105]
	v_div_scale_f64 v[108:109], vcc, v[90:91], v[88:89], v[90:91]
	v_fma_f64 v[110:111], -v[104:105], v[106:107], 1.0
	v_fmac_f64_e32 v[106:107], v[106:107], v[110:111]
	v_fma_f64 v[110:111], -v[104:105], v[106:107], 1.0
	v_fmac_f64_e32 v[106:107], v[106:107], v[110:111]
	v_mul_f64 v[110:111], v[108:109], v[106:107]
	v_fma_f64 v[104:105], -v[104:105], v[110:111], v[108:109]
	v_div_fmas_f64 v[104:105], v[104:105], v[106:107], v[110:111]
	v_div_fixup_f64 v[104:105], v[104:105], v[88:89], v[90:91]
	v_fmac_f64_e32 v[88:89], v[90:91], v[104:105]
	v_div_scale_f64 v[90:91], s[18:19], v[88:89], v[88:89], 1.0
	v_rcp_f64_e32 v[106:107], v[90:91]
	s_nop 0
	v_fma_f64 v[108:109], -v[90:91], v[106:107], 1.0
	v_fmac_f64_e32 v[106:107], v[106:107], v[108:109]
	v_fma_f64 v[108:109], -v[90:91], v[106:107], 1.0
	v_fmac_f64_e32 v[106:107], v[106:107], v[108:109]
	v_div_scale_f64 v[108:109], vcc, 1.0, v[88:89], 1.0
	v_mul_f64 v[110:111], v[108:109], v[106:107]
	v_fma_f64 v[90:91], -v[90:91], v[110:111], v[108:109]
	s_nop 1
	v_div_fmas_f64 v[90:91], v[90:91], v[106:107], v[110:111]
	v_div_fixup_f64 v[88:89], v[90:91], v[88:89], 1.0
	v_mul_f64 v[90:91], v[104:105], -v[88:89]
.LBB42_156:
	s_or_b64 exec, exec, s[16:17]
.LBB42_157:
	s_or_b64 exec, exec, s[0:1]
	v_cmp_ne_u32_e32 vcc, v101, v98
	s_and_saveexec_b64 s[0:1], vcc
	s_xor_b64 s[0:1], exec, s[0:1]
	s_cbranch_execz .LBB42_163
; %bb.158:
	v_cmp_eq_u32_e32 vcc, 7, v101
	s_and_saveexec_b64 s[16:17], vcc
	s_cbranch_execz .LBB42_162
; %bb.159:
	v_cmp_ne_u32_e32 vcc, 7, v98
	s_xor_b64 s[18:19], s[14:15], -1
	s_and_b64 s[22:23], s[18:19], vcc
	s_and_saveexec_b64 s[18:19], s[22:23]
	s_cbranch_execz .LBB42_161
; %bb.160:
	v_ashrrev_i32_e32 v99, 31, v98
	v_lshl_add_u64 v[104:105], v[98:99], 2, v[96:97]
	global_load_dword v99, v[104:105], off
	global_load_dword v101, v[96:97], off offset:28
	s_waitcnt vmcnt(1)
	global_store_dword v[96:97], v99, off offset:28
	s_waitcnt vmcnt(1)
	global_store_dword v[104:105], v101, off
.LBB42_161:
	s_or_b64 exec, exec, s[18:19]
	v_mov_b32_e32 v101, v98
	v_mov_b32_e32 v102, v98
.LBB42_162:
	s_or_b64 exec, exec, s[16:17]
.LBB42_163:
	s_andn2_saveexec_b64 s[0:1], s[0:1]
	s_cbranch_execz .LBB42_165
; %bb.164:
	v_mov_b32_e32 v101, 7
	s_waitcnt vmcnt(13)
	ds_write2_b64 v100, v[56:57], v[58:59] offset0:16 offset1:17
	s_waitcnt vmcnt(12)
	ds_write2_b64 v100, v[48:49], v[50:51] offset0:18 offset1:19
	;; [unrolled: 2-line block ×14, first 2 shown]
.LBB42_165:
	s_or_b64 exec, exec, s[0:1]
	v_cmp_lt_i32_e32 vcc, 7, v101
	s_waitcnt lgkmcnt(0)
	s_barrier
	s_and_saveexec_b64 s[0:1], vcc
	s_cbranch_execz .LBB42_167
; %bb.166:
	ds_read2_b64 v[104:107], v100 offset0:16 offset1:17
	v_mul_f64 v[98:99], v[88:89], v[62:63]
	v_mul_f64 v[62:63], v[90:91], v[62:63]
	v_fmac_f64_e32 v[98:99], v[90:91], v[60:61]
	v_fma_f64 v[60:61], v[88:89], v[60:61], -v[62:63]
	ds_read2_b64 v[88:91], v100 offset0:18 offset1:19
	s_waitcnt lgkmcnt(1)
	v_mul_f64 v[62:63], v[106:107], v[98:99]
	v_fma_f64 v[62:63], v[104:105], v[60:61], -v[62:63]
	v_mul_f64 v[104:105], v[104:105], v[98:99]
	v_fmac_f64_e32 v[104:105], v[106:107], v[60:61]
	s_waitcnt vmcnt(13)
	v_add_f64 v[56:57], v[56:57], -v[62:63]
	s_waitcnt lgkmcnt(0)
	v_mul_f64 v[62:63], v[90:91], v[98:99]
	v_add_f64 v[58:59], v[58:59], -v[104:105]
	v_fma_f64 v[62:63], v[88:89], v[60:61], -v[62:63]
	v_mul_f64 v[88:89], v[88:89], v[98:99]
	ds_read2_b64 v[104:107], v100 offset0:20 offset1:21
	v_fmac_f64_e32 v[88:89], v[90:91], v[60:61]
	s_waitcnt vmcnt(12)
	v_add_f64 v[50:51], v[50:51], -v[88:89]
	ds_read2_b64 v[88:91], v100 offset0:22 offset1:23
	v_add_f64 v[48:49], v[48:49], -v[62:63]
	s_waitcnt lgkmcnt(1)
	v_mul_f64 v[62:63], v[106:107], v[98:99]
	v_fma_f64 v[62:63], v[104:105], v[60:61], -v[62:63]
	v_mul_f64 v[104:105], v[104:105], v[98:99]
	v_fmac_f64_e32 v[104:105], v[106:107], v[60:61]
	s_waitcnt vmcnt(11)
	v_add_f64 v[40:41], v[40:41], -v[62:63]
	s_waitcnt lgkmcnt(0)
	v_mul_f64 v[62:63], v[90:91], v[98:99]
	v_add_f64 v[42:43], v[42:43], -v[104:105]
	v_fma_f64 v[62:63], v[88:89], v[60:61], -v[62:63]
	v_mul_f64 v[88:89], v[88:89], v[98:99]
	ds_read2_b64 v[104:107], v100 offset0:24 offset1:25
	v_fmac_f64_e32 v[88:89], v[90:91], v[60:61]
	s_waitcnt vmcnt(10)
	v_add_f64 v[38:39], v[38:39], -v[88:89]
	ds_read2_b64 v[88:91], v100 offset0:26 offset1:27
	v_add_f64 v[36:37], v[36:37], -v[62:63]
	;; [unrolled: 18-line block ×6, first 2 shown]
	s_waitcnt lgkmcnt(1)
	v_mul_f64 v[62:63], v[106:107], v[98:99]
	v_fma_f64 v[62:63], v[104:105], v[60:61], -v[62:63]
	s_waitcnt vmcnt(1)
	v_add_f64 v[0:1], v[0:1], -v[62:63]
	s_waitcnt lgkmcnt(0)
	v_mul_f64 v[62:63], v[90:91], v[98:99]
	v_mul_f64 v[104:105], v[104:105], v[98:99]
	v_fma_f64 v[62:63], v[88:89], v[60:61], -v[62:63]
	v_mul_f64 v[88:89], v[88:89], v[98:99]
	v_fmac_f64_e32 v[104:105], v[106:107], v[60:61]
	v_fmac_f64_e32 v[88:89], v[90:91], v[60:61]
	v_add_f64 v[2:3], v[2:3], -v[104:105]
	s_waitcnt vmcnt(0)
	v_add_f64 v[84:85], v[84:85], -v[62:63]
	v_add_f64 v[86:87], v[86:87], -v[88:89]
	v_mov_b64_e32 v[62:63], v[98:99]
.LBB42_167:
	s_or_b64 exec, exec, s[0:1]
	v_lshl_add_u32 v88, v101, 4, v100
	s_barrier
	s_waitcnt vmcnt(13)
	ds_write2_b64 v88, v[56:57], v[58:59] offset1:1
	s_waitcnt lgkmcnt(0)
	s_barrier
	ds_read2_b64 v[88:91], v100 offset0:16 offset1:17
	s_cmp_lt_i32 s20, 10
	v_mov_b32_e32 v98, 8
	s_cbranch_scc1 .LBB42_170
; %bb.168:
	v_add_u32_e32 v99, 0x90, v100
	s_mov_b32 s16, 9
	v_mov_b32_e32 v98, 8
.LBB42_169:                             ; =>This Inner Loop Header: Depth=1
	ds_read2_b64 v[104:107], v99 offset1:1
	s_waitcnt lgkmcnt(1)
	v_xor_b32_e32 v109, 0x80000000, v89
	v_xor_b32_e32 v111, 0x80000000, v91
	v_cmp_gt_f64_e32 vcc, 0, v[90:91]
	v_cmp_gt_f64_e64 s[0:1], 0, v[88:89]
	v_mov_b32_e32 v108, v88
	v_mov_b32_e32 v110, v90
	v_cndmask_b32_e64 v109, v89, v109, s[0:1]
	v_cndmask_b32_e32 v111, v91, v111, vcc
	v_add_f64 v[108:109], v[108:109], v[110:111]
	s_waitcnt lgkmcnt(0)
	v_xor_b32_e32 v111, 0x80000000, v105
	v_xor_b32_e32 v113, 0x80000000, v107
	v_cmp_gt_f64_e32 vcc, 0, v[106:107]
	v_cmp_gt_f64_e64 s[0:1], 0, v[104:105]
	v_mov_b32_e32 v110, v104
	v_mov_b32_e32 v112, v106
	v_cndmask_b32_e64 v111, v105, v111, s[0:1]
	v_cndmask_b32_e32 v113, v107, v113, vcc
	v_add_f64 v[110:111], v[110:111], v[112:113]
	v_mov_b32_e32 v114, s16
	s_add_i32 s16, s16, 1
	v_cmp_lt_f64_e32 vcc, v[108:109], v[110:111]
	v_add_u32_e32 v99, 16, v99
	s_cmp_lg_u32 s20, s16
	v_cndmask_b32_e32 v89, v89, v105, vcc
	v_cndmask_b32_e32 v88, v88, v104, vcc
	;; [unrolled: 1-line block ×5, first 2 shown]
	s_cbranch_scc1 .LBB42_169
.LBB42_170:
	s_waitcnt lgkmcnt(0)
	v_cmp_eq_f64_e32 vcc, 0, v[88:89]
	v_cmp_eq_f64_e64 s[0:1], 0, v[90:91]
	s_and_b64 s[0:1], vcc, s[0:1]
	s_and_saveexec_b64 s[16:17], s[0:1]
	s_xor_b64 s[0:1], exec, s[16:17]
; %bb.171:
	v_cmp_ne_u32_e32 vcc, 0, v103
	s_nop 1
	v_cndmask_b32_e32 v103, 9, v103, vcc
; %bb.172:
	s_andn2_saveexec_b64 s[0:1], s[0:1]
	s_cbranch_execz .LBB42_178
; %bb.173:
	v_cmp_ngt_f64_e64 s[16:17], |v[88:89]|, |v[90:91]|
	s_and_saveexec_b64 s[18:19], s[16:17]
	s_xor_b64 s[16:17], exec, s[18:19]
	s_cbranch_execz .LBB42_175
; %bb.174:
	v_div_scale_f64 v[104:105], s[18:19], v[90:91], v[90:91], v[88:89]
	v_rcp_f64_e32 v[106:107], v[104:105]
	v_div_scale_f64 v[108:109], vcc, v[88:89], v[90:91], v[88:89]
	v_fma_f64 v[110:111], -v[104:105], v[106:107], 1.0
	v_fmac_f64_e32 v[106:107], v[106:107], v[110:111]
	v_fma_f64 v[110:111], -v[104:105], v[106:107], 1.0
	v_fmac_f64_e32 v[106:107], v[106:107], v[110:111]
	v_mul_f64 v[110:111], v[108:109], v[106:107]
	v_fma_f64 v[104:105], -v[104:105], v[110:111], v[108:109]
	v_div_fmas_f64 v[104:105], v[104:105], v[106:107], v[110:111]
	v_div_fixup_f64 v[104:105], v[104:105], v[90:91], v[88:89]
	v_fmac_f64_e32 v[90:91], v[88:89], v[104:105]
	v_div_scale_f64 v[88:89], s[18:19], v[90:91], v[90:91], 1.0
	v_rcp_f64_e32 v[106:107], v[88:89]
	s_nop 0
	v_fma_f64 v[108:109], -v[88:89], v[106:107], 1.0
	v_fmac_f64_e32 v[106:107], v[106:107], v[108:109]
	v_fma_f64 v[108:109], -v[88:89], v[106:107], 1.0
	v_fmac_f64_e32 v[106:107], v[106:107], v[108:109]
	v_div_scale_f64 v[108:109], vcc, 1.0, v[90:91], 1.0
	v_mul_f64 v[110:111], v[108:109], v[106:107]
	v_fma_f64 v[88:89], -v[88:89], v[110:111], v[108:109]
	s_nop 1
	v_div_fmas_f64 v[88:89], v[88:89], v[106:107], v[110:111]
	v_div_fixup_f64 v[90:91], v[88:89], v[90:91], 1.0
	v_mul_f64 v[88:89], v[104:105], v[90:91]
	v_xor_b32_e32 v91, 0x80000000, v91
.LBB42_175:
	s_andn2_saveexec_b64 s[16:17], s[16:17]
	s_cbranch_execz .LBB42_177
; %bb.176:
	v_div_scale_f64 v[104:105], s[18:19], v[88:89], v[88:89], v[90:91]
	v_rcp_f64_e32 v[106:107], v[104:105]
	v_div_scale_f64 v[108:109], vcc, v[90:91], v[88:89], v[90:91]
	v_fma_f64 v[110:111], -v[104:105], v[106:107], 1.0
	v_fmac_f64_e32 v[106:107], v[106:107], v[110:111]
	v_fma_f64 v[110:111], -v[104:105], v[106:107], 1.0
	v_fmac_f64_e32 v[106:107], v[106:107], v[110:111]
	v_mul_f64 v[110:111], v[108:109], v[106:107]
	v_fma_f64 v[104:105], -v[104:105], v[110:111], v[108:109]
	v_div_fmas_f64 v[104:105], v[104:105], v[106:107], v[110:111]
	v_div_fixup_f64 v[104:105], v[104:105], v[88:89], v[90:91]
	v_fmac_f64_e32 v[88:89], v[90:91], v[104:105]
	v_div_scale_f64 v[90:91], s[18:19], v[88:89], v[88:89], 1.0
	v_rcp_f64_e32 v[106:107], v[90:91]
	s_nop 0
	v_fma_f64 v[108:109], -v[90:91], v[106:107], 1.0
	v_fmac_f64_e32 v[106:107], v[106:107], v[108:109]
	v_fma_f64 v[108:109], -v[90:91], v[106:107], 1.0
	v_fmac_f64_e32 v[106:107], v[106:107], v[108:109]
	v_div_scale_f64 v[108:109], vcc, 1.0, v[88:89], 1.0
	v_mul_f64 v[110:111], v[108:109], v[106:107]
	v_fma_f64 v[90:91], -v[90:91], v[110:111], v[108:109]
	s_nop 1
	v_div_fmas_f64 v[90:91], v[90:91], v[106:107], v[110:111]
	v_div_fixup_f64 v[88:89], v[90:91], v[88:89], 1.0
	v_mul_f64 v[90:91], v[104:105], -v[88:89]
.LBB42_177:
	s_or_b64 exec, exec, s[16:17]
.LBB42_178:
	s_or_b64 exec, exec, s[0:1]
	v_cmp_ne_u32_e32 vcc, v101, v98
	s_and_saveexec_b64 s[0:1], vcc
	s_xor_b64 s[0:1], exec, s[0:1]
	s_cbranch_execz .LBB42_184
; %bb.179:
	v_cmp_eq_u32_e32 vcc, 8, v101
	s_and_saveexec_b64 s[16:17], vcc
	s_cbranch_execz .LBB42_183
; %bb.180:
	v_cmp_ne_u32_e32 vcc, 8, v98
	s_xor_b64 s[18:19], s[14:15], -1
	s_and_b64 s[22:23], s[18:19], vcc
	s_and_saveexec_b64 s[18:19], s[22:23]
	s_cbranch_execz .LBB42_182
; %bb.181:
	v_ashrrev_i32_e32 v99, 31, v98
	v_lshl_add_u64 v[104:105], v[98:99], 2, v[96:97]
	global_load_dword v99, v[104:105], off
	global_load_dword v101, v[96:97], off offset:32
	s_waitcnt vmcnt(1)
	global_store_dword v[96:97], v99, off offset:32
	s_waitcnt vmcnt(1)
	global_store_dword v[104:105], v101, off
.LBB42_182:
	s_or_b64 exec, exec, s[18:19]
	v_mov_b32_e32 v101, v98
	v_mov_b32_e32 v102, v98
.LBB42_183:
	s_or_b64 exec, exec, s[16:17]
.LBB42_184:
	s_andn2_saveexec_b64 s[0:1], s[0:1]
	s_cbranch_execz .LBB42_186
; %bb.185:
	v_mov_b32_e32 v101, 8
	s_waitcnt vmcnt(12)
	ds_write2_b64 v100, v[48:49], v[50:51] offset0:18 offset1:19
	s_waitcnt vmcnt(11)
	ds_write2_b64 v100, v[40:41], v[42:43] offset0:20 offset1:21
	;; [unrolled: 2-line block ×13, first 2 shown]
.LBB42_186:
	s_or_b64 exec, exec, s[0:1]
	v_cmp_lt_i32_e32 vcc, 8, v101
	s_waitcnt lgkmcnt(0)
	s_barrier
	s_and_saveexec_b64 s[0:1], vcc
	s_cbranch_execz .LBB42_188
; %bb.187:
	ds_read2_b64 v[104:107], v100 offset0:18 offset1:19
	v_mul_f64 v[98:99], v[88:89], v[58:59]
	v_fmac_f64_e32 v[98:99], v[90:91], v[56:57]
	v_mul_f64 v[58:59], v[90:91], v[58:59]
	v_fma_f64 v[56:57], v[88:89], v[56:57], -v[58:59]
	ds_read2_b64 v[88:91], v100 offset0:20 offset1:21
	s_waitcnt lgkmcnt(1)
	v_mul_f64 v[58:59], v[106:107], v[98:99]
	v_fma_f64 v[58:59], v[104:105], v[56:57], -v[58:59]
	v_mul_f64 v[104:105], v[104:105], v[98:99]
	v_fmac_f64_e32 v[104:105], v[106:107], v[56:57]
	s_waitcnt vmcnt(12)
	v_add_f64 v[50:51], v[50:51], -v[104:105]
	ds_read2_b64 v[104:107], v100 offset0:22 offset1:23
	v_add_f64 v[48:49], v[48:49], -v[58:59]
	s_waitcnt lgkmcnt(1)
	v_mul_f64 v[58:59], v[90:91], v[98:99]
	v_fma_f64 v[58:59], v[88:89], v[56:57], -v[58:59]
	v_mul_f64 v[88:89], v[88:89], v[98:99]
	v_fmac_f64_e32 v[88:89], v[90:91], v[56:57]
	s_waitcnt vmcnt(11)
	v_add_f64 v[40:41], v[40:41], -v[58:59]
	v_add_f64 v[42:43], v[42:43], -v[88:89]
	ds_read2_b64 v[88:91], v100 offset0:24 offset1:25
	s_waitcnt lgkmcnt(1)
	v_mul_f64 v[58:59], v[106:107], v[98:99]
	v_fma_f64 v[58:59], v[104:105], v[56:57], -v[58:59]
	v_mul_f64 v[104:105], v[104:105], v[98:99]
	v_fmac_f64_e32 v[104:105], v[106:107], v[56:57]
	s_waitcnt vmcnt(10)
	v_add_f64 v[38:39], v[38:39], -v[104:105]
	ds_read2_b64 v[104:107], v100 offset0:26 offset1:27
	v_add_f64 v[36:37], v[36:37], -v[58:59]
	s_waitcnt lgkmcnt(1)
	v_mul_f64 v[58:59], v[90:91], v[98:99]
	v_fma_f64 v[58:59], v[88:89], v[56:57], -v[58:59]
	v_mul_f64 v[88:89], v[88:89], v[98:99]
	v_fmac_f64_e32 v[88:89], v[90:91], v[56:57]
	s_waitcnt vmcnt(9)
	v_add_f64 v[32:33], v[32:33], -v[58:59]
	v_add_f64 v[34:35], v[34:35], -v[88:89]
	;; [unrolled: 18-line block ×6, first 2 shown]
	s_waitcnt lgkmcnt(0)
	v_mul_f64 v[58:59], v[106:107], v[98:99]
	v_mul_f64 v[88:89], v[104:105], v[98:99]
	v_fma_f64 v[58:59], v[104:105], v[56:57], -v[58:59]
	v_fmac_f64_e32 v[88:89], v[106:107], v[56:57]
	s_waitcnt vmcnt(0)
	v_add_f64 v[84:85], v[84:85], -v[58:59]
	v_add_f64 v[86:87], v[86:87], -v[88:89]
	v_mov_b64_e32 v[58:59], v[98:99]
.LBB42_188:
	s_or_b64 exec, exec, s[0:1]
	v_lshl_add_u32 v88, v101, 4, v100
	s_barrier
	s_waitcnt vmcnt(12)
	ds_write2_b64 v88, v[48:49], v[50:51] offset1:1
	s_waitcnt lgkmcnt(0)
	s_barrier
	ds_read2_b64 v[88:91], v100 offset0:18 offset1:19
	s_cmp_lt_i32 s20, 11
	v_mov_b32_e32 v98, 9
	s_cbranch_scc1 .LBB42_191
; %bb.189:
	v_add_u32_e32 v99, 0xa0, v100
	s_mov_b32 s16, 10
	v_mov_b32_e32 v98, 9
.LBB42_190:                             ; =>This Inner Loop Header: Depth=1
	ds_read2_b64 v[104:107], v99 offset1:1
	s_waitcnt lgkmcnt(1)
	v_xor_b32_e32 v109, 0x80000000, v89
	v_xor_b32_e32 v111, 0x80000000, v91
	v_cmp_gt_f64_e32 vcc, 0, v[90:91]
	v_cmp_gt_f64_e64 s[0:1], 0, v[88:89]
	v_mov_b32_e32 v108, v88
	v_mov_b32_e32 v110, v90
	v_cndmask_b32_e64 v109, v89, v109, s[0:1]
	v_cndmask_b32_e32 v111, v91, v111, vcc
	v_add_f64 v[108:109], v[108:109], v[110:111]
	s_waitcnt lgkmcnt(0)
	v_xor_b32_e32 v111, 0x80000000, v105
	v_xor_b32_e32 v113, 0x80000000, v107
	v_cmp_gt_f64_e32 vcc, 0, v[106:107]
	v_cmp_gt_f64_e64 s[0:1], 0, v[104:105]
	v_mov_b32_e32 v110, v104
	v_mov_b32_e32 v112, v106
	v_cndmask_b32_e64 v111, v105, v111, s[0:1]
	v_cndmask_b32_e32 v113, v107, v113, vcc
	v_add_f64 v[110:111], v[110:111], v[112:113]
	v_mov_b32_e32 v114, s16
	s_add_i32 s16, s16, 1
	v_cmp_lt_f64_e32 vcc, v[108:109], v[110:111]
	v_add_u32_e32 v99, 16, v99
	s_cmp_lg_u32 s20, s16
	v_cndmask_b32_e32 v89, v89, v105, vcc
	v_cndmask_b32_e32 v88, v88, v104, vcc
	;; [unrolled: 1-line block ×5, first 2 shown]
	s_cbranch_scc1 .LBB42_190
.LBB42_191:
	s_waitcnt lgkmcnt(0)
	v_cmp_eq_f64_e32 vcc, 0, v[88:89]
	v_cmp_eq_f64_e64 s[0:1], 0, v[90:91]
	s_and_b64 s[0:1], vcc, s[0:1]
	s_and_saveexec_b64 s[16:17], s[0:1]
	s_xor_b64 s[0:1], exec, s[16:17]
; %bb.192:
	v_cmp_ne_u32_e32 vcc, 0, v103
	s_nop 1
	v_cndmask_b32_e32 v103, 10, v103, vcc
; %bb.193:
	s_andn2_saveexec_b64 s[0:1], s[0:1]
	s_cbranch_execz .LBB42_199
; %bb.194:
	v_cmp_ngt_f64_e64 s[16:17], |v[88:89]|, |v[90:91]|
	s_and_saveexec_b64 s[18:19], s[16:17]
	s_xor_b64 s[16:17], exec, s[18:19]
	s_cbranch_execz .LBB42_196
; %bb.195:
	v_div_scale_f64 v[104:105], s[18:19], v[90:91], v[90:91], v[88:89]
	v_rcp_f64_e32 v[106:107], v[104:105]
	v_div_scale_f64 v[108:109], vcc, v[88:89], v[90:91], v[88:89]
	v_fma_f64 v[110:111], -v[104:105], v[106:107], 1.0
	v_fmac_f64_e32 v[106:107], v[106:107], v[110:111]
	v_fma_f64 v[110:111], -v[104:105], v[106:107], 1.0
	v_fmac_f64_e32 v[106:107], v[106:107], v[110:111]
	v_mul_f64 v[110:111], v[108:109], v[106:107]
	v_fma_f64 v[104:105], -v[104:105], v[110:111], v[108:109]
	v_div_fmas_f64 v[104:105], v[104:105], v[106:107], v[110:111]
	v_div_fixup_f64 v[104:105], v[104:105], v[90:91], v[88:89]
	v_fmac_f64_e32 v[90:91], v[88:89], v[104:105]
	v_div_scale_f64 v[88:89], s[18:19], v[90:91], v[90:91], 1.0
	v_rcp_f64_e32 v[106:107], v[88:89]
	s_nop 0
	v_fma_f64 v[108:109], -v[88:89], v[106:107], 1.0
	v_fmac_f64_e32 v[106:107], v[106:107], v[108:109]
	v_fma_f64 v[108:109], -v[88:89], v[106:107], 1.0
	v_fmac_f64_e32 v[106:107], v[106:107], v[108:109]
	v_div_scale_f64 v[108:109], vcc, 1.0, v[90:91], 1.0
	v_mul_f64 v[110:111], v[108:109], v[106:107]
	v_fma_f64 v[88:89], -v[88:89], v[110:111], v[108:109]
	s_nop 1
	v_div_fmas_f64 v[88:89], v[88:89], v[106:107], v[110:111]
	v_div_fixup_f64 v[90:91], v[88:89], v[90:91], 1.0
	v_mul_f64 v[88:89], v[104:105], v[90:91]
	v_xor_b32_e32 v91, 0x80000000, v91
.LBB42_196:
	s_andn2_saveexec_b64 s[16:17], s[16:17]
	s_cbranch_execz .LBB42_198
; %bb.197:
	v_div_scale_f64 v[104:105], s[18:19], v[88:89], v[88:89], v[90:91]
	v_rcp_f64_e32 v[106:107], v[104:105]
	v_div_scale_f64 v[108:109], vcc, v[90:91], v[88:89], v[90:91]
	v_fma_f64 v[110:111], -v[104:105], v[106:107], 1.0
	v_fmac_f64_e32 v[106:107], v[106:107], v[110:111]
	v_fma_f64 v[110:111], -v[104:105], v[106:107], 1.0
	v_fmac_f64_e32 v[106:107], v[106:107], v[110:111]
	v_mul_f64 v[110:111], v[108:109], v[106:107]
	v_fma_f64 v[104:105], -v[104:105], v[110:111], v[108:109]
	v_div_fmas_f64 v[104:105], v[104:105], v[106:107], v[110:111]
	v_div_fixup_f64 v[104:105], v[104:105], v[88:89], v[90:91]
	v_fmac_f64_e32 v[88:89], v[90:91], v[104:105]
	v_div_scale_f64 v[90:91], s[18:19], v[88:89], v[88:89], 1.0
	v_rcp_f64_e32 v[106:107], v[90:91]
	s_nop 0
	v_fma_f64 v[108:109], -v[90:91], v[106:107], 1.0
	v_fmac_f64_e32 v[106:107], v[106:107], v[108:109]
	v_fma_f64 v[108:109], -v[90:91], v[106:107], 1.0
	v_fmac_f64_e32 v[106:107], v[106:107], v[108:109]
	v_div_scale_f64 v[108:109], vcc, 1.0, v[88:89], 1.0
	v_mul_f64 v[110:111], v[108:109], v[106:107]
	v_fma_f64 v[90:91], -v[90:91], v[110:111], v[108:109]
	s_nop 1
	v_div_fmas_f64 v[90:91], v[90:91], v[106:107], v[110:111]
	v_div_fixup_f64 v[88:89], v[90:91], v[88:89], 1.0
	v_mul_f64 v[90:91], v[104:105], -v[88:89]
.LBB42_198:
	s_or_b64 exec, exec, s[16:17]
.LBB42_199:
	s_or_b64 exec, exec, s[0:1]
	v_cmp_ne_u32_e32 vcc, v101, v98
	s_and_saveexec_b64 s[0:1], vcc
	s_xor_b64 s[0:1], exec, s[0:1]
	s_cbranch_execz .LBB42_205
; %bb.200:
	v_cmp_eq_u32_e32 vcc, 9, v101
	s_and_saveexec_b64 s[16:17], vcc
	s_cbranch_execz .LBB42_204
; %bb.201:
	v_cmp_ne_u32_e32 vcc, 9, v98
	s_xor_b64 s[18:19], s[14:15], -1
	s_and_b64 s[22:23], s[18:19], vcc
	s_and_saveexec_b64 s[18:19], s[22:23]
	s_cbranch_execz .LBB42_203
; %bb.202:
	v_ashrrev_i32_e32 v99, 31, v98
	v_lshl_add_u64 v[104:105], v[98:99], 2, v[96:97]
	global_load_dword v99, v[104:105], off
	global_load_dword v101, v[96:97], off offset:36
	s_waitcnt vmcnt(1)
	global_store_dword v[96:97], v99, off offset:36
	s_waitcnt vmcnt(1)
	global_store_dword v[104:105], v101, off
.LBB42_203:
	s_or_b64 exec, exec, s[18:19]
	v_mov_b32_e32 v101, v98
	v_mov_b32_e32 v102, v98
.LBB42_204:
	s_or_b64 exec, exec, s[16:17]
.LBB42_205:
	s_andn2_saveexec_b64 s[0:1], s[0:1]
	s_cbranch_execz .LBB42_207
; %bb.206:
	v_mov_b32_e32 v101, 9
	s_waitcnt vmcnt(11)
	ds_write2_b64 v100, v[40:41], v[42:43] offset0:20 offset1:21
	s_waitcnt vmcnt(10)
	ds_write2_b64 v100, v[36:37], v[38:39] offset0:22 offset1:23
	s_waitcnt vmcnt(9)
	ds_write2_b64 v100, v[32:33], v[34:35] offset0:24 offset1:25
	s_waitcnt vmcnt(8)
	ds_write2_b64 v100, v[28:29], v[30:31] offset0:26 offset1:27
	s_waitcnt vmcnt(7)
	ds_write2_b64 v100, v[24:25], v[26:27] offset0:28 offset1:29
	s_waitcnt vmcnt(6)
	ds_write2_b64 v100, v[20:21], v[22:23] offset0:30 offset1:31
	s_waitcnt vmcnt(5)
	ds_write2_b64 v100, v[16:17], v[18:19] offset0:32 offset1:33
	s_waitcnt vmcnt(4)
	ds_write2_b64 v100, v[12:13], v[14:15] offset0:34 offset1:35
	s_waitcnt vmcnt(3)
	ds_write2_b64 v100, v[4:5], v[6:7] offset0:36 offset1:37
	s_waitcnt vmcnt(2)
	ds_write2_b64 v100, v[8:9], v[10:11] offset0:38 offset1:39
	s_waitcnt vmcnt(1)
	ds_write2_b64 v100, v[0:1], v[2:3] offset0:40 offset1:41
	s_waitcnt vmcnt(0)
	ds_write2_b64 v100, v[84:85], v[86:87] offset0:42 offset1:43
.LBB42_207:
	s_or_b64 exec, exec, s[0:1]
	v_cmp_lt_i32_e32 vcc, 9, v101
	s_waitcnt lgkmcnt(0)
	s_barrier
	s_and_saveexec_b64 s[0:1], vcc
	s_cbranch_execz .LBB42_209
; %bb.208:
	ds_read2_b64 v[104:107], v100 offset0:20 offset1:21
	v_mul_f64 v[98:99], v[88:89], v[50:51]
	v_mul_f64 v[50:51], v[90:91], v[50:51]
	v_fmac_f64_e32 v[98:99], v[90:91], v[48:49]
	v_fma_f64 v[48:49], v[88:89], v[48:49], -v[50:51]
	ds_read2_b64 v[88:91], v100 offset0:22 offset1:23
	s_waitcnt lgkmcnt(1)
	v_mul_f64 v[50:51], v[106:107], v[98:99]
	v_fma_f64 v[50:51], v[104:105], v[48:49], -v[50:51]
	v_mul_f64 v[104:105], v[104:105], v[98:99]
	v_fmac_f64_e32 v[104:105], v[106:107], v[48:49]
	s_waitcnt vmcnt(11)
	v_add_f64 v[40:41], v[40:41], -v[50:51]
	s_waitcnt lgkmcnt(0)
	v_mul_f64 v[50:51], v[90:91], v[98:99]
	v_add_f64 v[42:43], v[42:43], -v[104:105]
	v_fma_f64 v[50:51], v[88:89], v[48:49], -v[50:51]
	v_mul_f64 v[88:89], v[88:89], v[98:99]
	ds_read2_b64 v[104:107], v100 offset0:24 offset1:25
	v_fmac_f64_e32 v[88:89], v[90:91], v[48:49]
	s_waitcnt vmcnt(10)
	v_add_f64 v[38:39], v[38:39], -v[88:89]
	ds_read2_b64 v[88:91], v100 offset0:26 offset1:27
	v_add_f64 v[36:37], v[36:37], -v[50:51]
	s_waitcnt lgkmcnt(1)
	v_mul_f64 v[50:51], v[106:107], v[98:99]
	v_fma_f64 v[50:51], v[104:105], v[48:49], -v[50:51]
	v_mul_f64 v[104:105], v[104:105], v[98:99]
	v_fmac_f64_e32 v[104:105], v[106:107], v[48:49]
	s_waitcnt vmcnt(9)
	v_add_f64 v[32:33], v[32:33], -v[50:51]
	s_waitcnt lgkmcnt(0)
	v_mul_f64 v[50:51], v[90:91], v[98:99]
	v_add_f64 v[34:35], v[34:35], -v[104:105]
	v_fma_f64 v[50:51], v[88:89], v[48:49], -v[50:51]
	v_mul_f64 v[88:89], v[88:89], v[98:99]
	ds_read2_b64 v[104:107], v100 offset0:28 offset1:29
	v_fmac_f64_e32 v[88:89], v[90:91], v[48:49]
	s_waitcnt vmcnt(8)
	v_add_f64 v[30:31], v[30:31], -v[88:89]
	ds_read2_b64 v[88:91], v100 offset0:30 offset1:31
	v_add_f64 v[28:29], v[28:29], -v[50:51]
	;; [unrolled: 18-line block ×5, first 2 shown]
	s_waitcnt lgkmcnt(1)
	v_mul_f64 v[50:51], v[106:107], v[98:99]
	v_fma_f64 v[50:51], v[104:105], v[48:49], -v[50:51]
	s_waitcnt vmcnt(1)
	v_add_f64 v[0:1], v[0:1], -v[50:51]
	s_waitcnt lgkmcnt(0)
	v_mul_f64 v[50:51], v[90:91], v[98:99]
	v_mul_f64 v[104:105], v[104:105], v[98:99]
	v_fma_f64 v[50:51], v[88:89], v[48:49], -v[50:51]
	v_mul_f64 v[88:89], v[88:89], v[98:99]
	v_fmac_f64_e32 v[104:105], v[106:107], v[48:49]
	v_fmac_f64_e32 v[88:89], v[90:91], v[48:49]
	v_add_f64 v[2:3], v[2:3], -v[104:105]
	s_waitcnt vmcnt(0)
	v_add_f64 v[84:85], v[84:85], -v[50:51]
	v_add_f64 v[86:87], v[86:87], -v[88:89]
	v_mov_b64_e32 v[50:51], v[98:99]
.LBB42_209:
	s_or_b64 exec, exec, s[0:1]
	v_lshl_add_u32 v88, v101, 4, v100
	s_barrier
	s_waitcnt vmcnt(11)
	ds_write2_b64 v88, v[40:41], v[42:43] offset1:1
	s_waitcnt lgkmcnt(0)
	s_barrier
	ds_read2_b64 v[88:91], v100 offset0:20 offset1:21
	s_cmp_lt_i32 s20, 12
	v_mov_b32_e32 v98, 10
	s_cbranch_scc1 .LBB42_212
; %bb.210:
	v_add_u32_e32 v99, 0xb0, v100
	s_mov_b32 s16, 11
	v_mov_b32_e32 v98, 10
.LBB42_211:                             ; =>This Inner Loop Header: Depth=1
	ds_read2_b64 v[104:107], v99 offset1:1
	s_waitcnt lgkmcnt(1)
	v_xor_b32_e32 v109, 0x80000000, v89
	v_xor_b32_e32 v111, 0x80000000, v91
	v_cmp_gt_f64_e32 vcc, 0, v[90:91]
	v_cmp_gt_f64_e64 s[0:1], 0, v[88:89]
	v_mov_b32_e32 v108, v88
	v_mov_b32_e32 v110, v90
	v_cndmask_b32_e64 v109, v89, v109, s[0:1]
	v_cndmask_b32_e32 v111, v91, v111, vcc
	v_add_f64 v[108:109], v[108:109], v[110:111]
	s_waitcnt lgkmcnt(0)
	v_xor_b32_e32 v111, 0x80000000, v105
	v_xor_b32_e32 v113, 0x80000000, v107
	v_cmp_gt_f64_e32 vcc, 0, v[106:107]
	v_cmp_gt_f64_e64 s[0:1], 0, v[104:105]
	v_mov_b32_e32 v110, v104
	v_mov_b32_e32 v112, v106
	v_cndmask_b32_e64 v111, v105, v111, s[0:1]
	v_cndmask_b32_e32 v113, v107, v113, vcc
	v_add_f64 v[110:111], v[110:111], v[112:113]
	v_mov_b32_e32 v114, s16
	s_add_i32 s16, s16, 1
	v_cmp_lt_f64_e32 vcc, v[108:109], v[110:111]
	v_add_u32_e32 v99, 16, v99
	s_cmp_lg_u32 s20, s16
	v_cndmask_b32_e32 v89, v89, v105, vcc
	v_cndmask_b32_e32 v88, v88, v104, vcc
	;; [unrolled: 1-line block ×5, first 2 shown]
	s_cbranch_scc1 .LBB42_211
.LBB42_212:
	s_waitcnt lgkmcnt(0)
	v_cmp_eq_f64_e32 vcc, 0, v[88:89]
	v_cmp_eq_f64_e64 s[0:1], 0, v[90:91]
	s_and_b64 s[0:1], vcc, s[0:1]
	s_and_saveexec_b64 s[16:17], s[0:1]
	s_xor_b64 s[0:1], exec, s[16:17]
; %bb.213:
	v_cmp_ne_u32_e32 vcc, 0, v103
	s_nop 1
	v_cndmask_b32_e32 v103, 11, v103, vcc
; %bb.214:
	s_andn2_saveexec_b64 s[0:1], s[0:1]
	s_cbranch_execz .LBB42_220
; %bb.215:
	v_cmp_ngt_f64_e64 s[16:17], |v[88:89]|, |v[90:91]|
	s_and_saveexec_b64 s[18:19], s[16:17]
	s_xor_b64 s[16:17], exec, s[18:19]
	s_cbranch_execz .LBB42_217
; %bb.216:
	v_div_scale_f64 v[104:105], s[18:19], v[90:91], v[90:91], v[88:89]
	v_rcp_f64_e32 v[106:107], v[104:105]
	v_div_scale_f64 v[108:109], vcc, v[88:89], v[90:91], v[88:89]
	v_fma_f64 v[110:111], -v[104:105], v[106:107], 1.0
	v_fmac_f64_e32 v[106:107], v[106:107], v[110:111]
	v_fma_f64 v[110:111], -v[104:105], v[106:107], 1.0
	v_fmac_f64_e32 v[106:107], v[106:107], v[110:111]
	v_mul_f64 v[110:111], v[108:109], v[106:107]
	v_fma_f64 v[104:105], -v[104:105], v[110:111], v[108:109]
	v_div_fmas_f64 v[104:105], v[104:105], v[106:107], v[110:111]
	v_div_fixup_f64 v[104:105], v[104:105], v[90:91], v[88:89]
	v_fmac_f64_e32 v[90:91], v[88:89], v[104:105]
	v_div_scale_f64 v[88:89], s[18:19], v[90:91], v[90:91], 1.0
	v_rcp_f64_e32 v[106:107], v[88:89]
	s_nop 0
	v_fma_f64 v[108:109], -v[88:89], v[106:107], 1.0
	v_fmac_f64_e32 v[106:107], v[106:107], v[108:109]
	v_fma_f64 v[108:109], -v[88:89], v[106:107], 1.0
	v_fmac_f64_e32 v[106:107], v[106:107], v[108:109]
	v_div_scale_f64 v[108:109], vcc, 1.0, v[90:91], 1.0
	v_mul_f64 v[110:111], v[108:109], v[106:107]
	v_fma_f64 v[88:89], -v[88:89], v[110:111], v[108:109]
	s_nop 1
	v_div_fmas_f64 v[88:89], v[88:89], v[106:107], v[110:111]
	v_div_fixup_f64 v[90:91], v[88:89], v[90:91], 1.0
	v_mul_f64 v[88:89], v[104:105], v[90:91]
	v_xor_b32_e32 v91, 0x80000000, v91
.LBB42_217:
	s_andn2_saveexec_b64 s[16:17], s[16:17]
	s_cbranch_execz .LBB42_219
; %bb.218:
	v_div_scale_f64 v[104:105], s[18:19], v[88:89], v[88:89], v[90:91]
	v_rcp_f64_e32 v[106:107], v[104:105]
	v_div_scale_f64 v[108:109], vcc, v[90:91], v[88:89], v[90:91]
	v_fma_f64 v[110:111], -v[104:105], v[106:107], 1.0
	v_fmac_f64_e32 v[106:107], v[106:107], v[110:111]
	v_fma_f64 v[110:111], -v[104:105], v[106:107], 1.0
	v_fmac_f64_e32 v[106:107], v[106:107], v[110:111]
	v_mul_f64 v[110:111], v[108:109], v[106:107]
	v_fma_f64 v[104:105], -v[104:105], v[110:111], v[108:109]
	v_div_fmas_f64 v[104:105], v[104:105], v[106:107], v[110:111]
	v_div_fixup_f64 v[104:105], v[104:105], v[88:89], v[90:91]
	v_fmac_f64_e32 v[88:89], v[90:91], v[104:105]
	v_div_scale_f64 v[90:91], s[18:19], v[88:89], v[88:89], 1.0
	v_rcp_f64_e32 v[106:107], v[90:91]
	s_nop 0
	v_fma_f64 v[108:109], -v[90:91], v[106:107], 1.0
	v_fmac_f64_e32 v[106:107], v[106:107], v[108:109]
	v_fma_f64 v[108:109], -v[90:91], v[106:107], 1.0
	v_fmac_f64_e32 v[106:107], v[106:107], v[108:109]
	v_div_scale_f64 v[108:109], vcc, 1.0, v[88:89], 1.0
	v_mul_f64 v[110:111], v[108:109], v[106:107]
	v_fma_f64 v[90:91], -v[90:91], v[110:111], v[108:109]
	s_nop 1
	v_div_fmas_f64 v[90:91], v[90:91], v[106:107], v[110:111]
	v_div_fixup_f64 v[88:89], v[90:91], v[88:89], 1.0
	v_mul_f64 v[90:91], v[104:105], -v[88:89]
.LBB42_219:
	s_or_b64 exec, exec, s[16:17]
.LBB42_220:
	s_or_b64 exec, exec, s[0:1]
	v_cmp_ne_u32_e32 vcc, v101, v98
	s_and_saveexec_b64 s[0:1], vcc
	s_xor_b64 s[0:1], exec, s[0:1]
	s_cbranch_execz .LBB42_226
; %bb.221:
	v_cmp_eq_u32_e32 vcc, 10, v101
	s_and_saveexec_b64 s[16:17], vcc
	s_cbranch_execz .LBB42_225
; %bb.222:
	v_cmp_ne_u32_e32 vcc, 10, v98
	s_xor_b64 s[18:19], s[14:15], -1
	s_and_b64 s[22:23], s[18:19], vcc
	s_and_saveexec_b64 s[18:19], s[22:23]
	s_cbranch_execz .LBB42_224
; %bb.223:
	v_ashrrev_i32_e32 v99, 31, v98
	v_lshl_add_u64 v[104:105], v[98:99], 2, v[96:97]
	global_load_dword v99, v[104:105], off
	global_load_dword v101, v[96:97], off offset:40
	s_waitcnt vmcnt(1)
	global_store_dword v[96:97], v99, off offset:40
	s_waitcnt vmcnt(1)
	global_store_dword v[104:105], v101, off
.LBB42_224:
	s_or_b64 exec, exec, s[18:19]
	v_mov_b32_e32 v101, v98
	v_mov_b32_e32 v102, v98
.LBB42_225:
	s_or_b64 exec, exec, s[16:17]
.LBB42_226:
	s_andn2_saveexec_b64 s[0:1], s[0:1]
	s_cbranch_execz .LBB42_228
; %bb.227:
	v_mov_b32_e32 v101, 10
	s_waitcnt vmcnt(10)
	ds_write2_b64 v100, v[36:37], v[38:39] offset0:22 offset1:23
	s_waitcnt vmcnt(9)
	ds_write2_b64 v100, v[32:33], v[34:35] offset0:24 offset1:25
	;; [unrolled: 2-line block ×11, first 2 shown]
.LBB42_228:
	s_or_b64 exec, exec, s[0:1]
	v_cmp_lt_i32_e32 vcc, 10, v101
	s_waitcnt lgkmcnt(0)
	s_barrier
	s_and_saveexec_b64 s[0:1], vcc
	s_cbranch_execz .LBB42_230
; %bb.229:
	ds_read2_b64 v[104:107], v100 offset0:22 offset1:23
	v_mul_f64 v[98:99], v[88:89], v[42:43]
	v_fmac_f64_e32 v[98:99], v[90:91], v[40:41]
	v_mul_f64 v[42:43], v[90:91], v[42:43]
	v_fma_f64 v[40:41], v[88:89], v[40:41], -v[42:43]
	ds_read2_b64 v[88:91], v100 offset0:24 offset1:25
	s_waitcnt lgkmcnt(1)
	v_mul_f64 v[42:43], v[106:107], v[98:99]
	v_fma_f64 v[42:43], v[104:105], v[40:41], -v[42:43]
	v_mul_f64 v[104:105], v[104:105], v[98:99]
	v_fmac_f64_e32 v[104:105], v[106:107], v[40:41]
	s_waitcnt vmcnt(10)
	v_add_f64 v[38:39], v[38:39], -v[104:105]
	ds_read2_b64 v[104:107], v100 offset0:26 offset1:27
	v_add_f64 v[36:37], v[36:37], -v[42:43]
	s_waitcnt lgkmcnt(1)
	v_mul_f64 v[42:43], v[90:91], v[98:99]
	v_fma_f64 v[42:43], v[88:89], v[40:41], -v[42:43]
	v_mul_f64 v[88:89], v[88:89], v[98:99]
	v_fmac_f64_e32 v[88:89], v[90:91], v[40:41]
	s_waitcnt vmcnt(9)
	v_add_f64 v[32:33], v[32:33], -v[42:43]
	v_add_f64 v[34:35], v[34:35], -v[88:89]
	ds_read2_b64 v[88:91], v100 offset0:28 offset1:29
	s_waitcnt lgkmcnt(1)
	v_mul_f64 v[42:43], v[106:107], v[98:99]
	v_fma_f64 v[42:43], v[104:105], v[40:41], -v[42:43]
	v_mul_f64 v[104:105], v[104:105], v[98:99]
	v_fmac_f64_e32 v[104:105], v[106:107], v[40:41]
	s_waitcnt vmcnt(8)
	v_add_f64 v[30:31], v[30:31], -v[104:105]
	ds_read2_b64 v[104:107], v100 offset0:30 offset1:31
	v_add_f64 v[28:29], v[28:29], -v[42:43]
	s_waitcnt lgkmcnt(1)
	v_mul_f64 v[42:43], v[90:91], v[98:99]
	v_fma_f64 v[42:43], v[88:89], v[40:41], -v[42:43]
	v_mul_f64 v[88:89], v[88:89], v[98:99]
	v_fmac_f64_e32 v[88:89], v[90:91], v[40:41]
	s_waitcnt vmcnt(7)
	v_add_f64 v[24:25], v[24:25], -v[42:43]
	v_add_f64 v[26:27], v[26:27], -v[88:89]
	;; [unrolled: 18-line block ×5, first 2 shown]
	s_waitcnt lgkmcnt(0)
	v_mul_f64 v[42:43], v[106:107], v[98:99]
	v_mul_f64 v[88:89], v[104:105], v[98:99]
	v_fma_f64 v[42:43], v[104:105], v[40:41], -v[42:43]
	v_fmac_f64_e32 v[88:89], v[106:107], v[40:41]
	s_waitcnt vmcnt(0)
	v_add_f64 v[84:85], v[84:85], -v[42:43]
	v_add_f64 v[86:87], v[86:87], -v[88:89]
	v_mov_b64_e32 v[42:43], v[98:99]
.LBB42_230:
	s_or_b64 exec, exec, s[0:1]
	v_lshl_add_u32 v88, v101, 4, v100
	s_barrier
	s_waitcnt vmcnt(10)
	ds_write2_b64 v88, v[36:37], v[38:39] offset1:1
	s_waitcnt lgkmcnt(0)
	s_barrier
	ds_read2_b64 v[88:91], v100 offset0:22 offset1:23
	s_cmp_lt_i32 s20, 13
	v_mov_b32_e32 v98, 11
	s_cbranch_scc1 .LBB42_233
; %bb.231:
	v_add_u32_e32 v99, 0xc0, v100
	s_mov_b32 s16, 12
	v_mov_b32_e32 v98, 11
.LBB42_232:                             ; =>This Inner Loop Header: Depth=1
	ds_read2_b64 v[104:107], v99 offset1:1
	s_waitcnt lgkmcnt(1)
	v_xor_b32_e32 v109, 0x80000000, v89
	v_xor_b32_e32 v111, 0x80000000, v91
	v_cmp_gt_f64_e32 vcc, 0, v[90:91]
	v_cmp_gt_f64_e64 s[0:1], 0, v[88:89]
	v_mov_b32_e32 v108, v88
	v_mov_b32_e32 v110, v90
	v_cndmask_b32_e64 v109, v89, v109, s[0:1]
	v_cndmask_b32_e32 v111, v91, v111, vcc
	v_add_f64 v[108:109], v[108:109], v[110:111]
	s_waitcnt lgkmcnt(0)
	v_xor_b32_e32 v111, 0x80000000, v105
	v_xor_b32_e32 v113, 0x80000000, v107
	v_cmp_gt_f64_e32 vcc, 0, v[106:107]
	v_cmp_gt_f64_e64 s[0:1], 0, v[104:105]
	v_mov_b32_e32 v110, v104
	v_mov_b32_e32 v112, v106
	v_cndmask_b32_e64 v111, v105, v111, s[0:1]
	v_cndmask_b32_e32 v113, v107, v113, vcc
	v_add_f64 v[110:111], v[110:111], v[112:113]
	v_mov_b32_e32 v114, s16
	s_add_i32 s16, s16, 1
	v_cmp_lt_f64_e32 vcc, v[108:109], v[110:111]
	v_add_u32_e32 v99, 16, v99
	s_cmp_lg_u32 s20, s16
	v_cndmask_b32_e32 v89, v89, v105, vcc
	v_cndmask_b32_e32 v88, v88, v104, vcc
	;; [unrolled: 1-line block ×5, first 2 shown]
	s_cbranch_scc1 .LBB42_232
.LBB42_233:
	s_waitcnt lgkmcnt(0)
	v_cmp_eq_f64_e32 vcc, 0, v[88:89]
	v_cmp_eq_f64_e64 s[0:1], 0, v[90:91]
	s_and_b64 s[0:1], vcc, s[0:1]
	s_and_saveexec_b64 s[16:17], s[0:1]
	s_xor_b64 s[0:1], exec, s[16:17]
; %bb.234:
	v_cmp_ne_u32_e32 vcc, 0, v103
	s_nop 1
	v_cndmask_b32_e32 v103, 12, v103, vcc
; %bb.235:
	s_andn2_saveexec_b64 s[0:1], s[0:1]
	s_cbranch_execz .LBB42_241
; %bb.236:
	v_cmp_ngt_f64_e64 s[16:17], |v[88:89]|, |v[90:91]|
	s_and_saveexec_b64 s[18:19], s[16:17]
	s_xor_b64 s[16:17], exec, s[18:19]
	s_cbranch_execz .LBB42_238
; %bb.237:
	v_div_scale_f64 v[104:105], s[18:19], v[90:91], v[90:91], v[88:89]
	v_rcp_f64_e32 v[106:107], v[104:105]
	v_div_scale_f64 v[108:109], vcc, v[88:89], v[90:91], v[88:89]
	v_fma_f64 v[110:111], -v[104:105], v[106:107], 1.0
	v_fmac_f64_e32 v[106:107], v[106:107], v[110:111]
	v_fma_f64 v[110:111], -v[104:105], v[106:107], 1.0
	v_fmac_f64_e32 v[106:107], v[106:107], v[110:111]
	v_mul_f64 v[110:111], v[108:109], v[106:107]
	v_fma_f64 v[104:105], -v[104:105], v[110:111], v[108:109]
	v_div_fmas_f64 v[104:105], v[104:105], v[106:107], v[110:111]
	v_div_fixup_f64 v[104:105], v[104:105], v[90:91], v[88:89]
	v_fmac_f64_e32 v[90:91], v[88:89], v[104:105]
	v_div_scale_f64 v[88:89], s[18:19], v[90:91], v[90:91], 1.0
	v_rcp_f64_e32 v[106:107], v[88:89]
	s_nop 0
	v_fma_f64 v[108:109], -v[88:89], v[106:107], 1.0
	v_fmac_f64_e32 v[106:107], v[106:107], v[108:109]
	v_fma_f64 v[108:109], -v[88:89], v[106:107], 1.0
	v_fmac_f64_e32 v[106:107], v[106:107], v[108:109]
	v_div_scale_f64 v[108:109], vcc, 1.0, v[90:91], 1.0
	v_mul_f64 v[110:111], v[108:109], v[106:107]
	v_fma_f64 v[88:89], -v[88:89], v[110:111], v[108:109]
	s_nop 1
	v_div_fmas_f64 v[88:89], v[88:89], v[106:107], v[110:111]
	v_div_fixup_f64 v[90:91], v[88:89], v[90:91], 1.0
	v_mul_f64 v[88:89], v[104:105], v[90:91]
	v_xor_b32_e32 v91, 0x80000000, v91
.LBB42_238:
	s_andn2_saveexec_b64 s[16:17], s[16:17]
	s_cbranch_execz .LBB42_240
; %bb.239:
	v_div_scale_f64 v[104:105], s[18:19], v[88:89], v[88:89], v[90:91]
	v_rcp_f64_e32 v[106:107], v[104:105]
	v_div_scale_f64 v[108:109], vcc, v[90:91], v[88:89], v[90:91]
	v_fma_f64 v[110:111], -v[104:105], v[106:107], 1.0
	v_fmac_f64_e32 v[106:107], v[106:107], v[110:111]
	v_fma_f64 v[110:111], -v[104:105], v[106:107], 1.0
	v_fmac_f64_e32 v[106:107], v[106:107], v[110:111]
	v_mul_f64 v[110:111], v[108:109], v[106:107]
	v_fma_f64 v[104:105], -v[104:105], v[110:111], v[108:109]
	v_div_fmas_f64 v[104:105], v[104:105], v[106:107], v[110:111]
	v_div_fixup_f64 v[104:105], v[104:105], v[88:89], v[90:91]
	v_fmac_f64_e32 v[88:89], v[90:91], v[104:105]
	v_div_scale_f64 v[90:91], s[18:19], v[88:89], v[88:89], 1.0
	v_rcp_f64_e32 v[106:107], v[90:91]
	s_nop 0
	v_fma_f64 v[108:109], -v[90:91], v[106:107], 1.0
	v_fmac_f64_e32 v[106:107], v[106:107], v[108:109]
	v_fma_f64 v[108:109], -v[90:91], v[106:107], 1.0
	v_fmac_f64_e32 v[106:107], v[106:107], v[108:109]
	v_div_scale_f64 v[108:109], vcc, 1.0, v[88:89], 1.0
	v_mul_f64 v[110:111], v[108:109], v[106:107]
	v_fma_f64 v[90:91], -v[90:91], v[110:111], v[108:109]
	s_nop 1
	v_div_fmas_f64 v[90:91], v[90:91], v[106:107], v[110:111]
	v_div_fixup_f64 v[88:89], v[90:91], v[88:89], 1.0
	v_mul_f64 v[90:91], v[104:105], -v[88:89]
.LBB42_240:
	s_or_b64 exec, exec, s[16:17]
.LBB42_241:
	s_or_b64 exec, exec, s[0:1]
	v_cmp_ne_u32_e32 vcc, v101, v98
	s_and_saveexec_b64 s[0:1], vcc
	s_xor_b64 s[0:1], exec, s[0:1]
	s_cbranch_execz .LBB42_247
; %bb.242:
	v_cmp_eq_u32_e32 vcc, 11, v101
	s_and_saveexec_b64 s[16:17], vcc
	s_cbranch_execz .LBB42_246
; %bb.243:
	v_cmp_ne_u32_e32 vcc, 11, v98
	s_xor_b64 s[18:19], s[14:15], -1
	s_and_b64 s[22:23], s[18:19], vcc
	s_and_saveexec_b64 s[18:19], s[22:23]
	s_cbranch_execz .LBB42_245
; %bb.244:
	v_ashrrev_i32_e32 v99, 31, v98
	v_lshl_add_u64 v[104:105], v[98:99], 2, v[96:97]
	global_load_dword v99, v[104:105], off
	global_load_dword v101, v[96:97], off offset:44
	s_waitcnt vmcnt(1)
	global_store_dword v[96:97], v99, off offset:44
	s_waitcnt vmcnt(1)
	global_store_dword v[104:105], v101, off
.LBB42_245:
	s_or_b64 exec, exec, s[18:19]
	v_mov_b32_e32 v101, v98
	v_mov_b32_e32 v102, v98
.LBB42_246:
	s_or_b64 exec, exec, s[16:17]
.LBB42_247:
	s_andn2_saveexec_b64 s[0:1], s[0:1]
	s_cbranch_execz .LBB42_249
; %bb.248:
	v_mov_b32_e32 v101, 11
	s_waitcnt vmcnt(9)
	ds_write2_b64 v100, v[32:33], v[34:35] offset0:24 offset1:25
	s_waitcnt vmcnt(8)
	ds_write2_b64 v100, v[28:29], v[30:31] offset0:26 offset1:27
	;; [unrolled: 2-line block ×10, first 2 shown]
.LBB42_249:
	s_or_b64 exec, exec, s[0:1]
	v_cmp_lt_i32_e32 vcc, 11, v101
	s_waitcnt lgkmcnt(0)
	s_barrier
	s_and_saveexec_b64 s[0:1], vcc
	s_cbranch_execz .LBB42_251
; %bb.250:
	ds_read2_b64 v[104:107], v100 offset0:24 offset1:25
	v_mul_f64 v[98:99], v[88:89], v[38:39]
	v_mul_f64 v[38:39], v[90:91], v[38:39]
	v_fmac_f64_e32 v[98:99], v[90:91], v[36:37]
	v_fma_f64 v[36:37], v[88:89], v[36:37], -v[38:39]
	ds_read2_b64 v[88:91], v100 offset0:26 offset1:27
	s_waitcnt lgkmcnt(1)
	v_mul_f64 v[38:39], v[106:107], v[98:99]
	v_fma_f64 v[38:39], v[104:105], v[36:37], -v[38:39]
	v_mul_f64 v[104:105], v[104:105], v[98:99]
	v_fmac_f64_e32 v[104:105], v[106:107], v[36:37]
	s_waitcnt vmcnt(9)
	v_add_f64 v[32:33], v[32:33], -v[38:39]
	s_waitcnt lgkmcnt(0)
	v_mul_f64 v[38:39], v[90:91], v[98:99]
	v_add_f64 v[34:35], v[34:35], -v[104:105]
	v_fma_f64 v[38:39], v[88:89], v[36:37], -v[38:39]
	v_mul_f64 v[88:89], v[88:89], v[98:99]
	ds_read2_b64 v[104:107], v100 offset0:28 offset1:29
	v_fmac_f64_e32 v[88:89], v[90:91], v[36:37]
	s_waitcnt vmcnt(8)
	v_add_f64 v[30:31], v[30:31], -v[88:89]
	ds_read2_b64 v[88:91], v100 offset0:30 offset1:31
	v_add_f64 v[28:29], v[28:29], -v[38:39]
	s_waitcnt lgkmcnt(1)
	v_mul_f64 v[38:39], v[106:107], v[98:99]
	v_fma_f64 v[38:39], v[104:105], v[36:37], -v[38:39]
	v_mul_f64 v[104:105], v[104:105], v[98:99]
	v_fmac_f64_e32 v[104:105], v[106:107], v[36:37]
	s_waitcnt vmcnt(7)
	v_add_f64 v[24:25], v[24:25], -v[38:39]
	s_waitcnt lgkmcnt(0)
	v_mul_f64 v[38:39], v[90:91], v[98:99]
	v_add_f64 v[26:27], v[26:27], -v[104:105]
	v_fma_f64 v[38:39], v[88:89], v[36:37], -v[38:39]
	v_mul_f64 v[88:89], v[88:89], v[98:99]
	ds_read2_b64 v[104:107], v100 offset0:32 offset1:33
	v_fmac_f64_e32 v[88:89], v[90:91], v[36:37]
	s_waitcnt vmcnt(6)
	v_add_f64 v[22:23], v[22:23], -v[88:89]
	ds_read2_b64 v[88:91], v100 offset0:34 offset1:35
	v_add_f64 v[20:21], v[20:21], -v[38:39]
	;; [unrolled: 18-line block ×4, first 2 shown]
	s_waitcnt lgkmcnt(1)
	v_mul_f64 v[38:39], v[106:107], v[98:99]
	v_fma_f64 v[38:39], v[104:105], v[36:37], -v[38:39]
	s_waitcnt vmcnt(1)
	v_add_f64 v[0:1], v[0:1], -v[38:39]
	s_waitcnt lgkmcnt(0)
	v_mul_f64 v[38:39], v[90:91], v[98:99]
	v_mul_f64 v[104:105], v[104:105], v[98:99]
	v_fma_f64 v[38:39], v[88:89], v[36:37], -v[38:39]
	v_mul_f64 v[88:89], v[88:89], v[98:99]
	v_fmac_f64_e32 v[104:105], v[106:107], v[36:37]
	v_fmac_f64_e32 v[88:89], v[90:91], v[36:37]
	v_add_f64 v[2:3], v[2:3], -v[104:105]
	s_waitcnt vmcnt(0)
	v_add_f64 v[84:85], v[84:85], -v[38:39]
	v_add_f64 v[86:87], v[86:87], -v[88:89]
	v_mov_b64_e32 v[38:39], v[98:99]
.LBB42_251:
	s_or_b64 exec, exec, s[0:1]
	v_lshl_add_u32 v88, v101, 4, v100
	s_barrier
	s_waitcnt vmcnt(9)
	ds_write2_b64 v88, v[32:33], v[34:35] offset1:1
	s_waitcnt lgkmcnt(0)
	s_barrier
	ds_read2_b64 v[88:91], v100 offset0:24 offset1:25
	s_cmp_lt_i32 s20, 14
	v_mov_b32_e32 v98, 12
	s_cbranch_scc1 .LBB42_254
; %bb.252:
	v_add_u32_e32 v99, 0xd0, v100
	s_mov_b32 s16, 13
	v_mov_b32_e32 v98, 12
.LBB42_253:                             ; =>This Inner Loop Header: Depth=1
	ds_read2_b64 v[104:107], v99 offset1:1
	s_waitcnt lgkmcnt(1)
	v_xor_b32_e32 v109, 0x80000000, v89
	v_xor_b32_e32 v111, 0x80000000, v91
	v_cmp_gt_f64_e32 vcc, 0, v[90:91]
	v_cmp_gt_f64_e64 s[0:1], 0, v[88:89]
	v_mov_b32_e32 v108, v88
	v_mov_b32_e32 v110, v90
	v_cndmask_b32_e64 v109, v89, v109, s[0:1]
	v_cndmask_b32_e32 v111, v91, v111, vcc
	v_add_f64 v[108:109], v[108:109], v[110:111]
	s_waitcnt lgkmcnt(0)
	v_xor_b32_e32 v111, 0x80000000, v105
	v_xor_b32_e32 v113, 0x80000000, v107
	v_cmp_gt_f64_e32 vcc, 0, v[106:107]
	v_cmp_gt_f64_e64 s[0:1], 0, v[104:105]
	v_mov_b32_e32 v110, v104
	v_mov_b32_e32 v112, v106
	v_cndmask_b32_e64 v111, v105, v111, s[0:1]
	v_cndmask_b32_e32 v113, v107, v113, vcc
	v_add_f64 v[110:111], v[110:111], v[112:113]
	v_mov_b32_e32 v114, s16
	s_add_i32 s16, s16, 1
	v_cmp_lt_f64_e32 vcc, v[108:109], v[110:111]
	v_add_u32_e32 v99, 16, v99
	s_cmp_lg_u32 s20, s16
	v_cndmask_b32_e32 v89, v89, v105, vcc
	v_cndmask_b32_e32 v88, v88, v104, vcc
	;; [unrolled: 1-line block ×5, first 2 shown]
	s_cbranch_scc1 .LBB42_253
.LBB42_254:
	s_waitcnt lgkmcnt(0)
	v_cmp_eq_f64_e32 vcc, 0, v[88:89]
	v_cmp_eq_f64_e64 s[0:1], 0, v[90:91]
	s_and_b64 s[0:1], vcc, s[0:1]
	s_and_saveexec_b64 s[16:17], s[0:1]
	s_xor_b64 s[0:1], exec, s[16:17]
; %bb.255:
	v_cmp_ne_u32_e32 vcc, 0, v103
	s_nop 1
	v_cndmask_b32_e32 v103, 13, v103, vcc
; %bb.256:
	s_andn2_saveexec_b64 s[0:1], s[0:1]
	s_cbranch_execz .LBB42_262
; %bb.257:
	v_cmp_ngt_f64_e64 s[16:17], |v[88:89]|, |v[90:91]|
	s_and_saveexec_b64 s[18:19], s[16:17]
	s_xor_b64 s[16:17], exec, s[18:19]
	s_cbranch_execz .LBB42_259
; %bb.258:
	v_div_scale_f64 v[104:105], s[18:19], v[90:91], v[90:91], v[88:89]
	v_rcp_f64_e32 v[106:107], v[104:105]
	v_div_scale_f64 v[108:109], vcc, v[88:89], v[90:91], v[88:89]
	v_fma_f64 v[110:111], -v[104:105], v[106:107], 1.0
	v_fmac_f64_e32 v[106:107], v[106:107], v[110:111]
	v_fma_f64 v[110:111], -v[104:105], v[106:107], 1.0
	v_fmac_f64_e32 v[106:107], v[106:107], v[110:111]
	v_mul_f64 v[110:111], v[108:109], v[106:107]
	v_fma_f64 v[104:105], -v[104:105], v[110:111], v[108:109]
	v_div_fmas_f64 v[104:105], v[104:105], v[106:107], v[110:111]
	v_div_fixup_f64 v[104:105], v[104:105], v[90:91], v[88:89]
	v_fmac_f64_e32 v[90:91], v[88:89], v[104:105]
	v_div_scale_f64 v[88:89], s[18:19], v[90:91], v[90:91], 1.0
	v_rcp_f64_e32 v[106:107], v[88:89]
	s_nop 0
	v_fma_f64 v[108:109], -v[88:89], v[106:107], 1.0
	v_fmac_f64_e32 v[106:107], v[106:107], v[108:109]
	v_fma_f64 v[108:109], -v[88:89], v[106:107], 1.0
	v_fmac_f64_e32 v[106:107], v[106:107], v[108:109]
	v_div_scale_f64 v[108:109], vcc, 1.0, v[90:91], 1.0
	v_mul_f64 v[110:111], v[108:109], v[106:107]
	v_fma_f64 v[88:89], -v[88:89], v[110:111], v[108:109]
	s_nop 1
	v_div_fmas_f64 v[88:89], v[88:89], v[106:107], v[110:111]
	v_div_fixup_f64 v[90:91], v[88:89], v[90:91], 1.0
	v_mul_f64 v[88:89], v[104:105], v[90:91]
	v_xor_b32_e32 v91, 0x80000000, v91
.LBB42_259:
	s_andn2_saveexec_b64 s[16:17], s[16:17]
	s_cbranch_execz .LBB42_261
; %bb.260:
	v_div_scale_f64 v[104:105], s[18:19], v[88:89], v[88:89], v[90:91]
	v_rcp_f64_e32 v[106:107], v[104:105]
	v_div_scale_f64 v[108:109], vcc, v[90:91], v[88:89], v[90:91]
	v_fma_f64 v[110:111], -v[104:105], v[106:107], 1.0
	v_fmac_f64_e32 v[106:107], v[106:107], v[110:111]
	v_fma_f64 v[110:111], -v[104:105], v[106:107], 1.0
	v_fmac_f64_e32 v[106:107], v[106:107], v[110:111]
	v_mul_f64 v[110:111], v[108:109], v[106:107]
	v_fma_f64 v[104:105], -v[104:105], v[110:111], v[108:109]
	v_div_fmas_f64 v[104:105], v[104:105], v[106:107], v[110:111]
	v_div_fixup_f64 v[104:105], v[104:105], v[88:89], v[90:91]
	v_fmac_f64_e32 v[88:89], v[90:91], v[104:105]
	v_div_scale_f64 v[90:91], s[18:19], v[88:89], v[88:89], 1.0
	v_rcp_f64_e32 v[106:107], v[90:91]
	s_nop 0
	v_fma_f64 v[108:109], -v[90:91], v[106:107], 1.0
	v_fmac_f64_e32 v[106:107], v[106:107], v[108:109]
	v_fma_f64 v[108:109], -v[90:91], v[106:107], 1.0
	v_fmac_f64_e32 v[106:107], v[106:107], v[108:109]
	v_div_scale_f64 v[108:109], vcc, 1.0, v[88:89], 1.0
	v_mul_f64 v[110:111], v[108:109], v[106:107]
	v_fma_f64 v[90:91], -v[90:91], v[110:111], v[108:109]
	s_nop 1
	v_div_fmas_f64 v[90:91], v[90:91], v[106:107], v[110:111]
	v_div_fixup_f64 v[88:89], v[90:91], v[88:89], 1.0
	v_mul_f64 v[90:91], v[104:105], -v[88:89]
.LBB42_261:
	s_or_b64 exec, exec, s[16:17]
.LBB42_262:
	s_or_b64 exec, exec, s[0:1]
	v_cmp_ne_u32_e32 vcc, v101, v98
	s_and_saveexec_b64 s[0:1], vcc
	s_xor_b64 s[0:1], exec, s[0:1]
	s_cbranch_execz .LBB42_268
; %bb.263:
	v_cmp_eq_u32_e32 vcc, 12, v101
	s_and_saveexec_b64 s[16:17], vcc
	s_cbranch_execz .LBB42_267
; %bb.264:
	v_cmp_ne_u32_e32 vcc, 12, v98
	s_xor_b64 s[18:19], s[14:15], -1
	s_and_b64 s[22:23], s[18:19], vcc
	s_and_saveexec_b64 s[18:19], s[22:23]
	s_cbranch_execz .LBB42_266
; %bb.265:
	v_ashrrev_i32_e32 v99, 31, v98
	v_lshl_add_u64 v[104:105], v[98:99], 2, v[96:97]
	global_load_dword v99, v[104:105], off
	global_load_dword v101, v[96:97], off offset:48
	s_waitcnt vmcnt(1)
	global_store_dword v[96:97], v99, off offset:48
	s_waitcnt vmcnt(1)
	global_store_dword v[104:105], v101, off
.LBB42_266:
	s_or_b64 exec, exec, s[18:19]
	v_mov_b32_e32 v101, v98
	v_mov_b32_e32 v102, v98
.LBB42_267:
	s_or_b64 exec, exec, s[16:17]
.LBB42_268:
	s_andn2_saveexec_b64 s[0:1], s[0:1]
	s_cbranch_execz .LBB42_270
; %bb.269:
	v_mov_b32_e32 v101, 12
	s_waitcnt vmcnt(8)
	ds_write2_b64 v100, v[28:29], v[30:31] offset0:26 offset1:27
	s_waitcnt vmcnt(7)
	ds_write2_b64 v100, v[24:25], v[26:27] offset0:28 offset1:29
	;; [unrolled: 2-line block ×9, first 2 shown]
.LBB42_270:
	s_or_b64 exec, exec, s[0:1]
	v_cmp_lt_i32_e32 vcc, 12, v101
	s_waitcnt lgkmcnt(0)
	s_barrier
	s_and_saveexec_b64 s[0:1], vcc
	s_cbranch_execz .LBB42_272
; %bb.271:
	ds_read2_b64 v[104:107], v100 offset0:26 offset1:27
	v_mul_f64 v[98:99], v[88:89], v[34:35]
	v_fmac_f64_e32 v[98:99], v[90:91], v[32:33]
	v_mul_f64 v[34:35], v[90:91], v[34:35]
	v_fma_f64 v[32:33], v[88:89], v[32:33], -v[34:35]
	ds_read2_b64 v[88:91], v100 offset0:28 offset1:29
	s_waitcnt lgkmcnt(1)
	v_mul_f64 v[34:35], v[106:107], v[98:99]
	v_fma_f64 v[34:35], v[104:105], v[32:33], -v[34:35]
	v_mul_f64 v[104:105], v[104:105], v[98:99]
	v_fmac_f64_e32 v[104:105], v[106:107], v[32:33]
	s_waitcnt vmcnt(8)
	v_add_f64 v[30:31], v[30:31], -v[104:105]
	ds_read2_b64 v[104:107], v100 offset0:30 offset1:31
	v_add_f64 v[28:29], v[28:29], -v[34:35]
	s_waitcnt lgkmcnt(1)
	v_mul_f64 v[34:35], v[90:91], v[98:99]
	v_fma_f64 v[34:35], v[88:89], v[32:33], -v[34:35]
	v_mul_f64 v[88:89], v[88:89], v[98:99]
	v_fmac_f64_e32 v[88:89], v[90:91], v[32:33]
	s_waitcnt vmcnt(7)
	v_add_f64 v[24:25], v[24:25], -v[34:35]
	v_add_f64 v[26:27], v[26:27], -v[88:89]
	ds_read2_b64 v[88:91], v100 offset0:32 offset1:33
	s_waitcnt lgkmcnt(1)
	v_mul_f64 v[34:35], v[106:107], v[98:99]
	v_fma_f64 v[34:35], v[104:105], v[32:33], -v[34:35]
	v_mul_f64 v[104:105], v[104:105], v[98:99]
	v_fmac_f64_e32 v[104:105], v[106:107], v[32:33]
	s_waitcnt vmcnt(6)
	v_add_f64 v[22:23], v[22:23], -v[104:105]
	ds_read2_b64 v[104:107], v100 offset0:34 offset1:35
	v_add_f64 v[20:21], v[20:21], -v[34:35]
	s_waitcnt lgkmcnt(1)
	v_mul_f64 v[34:35], v[90:91], v[98:99]
	v_fma_f64 v[34:35], v[88:89], v[32:33], -v[34:35]
	v_mul_f64 v[88:89], v[88:89], v[98:99]
	v_fmac_f64_e32 v[88:89], v[90:91], v[32:33]
	s_waitcnt vmcnt(5)
	v_add_f64 v[16:17], v[16:17], -v[34:35]
	v_add_f64 v[18:19], v[18:19], -v[88:89]
	;; [unrolled: 18-line block ×4, first 2 shown]
	s_waitcnt lgkmcnt(0)
	v_mul_f64 v[34:35], v[106:107], v[98:99]
	v_mul_f64 v[88:89], v[104:105], v[98:99]
	v_fma_f64 v[34:35], v[104:105], v[32:33], -v[34:35]
	v_fmac_f64_e32 v[88:89], v[106:107], v[32:33]
	s_waitcnt vmcnt(0)
	v_add_f64 v[84:85], v[84:85], -v[34:35]
	v_add_f64 v[86:87], v[86:87], -v[88:89]
	v_mov_b64_e32 v[34:35], v[98:99]
.LBB42_272:
	s_or_b64 exec, exec, s[0:1]
	v_lshl_add_u32 v88, v101, 4, v100
	s_barrier
	s_waitcnt vmcnt(8)
	ds_write2_b64 v88, v[28:29], v[30:31] offset1:1
	s_waitcnt lgkmcnt(0)
	s_barrier
	ds_read2_b64 v[88:91], v100 offset0:26 offset1:27
	s_cmp_lt_i32 s20, 15
	v_mov_b32_e32 v98, 13
	s_cbranch_scc1 .LBB42_275
; %bb.273:
	v_add_u32_e32 v99, 0xe0, v100
	s_mov_b32 s16, 14
	v_mov_b32_e32 v98, 13
.LBB42_274:                             ; =>This Inner Loop Header: Depth=1
	ds_read2_b64 v[104:107], v99 offset1:1
	s_waitcnt lgkmcnt(1)
	v_xor_b32_e32 v109, 0x80000000, v89
	v_xor_b32_e32 v111, 0x80000000, v91
	v_cmp_gt_f64_e32 vcc, 0, v[90:91]
	v_cmp_gt_f64_e64 s[0:1], 0, v[88:89]
	v_mov_b32_e32 v108, v88
	v_mov_b32_e32 v110, v90
	v_cndmask_b32_e64 v109, v89, v109, s[0:1]
	v_cndmask_b32_e32 v111, v91, v111, vcc
	v_add_f64 v[108:109], v[108:109], v[110:111]
	s_waitcnt lgkmcnt(0)
	v_xor_b32_e32 v111, 0x80000000, v105
	v_xor_b32_e32 v113, 0x80000000, v107
	v_cmp_gt_f64_e32 vcc, 0, v[106:107]
	v_cmp_gt_f64_e64 s[0:1], 0, v[104:105]
	v_mov_b32_e32 v110, v104
	v_mov_b32_e32 v112, v106
	v_cndmask_b32_e64 v111, v105, v111, s[0:1]
	v_cndmask_b32_e32 v113, v107, v113, vcc
	v_add_f64 v[110:111], v[110:111], v[112:113]
	v_mov_b32_e32 v114, s16
	s_add_i32 s16, s16, 1
	v_cmp_lt_f64_e32 vcc, v[108:109], v[110:111]
	v_add_u32_e32 v99, 16, v99
	s_cmp_lg_u32 s20, s16
	v_cndmask_b32_e32 v89, v89, v105, vcc
	v_cndmask_b32_e32 v88, v88, v104, vcc
	v_cndmask_b32_e32 v91, v91, v107, vcc
	v_cndmask_b32_e32 v90, v90, v106, vcc
	v_cndmask_b32_e32 v98, v98, v114, vcc
	s_cbranch_scc1 .LBB42_274
.LBB42_275:
	s_waitcnt lgkmcnt(0)
	v_cmp_eq_f64_e32 vcc, 0, v[88:89]
	v_cmp_eq_f64_e64 s[0:1], 0, v[90:91]
	s_and_b64 s[0:1], vcc, s[0:1]
	s_and_saveexec_b64 s[16:17], s[0:1]
	s_xor_b64 s[0:1], exec, s[16:17]
; %bb.276:
	v_cmp_ne_u32_e32 vcc, 0, v103
	s_nop 1
	v_cndmask_b32_e32 v103, 14, v103, vcc
; %bb.277:
	s_andn2_saveexec_b64 s[0:1], s[0:1]
	s_cbranch_execz .LBB42_283
; %bb.278:
	v_cmp_ngt_f64_e64 s[16:17], |v[88:89]|, |v[90:91]|
	s_and_saveexec_b64 s[18:19], s[16:17]
	s_xor_b64 s[16:17], exec, s[18:19]
	s_cbranch_execz .LBB42_280
; %bb.279:
	v_div_scale_f64 v[104:105], s[18:19], v[90:91], v[90:91], v[88:89]
	v_rcp_f64_e32 v[106:107], v[104:105]
	v_div_scale_f64 v[108:109], vcc, v[88:89], v[90:91], v[88:89]
	v_fma_f64 v[110:111], -v[104:105], v[106:107], 1.0
	v_fmac_f64_e32 v[106:107], v[106:107], v[110:111]
	v_fma_f64 v[110:111], -v[104:105], v[106:107], 1.0
	v_fmac_f64_e32 v[106:107], v[106:107], v[110:111]
	v_mul_f64 v[110:111], v[108:109], v[106:107]
	v_fma_f64 v[104:105], -v[104:105], v[110:111], v[108:109]
	v_div_fmas_f64 v[104:105], v[104:105], v[106:107], v[110:111]
	v_div_fixup_f64 v[104:105], v[104:105], v[90:91], v[88:89]
	v_fmac_f64_e32 v[90:91], v[88:89], v[104:105]
	v_div_scale_f64 v[88:89], s[18:19], v[90:91], v[90:91], 1.0
	v_rcp_f64_e32 v[106:107], v[88:89]
	s_nop 0
	v_fma_f64 v[108:109], -v[88:89], v[106:107], 1.0
	v_fmac_f64_e32 v[106:107], v[106:107], v[108:109]
	v_fma_f64 v[108:109], -v[88:89], v[106:107], 1.0
	v_fmac_f64_e32 v[106:107], v[106:107], v[108:109]
	v_div_scale_f64 v[108:109], vcc, 1.0, v[90:91], 1.0
	v_mul_f64 v[110:111], v[108:109], v[106:107]
	v_fma_f64 v[88:89], -v[88:89], v[110:111], v[108:109]
	s_nop 1
	v_div_fmas_f64 v[88:89], v[88:89], v[106:107], v[110:111]
	v_div_fixup_f64 v[90:91], v[88:89], v[90:91], 1.0
	v_mul_f64 v[88:89], v[104:105], v[90:91]
	v_xor_b32_e32 v91, 0x80000000, v91
.LBB42_280:
	s_andn2_saveexec_b64 s[16:17], s[16:17]
	s_cbranch_execz .LBB42_282
; %bb.281:
	v_div_scale_f64 v[104:105], s[18:19], v[88:89], v[88:89], v[90:91]
	v_rcp_f64_e32 v[106:107], v[104:105]
	v_div_scale_f64 v[108:109], vcc, v[90:91], v[88:89], v[90:91]
	v_fma_f64 v[110:111], -v[104:105], v[106:107], 1.0
	v_fmac_f64_e32 v[106:107], v[106:107], v[110:111]
	v_fma_f64 v[110:111], -v[104:105], v[106:107], 1.0
	v_fmac_f64_e32 v[106:107], v[106:107], v[110:111]
	v_mul_f64 v[110:111], v[108:109], v[106:107]
	v_fma_f64 v[104:105], -v[104:105], v[110:111], v[108:109]
	v_div_fmas_f64 v[104:105], v[104:105], v[106:107], v[110:111]
	v_div_fixup_f64 v[104:105], v[104:105], v[88:89], v[90:91]
	v_fmac_f64_e32 v[88:89], v[90:91], v[104:105]
	v_div_scale_f64 v[90:91], s[18:19], v[88:89], v[88:89], 1.0
	v_rcp_f64_e32 v[106:107], v[90:91]
	s_nop 0
	v_fma_f64 v[108:109], -v[90:91], v[106:107], 1.0
	v_fmac_f64_e32 v[106:107], v[106:107], v[108:109]
	v_fma_f64 v[108:109], -v[90:91], v[106:107], 1.0
	v_fmac_f64_e32 v[106:107], v[106:107], v[108:109]
	v_div_scale_f64 v[108:109], vcc, 1.0, v[88:89], 1.0
	v_mul_f64 v[110:111], v[108:109], v[106:107]
	v_fma_f64 v[90:91], -v[90:91], v[110:111], v[108:109]
	s_nop 1
	v_div_fmas_f64 v[90:91], v[90:91], v[106:107], v[110:111]
	v_div_fixup_f64 v[88:89], v[90:91], v[88:89], 1.0
	v_mul_f64 v[90:91], v[104:105], -v[88:89]
.LBB42_282:
	s_or_b64 exec, exec, s[16:17]
.LBB42_283:
	s_or_b64 exec, exec, s[0:1]
	v_cmp_ne_u32_e32 vcc, v101, v98
	s_and_saveexec_b64 s[0:1], vcc
	s_xor_b64 s[0:1], exec, s[0:1]
	s_cbranch_execz .LBB42_289
; %bb.284:
	v_cmp_eq_u32_e32 vcc, 13, v101
	s_and_saveexec_b64 s[16:17], vcc
	s_cbranch_execz .LBB42_288
; %bb.285:
	v_cmp_ne_u32_e32 vcc, 13, v98
	s_xor_b64 s[18:19], s[14:15], -1
	s_and_b64 s[22:23], s[18:19], vcc
	s_and_saveexec_b64 s[18:19], s[22:23]
	s_cbranch_execz .LBB42_287
; %bb.286:
	v_ashrrev_i32_e32 v99, 31, v98
	v_lshl_add_u64 v[104:105], v[98:99], 2, v[96:97]
	global_load_dword v99, v[104:105], off
	global_load_dword v101, v[96:97], off offset:52
	s_waitcnt vmcnt(1)
	global_store_dword v[96:97], v99, off offset:52
	s_waitcnt vmcnt(1)
	global_store_dword v[104:105], v101, off
.LBB42_287:
	s_or_b64 exec, exec, s[18:19]
	v_mov_b32_e32 v101, v98
	v_mov_b32_e32 v102, v98
.LBB42_288:
	s_or_b64 exec, exec, s[16:17]
.LBB42_289:
	s_andn2_saveexec_b64 s[0:1], s[0:1]
	s_cbranch_execz .LBB42_291
; %bb.290:
	v_mov_b32_e32 v101, 13
	s_waitcnt vmcnt(7)
	ds_write2_b64 v100, v[24:25], v[26:27] offset0:28 offset1:29
	s_waitcnt vmcnt(6)
	ds_write2_b64 v100, v[20:21], v[22:23] offset0:30 offset1:31
	;; [unrolled: 2-line block ×8, first 2 shown]
.LBB42_291:
	s_or_b64 exec, exec, s[0:1]
	v_cmp_lt_i32_e32 vcc, 13, v101
	s_waitcnt lgkmcnt(0)
	s_barrier
	s_and_saveexec_b64 s[0:1], vcc
	s_cbranch_execz .LBB42_293
; %bb.292:
	ds_read2_b64 v[104:107], v100 offset0:28 offset1:29
	v_mul_f64 v[98:99], v[88:89], v[30:31]
	v_mul_f64 v[30:31], v[90:91], v[30:31]
	v_fmac_f64_e32 v[98:99], v[90:91], v[28:29]
	v_fma_f64 v[28:29], v[88:89], v[28:29], -v[30:31]
	ds_read2_b64 v[88:91], v100 offset0:30 offset1:31
	s_waitcnt lgkmcnt(1)
	v_mul_f64 v[30:31], v[106:107], v[98:99]
	v_fma_f64 v[30:31], v[104:105], v[28:29], -v[30:31]
	v_mul_f64 v[104:105], v[104:105], v[98:99]
	v_fmac_f64_e32 v[104:105], v[106:107], v[28:29]
	s_waitcnt vmcnt(7)
	v_add_f64 v[24:25], v[24:25], -v[30:31]
	s_waitcnt lgkmcnt(0)
	v_mul_f64 v[30:31], v[90:91], v[98:99]
	v_add_f64 v[26:27], v[26:27], -v[104:105]
	v_fma_f64 v[30:31], v[88:89], v[28:29], -v[30:31]
	v_mul_f64 v[88:89], v[88:89], v[98:99]
	ds_read2_b64 v[104:107], v100 offset0:32 offset1:33
	v_fmac_f64_e32 v[88:89], v[90:91], v[28:29]
	s_waitcnt vmcnt(6)
	v_add_f64 v[22:23], v[22:23], -v[88:89]
	ds_read2_b64 v[88:91], v100 offset0:34 offset1:35
	v_add_f64 v[20:21], v[20:21], -v[30:31]
	s_waitcnt lgkmcnt(1)
	v_mul_f64 v[30:31], v[106:107], v[98:99]
	v_fma_f64 v[30:31], v[104:105], v[28:29], -v[30:31]
	v_mul_f64 v[104:105], v[104:105], v[98:99]
	v_fmac_f64_e32 v[104:105], v[106:107], v[28:29]
	s_waitcnt vmcnt(5)
	v_add_f64 v[16:17], v[16:17], -v[30:31]
	s_waitcnt lgkmcnt(0)
	v_mul_f64 v[30:31], v[90:91], v[98:99]
	v_add_f64 v[18:19], v[18:19], -v[104:105]
	v_fma_f64 v[30:31], v[88:89], v[28:29], -v[30:31]
	v_mul_f64 v[88:89], v[88:89], v[98:99]
	ds_read2_b64 v[104:107], v100 offset0:36 offset1:37
	v_fmac_f64_e32 v[88:89], v[90:91], v[28:29]
	s_waitcnt vmcnt(4)
	v_add_f64 v[14:15], v[14:15], -v[88:89]
	ds_read2_b64 v[88:91], v100 offset0:38 offset1:39
	v_add_f64 v[12:13], v[12:13], -v[30:31]
	;; [unrolled: 18-line block ×3, first 2 shown]
	s_waitcnt lgkmcnt(1)
	v_mul_f64 v[30:31], v[106:107], v[98:99]
	v_fma_f64 v[30:31], v[104:105], v[28:29], -v[30:31]
	s_waitcnt vmcnt(1)
	v_add_f64 v[0:1], v[0:1], -v[30:31]
	s_waitcnt lgkmcnt(0)
	v_mul_f64 v[30:31], v[90:91], v[98:99]
	v_mul_f64 v[104:105], v[104:105], v[98:99]
	v_fma_f64 v[30:31], v[88:89], v[28:29], -v[30:31]
	v_mul_f64 v[88:89], v[88:89], v[98:99]
	v_fmac_f64_e32 v[104:105], v[106:107], v[28:29]
	v_fmac_f64_e32 v[88:89], v[90:91], v[28:29]
	v_add_f64 v[2:3], v[2:3], -v[104:105]
	s_waitcnt vmcnt(0)
	v_add_f64 v[84:85], v[84:85], -v[30:31]
	v_add_f64 v[86:87], v[86:87], -v[88:89]
	v_mov_b64_e32 v[30:31], v[98:99]
.LBB42_293:
	s_or_b64 exec, exec, s[0:1]
	v_lshl_add_u32 v88, v101, 4, v100
	s_barrier
	s_waitcnt vmcnt(7)
	ds_write2_b64 v88, v[24:25], v[26:27] offset1:1
	s_waitcnt lgkmcnt(0)
	s_barrier
	ds_read2_b64 v[88:91], v100 offset0:28 offset1:29
	s_cmp_lt_i32 s20, 16
	v_mov_b32_e32 v98, 14
	s_cbranch_scc1 .LBB42_296
; %bb.294:
	v_add_u32_e32 v99, 0xf0, v100
	s_mov_b32 s16, 15
	v_mov_b32_e32 v98, 14
.LBB42_295:                             ; =>This Inner Loop Header: Depth=1
	ds_read2_b64 v[104:107], v99 offset1:1
	s_waitcnt lgkmcnt(1)
	v_xor_b32_e32 v109, 0x80000000, v89
	v_xor_b32_e32 v111, 0x80000000, v91
	v_cmp_gt_f64_e32 vcc, 0, v[90:91]
	v_cmp_gt_f64_e64 s[0:1], 0, v[88:89]
	v_mov_b32_e32 v108, v88
	v_mov_b32_e32 v110, v90
	v_cndmask_b32_e64 v109, v89, v109, s[0:1]
	v_cndmask_b32_e32 v111, v91, v111, vcc
	v_add_f64 v[108:109], v[108:109], v[110:111]
	s_waitcnt lgkmcnt(0)
	v_xor_b32_e32 v111, 0x80000000, v105
	v_xor_b32_e32 v113, 0x80000000, v107
	v_cmp_gt_f64_e32 vcc, 0, v[106:107]
	v_cmp_gt_f64_e64 s[0:1], 0, v[104:105]
	v_mov_b32_e32 v110, v104
	v_mov_b32_e32 v112, v106
	v_cndmask_b32_e64 v111, v105, v111, s[0:1]
	v_cndmask_b32_e32 v113, v107, v113, vcc
	v_add_f64 v[110:111], v[110:111], v[112:113]
	v_mov_b32_e32 v114, s16
	s_add_i32 s16, s16, 1
	v_cmp_lt_f64_e32 vcc, v[108:109], v[110:111]
	v_add_u32_e32 v99, 16, v99
	s_cmp_lg_u32 s20, s16
	v_cndmask_b32_e32 v89, v89, v105, vcc
	v_cndmask_b32_e32 v88, v88, v104, vcc
	;; [unrolled: 1-line block ×5, first 2 shown]
	s_cbranch_scc1 .LBB42_295
.LBB42_296:
	s_waitcnt lgkmcnt(0)
	v_cmp_eq_f64_e32 vcc, 0, v[88:89]
	v_cmp_eq_f64_e64 s[0:1], 0, v[90:91]
	s_and_b64 s[0:1], vcc, s[0:1]
	s_and_saveexec_b64 s[16:17], s[0:1]
	s_xor_b64 s[0:1], exec, s[16:17]
; %bb.297:
	v_cmp_ne_u32_e32 vcc, 0, v103
	s_nop 1
	v_cndmask_b32_e32 v103, 15, v103, vcc
; %bb.298:
	s_andn2_saveexec_b64 s[0:1], s[0:1]
	s_cbranch_execz .LBB42_304
; %bb.299:
	v_cmp_ngt_f64_e64 s[16:17], |v[88:89]|, |v[90:91]|
	s_and_saveexec_b64 s[18:19], s[16:17]
	s_xor_b64 s[16:17], exec, s[18:19]
	s_cbranch_execz .LBB42_301
; %bb.300:
	v_div_scale_f64 v[104:105], s[18:19], v[90:91], v[90:91], v[88:89]
	v_rcp_f64_e32 v[106:107], v[104:105]
	v_div_scale_f64 v[108:109], vcc, v[88:89], v[90:91], v[88:89]
	v_fma_f64 v[110:111], -v[104:105], v[106:107], 1.0
	v_fmac_f64_e32 v[106:107], v[106:107], v[110:111]
	v_fma_f64 v[110:111], -v[104:105], v[106:107], 1.0
	v_fmac_f64_e32 v[106:107], v[106:107], v[110:111]
	v_mul_f64 v[110:111], v[108:109], v[106:107]
	v_fma_f64 v[104:105], -v[104:105], v[110:111], v[108:109]
	v_div_fmas_f64 v[104:105], v[104:105], v[106:107], v[110:111]
	v_div_fixup_f64 v[104:105], v[104:105], v[90:91], v[88:89]
	v_fmac_f64_e32 v[90:91], v[88:89], v[104:105]
	v_div_scale_f64 v[88:89], s[18:19], v[90:91], v[90:91], 1.0
	v_rcp_f64_e32 v[106:107], v[88:89]
	s_nop 0
	v_fma_f64 v[108:109], -v[88:89], v[106:107], 1.0
	v_fmac_f64_e32 v[106:107], v[106:107], v[108:109]
	v_fma_f64 v[108:109], -v[88:89], v[106:107], 1.0
	v_fmac_f64_e32 v[106:107], v[106:107], v[108:109]
	v_div_scale_f64 v[108:109], vcc, 1.0, v[90:91], 1.0
	v_mul_f64 v[110:111], v[108:109], v[106:107]
	v_fma_f64 v[88:89], -v[88:89], v[110:111], v[108:109]
	s_nop 1
	v_div_fmas_f64 v[88:89], v[88:89], v[106:107], v[110:111]
	v_div_fixup_f64 v[90:91], v[88:89], v[90:91], 1.0
	v_mul_f64 v[88:89], v[104:105], v[90:91]
	v_xor_b32_e32 v91, 0x80000000, v91
.LBB42_301:
	s_andn2_saveexec_b64 s[16:17], s[16:17]
	s_cbranch_execz .LBB42_303
; %bb.302:
	v_div_scale_f64 v[104:105], s[18:19], v[88:89], v[88:89], v[90:91]
	v_rcp_f64_e32 v[106:107], v[104:105]
	v_div_scale_f64 v[108:109], vcc, v[90:91], v[88:89], v[90:91]
	v_fma_f64 v[110:111], -v[104:105], v[106:107], 1.0
	v_fmac_f64_e32 v[106:107], v[106:107], v[110:111]
	v_fma_f64 v[110:111], -v[104:105], v[106:107], 1.0
	v_fmac_f64_e32 v[106:107], v[106:107], v[110:111]
	v_mul_f64 v[110:111], v[108:109], v[106:107]
	v_fma_f64 v[104:105], -v[104:105], v[110:111], v[108:109]
	v_div_fmas_f64 v[104:105], v[104:105], v[106:107], v[110:111]
	v_div_fixup_f64 v[104:105], v[104:105], v[88:89], v[90:91]
	v_fmac_f64_e32 v[88:89], v[90:91], v[104:105]
	v_div_scale_f64 v[90:91], s[18:19], v[88:89], v[88:89], 1.0
	v_rcp_f64_e32 v[106:107], v[90:91]
	s_nop 0
	v_fma_f64 v[108:109], -v[90:91], v[106:107], 1.0
	v_fmac_f64_e32 v[106:107], v[106:107], v[108:109]
	v_fma_f64 v[108:109], -v[90:91], v[106:107], 1.0
	v_fmac_f64_e32 v[106:107], v[106:107], v[108:109]
	v_div_scale_f64 v[108:109], vcc, 1.0, v[88:89], 1.0
	v_mul_f64 v[110:111], v[108:109], v[106:107]
	v_fma_f64 v[90:91], -v[90:91], v[110:111], v[108:109]
	s_nop 1
	v_div_fmas_f64 v[90:91], v[90:91], v[106:107], v[110:111]
	v_div_fixup_f64 v[88:89], v[90:91], v[88:89], 1.0
	v_mul_f64 v[90:91], v[104:105], -v[88:89]
.LBB42_303:
	s_or_b64 exec, exec, s[16:17]
.LBB42_304:
	s_or_b64 exec, exec, s[0:1]
	v_cmp_ne_u32_e32 vcc, v101, v98
	s_and_saveexec_b64 s[0:1], vcc
	s_xor_b64 s[0:1], exec, s[0:1]
	s_cbranch_execz .LBB42_310
; %bb.305:
	v_cmp_eq_u32_e32 vcc, 14, v101
	s_and_saveexec_b64 s[16:17], vcc
	s_cbranch_execz .LBB42_309
; %bb.306:
	v_cmp_ne_u32_e32 vcc, 14, v98
	s_xor_b64 s[18:19], s[14:15], -1
	s_and_b64 s[22:23], s[18:19], vcc
	s_and_saveexec_b64 s[18:19], s[22:23]
	s_cbranch_execz .LBB42_308
; %bb.307:
	v_ashrrev_i32_e32 v99, 31, v98
	v_lshl_add_u64 v[104:105], v[98:99], 2, v[96:97]
	global_load_dword v99, v[104:105], off
	global_load_dword v101, v[96:97], off offset:56
	s_waitcnt vmcnt(1)
	global_store_dword v[96:97], v99, off offset:56
	s_waitcnt vmcnt(1)
	global_store_dword v[104:105], v101, off
.LBB42_308:
	s_or_b64 exec, exec, s[18:19]
	v_mov_b32_e32 v101, v98
	v_mov_b32_e32 v102, v98
.LBB42_309:
	s_or_b64 exec, exec, s[16:17]
.LBB42_310:
	s_andn2_saveexec_b64 s[0:1], s[0:1]
	s_cbranch_execz .LBB42_312
; %bb.311:
	v_mov_b32_e32 v101, 14
	s_waitcnt vmcnt(6)
	ds_write2_b64 v100, v[20:21], v[22:23] offset0:30 offset1:31
	s_waitcnt vmcnt(5)
	ds_write2_b64 v100, v[16:17], v[18:19] offset0:32 offset1:33
	;; [unrolled: 2-line block ×7, first 2 shown]
.LBB42_312:
	s_or_b64 exec, exec, s[0:1]
	v_cmp_lt_i32_e32 vcc, 14, v101
	s_waitcnt lgkmcnt(0)
	s_barrier
	s_and_saveexec_b64 s[0:1], vcc
	s_cbranch_execz .LBB42_314
; %bb.313:
	ds_read2_b64 v[104:107], v100 offset0:30 offset1:31
	v_mul_f64 v[98:99], v[88:89], v[26:27]
	v_fmac_f64_e32 v[98:99], v[90:91], v[24:25]
	v_mul_f64 v[26:27], v[90:91], v[26:27]
	v_fma_f64 v[24:25], v[88:89], v[24:25], -v[26:27]
	ds_read2_b64 v[88:91], v100 offset0:32 offset1:33
	s_waitcnt lgkmcnt(1)
	v_mul_f64 v[26:27], v[106:107], v[98:99]
	v_fma_f64 v[26:27], v[104:105], v[24:25], -v[26:27]
	v_mul_f64 v[104:105], v[104:105], v[98:99]
	v_fmac_f64_e32 v[104:105], v[106:107], v[24:25]
	s_waitcnt vmcnt(6)
	v_add_f64 v[22:23], v[22:23], -v[104:105]
	ds_read2_b64 v[104:107], v100 offset0:34 offset1:35
	v_add_f64 v[20:21], v[20:21], -v[26:27]
	s_waitcnt lgkmcnt(1)
	v_mul_f64 v[26:27], v[90:91], v[98:99]
	v_fma_f64 v[26:27], v[88:89], v[24:25], -v[26:27]
	v_mul_f64 v[88:89], v[88:89], v[98:99]
	v_fmac_f64_e32 v[88:89], v[90:91], v[24:25]
	s_waitcnt vmcnt(5)
	v_add_f64 v[16:17], v[16:17], -v[26:27]
	v_add_f64 v[18:19], v[18:19], -v[88:89]
	ds_read2_b64 v[88:91], v100 offset0:36 offset1:37
	s_waitcnt lgkmcnt(1)
	v_mul_f64 v[26:27], v[106:107], v[98:99]
	v_fma_f64 v[26:27], v[104:105], v[24:25], -v[26:27]
	v_mul_f64 v[104:105], v[104:105], v[98:99]
	v_fmac_f64_e32 v[104:105], v[106:107], v[24:25]
	s_waitcnt vmcnt(4)
	v_add_f64 v[14:15], v[14:15], -v[104:105]
	ds_read2_b64 v[104:107], v100 offset0:38 offset1:39
	v_add_f64 v[12:13], v[12:13], -v[26:27]
	s_waitcnt lgkmcnt(1)
	v_mul_f64 v[26:27], v[90:91], v[98:99]
	v_fma_f64 v[26:27], v[88:89], v[24:25], -v[26:27]
	v_mul_f64 v[88:89], v[88:89], v[98:99]
	v_fmac_f64_e32 v[88:89], v[90:91], v[24:25]
	s_waitcnt vmcnt(3)
	v_add_f64 v[4:5], v[4:5], -v[26:27]
	v_add_f64 v[6:7], v[6:7], -v[88:89]
	ds_read2_b64 v[88:91], v100 offset0:40 offset1:41
	s_waitcnt lgkmcnt(1)
	v_mul_f64 v[26:27], v[106:107], v[98:99]
	v_fma_f64 v[26:27], v[104:105], v[24:25], -v[26:27]
	v_mul_f64 v[104:105], v[104:105], v[98:99]
	v_fmac_f64_e32 v[104:105], v[106:107], v[24:25]
	s_waitcnt vmcnt(2)
	v_add_f64 v[10:11], v[10:11], -v[104:105]
	ds_read2_b64 v[104:107], v100 offset0:42 offset1:43
	v_add_f64 v[8:9], v[8:9], -v[26:27]
	s_waitcnt lgkmcnt(1)
	v_mul_f64 v[26:27], v[90:91], v[98:99]
	v_fma_f64 v[26:27], v[88:89], v[24:25], -v[26:27]
	v_mul_f64 v[88:89], v[88:89], v[98:99]
	v_fmac_f64_e32 v[88:89], v[90:91], v[24:25]
	s_waitcnt vmcnt(1)
	v_add_f64 v[0:1], v[0:1], -v[26:27]
	v_add_f64 v[2:3], v[2:3], -v[88:89]
	s_waitcnt lgkmcnt(0)
	v_mul_f64 v[26:27], v[106:107], v[98:99]
	v_mul_f64 v[88:89], v[104:105], v[98:99]
	v_fma_f64 v[26:27], v[104:105], v[24:25], -v[26:27]
	v_fmac_f64_e32 v[88:89], v[106:107], v[24:25]
	s_waitcnt vmcnt(0)
	v_add_f64 v[84:85], v[84:85], -v[26:27]
	v_add_f64 v[86:87], v[86:87], -v[88:89]
	v_mov_b64_e32 v[26:27], v[98:99]
.LBB42_314:
	s_or_b64 exec, exec, s[0:1]
	v_lshl_add_u32 v88, v101, 4, v100
	s_barrier
	s_waitcnt vmcnt(6)
	ds_write2_b64 v88, v[20:21], v[22:23] offset1:1
	s_waitcnt lgkmcnt(0)
	s_barrier
	ds_read2_b64 v[88:91], v100 offset0:30 offset1:31
	s_cmp_lt_i32 s20, 17
	v_mov_b32_e32 v98, 15
	s_cbranch_scc1 .LBB42_317
; %bb.315:
	v_add_u32_e32 v99, 0x100, v100
	s_mov_b32 s16, 16
	v_mov_b32_e32 v98, 15
.LBB42_316:                             ; =>This Inner Loop Header: Depth=1
	ds_read2_b64 v[104:107], v99 offset1:1
	s_waitcnt lgkmcnt(1)
	v_xor_b32_e32 v109, 0x80000000, v89
	v_xor_b32_e32 v111, 0x80000000, v91
	v_cmp_gt_f64_e32 vcc, 0, v[90:91]
	v_cmp_gt_f64_e64 s[0:1], 0, v[88:89]
	v_mov_b32_e32 v108, v88
	v_mov_b32_e32 v110, v90
	v_cndmask_b32_e64 v109, v89, v109, s[0:1]
	v_cndmask_b32_e32 v111, v91, v111, vcc
	v_add_f64 v[108:109], v[108:109], v[110:111]
	s_waitcnt lgkmcnt(0)
	v_xor_b32_e32 v111, 0x80000000, v105
	v_xor_b32_e32 v113, 0x80000000, v107
	v_cmp_gt_f64_e32 vcc, 0, v[106:107]
	v_cmp_gt_f64_e64 s[0:1], 0, v[104:105]
	v_mov_b32_e32 v110, v104
	v_mov_b32_e32 v112, v106
	v_cndmask_b32_e64 v111, v105, v111, s[0:1]
	v_cndmask_b32_e32 v113, v107, v113, vcc
	v_add_f64 v[110:111], v[110:111], v[112:113]
	v_mov_b32_e32 v114, s16
	s_add_i32 s16, s16, 1
	v_cmp_lt_f64_e32 vcc, v[108:109], v[110:111]
	v_add_u32_e32 v99, 16, v99
	s_cmp_lg_u32 s20, s16
	v_cndmask_b32_e32 v89, v89, v105, vcc
	v_cndmask_b32_e32 v88, v88, v104, vcc
	;; [unrolled: 1-line block ×5, first 2 shown]
	s_cbranch_scc1 .LBB42_316
.LBB42_317:
	s_waitcnt lgkmcnt(0)
	v_cmp_eq_f64_e32 vcc, 0, v[88:89]
	v_cmp_eq_f64_e64 s[0:1], 0, v[90:91]
	s_and_b64 s[0:1], vcc, s[0:1]
	s_and_saveexec_b64 s[16:17], s[0:1]
	s_xor_b64 s[0:1], exec, s[16:17]
; %bb.318:
	v_cmp_ne_u32_e32 vcc, 0, v103
	s_nop 1
	v_cndmask_b32_e32 v103, 16, v103, vcc
; %bb.319:
	s_andn2_saveexec_b64 s[0:1], s[0:1]
	s_cbranch_execz .LBB42_325
; %bb.320:
	v_cmp_ngt_f64_e64 s[16:17], |v[88:89]|, |v[90:91]|
	s_and_saveexec_b64 s[18:19], s[16:17]
	s_xor_b64 s[16:17], exec, s[18:19]
	s_cbranch_execz .LBB42_322
; %bb.321:
	v_div_scale_f64 v[104:105], s[18:19], v[90:91], v[90:91], v[88:89]
	v_rcp_f64_e32 v[106:107], v[104:105]
	v_div_scale_f64 v[108:109], vcc, v[88:89], v[90:91], v[88:89]
	v_fma_f64 v[110:111], -v[104:105], v[106:107], 1.0
	v_fmac_f64_e32 v[106:107], v[106:107], v[110:111]
	v_fma_f64 v[110:111], -v[104:105], v[106:107], 1.0
	v_fmac_f64_e32 v[106:107], v[106:107], v[110:111]
	v_mul_f64 v[110:111], v[108:109], v[106:107]
	v_fma_f64 v[104:105], -v[104:105], v[110:111], v[108:109]
	v_div_fmas_f64 v[104:105], v[104:105], v[106:107], v[110:111]
	v_div_fixup_f64 v[104:105], v[104:105], v[90:91], v[88:89]
	v_fmac_f64_e32 v[90:91], v[88:89], v[104:105]
	v_div_scale_f64 v[88:89], s[18:19], v[90:91], v[90:91], 1.0
	v_rcp_f64_e32 v[106:107], v[88:89]
	s_nop 0
	v_fma_f64 v[108:109], -v[88:89], v[106:107], 1.0
	v_fmac_f64_e32 v[106:107], v[106:107], v[108:109]
	v_fma_f64 v[108:109], -v[88:89], v[106:107], 1.0
	v_fmac_f64_e32 v[106:107], v[106:107], v[108:109]
	v_div_scale_f64 v[108:109], vcc, 1.0, v[90:91], 1.0
	v_mul_f64 v[110:111], v[108:109], v[106:107]
	v_fma_f64 v[88:89], -v[88:89], v[110:111], v[108:109]
	s_nop 1
	v_div_fmas_f64 v[88:89], v[88:89], v[106:107], v[110:111]
	v_div_fixup_f64 v[90:91], v[88:89], v[90:91], 1.0
	v_mul_f64 v[88:89], v[104:105], v[90:91]
	v_xor_b32_e32 v91, 0x80000000, v91
.LBB42_322:
	s_andn2_saveexec_b64 s[16:17], s[16:17]
	s_cbranch_execz .LBB42_324
; %bb.323:
	v_div_scale_f64 v[104:105], s[18:19], v[88:89], v[88:89], v[90:91]
	v_rcp_f64_e32 v[106:107], v[104:105]
	v_div_scale_f64 v[108:109], vcc, v[90:91], v[88:89], v[90:91]
	v_fma_f64 v[110:111], -v[104:105], v[106:107], 1.0
	v_fmac_f64_e32 v[106:107], v[106:107], v[110:111]
	v_fma_f64 v[110:111], -v[104:105], v[106:107], 1.0
	v_fmac_f64_e32 v[106:107], v[106:107], v[110:111]
	v_mul_f64 v[110:111], v[108:109], v[106:107]
	v_fma_f64 v[104:105], -v[104:105], v[110:111], v[108:109]
	v_div_fmas_f64 v[104:105], v[104:105], v[106:107], v[110:111]
	v_div_fixup_f64 v[104:105], v[104:105], v[88:89], v[90:91]
	v_fmac_f64_e32 v[88:89], v[90:91], v[104:105]
	v_div_scale_f64 v[90:91], s[18:19], v[88:89], v[88:89], 1.0
	v_rcp_f64_e32 v[106:107], v[90:91]
	s_nop 0
	v_fma_f64 v[108:109], -v[90:91], v[106:107], 1.0
	v_fmac_f64_e32 v[106:107], v[106:107], v[108:109]
	v_fma_f64 v[108:109], -v[90:91], v[106:107], 1.0
	v_fmac_f64_e32 v[106:107], v[106:107], v[108:109]
	v_div_scale_f64 v[108:109], vcc, 1.0, v[88:89], 1.0
	v_mul_f64 v[110:111], v[108:109], v[106:107]
	v_fma_f64 v[90:91], -v[90:91], v[110:111], v[108:109]
	s_nop 1
	v_div_fmas_f64 v[90:91], v[90:91], v[106:107], v[110:111]
	v_div_fixup_f64 v[88:89], v[90:91], v[88:89], 1.0
	v_mul_f64 v[90:91], v[104:105], -v[88:89]
.LBB42_324:
	s_or_b64 exec, exec, s[16:17]
.LBB42_325:
	s_or_b64 exec, exec, s[0:1]
	v_cmp_ne_u32_e32 vcc, v101, v98
	s_and_saveexec_b64 s[0:1], vcc
	s_xor_b64 s[0:1], exec, s[0:1]
	s_cbranch_execz .LBB42_331
; %bb.326:
	v_cmp_eq_u32_e32 vcc, 15, v101
	s_and_saveexec_b64 s[16:17], vcc
	s_cbranch_execz .LBB42_330
; %bb.327:
	v_cmp_ne_u32_e32 vcc, 15, v98
	s_xor_b64 s[18:19], s[14:15], -1
	s_and_b64 s[22:23], s[18:19], vcc
	s_and_saveexec_b64 s[18:19], s[22:23]
	s_cbranch_execz .LBB42_329
; %bb.328:
	v_ashrrev_i32_e32 v99, 31, v98
	v_lshl_add_u64 v[104:105], v[98:99], 2, v[96:97]
	global_load_dword v99, v[104:105], off
	global_load_dword v101, v[96:97], off offset:60
	s_waitcnt vmcnt(1)
	global_store_dword v[96:97], v99, off offset:60
	s_waitcnt vmcnt(1)
	global_store_dword v[104:105], v101, off
.LBB42_329:
	s_or_b64 exec, exec, s[18:19]
	v_mov_b32_e32 v101, v98
	v_mov_b32_e32 v102, v98
.LBB42_330:
	s_or_b64 exec, exec, s[16:17]
.LBB42_331:
	s_andn2_saveexec_b64 s[0:1], s[0:1]
	s_cbranch_execz .LBB42_333
; %bb.332:
	v_mov_b32_e32 v101, 15
	s_waitcnt vmcnt(5)
	ds_write2_b64 v100, v[16:17], v[18:19] offset0:32 offset1:33
	s_waitcnt vmcnt(4)
	ds_write2_b64 v100, v[12:13], v[14:15] offset0:34 offset1:35
	;; [unrolled: 2-line block ×6, first 2 shown]
.LBB42_333:
	s_or_b64 exec, exec, s[0:1]
	v_cmp_lt_i32_e32 vcc, 15, v101
	s_waitcnt lgkmcnt(0)
	s_barrier
	s_and_saveexec_b64 s[0:1], vcc
	s_cbranch_execz .LBB42_335
; %bb.334:
	ds_read2_b64 v[104:107], v100 offset0:32 offset1:33
	v_mul_f64 v[98:99], v[88:89], v[22:23]
	v_mul_f64 v[22:23], v[90:91], v[22:23]
	v_fmac_f64_e32 v[98:99], v[90:91], v[20:21]
	v_fma_f64 v[20:21], v[88:89], v[20:21], -v[22:23]
	ds_read2_b64 v[88:91], v100 offset0:34 offset1:35
	s_waitcnt lgkmcnt(1)
	v_mul_f64 v[22:23], v[106:107], v[98:99]
	v_fma_f64 v[22:23], v[104:105], v[20:21], -v[22:23]
	v_mul_f64 v[104:105], v[104:105], v[98:99]
	v_fmac_f64_e32 v[104:105], v[106:107], v[20:21]
	s_waitcnt vmcnt(5)
	v_add_f64 v[16:17], v[16:17], -v[22:23]
	s_waitcnt lgkmcnt(0)
	v_mul_f64 v[22:23], v[90:91], v[98:99]
	v_add_f64 v[18:19], v[18:19], -v[104:105]
	v_fma_f64 v[22:23], v[88:89], v[20:21], -v[22:23]
	v_mul_f64 v[88:89], v[88:89], v[98:99]
	ds_read2_b64 v[104:107], v100 offset0:36 offset1:37
	v_fmac_f64_e32 v[88:89], v[90:91], v[20:21]
	s_waitcnt vmcnt(4)
	v_add_f64 v[14:15], v[14:15], -v[88:89]
	ds_read2_b64 v[88:91], v100 offset0:38 offset1:39
	v_add_f64 v[12:13], v[12:13], -v[22:23]
	s_waitcnt lgkmcnt(1)
	v_mul_f64 v[22:23], v[106:107], v[98:99]
	v_fma_f64 v[22:23], v[104:105], v[20:21], -v[22:23]
	v_mul_f64 v[104:105], v[104:105], v[98:99]
	v_fmac_f64_e32 v[104:105], v[106:107], v[20:21]
	s_waitcnt vmcnt(3)
	v_add_f64 v[4:5], v[4:5], -v[22:23]
	s_waitcnt lgkmcnt(0)
	v_mul_f64 v[22:23], v[90:91], v[98:99]
	v_add_f64 v[6:7], v[6:7], -v[104:105]
	v_fma_f64 v[22:23], v[88:89], v[20:21], -v[22:23]
	v_mul_f64 v[88:89], v[88:89], v[98:99]
	ds_read2_b64 v[104:107], v100 offset0:40 offset1:41
	v_fmac_f64_e32 v[88:89], v[90:91], v[20:21]
	s_waitcnt vmcnt(2)
	v_add_f64 v[10:11], v[10:11], -v[88:89]
	ds_read2_b64 v[88:91], v100 offset0:42 offset1:43
	v_add_f64 v[8:9], v[8:9], -v[22:23]
	s_waitcnt lgkmcnt(1)
	v_mul_f64 v[22:23], v[106:107], v[98:99]
	v_fma_f64 v[22:23], v[104:105], v[20:21], -v[22:23]
	s_waitcnt vmcnt(1)
	v_add_f64 v[0:1], v[0:1], -v[22:23]
	s_waitcnt lgkmcnt(0)
	v_mul_f64 v[22:23], v[90:91], v[98:99]
	v_mul_f64 v[104:105], v[104:105], v[98:99]
	v_fma_f64 v[22:23], v[88:89], v[20:21], -v[22:23]
	v_mul_f64 v[88:89], v[88:89], v[98:99]
	v_fmac_f64_e32 v[104:105], v[106:107], v[20:21]
	v_fmac_f64_e32 v[88:89], v[90:91], v[20:21]
	v_add_f64 v[2:3], v[2:3], -v[104:105]
	s_waitcnt vmcnt(0)
	v_add_f64 v[84:85], v[84:85], -v[22:23]
	v_add_f64 v[86:87], v[86:87], -v[88:89]
	v_mov_b64_e32 v[22:23], v[98:99]
.LBB42_335:
	s_or_b64 exec, exec, s[0:1]
	v_lshl_add_u32 v88, v101, 4, v100
	s_barrier
	s_waitcnt vmcnt(5)
	ds_write2_b64 v88, v[16:17], v[18:19] offset1:1
	s_waitcnt lgkmcnt(0)
	s_barrier
	ds_read2_b64 v[88:91], v100 offset0:32 offset1:33
	s_cmp_lt_i32 s20, 18
	v_mov_b32_e32 v98, 16
	s_cbranch_scc1 .LBB42_338
; %bb.336:
	v_add_u32_e32 v99, 0x110, v100
	s_mov_b32 s16, 17
	v_mov_b32_e32 v98, 16
.LBB42_337:                             ; =>This Inner Loop Header: Depth=1
	ds_read2_b64 v[104:107], v99 offset1:1
	s_waitcnt lgkmcnt(1)
	v_xor_b32_e32 v109, 0x80000000, v89
	v_xor_b32_e32 v111, 0x80000000, v91
	v_cmp_gt_f64_e32 vcc, 0, v[90:91]
	v_cmp_gt_f64_e64 s[0:1], 0, v[88:89]
	v_mov_b32_e32 v108, v88
	v_mov_b32_e32 v110, v90
	v_cndmask_b32_e64 v109, v89, v109, s[0:1]
	v_cndmask_b32_e32 v111, v91, v111, vcc
	v_add_f64 v[108:109], v[108:109], v[110:111]
	s_waitcnt lgkmcnt(0)
	v_xor_b32_e32 v111, 0x80000000, v105
	v_xor_b32_e32 v113, 0x80000000, v107
	v_cmp_gt_f64_e32 vcc, 0, v[106:107]
	v_cmp_gt_f64_e64 s[0:1], 0, v[104:105]
	v_mov_b32_e32 v110, v104
	v_mov_b32_e32 v112, v106
	v_cndmask_b32_e64 v111, v105, v111, s[0:1]
	v_cndmask_b32_e32 v113, v107, v113, vcc
	v_add_f64 v[110:111], v[110:111], v[112:113]
	v_mov_b32_e32 v114, s16
	s_add_i32 s16, s16, 1
	v_cmp_lt_f64_e32 vcc, v[108:109], v[110:111]
	v_add_u32_e32 v99, 16, v99
	s_cmp_lg_u32 s20, s16
	v_cndmask_b32_e32 v89, v89, v105, vcc
	v_cndmask_b32_e32 v88, v88, v104, vcc
	;; [unrolled: 1-line block ×5, first 2 shown]
	s_cbranch_scc1 .LBB42_337
.LBB42_338:
	s_waitcnt lgkmcnt(0)
	v_cmp_eq_f64_e32 vcc, 0, v[88:89]
	v_cmp_eq_f64_e64 s[0:1], 0, v[90:91]
	s_and_b64 s[0:1], vcc, s[0:1]
	s_and_saveexec_b64 s[16:17], s[0:1]
	s_xor_b64 s[0:1], exec, s[16:17]
; %bb.339:
	v_cmp_ne_u32_e32 vcc, 0, v103
	s_nop 1
	v_cndmask_b32_e32 v103, 17, v103, vcc
; %bb.340:
	s_andn2_saveexec_b64 s[0:1], s[0:1]
	s_cbranch_execz .LBB42_346
; %bb.341:
	v_cmp_ngt_f64_e64 s[16:17], |v[88:89]|, |v[90:91]|
	s_and_saveexec_b64 s[18:19], s[16:17]
	s_xor_b64 s[16:17], exec, s[18:19]
	s_cbranch_execz .LBB42_343
; %bb.342:
	v_div_scale_f64 v[104:105], s[18:19], v[90:91], v[90:91], v[88:89]
	v_rcp_f64_e32 v[106:107], v[104:105]
	v_div_scale_f64 v[108:109], vcc, v[88:89], v[90:91], v[88:89]
	v_fma_f64 v[110:111], -v[104:105], v[106:107], 1.0
	v_fmac_f64_e32 v[106:107], v[106:107], v[110:111]
	v_fma_f64 v[110:111], -v[104:105], v[106:107], 1.0
	v_fmac_f64_e32 v[106:107], v[106:107], v[110:111]
	v_mul_f64 v[110:111], v[108:109], v[106:107]
	v_fma_f64 v[104:105], -v[104:105], v[110:111], v[108:109]
	v_div_fmas_f64 v[104:105], v[104:105], v[106:107], v[110:111]
	v_div_fixup_f64 v[104:105], v[104:105], v[90:91], v[88:89]
	v_fmac_f64_e32 v[90:91], v[88:89], v[104:105]
	v_div_scale_f64 v[88:89], s[18:19], v[90:91], v[90:91], 1.0
	v_rcp_f64_e32 v[106:107], v[88:89]
	s_nop 0
	v_fma_f64 v[108:109], -v[88:89], v[106:107], 1.0
	v_fmac_f64_e32 v[106:107], v[106:107], v[108:109]
	v_fma_f64 v[108:109], -v[88:89], v[106:107], 1.0
	v_fmac_f64_e32 v[106:107], v[106:107], v[108:109]
	v_div_scale_f64 v[108:109], vcc, 1.0, v[90:91], 1.0
	v_mul_f64 v[110:111], v[108:109], v[106:107]
	v_fma_f64 v[88:89], -v[88:89], v[110:111], v[108:109]
	s_nop 1
	v_div_fmas_f64 v[88:89], v[88:89], v[106:107], v[110:111]
	v_div_fixup_f64 v[90:91], v[88:89], v[90:91], 1.0
	v_mul_f64 v[88:89], v[104:105], v[90:91]
	v_xor_b32_e32 v91, 0x80000000, v91
.LBB42_343:
	s_andn2_saveexec_b64 s[16:17], s[16:17]
	s_cbranch_execz .LBB42_345
; %bb.344:
	v_div_scale_f64 v[104:105], s[18:19], v[88:89], v[88:89], v[90:91]
	v_rcp_f64_e32 v[106:107], v[104:105]
	v_div_scale_f64 v[108:109], vcc, v[90:91], v[88:89], v[90:91]
	v_fma_f64 v[110:111], -v[104:105], v[106:107], 1.0
	v_fmac_f64_e32 v[106:107], v[106:107], v[110:111]
	v_fma_f64 v[110:111], -v[104:105], v[106:107], 1.0
	v_fmac_f64_e32 v[106:107], v[106:107], v[110:111]
	v_mul_f64 v[110:111], v[108:109], v[106:107]
	v_fma_f64 v[104:105], -v[104:105], v[110:111], v[108:109]
	v_div_fmas_f64 v[104:105], v[104:105], v[106:107], v[110:111]
	v_div_fixup_f64 v[104:105], v[104:105], v[88:89], v[90:91]
	v_fmac_f64_e32 v[88:89], v[90:91], v[104:105]
	v_div_scale_f64 v[90:91], s[18:19], v[88:89], v[88:89], 1.0
	v_rcp_f64_e32 v[106:107], v[90:91]
	s_nop 0
	v_fma_f64 v[108:109], -v[90:91], v[106:107], 1.0
	v_fmac_f64_e32 v[106:107], v[106:107], v[108:109]
	v_fma_f64 v[108:109], -v[90:91], v[106:107], 1.0
	v_fmac_f64_e32 v[106:107], v[106:107], v[108:109]
	v_div_scale_f64 v[108:109], vcc, 1.0, v[88:89], 1.0
	v_mul_f64 v[110:111], v[108:109], v[106:107]
	v_fma_f64 v[90:91], -v[90:91], v[110:111], v[108:109]
	s_nop 1
	v_div_fmas_f64 v[90:91], v[90:91], v[106:107], v[110:111]
	v_div_fixup_f64 v[88:89], v[90:91], v[88:89], 1.0
	v_mul_f64 v[90:91], v[104:105], -v[88:89]
.LBB42_345:
	s_or_b64 exec, exec, s[16:17]
.LBB42_346:
	s_or_b64 exec, exec, s[0:1]
	v_cmp_ne_u32_e32 vcc, v101, v98
	s_and_saveexec_b64 s[0:1], vcc
	s_xor_b64 s[0:1], exec, s[0:1]
	s_cbranch_execz .LBB42_352
; %bb.347:
	v_cmp_eq_u32_e32 vcc, 16, v101
	s_and_saveexec_b64 s[16:17], vcc
	s_cbranch_execz .LBB42_351
; %bb.348:
	v_cmp_ne_u32_e32 vcc, 16, v98
	s_xor_b64 s[18:19], s[14:15], -1
	s_and_b64 s[22:23], s[18:19], vcc
	s_and_saveexec_b64 s[18:19], s[22:23]
	s_cbranch_execz .LBB42_350
; %bb.349:
	v_ashrrev_i32_e32 v99, 31, v98
	v_lshl_add_u64 v[104:105], v[98:99], 2, v[96:97]
	global_load_dword v99, v[104:105], off
	global_load_dword v101, v[96:97], off offset:64
	s_waitcnt vmcnt(1)
	global_store_dword v[96:97], v99, off offset:64
	s_waitcnt vmcnt(1)
	global_store_dword v[104:105], v101, off
.LBB42_350:
	s_or_b64 exec, exec, s[18:19]
	v_mov_b32_e32 v101, v98
	v_mov_b32_e32 v102, v98
.LBB42_351:
	s_or_b64 exec, exec, s[16:17]
.LBB42_352:
	s_andn2_saveexec_b64 s[0:1], s[0:1]
	s_cbranch_execz .LBB42_354
; %bb.353:
	v_mov_b32_e32 v101, 16
	s_waitcnt vmcnt(4)
	ds_write2_b64 v100, v[12:13], v[14:15] offset0:34 offset1:35
	s_waitcnt vmcnt(3)
	ds_write2_b64 v100, v[4:5], v[6:7] offset0:36 offset1:37
	;; [unrolled: 2-line block ×5, first 2 shown]
.LBB42_354:
	s_or_b64 exec, exec, s[0:1]
	v_cmp_lt_i32_e32 vcc, 16, v101
	s_waitcnt lgkmcnt(0)
	s_barrier
	s_and_saveexec_b64 s[0:1], vcc
	s_cbranch_execz .LBB42_356
; %bb.355:
	ds_read2_b64 v[104:107], v100 offset0:34 offset1:35
	v_mul_f64 v[98:99], v[88:89], v[18:19]
	v_fmac_f64_e32 v[98:99], v[90:91], v[16:17]
	v_mul_f64 v[18:19], v[90:91], v[18:19]
	v_fma_f64 v[16:17], v[88:89], v[16:17], -v[18:19]
	ds_read2_b64 v[88:91], v100 offset0:36 offset1:37
	s_waitcnt lgkmcnt(1)
	v_mul_f64 v[18:19], v[106:107], v[98:99]
	v_fma_f64 v[18:19], v[104:105], v[16:17], -v[18:19]
	v_mul_f64 v[104:105], v[104:105], v[98:99]
	v_fmac_f64_e32 v[104:105], v[106:107], v[16:17]
	s_waitcnt vmcnt(4)
	v_add_f64 v[14:15], v[14:15], -v[104:105]
	ds_read2_b64 v[104:107], v100 offset0:38 offset1:39
	v_add_f64 v[12:13], v[12:13], -v[18:19]
	s_waitcnt lgkmcnt(1)
	v_mul_f64 v[18:19], v[90:91], v[98:99]
	v_fma_f64 v[18:19], v[88:89], v[16:17], -v[18:19]
	v_mul_f64 v[88:89], v[88:89], v[98:99]
	v_fmac_f64_e32 v[88:89], v[90:91], v[16:17]
	s_waitcnt vmcnt(3)
	v_add_f64 v[4:5], v[4:5], -v[18:19]
	v_add_f64 v[6:7], v[6:7], -v[88:89]
	ds_read2_b64 v[88:91], v100 offset0:40 offset1:41
	s_waitcnt lgkmcnt(1)
	v_mul_f64 v[18:19], v[106:107], v[98:99]
	v_fma_f64 v[18:19], v[104:105], v[16:17], -v[18:19]
	v_mul_f64 v[104:105], v[104:105], v[98:99]
	v_fmac_f64_e32 v[104:105], v[106:107], v[16:17]
	s_waitcnt vmcnt(2)
	v_add_f64 v[10:11], v[10:11], -v[104:105]
	ds_read2_b64 v[104:107], v100 offset0:42 offset1:43
	v_add_f64 v[8:9], v[8:9], -v[18:19]
	s_waitcnt lgkmcnt(1)
	v_mul_f64 v[18:19], v[90:91], v[98:99]
	v_fma_f64 v[18:19], v[88:89], v[16:17], -v[18:19]
	v_mul_f64 v[88:89], v[88:89], v[98:99]
	v_fmac_f64_e32 v[88:89], v[90:91], v[16:17]
	s_waitcnt vmcnt(1)
	v_add_f64 v[0:1], v[0:1], -v[18:19]
	v_add_f64 v[2:3], v[2:3], -v[88:89]
	s_waitcnt lgkmcnt(0)
	v_mul_f64 v[18:19], v[106:107], v[98:99]
	v_mul_f64 v[88:89], v[104:105], v[98:99]
	v_fma_f64 v[18:19], v[104:105], v[16:17], -v[18:19]
	v_fmac_f64_e32 v[88:89], v[106:107], v[16:17]
	s_waitcnt vmcnt(0)
	v_add_f64 v[84:85], v[84:85], -v[18:19]
	v_add_f64 v[86:87], v[86:87], -v[88:89]
	v_mov_b64_e32 v[18:19], v[98:99]
.LBB42_356:
	s_or_b64 exec, exec, s[0:1]
	v_lshl_add_u32 v88, v101, 4, v100
	s_barrier
	s_waitcnt vmcnt(4)
	ds_write2_b64 v88, v[12:13], v[14:15] offset1:1
	s_waitcnt lgkmcnt(0)
	s_barrier
	ds_read2_b64 v[88:91], v100 offset0:34 offset1:35
	s_cmp_lt_i32 s20, 19
	v_mov_b32_e32 v98, 17
	s_cbranch_scc1 .LBB42_359
; %bb.357:
	v_add_u32_e32 v99, 0x120, v100
	s_mov_b32 s16, 18
	v_mov_b32_e32 v98, 17
.LBB42_358:                             ; =>This Inner Loop Header: Depth=1
	ds_read2_b64 v[104:107], v99 offset1:1
	s_waitcnt lgkmcnt(1)
	v_xor_b32_e32 v109, 0x80000000, v89
	v_xor_b32_e32 v111, 0x80000000, v91
	v_cmp_gt_f64_e32 vcc, 0, v[90:91]
	v_cmp_gt_f64_e64 s[0:1], 0, v[88:89]
	v_mov_b32_e32 v108, v88
	v_mov_b32_e32 v110, v90
	v_cndmask_b32_e64 v109, v89, v109, s[0:1]
	v_cndmask_b32_e32 v111, v91, v111, vcc
	v_add_f64 v[108:109], v[108:109], v[110:111]
	s_waitcnt lgkmcnt(0)
	v_xor_b32_e32 v111, 0x80000000, v105
	v_xor_b32_e32 v113, 0x80000000, v107
	v_cmp_gt_f64_e32 vcc, 0, v[106:107]
	v_cmp_gt_f64_e64 s[0:1], 0, v[104:105]
	v_mov_b32_e32 v110, v104
	v_mov_b32_e32 v112, v106
	v_cndmask_b32_e64 v111, v105, v111, s[0:1]
	v_cndmask_b32_e32 v113, v107, v113, vcc
	v_add_f64 v[110:111], v[110:111], v[112:113]
	v_mov_b32_e32 v114, s16
	s_add_i32 s16, s16, 1
	v_cmp_lt_f64_e32 vcc, v[108:109], v[110:111]
	v_add_u32_e32 v99, 16, v99
	s_cmp_lg_u32 s20, s16
	v_cndmask_b32_e32 v89, v89, v105, vcc
	v_cndmask_b32_e32 v88, v88, v104, vcc
	;; [unrolled: 1-line block ×5, first 2 shown]
	s_cbranch_scc1 .LBB42_358
.LBB42_359:
	s_waitcnt lgkmcnt(0)
	v_cmp_eq_f64_e32 vcc, 0, v[88:89]
	v_cmp_eq_f64_e64 s[0:1], 0, v[90:91]
	s_and_b64 s[0:1], vcc, s[0:1]
	s_and_saveexec_b64 s[16:17], s[0:1]
	s_xor_b64 s[0:1], exec, s[16:17]
; %bb.360:
	v_cmp_ne_u32_e32 vcc, 0, v103
	s_nop 1
	v_cndmask_b32_e32 v103, 18, v103, vcc
; %bb.361:
	s_andn2_saveexec_b64 s[0:1], s[0:1]
	s_cbranch_execz .LBB42_367
; %bb.362:
	v_cmp_ngt_f64_e64 s[16:17], |v[88:89]|, |v[90:91]|
	s_and_saveexec_b64 s[18:19], s[16:17]
	s_xor_b64 s[16:17], exec, s[18:19]
	s_cbranch_execz .LBB42_364
; %bb.363:
	v_div_scale_f64 v[104:105], s[18:19], v[90:91], v[90:91], v[88:89]
	v_rcp_f64_e32 v[106:107], v[104:105]
	v_div_scale_f64 v[108:109], vcc, v[88:89], v[90:91], v[88:89]
	v_fma_f64 v[110:111], -v[104:105], v[106:107], 1.0
	v_fmac_f64_e32 v[106:107], v[106:107], v[110:111]
	v_fma_f64 v[110:111], -v[104:105], v[106:107], 1.0
	v_fmac_f64_e32 v[106:107], v[106:107], v[110:111]
	v_mul_f64 v[110:111], v[108:109], v[106:107]
	v_fma_f64 v[104:105], -v[104:105], v[110:111], v[108:109]
	v_div_fmas_f64 v[104:105], v[104:105], v[106:107], v[110:111]
	v_div_fixup_f64 v[104:105], v[104:105], v[90:91], v[88:89]
	v_fmac_f64_e32 v[90:91], v[88:89], v[104:105]
	v_div_scale_f64 v[88:89], s[18:19], v[90:91], v[90:91], 1.0
	v_rcp_f64_e32 v[106:107], v[88:89]
	s_nop 0
	v_fma_f64 v[108:109], -v[88:89], v[106:107], 1.0
	v_fmac_f64_e32 v[106:107], v[106:107], v[108:109]
	v_fma_f64 v[108:109], -v[88:89], v[106:107], 1.0
	v_fmac_f64_e32 v[106:107], v[106:107], v[108:109]
	v_div_scale_f64 v[108:109], vcc, 1.0, v[90:91], 1.0
	v_mul_f64 v[110:111], v[108:109], v[106:107]
	v_fma_f64 v[88:89], -v[88:89], v[110:111], v[108:109]
	s_nop 1
	v_div_fmas_f64 v[88:89], v[88:89], v[106:107], v[110:111]
	v_div_fixup_f64 v[90:91], v[88:89], v[90:91], 1.0
	v_mul_f64 v[88:89], v[104:105], v[90:91]
	v_xor_b32_e32 v91, 0x80000000, v91
.LBB42_364:
	s_andn2_saveexec_b64 s[16:17], s[16:17]
	s_cbranch_execz .LBB42_366
; %bb.365:
	v_div_scale_f64 v[104:105], s[18:19], v[88:89], v[88:89], v[90:91]
	v_rcp_f64_e32 v[106:107], v[104:105]
	v_div_scale_f64 v[108:109], vcc, v[90:91], v[88:89], v[90:91]
	v_fma_f64 v[110:111], -v[104:105], v[106:107], 1.0
	v_fmac_f64_e32 v[106:107], v[106:107], v[110:111]
	v_fma_f64 v[110:111], -v[104:105], v[106:107], 1.0
	v_fmac_f64_e32 v[106:107], v[106:107], v[110:111]
	v_mul_f64 v[110:111], v[108:109], v[106:107]
	v_fma_f64 v[104:105], -v[104:105], v[110:111], v[108:109]
	v_div_fmas_f64 v[104:105], v[104:105], v[106:107], v[110:111]
	v_div_fixup_f64 v[104:105], v[104:105], v[88:89], v[90:91]
	v_fmac_f64_e32 v[88:89], v[90:91], v[104:105]
	v_div_scale_f64 v[90:91], s[18:19], v[88:89], v[88:89], 1.0
	v_rcp_f64_e32 v[106:107], v[90:91]
	s_nop 0
	v_fma_f64 v[108:109], -v[90:91], v[106:107], 1.0
	v_fmac_f64_e32 v[106:107], v[106:107], v[108:109]
	v_fma_f64 v[108:109], -v[90:91], v[106:107], 1.0
	v_fmac_f64_e32 v[106:107], v[106:107], v[108:109]
	v_div_scale_f64 v[108:109], vcc, 1.0, v[88:89], 1.0
	v_mul_f64 v[110:111], v[108:109], v[106:107]
	v_fma_f64 v[90:91], -v[90:91], v[110:111], v[108:109]
	s_nop 1
	v_div_fmas_f64 v[90:91], v[90:91], v[106:107], v[110:111]
	v_div_fixup_f64 v[88:89], v[90:91], v[88:89], 1.0
	v_mul_f64 v[90:91], v[104:105], -v[88:89]
.LBB42_366:
	s_or_b64 exec, exec, s[16:17]
.LBB42_367:
	s_or_b64 exec, exec, s[0:1]
	v_cmp_ne_u32_e32 vcc, v101, v98
	s_and_saveexec_b64 s[0:1], vcc
	s_xor_b64 s[0:1], exec, s[0:1]
	s_cbranch_execz .LBB42_373
; %bb.368:
	v_cmp_eq_u32_e32 vcc, 17, v101
	s_and_saveexec_b64 s[16:17], vcc
	s_cbranch_execz .LBB42_372
; %bb.369:
	v_cmp_ne_u32_e32 vcc, 17, v98
	s_xor_b64 s[18:19], s[14:15], -1
	s_and_b64 s[22:23], s[18:19], vcc
	s_and_saveexec_b64 s[18:19], s[22:23]
	s_cbranch_execz .LBB42_371
; %bb.370:
	v_ashrrev_i32_e32 v99, 31, v98
	v_lshl_add_u64 v[104:105], v[98:99], 2, v[96:97]
	global_load_dword v99, v[104:105], off
	global_load_dword v101, v[96:97], off offset:68
	s_waitcnt vmcnt(1)
	global_store_dword v[96:97], v99, off offset:68
	s_waitcnt vmcnt(1)
	global_store_dword v[104:105], v101, off
.LBB42_371:
	s_or_b64 exec, exec, s[18:19]
	v_mov_b32_e32 v101, v98
	v_mov_b32_e32 v102, v98
.LBB42_372:
	s_or_b64 exec, exec, s[16:17]
.LBB42_373:
	s_andn2_saveexec_b64 s[0:1], s[0:1]
	s_cbranch_execz .LBB42_375
; %bb.374:
	v_mov_b32_e32 v101, 17
	s_waitcnt vmcnt(3)
	ds_write2_b64 v100, v[4:5], v[6:7] offset0:36 offset1:37
	s_waitcnt vmcnt(2)
	ds_write2_b64 v100, v[8:9], v[10:11] offset0:38 offset1:39
	;; [unrolled: 2-line block ×4, first 2 shown]
.LBB42_375:
	s_or_b64 exec, exec, s[0:1]
	v_cmp_lt_i32_e32 vcc, 17, v101
	s_waitcnt lgkmcnt(0)
	s_barrier
	s_and_saveexec_b64 s[0:1], vcc
	s_cbranch_execz .LBB42_377
; %bb.376:
	ds_read2_b64 v[104:107], v100 offset0:36 offset1:37
	v_mul_f64 v[98:99], v[88:89], v[14:15]
	v_mul_f64 v[14:15], v[90:91], v[14:15]
	v_fmac_f64_e32 v[98:99], v[90:91], v[12:13]
	v_fma_f64 v[12:13], v[88:89], v[12:13], -v[14:15]
	ds_read2_b64 v[88:91], v100 offset0:38 offset1:39
	s_waitcnt lgkmcnt(1)
	v_mul_f64 v[14:15], v[106:107], v[98:99]
	v_fma_f64 v[14:15], v[104:105], v[12:13], -v[14:15]
	v_mul_f64 v[104:105], v[104:105], v[98:99]
	v_fmac_f64_e32 v[104:105], v[106:107], v[12:13]
	s_waitcnt vmcnt(3)
	v_add_f64 v[4:5], v[4:5], -v[14:15]
	s_waitcnt lgkmcnt(0)
	v_mul_f64 v[14:15], v[90:91], v[98:99]
	v_add_f64 v[6:7], v[6:7], -v[104:105]
	v_fma_f64 v[14:15], v[88:89], v[12:13], -v[14:15]
	v_mul_f64 v[88:89], v[88:89], v[98:99]
	ds_read2_b64 v[104:107], v100 offset0:40 offset1:41
	v_fmac_f64_e32 v[88:89], v[90:91], v[12:13]
	s_waitcnt vmcnt(2)
	v_add_f64 v[10:11], v[10:11], -v[88:89]
	ds_read2_b64 v[88:91], v100 offset0:42 offset1:43
	v_add_f64 v[8:9], v[8:9], -v[14:15]
	s_waitcnt lgkmcnt(1)
	v_mul_f64 v[14:15], v[106:107], v[98:99]
	v_fma_f64 v[14:15], v[104:105], v[12:13], -v[14:15]
	s_waitcnt vmcnt(1)
	v_add_f64 v[0:1], v[0:1], -v[14:15]
	s_waitcnt lgkmcnt(0)
	v_mul_f64 v[14:15], v[90:91], v[98:99]
	v_mul_f64 v[104:105], v[104:105], v[98:99]
	v_fma_f64 v[14:15], v[88:89], v[12:13], -v[14:15]
	v_mul_f64 v[88:89], v[88:89], v[98:99]
	v_fmac_f64_e32 v[104:105], v[106:107], v[12:13]
	v_fmac_f64_e32 v[88:89], v[90:91], v[12:13]
	v_add_f64 v[2:3], v[2:3], -v[104:105]
	s_waitcnt vmcnt(0)
	v_add_f64 v[84:85], v[84:85], -v[14:15]
	v_add_f64 v[86:87], v[86:87], -v[88:89]
	v_mov_b64_e32 v[14:15], v[98:99]
.LBB42_377:
	s_or_b64 exec, exec, s[0:1]
	v_lshl_add_u32 v88, v101, 4, v100
	s_barrier
	s_waitcnt vmcnt(3)
	ds_write2_b64 v88, v[4:5], v[6:7] offset1:1
	s_waitcnt lgkmcnt(0)
	s_barrier
	ds_read2_b64 v[88:91], v100 offset0:36 offset1:37
	s_cmp_lt_i32 s20, 20
	v_mov_b32_e32 v98, 18
	s_cbranch_scc1 .LBB42_380
; %bb.378:
	v_add_u32_e32 v99, 0x130, v100
	s_mov_b32 s16, 19
	v_mov_b32_e32 v98, 18
.LBB42_379:                             ; =>This Inner Loop Header: Depth=1
	ds_read2_b64 v[104:107], v99 offset1:1
	s_waitcnt lgkmcnt(1)
	v_xor_b32_e32 v109, 0x80000000, v89
	v_xor_b32_e32 v111, 0x80000000, v91
	v_cmp_gt_f64_e32 vcc, 0, v[90:91]
	v_cmp_gt_f64_e64 s[0:1], 0, v[88:89]
	v_mov_b32_e32 v108, v88
	v_mov_b32_e32 v110, v90
	v_cndmask_b32_e64 v109, v89, v109, s[0:1]
	v_cndmask_b32_e32 v111, v91, v111, vcc
	v_add_f64 v[108:109], v[108:109], v[110:111]
	s_waitcnt lgkmcnt(0)
	v_xor_b32_e32 v111, 0x80000000, v105
	v_xor_b32_e32 v113, 0x80000000, v107
	v_cmp_gt_f64_e32 vcc, 0, v[106:107]
	v_cmp_gt_f64_e64 s[0:1], 0, v[104:105]
	v_mov_b32_e32 v110, v104
	v_mov_b32_e32 v112, v106
	v_cndmask_b32_e64 v111, v105, v111, s[0:1]
	v_cndmask_b32_e32 v113, v107, v113, vcc
	v_add_f64 v[110:111], v[110:111], v[112:113]
	v_mov_b32_e32 v114, s16
	s_add_i32 s16, s16, 1
	v_cmp_lt_f64_e32 vcc, v[108:109], v[110:111]
	v_add_u32_e32 v99, 16, v99
	s_cmp_lg_u32 s20, s16
	v_cndmask_b32_e32 v89, v89, v105, vcc
	v_cndmask_b32_e32 v88, v88, v104, vcc
	;; [unrolled: 1-line block ×5, first 2 shown]
	s_cbranch_scc1 .LBB42_379
.LBB42_380:
	s_waitcnt lgkmcnt(0)
	v_cmp_eq_f64_e32 vcc, 0, v[88:89]
	v_cmp_eq_f64_e64 s[0:1], 0, v[90:91]
	s_and_b64 s[0:1], vcc, s[0:1]
	s_and_saveexec_b64 s[16:17], s[0:1]
	s_xor_b64 s[0:1], exec, s[16:17]
; %bb.381:
	v_cmp_ne_u32_e32 vcc, 0, v103
	s_nop 1
	v_cndmask_b32_e32 v103, 19, v103, vcc
; %bb.382:
	s_andn2_saveexec_b64 s[0:1], s[0:1]
	s_cbranch_execz .LBB42_388
; %bb.383:
	v_cmp_ngt_f64_e64 s[16:17], |v[88:89]|, |v[90:91]|
	s_and_saveexec_b64 s[18:19], s[16:17]
	s_xor_b64 s[16:17], exec, s[18:19]
	s_cbranch_execz .LBB42_385
; %bb.384:
	v_div_scale_f64 v[104:105], s[18:19], v[90:91], v[90:91], v[88:89]
	v_rcp_f64_e32 v[106:107], v[104:105]
	v_div_scale_f64 v[108:109], vcc, v[88:89], v[90:91], v[88:89]
	v_fma_f64 v[110:111], -v[104:105], v[106:107], 1.0
	v_fmac_f64_e32 v[106:107], v[106:107], v[110:111]
	v_fma_f64 v[110:111], -v[104:105], v[106:107], 1.0
	v_fmac_f64_e32 v[106:107], v[106:107], v[110:111]
	v_mul_f64 v[110:111], v[108:109], v[106:107]
	v_fma_f64 v[104:105], -v[104:105], v[110:111], v[108:109]
	v_div_fmas_f64 v[104:105], v[104:105], v[106:107], v[110:111]
	v_div_fixup_f64 v[104:105], v[104:105], v[90:91], v[88:89]
	v_fmac_f64_e32 v[90:91], v[88:89], v[104:105]
	v_div_scale_f64 v[88:89], s[18:19], v[90:91], v[90:91], 1.0
	v_rcp_f64_e32 v[106:107], v[88:89]
	s_nop 0
	v_fma_f64 v[108:109], -v[88:89], v[106:107], 1.0
	v_fmac_f64_e32 v[106:107], v[106:107], v[108:109]
	v_fma_f64 v[108:109], -v[88:89], v[106:107], 1.0
	v_fmac_f64_e32 v[106:107], v[106:107], v[108:109]
	v_div_scale_f64 v[108:109], vcc, 1.0, v[90:91], 1.0
	v_mul_f64 v[110:111], v[108:109], v[106:107]
	v_fma_f64 v[88:89], -v[88:89], v[110:111], v[108:109]
	s_nop 1
	v_div_fmas_f64 v[88:89], v[88:89], v[106:107], v[110:111]
	v_div_fixup_f64 v[90:91], v[88:89], v[90:91], 1.0
	v_mul_f64 v[88:89], v[104:105], v[90:91]
	v_xor_b32_e32 v91, 0x80000000, v91
.LBB42_385:
	s_andn2_saveexec_b64 s[16:17], s[16:17]
	s_cbranch_execz .LBB42_387
; %bb.386:
	v_div_scale_f64 v[104:105], s[18:19], v[88:89], v[88:89], v[90:91]
	v_rcp_f64_e32 v[106:107], v[104:105]
	v_div_scale_f64 v[108:109], vcc, v[90:91], v[88:89], v[90:91]
	v_fma_f64 v[110:111], -v[104:105], v[106:107], 1.0
	v_fmac_f64_e32 v[106:107], v[106:107], v[110:111]
	v_fma_f64 v[110:111], -v[104:105], v[106:107], 1.0
	v_fmac_f64_e32 v[106:107], v[106:107], v[110:111]
	v_mul_f64 v[110:111], v[108:109], v[106:107]
	v_fma_f64 v[104:105], -v[104:105], v[110:111], v[108:109]
	v_div_fmas_f64 v[104:105], v[104:105], v[106:107], v[110:111]
	v_div_fixup_f64 v[104:105], v[104:105], v[88:89], v[90:91]
	v_fmac_f64_e32 v[88:89], v[90:91], v[104:105]
	v_div_scale_f64 v[90:91], s[18:19], v[88:89], v[88:89], 1.0
	v_rcp_f64_e32 v[106:107], v[90:91]
	s_nop 0
	v_fma_f64 v[108:109], -v[90:91], v[106:107], 1.0
	v_fmac_f64_e32 v[106:107], v[106:107], v[108:109]
	v_fma_f64 v[108:109], -v[90:91], v[106:107], 1.0
	v_fmac_f64_e32 v[106:107], v[106:107], v[108:109]
	v_div_scale_f64 v[108:109], vcc, 1.0, v[88:89], 1.0
	v_mul_f64 v[110:111], v[108:109], v[106:107]
	v_fma_f64 v[90:91], -v[90:91], v[110:111], v[108:109]
	s_nop 1
	v_div_fmas_f64 v[90:91], v[90:91], v[106:107], v[110:111]
	v_div_fixup_f64 v[88:89], v[90:91], v[88:89], 1.0
	v_mul_f64 v[90:91], v[104:105], -v[88:89]
.LBB42_387:
	s_or_b64 exec, exec, s[16:17]
.LBB42_388:
	s_or_b64 exec, exec, s[0:1]
	v_cmp_ne_u32_e32 vcc, v101, v98
	s_and_saveexec_b64 s[0:1], vcc
	s_xor_b64 s[0:1], exec, s[0:1]
	s_cbranch_execz .LBB42_394
; %bb.389:
	v_cmp_eq_u32_e32 vcc, 18, v101
	s_and_saveexec_b64 s[16:17], vcc
	s_cbranch_execz .LBB42_393
; %bb.390:
	v_cmp_ne_u32_e32 vcc, 18, v98
	s_xor_b64 s[18:19], s[14:15], -1
	s_and_b64 s[22:23], s[18:19], vcc
	s_and_saveexec_b64 s[18:19], s[22:23]
	s_cbranch_execz .LBB42_392
; %bb.391:
	v_ashrrev_i32_e32 v99, 31, v98
	v_lshl_add_u64 v[104:105], v[98:99], 2, v[96:97]
	global_load_dword v99, v[104:105], off
	global_load_dword v101, v[96:97], off offset:72
	s_waitcnt vmcnt(1)
	global_store_dword v[96:97], v99, off offset:72
	s_waitcnt vmcnt(1)
	global_store_dword v[104:105], v101, off
.LBB42_392:
	s_or_b64 exec, exec, s[18:19]
	v_mov_b32_e32 v101, v98
	v_mov_b32_e32 v102, v98
.LBB42_393:
	s_or_b64 exec, exec, s[16:17]
.LBB42_394:
	s_andn2_saveexec_b64 s[0:1], s[0:1]
	s_cbranch_execz .LBB42_396
; %bb.395:
	v_mov_b32_e32 v101, 18
	s_waitcnt vmcnt(2)
	ds_write2_b64 v100, v[8:9], v[10:11] offset0:38 offset1:39
	s_waitcnt vmcnt(1)
	ds_write2_b64 v100, v[0:1], v[2:3] offset0:40 offset1:41
	;; [unrolled: 2-line block ×3, first 2 shown]
.LBB42_396:
	s_or_b64 exec, exec, s[0:1]
	v_cmp_lt_i32_e32 vcc, 18, v101
	s_waitcnt lgkmcnt(0)
	s_barrier
	s_and_saveexec_b64 s[0:1], vcc
	s_cbranch_execz .LBB42_398
; %bb.397:
	ds_read2_b64 v[104:107], v100 offset0:38 offset1:39
	v_mul_f64 v[98:99], v[88:89], v[6:7]
	v_fmac_f64_e32 v[98:99], v[90:91], v[4:5]
	v_mul_f64 v[6:7], v[90:91], v[6:7]
	v_fma_f64 v[4:5], v[88:89], v[4:5], -v[6:7]
	ds_read2_b64 v[88:91], v100 offset0:40 offset1:41
	s_waitcnt lgkmcnt(1)
	v_mul_f64 v[6:7], v[106:107], v[98:99]
	v_fma_f64 v[6:7], v[104:105], v[4:5], -v[6:7]
	v_mul_f64 v[104:105], v[104:105], v[98:99]
	v_fmac_f64_e32 v[104:105], v[106:107], v[4:5]
	s_waitcnt vmcnt(2)
	v_add_f64 v[10:11], v[10:11], -v[104:105]
	ds_read2_b64 v[104:107], v100 offset0:42 offset1:43
	v_add_f64 v[8:9], v[8:9], -v[6:7]
	s_waitcnt lgkmcnt(1)
	v_mul_f64 v[6:7], v[90:91], v[98:99]
	v_fma_f64 v[6:7], v[88:89], v[4:5], -v[6:7]
	v_mul_f64 v[88:89], v[88:89], v[98:99]
	v_fmac_f64_e32 v[88:89], v[90:91], v[4:5]
	s_waitcnt vmcnt(1)
	v_add_f64 v[0:1], v[0:1], -v[6:7]
	v_add_f64 v[2:3], v[2:3], -v[88:89]
	s_waitcnt lgkmcnt(0)
	v_mul_f64 v[6:7], v[106:107], v[98:99]
	v_mul_f64 v[88:89], v[104:105], v[98:99]
	v_fma_f64 v[6:7], v[104:105], v[4:5], -v[6:7]
	v_fmac_f64_e32 v[88:89], v[106:107], v[4:5]
	s_waitcnt vmcnt(0)
	v_add_f64 v[84:85], v[84:85], -v[6:7]
	v_add_f64 v[86:87], v[86:87], -v[88:89]
	v_mov_b64_e32 v[6:7], v[98:99]
.LBB42_398:
	s_or_b64 exec, exec, s[0:1]
	v_lshl_add_u32 v88, v101, 4, v100
	s_barrier
	s_waitcnt vmcnt(2)
	ds_write2_b64 v88, v[8:9], v[10:11] offset1:1
	s_waitcnt lgkmcnt(0)
	s_barrier
	ds_read2_b64 v[88:91], v100 offset0:38 offset1:39
	s_cmp_lt_i32 s20, 21
	v_mov_b32_e32 v98, 19
	s_cbranch_scc1 .LBB42_401
; %bb.399:
	v_add_u32_e32 v99, 0x140, v100
	s_mov_b32 s16, 20
	v_mov_b32_e32 v98, 19
.LBB42_400:                             ; =>This Inner Loop Header: Depth=1
	ds_read2_b64 v[104:107], v99 offset1:1
	s_waitcnt lgkmcnt(1)
	v_xor_b32_e32 v109, 0x80000000, v89
	v_xor_b32_e32 v111, 0x80000000, v91
	v_cmp_gt_f64_e32 vcc, 0, v[90:91]
	v_cmp_gt_f64_e64 s[0:1], 0, v[88:89]
	v_mov_b32_e32 v108, v88
	v_mov_b32_e32 v110, v90
	v_cndmask_b32_e64 v109, v89, v109, s[0:1]
	v_cndmask_b32_e32 v111, v91, v111, vcc
	v_add_f64 v[108:109], v[108:109], v[110:111]
	s_waitcnt lgkmcnt(0)
	v_xor_b32_e32 v111, 0x80000000, v105
	v_xor_b32_e32 v113, 0x80000000, v107
	v_cmp_gt_f64_e32 vcc, 0, v[106:107]
	v_cmp_gt_f64_e64 s[0:1], 0, v[104:105]
	v_mov_b32_e32 v110, v104
	v_mov_b32_e32 v112, v106
	v_cndmask_b32_e64 v111, v105, v111, s[0:1]
	v_cndmask_b32_e32 v113, v107, v113, vcc
	v_add_f64 v[110:111], v[110:111], v[112:113]
	v_mov_b32_e32 v114, s16
	s_add_i32 s16, s16, 1
	v_cmp_lt_f64_e32 vcc, v[108:109], v[110:111]
	v_add_u32_e32 v99, 16, v99
	s_cmp_lg_u32 s20, s16
	v_cndmask_b32_e32 v89, v89, v105, vcc
	v_cndmask_b32_e32 v88, v88, v104, vcc
	;; [unrolled: 1-line block ×5, first 2 shown]
	s_cbranch_scc1 .LBB42_400
.LBB42_401:
	s_waitcnt lgkmcnt(0)
	v_cmp_eq_f64_e32 vcc, 0, v[88:89]
	v_cmp_eq_f64_e64 s[0:1], 0, v[90:91]
	s_and_b64 s[0:1], vcc, s[0:1]
	s_and_saveexec_b64 s[16:17], s[0:1]
	s_xor_b64 s[0:1], exec, s[16:17]
; %bb.402:
	v_cmp_ne_u32_e32 vcc, 0, v103
	s_nop 1
	v_cndmask_b32_e32 v103, 20, v103, vcc
; %bb.403:
	s_andn2_saveexec_b64 s[0:1], s[0:1]
	s_cbranch_execz .LBB42_409
; %bb.404:
	v_cmp_ngt_f64_e64 s[16:17], |v[88:89]|, |v[90:91]|
	s_and_saveexec_b64 s[18:19], s[16:17]
	s_xor_b64 s[16:17], exec, s[18:19]
	s_cbranch_execz .LBB42_406
; %bb.405:
	v_div_scale_f64 v[104:105], s[18:19], v[90:91], v[90:91], v[88:89]
	v_rcp_f64_e32 v[106:107], v[104:105]
	v_div_scale_f64 v[108:109], vcc, v[88:89], v[90:91], v[88:89]
	v_fma_f64 v[110:111], -v[104:105], v[106:107], 1.0
	v_fmac_f64_e32 v[106:107], v[106:107], v[110:111]
	v_fma_f64 v[110:111], -v[104:105], v[106:107], 1.0
	v_fmac_f64_e32 v[106:107], v[106:107], v[110:111]
	v_mul_f64 v[110:111], v[108:109], v[106:107]
	v_fma_f64 v[104:105], -v[104:105], v[110:111], v[108:109]
	v_div_fmas_f64 v[104:105], v[104:105], v[106:107], v[110:111]
	v_div_fixup_f64 v[104:105], v[104:105], v[90:91], v[88:89]
	v_fmac_f64_e32 v[90:91], v[88:89], v[104:105]
	v_div_scale_f64 v[88:89], s[18:19], v[90:91], v[90:91], 1.0
	v_rcp_f64_e32 v[106:107], v[88:89]
	s_nop 0
	v_fma_f64 v[108:109], -v[88:89], v[106:107], 1.0
	v_fmac_f64_e32 v[106:107], v[106:107], v[108:109]
	v_fma_f64 v[108:109], -v[88:89], v[106:107], 1.0
	v_fmac_f64_e32 v[106:107], v[106:107], v[108:109]
	v_div_scale_f64 v[108:109], vcc, 1.0, v[90:91], 1.0
	v_mul_f64 v[110:111], v[108:109], v[106:107]
	v_fma_f64 v[88:89], -v[88:89], v[110:111], v[108:109]
	s_nop 1
	v_div_fmas_f64 v[88:89], v[88:89], v[106:107], v[110:111]
	v_div_fixup_f64 v[90:91], v[88:89], v[90:91], 1.0
	v_mul_f64 v[88:89], v[104:105], v[90:91]
	v_xor_b32_e32 v91, 0x80000000, v91
.LBB42_406:
	s_andn2_saveexec_b64 s[16:17], s[16:17]
	s_cbranch_execz .LBB42_408
; %bb.407:
	v_div_scale_f64 v[104:105], s[18:19], v[88:89], v[88:89], v[90:91]
	v_rcp_f64_e32 v[106:107], v[104:105]
	v_div_scale_f64 v[108:109], vcc, v[90:91], v[88:89], v[90:91]
	v_fma_f64 v[110:111], -v[104:105], v[106:107], 1.0
	v_fmac_f64_e32 v[106:107], v[106:107], v[110:111]
	v_fma_f64 v[110:111], -v[104:105], v[106:107], 1.0
	v_fmac_f64_e32 v[106:107], v[106:107], v[110:111]
	v_mul_f64 v[110:111], v[108:109], v[106:107]
	v_fma_f64 v[104:105], -v[104:105], v[110:111], v[108:109]
	v_div_fmas_f64 v[104:105], v[104:105], v[106:107], v[110:111]
	v_div_fixup_f64 v[104:105], v[104:105], v[88:89], v[90:91]
	v_fmac_f64_e32 v[88:89], v[90:91], v[104:105]
	v_div_scale_f64 v[90:91], s[18:19], v[88:89], v[88:89], 1.0
	v_rcp_f64_e32 v[106:107], v[90:91]
	s_nop 0
	v_fma_f64 v[108:109], -v[90:91], v[106:107], 1.0
	v_fmac_f64_e32 v[106:107], v[106:107], v[108:109]
	v_fma_f64 v[108:109], -v[90:91], v[106:107], 1.0
	v_fmac_f64_e32 v[106:107], v[106:107], v[108:109]
	v_div_scale_f64 v[108:109], vcc, 1.0, v[88:89], 1.0
	v_mul_f64 v[110:111], v[108:109], v[106:107]
	v_fma_f64 v[90:91], -v[90:91], v[110:111], v[108:109]
	s_nop 1
	v_div_fmas_f64 v[90:91], v[90:91], v[106:107], v[110:111]
	v_div_fixup_f64 v[88:89], v[90:91], v[88:89], 1.0
	v_mul_f64 v[90:91], v[104:105], -v[88:89]
.LBB42_408:
	s_or_b64 exec, exec, s[16:17]
.LBB42_409:
	s_or_b64 exec, exec, s[0:1]
	v_cmp_ne_u32_e32 vcc, v101, v98
	s_and_saveexec_b64 s[0:1], vcc
	s_xor_b64 s[0:1], exec, s[0:1]
	s_cbranch_execz .LBB42_415
; %bb.410:
	v_cmp_eq_u32_e32 vcc, 19, v101
	s_and_saveexec_b64 s[16:17], vcc
	s_cbranch_execz .LBB42_414
; %bb.411:
	v_cmp_ne_u32_e32 vcc, 19, v98
	s_xor_b64 s[18:19], s[14:15], -1
	s_and_b64 s[22:23], s[18:19], vcc
	s_and_saveexec_b64 s[18:19], s[22:23]
	s_cbranch_execz .LBB42_413
; %bb.412:
	v_ashrrev_i32_e32 v99, 31, v98
	v_lshl_add_u64 v[104:105], v[98:99], 2, v[96:97]
	global_load_dword v99, v[104:105], off
	global_load_dword v101, v[96:97], off offset:76
	s_waitcnt vmcnt(1)
	global_store_dword v[96:97], v99, off offset:76
	s_waitcnt vmcnt(1)
	global_store_dword v[104:105], v101, off
.LBB42_413:
	s_or_b64 exec, exec, s[18:19]
	v_mov_b32_e32 v101, v98
	v_mov_b32_e32 v102, v98
.LBB42_414:
	s_or_b64 exec, exec, s[16:17]
.LBB42_415:
	s_andn2_saveexec_b64 s[0:1], s[0:1]
	s_cbranch_execz .LBB42_417
; %bb.416:
	v_mov_b32_e32 v101, 19
	s_waitcnt vmcnt(1)
	ds_write2_b64 v100, v[0:1], v[2:3] offset0:40 offset1:41
	s_waitcnt vmcnt(0)
	ds_write2_b64 v100, v[84:85], v[86:87] offset0:42 offset1:43
.LBB42_417:
	s_or_b64 exec, exec, s[0:1]
	v_cmp_lt_i32_e32 vcc, 19, v101
	s_waitcnt lgkmcnt(0)
	s_barrier
	s_and_saveexec_b64 s[0:1], vcc
	s_cbranch_execz .LBB42_419
; %bb.418:
	ds_read2_b64 v[104:107], v100 offset0:40 offset1:41
	v_mul_f64 v[98:99], v[88:89], v[10:11]
	v_mul_f64 v[10:11], v[90:91], v[10:11]
	v_fmac_f64_e32 v[98:99], v[90:91], v[8:9]
	v_fma_f64 v[8:9], v[88:89], v[8:9], -v[10:11]
	ds_read2_b64 v[88:91], v100 offset0:42 offset1:43
	s_waitcnt lgkmcnt(1)
	v_mul_f64 v[10:11], v[106:107], v[98:99]
	v_fma_f64 v[10:11], v[104:105], v[8:9], -v[10:11]
	s_waitcnt vmcnt(1)
	v_add_f64 v[0:1], v[0:1], -v[10:11]
	v_mul_f64 v[104:105], v[104:105], v[98:99]
	s_waitcnt lgkmcnt(0)
	v_mul_f64 v[10:11], v[90:91], v[98:99]
	v_fma_f64 v[10:11], v[88:89], v[8:9], -v[10:11]
	v_mul_f64 v[88:89], v[88:89], v[98:99]
	v_fmac_f64_e32 v[104:105], v[106:107], v[8:9]
	v_fmac_f64_e32 v[88:89], v[90:91], v[8:9]
	v_add_f64 v[2:3], v[2:3], -v[104:105]
	s_waitcnt vmcnt(0)
	v_add_f64 v[84:85], v[84:85], -v[10:11]
	v_add_f64 v[86:87], v[86:87], -v[88:89]
	v_mov_b64_e32 v[10:11], v[98:99]
.LBB42_419:
	s_or_b64 exec, exec, s[0:1]
	v_lshl_add_u32 v88, v101, 4, v100
	s_barrier
	s_waitcnt vmcnt(1)
	ds_write2_b64 v88, v[0:1], v[2:3] offset1:1
	s_waitcnt lgkmcnt(0)
	s_barrier
	ds_read2_b64 v[88:91], v100 offset0:40 offset1:41
	s_cmp_lt_i32 s20, 22
	v_mov_b32_e32 v98, 20
	s_cbranch_scc1 .LBB42_422
; %bb.420:
	v_add_u32_e32 v99, 0x150, v100
	s_mov_b32 s16, 21
	v_mov_b32_e32 v98, 20
.LBB42_421:                             ; =>This Inner Loop Header: Depth=1
	ds_read2_b64 v[104:107], v99 offset1:1
	s_waitcnt lgkmcnt(1)
	v_xor_b32_e32 v109, 0x80000000, v89
	v_xor_b32_e32 v111, 0x80000000, v91
	v_cmp_gt_f64_e32 vcc, 0, v[90:91]
	v_cmp_gt_f64_e64 s[0:1], 0, v[88:89]
	v_mov_b32_e32 v108, v88
	v_mov_b32_e32 v110, v90
	v_cndmask_b32_e64 v109, v89, v109, s[0:1]
	v_cndmask_b32_e32 v111, v91, v111, vcc
	v_add_f64 v[108:109], v[108:109], v[110:111]
	s_waitcnt lgkmcnt(0)
	v_xor_b32_e32 v111, 0x80000000, v105
	v_xor_b32_e32 v113, 0x80000000, v107
	v_cmp_gt_f64_e32 vcc, 0, v[106:107]
	v_cmp_gt_f64_e64 s[0:1], 0, v[104:105]
	v_mov_b32_e32 v110, v104
	v_mov_b32_e32 v112, v106
	v_cndmask_b32_e64 v111, v105, v111, s[0:1]
	v_cndmask_b32_e32 v113, v107, v113, vcc
	v_add_f64 v[110:111], v[110:111], v[112:113]
	v_mov_b32_e32 v114, s16
	s_add_i32 s16, s16, 1
	v_cmp_lt_f64_e32 vcc, v[108:109], v[110:111]
	v_add_u32_e32 v99, 16, v99
	s_cmp_lg_u32 s20, s16
	v_cndmask_b32_e32 v89, v89, v105, vcc
	v_cndmask_b32_e32 v88, v88, v104, vcc
	;; [unrolled: 1-line block ×5, first 2 shown]
	s_cbranch_scc1 .LBB42_421
.LBB42_422:
	s_waitcnt lgkmcnt(0)
	v_cmp_eq_f64_e32 vcc, 0, v[88:89]
	v_cmp_eq_f64_e64 s[0:1], 0, v[90:91]
	s_and_b64 s[0:1], vcc, s[0:1]
	s_and_saveexec_b64 s[16:17], s[0:1]
	s_xor_b64 s[0:1], exec, s[16:17]
; %bb.423:
	v_cmp_ne_u32_e32 vcc, 0, v103
	s_nop 1
	v_cndmask_b32_e32 v103, 21, v103, vcc
; %bb.424:
	s_andn2_saveexec_b64 s[0:1], s[0:1]
	s_cbranch_execz .LBB42_430
; %bb.425:
	v_cmp_ngt_f64_e64 s[16:17], |v[88:89]|, |v[90:91]|
	s_and_saveexec_b64 s[18:19], s[16:17]
	s_xor_b64 s[16:17], exec, s[18:19]
	s_cbranch_execz .LBB42_427
; %bb.426:
	v_div_scale_f64 v[104:105], s[18:19], v[90:91], v[90:91], v[88:89]
	v_rcp_f64_e32 v[106:107], v[104:105]
	v_div_scale_f64 v[108:109], vcc, v[88:89], v[90:91], v[88:89]
	v_fma_f64 v[110:111], -v[104:105], v[106:107], 1.0
	v_fmac_f64_e32 v[106:107], v[106:107], v[110:111]
	v_fma_f64 v[110:111], -v[104:105], v[106:107], 1.0
	v_fmac_f64_e32 v[106:107], v[106:107], v[110:111]
	v_mul_f64 v[110:111], v[108:109], v[106:107]
	v_fma_f64 v[104:105], -v[104:105], v[110:111], v[108:109]
	v_div_fmas_f64 v[104:105], v[104:105], v[106:107], v[110:111]
	v_div_fixup_f64 v[104:105], v[104:105], v[90:91], v[88:89]
	v_fmac_f64_e32 v[90:91], v[88:89], v[104:105]
	v_div_scale_f64 v[88:89], s[18:19], v[90:91], v[90:91], 1.0
	v_rcp_f64_e32 v[106:107], v[88:89]
	s_nop 0
	v_fma_f64 v[108:109], -v[88:89], v[106:107], 1.0
	v_fmac_f64_e32 v[106:107], v[106:107], v[108:109]
	v_fma_f64 v[108:109], -v[88:89], v[106:107], 1.0
	v_fmac_f64_e32 v[106:107], v[106:107], v[108:109]
	v_div_scale_f64 v[108:109], vcc, 1.0, v[90:91], 1.0
	v_mul_f64 v[110:111], v[108:109], v[106:107]
	v_fma_f64 v[88:89], -v[88:89], v[110:111], v[108:109]
	s_nop 1
	v_div_fmas_f64 v[88:89], v[88:89], v[106:107], v[110:111]
	v_div_fixup_f64 v[90:91], v[88:89], v[90:91], 1.0
	v_mul_f64 v[88:89], v[104:105], v[90:91]
	v_xor_b32_e32 v91, 0x80000000, v91
.LBB42_427:
	s_andn2_saveexec_b64 s[16:17], s[16:17]
	s_cbranch_execz .LBB42_429
; %bb.428:
	v_div_scale_f64 v[104:105], s[18:19], v[88:89], v[88:89], v[90:91]
	v_rcp_f64_e32 v[106:107], v[104:105]
	v_div_scale_f64 v[108:109], vcc, v[90:91], v[88:89], v[90:91]
	v_fma_f64 v[110:111], -v[104:105], v[106:107], 1.0
	v_fmac_f64_e32 v[106:107], v[106:107], v[110:111]
	v_fma_f64 v[110:111], -v[104:105], v[106:107], 1.0
	v_fmac_f64_e32 v[106:107], v[106:107], v[110:111]
	v_mul_f64 v[110:111], v[108:109], v[106:107]
	v_fma_f64 v[104:105], -v[104:105], v[110:111], v[108:109]
	v_div_fmas_f64 v[104:105], v[104:105], v[106:107], v[110:111]
	v_div_fixup_f64 v[104:105], v[104:105], v[88:89], v[90:91]
	v_fmac_f64_e32 v[88:89], v[90:91], v[104:105]
	v_div_scale_f64 v[90:91], s[18:19], v[88:89], v[88:89], 1.0
	v_rcp_f64_e32 v[106:107], v[90:91]
	s_nop 0
	v_fma_f64 v[108:109], -v[90:91], v[106:107], 1.0
	v_fmac_f64_e32 v[106:107], v[106:107], v[108:109]
	v_fma_f64 v[108:109], -v[90:91], v[106:107], 1.0
	v_fmac_f64_e32 v[106:107], v[106:107], v[108:109]
	v_div_scale_f64 v[108:109], vcc, 1.0, v[88:89], 1.0
	v_mul_f64 v[110:111], v[108:109], v[106:107]
	v_fma_f64 v[90:91], -v[90:91], v[110:111], v[108:109]
	s_nop 1
	v_div_fmas_f64 v[90:91], v[90:91], v[106:107], v[110:111]
	v_div_fixup_f64 v[88:89], v[90:91], v[88:89], 1.0
	v_mul_f64 v[90:91], v[104:105], -v[88:89]
.LBB42_429:
	s_or_b64 exec, exec, s[16:17]
.LBB42_430:
	s_or_b64 exec, exec, s[0:1]
	v_cmp_ne_u32_e32 vcc, v101, v98
	s_and_saveexec_b64 s[0:1], vcc
	s_xor_b64 s[0:1], exec, s[0:1]
	s_cbranch_execz .LBB42_436
; %bb.431:
	v_cmp_eq_u32_e32 vcc, 20, v101
	s_and_saveexec_b64 s[16:17], vcc
	s_cbranch_execz .LBB42_435
; %bb.432:
	v_cmp_ne_u32_e32 vcc, 20, v98
	s_xor_b64 s[18:19], s[14:15], -1
	s_and_b64 s[22:23], s[18:19], vcc
	s_and_saveexec_b64 s[18:19], s[22:23]
	s_cbranch_execz .LBB42_434
; %bb.433:
	v_ashrrev_i32_e32 v99, 31, v98
	v_lshl_add_u64 v[104:105], v[98:99], 2, v[96:97]
	global_load_dword v99, v[104:105], off
	global_load_dword v101, v[96:97], off offset:80
	s_waitcnt vmcnt(1)
	global_store_dword v[96:97], v99, off offset:80
	s_waitcnt vmcnt(1)
	global_store_dword v[104:105], v101, off
.LBB42_434:
	s_or_b64 exec, exec, s[18:19]
	v_mov_b32_e32 v101, v98
	v_mov_b32_e32 v102, v98
.LBB42_435:
	s_or_b64 exec, exec, s[16:17]
.LBB42_436:
	s_andn2_saveexec_b64 s[0:1], s[0:1]
	s_cbranch_execz .LBB42_438
; %bb.437:
	v_mov_b32_e32 v101, 20
	s_waitcnt vmcnt(0)
	ds_write2_b64 v100, v[84:85], v[86:87] offset0:42 offset1:43
.LBB42_438:
	s_or_b64 exec, exec, s[0:1]
	v_cmp_lt_i32_e32 vcc, 20, v101
	s_waitcnt lgkmcnt(0)
	s_barrier
	s_and_saveexec_b64 s[0:1], vcc
	s_cbranch_execz .LBB42_440
; %bb.439:
	ds_read2_b64 v[104:107], v100 offset0:42 offset1:43
	v_mul_f64 v[98:99], v[88:89], v[2:3]
	v_mul_f64 v[2:3], v[90:91], v[2:3]
	v_fmac_f64_e32 v[98:99], v[90:91], v[0:1]
	v_fma_f64 v[0:1], v[88:89], v[0:1], -v[2:3]
	s_waitcnt lgkmcnt(0)
	v_mul_f64 v[2:3], v[106:107], v[98:99]
	v_mul_f64 v[88:89], v[104:105], v[98:99]
	v_fma_f64 v[2:3], v[104:105], v[0:1], -v[2:3]
	v_fmac_f64_e32 v[88:89], v[106:107], v[0:1]
	s_waitcnt vmcnt(0)
	v_add_f64 v[84:85], v[84:85], -v[2:3]
	v_add_f64 v[86:87], v[86:87], -v[88:89]
	v_mov_b64_e32 v[2:3], v[98:99]
.LBB42_440:
	s_or_b64 exec, exec, s[0:1]
	v_lshl_add_u32 v88, v101, 4, v100
	s_barrier
	s_waitcnt vmcnt(0)
	ds_write2_b64 v88, v[84:85], v[86:87] offset1:1
	s_waitcnt lgkmcnt(0)
	s_barrier
	ds_read2_b64 v[88:91], v100 offset0:42 offset1:43
	s_cmp_lt_i32 s20, 23
	v_mov_b32_e32 v98, 21
	s_cbranch_scc1 .LBB42_443
; %bb.441:
	v_add_u32_e32 v99, 0x160, v100
	s_mov_b32 s16, 22
	v_mov_b32_e32 v98, 21
.LBB42_442:                             ; =>This Inner Loop Header: Depth=1
	ds_read2_b64 v[104:107], v99 offset1:1
	s_waitcnt lgkmcnt(1)
	v_xor_b32_e32 v100, 0x80000000, v89
	v_xor_b32_e32 v111, 0x80000000, v91
	v_cmp_gt_f64_e32 vcc, 0, v[90:91]
	v_cmp_gt_f64_e64 s[0:1], 0, v[88:89]
	v_mov_b32_e32 v108, v88
	v_mov_b32_e32 v110, v90
	v_cndmask_b32_e64 v109, v89, v100, s[0:1]
	v_cndmask_b32_e32 v111, v91, v111, vcc
	s_waitcnt lgkmcnt(0)
	v_xor_b32_e32 v100, 0x80000000, v105
	v_xor_b32_e32 v113, 0x80000000, v107
	v_cmp_gt_f64_e32 vcc, 0, v[106:107]
	v_cmp_gt_f64_e64 s[0:1], 0, v[104:105]
	v_add_f64 v[108:109], v[108:109], v[110:111]
	v_mov_b32_e32 v110, v104
	v_mov_b32_e32 v112, v106
	v_cndmask_b32_e64 v111, v105, v100, s[0:1]
	v_cndmask_b32_e32 v113, v107, v113, vcc
	v_add_f64 v[110:111], v[110:111], v[112:113]
	v_mov_b32_e32 v114, s16
	s_add_i32 s16, s16, 1
	v_cmp_lt_f64_e32 vcc, v[108:109], v[110:111]
	v_add_u32_e32 v99, 16, v99
	s_cmp_lg_u32 s20, s16
	v_cndmask_b32_e32 v89, v89, v105, vcc
	v_cndmask_b32_e32 v88, v88, v104, vcc
	v_cndmask_b32_e32 v91, v91, v107, vcc
	v_cndmask_b32_e32 v90, v90, v106, vcc
	v_cndmask_b32_e32 v98, v98, v114, vcc
	s_cbranch_scc1 .LBB42_442
.LBB42_443:
	s_waitcnt lgkmcnt(0)
	v_cmp_eq_f64_e32 vcc, 0, v[88:89]
	v_cmp_eq_f64_e64 s[0:1], 0, v[90:91]
	s_and_b64 s[0:1], vcc, s[0:1]
	s_and_saveexec_b64 s[16:17], s[0:1]
	s_xor_b64 s[0:1], exec, s[16:17]
; %bb.444:
	v_cmp_ne_u32_e32 vcc, 0, v103
	s_nop 1
	v_cndmask_b32_e32 v103, 22, v103, vcc
; %bb.445:
	s_andn2_saveexec_b64 s[0:1], s[0:1]
	s_cbranch_execz .LBB42_451
; %bb.446:
	v_cmp_ngt_f64_e64 s[16:17], |v[88:89]|, |v[90:91]|
	s_and_saveexec_b64 s[18:19], s[16:17]
	s_xor_b64 s[16:17], exec, s[18:19]
	s_cbranch_execz .LBB42_448
; %bb.447:
	v_div_scale_f64 v[104:105], s[18:19], v[90:91], v[90:91], v[88:89]
	v_rcp_f64_e32 v[106:107], v[104:105]
	v_div_scale_f64 v[108:109], vcc, v[88:89], v[90:91], v[88:89]
	v_fma_f64 v[110:111], -v[104:105], v[106:107], 1.0
	v_fmac_f64_e32 v[106:107], v[106:107], v[110:111]
	v_fma_f64 v[110:111], -v[104:105], v[106:107], 1.0
	v_fmac_f64_e32 v[106:107], v[106:107], v[110:111]
	v_mul_f64 v[110:111], v[108:109], v[106:107]
	v_fma_f64 v[104:105], -v[104:105], v[110:111], v[108:109]
	v_div_fmas_f64 v[104:105], v[104:105], v[106:107], v[110:111]
	v_div_fixup_f64 v[104:105], v[104:105], v[90:91], v[88:89]
	v_fmac_f64_e32 v[90:91], v[88:89], v[104:105]
	v_div_scale_f64 v[88:89], s[18:19], v[90:91], v[90:91], 1.0
	v_rcp_f64_e32 v[106:107], v[88:89]
	s_nop 0
	v_fma_f64 v[108:109], -v[88:89], v[106:107], 1.0
	v_fmac_f64_e32 v[106:107], v[106:107], v[108:109]
	v_fma_f64 v[108:109], -v[88:89], v[106:107], 1.0
	v_fmac_f64_e32 v[106:107], v[106:107], v[108:109]
	v_div_scale_f64 v[108:109], vcc, 1.0, v[90:91], 1.0
	v_mul_f64 v[110:111], v[108:109], v[106:107]
	v_fma_f64 v[88:89], -v[88:89], v[110:111], v[108:109]
	s_nop 1
	v_div_fmas_f64 v[88:89], v[88:89], v[106:107], v[110:111]
	v_div_fixup_f64 v[90:91], v[88:89], v[90:91], 1.0
	v_mul_f64 v[88:89], v[104:105], v[90:91]
	v_xor_b32_e32 v91, 0x80000000, v91
.LBB42_448:
	s_andn2_saveexec_b64 s[16:17], s[16:17]
	s_cbranch_execz .LBB42_450
; %bb.449:
	v_div_scale_f64 v[104:105], s[18:19], v[88:89], v[88:89], v[90:91]
	v_rcp_f64_e32 v[106:107], v[104:105]
	v_div_scale_f64 v[108:109], vcc, v[90:91], v[88:89], v[90:91]
	v_fma_f64 v[110:111], -v[104:105], v[106:107], 1.0
	v_fmac_f64_e32 v[106:107], v[106:107], v[110:111]
	v_fma_f64 v[110:111], -v[104:105], v[106:107], 1.0
	v_fmac_f64_e32 v[106:107], v[106:107], v[110:111]
	v_mul_f64 v[110:111], v[108:109], v[106:107]
	v_fma_f64 v[104:105], -v[104:105], v[110:111], v[108:109]
	v_div_fmas_f64 v[104:105], v[104:105], v[106:107], v[110:111]
	v_div_fixup_f64 v[104:105], v[104:105], v[88:89], v[90:91]
	v_fmac_f64_e32 v[88:89], v[90:91], v[104:105]
	v_div_scale_f64 v[90:91], s[18:19], v[88:89], v[88:89], 1.0
	v_rcp_f64_e32 v[106:107], v[90:91]
	s_nop 0
	v_fma_f64 v[108:109], -v[90:91], v[106:107], 1.0
	v_fmac_f64_e32 v[106:107], v[106:107], v[108:109]
	v_fma_f64 v[108:109], -v[90:91], v[106:107], 1.0
	v_fmac_f64_e32 v[106:107], v[106:107], v[108:109]
	v_div_scale_f64 v[108:109], vcc, 1.0, v[88:89], 1.0
	v_mul_f64 v[110:111], v[108:109], v[106:107]
	v_fma_f64 v[90:91], -v[90:91], v[110:111], v[108:109]
	s_nop 1
	v_div_fmas_f64 v[90:91], v[90:91], v[106:107], v[110:111]
	v_div_fixup_f64 v[88:89], v[90:91], v[88:89], 1.0
	v_mul_f64 v[90:91], v[104:105], -v[88:89]
.LBB42_450:
	s_or_b64 exec, exec, s[16:17]
.LBB42_451:
	s_or_b64 exec, exec, s[0:1]
	v_cmp_ne_u32_e32 vcc, v101, v98
	v_mov_b32_e32 v100, 21
	s_and_saveexec_b64 s[0:1], vcc
	s_cbranch_execz .LBB42_457
; %bb.452:
	v_cmp_eq_u32_e32 vcc, 21, v101
	s_and_saveexec_b64 s[16:17], vcc
	s_cbranch_execz .LBB42_456
; %bb.453:
	v_cmp_ne_u32_e32 vcc, 21, v98
	s_xor_b64 s[14:15], s[14:15], -1
	s_and_b64 s[18:19], s[14:15], vcc
	s_and_saveexec_b64 s[14:15], s[18:19]
	s_cbranch_execz .LBB42_455
; %bb.454:
	v_ashrrev_i32_e32 v99, 31, v98
	v_lshl_add_u64 v[100:101], v[98:99], 2, v[96:97]
	global_load_dword v99, v[100:101], off
	global_load_dword v102, v[96:97], off offset:84
	s_waitcnt vmcnt(1)
	global_store_dword v[96:97], v99, off offset:84
	s_waitcnt vmcnt(1)
	global_store_dword v[100:101], v102, off
.LBB42_455:
	s_or_b64 exec, exec, s[14:15]
	v_mov_b32_e32 v101, v98
	v_mov_b32_e32 v102, v98
.LBB42_456:
	s_or_b64 exec, exec, s[16:17]
	v_mov_b32_e32 v100, v101
.LBB42_457:
	s_or_b64 exec, exec, s[0:1]
	v_cmp_gt_i32_e32 vcc, 22, v100
	v_ashrrev_i32_e32 v101, 31, v100
	s_barrier
	s_barrier
	s_and_saveexec_b64 s[0:1], vcc
	s_cbranch_execz .LBB42_459
; %bb.458:
	v_mov_b32_e32 v96, s6
	v_mov_b32_e32 v97, s7
	v_mul_lo_u32 v104, s11, v94
	v_mul_lo_u32 v105, s10, v95
	v_mad_u64_u32 v[98:99], s[6:7], s10, v94, 0
	v_add3_u32 v99, v99, v105, v104
	v_lshl_add_u64 v[96:97], v[98:99], 2, v[96:97]
	v_lshl_add_u64 v[96:97], s[8:9], 2, v[96:97]
	;; [unrolled: 1-line block ×3, first 2 shown]
	v_add3_u32 v98, v102, s13, 1
	global_store_dword v[96:97], v98, off
.LBB42_459:
	s_or_b64 exec, exec, s[0:1]
	v_cmp_eq_u32_e32 vcc, 0, v100
	s_and_saveexec_b64 s[6:7], vcc
	s_cbranch_execz .LBB42_462
; %bb.460:
	v_mov_b32_e32 v96, s4
	v_mov_b32_e32 v97, s5
	v_lshl_add_u64 v[94:95], v[94:95], 2, v[96:97]
	global_load_dword v96, v[94:95], off
	v_cmp_ne_u32_e64 s[0:1], 0, v103
	s_waitcnt vmcnt(0)
	v_cmp_eq_u32_e32 vcc, 0, v96
	s_and_b64 s[0:1], vcc, s[0:1]
	s_and_b64 exec, exec, s[0:1]
	s_cbranch_execz .LBB42_462
; %bb.461:
	v_add_u32_e32 v96, s13, v103
	global_store_dword v[94:95], v96, off
.LBB42_462:
	s_or_b64 exec, exec, s[6:7]
	v_mul_f64 v[94:95], v[90:91], v[86:87]
	v_fma_f64 v[94:95], v[88:89], v[84:85], -v[94:95]
	v_mul_f64 v[88:89], v[88:89], v[86:87]
	v_fmac_f64_e32 v[88:89], v[90:91], v[84:85]
	v_cmp_lt_i32_e32 vcc, 21, v100
	s_nop 1
	v_cndmask_b32_e32 v87, v87, v89, vcc
	v_cndmask_b32_e32 v86, v86, v88, vcc
	v_lshl_add_u64 v[88:89], v[100:101], 4, v[92:93]
	global_store_dwordx4 v[88:89], v[68:71], off
	v_cndmask_b32_e32 v85, v85, v95, vcc
	v_cndmask_b32_e32 v84, v84, v94, vcc
	v_lshl_add_u64 v[68:69], s[2:3], 4, v[88:89]
	global_store_dwordx4 v[68:69], v[64:67], off
	s_nop 1
	v_add_u32_e32 v64, s12, v100
	v_ashrrev_i32_e32 v65, 31, v64
	v_lshl_add_u64 v[66:67], v[64:65], 4, v[92:93]
	global_store_dwordx4 v[66:67], v[52:55], off
	s_nop 1
	v_add_u32_e32 v52, s2, v64
	v_ashrrev_i32_e32 v53, 31, v52
	;; [unrolled: 5-line block ×3, first 2 shown]
	v_lshl_add_u64 v[46:47], v[44:45], 4, v[92:93]
	v_add_u32_e32 v44, s2, v44
	v_ashrrev_i32_e32 v45, 31, v44
	global_store_dwordx4 v[46:47], v[80:83], off
	v_lshl_add_u64 v[46:47], v[44:45], 4, v[92:93]
	v_add_u32_e32 v44, s2, v44
	v_ashrrev_i32_e32 v45, 31, v44
	global_store_dwordx4 v[46:47], v[76:79], off
	;; [unrolled: 4-line block ×6, first 2 shown]
	v_lshl_add_u64 v[46:47], v[44:45], 4, v[92:93]
	global_store_dwordx4 v[46:47], v[40:43], off
	s_nop 1
	v_add_u32_e32 v40, s2, v44
	v_ashrrev_i32_e32 v41, 31, v40
	v_lshl_add_u64 v[42:43], v[40:41], 4, v[92:93]
	global_store_dwordx4 v[42:43], v[36:39], off
	s_nop 1
	v_add_u32_e32 v36, s2, v40
	v_ashrrev_i32_e32 v37, 31, v36
	;; [unrolled: 5-line block ×9, first 2 shown]
	v_lshl_add_u64 v[6:7], v[4:5], 4, v[92:93]
	v_add_u32_e32 v4, s2, v4
	v_ashrrev_i32_e32 v5, 31, v4
	global_store_dwordx4 v[6:7], v[8:11], off
	v_lshl_add_u64 v[6:7], v[4:5], 4, v[92:93]
	global_store_dwordx4 v[6:7], v[0:3], off
	s_nop 1
	v_add_u32_e32 v0, s2, v4
	v_ashrrev_i32_e32 v1, 31, v0
	v_lshl_add_u64 v[0:1], v[0:1], 4, v[92:93]
	global_store_dwordx4 v[0:1], v[84:87], off
.LBB42_463:
	s_endpgm
	.section	.rodata,"a",@progbits
	.p2align	6, 0x0
	.amdhsa_kernel _ZN9rocsolver6v33100L18getf2_small_kernelILi22E19rocblas_complex_numIdEiiPS3_EEvT1_T3_lS5_lPS5_llPT2_S5_S5_S7_l
		.amdhsa_group_segment_fixed_size 0
		.amdhsa_private_segment_fixed_size 0
		.amdhsa_kernarg_size 352
		.amdhsa_user_sgpr_count 2
		.amdhsa_user_sgpr_dispatch_ptr 0
		.amdhsa_user_sgpr_queue_ptr 0
		.amdhsa_user_sgpr_kernarg_segment_ptr 1
		.amdhsa_user_sgpr_dispatch_id 0
		.amdhsa_user_sgpr_kernarg_preload_length 0
		.amdhsa_user_sgpr_kernarg_preload_offset 0
		.amdhsa_user_sgpr_private_segment_size 0
		.amdhsa_uses_dynamic_stack 0
		.amdhsa_enable_private_segment 0
		.amdhsa_system_sgpr_workgroup_id_x 1
		.amdhsa_system_sgpr_workgroup_id_y 1
		.amdhsa_system_sgpr_workgroup_id_z 0
		.amdhsa_system_sgpr_workgroup_info 0
		.amdhsa_system_vgpr_workitem_id 1
		.amdhsa_next_free_vgpr 124
		.amdhsa_next_free_sgpr 24
		.amdhsa_accum_offset 124
		.amdhsa_reserve_vcc 1
		.amdhsa_float_round_mode_32 0
		.amdhsa_float_round_mode_16_64 0
		.amdhsa_float_denorm_mode_32 3
		.amdhsa_float_denorm_mode_16_64 3
		.amdhsa_dx10_clamp 1
		.amdhsa_ieee_mode 1
		.amdhsa_fp16_overflow 0
		.amdhsa_tg_split 0
		.amdhsa_exception_fp_ieee_invalid_op 0
		.amdhsa_exception_fp_denorm_src 0
		.amdhsa_exception_fp_ieee_div_zero 0
		.amdhsa_exception_fp_ieee_overflow 0
		.amdhsa_exception_fp_ieee_underflow 0
		.amdhsa_exception_fp_ieee_inexact 0
		.amdhsa_exception_int_div_zero 0
	.end_amdhsa_kernel
	.section	.text._ZN9rocsolver6v33100L18getf2_small_kernelILi22E19rocblas_complex_numIdEiiPS3_EEvT1_T3_lS5_lPS5_llPT2_S5_S5_S7_l,"axG",@progbits,_ZN9rocsolver6v33100L18getf2_small_kernelILi22E19rocblas_complex_numIdEiiPS3_EEvT1_T3_lS5_lPS5_llPT2_S5_S5_S7_l,comdat
.Lfunc_end42:
	.size	_ZN9rocsolver6v33100L18getf2_small_kernelILi22E19rocblas_complex_numIdEiiPS3_EEvT1_T3_lS5_lPS5_llPT2_S5_S5_S7_l, .Lfunc_end42-_ZN9rocsolver6v33100L18getf2_small_kernelILi22E19rocblas_complex_numIdEiiPS3_EEvT1_T3_lS5_lPS5_llPT2_S5_S5_S7_l
                                        ; -- End function
	.set _ZN9rocsolver6v33100L18getf2_small_kernelILi22E19rocblas_complex_numIdEiiPS3_EEvT1_T3_lS5_lPS5_llPT2_S5_S5_S7_l.num_vgpr, 124
	.set _ZN9rocsolver6v33100L18getf2_small_kernelILi22E19rocblas_complex_numIdEiiPS3_EEvT1_T3_lS5_lPS5_llPT2_S5_S5_S7_l.num_agpr, 0
	.set _ZN9rocsolver6v33100L18getf2_small_kernelILi22E19rocblas_complex_numIdEiiPS3_EEvT1_T3_lS5_lPS5_llPT2_S5_S5_S7_l.numbered_sgpr, 24
	.set _ZN9rocsolver6v33100L18getf2_small_kernelILi22E19rocblas_complex_numIdEiiPS3_EEvT1_T3_lS5_lPS5_llPT2_S5_S5_S7_l.num_named_barrier, 0
	.set _ZN9rocsolver6v33100L18getf2_small_kernelILi22E19rocblas_complex_numIdEiiPS3_EEvT1_T3_lS5_lPS5_llPT2_S5_S5_S7_l.private_seg_size, 0
	.set _ZN9rocsolver6v33100L18getf2_small_kernelILi22E19rocblas_complex_numIdEiiPS3_EEvT1_T3_lS5_lPS5_llPT2_S5_S5_S7_l.uses_vcc, 1
	.set _ZN9rocsolver6v33100L18getf2_small_kernelILi22E19rocblas_complex_numIdEiiPS3_EEvT1_T3_lS5_lPS5_llPT2_S5_S5_S7_l.uses_flat_scratch, 0
	.set _ZN9rocsolver6v33100L18getf2_small_kernelILi22E19rocblas_complex_numIdEiiPS3_EEvT1_T3_lS5_lPS5_llPT2_S5_S5_S7_l.has_dyn_sized_stack, 0
	.set _ZN9rocsolver6v33100L18getf2_small_kernelILi22E19rocblas_complex_numIdEiiPS3_EEvT1_T3_lS5_lPS5_llPT2_S5_S5_S7_l.has_recursion, 0
	.set _ZN9rocsolver6v33100L18getf2_small_kernelILi22E19rocblas_complex_numIdEiiPS3_EEvT1_T3_lS5_lPS5_llPT2_S5_S5_S7_l.has_indirect_call, 0
	.section	.AMDGPU.csdata,"",@progbits
; Kernel info:
; codeLenInByte = 37100
; TotalNumSgprs: 30
; NumVgprs: 124
; NumAgprs: 0
; TotalNumVgprs: 124
; ScratchSize: 0
; MemoryBound: 0
; FloatMode: 240
; IeeeMode: 1
; LDSByteSize: 0 bytes/workgroup (compile time only)
; SGPRBlocks: 3
; VGPRBlocks: 15
; NumSGPRsForWavesPerEU: 30
; NumVGPRsForWavesPerEU: 124
; AccumOffset: 124
; Occupancy: 4
; WaveLimiterHint : 0
; COMPUTE_PGM_RSRC2:SCRATCH_EN: 0
; COMPUTE_PGM_RSRC2:USER_SGPR: 2
; COMPUTE_PGM_RSRC2:TRAP_HANDLER: 0
; COMPUTE_PGM_RSRC2:TGID_X_EN: 1
; COMPUTE_PGM_RSRC2:TGID_Y_EN: 1
; COMPUTE_PGM_RSRC2:TGID_Z_EN: 0
; COMPUTE_PGM_RSRC2:TIDIG_COMP_CNT: 1
; COMPUTE_PGM_RSRC3_GFX90A:ACCUM_OFFSET: 30
; COMPUTE_PGM_RSRC3_GFX90A:TG_SPLIT: 0
	.section	.text._ZN9rocsolver6v33100L23getf2_npvt_small_kernelILi22E19rocblas_complex_numIdEiiPS3_EEvT1_T3_lS5_lPT2_S5_S5_,"axG",@progbits,_ZN9rocsolver6v33100L23getf2_npvt_small_kernelILi22E19rocblas_complex_numIdEiiPS3_EEvT1_T3_lS5_lPT2_S5_S5_,comdat
	.globl	_ZN9rocsolver6v33100L23getf2_npvt_small_kernelILi22E19rocblas_complex_numIdEiiPS3_EEvT1_T3_lS5_lPT2_S5_S5_ ; -- Begin function _ZN9rocsolver6v33100L23getf2_npvt_small_kernelILi22E19rocblas_complex_numIdEiiPS3_EEvT1_T3_lS5_lPT2_S5_S5_
	.p2align	8
	.type	_ZN9rocsolver6v33100L23getf2_npvt_small_kernelILi22E19rocblas_complex_numIdEiiPS3_EEvT1_T3_lS5_lPT2_S5_S5_,@function
_ZN9rocsolver6v33100L23getf2_npvt_small_kernelILi22E19rocblas_complex_numIdEiiPS3_EEvT1_T3_lS5_lPT2_S5_S5_: ; @_ZN9rocsolver6v33100L23getf2_npvt_small_kernelILi22E19rocblas_complex_numIdEiiPS3_EEvT1_T3_lS5_lPT2_S5_S5_
; %bb.0:
	s_load_dword s2, s[0:1], 0x44
	s_load_dwordx2 s[8:9], s[0:1], 0x30
	v_bfe_u32 v88, v0, 10, 10
	s_waitcnt lgkmcnt(0)
	s_lshr_b32 s10, s2, 16
	s_mul_i32 s3, s3, s10
	v_add_u32_e32 v198, s3, v88
	v_cmp_gt_i32_e32 vcc, s8, v198
	s_and_saveexec_b64 s[2:3], vcc
	s_cbranch_execz .LBB43_201
; %bb.1:
	s_load_dwordx4 s[12:15], s[0:1], 0x8
	s_load_dword s2, s[0:1], 0x18
	s_load_dwordx4 s[4:7], s[0:1], 0x20
	v_ashrrev_i32_e32 v199, 31, v198
	v_and_b32_e32 v222, 0x3ff, v0
	s_waitcnt lgkmcnt(0)
	v_mov_b32_e32 v2, s12
	v_mov_b32_e32 v3, s13
	v_mul_lo_u32 v4, s5, v198
	v_mul_lo_u32 v5, s4, v199
	v_mad_u64_u32 v[0:1], s[0:1], s4, v198, 0
	v_add3_u32 v1, v1, v5, v4
	s_add_i32 s0, s2, s2
	v_lshl_add_u64 v[0:1], v[0:1], 4, v[2:3]
	v_add_u32_e32 v10, s0, v222
	v_lshl_add_u64 v[8:9], s[14:15], 4, v[0:1]
	v_ashrrev_i32_e32 v11, 31, v10
	v_lshl_add_u64 v[180:181], v[10:11], 4, v[8:9]
	v_add_u32_e32 v10, s2, v10
	v_ashrrev_i32_e32 v11, 31, v10
	v_lshl_add_u64 v[182:183], v[10:11], 4, v[8:9]
	v_add_u32_e32 v10, s2, v10
	;; [unrolled: 3-line block ×18, first 2 shown]
	v_ashrrev_i32_e32 v11, 31, v10
	v_lshlrev_b32_e32 v0, 4, v222
	v_mov_b32_e32 v1, 0
	v_lshl_add_u64 v[218:219], v[10:11], 4, v[8:9]
	v_add_u32_e32 v10, s2, v10
	s_ashr_i32 s3, s2, 31
	v_lshl_add_u64 v[176:177], v[8:9], 0, v[0:1]
	v_ashrrev_i32_e32 v11, 31, v10
	v_lshl_add_u64 v[178:179], s[2:3], 4, v[176:177]
	global_load_dwordx4 v[4:7], v[176:177], off
	global_load_dwordx4 v[0:3], v[178:179], off
	v_lshl_add_u64 v[220:221], v[10:11], 4, v[8:9]
	global_load_dwordx4 v[80:83], v[180:181], off
	global_load_dwordx4 v[76:79], v[182:183], off
	;; [unrolled: 1-line block ×20, first 2 shown]
	s_mulk_i32 s10, 0x160
	s_movk_i32 s0, 0x160
	s_add_i32 s1, s10, 0
	v_mad_u32_u24 v224, v88, s0, 0
	v_lshl_add_u32 v223, v88, 4, s1
	v_cmp_ne_u32_e64 s[2:3], 0, v222
	v_cmp_eq_u32_e64 s[0:1], 0, v222
	s_and_saveexec_b64 s[10:11], s[0:1]
	s_cbranch_execz .LBB43_8
; %bb.2:
	s_waitcnt vmcnt(21)
	ds_write2_b64 v223, v[4:5], v[6:7] offset1:1
	s_waitcnt vmcnt(20)
	ds_write2_b64 v224, v[0:1], v[2:3] offset0:2 offset1:3
	s_waitcnt vmcnt(19)
	ds_write2_b64 v224, v[80:81], v[82:83] offset0:4 offset1:5
	;; [unrolled: 2-line block ×21, first 2 shown]
	ds_read2_b64 v[88:91], v223 offset1:1
	s_waitcnt lgkmcnt(0)
	v_cmp_neq_f64_e32 vcc, 0, v[88:89]
	v_cmp_neq_f64_e64 s[4:5], 0, v[90:91]
	s_or_b64 s[4:5], vcc, s[4:5]
	s_and_b64 exec, exec, s[4:5]
	s_cbranch_execz .LBB43_8
; %bb.3:
	v_cmp_ngt_f64_e64 s[4:5], |v[88:89]|, |v[90:91]|
                                        ; implicit-def: $vgpr92_vgpr93
	s_and_saveexec_b64 s[12:13], s[4:5]
	s_xor_b64 s[4:5], exec, s[12:13]
                                        ; implicit-def: $vgpr94_vgpr95
	s_cbranch_execz .LBB43_5
; %bb.4:
	v_div_scale_f64 v[92:93], s[12:13], v[90:91], v[90:91], v[88:89]
	v_rcp_f64_e32 v[94:95], v[92:93]
	v_div_scale_f64 v[96:97], vcc, v[88:89], v[90:91], v[88:89]
	v_fma_f64 v[98:99], -v[92:93], v[94:95], 1.0
	v_fmac_f64_e32 v[94:95], v[94:95], v[98:99]
	v_fma_f64 v[98:99], -v[92:93], v[94:95], 1.0
	v_fmac_f64_e32 v[94:95], v[94:95], v[98:99]
	v_mul_f64 v[98:99], v[96:97], v[94:95]
	v_fma_f64 v[92:93], -v[92:93], v[98:99], v[96:97]
	v_div_fmas_f64 v[92:93], v[92:93], v[94:95], v[98:99]
	v_div_fixup_f64 v[92:93], v[92:93], v[90:91], v[88:89]
	v_fmac_f64_e32 v[90:91], v[88:89], v[92:93]
	v_div_scale_f64 v[88:89], s[12:13], v[90:91], v[90:91], 1.0
	v_rcp_f64_e32 v[94:95], v[88:89]
	s_nop 0
	v_fma_f64 v[96:97], -v[88:89], v[94:95], 1.0
	v_fmac_f64_e32 v[94:95], v[94:95], v[96:97]
	v_fma_f64 v[96:97], -v[88:89], v[94:95], 1.0
	v_fmac_f64_e32 v[94:95], v[94:95], v[96:97]
	v_div_scale_f64 v[96:97], vcc, 1.0, v[90:91], 1.0
	v_mul_f64 v[98:99], v[96:97], v[94:95]
	v_fma_f64 v[88:89], -v[88:89], v[98:99], v[96:97]
	s_nop 1
	v_div_fmas_f64 v[88:89], v[88:89], v[94:95], v[98:99]
	v_div_fixup_f64 v[94:95], v[88:89], v[90:91], 1.0
	v_mul_f64 v[92:93], v[92:93], v[94:95]
	v_xor_b32_e32 v95, 0x80000000, v95
                                        ; implicit-def: $vgpr88_vgpr89
.LBB43_5:
	s_andn2_saveexec_b64 s[4:5], s[4:5]
	s_cbranch_execz .LBB43_7
; %bb.6:
	v_div_scale_f64 v[92:93], s[12:13], v[88:89], v[88:89], v[90:91]
	v_rcp_f64_e32 v[94:95], v[92:93]
	v_div_scale_f64 v[96:97], vcc, v[90:91], v[88:89], v[90:91]
	v_fma_f64 v[98:99], -v[92:93], v[94:95], 1.0
	v_fmac_f64_e32 v[94:95], v[94:95], v[98:99]
	v_fma_f64 v[98:99], -v[92:93], v[94:95], 1.0
	v_fmac_f64_e32 v[94:95], v[94:95], v[98:99]
	v_mul_f64 v[98:99], v[96:97], v[94:95]
	v_fma_f64 v[92:93], -v[92:93], v[98:99], v[96:97]
	v_div_fmas_f64 v[92:93], v[92:93], v[94:95], v[98:99]
	v_div_fixup_f64 v[94:95], v[92:93], v[88:89], v[90:91]
	v_fmac_f64_e32 v[88:89], v[90:91], v[94:95]
	v_div_scale_f64 v[90:91], s[12:13], v[88:89], v[88:89], 1.0
	v_rcp_f64_e32 v[92:93], v[90:91]
	s_nop 0
	v_fma_f64 v[96:97], -v[90:91], v[92:93], 1.0
	v_fmac_f64_e32 v[92:93], v[92:93], v[96:97]
	v_fma_f64 v[96:97], -v[90:91], v[92:93], 1.0
	v_fmac_f64_e32 v[92:93], v[92:93], v[96:97]
	v_div_scale_f64 v[96:97], vcc, 1.0, v[88:89], 1.0
	v_mul_f64 v[98:99], v[96:97], v[92:93]
	v_fma_f64 v[90:91], -v[90:91], v[98:99], v[96:97]
	s_nop 1
	v_div_fmas_f64 v[90:91], v[90:91], v[92:93], v[98:99]
	v_div_fixup_f64 v[92:93], v[90:91], v[88:89], 1.0
	v_mul_f64 v[94:95], v[94:95], -v[92:93]
.LBB43_7:
	s_or_b64 exec, exec, s[4:5]
	ds_write2_b64 v223, v[92:93], v[94:95] offset1:1
.LBB43_8:
	s_or_b64 exec, exec, s[10:11]
	s_waitcnt lgkmcnt(0)
	s_barrier
	ds_read2_b64 v[88:91], v223 offset1:1
	s_and_saveexec_b64 s[4:5], s[2:3]
	s_cbranch_execz .LBB43_10
; %bb.9:
	ds_read2_b64 v[94:97], v224 offset0:2 offset1:3
	ds_read2_b64 v[98:101], v224 offset0:4 offset1:5
	s_waitcnt vmcnt(21) lgkmcnt(2)
	v_mul_f64 v[92:93], v[90:91], v[6:7]
	v_mul_f64 v[6:7], v[88:89], v[6:7]
	v_fmac_f64_e32 v[6:7], v[90:91], v[4:5]
	v_fma_f64 v[92:93], v[88:89], v[4:5], -v[92:93]
	s_waitcnt lgkmcnt(1)
	v_mul_f64 v[4:5], v[96:97], v[6:7]
	v_fma_f64 v[4:5], v[94:95], v[92:93], -v[4:5]
	v_mul_f64 v[94:95], v[94:95], v[6:7]
	v_fmac_f64_e32 v[94:95], v[96:97], v[92:93]
	s_waitcnt vmcnt(20)
	v_add_f64 v[2:3], v[2:3], -v[94:95]
	ds_read2_b64 v[94:97], v224 offset0:6 offset1:7
	v_add_f64 v[0:1], v[0:1], -v[4:5]
	s_waitcnt lgkmcnt(1)
	v_mul_f64 v[4:5], v[100:101], v[6:7]
	v_fma_f64 v[4:5], v[98:99], v[92:93], -v[4:5]
	v_mul_f64 v[98:99], v[98:99], v[6:7]
	v_fmac_f64_e32 v[98:99], v[100:101], v[92:93]
	s_waitcnt vmcnt(19)
	v_add_f64 v[80:81], v[80:81], -v[4:5]
	v_add_f64 v[82:83], v[82:83], -v[98:99]
	ds_read2_b64 v[98:101], v224 offset0:8 offset1:9
	s_waitcnt lgkmcnt(1)
	v_mul_f64 v[4:5], v[96:97], v[6:7]
	v_fma_f64 v[4:5], v[94:95], v[92:93], -v[4:5]
	v_mul_f64 v[94:95], v[94:95], v[6:7]
	v_fmac_f64_e32 v[94:95], v[96:97], v[92:93]
	s_waitcnt vmcnt(18)
	v_add_f64 v[78:79], v[78:79], -v[94:95]
	ds_read2_b64 v[94:97], v224 offset0:10 offset1:11
	v_add_f64 v[76:77], v[76:77], -v[4:5]
	s_waitcnt lgkmcnt(1)
	v_mul_f64 v[4:5], v[100:101], v[6:7]
	v_fma_f64 v[4:5], v[98:99], v[92:93], -v[4:5]
	v_mul_f64 v[98:99], v[98:99], v[6:7]
	v_fmac_f64_e32 v[98:99], v[100:101], v[92:93]
	s_waitcnt vmcnt(17)
	v_add_f64 v[72:73], v[72:73], -v[4:5]
	v_add_f64 v[74:75], v[74:75], -v[98:99]
	ds_read2_b64 v[98:101], v224 offset0:12 offset1:13
	;; [unrolled: 18-line block ×9, first 2 shown]
	s_waitcnt lgkmcnt(1)
	v_mul_f64 v[4:5], v[96:97], v[6:7]
	v_fma_f64 v[4:5], v[94:95], v[92:93], -v[4:5]
	v_mul_f64 v[94:95], v[94:95], v[6:7]
	v_fmac_f64_e32 v[94:95], v[96:97], v[92:93]
	s_waitcnt vmcnt(2)
	v_add_f64 v[14:15], v[14:15], -v[94:95]
	ds_read2_b64 v[94:97], v224 offset0:42 offset1:43
	v_add_f64 v[12:13], v[12:13], -v[4:5]
	s_waitcnt lgkmcnt(1)
	v_mul_f64 v[4:5], v[100:101], v[6:7]
	v_fma_f64 v[4:5], v[98:99], v[92:93], -v[4:5]
	s_waitcnt vmcnt(1)
	v_add_f64 v[8:9], v[8:9], -v[4:5]
	s_waitcnt lgkmcnt(0)
	v_mul_f64 v[4:5], v[96:97], v[6:7]
	v_mul_f64 v[98:99], v[98:99], v[6:7]
	v_fma_f64 v[4:5], v[94:95], v[92:93], -v[4:5]
	v_mul_f64 v[94:95], v[94:95], v[6:7]
	v_fmac_f64_e32 v[98:99], v[100:101], v[92:93]
	v_fmac_f64_e32 v[94:95], v[96:97], v[92:93]
	v_add_f64 v[10:11], v[10:11], -v[98:99]
	s_waitcnt vmcnt(0)
	v_add_f64 v[84:85], v[84:85], -v[4:5]
	v_add_f64 v[86:87], v[86:87], -v[94:95]
	v_mov_b64_e32 v[4:5], v[92:93]
.LBB43_10:
	s_or_b64 exec, exec, s[4:5]
	v_cmp_eq_u32_e32 vcc, 1, v222
	s_waitcnt lgkmcnt(0)
	s_barrier
	s_and_saveexec_b64 s[4:5], vcc
	s_cbranch_execz .LBB43_17
; %bb.11:
	s_waitcnt vmcnt(20)
	ds_write2_b64 v223, v[0:1], v[2:3] offset1:1
	s_waitcnt vmcnt(19)
	ds_write2_b64 v224, v[80:81], v[82:83] offset0:4 offset1:5
	s_waitcnt vmcnt(18)
	ds_write2_b64 v224, v[76:77], v[78:79] offset0:6 offset1:7
	;; [unrolled: 2-line block ×20, first 2 shown]
	ds_read2_b64 v[92:95], v223 offset1:1
	s_waitcnt lgkmcnt(0)
	v_cmp_neq_f64_e32 vcc, 0, v[92:93]
	v_cmp_neq_f64_e64 s[2:3], 0, v[94:95]
	s_or_b64 s[2:3], vcc, s[2:3]
	s_and_b64 exec, exec, s[2:3]
	s_cbranch_execz .LBB43_17
; %bb.12:
	v_cmp_ngt_f64_e64 s[2:3], |v[92:93]|, |v[94:95]|
                                        ; implicit-def: $vgpr96_vgpr97
	s_and_saveexec_b64 s[10:11], s[2:3]
	s_xor_b64 s[2:3], exec, s[10:11]
                                        ; implicit-def: $vgpr98_vgpr99
	s_cbranch_execz .LBB43_14
; %bb.13:
	v_div_scale_f64 v[96:97], s[10:11], v[94:95], v[94:95], v[92:93]
	v_rcp_f64_e32 v[98:99], v[96:97]
	v_div_scale_f64 v[100:101], vcc, v[92:93], v[94:95], v[92:93]
	v_fma_f64 v[102:103], -v[96:97], v[98:99], 1.0
	v_fmac_f64_e32 v[98:99], v[98:99], v[102:103]
	v_fma_f64 v[102:103], -v[96:97], v[98:99], 1.0
	v_fmac_f64_e32 v[98:99], v[98:99], v[102:103]
	v_mul_f64 v[102:103], v[100:101], v[98:99]
	v_fma_f64 v[96:97], -v[96:97], v[102:103], v[100:101]
	v_div_fmas_f64 v[96:97], v[96:97], v[98:99], v[102:103]
	v_div_fixup_f64 v[96:97], v[96:97], v[94:95], v[92:93]
	v_fmac_f64_e32 v[94:95], v[92:93], v[96:97]
	v_div_scale_f64 v[92:93], s[10:11], v[94:95], v[94:95], 1.0
	v_rcp_f64_e32 v[98:99], v[92:93]
	s_nop 0
	v_fma_f64 v[100:101], -v[92:93], v[98:99], 1.0
	v_fmac_f64_e32 v[98:99], v[98:99], v[100:101]
	v_fma_f64 v[100:101], -v[92:93], v[98:99], 1.0
	v_fmac_f64_e32 v[98:99], v[98:99], v[100:101]
	v_div_scale_f64 v[100:101], vcc, 1.0, v[94:95], 1.0
	v_mul_f64 v[102:103], v[100:101], v[98:99]
	v_fma_f64 v[92:93], -v[92:93], v[102:103], v[100:101]
	s_nop 1
	v_div_fmas_f64 v[92:93], v[92:93], v[98:99], v[102:103]
	v_div_fixup_f64 v[98:99], v[92:93], v[94:95], 1.0
	v_mul_f64 v[96:97], v[96:97], v[98:99]
	v_xor_b32_e32 v99, 0x80000000, v99
                                        ; implicit-def: $vgpr92_vgpr93
.LBB43_14:
	s_andn2_saveexec_b64 s[2:3], s[2:3]
	s_cbranch_execz .LBB43_16
; %bb.15:
	v_div_scale_f64 v[96:97], s[10:11], v[92:93], v[92:93], v[94:95]
	v_rcp_f64_e32 v[98:99], v[96:97]
	v_div_scale_f64 v[100:101], vcc, v[94:95], v[92:93], v[94:95]
	v_fma_f64 v[102:103], -v[96:97], v[98:99], 1.0
	v_fmac_f64_e32 v[98:99], v[98:99], v[102:103]
	v_fma_f64 v[102:103], -v[96:97], v[98:99], 1.0
	v_fmac_f64_e32 v[98:99], v[98:99], v[102:103]
	v_mul_f64 v[102:103], v[100:101], v[98:99]
	v_fma_f64 v[96:97], -v[96:97], v[102:103], v[100:101]
	v_div_fmas_f64 v[96:97], v[96:97], v[98:99], v[102:103]
	v_div_fixup_f64 v[98:99], v[96:97], v[92:93], v[94:95]
	v_fmac_f64_e32 v[92:93], v[94:95], v[98:99]
	v_div_scale_f64 v[94:95], s[10:11], v[92:93], v[92:93], 1.0
	v_rcp_f64_e32 v[96:97], v[94:95]
	s_nop 0
	v_fma_f64 v[100:101], -v[94:95], v[96:97], 1.0
	v_fmac_f64_e32 v[96:97], v[96:97], v[100:101]
	v_fma_f64 v[100:101], -v[94:95], v[96:97], 1.0
	v_fmac_f64_e32 v[96:97], v[96:97], v[100:101]
	v_div_scale_f64 v[100:101], vcc, 1.0, v[92:93], 1.0
	v_mul_f64 v[102:103], v[100:101], v[96:97]
	v_fma_f64 v[94:95], -v[94:95], v[102:103], v[100:101]
	s_nop 1
	v_div_fmas_f64 v[94:95], v[94:95], v[96:97], v[102:103]
	v_div_fixup_f64 v[96:97], v[94:95], v[92:93], 1.0
	v_mul_f64 v[98:99], v[98:99], -v[96:97]
.LBB43_16:
	s_or_b64 exec, exec, s[2:3]
	ds_write2_b64 v223, v[96:97], v[98:99] offset1:1
.LBB43_17:
	s_or_b64 exec, exec, s[4:5]
	s_waitcnt lgkmcnt(0)
	s_barrier
	ds_read2_b64 v[92:95], v223 offset1:1
	v_cmp_lt_u32_e32 vcc, 1, v222
	s_and_saveexec_b64 s[2:3], vcc
	s_cbranch_execz .LBB43_19
; %bb.18:
	ds_read2_b64 v[98:101], v224 offset0:4 offset1:5
	ds_read2_b64 v[102:105], v224 offset0:6 offset1:7
	s_waitcnt vmcnt(20) lgkmcnt(2)
	v_mul_f64 v[96:97], v[94:95], v[2:3]
	v_mul_f64 v[2:3], v[92:93], v[2:3]
	v_fmac_f64_e32 v[2:3], v[94:95], v[0:1]
	v_fma_f64 v[96:97], v[92:93], v[0:1], -v[96:97]
	s_waitcnt lgkmcnt(1)
	v_mul_f64 v[0:1], v[100:101], v[2:3]
	v_fma_f64 v[0:1], v[98:99], v[96:97], -v[0:1]
	v_mul_f64 v[98:99], v[98:99], v[2:3]
	v_fmac_f64_e32 v[98:99], v[100:101], v[96:97]
	s_waitcnt vmcnt(19)
	v_add_f64 v[80:81], v[80:81], -v[0:1]
	v_add_f64 v[82:83], v[82:83], -v[98:99]
	s_waitcnt lgkmcnt(0)
	v_mul_f64 v[0:1], v[104:105], v[2:3]
	ds_read2_b64 v[98:101], v224 offset0:8 offset1:9
	v_fma_f64 v[0:1], v[102:103], v[96:97], -v[0:1]
	v_mul_f64 v[102:103], v[102:103], v[2:3]
	v_fmac_f64_e32 v[102:103], v[104:105], v[96:97]
	s_waitcnt vmcnt(18)
	v_add_f64 v[78:79], v[78:79], -v[102:103]
	ds_read2_b64 v[102:105], v224 offset0:10 offset1:11
	v_add_f64 v[76:77], v[76:77], -v[0:1]
	s_waitcnt lgkmcnt(1)
	v_mul_f64 v[0:1], v[100:101], v[2:3]
	v_fma_f64 v[0:1], v[98:99], v[96:97], -v[0:1]
	v_mul_f64 v[98:99], v[98:99], v[2:3]
	v_fmac_f64_e32 v[98:99], v[100:101], v[96:97]
	s_waitcnt vmcnt(17)
	v_add_f64 v[72:73], v[72:73], -v[0:1]
	v_add_f64 v[74:75], v[74:75], -v[98:99]
	s_waitcnt lgkmcnt(0)
	v_mul_f64 v[0:1], v[104:105], v[2:3]
	ds_read2_b64 v[98:101], v224 offset0:12 offset1:13
	v_fma_f64 v[0:1], v[102:103], v[96:97], -v[0:1]
	v_mul_f64 v[102:103], v[102:103], v[2:3]
	v_fmac_f64_e32 v[102:103], v[104:105], v[96:97]
	s_waitcnt vmcnt(16)
	v_add_f64 v[70:71], v[70:71], -v[102:103]
	ds_read2_b64 v[102:105], v224 offset0:14 offset1:15
	v_add_f64 v[68:69], v[68:69], -v[0:1]
	;; [unrolled: 18-line block ×9, first 2 shown]
	s_waitcnt lgkmcnt(1)
	v_mul_f64 v[0:1], v[100:101], v[2:3]
	v_fma_f64 v[0:1], v[98:99], v[96:97], -v[0:1]
	v_mul_f64 v[98:99], v[98:99], v[2:3]
	v_fmac_f64_e32 v[98:99], v[100:101], v[96:97]
	s_waitcnt vmcnt(1)
	v_add_f64 v[8:9], v[8:9], -v[0:1]
	v_add_f64 v[10:11], v[10:11], -v[98:99]
	s_waitcnt lgkmcnt(0)
	v_mul_f64 v[0:1], v[104:105], v[2:3]
	v_mul_f64 v[98:99], v[102:103], v[2:3]
	v_fma_f64 v[0:1], v[102:103], v[96:97], -v[0:1]
	v_fmac_f64_e32 v[98:99], v[104:105], v[96:97]
	s_waitcnt vmcnt(0)
	v_add_f64 v[84:85], v[84:85], -v[0:1]
	v_add_f64 v[86:87], v[86:87], -v[98:99]
	v_mov_b64_e32 v[0:1], v[96:97]
.LBB43_19:
	s_or_b64 exec, exec, s[2:3]
	v_cmp_eq_u32_e32 vcc, 2, v222
	s_waitcnt lgkmcnt(0)
	s_barrier
	s_and_saveexec_b64 s[4:5], vcc
	s_cbranch_execz .LBB43_26
; %bb.20:
	s_waitcnt vmcnt(19)
	ds_write2_b64 v223, v[80:81], v[82:83] offset1:1
	s_waitcnt vmcnt(18)
	ds_write2_b64 v224, v[76:77], v[78:79] offset0:6 offset1:7
	s_waitcnt vmcnt(17)
	ds_write2_b64 v224, v[72:73], v[74:75] offset0:8 offset1:9
	;; [unrolled: 2-line block ×19, first 2 shown]
	ds_read2_b64 v[96:99], v223 offset1:1
	s_waitcnt lgkmcnt(0)
	v_cmp_neq_f64_e32 vcc, 0, v[96:97]
	v_cmp_neq_f64_e64 s[2:3], 0, v[98:99]
	s_or_b64 s[2:3], vcc, s[2:3]
	s_and_b64 exec, exec, s[2:3]
	s_cbranch_execz .LBB43_26
; %bb.21:
	v_cmp_ngt_f64_e64 s[2:3], |v[96:97]|, |v[98:99]|
                                        ; implicit-def: $vgpr100_vgpr101
	s_and_saveexec_b64 s[10:11], s[2:3]
	s_xor_b64 s[2:3], exec, s[10:11]
                                        ; implicit-def: $vgpr102_vgpr103
	s_cbranch_execz .LBB43_23
; %bb.22:
	v_div_scale_f64 v[100:101], s[10:11], v[98:99], v[98:99], v[96:97]
	v_rcp_f64_e32 v[102:103], v[100:101]
	v_div_scale_f64 v[104:105], vcc, v[96:97], v[98:99], v[96:97]
	v_fma_f64 v[106:107], -v[100:101], v[102:103], 1.0
	v_fmac_f64_e32 v[102:103], v[102:103], v[106:107]
	v_fma_f64 v[106:107], -v[100:101], v[102:103], 1.0
	v_fmac_f64_e32 v[102:103], v[102:103], v[106:107]
	v_mul_f64 v[106:107], v[104:105], v[102:103]
	v_fma_f64 v[100:101], -v[100:101], v[106:107], v[104:105]
	v_div_fmas_f64 v[100:101], v[100:101], v[102:103], v[106:107]
	v_div_fixup_f64 v[100:101], v[100:101], v[98:99], v[96:97]
	v_fmac_f64_e32 v[98:99], v[96:97], v[100:101]
	v_div_scale_f64 v[96:97], s[10:11], v[98:99], v[98:99], 1.0
	v_rcp_f64_e32 v[102:103], v[96:97]
	s_nop 0
	v_fma_f64 v[104:105], -v[96:97], v[102:103], 1.0
	v_fmac_f64_e32 v[102:103], v[102:103], v[104:105]
	v_fma_f64 v[104:105], -v[96:97], v[102:103], 1.0
	v_fmac_f64_e32 v[102:103], v[102:103], v[104:105]
	v_div_scale_f64 v[104:105], vcc, 1.0, v[98:99], 1.0
	v_mul_f64 v[106:107], v[104:105], v[102:103]
	v_fma_f64 v[96:97], -v[96:97], v[106:107], v[104:105]
	s_nop 1
	v_div_fmas_f64 v[96:97], v[96:97], v[102:103], v[106:107]
	v_div_fixup_f64 v[102:103], v[96:97], v[98:99], 1.0
	v_mul_f64 v[100:101], v[100:101], v[102:103]
	v_xor_b32_e32 v103, 0x80000000, v103
                                        ; implicit-def: $vgpr96_vgpr97
.LBB43_23:
	s_andn2_saveexec_b64 s[2:3], s[2:3]
	s_cbranch_execz .LBB43_25
; %bb.24:
	v_div_scale_f64 v[100:101], s[10:11], v[96:97], v[96:97], v[98:99]
	v_rcp_f64_e32 v[102:103], v[100:101]
	v_div_scale_f64 v[104:105], vcc, v[98:99], v[96:97], v[98:99]
	v_fma_f64 v[106:107], -v[100:101], v[102:103], 1.0
	v_fmac_f64_e32 v[102:103], v[102:103], v[106:107]
	v_fma_f64 v[106:107], -v[100:101], v[102:103], 1.0
	v_fmac_f64_e32 v[102:103], v[102:103], v[106:107]
	v_mul_f64 v[106:107], v[104:105], v[102:103]
	v_fma_f64 v[100:101], -v[100:101], v[106:107], v[104:105]
	v_div_fmas_f64 v[100:101], v[100:101], v[102:103], v[106:107]
	v_div_fixup_f64 v[102:103], v[100:101], v[96:97], v[98:99]
	v_fmac_f64_e32 v[96:97], v[98:99], v[102:103]
	v_div_scale_f64 v[98:99], s[10:11], v[96:97], v[96:97], 1.0
	v_rcp_f64_e32 v[100:101], v[98:99]
	s_nop 0
	v_fma_f64 v[104:105], -v[98:99], v[100:101], 1.0
	v_fmac_f64_e32 v[100:101], v[100:101], v[104:105]
	v_fma_f64 v[104:105], -v[98:99], v[100:101], 1.0
	v_fmac_f64_e32 v[100:101], v[100:101], v[104:105]
	v_div_scale_f64 v[104:105], vcc, 1.0, v[96:97], 1.0
	v_mul_f64 v[106:107], v[104:105], v[100:101]
	v_fma_f64 v[98:99], -v[98:99], v[106:107], v[104:105]
	s_nop 1
	v_div_fmas_f64 v[98:99], v[98:99], v[100:101], v[106:107]
	v_div_fixup_f64 v[100:101], v[98:99], v[96:97], 1.0
	v_mul_f64 v[102:103], v[102:103], -v[100:101]
.LBB43_25:
	s_or_b64 exec, exec, s[2:3]
	ds_write2_b64 v223, v[100:101], v[102:103] offset1:1
.LBB43_26:
	s_or_b64 exec, exec, s[4:5]
	s_waitcnt lgkmcnt(0)
	s_barrier
	ds_read2_b64 v[96:99], v223 offset1:1
	v_cmp_lt_u32_e32 vcc, 2, v222
	s_and_saveexec_b64 s[2:3], vcc
	s_cbranch_execz .LBB43_28
; %bb.27:
	ds_read2_b64 v[102:105], v224 offset0:6 offset1:7
	ds_read2_b64 v[106:109], v224 offset0:8 offset1:9
	s_waitcnt vmcnt(19) lgkmcnt(2)
	v_mul_f64 v[100:101], v[98:99], v[82:83]
	v_mul_f64 v[82:83], v[96:97], v[82:83]
	v_fmac_f64_e32 v[82:83], v[98:99], v[80:81]
	v_fma_f64 v[100:101], v[96:97], v[80:81], -v[100:101]
	s_waitcnt lgkmcnt(1)
	v_mul_f64 v[80:81], v[104:105], v[82:83]
	v_fma_f64 v[80:81], v[102:103], v[100:101], -v[80:81]
	v_mul_f64 v[102:103], v[102:103], v[82:83]
	v_fmac_f64_e32 v[102:103], v[104:105], v[100:101]
	s_waitcnt vmcnt(18)
	v_add_f64 v[78:79], v[78:79], -v[102:103]
	ds_read2_b64 v[102:105], v224 offset0:10 offset1:11
	v_add_f64 v[76:77], v[76:77], -v[80:81]
	s_waitcnt lgkmcnt(1)
	v_mul_f64 v[80:81], v[108:109], v[82:83]
	v_fma_f64 v[80:81], v[106:107], v[100:101], -v[80:81]
	v_mul_f64 v[106:107], v[106:107], v[82:83]
	v_fmac_f64_e32 v[106:107], v[108:109], v[100:101]
	s_waitcnt vmcnt(17)
	v_add_f64 v[72:73], v[72:73], -v[80:81]
	v_add_f64 v[74:75], v[74:75], -v[106:107]
	ds_read2_b64 v[106:109], v224 offset0:12 offset1:13
	s_waitcnt lgkmcnt(1)
	v_mul_f64 v[80:81], v[104:105], v[82:83]
	v_fma_f64 v[80:81], v[102:103], v[100:101], -v[80:81]
	v_mul_f64 v[102:103], v[102:103], v[82:83]
	v_fmac_f64_e32 v[102:103], v[104:105], v[100:101]
	s_waitcnt vmcnt(16)
	v_add_f64 v[70:71], v[70:71], -v[102:103]
	ds_read2_b64 v[102:105], v224 offset0:14 offset1:15
	v_add_f64 v[68:69], v[68:69], -v[80:81]
	s_waitcnt lgkmcnt(1)
	v_mul_f64 v[80:81], v[108:109], v[82:83]
	v_fma_f64 v[80:81], v[106:107], v[100:101], -v[80:81]
	v_mul_f64 v[106:107], v[106:107], v[82:83]
	v_fmac_f64_e32 v[106:107], v[108:109], v[100:101]
	s_waitcnt vmcnt(15)
	v_add_f64 v[64:65], v[64:65], -v[80:81]
	v_add_f64 v[66:67], v[66:67], -v[106:107]
	ds_read2_b64 v[106:109], v224 offset0:16 offset1:17
	;; [unrolled: 18-line block ×8, first 2 shown]
	s_waitcnt lgkmcnt(1)
	v_mul_f64 v[80:81], v[104:105], v[82:83]
	v_fma_f64 v[80:81], v[102:103], v[100:101], -v[80:81]
	v_mul_f64 v[102:103], v[102:103], v[82:83]
	v_fmac_f64_e32 v[102:103], v[104:105], v[100:101]
	s_waitcnt vmcnt(2)
	v_add_f64 v[14:15], v[14:15], -v[102:103]
	ds_read2_b64 v[102:105], v224 offset0:42 offset1:43
	v_add_f64 v[12:13], v[12:13], -v[80:81]
	s_waitcnt lgkmcnt(1)
	v_mul_f64 v[80:81], v[108:109], v[82:83]
	v_fma_f64 v[80:81], v[106:107], v[100:101], -v[80:81]
	s_waitcnt vmcnt(1)
	v_add_f64 v[8:9], v[8:9], -v[80:81]
	s_waitcnt lgkmcnt(0)
	v_mul_f64 v[80:81], v[104:105], v[82:83]
	v_mul_f64 v[106:107], v[106:107], v[82:83]
	v_fma_f64 v[80:81], v[102:103], v[100:101], -v[80:81]
	v_mul_f64 v[102:103], v[102:103], v[82:83]
	v_fmac_f64_e32 v[106:107], v[108:109], v[100:101]
	v_fmac_f64_e32 v[102:103], v[104:105], v[100:101]
	v_add_f64 v[10:11], v[10:11], -v[106:107]
	s_waitcnt vmcnt(0)
	v_add_f64 v[84:85], v[84:85], -v[80:81]
	v_add_f64 v[86:87], v[86:87], -v[102:103]
	v_mov_b64_e32 v[80:81], v[100:101]
.LBB43_28:
	s_or_b64 exec, exec, s[2:3]
	v_cmp_eq_u32_e32 vcc, 3, v222
	s_waitcnt lgkmcnt(0)
	s_barrier
	s_and_saveexec_b64 s[4:5], vcc
	s_cbranch_execz .LBB43_35
; %bb.29:
	s_waitcnt vmcnt(18)
	ds_write2_b64 v223, v[76:77], v[78:79] offset1:1
	s_waitcnt vmcnt(17)
	ds_write2_b64 v224, v[72:73], v[74:75] offset0:8 offset1:9
	s_waitcnt vmcnt(16)
	ds_write2_b64 v224, v[68:69], v[70:71] offset0:10 offset1:11
	s_waitcnt vmcnt(15)
	ds_write2_b64 v224, v[64:65], v[66:67] offset0:12 offset1:13
	s_waitcnt vmcnt(14)
	ds_write2_b64 v224, v[60:61], v[62:63] offset0:14 offset1:15
	s_waitcnt vmcnt(13)
	ds_write2_b64 v224, v[56:57], v[58:59] offset0:16 offset1:17
	s_waitcnt vmcnt(12)
	ds_write2_b64 v224, v[52:53], v[54:55] offset0:18 offset1:19
	s_waitcnt vmcnt(11)
	ds_write2_b64 v224, v[48:49], v[50:51] offset0:20 offset1:21
	s_waitcnt vmcnt(10)
	ds_write2_b64 v224, v[44:45], v[46:47] offset0:22 offset1:23
	s_waitcnt vmcnt(9)
	ds_write2_b64 v224, v[40:41], v[42:43] offset0:24 offset1:25
	s_waitcnt vmcnt(8)
	ds_write2_b64 v224, v[36:37], v[38:39] offset0:26 offset1:27
	s_waitcnt vmcnt(7)
	ds_write2_b64 v224, v[32:33], v[34:35] offset0:28 offset1:29
	s_waitcnt vmcnt(6)
	ds_write2_b64 v224, v[28:29], v[30:31] offset0:30 offset1:31
	s_waitcnt vmcnt(5)
	ds_write2_b64 v224, v[24:25], v[26:27] offset0:32 offset1:33
	s_waitcnt vmcnt(4)
	ds_write2_b64 v224, v[20:21], v[22:23] offset0:34 offset1:35
	s_waitcnt vmcnt(3)
	ds_write2_b64 v224, v[16:17], v[18:19] offset0:36 offset1:37
	s_waitcnt vmcnt(2)
	ds_write2_b64 v224, v[12:13], v[14:15] offset0:38 offset1:39
	s_waitcnt vmcnt(1)
	ds_write2_b64 v224, v[8:9], v[10:11] offset0:40 offset1:41
	s_waitcnt vmcnt(0)
	ds_write2_b64 v224, v[84:85], v[86:87] offset0:42 offset1:43
	ds_read2_b64 v[100:103], v223 offset1:1
	s_waitcnt lgkmcnt(0)
	v_cmp_neq_f64_e32 vcc, 0, v[100:101]
	v_cmp_neq_f64_e64 s[2:3], 0, v[102:103]
	s_or_b64 s[2:3], vcc, s[2:3]
	s_and_b64 exec, exec, s[2:3]
	s_cbranch_execz .LBB43_35
; %bb.30:
	v_cmp_ngt_f64_e64 s[2:3], |v[100:101]|, |v[102:103]|
                                        ; implicit-def: $vgpr104_vgpr105
	s_and_saveexec_b64 s[10:11], s[2:3]
	s_xor_b64 s[2:3], exec, s[10:11]
                                        ; implicit-def: $vgpr106_vgpr107
	s_cbranch_execz .LBB43_32
; %bb.31:
	v_div_scale_f64 v[104:105], s[10:11], v[102:103], v[102:103], v[100:101]
	v_rcp_f64_e32 v[106:107], v[104:105]
	v_div_scale_f64 v[108:109], vcc, v[100:101], v[102:103], v[100:101]
	v_fma_f64 v[110:111], -v[104:105], v[106:107], 1.0
	v_fmac_f64_e32 v[106:107], v[106:107], v[110:111]
	v_fma_f64 v[110:111], -v[104:105], v[106:107], 1.0
	v_fmac_f64_e32 v[106:107], v[106:107], v[110:111]
	v_mul_f64 v[110:111], v[108:109], v[106:107]
	v_fma_f64 v[104:105], -v[104:105], v[110:111], v[108:109]
	v_div_fmas_f64 v[104:105], v[104:105], v[106:107], v[110:111]
	v_div_fixup_f64 v[104:105], v[104:105], v[102:103], v[100:101]
	v_fmac_f64_e32 v[102:103], v[100:101], v[104:105]
	v_div_scale_f64 v[100:101], s[10:11], v[102:103], v[102:103], 1.0
	v_rcp_f64_e32 v[106:107], v[100:101]
	s_nop 0
	v_fma_f64 v[108:109], -v[100:101], v[106:107], 1.0
	v_fmac_f64_e32 v[106:107], v[106:107], v[108:109]
	v_fma_f64 v[108:109], -v[100:101], v[106:107], 1.0
	v_fmac_f64_e32 v[106:107], v[106:107], v[108:109]
	v_div_scale_f64 v[108:109], vcc, 1.0, v[102:103], 1.0
	v_mul_f64 v[110:111], v[108:109], v[106:107]
	v_fma_f64 v[100:101], -v[100:101], v[110:111], v[108:109]
	s_nop 1
	v_div_fmas_f64 v[100:101], v[100:101], v[106:107], v[110:111]
	v_div_fixup_f64 v[106:107], v[100:101], v[102:103], 1.0
	v_mul_f64 v[104:105], v[104:105], v[106:107]
	v_xor_b32_e32 v107, 0x80000000, v107
                                        ; implicit-def: $vgpr100_vgpr101
.LBB43_32:
	s_andn2_saveexec_b64 s[2:3], s[2:3]
	s_cbranch_execz .LBB43_34
; %bb.33:
	v_div_scale_f64 v[104:105], s[10:11], v[100:101], v[100:101], v[102:103]
	v_rcp_f64_e32 v[106:107], v[104:105]
	v_div_scale_f64 v[108:109], vcc, v[102:103], v[100:101], v[102:103]
	v_fma_f64 v[110:111], -v[104:105], v[106:107], 1.0
	v_fmac_f64_e32 v[106:107], v[106:107], v[110:111]
	v_fma_f64 v[110:111], -v[104:105], v[106:107], 1.0
	v_fmac_f64_e32 v[106:107], v[106:107], v[110:111]
	v_mul_f64 v[110:111], v[108:109], v[106:107]
	v_fma_f64 v[104:105], -v[104:105], v[110:111], v[108:109]
	v_div_fmas_f64 v[104:105], v[104:105], v[106:107], v[110:111]
	v_div_fixup_f64 v[106:107], v[104:105], v[100:101], v[102:103]
	v_fmac_f64_e32 v[100:101], v[102:103], v[106:107]
	v_div_scale_f64 v[102:103], s[10:11], v[100:101], v[100:101], 1.0
	v_rcp_f64_e32 v[104:105], v[102:103]
	s_nop 0
	v_fma_f64 v[108:109], -v[102:103], v[104:105], 1.0
	v_fmac_f64_e32 v[104:105], v[104:105], v[108:109]
	v_fma_f64 v[108:109], -v[102:103], v[104:105], 1.0
	v_fmac_f64_e32 v[104:105], v[104:105], v[108:109]
	v_div_scale_f64 v[108:109], vcc, 1.0, v[100:101], 1.0
	v_mul_f64 v[110:111], v[108:109], v[104:105]
	v_fma_f64 v[102:103], -v[102:103], v[110:111], v[108:109]
	s_nop 1
	v_div_fmas_f64 v[102:103], v[102:103], v[104:105], v[110:111]
	v_div_fixup_f64 v[104:105], v[102:103], v[100:101], 1.0
	v_mul_f64 v[106:107], v[106:107], -v[104:105]
.LBB43_34:
	s_or_b64 exec, exec, s[2:3]
	ds_write2_b64 v223, v[104:105], v[106:107] offset1:1
.LBB43_35:
	s_or_b64 exec, exec, s[4:5]
	s_waitcnt lgkmcnt(0)
	s_barrier
	ds_read2_b64 v[100:103], v223 offset1:1
	v_cmp_lt_u32_e32 vcc, 3, v222
	s_and_saveexec_b64 s[2:3], vcc
	s_cbranch_execz .LBB43_37
; %bb.36:
	ds_read2_b64 v[106:109], v224 offset0:8 offset1:9
	ds_read2_b64 v[110:113], v224 offset0:10 offset1:11
	s_waitcnt vmcnt(18) lgkmcnt(2)
	v_mul_f64 v[104:105], v[102:103], v[78:79]
	v_mul_f64 v[78:79], v[100:101], v[78:79]
	v_fmac_f64_e32 v[78:79], v[102:103], v[76:77]
	v_fma_f64 v[104:105], v[100:101], v[76:77], -v[104:105]
	s_waitcnt lgkmcnt(1)
	v_mul_f64 v[76:77], v[108:109], v[78:79]
	v_fma_f64 v[76:77], v[106:107], v[104:105], -v[76:77]
	v_mul_f64 v[106:107], v[106:107], v[78:79]
	v_fmac_f64_e32 v[106:107], v[108:109], v[104:105]
	s_waitcnt vmcnt(17)
	v_add_f64 v[72:73], v[72:73], -v[76:77]
	v_add_f64 v[74:75], v[74:75], -v[106:107]
	s_waitcnt lgkmcnt(0)
	v_mul_f64 v[76:77], v[112:113], v[78:79]
	ds_read2_b64 v[106:109], v224 offset0:12 offset1:13
	v_fma_f64 v[76:77], v[110:111], v[104:105], -v[76:77]
	v_mul_f64 v[110:111], v[110:111], v[78:79]
	v_fmac_f64_e32 v[110:111], v[112:113], v[104:105]
	s_waitcnt vmcnt(16)
	v_add_f64 v[70:71], v[70:71], -v[110:111]
	ds_read2_b64 v[110:113], v224 offset0:14 offset1:15
	v_add_f64 v[68:69], v[68:69], -v[76:77]
	s_waitcnt lgkmcnt(1)
	v_mul_f64 v[76:77], v[108:109], v[78:79]
	v_fma_f64 v[76:77], v[106:107], v[104:105], -v[76:77]
	v_mul_f64 v[106:107], v[106:107], v[78:79]
	v_fmac_f64_e32 v[106:107], v[108:109], v[104:105]
	s_waitcnt vmcnt(15)
	v_add_f64 v[64:65], v[64:65], -v[76:77]
	v_add_f64 v[66:67], v[66:67], -v[106:107]
	s_waitcnt lgkmcnt(0)
	v_mul_f64 v[76:77], v[112:113], v[78:79]
	ds_read2_b64 v[106:109], v224 offset0:16 offset1:17
	v_fma_f64 v[76:77], v[110:111], v[104:105], -v[76:77]
	v_mul_f64 v[110:111], v[110:111], v[78:79]
	v_fmac_f64_e32 v[110:111], v[112:113], v[104:105]
	s_waitcnt vmcnt(14)
	v_add_f64 v[62:63], v[62:63], -v[110:111]
	ds_read2_b64 v[110:113], v224 offset0:18 offset1:19
	v_add_f64 v[60:61], v[60:61], -v[76:77]
	;; [unrolled: 18-line block ×8, first 2 shown]
	s_waitcnt lgkmcnt(1)
	v_mul_f64 v[76:77], v[108:109], v[78:79]
	v_fma_f64 v[76:77], v[106:107], v[104:105], -v[76:77]
	v_mul_f64 v[106:107], v[106:107], v[78:79]
	v_fmac_f64_e32 v[106:107], v[108:109], v[104:105]
	s_waitcnt vmcnt(1)
	v_add_f64 v[8:9], v[8:9], -v[76:77]
	v_add_f64 v[10:11], v[10:11], -v[106:107]
	s_waitcnt lgkmcnt(0)
	v_mul_f64 v[76:77], v[112:113], v[78:79]
	v_mul_f64 v[106:107], v[110:111], v[78:79]
	v_fma_f64 v[76:77], v[110:111], v[104:105], -v[76:77]
	v_fmac_f64_e32 v[106:107], v[112:113], v[104:105]
	s_waitcnt vmcnt(0)
	v_add_f64 v[84:85], v[84:85], -v[76:77]
	v_add_f64 v[86:87], v[86:87], -v[106:107]
	v_mov_b64_e32 v[76:77], v[104:105]
.LBB43_37:
	s_or_b64 exec, exec, s[2:3]
	v_cmp_eq_u32_e32 vcc, 4, v222
	s_waitcnt lgkmcnt(0)
	s_barrier
	s_and_saveexec_b64 s[4:5], vcc
	s_cbranch_execz .LBB43_44
; %bb.38:
	s_waitcnt vmcnt(17)
	ds_write2_b64 v223, v[72:73], v[74:75] offset1:1
	s_waitcnt vmcnt(16)
	ds_write2_b64 v224, v[68:69], v[70:71] offset0:10 offset1:11
	s_waitcnt vmcnt(15)
	ds_write2_b64 v224, v[64:65], v[66:67] offset0:12 offset1:13
	;; [unrolled: 2-line block ×17, first 2 shown]
	ds_read2_b64 v[104:107], v223 offset1:1
	s_waitcnt lgkmcnt(0)
	v_cmp_neq_f64_e32 vcc, 0, v[104:105]
	v_cmp_neq_f64_e64 s[2:3], 0, v[106:107]
	s_or_b64 s[2:3], vcc, s[2:3]
	s_and_b64 exec, exec, s[2:3]
	s_cbranch_execz .LBB43_44
; %bb.39:
	v_cmp_ngt_f64_e64 s[2:3], |v[104:105]|, |v[106:107]|
                                        ; implicit-def: $vgpr108_vgpr109
	s_and_saveexec_b64 s[10:11], s[2:3]
	s_xor_b64 s[2:3], exec, s[10:11]
                                        ; implicit-def: $vgpr110_vgpr111
	s_cbranch_execz .LBB43_41
; %bb.40:
	v_div_scale_f64 v[108:109], s[10:11], v[106:107], v[106:107], v[104:105]
	v_rcp_f64_e32 v[110:111], v[108:109]
	v_div_scale_f64 v[112:113], vcc, v[104:105], v[106:107], v[104:105]
	v_fma_f64 v[114:115], -v[108:109], v[110:111], 1.0
	v_fmac_f64_e32 v[110:111], v[110:111], v[114:115]
	v_fma_f64 v[114:115], -v[108:109], v[110:111], 1.0
	v_fmac_f64_e32 v[110:111], v[110:111], v[114:115]
	v_mul_f64 v[114:115], v[112:113], v[110:111]
	v_fma_f64 v[108:109], -v[108:109], v[114:115], v[112:113]
	v_div_fmas_f64 v[108:109], v[108:109], v[110:111], v[114:115]
	v_div_fixup_f64 v[108:109], v[108:109], v[106:107], v[104:105]
	v_fmac_f64_e32 v[106:107], v[104:105], v[108:109]
	v_div_scale_f64 v[104:105], s[10:11], v[106:107], v[106:107], 1.0
	v_rcp_f64_e32 v[110:111], v[104:105]
	s_nop 0
	v_fma_f64 v[112:113], -v[104:105], v[110:111], 1.0
	v_fmac_f64_e32 v[110:111], v[110:111], v[112:113]
	v_fma_f64 v[112:113], -v[104:105], v[110:111], 1.0
	v_fmac_f64_e32 v[110:111], v[110:111], v[112:113]
	v_div_scale_f64 v[112:113], vcc, 1.0, v[106:107], 1.0
	v_mul_f64 v[114:115], v[112:113], v[110:111]
	v_fma_f64 v[104:105], -v[104:105], v[114:115], v[112:113]
	s_nop 1
	v_div_fmas_f64 v[104:105], v[104:105], v[110:111], v[114:115]
	v_div_fixup_f64 v[110:111], v[104:105], v[106:107], 1.0
	v_mul_f64 v[108:109], v[108:109], v[110:111]
	v_xor_b32_e32 v111, 0x80000000, v111
                                        ; implicit-def: $vgpr104_vgpr105
.LBB43_41:
	s_andn2_saveexec_b64 s[2:3], s[2:3]
	s_cbranch_execz .LBB43_43
; %bb.42:
	v_div_scale_f64 v[108:109], s[10:11], v[104:105], v[104:105], v[106:107]
	v_rcp_f64_e32 v[110:111], v[108:109]
	v_div_scale_f64 v[112:113], vcc, v[106:107], v[104:105], v[106:107]
	v_fma_f64 v[114:115], -v[108:109], v[110:111], 1.0
	v_fmac_f64_e32 v[110:111], v[110:111], v[114:115]
	v_fma_f64 v[114:115], -v[108:109], v[110:111], 1.0
	v_fmac_f64_e32 v[110:111], v[110:111], v[114:115]
	v_mul_f64 v[114:115], v[112:113], v[110:111]
	v_fma_f64 v[108:109], -v[108:109], v[114:115], v[112:113]
	v_div_fmas_f64 v[108:109], v[108:109], v[110:111], v[114:115]
	v_div_fixup_f64 v[110:111], v[108:109], v[104:105], v[106:107]
	v_fmac_f64_e32 v[104:105], v[106:107], v[110:111]
	v_div_scale_f64 v[106:107], s[10:11], v[104:105], v[104:105], 1.0
	v_rcp_f64_e32 v[108:109], v[106:107]
	s_nop 0
	v_fma_f64 v[112:113], -v[106:107], v[108:109], 1.0
	v_fmac_f64_e32 v[108:109], v[108:109], v[112:113]
	v_fma_f64 v[112:113], -v[106:107], v[108:109], 1.0
	v_fmac_f64_e32 v[108:109], v[108:109], v[112:113]
	v_div_scale_f64 v[112:113], vcc, 1.0, v[104:105], 1.0
	v_mul_f64 v[114:115], v[112:113], v[108:109]
	v_fma_f64 v[106:107], -v[106:107], v[114:115], v[112:113]
	s_nop 1
	v_div_fmas_f64 v[106:107], v[106:107], v[108:109], v[114:115]
	v_div_fixup_f64 v[108:109], v[106:107], v[104:105], 1.0
	v_mul_f64 v[110:111], v[110:111], -v[108:109]
.LBB43_43:
	s_or_b64 exec, exec, s[2:3]
	ds_write2_b64 v223, v[108:109], v[110:111] offset1:1
.LBB43_44:
	s_or_b64 exec, exec, s[4:5]
	s_waitcnt lgkmcnt(0)
	s_barrier
	ds_read2_b64 v[104:107], v223 offset1:1
	v_cmp_lt_u32_e32 vcc, 4, v222
	s_and_saveexec_b64 s[2:3], vcc
	s_cbranch_execz .LBB43_46
; %bb.45:
	ds_read2_b64 v[110:113], v224 offset0:10 offset1:11
	s_waitcnt vmcnt(17) lgkmcnt(1)
	v_mul_f64 v[108:109], v[106:107], v[74:75]
	v_mul_f64 v[74:75], v[104:105], v[74:75]
	v_fmac_f64_e32 v[74:75], v[106:107], v[72:73]
	v_fma_f64 v[108:109], v[104:105], v[72:73], -v[108:109]
	s_waitcnt lgkmcnt(0)
	v_mul_f64 v[72:73], v[112:113], v[74:75]
	v_fma_f64 v[72:73], v[110:111], v[108:109], -v[72:73]
	v_mul_f64 v[110:111], v[110:111], v[74:75]
	v_fmac_f64_e32 v[110:111], v[112:113], v[108:109]
	s_waitcnt vmcnt(16)
	v_add_f64 v[70:71], v[70:71], -v[110:111]
	ds_read2_b64 v[110:113], v224 offset0:12 offset1:13
	v_add_f64 v[68:69], v[68:69], -v[72:73]
	s_waitcnt lgkmcnt(0)
	v_mul_f64 v[72:73], v[112:113], v[74:75]
	v_fma_f64 v[72:73], v[110:111], v[108:109], -v[72:73]
	v_mul_f64 v[110:111], v[110:111], v[74:75]
	v_fmac_f64_e32 v[110:111], v[112:113], v[108:109]
	s_waitcnt vmcnt(15)
	v_add_f64 v[66:67], v[66:67], -v[110:111]
	ds_read2_b64 v[110:113], v224 offset0:14 offset1:15
	v_add_f64 v[64:65], v[64:65], -v[72:73]
	;; [unrolled: 9-line block ×16, first 2 shown]
	s_waitcnt lgkmcnt(0)
	v_mul_f64 v[72:73], v[112:113], v[74:75]
	v_fma_f64 v[72:73], v[110:111], v[108:109], -v[72:73]
	v_mul_f64 v[110:111], v[110:111], v[74:75]
	v_fmac_f64_e32 v[110:111], v[112:113], v[108:109]
	s_waitcnt vmcnt(0)
	v_add_f64 v[84:85], v[84:85], -v[72:73]
	v_add_f64 v[86:87], v[86:87], -v[110:111]
	v_mov_b64_e32 v[72:73], v[108:109]
.LBB43_46:
	s_or_b64 exec, exec, s[2:3]
	v_cmp_eq_u32_e32 vcc, 5, v222
	s_waitcnt lgkmcnt(0)
	s_barrier
	s_and_saveexec_b64 s[4:5], vcc
	s_cbranch_execz .LBB43_53
; %bb.47:
	s_waitcnt vmcnt(16)
	ds_write2_b64 v223, v[68:69], v[70:71] offset1:1
	s_waitcnt vmcnt(15)
	ds_write2_b64 v224, v[64:65], v[66:67] offset0:12 offset1:13
	s_waitcnt vmcnt(14)
	ds_write2_b64 v224, v[60:61], v[62:63] offset0:14 offset1:15
	;; [unrolled: 2-line block ×16, first 2 shown]
	ds_read2_b64 v[108:111], v223 offset1:1
	s_waitcnt lgkmcnt(0)
	v_cmp_neq_f64_e32 vcc, 0, v[108:109]
	v_cmp_neq_f64_e64 s[2:3], 0, v[110:111]
	s_or_b64 s[2:3], vcc, s[2:3]
	s_and_b64 exec, exec, s[2:3]
	s_cbranch_execz .LBB43_53
; %bb.48:
	v_cmp_ngt_f64_e64 s[2:3], |v[108:109]|, |v[110:111]|
                                        ; implicit-def: $vgpr112_vgpr113
	s_and_saveexec_b64 s[10:11], s[2:3]
	s_xor_b64 s[2:3], exec, s[10:11]
                                        ; implicit-def: $vgpr114_vgpr115
	s_cbranch_execz .LBB43_50
; %bb.49:
	v_div_scale_f64 v[112:113], s[10:11], v[110:111], v[110:111], v[108:109]
	v_rcp_f64_e32 v[114:115], v[112:113]
	v_div_scale_f64 v[116:117], vcc, v[108:109], v[110:111], v[108:109]
	v_fma_f64 v[118:119], -v[112:113], v[114:115], 1.0
	v_fmac_f64_e32 v[114:115], v[114:115], v[118:119]
	v_fma_f64 v[118:119], -v[112:113], v[114:115], 1.0
	v_fmac_f64_e32 v[114:115], v[114:115], v[118:119]
	v_mul_f64 v[118:119], v[116:117], v[114:115]
	v_fma_f64 v[112:113], -v[112:113], v[118:119], v[116:117]
	v_div_fmas_f64 v[112:113], v[112:113], v[114:115], v[118:119]
	v_div_fixup_f64 v[112:113], v[112:113], v[110:111], v[108:109]
	v_fmac_f64_e32 v[110:111], v[108:109], v[112:113]
	v_div_scale_f64 v[108:109], s[10:11], v[110:111], v[110:111], 1.0
	v_rcp_f64_e32 v[114:115], v[108:109]
	s_nop 0
	v_fma_f64 v[116:117], -v[108:109], v[114:115], 1.0
	v_fmac_f64_e32 v[114:115], v[114:115], v[116:117]
	v_fma_f64 v[116:117], -v[108:109], v[114:115], 1.0
	v_fmac_f64_e32 v[114:115], v[114:115], v[116:117]
	v_div_scale_f64 v[116:117], vcc, 1.0, v[110:111], 1.0
	v_mul_f64 v[118:119], v[116:117], v[114:115]
	v_fma_f64 v[108:109], -v[108:109], v[118:119], v[116:117]
	s_nop 1
	v_div_fmas_f64 v[108:109], v[108:109], v[114:115], v[118:119]
	v_div_fixup_f64 v[114:115], v[108:109], v[110:111], 1.0
	v_mul_f64 v[112:113], v[112:113], v[114:115]
	v_xor_b32_e32 v115, 0x80000000, v115
                                        ; implicit-def: $vgpr108_vgpr109
.LBB43_50:
	s_andn2_saveexec_b64 s[2:3], s[2:3]
	s_cbranch_execz .LBB43_52
; %bb.51:
	v_div_scale_f64 v[112:113], s[10:11], v[108:109], v[108:109], v[110:111]
	v_rcp_f64_e32 v[114:115], v[112:113]
	v_div_scale_f64 v[116:117], vcc, v[110:111], v[108:109], v[110:111]
	v_fma_f64 v[118:119], -v[112:113], v[114:115], 1.0
	v_fmac_f64_e32 v[114:115], v[114:115], v[118:119]
	v_fma_f64 v[118:119], -v[112:113], v[114:115], 1.0
	v_fmac_f64_e32 v[114:115], v[114:115], v[118:119]
	v_mul_f64 v[118:119], v[116:117], v[114:115]
	v_fma_f64 v[112:113], -v[112:113], v[118:119], v[116:117]
	v_div_fmas_f64 v[112:113], v[112:113], v[114:115], v[118:119]
	v_div_fixup_f64 v[114:115], v[112:113], v[108:109], v[110:111]
	v_fmac_f64_e32 v[108:109], v[110:111], v[114:115]
	v_div_scale_f64 v[110:111], s[10:11], v[108:109], v[108:109], 1.0
	v_rcp_f64_e32 v[112:113], v[110:111]
	s_nop 0
	v_fma_f64 v[116:117], -v[110:111], v[112:113], 1.0
	v_fmac_f64_e32 v[112:113], v[112:113], v[116:117]
	v_fma_f64 v[116:117], -v[110:111], v[112:113], 1.0
	v_fmac_f64_e32 v[112:113], v[112:113], v[116:117]
	v_div_scale_f64 v[116:117], vcc, 1.0, v[108:109], 1.0
	v_mul_f64 v[118:119], v[116:117], v[112:113]
	v_fma_f64 v[110:111], -v[110:111], v[118:119], v[116:117]
	s_nop 1
	v_div_fmas_f64 v[110:111], v[110:111], v[112:113], v[118:119]
	v_div_fixup_f64 v[112:113], v[110:111], v[108:109], 1.0
	v_mul_f64 v[114:115], v[114:115], -v[112:113]
.LBB43_52:
	s_or_b64 exec, exec, s[2:3]
	ds_write2_b64 v223, v[112:113], v[114:115] offset1:1
.LBB43_53:
	s_or_b64 exec, exec, s[4:5]
	s_waitcnt lgkmcnt(0)
	s_barrier
	ds_read2_b64 v[108:111], v223 offset1:1
	v_cmp_lt_u32_e32 vcc, 5, v222
	s_and_saveexec_b64 s[2:3], vcc
	s_cbranch_execz .LBB43_55
; %bb.54:
	ds_read2_b64 v[114:117], v224 offset0:12 offset1:13
	ds_read2_b64 v[118:121], v224 offset0:14 offset1:15
	s_waitcnt vmcnt(16) lgkmcnt(2)
	v_mul_f64 v[112:113], v[108:109], v[70:71]
	v_fmac_f64_e32 v[112:113], v[110:111], v[68:69]
	v_mul_f64 v[70:71], v[110:111], v[70:71]
	v_fma_f64 v[68:69], v[108:109], v[68:69], -v[70:71]
	s_waitcnt lgkmcnt(1)
	v_mul_f64 v[70:71], v[116:117], v[112:113]
	v_fma_f64 v[70:71], v[114:115], v[68:69], -v[70:71]
	v_mul_f64 v[114:115], v[114:115], v[112:113]
	v_fmac_f64_e32 v[114:115], v[116:117], v[68:69]
	s_waitcnt vmcnt(15)
	v_add_f64 v[64:65], v[64:65], -v[70:71]
	v_add_f64 v[66:67], v[66:67], -v[114:115]
	s_waitcnt lgkmcnt(0)
	v_mul_f64 v[70:71], v[120:121], v[112:113]
	ds_read2_b64 v[114:117], v224 offset0:16 offset1:17
	v_fma_f64 v[70:71], v[118:119], v[68:69], -v[70:71]
	v_mul_f64 v[118:119], v[118:119], v[112:113]
	v_fmac_f64_e32 v[118:119], v[120:121], v[68:69]
	s_waitcnt vmcnt(14)
	v_add_f64 v[62:63], v[62:63], -v[118:119]
	ds_read2_b64 v[118:121], v224 offset0:18 offset1:19
	v_add_f64 v[60:61], v[60:61], -v[70:71]
	s_waitcnt lgkmcnt(1)
	v_mul_f64 v[70:71], v[116:117], v[112:113]
	v_fma_f64 v[70:71], v[114:115], v[68:69], -v[70:71]
	v_mul_f64 v[114:115], v[114:115], v[112:113]
	v_fmac_f64_e32 v[114:115], v[116:117], v[68:69]
	s_waitcnt vmcnt(13)
	v_add_f64 v[56:57], v[56:57], -v[70:71]
	v_add_f64 v[58:59], v[58:59], -v[114:115]
	s_waitcnt lgkmcnt(0)
	v_mul_f64 v[70:71], v[120:121], v[112:113]
	ds_read2_b64 v[114:117], v224 offset0:20 offset1:21
	v_fma_f64 v[70:71], v[118:119], v[68:69], -v[70:71]
	v_mul_f64 v[118:119], v[118:119], v[112:113]
	v_fmac_f64_e32 v[118:119], v[120:121], v[68:69]
	s_waitcnt vmcnt(12)
	v_add_f64 v[54:55], v[54:55], -v[118:119]
	ds_read2_b64 v[118:121], v224 offset0:22 offset1:23
	v_add_f64 v[52:53], v[52:53], -v[70:71]
	;; [unrolled: 18-line block ×7, first 2 shown]
	s_waitcnt lgkmcnt(1)
	v_mul_f64 v[70:71], v[116:117], v[112:113]
	v_fma_f64 v[70:71], v[114:115], v[68:69], -v[70:71]
	v_mul_f64 v[114:115], v[114:115], v[112:113]
	v_fmac_f64_e32 v[114:115], v[116:117], v[68:69]
	s_waitcnt vmcnt(1)
	v_add_f64 v[8:9], v[8:9], -v[70:71]
	v_add_f64 v[10:11], v[10:11], -v[114:115]
	s_waitcnt lgkmcnt(0)
	v_mul_f64 v[70:71], v[120:121], v[112:113]
	v_mul_f64 v[114:115], v[118:119], v[112:113]
	v_fma_f64 v[70:71], v[118:119], v[68:69], -v[70:71]
	v_fmac_f64_e32 v[114:115], v[120:121], v[68:69]
	s_waitcnt vmcnt(0)
	v_add_f64 v[84:85], v[84:85], -v[70:71]
	v_add_f64 v[86:87], v[86:87], -v[114:115]
	v_mov_b64_e32 v[70:71], v[112:113]
.LBB43_55:
	s_or_b64 exec, exec, s[2:3]
	v_cmp_eq_u32_e32 vcc, 6, v222
	s_waitcnt lgkmcnt(0)
	s_barrier
	s_and_saveexec_b64 s[4:5], vcc
	s_cbranch_execz .LBB43_62
; %bb.56:
	s_waitcnt vmcnt(15)
	ds_write2_b64 v223, v[64:65], v[66:67] offset1:1
	s_waitcnt vmcnt(14)
	ds_write2_b64 v224, v[60:61], v[62:63] offset0:14 offset1:15
	s_waitcnt vmcnt(13)
	ds_write2_b64 v224, v[56:57], v[58:59] offset0:16 offset1:17
	;; [unrolled: 2-line block ×15, first 2 shown]
	ds_read2_b64 v[112:115], v223 offset1:1
	s_waitcnt lgkmcnt(0)
	v_cmp_neq_f64_e32 vcc, 0, v[112:113]
	v_cmp_neq_f64_e64 s[2:3], 0, v[114:115]
	s_or_b64 s[2:3], vcc, s[2:3]
	s_and_b64 exec, exec, s[2:3]
	s_cbranch_execz .LBB43_62
; %bb.57:
	v_cmp_ngt_f64_e64 s[2:3], |v[112:113]|, |v[114:115]|
                                        ; implicit-def: $vgpr116_vgpr117
	s_and_saveexec_b64 s[10:11], s[2:3]
	s_xor_b64 s[2:3], exec, s[10:11]
                                        ; implicit-def: $vgpr118_vgpr119
	s_cbranch_execz .LBB43_59
; %bb.58:
	v_div_scale_f64 v[116:117], s[10:11], v[114:115], v[114:115], v[112:113]
	v_rcp_f64_e32 v[118:119], v[116:117]
	v_div_scale_f64 v[120:121], vcc, v[112:113], v[114:115], v[112:113]
	v_fma_f64 v[122:123], -v[116:117], v[118:119], 1.0
	v_fmac_f64_e32 v[118:119], v[118:119], v[122:123]
	v_fma_f64 v[122:123], -v[116:117], v[118:119], 1.0
	v_fmac_f64_e32 v[118:119], v[118:119], v[122:123]
	v_mul_f64 v[122:123], v[120:121], v[118:119]
	v_fma_f64 v[116:117], -v[116:117], v[122:123], v[120:121]
	v_div_fmas_f64 v[116:117], v[116:117], v[118:119], v[122:123]
	v_div_fixup_f64 v[116:117], v[116:117], v[114:115], v[112:113]
	v_fmac_f64_e32 v[114:115], v[112:113], v[116:117]
	v_div_scale_f64 v[112:113], s[10:11], v[114:115], v[114:115], 1.0
	v_rcp_f64_e32 v[118:119], v[112:113]
	s_nop 0
	v_fma_f64 v[120:121], -v[112:113], v[118:119], 1.0
	v_fmac_f64_e32 v[118:119], v[118:119], v[120:121]
	v_fma_f64 v[120:121], -v[112:113], v[118:119], 1.0
	v_fmac_f64_e32 v[118:119], v[118:119], v[120:121]
	v_div_scale_f64 v[120:121], vcc, 1.0, v[114:115], 1.0
	v_mul_f64 v[122:123], v[120:121], v[118:119]
	v_fma_f64 v[112:113], -v[112:113], v[122:123], v[120:121]
	s_nop 1
	v_div_fmas_f64 v[112:113], v[112:113], v[118:119], v[122:123]
	v_div_fixup_f64 v[118:119], v[112:113], v[114:115], 1.0
	v_mul_f64 v[116:117], v[116:117], v[118:119]
	v_xor_b32_e32 v119, 0x80000000, v119
                                        ; implicit-def: $vgpr112_vgpr113
.LBB43_59:
	s_andn2_saveexec_b64 s[2:3], s[2:3]
	s_cbranch_execz .LBB43_61
; %bb.60:
	v_div_scale_f64 v[116:117], s[10:11], v[112:113], v[112:113], v[114:115]
	v_rcp_f64_e32 v[118:119], v[116:117]
	v_div_scale_f64 v[120:121], vcc, v[114:115], v[112:113], v[114:115]
	v_fma_f64 v[122:123], -v[116:117], v[118:119], 1.0
	v_fmac_f64_e32 v[118:119], v[118:119], v[122:123]
	v_fma_f64 v[122:123], -v[116:117], v[118:119], 1.0
	v_fmac_f64_e32 v[118:119], v[118:119], v[122:123]
	v_mul_f64 v[122:123], v[120:121], v[118:119]
	v_fma_f64 v[116:117], -v[116:117], v[122:123], v[120:121]
	v_div_fmas_f64 v[116:117], v[116:117], v[118:119], v[122:123]
	v_div_fixup_f64 v[118:119], v[116:117], v[112:113], v[114:115]
	v_fmac_f64_e32 v[112:113], v[114:115], v[118:119]
	v_div_scale_f64 v[114:115], s[10:11], v[112:113], v[112:113], 1.0
	v_rcp_f64_e32 v[116:117], v[114:115]
	s_nop 0
	v_fma_f64 v[120:121], -v[114:115], v[116:117], 1.0
	v_fmac_f64_e32 v[116:117], v[116:117], v[120:121]
	v_fma_f64 v[120:121], -v[114:115], v[116:117], 1.0
	v_fmac_f64_e32 v[116:117], v[116:117], v[120:121]
	v_div_scale_f64 v[120:121], vcc, 1.0, v[112:113], 1.0
	v_mul_f64 v[122:123], v[120:121], v[116:117]
	v_fma_f64 v[114:115], -v[114:115], v[122:123], v[120:121]
	s_nop 1
	v_div_fmas_f64 v[114:115], v[114:115], v[116:117], v[122:123]
	v_div_fixup_f64 v[116:117], v[114:115], v[112:113], 1.0
	v_mul_f64 v[118:119], v[118:119], -v[116:117]
.LBB43_61:
	s_or_b64 exec, exec, s[2:3]
	ds_write2_b64 v223, v[116:117], v[118:119] offset1:1
.LBB43_62:
	s_or_b64 exec, exec, s[4:5]
	s_waitcnt lgkmcnt(0)
	s_barrier
	ds_read2_b64 v[112:115], v223 offset1:1
	v_cmp_lt_u32_e32 vcc, 6, v222
	s_and_saveexec_b64 s[2:3], vcc
	s_cbranch_execz .LBB43_64
; %bb.63:
	ds_read2_b64 v[118:121], v224 offset0:14 offset1:15
	ds_read2_b64 v[122:125], v224 offset0:16 offset1:17
	s_waitcnt vmcnt(15) lgkmcnt(2)
	v_mul_f64 v[116:117], v[112:113], v[66:67]
	v_fmac_f64_e32 v[116:117], v[114:115], v[64:65]
	v_mul_f64 v[66:67], v[114:115], v[66:67]
	v_fma_f64 v[64:65], v[112:113], v[64:65], -v[66:67]
	s_waitcnt lgkmcnt(1)
	v_mul_f64 v[66:67], v[120:121], v[116:117]
	v_fma_f64 v[66:67], v[118:119], v[64:65], -v[66:67]
	v_mul_f64 v[118:119], v[118:119], v[116:117]
	v_fmac_f64_e32 v[118:119], v[120:121], v[64:65]
	s_waitcnt vmcnt(14)
	v_add_f64 v[62:63], v[62:63], -v[118:119]
	ds_read2_b64 v[118:121], v224 offset0:18 offset1:19
	v_add_f64 v[60:61], v[60:61], -v[66:67]
	s_waitcnt lgkmcnt(1)
	v_mul_f64 v[66:67], v[124:125], v[116:117]
	v_fma_f64 v[66:67], v[122:123], v[64:65], -v[66:67]
	v_mul_f64 v[122:123], v[122:123], v[116:117]
	v_fmac_f64_e32 v[122:123], v[124:125], v[64:65]
	s_waitcnt vmcnt(13)
	v_add_f64 v[56:57], v[56:57], -v[66:67]
	v_add_f64 v[58:59], v[58:59], -v[122:123]
	ds_read2_b64 v[122:125], v224 offset0:20 offset1:21
	s_waitcnt lgkmcnt(1)
	v_mul_f64 v[66:67], v[120:121], v[116:117]
	v_fma_f64 v[66:67], v[118:119], v[64:65], -v[66:67]
	v_mul_f64 v[118:119], v[118:119], v[116:117]
	v_fmac_f64_e32 v[118:119], v[120:121], v[64:65]
	s_waitcnt vmcnt(12)
	v_add_f64 v[54:55], v[54:55], -v[118:119]
	ds_read2_b64 v[118:121], v224 offset0:22 offset1:23
	v_add_f64 v[52:53], v[52:53], -v[66:67]
	s_waitcnt lgkmcnt(1)
	v_mul_f64 v[66:67], v[124:125], v[116:117]
	v_fma_f64 v[66:67], v[122:123], v[64:65], -v[66:67]
	v_mul_f64 v[122:123], v[122:123], v[116:117]
	v_fmac_f64_e32 v[122:123], v[124:125], v[64:65]
	s_waitcnt vmcnt(11)
	v_add_f64 v[48:49], v[48:49], -v[66:67]
	v_add_f64 v[50:51], v[50:51], -v[122:123]
	ds_read2_b64 v[122:125], v224 offset0:24 offset1:25
	;; [unrolled: 18-line block ×6, first 2 shown]
	s_waitcnt lgkmcnt(1)
	v_mul_f64 v[66:67], v[120:121], v[116:117]
	v_fma_f64 v[66:67], v[118:119], v[64:65], -v[66:67]
	v_mul_f64 v[118:119], v[118:119], v[116:117]
	v_fmac_f64_e32 v[118:119], v[120:121], v[64:65]
	s_waitcnt vmcnt(2)
	v_add_f64 v[14:15], v[14:15], -v[118:119]
	ds_read2_b64 v[118:121], v224 offset0:42 offset1:43
	v_add_f64 v[12:13], v[12:13], -v[66:67]
	s_waitcnt lgkmcnt(1)
	v_mul_f64 v[66:67], v[124:125], v[116:117]
	v_fma_f64 v[66:67], v[122:123], v[64:65], -v[66:67]
	s_waitcnt vmcnt(1)
	v_add_f64 v[8:9], v[8:9], -v[66:67]
	s_waitcnt lgkmcnt(0)
	v_mul_f64 v[66:67], v[120:121], v[116:117]
	v_mul_f64 v[122:123], v[122:123], v[116:117]
	v_fma_f64 v[66:67], v[118:119], v[64:65], -v[66:67]
	v_mul_f64 v[118:119], v[118:119], v[116:117]
	v_fmac_f64_e32 v[122:123], v[124:125], v[64:65]
	v_fmac_f64_e32 v[118:119], v[120:121], v[64:65]
	v_add_f64 v[10:11], v[10:11], -v[122:123]
	s_waitcnt vmcnt(0)
	v_add_f64 v[84:85], v[84:85], -v[66:67]
	v_add_f64 v[86:87], v[86:87], -v[118:119]
	v_mov_b64_e32 v[66:67], v[116:117]
.LBB43_64:
	s_or_b64 exec, exec, s[2:3]
	v_cmp_eq_u32_e32 vcc, 7, v222
	s_waitcnt lgkmcnt(0)
	s_barrier
	s_and_saveexec_b64 s[4:5], vcc
	s_cbranch_execz .LBB43_71
; %bb.65:
	s_waitcnt vmcnt(14)
	ds_write2_b64 v223, v[60:61], v[62:63] offset1:1
	s_waitcnt vmcnt(13)
	ds_write2_b64 v224, v[56:57], v[58:59] offset0:16 offset1:17
	s_waitcnt vmcnt(12)
	ds_write2_b64 v224, v[52:53], v[54:55] offset0:18 offset1:19
	;; [unrolled: 2-line block ×14, first 2 shown]
	ds_read2_b64 v[116:119], v223 offset1:1
	s_waitcnt lgkmcnt(0)
	v_cmp_neq_f64_e32 vcc, 0, v[116:117]
	v_cmp_neq_f64_e64 s[2:3], 0, v[118:119]
	s_or_b64 s[2:3], vcc, s[2:3]
	s_and_b64 exec, exec, s[2:3]
	s_cbranch_execz .LBB43_71
; %bb.66:
	v_cmp_ngt_f64_e64 s[2:3], |v[116:117]|, |v[118:119]|
                                        ; implicit-def: $vgpr120_vgpr121
	s_and_saveexec_b64 s[10:11], s[2:3]
	s_xor_b64 s[2:3], exec, s[10:11]
                                        ; implicit-def: $vgpr122_vgpr123
	s_cbranch_execz .LBB43_68
; %bb.67:
	v_div_scale_f64 v[120:121], s[10:11], v[118:119], v[118:119], v[116:117]
	v_rcp_f64_e32 v[122:123], v[120:121]
	v_div_scale_f64 v[124:125], vcc, v[116:117], v[118:119], v[116:117]
	v_fma_f64 v[126:127], -v[120:121], v[122:123], 1.0
	v_fmac_f64_e32 v[122:123], v[122:123], v[126:127]
	v_fma_f64 v[126:127], -v[120:121], v[122:123], 1.0
	v_fmac_f64_e32 v[122:123], v[122:123], v[126:127]
	v_mul_f64 v[126:127], v[124:125], v[122:123]
	v_fma_f64 v[120:121], -v[120:121], v[126:127], v[124:125]
	v_div_fmas_f64 v[120:121], v[120:121], v[122:123], v[126:127]
	v_div_fixup_f64 v[120:121], v[120:121], v[118:119], v[116:117]
	v_fmac_f64_e32 v[118:119], v[116:117], v[120:121]
	v_div_scale_f64 v[116:117], s[10:11], v[118:119], v[118:119], 1.0
	v_rcp_f64_e32 v[122:123], v[116:117]
	s_nop 0
	v_fma_f64 v[124:125], -v[116:117], v[122:123], 1.0
	v_fmac_f64_e32 v[122:123], v[122:123], v[124:125]
	v_fma_f64 v[124:125], -v[116:117], v[122:123], 1.0
	v_fmac_f64_e32 v[122:123], v[122:123], v[124:125]
	v_div_scale_f64 v[124:125], vcc, 1.0, v[118:119], 1.0
	v_mul_f64 v[126:127], v[124:125], v[122:123]
	v_fma_f64 v[116:117], -v[116:117], v[126:127], v[124:125]
	s_nop 1
	v_div_fmas_f64 v[116:117], v[116:117], v[122:123], v[126:127]
	v_div_fixup_f64 v[122:123], v[116:117], v[118:119], 1.0
	v_mul_f64 v[120:121], v[120:121], v[122:123]
	v_xor_b32_e32 v123, 0x80000000, v123
                                        ; implicit-def: $vgpr116_vgpr117
.LBB43_68:
	s_andn2_saveexec_b64 s[2:3], s[2:3]
	s_cbranch_execz .LBB43_70
; %bb.69:
	v_div_scale_f64 v[120:121], s[10:11], v[116:117], v[116:117], v[118:119]
	v_rcp_f64_e32 v[122:123], v[120:121]
	v_div_scale_f64 v[124:125], vcc, v[118:119], v[116:117], v[118:119]
	v_fma_f64 v[126:127], -v[120:121], v[122:123], 1.0
	v_fmac_f64_e32 v[122:123], v[122:123], v[126:127]
	v_fma_f64 v[126:127], -v[120:121], v[122:123], 1.0
	v_fmac_f64_e32 v[122:123], v[122:123], v[126:127]
	v_mul_f64 v[126:127], v[124:125], v[122:123]
	v_fma_f64 v[120:121], -v[120:121], v[126:127], v[124:125]
	v_div_fmas_f64 v[120:121], v[120:121], v[122:123], v[126:127]
	v_div_fixup_f64 v[122:123], v[120:121], v[116:117], v[118:119]
	v_fmac_f64_e32 v[116:117], v[118:119], v[122:123]
	v_div_scale_f64 v[118:119], s[10:11], v[116:117], v[116:117], 1.0
	v_rcp_f64_e32 v[120:121], v[118:119]
	s_nop 0
	v_fma_f64 v[124:125], -v[118:119], v[120:121], 1.0
	v_fmac_f64_e32 v[120:121], v[120:121], v[124:125]
	v_fma_f64 v[124:125], -v[118:119], v[120:121], 1.0
	v_fmac_f64_e32 v[120:121], v[120:121], v[124:125]
	v_div_scale_f64 v[124:125], vcc, 1.0, v[116:117], 1.0
	v_mul_f64 v[126:127], v[124:125], v[120:121]
	v_fma_f64 v[118:119], -v[118:119], v[126:127], v[124:125]
	s_nop 1
	v_div_fmas_f64 v[118:119], v[118:119], v[120:121], v[126:127]
	v_div_fixup_f64 v[120:121], v[118:119], v[116:117], 1.0
	v_mul_f64 v[122:123], v[122:123], -v[120:121]
.LBB43_70:
	s_or_b64 exec, exec, s[2:3]
	ds_write2_b64 v223, v[120:121], v[122:123] offset1:1
.LBB43_71:
	s_or_b64 exec, exec, s[4:5]
	s_waitcnt lgkmcnt(0)
	s_barrier
	ds_read2_b64 v[116:119], v223 offset1:1
	v_cmp_lt_u32_e32 vcc, 7, v222
	s_and_saveexec_b64 s[2:3], vcc
	s_cbranch_execz .LBB43_73
; %bb.72:
	ds_read2_b64 v[122:125], v224 offset0:16 offset1:17
	ds_read2_b64 v[126:129], v224 offset0:18 offset1:19
	s_waitcnt vmcnt(14) lgkmcnt(2)
	v_mul_f64 v[120:121], v[116:117], v[62:63]
	v_fmac_f64_e32 v[120:121], v[118:119], v[60:61]
	v_mul_f64 v[62:63], v[118:119], v[62:63]
	v_fma_f64 v[60:61], v[116:117], v[60:61], -v[62:63]
	s_waitcnt lgkmcnt(1)
	v_mul_f64 v[62:63], v[124:125], v[120:121]
	v_fma_f64 v[62:63], v[122:123], v[60:61], -v[62:63]
	v_mul_f64 v[122:123], v[122:123], v[120:121]
	v_fmac_f64_e32 v[122:123], v[124:125], v[60:61]
	s_waitcnt vmcnt(13)
	v_add_f64 v[56:57], v[56:57], -v[62:63]
	v_add_f64 v[58:59], v[58:59], -v[122:123]
	s_waitcnt lgkmcnt(0)
	v_mul_f64 v[62:63], v[128:129], v[120:121]
	ds_read2_b64 v[122:125], v224 offset0:20 offset1:21
	v_fma_f64 v[62:63], v[126:127], v[60:61], -v[62:63]
	v_mul_f64 v[126:127], v[126:127], v[120:121]
	v_fmac_f64_e32 v[126:127], v[128:129], v[60:61]
	s_waitcnt vmcnt(12)
	v_add_f64 v[54:55], v[54:55], -v[126:127]
	ds_read2_b64 v[126:129], v224 offset0:22 offset1:23
	v_add_f64 v[52:53], v[52:53], -v[62:63]
	s_waitcnt lgkmcnt(1)
	v_mul_f64 v[62:63], v[124:125], v[120:121]
	v_fma_f64 v[62:63], v[122:123], v[60:61], -v[62:63]
	v_mul_f64 v[122:123], v[122:123], v[120:121]
	v_fmac_f64_e32 v[122:123], v[124:125], v[60:61]
	s_waitcnt vmcnt(11)
	v_add_f64 v[48:49], v[48:49], -v[62:63]
	v_add_f64 v[50:51], v[50:51], -v[122:123]
	s_waitcnt lgkmcnt(0)
	v_mul_f64 v[62:63], v[128:129], v[120:121]
	ds_read2_b64 v[122:125], v224 offset0:24 offset1:25
	v_fma_f64 v[62:63], v[126:127], v[60:61], -v[62:63]
	v_mul_f64 v[126:127], v[126:127], v[120:121]
	v_fmac_f64_e32 v[126:127], v[128:129], v[60:61]
	s_waitcnt vmcnt(10)
	v_add_f64 v[46:47], v[46:47], -v[126:127]
	ds_read2_b64 v[126:129], v224 offset0:26 offset1:27
	v_add_f64 v[44:45], v[44:45], -v[62:63]
	;; [unrolled: 18-line block ×6, first 2 shown]
	s_waitcnt lgkmcnt(1)
	v_mul_f64 v[62:63], v[124:125], v[120:121]
	v_fma_f64 v[62:63], v[122:123], v[60:61], -v[62:63]
	v_mul_f64 v[122:123], v[122:123], v[120:121]
	v_fmac_f64_e32 v[122:123], v[124:125], v[60:61]
	s_waitcnt vmcnt(1)
	v_add_f64 v[8:9], v[8:9], -v[62:63]
	v_add_f64 v[10:11], v[10:11], -v[122:123]
	s_waitcnt lgkmcnt(0)
	v_mul_f64 v[62:63], v[128:129], v[120:121]
	v_mul_f64 v[122:123], v[126:127], v[120:121]
	v_fma_f64 v[62:63], v[126:127], v[60:61], -v[62:63]
	v_fmac_f64_e32 v[122:123], v[128:129], v[60:61]
	s_waitcnt vmcnt(0)
	v_add_f64 v[84:85], v[84:85], -v[62:63]
	v_add_f64 v[86:87], v[86:87], -v[122:123]
	v_mov_b64_e32 v[62:63], v[120:121]
.LBB43_73:
	s_or_b64 exec, exec, s[2:3]
	v_cmp_eq_u32_e32 vcc, 8, v222
	s_waitcnt lgkmcnt(0)
	s_barrier
	s_and_saveexec_b64 s[4:5], vcc
	s_cbranch_execz .LBB43_80
; %bb.74:
	s_waitcnt vmcnt(13)
	ds_write2_b64 v223, v[56:57], v[58:59] offset1:1
	s_waitcnt vmcnt(12)
	ds_write2_b64 v224, v[52:53], v[54:55] offset0:18 offset1:19
	s_waitcnt vmcnt(11)
	ds_write2_b64 v224, v[48:49], v[50:51] offset0:20 offset1:21
	;; [unrolled: 2-line block ×13, first 2 shown]
	ds_read2_b64 v[120:123], v223 offset1:1
	s_waitcnt lgkmcnt(0)
	v_cmp_neq_f64_e32 vcc, 0, v[120:121]
	v_cmp_neq_f64_e64 s[2:3], 0, v[122:123]
	s_or_b64 s[2:3], vcc, s[2:3]
	s_and_b64 exec, exec, s[2:3]
	s_cbranch_execz .LBB43_80
; %bb.75:
	v_cmp_ngt_f64_e64 s[2:3], |v[120:121]|, |v[122:123]|
                                        ; implicit-def: $vgpr124_vgpr125
	s_and_saveexec_b64 s[10:11], s[2:3]
	s_xor_b64 s[2:3], exec, s[10:11]
                                        ; implicit-def: $vgpr126_vgpr127
	s_cbranch_execz .LBB43_77
; %bb.76:
	v_div_scale_f64 v[124:125], s[10:11], v[122:123], v[122:123], v[120:121]
	v_rcp_f64_e32 v[126:127], v[124:125]
	v_div_scale_f64 v[128:129], vcc, v[120:121], v[122:123], v[120:121]
	v_fma_f64 v[130:131], -v[124:125], v[126:127], 1.0
	v_fmac_f64_e32 v[126:127], v[126:127], v[130:131]
	v_fma_f64 v[130:131], -v[124:125], v[126:127], 1.0
	v_fmac_f64_e32 v[126:127], v[126:127], v[130:131]
	v_mul_f64 v[130:131], v[128:129], v[126:127]
	v_fma_f64 v[124:125], -v[124:125], v[130:131], v[128:129]
	v_div_fmas_f64 v[124:125], v[124:125], v[126:127], v[130:131]
	v_div_fixup_f64 v[124:125], v[124:125], v[122:123], v[120:121]
	v_fmac_f64_e32 v[122:123], v[120:121], v[124:125]
	v_div_scale_f64 v[120:121], s[10:11], v[122:123], v[122:123], 1.0
	v_rcp_f64_e32 v[126:127], v[120:121]
	s_nop 0
	v_fma_f64 v[128:129], -v[120:121], v[126:127], 1.0
	v_fmac_f64_e32 v[126:127], v[126:127], v[128:129]
	v_fma_f64 v[128:129], -v[120:121], v[126:127], 1.0
	v_fmac_f64_e32 v[126:127], v[126:127], v[128:129]
	v_div_scale_f64 v[128:129], vcc, 1.0, v[122:123], 1.0
	v_mul_f64 v[130:131], v[128:129], v[126:127]
	v_fma_f64 v[120:121], -v[120:121], v[130:131], v[128:129]
	s_nop 1
	v_div_fmas_f64 v[120:121], v[120:121], v[126:127], v[130:131]
	v_div_fixup_f64 v[126:127], v[120:121], v[122:123], 1.0
	v_mul_f64 v[124:125], v[124:125], v[126:127]
	v_xor_b32_e32 v127, 0x80000000, v127
                                        ; implicit-def: $vgpr120_vgpr121
.LBB43_77:
	s_andn2_saveexec_b64 s[2:3], s[2:3]
	s_cbranch_execz .LBB43_79
; %bb.78:
	v_div_scale_f64 v[124:125], s[10:11], v[120:121], v[120:121], v[122:123]
	v_rcp_f64_e32 v[126:127], v[124:125]
	v_div_scale_f64 v[128:129], vcc, v[122:123], v[120:121], v[122:123]
	v_fma_f64 v[130:131], -v[124:125], v[126:127], 1.0
	v_fmac_f64_e32 v[126:127], v[126:127], v[130:131]
	v_fma_f64 v[130:131], -v[124:125], v[126:127], 1.0
	v_fmac_f64_e32 v[126:127], v[126:127], v[130:131]
	v_mul_f64 v[130:131], v[128:129], v[126:127]
	v_fma_f64 v[124:125], -v[124:125], v[130:131], v[128:129]
	v_div_fmas_f64 v[124:125], v[124:125], v[126:127], v[130:131]
	v_div_fixup_f64 v[126:127], v[124:125], v[120:121], v[122:123]
	v_fmac_f64_e32 v[120:121], v[122:123], v[126:127]
	v_div_scale_f64 v[122:123], s[10:11], v[120:121], v[120:121], 1.0
	v_rcp_f64_e32 v[124:125], v[122:123]
	s_nop 0
	v_fma_f64 v[128:129], -v[122:123], v[124:125], 1.0
	v_fmac_f64_e32 v[124:125], v[124:125], v[128:129]
	v_fma_f64 v[128:129], -v[122:123], v[124:125], 1.0
	v_fmac_f64_e32 v[124:125], v[124:125], v[128:129]
	v_div_scale_f64 v[128:129], vcc, 1.0, v[120:121], 1.0
	v_mul_f64 v[130:131], v[128:129], v[124:125]
	v_fma_f64 v[122:123], -v[122:123], v[130:131], v[128:129]
	s_nop 1
	v_div_fmas_f64 v[122:123], v[122:123], v[124:125], v[130:131]
	v_div_fixup_f64 v[124:125], v[122:123], v[120:121], 1.0
	v_mul_f64 v[126:127], v[126:127], -v[124:125]
.LBB43_79:
	s_or_b64 exec, exec, s[2:3]
	ds_write2_b64 v223, v[124:125], v[126:127] offset1:1
.LBB43_80:
	s_or_b64 exec, exec, s[4:5]
	s_waitcnt lgkmcnt(0)
	s_barrier
	ds_read2_b64 v[120:123], v223 offset1:1
	v_cmp_lt_u32_e32 vcc, 8, v222
	s_and_saveexec_b64 s[2:3], vcc
	s_cbranch_execz .LBB43_82
; %bb.81:
	ds_read2_b64 v[124:127], v224 offset0:18 offset1:19
	ds_read2_b64 v[128:131], v224 offset0:20 offset1:21
	s_waitcnt vmcnt(13) lgkmcnt(2)
	v_mul_f64 v[132:133], v[120:121], v[58:59]
	v_fmac_f64_e32 v[132:133], v[122:123], v[56:57]
	v_mul_f64 v[58:59], v[122:123], v[58:59]
	v_fma_f64 v[56:57], v[120:121], v[56:57], -v[58:59]
	s_waitcnt lgkmcnt(1)
	v_mul_f64 v[58:59], v[126:127], v[132:133]
	v_fma_f64 v[58:59], v[124:125], v[56:57], -v[58:59]
	v_mul_f64 v[124:125], v[124:125], v[132:133]
	v_fmac_f64_e32 v[124:125], v[126:127], v[56:57]
	s_waitcnt vmcnt(12)
	v_add_f64 v[54:55], v[54:55], -v[124:125]
	ds_read2_b64 v[124:127], v224 offset0:22 offset1:23
	v_add_f64 v[52:53], v[52:53], -v[58:59]
	s_waitcnt lgkmcnt(1)
	v_mul_f64 v[58:59], v[130:131], v[132:133]
	v_fma_f64 v[58:59], v[128:129], v[56:57], -v[58:59]
	v_mul_f64 v[128:129], v[128:129], v[132:133]
	v_fmac_f64_e32 v[128:129], v[130:131], v[56:57]
	s_waitcnt vmcnt(11)
	v_add_f64 v[48:49], v[48:49], -v[58:59]
	v_add_f64 v[50:51], v[50:51], -v[128:129]
	ds_read2_b64 v[128:131], v224 offset0:24 offset1:25
	s_waitcnt lgkmcnt(1)
	v_mul_f64 v[58:59], v[126:127], v[132:133]
	v_fma_f64 v[58:59], v[124:125], v[56:57], -v[58:59]
	v_mul_f64 v[124:125], v[124:125], v[132:133]
	v_fmac_f64_e32 v[124:125], v[126:127], v[56:57]
	s_waitcnt vmcnt(10)
	v_add_f64 v[46:47], v[46:47], -v[124:125]
	ds_read2_b64 v[124:127], v224 offset0:26 offset1:27
	v_add_f64 v[44:45], v[44:45], -v[58:59]
	s_waitcnt lgkmcnt(1)
	v_mul_f64 v[58:59], v[130:131], v[132:133]
	v_fma_f64 v[58:59], v[128:129], v[56:57], -v[58:59]
	v_mul_f64 v[128:129], v[128:129], v[132:133]
	v_fmac_f64_e32 v[128:129], v[130:131], v[56:57]
	s_waitcnt vmcnt(9)
	v_add_f64 v[40:41], v[40:41], -v[58:59]
	v_add_f64 v[42:43], v[42:43], -v[128:129]
	ds_read2_b64 v[128:131], v224 offset0:28 offset1:29
	;; [unrolled: 18-line block ×5, first 2 shown]
	s_waitcnt lgkmcnt(1)
	v_mul_f64 v[58:59], v[126:127], v[132:133]
	v_fma_f64 v[58:59], v[124:125], v[56:57], -v[58:59]
	v_mul_f64 v[124:125], v[124:125], v[132:133]
	v_fmac_f64_e32 v[124:125], v[126:127], v[56:57]
	s_waitcnt vmcnt(2)
	v_add_f64 v[14:15], v[14:15], -v[124:125]
	ds_read2_b64 v[124:127], v224 offset0:42 offset1:43
	v_add_f64 v[12:13], v[12:13], -v[58:59]
	s_waitcnt lgkmcnt(1)
	v_mul_f64 v[58:59], v[130:131], v[132:133]
	v_fma_f64 v[58:59], v[128:129], v[56:57], -v[58:59]
	s_waitcnt vmcnt(1)
	v_add_f64 v[8:9], v[8:9], -v[58:59]
	s_waitcnt lgkmcnt(0)
	v_mul_f64 v[58:59], v[126:127], v[132:133]
	v_mul_f64 v[128:129], v[128:129], v[132:133]
	v_fma_f64 v[58:59], v[124:125], v[56:57], -v[58:59]
	v_mul_f64 v[124:125], v[124:125], v[132:133]
	v_fmac_f64_e32 v[128:129], v[130:131], v[56:57]
	v_fmac_f64_e32 v[124:125], v[126:127], v[56:57]
	v_add_f64 v[10:11], v[10:11], -v[128:129]
	s_waitcnt vmcnt(0)
	v_add_f64 v[84:85], v[84:85], -v[58:59]
	v_add_f64 v[86:87], v[86:87], -v[124:125]
	v_mov_b64_e32 v[58:59], v[132:133]
.LBB43_82:
	s_or_b64 exec, exec, s[2:3]
	v_cmp_eq_u32_e32 vcc, 9, v222
	s_waitcnt lgkmcnt(0)
	s_barrier
	s_and_saveexec_b64 s[4:5], vcc
	s_cbranch_execz .LBB43_89
; %bb.83:
	s_waitcnt vmcnt(12)
	ds_write2_b64 v223, v[52:53], v[54:55] offset1:1
	s_waitcnt vmcnt(11)
	ds_write2_b64 v224, v[48:49], v[50:51] offset0:20 offset1:21
	s_waitcnt vmcnt(10)
	ds_write2_b64 v224, v[44:45], v[46:47] offset0:22 offset1:23
	;; [unrolled: 2-line block ×12, first 2 shown]
	ds_read2_b64 v[124:127], v223 offset1:1
	s_waitcnt lgkmcnt(0)
	v_cmp_neq_f64_e32 vcc, 0, v[124:125]
	v_cmp_neq_f64_e64 s[2:3], 0, v[126:127]
	s_or_b64 s[2:3], vcc, s[2:3]
	s_and_b64 exec, exec, s[2:3]
	s_cbranch_execz .LBB43_89
; %bb.84:
	v_cmp_ngt_f64_e64 s[2:3], |v[124:125]|, |v[126:127]|
                                        ; implicit-def: $vgpr128_vgpr129
	s_and_saveexec_b64 s[10:11], s[2:3]
	s_xor_b64 s[2:3], exec, s[10:11]
                                        ; implicit-def: $vgpr130_vgpr131
	s_cbranch_execz .LBB43_86
; %bb.85:
	v_div_scale_f64 v[128:129], s[10:11], v[126:127], v[126:127], v[124:125]
	v_rcp_f64_e32 v[130:131], v[128:129]
	v_div_scale_f64 v[132:133], vcc, v[124:125], v[126:127], v[124:125]
	v_fma_f64 v[134:135], -v[128:129], v[130:131], 1.0
	v_fmac_f64_e32 v[130:131], v[130:131], v[134:135]
	v_fma_f64 v[134:135], -v[128:129], v[130:131], 1.0
	v_fmac_f64_e32 v[130:131], v[130:131], v[134:135]
	v_mul_f64 v[134:135], v[132:133], v[130:131]
	v_fma_f64 v[128:129], -v[128:129], v[134:135], v[132:133]
	v_div_fmas_f64 v[128:129], v[128:129], v[130:131], v[134:135]
	v_div_fixup_f64 v[128:129], v[128:129], v[126:127], v[124:125]
	v_fmac_f64_e32 v[126:127], v[124:125], v[128:129]
	v_div_scale_f64 v[124:125], s[10:11], v[126:127], v[126:127], 1.0
	v_rcp_f64_e32 v[130:131], v[124:125]
	s_nop 0
	v_fma_f64 v[132:133], -v[124:125], v[130:131], 1.0
	v_fmac_f64_e32 v[130:131], v[130:131], v[132:133]
	v_fma_f64 v[132:133], -v[124:125], v[130:131], 1.0
	v_fmac_f64_e32 v[130:131], v[130:131], v[132:133]
	v_div_scale_f64 v[132:133], vcc, 1.0, v[126:127], 1.0
	v_mul_f64 v[134:135], v[132:133], v[130:131]
	v_fma_f64 v[124:125], -v[124:125], v[134:135], v[132:133]
	s_nop 1
	v_div_fmas_f64 v[124:125], v[124:125], v[130:131], v[134:135]
	v_div_fixup_f64 v[130:131], v[124:125], v[126:127], 1.0
	v_mul_f64 v[128:129], v[128:129], v[130:131]
	v_xor_b32_e32 v131, 0x80000000, v131
                                        ; implicit-def: $vgpr124_vgpr125
.LBB43_86:
	s_andn2_saveexec_b64 s[2:3], s[2:3]
	s_cbranch_execz .LBB43_88
; %bb.87:
	v_div_scale_f64 v[128:129], s[10:11], v[124:125], v[124:125], v[126:127]
	v_rcp_f64_e32 v[130:131], v[128:129]
	v_div_scale_f64 v[132:133], vcc, v[126:127], v[124:125], v[126:127]
	v_fma_f64 v[134:135], -v[128:129], v[130:131], 1.0
	v_fmac_f64_e32 v[130:131], v[130:131], v[134:135]
	v_fma_f64 v[134:135], -v[128:129], v[130:131], 1.0
	v_fmac_f64_e32 v[130:131], v[130:131], v[134:135]
	v_mul_f64 v[134:135], v[132:133], v[130:131]
	v_fma_f64 v[128:129], -v[128:129], v[134:135], v[132:133]
	v_div_fmas_f64 v[128:129], v[128:129], v[130:131], v[134:135]
	v_div_fixup_f64 v[130:131], v[128:129], v[124:125], v[126:127]
	v_fmac_f64_e32 v[124:125], v[126:127], v[130:131]
	v_div_scale_f64 v[126:127], s[10:11], v[124:125], v[124:125], 1.0
	v_rcp_f64_e32 v[128:129], v[126:127]
	s_nop 0
	v_fma_f64 v[132:133], -v[126:127], v[128:129], 1.0
	v_fmac_f64_e32 v[128:129], v[128:129], v[132:133]
	v_fma_f64 v[132:133], -v[126:127], v[128:129], 1.0
	v_fmac_f64_e32 v[128:129], v[128:129], v[132:133]
	v_div_scale_f64 v[132:133], vcc, 1.0, v[124:125], 1.0
	v_mul_f64 v[134:135], v[132:133], v[128:129]
	v_fma_f64 v[126:127], -v[126:127], v[134:135], v[132:133]
	s_nop 1
	v_div_fmas_f64 v[126:127], v[126:127], v[128:129], v[134:135]
	v_div_fixup_f64 v[128:129], v[126:127], v[124:125], 1.0
	v_mul_f64 v[130:131], v[130:131], -v[128:129]
.LBB43_88:
	s_or_b64 exec, exec, s[2:3]
	ds_write2_b64 v223, v[128:129], v[130:131] offset1:1
.LBB43_89:
	s_or_b64 exec, exec, s[4:5]
	s_waitcnt lgkmcnt(0)
	s_barrier
	ds_read2_b64 v[124:127], v223 offset1:1
	v_cmp_lt_u32_e32 vcc, 9, v222
	s_and_saveexec_b64 s[2:3], vcc
	s_cbranch_execz .LBB43_91
; %bb.90:
	ds_read2_b64 v[128:131], v224 offset0:20 offset1:21
	ds_read2_b64 v[132:135], v224 offset0:22 offset1:23
	s_waitcnt vmcnt(12) lgkmcnt(2)
	v_mul_f64 v[136:137], v[124:125], v[54:55]
	v_fmac_f64_e32 v[136:137], v[126:127], v[52:53]
	v_mul_f64 v[54:55], v[126:127], v[54:55]
	v_fma_f64 v[52:53], v[124:125], v[52:53], -v[54:55]
	s_waitcnt lgkmcnt(1)
	v_mul_f64 v[54:55], v[130:131], v[136:137]
	v_fma_f64 v[54:55], v[128:129], v[52:53], -v[54:55]
	v_mul_f64 v[128:129], v[128:129], v[136:137]
	v_fmac_f64_e32 v[128:129], v[130:131], v[52:53]
	s_waitcnt vmcnt(11)
	v_add_f64 v[48:49], v[48:49], -v[54:55]
	v_add_f64 v[50:51], v[50:51], -v[128:129]
	s_waitcnt lgkmcnt(0)
	v_mul_f64 v[54:55], v[134:135], v[136:137]
	ds_read2_b64 v[128:131], v224 offset0:24 offset1:25
	v_fma_f64 v[54:55], v[132:133], v[52:53], -v[54:55]
	v_mul_f64 v[132:133], v[132:133], v[136:137]
	v_fmac_f64_e32 v[132:133], v[134:135], v[52:53]
	s_waitcnt vmcnt(10)
	v_add_f64 v[46:47], v[46:47], -v[132:133]
	ds_read2_b64 v[132:135], v224 offset0:26 offset1:27
	v_add_f64 v[44:45], v[44:45], -v[54:55]
	s_waitcnt lgkmcnt(1)
	v_mul_f64 v[54:55], v[130:131], v[136:137]
	v_fma_f64 v[54:55], v[128:129], v[52:53], -v[54:55]
	v_mul_f64 v[128:129], v[128:129], v[136:137]
	v_fmac_f64_e32 v[128:129], v[130:131], v[52:53]
	s_waitcnt vmcnt(9)
	v_add_f64 v[40:41], v[40:41], -v[54:55]
	v_add_f64 v[42:43], v[42:43], -v[128:129]
	s_waitcnt lgkmcnt(0)
	v_mul_f64 v[54:55], v[134:135], v[136:137]
	ds_read2_b64 v[128:131], v224 offset0:28 offset1:29
	v_fma_f64 v[54:55], v[132:133], v[52:53], -v[54:55]
	v_mul_f64 v[132:133], v[132:133], v[136:137]
	v_fmac_f64_e32 v[132:133], v[134:135], v[52:53]
	s_waitcnt vmcnt(8)
	v_add_f64 v[38:39], v[38:39], -v[132:133]
	ds_read2_b64 v[132:135], v224 offset0:30 offset1:31
	v_add_f64 v[36:37], v[36:37], -v[54:55]
	;; [unrolled: 18-line block ×5, first 2 shown]
	s_waitcnt lgkmcnt(1)
	v_mul_f64 v[54:55], v[130:131], v[136:137]
	v_fma_f64 v[54:55], v[128:129], v[52:53], -v[54:55]
	v_mul_f64 v[128:129], v[128:129], v[136:137]
	v_fmac_f64_e32 v[128:129], v[130:131], v[52:53]
	s_waitcnt vmcnt(1)
	v_add_f64 v[8:9], v[8:9], -v[54:55]
	v_add_f64 v[10:11], v[10:11], -v[128:129]
	s_waitcnt lgkmcnt(0)
	v_mul_f64 v[54:55], v[134:135], v[136:137]
	v_mul_f64 v[128:129], v[132:133], v[136:137]
	v_fma_f64 v[54:55], v[132:133], v[52:53], -v[54:55]
	v_fmac_f64_e32 v[128:129], v[134:135], v[52:53]
	s_waitcnt vmcnt(0)
	v_add_f64 v[84:85], v[84:85], -v[54:55]
	v_add_f64 v[86:87], v[86:87], -v[128:129]
	v_mov_b64_e32 v[54:55], v[136:137]
.LBB43_91:
	s_or_b64 exec, exec, s[2:3]
	v_cmp_eq_u32_e32 vcc, 10, v222
	s_waitcnt lgkmcnt(0)
	s_barrier
	s_and_saveexec_b64 s[4:5], vcc
	s_cbranch_execz .LBB43_98
; %bb.92:
	s_waitcnt vmcnt(11)
	ds_write2_b64 v223, v[48:49], v[50:51] offset1:1
	s_waitcnt vmcnt(10)
	ds_write2_b64 v224, v[44:45], v[46:47] offset0:22 offset1:23
	s_waitcnt vmcnt(9)
	ds_write2_b64 v224, v[40:41], v[42:43] offset0:24 offset1:25
	;; [unrolled: 2-line block ×11, first 2 shown]
	ds_read2_b64 v[128:131], v223 offset1:1
	s_waitcnt lgkmcnt(0)
	v_cmp_neq_f64_e32 vcc, 0, v[128:129]
	v_cmp_neq_f64_e64 s[2:3], 0, v[130:131]
	s_or_b64 s[2:3], vcc, s[2:3]
	s_and_b64 exec, exec, s[2:3]
	s_cbranch_execz .LBB43_98
; %bb.93:
	v_cmp_ngt_f64_e64 s[2:3], |v[128:129]|, |v[130:131]|
                                        ; implicit-def: $vgpr132_vgpr133
	s_and_saveexec_b64 s[10:11], s[2:3]
	s_xor_b64 s[2:3], exec, s[10:11]
                                        ; implicit-def: $vgpr134_vgpr135
	s_cbranch_execz .LBB43_95
; %bb.94:
	v_div_scale_f64 v[132:133], s[10:11], v[130:131], v[130:131], v[128:129]
	v_rcp_f64_e32 v[134:135], v[132:133]
	v_div_scale_f64 v[136:137], vcc, v[128:129], v[130:131], v[128:129]
	v_fma_f64 v[138:139], -v[132:133], v[134:135], 1.0
	v_fmac_f64_e32 v[134:135], v[134:135], v[138:139]
	v_fma_f64 v[138:139], -v[132:133], v[134:135], 1.0
	v_fmac_f64_e32 v[134:135], v[134:135], v[138:139]
	v_mul_f64 v[138:139], v[136:137], v[134:135]
	v_fma_f64 v[132:133], -v[132:133], v[138:139], v[136:137]
	v_div_fmas_f64 v[132:133], v[132:133], v[134:135], v[138:139]
	v_div_fixup_f64 v[132:133], v[132:133], v[130:131], v[128:129]
	v_fmac_f64_e32 v[130:131], v[128:129], v[132:133]
	v_div_scale_f64 v[128:129], s[10:11], v[130:131], v[130:131], 1.0
	v_rcp_f64_e32 v[134:135], v[128:129]
	s_nop 0
	v_fma_f64 v[136:137], -v[128:129], v[134:135], 1.0
	v_fmac_f64_e32 v[134:135], v[134:135], v[136:137]
	v_fma_f64 v[136:137], -v[128:129], v[134:135], 1.0
	v_fmac_f64_e32 v[134:135], v[134:135], v[136:137]
	v_div_scale_f64 v[136:137], vcc, 1.0, v[130:131], 1.0
	v_mul_f64 v[138:139], v[136:137], v[134:135]
	v_fma_f64 v[128:129], -v[128:129], v[138:139], v[136:137]
	s_nop 1
	v_div_fmas_f64 v[128:129], v[128:129], v[134:135], v[138:139]
	v_div_fixup_f64 v[134:135], v[128:129], v[130:131], 1.0
	v_mul_f64 v[132:133], v[132:133], v[134:135]
	v_xor_b32_e32 v135, 0x80000000, v135
                                        ; implicit-def: $vgpr128_vgpr129
.LBB43_95:
	s_andn2_saveexec_b64 s[2:3], s[2:3]
	s_cbranch_execz .LBB43_97
; %bb.96:
	v_div_scale_f64 v[132:133], s[10:11], v[128:129], v[128:129], v[130:131]
	v_rcp_f64_e32 v[134:135], v[132:133]
	v_div_scale_f64 v[136:137], vcc, v[130:131], v[128:129], v[130:131]
	v_fma_f64 v[138:139], -v[132:133], v[134:135], 1.0
	v_fmac_f64_e32 v[134:135], v[134:135], v[138:139]
	v_fma_f64 v[138:139], -v[132:133], v[134:135], 1.0
	v_fmac_f64_e32 v[134:135], v[134:135], v[138:139]
	v_mul_f64 v[138:139], v[136:137], v[134:135]
	v_fma_f64 v[132:133], -v[132:133], v[138:139], v[136:137]
	v_div_fmas_f64 v[132:133], v[132:133], v[134:135], v[138:139]
	v_div_fixup_f64 v[134:135], v[132:133], v[128:129], v[130:131]
	v_fmac_f64_e32 v[128:129], v[130:131], v[134:135]
	v_div_scale_f64 v[130:131], s[10:11], v[128:129], v[128:129], 1.0
	v_rcp_f64_e32 v[132:133], v[130:131]
	s_nop 0
	v_fma_f64 v[136:137], -v[130:131], v[132:133], 1.0
	v_fmac_f64_e32 v[132:133], v[132:133], v[136:137]
	v_fma_f64 v[136:137], -v[130:131], v[132:133], 1.0
	v_fmac_f64_e32 v[132:133], v[132:133], v[136:137]
	v_div_scale_f64 v[136:137], vcc, 1.0, v[128:129], 1.0
	v_mul_f64 v[138:139], v[136:137], v[132:133]
	v_fma_f64 v[130:131], -v[130:131], v[138:139], v[136:137]
	s_nop 1
	v_div_fmas_f64 v[130:131], v[130:131], v[132:133], v[138:139]
	v_div_fixup_f64 v[132:133], v[130:131], v[128:129], 1.0
	v_mul_f64 v[134:135], v[134:135], -v[132:133]
.LBB43_97:
	s_or_b64 exec, exec, s[2:3]
	ds_write2_b64 v223, v[132:133], v[134:135] offset1:1
.LBB43_98:
	s_or_b64 exec, exec, s[4:5]
	s_waitcnt lgkmcnt(0)
	s_barrier
	ds_read2_b64 v[128:131], v223 offset1:1
	v_cmp_lt_u32_e32 vcc, 10, v222
	s_and_saveexec_b64 s[2:3], vcc
	s_cbranch_execz .LBB43_100
; %bb.99:
	ds_read2_b64 v[132:135], v224 offset0:22 offset1:23
	ds_read2_b64 v[136:139], v224 offset0:24 offset1:25
	s_waitcnt vmcnt(11) lgkmcnt(2)
	v_mul_f64 v[140:141], v[128:129], v[50:51]
	v_fmac_f64_e32 v[140:141], v[130:131], v[48:49]
	v_mul_f64 v[50:51], v[130:131], v[50:51]
	v_fma_f64 v[48:49], v[128:129], v[48:49], -v[50:51]
	s_waitcnt lgkmcnt(1)
	v_mul_f64 v[50:51], v[134:135], v[140:141]
	v_fma_f64 v[50:51], v[132:133], v[48:49], -v[50:51]
	v_mul_f64 v[132:133], v[132:133], v[140:141]
	v_fmac_f64_e32 v[132:133], v[134:135], v[48:49]
	s_waitcnt vmcnt(10)
	v_add_f64 v[46:47], v[46:47], -v[132:133]
	ds_read2_b64 v[132:135], v224 offset0:26 offset1:27
	v_add_f64 v[44:45], v[44:45], -v[50:51]
	s_waitcnt lgkmcnt(1)
	v_mul_f64 v[50:51], v[138:139], v[140:141]
	v_fma_f64 v[50:51], v[136:137], v[48:49], -v[50:51]
	v_mul_f64 v[136:137], v[136:137], v[140:141]
	v_fmac_f64_e32 v[136:137], v[138:139], v[48:49]
	s_waitcnt vmcnt(9)
	v_add_f64 v[40:41], v[40:41], -v[50:51]
	v_add_f64 v[42:43], v[42:43], -v[136:137]
	ds_read2_b64 v[136:139], v224 offset0:28 offset1:29
	s_waitcnt lgkmcnt(1)
	v_mul_f64 v[50:51], v[134:135], v[140:141]
	v_fma_f64 v[50:51], v[132:133], v[48:49], -v[50:51]
	v_mul_f64 v[132:133], v[132:133], v[140:141]
	v_fmac_f64_e32 v[132:133], v[134:135], v[48:49]
	s_waitcnt vmcnt(8)
	v_add_f64 v[38:39], v[38:39], -v[132:133]
	ds_read2_b64 v[132:135], v224 offset0:30 offset1:31
	v_add_f64 v[36:37], v[36:37], -v[50:51]
	s_waitcnt lgkmcnt(1)
	v_mul_f64 v[50:51], v[138:139], v[140:141]
	v_fma_f64 v[50:51], v[136:137], v[48:49], -v[50:51]
	v_mul_f64 v[136:137], v[136:137], v[140:141]
	v_fmac_f64_e32 v[136:137], v[138:139], v[48:49]
	s_waitcnt vmcnt(7)
	v_add_f64 v[32:33], v[32:33], -v[50:51]
	v_add_f64 v[34:35], v[34:35], -v[136:137]
	ds_read2_b64 v[136:139], v224 offset0:32 offset1:33
	;; [unrolled: 18-line block ×4, first 2 shown]
	s_waitcnt lgkmcnt(1)
	v_mul_f64 v[50:51], v[134:135], v[140:141]
	v_fma_f64 v[50:51], v[132:133], v[48:49], -v[50:51]
	v_mul_f64 v[132:133], v[132:133], v[140:141]
	v_fmac_f64_e32 v[132:133], v[134:135], v[48:49]
	s_waitcnt vmcnt(2)
	v_add_f64 v[14:15], v[14:15], -v[132:133]
	ds_read2_b64 v[132:135], v224 offset0:42 offset1:43
	v_add_f64 v[12:13], v[12:13], -v[50:51]
	s_waitcnt lgkmcnt(1)
	v_mul_f64 v[50:51], v[138:139], v[140:141]
	v_fma_f64 v[50:51], v[136:137], v[48:49], -v[50:51]
	s_waitcnt vmcnt(1)
	v_add_f64 v[8:9], v[8:9], -v[50:51]
	s_waitcnt lgkmcnt(0)
	v_mul_f64 v[50:51], v[134:135], v[140:141]
	v_mul_f64 v[136:137], v[136:137], v[140:141]
	v_fma_f64 v[50:51], v[132:133], v[48:49], -v[50:51]
	v_mul_f64 v[132:133], v[132:133], v[140:141]
	v_fmac_f64_e32 v[136:137], v[138:139], v[48:49]
	v_fmac_f64_e32 v[132:133], v[134:135], v[48:49]
	v_add_f64 v[10:11], v[10:11], -v[136:137]
	s_waitcnt vmcnt(0)
	v_add_f64 v[84:85], v[84:85], -v[50:51]
	v_add_f64 v[86:87], v[86:87], -v[132:133]
	v_mov_b64_e32 v[50:51], v[140:141]
.LBB43_100:
	s_or_b64 exec, exec, s[2:3]
	v_cmp_eq_u32_e32 vcc, 11, v222
	s_waitcnt lgkmcnt(0)
	s_barrier
	s_and_saveexec_b64 s[4:5], vcc
	s_cbranch_execz .LBB43_107
; %bb.101:
	s_waitcnt vmcnt(10)
	ds_write2_b64 v223, v[44:45], v[46:47] offset1:1
	s_waitcnt vmcnt(9)
	ds_write2_b64 v224, v[40:41], v[42:43] offset0:24 offset1:25
	s_waitcnt vmcnt(8)
	ds_write2_b64 v224, v[36:37], v[38:39] offset0:26 offset1:27
	;; [unrolled: 2-line block ×10, first 2 shown]
	ds_read2_b64 v[132:135], v223 offset1:1
	s_waitcnt lgkmcnt(0)
	v_cmp_neq_f64_e32 vcc, 0, v[132:133]
	v_cmp_neq_f64_e64 s[2:3], 0, v[134:135]
	s_or_b64 s[2:3], vcc, s[2:3]
	s_and_b64 exec, exec, s[2:3]
	s_cbranch_execz .LBB43_107
; %bb.102:
	v_cmp_ngt_f64_e64 s[2:3], |v[132:133]|, |v[134:135]|
                                        ; implicit-def: $vgpr136_vgpr137
	s_and_saveexec_b64 s[10:11], s[2:3]
	s_xor_b64 s[2:3], exec, s[10:11]
                                        ; implicit-def: $vgpr138_vgpr139
	s_cbranch_execz .LBB43_104
; %bb.103:
	v_div_scale_f64 v[136:137], s[10:11], v[134:135], v[134:135], v[132:133]
	v_rcp_f64_e32 v[138:139], v[136:137]
	v_div_scale_f64 v[140:141], vcc, v[132:133], v[134:135], v[132:133]
	v_fma_f64 v[142:143], -v[136:137], v[138:139], 1.0
	v_fmac_f64_e32 v[138:139], v[138:139], v[142:143]
	v_fma_f64 v[142:143], -v[136:137], v[138:139], 1.0
	v_fmac_f64_e32 v[138:139], v[138:139], v[142:143]
	v_mul_f64 v[142:143], v[140:141], v[138:139]
	v_fma_f64 v[136:137], -v[136:137], v[142:143], v[140:141]
	v_div_fmas_f64 v[136:137], v[136:137], v[138:139], v[142:143]
	v_div_fixup_f64 v[136:137], v[136:137], v[134:135], v[132:133]
	v_fmac_f64_e32 v[134:135], v[132:133], v[136:137]
	v_div_scale_f64 v[132:133], s[10:11], v[134:135], v[134:135], 1.0
	v_rcp_f64_e32 v[138:139], v[132:133]
	s_nop 0
	v_fma_f64 v[140:141], -v[132:133], v[138:139], 1.0
	v_fmac_f64_e32 v[138:139], v[138:139], v[140:141]
	v_fma_f64 v[140:141], -v[132:133], v[138:139], 1.0
	v_fmac_f64_e32 v[138:139], v[138:139], v[140:141]
	v_div_scale_f64 v[140:141], vcc, 1.0, v[134:135], 1.0
	v_mul_f64 v[142:143], v[140:141], v[138:139]
	v_fma_f64 v[132:133], -v[132:133], v[142:143], v[140:141]
	s_nop 1
	v_div_fmas_f64 v[132:133], v[132:133], v[138:139], v[142:143]
	v_div_fixup_f64 v[138:139], v[132:133], v[134:135], 1.0
	v_mul_f64 v[136:137], v[136:137], v[138:139]
	v_xor_b32_e32 v139, 0x80000000, v139
                                        ; implicit-def: $vgpr132_vgpr133
.LBB43_104:
	s_andn2_saveexec_b64 s[2:3], s[2:3]
	s_cbranch_execz .LBB43_106
; %bb.105:
	v_div_scale_f64 v[136:137], s[10:11], v[132:133], v[132:133], v[134:135]
	v_rcp_f64_e32 v[138:139], v[136:137]
	v_div_scale_f64 v[140:141], vcc, v[134:135], v[132:133], v[134:135]
	v_fma_f64 v[142:143], -v[136:137], v[138:139], 1.0
	v_fmac_f64_e32 v[138:139], v[138:139], v[142:143]
	v_fma_f64 v[142:143], -v[136:137], v[138:139], 1.0
	v_fmac_f64_e32 v[138:139], v[138:139], v[142:143]
	v_mul_f64 v[142:143], v[140:141], v[138:139]
	v_fma_f64 v[136:137], -v[136:137], v[142:143], v[140:141]
	v_div_fmas_f64 v[136:137], v[136:137], v[138:139], v[142:143]
	v_div_fixup_f64 v[138:139], v[136:137], v[132:133], v[134:135]
	v_fmac_f64_e32 v[132:133], v[134:135], v[138:139]
	v_div_scale_f64 v[134:135], s[10:11], v[132:133], v[132:133], 1.0
	v_rcp_f64_e32 v[136:137], v[134:135]
	s_nop 0
	v_fma_f64 v[140:141], -v[134:135], v[136:137], 1.0
	v_fmac_f64_e32 v[136:137], v[136:137], v[140:141]
	v_fma_f64 v[140:141], -v[134:135], v[136:137], 1.0
	v_fmac_f64_e32 v[136:137], v[136:137], v[140:141]
	v_div_scale_f64 v[140:141], vcc, 1.0, v[132:133], 1.0
	v_mul_f64 v[142:143], v[140:141], v[136:137]
	v_fma_f64 v[134:135], -v[134:135], v[142:143], v[140:141]
	s_nop 1
	v_div_fmas_f64 v[134:135], v[134:135], v[136:137], v[142:143]
	v_div_fixup_f64 v[136:137], v[134:135], v[132:133], 1.0
	v_mul_f64 v[138:139], v[138:139], -v[136:137]
.LBB43_106:
	s_or_b64 exec, exec, s[2:3]
	ds_write2_b64 v223, v[136:137], v[138:139] offset1:1
.LBB43_107:
	s_or_b64 exec, exec, s[4:5]
	s_waitcnt lgkmcnt(0)
	s_barrier
	ds_read2_b64 v[132:135], v223 offset1:1
	v_cmp_lt_u32_e32 vcc, 11, v222
	s_and_saveexec_b64 s[2:3], vcc
	s_cbranch_execz .LBB43_109
; %bb.108:
	ds_read2_b64 v[136:139], v224 offset0:24 offset1:25
	ds_read2_b64 v[140:143], v224 offset0:26 offset1:27
	s_waitcnt vmcnt(10) lgkmcnt(2)
	v_mul_f64 v[144:145], v[132:133], v[46:47]
	v_fmac_f64_e32 v[144:145], v[134:135], v[44:45]
	v_mul_f64 v[46:47], v[134:135], v[46:47]
	v_fma_f64 v[44:45], v[132:133], v[44:45], -v[46:47]
	s_waitcnt lgkmcnt(1)
	v_mul_f64 v[46:47], v[138:139], v[144:145]
	v_fma_f64 v[46:47], v[136:137], v[44:45], -v[46:47]
	v_mul_f64 v[136:137], v[136:137], v[144:145]
	v_fmac_f64_e32 v[136:137], v[138:139], v[44:45]
	s_waitcnt vmcnt(9)
	v_add_f64 v[40:41], v[40:41], -v[46:47]
	v_add_f64 v[42:43], v[42:43], -v[136:137]
	s_waitcnt lgkmcnt(0)
	v_mul_f64 v[46:47], v[142:143], v[144:145]
	ds_read2_b64 v[136:139], v224 offset0:28 offset1:29
	v_fma_f64 v[46:47], v[140:141], v[44:45], -v[46:47]
	v_mul_f64 v[140:141], v[140:141], v[144:145]
	v_fmac_f64_e32 v[140:141], v[142:143], v[44:45]
	s_waitcnt vmcnt(8)
	v_add_f64 v[38:39], v[38:39], -v[140:141]
	ds_read2_b64 v[140:143], v224 offset0:30 offset1:31
	v_add_f64 v[36:37], v[36:37], -v[46:47]
	s_waitcnt lgkmcnt(1)
	v_mul_f64 v[46:47], v[138:139], v[144:145]
	v_fma_f64 v[46:47], v[136:137], v[44:45], -v[46:47]
	v_mul_f64 v[136:137], v[136:137], v[144:145]
	v_fmac_f64_e32 v[136:137], v[138:139], v[44:45]
	s_waitcnt vmcnt(7)
	v_add_f64 v[32:33], v[32:33], -v[46:47]
	v_add_f64 v[34:35], v[34:35], -v[136:137]
	s_waitcnt lgkmcnt(0)
	v_mul_f64 v[46:47], v[142:143], v[144:145]
	ds_read2_b64 v[136:139], v224 offset0:32 offset1:33
	v_fma_f64 v[46:47], v[140:141], v[44:45], -v[46:47]
	v_mul_f64 v[140:141], v[140:141], v[144:145]
	v_fmac_f64_e32 v[140:141], v[142:143], v[44:45]
	s_waitcnt vmcnt(6)
	v_add_f64 v[30:31], v[30:31], -v[140:141]
	ds_read2_b64 v[140:143], v224 offset0:34 offset1:35
	v_add_f64 v[28:29], v[28:29], -v[46:47]
	;; [unrolled: 18-line block ×4, first 2 shown]
	s_waitcnt lgkmcnt(1)
	v_mul_f64 v[46:47], v[138:139], v[144:145]
	v_fma_f64 v[46:47], v[136:137], v[44:45], -v[46:47]
	v_mul_f64 v[136:137], v[136:137], v[144:145]
	v_fmac_f64_e32 v[136:137], v[138:139], v[44:45]
	s_waitcnt vmcnt(1)
	v_add_f64 v[8:9], v[8:9], -v[46:47]
	v_add_f64 v[10:11], v[10:11], -v[136:137]
	s_waitcnt lgkmcnt(0)
	v_mul_f64 v[46:47], v[142:143], v[144:145]
	v_mul_f64 v[136:137], v[140:141], v[144:145]
	v_fma_f64 v[46:47], v[140:141], v[44:45], -v[46:47]
	v_fmac_f64_e32 v[136:137], v[142:143], v[44:45]
	s_waitcnt vmcnt(0)
	v_add_f64 v[84:85], v[84:85], -v[46:47]
	v_add_f64 v[86:87], v[86:87], -v[136:137]
	v_mov_b64_e32 v[46:47], v[144:145]
.LBB43_109:
	s_or_b64 exec, exec, s[2:3]
	v_cmp_eq_u32_e32 vcc, 12, v222
	s_waitcnt lgkmcnt(0)
	s_barrier
	s_and_saveexec_b64 s[4:5], vcc
	s_cbranch_execz .LBB43_116
; %bb.110:
	s_waitcnt vmcnt(9)
	ds_write2_b64 v223, v[40:41], v[42:43] offset1:1
	s_waitcnt vmcnt(8)
	ds_write2_b64 v224, v[36:37], v[38:39] offset0:26 offset1:27
	s_waitcnt vmcnt(7)
	ds_write2_b64 v224, v[32:33], v[34:35] offset0:28 offset1:29
	;; [unrolled: 2-line block ×9, first 2 shown]
	ds_read2_b64 v[136:139], v223 offset1:1
	s_waitcnt lgkmcnt(0)
	v_cmp_neq_f64_e32 vcc, 0, v[136:137]
	v_cmp_neq_f64_e64 s[2:3], 0, v[138:139]
	s_or_b64 s[2:3], vcc, s[2:3]
	s_and_b64 exec, exec, s[2:3]
	s_cbranch_execz .LBB43_116
; %bb.111:
	v_cmp_ngt_f64_e64 s[2:3], |v[136:137]|, |v[138:139]|
                                        ; implicit-def: $vgpr140_vgpr141
	s_and_saveexec_b64 s[10:11], s[2:3]
	s_xor_b64 s[2:3], exec, s[10:11]
                                        ; implicit-def: $vgpr142_vgpr143
	s_cbranch_execz .LBB43_113
; %bb.112:
	v_div_scale_f64 v[140:141], s[10:11], v[138:139], v[138:139], v[136:137]
	v_rcp_f64_e32 v[142:143], v[140:141]
	v_div_scale_f64 v[144:145], vcc, v[136:137], v[138:139], v[136:137]
	v_fma_f64 v[146:147], -v[140:141], v[142:143], 1.0
	v_fmac_f64_e32 v[142:143], v[142:143], v[146:147]
	v_fma_f64 v[146:147], -v[140:141], v[142:143], 1.0
	v_fmac_f64_e32 v[142:143], v[142:143], v[146:147]
	v_mul_f64 v[146:147], v[144:145], v[142:143]
	v_fma_f64 v[140:141], -v[140:141], v[146:147], v[144:145]
	v_div_fmas_f64 v[140:141], v[140:141], v[142:143], v[146:147]
	v_div_fixup_f64 v[140:141], v[140:141], v[138:139], v[136:137]
	v_fmac_f64_e32 v[138:139], v[136:137], v[140:141]
	v_div_scale_f64 v[136:137], s[10:11], v[138:139], v[138:139], 1.0
	v_rcp_f64_e32 v[142:143], v[136:137]
	s_nop 0
	v_fma_f64 v[144:145], -v[136:137], v[142:143], 1.0
	v_fmac_f64_e32 v[142:143], v[142:143], v[144:145]
	v_fma_f64 v[144:145], -v[136:137], v[142:143], 1.0
	v_fmac_f64_e32 v[142:143], v[142:143], v[144:145]
	v_div_scale_f64 v[144:145], vcc, 1.0, v[138:139], 1.0
	v_mul_f64 v[146:147], v[144:145], v[142:143]
	v_fma_f64 v[136:137], -v[136:137], v[146:147], v[144:145]
	s_nop 1
	v_div_fmas_f64 v[136:137], v[136:137], v[142:143], v[146:147]
	v_div_fixup_f64 v[142:143], v[136:137], v[138:139], 1.0
	v_mul_f64 v[140:141], v[140:141], v[142:143]
	v_xor_b32_e32 v143, 0x80000000, v143
                                        ; implicit-def: $vgpr136_vgpr137
.LBB43_113:
	s_andn2_saveexec_b64 s[2:3], s[2:3]
	s_cbranch_execz .LBB43_115
; %bb.114:
	v_div_scale_f64 v[140:141], s[10:11], v[136:137], v[136:137], v[138:139]
	v_rcp_f64_e32 v[142:143], v[140:141]
	v_div_scale_f64 v[144:145], vcc, v[138:139], v[136:137], v[138:139]
	v_fma_f64 v[146:147], -v[140:141], v[142:143], 1.0
	v_fmac_f64_e32 v[142:143], v[142:143], v[146:147]
	v_fma_f64 v[146:147], -v[140:141], v[142:143], 1.0
	v_fmac_f64_e32 v[142:143], v[142:143], v[146:147]
	v_mul_f64 v[146:147], v[144:145], v[142:143]
	v_fma_f64 v[140:141], -v[140:141], v[146:147], v[144:145]
	v_div_fmas_f64 v[140:141], v[140:141], v[142:143], v[146:147]
	v_div_fixup_f64 v[142:143], v[140:141], v[136:137], v[138:139]
	v_fmac_f64_e32 v[136:137], v[138:139], v[142:143]
	v_div_scale_f64 v[138:139], s[10:11], v[136:137], v[136:137], 1.0
	v_rcp_f64_e32 v[140:141], v[138:139]
	s_nop 0
	v_fma_f64 v[144:145], -v[138:139], v[140:141], 1.0
	v_fmac_f64_e32 v[140:141], v[140:141], v[144:145]
	v_fma_f64 v[144:145], -v[138:139], v[140:141], 1.0
	v_fmac_f64_e32 v[140:141], v[140:141], v[144:145]
	v_div_scale_f64 v[144:145], vcc, 1.0, v[136:137], 1.0
	v_mul_f64 v[146:147], v[144:145], v[140:141]
	v_fma_f64 v[138:139], -v[138:139], v[146:147], v[144:145]
	s_nop 1
	v_div_fmas_f64 v[138:139], v[138:139], v[140:141], v[146:147]
	v_div_fixup_f64 v[140:141], v[138:139], v[136:137], 1.0
	v_mul_f64 v[142:143], v[142:143], -v[140:141]
.LBB43_115:
	s_or_b64 exec, exec, s[2:3]
	ds_write2_b64 v223, v[140:141], v[142:143] offset1:1
.LBB43_116:
	s_or_b64 exec, exec, s[4:5]
	s_waitcnt lgkmcnt(0)
	s_barrier
	ds_read2_b64 v[136:139], v223 offset1:1
	v_cmp_lt_u32_e32 vcc, 12, v222
	s_and_saveexec_b64 s[2:3], vcc
	s_cbranch_execz .LBB43_118
; %bb.117:
	ds_read2_b64 v[140:143], v224 offset0:26 offset1:27
	ds_read2_b64 v[144:147], v224 offset0:28 offset1:29
	s_waitcnt vmcnt(9) lgkmcnt(2)
	v_mul_f64 v[148:149], v[136:137], v[42:43]
	v_fmac_f64_e32 v[148:149], v[138:139], v[40:41]
	v_mul_f64 v[42:43], v[138:139], v[42:43]
	v_fma_f64 v[40:41], v[136:137], v[40:41], -v[42:43]
	s_waitcnt lgkmcnt(1)
	v_mul_f64 v[42:43], v[142:143], v[148:149]
	v_fma_f64 v[42:43], v[140:141], v[40:41], -v[42:43]
	v_mul_f64 v[140:141], v[140:141], v[148:149]
	v_fmac_f64_e32 v[140:141], v[142:143], v[40:41]
	s_waitcnt vmcnt(8)
	v_add_f64 v[38:39], v[38:39], -v[140:141]
	ds_read2_b64 v[140:143], v224 offset0:30 offset1:31
	v_add_f64 v[36:37], v[36:37], -v[42:43]
	s_waitcnt lgkmcnt(1)
	v_mul_f64 v[42:43], v[146:147], v[148:149]
	v_fma_f64 v[42:43], v[144:145], v[40:41], -v[42:43]
	v_mul_f64 v[144:145], v[144:145], v[148:149]
	v_fmac_f64_e32 v[144:145], v[146:147], v[40:41]
	s_waitcnt vmcnt(7)
	v_add_f64 v[32:33], v[32:33], -v[42:43]
	v_add_f64 v[34:35], v[34:35], -v[144:145]
	ds_read2_b64 v[144:147], v224 offset0:32 offset1:33
	s_waitcnt lgkmcnt(1)
	v_mul_f64 v[42:43], v[142:143], v[148:149]
	v_fma_f64 v[42:43], v[140:141], v[40:41], -v[42:43]
	v_mul_f64 v[140:141], v[140:141], v[148:149]
	v_fmac_f64_e32 v[140:141], v[142:143], v[40:41]
	s_waitcnt vmcnt(6)
	v_add_f64 v[30:31], v[30:31], -v[140:141]
	ds_read2_b64 v[140:143], v224 offset0:34 offset1:35
	v_add_f64 v[28:29], v[28:29], -v[42:43]
	s_waitcnt lgkmcnt(1)
	v_mul_f64 v[42:43], v[146:147], v[148:149]
	v_fma_f64 v[42:43], v[144:145], v[40:41], -v[42:43]
	v_mul_f64 v[144:145], v[144:145], v[148:149]
	v_fmac_f64_e32 v[144:145], v[146:147], v[40:41]
	s_waitcnt vmcnt(5)
	v_add_f64 v[24:25], v[24:25], -v[42:43]
	v_add_f64 v[26:27], v[26:27], -v[144:145]
	ds_read2_b64 v[144:147], v224 offset0:36 offset1:37
	;; [unrolled: 18-line block ×3, first 2 shown]
	s_waitcnt lgkmcnt(1)
	v_mul_f64 v[42:43], v[142:143], v[148:149]
	v_fma_f64 v[42:43], v[140:141], v[40:41], -v[42:43]
	v_mul_f64 v[140:141], v[140:141], v[148:149]
	v_fmac_f64_e32 v[140:141], v[142:143], v[40:41]
	s_waitcnt vmcnt(2)
	v_add_f64 v[14:15], v[14:15], -v[140:141]
	ds_read2_b64 v[140:143], v224 offset0:42 offset1:43
	v_add_f64 v[12:13], v[12:13], -v[42:43]
	s_waitcnt lgkmcnt(1)
	v_mul_f64 v[42:43], v[146:147], v[148:149]
	v_fma_f64 v[42:43], v[144:145], v[40:41], -v[42:43]
	s_waitcnt vmcnt(1)
	v_add_f64 v[8:9], v[8:9], -v[42:43]
	s_waitcnt lgkmcnt(0)
	v_mul_f64 v[42:43], v[142:143], v[148:149]
	v_mul_f64 v[144:145], v[144:145], v[148:149]
	v_fma_f64 v[42:43], v[140:141], v[40:41], -v[42:43]
	v_mul_f64 v[140:141], v[140:141], v[148:149]
	v_fmac_f64_e32 v[144:145], v[146:147], v[40:41]
	v_fmac_f64_e32 v[140:141], v[142:143], v[40:41]
	v_add_f64 v[10:11], v[10:11], -v[144:145]
	s_waitcnt vmcnt(0)
	v_add_f64 v[84:85], v[84:85], -v[42:43]
	v_add_f64 v[86:87], v[86:87], -v[140:141]
	v_mov_b64_e32 v[42:43], v[148:149]
.LBB43_118:
	s_or_b64 exec, exec, s[2:3]
	v_cmp_eq_u32_e32 vcc, 13, v222
	s_waitcnt lgkmcnt(0)
	s_barrier
	s_and_saveexec_b64 s[4:5], vcc
	s_cbranch_execz .LBB43_125
; %bb.119:
	s_waitcnt vmcnt(8)
	ds_write2_b64 v223, v[36:37], v[38:39] offset1:1
	s_waitcnt vmcnt(7)
	ds_write2_b64 v224, v[32:33], v[34:35] offset0:28 offset1:29
	s_waitcnt vmcnt(6)
	ds_write2_b64 v224, v[28:29], v[30:31] offset0:30 offset1:31
	;; [unrolled: 2-line block ×8, first 2 shown]
	ds_read2_b64 v[140:143], v223 offset1:1
	s_waitcnt lgkmcnt(0)
	v_cmp_neq_f64_e32 vcc, 0, v[140:141]
	v_cmp_neq_f64_e64 s[2:3], 0, v[142:143]
	s_or_b64 s[2:3], vcc, s[2:3]
	s_and_b64 exec, exec, s[2:3]
	s_cbranch_execz .LBB43_125
; %bb.120:
	v_cmp_ngt_f64_e64 s[2:3], |v[140:141]|, |v[142:143]|
                                        ; implicit-def: $vgpr144_vgpr145
	s_and_saveexec_b64 s[10:11], s[2:3]
	s_xor_b64 s[2:3], exec, s[10:11]
                                        ; implicit-def: $vgpr146_vgpr147
	s_cbranch_execz .LBB43_122
; %bb.121:
	v_div_scale_f64 v[144:145], s[10:11], v[142:143], v[142:143], v[140:141]
	v_rcp_f64_e32 v[146:147], v[144:145]
	v_div_scale_f64 v[148:149], vcc, v[140:141], v[142:143], v[140:141]
	v_fma_f64 v[150:151], -v[144:145], v[146:147], 1.0
	v_fmac_f64_e32 v[146:147], v[146:147], v[150:151]
	v_fma_f64 v[150:151], -v[144:145], v[146:147], 1.0
	v_fmac_f64_e32 v[146:147], v[146:147], v[150:151]
	v_mul_f64 v[150:151], v[148:149], v[146:147]
	v_fma_f64 v[144:145], -v[144:145], v[150:151], v[148:149]
	v_div_fmas_f64 v[144:145], v[144:145], v[146:147], v[150:151]
	v_div_fixup_f64 v[144:145], v[144:145], v[142:143], v[140:141]
	v_fmac_f64_e32 v[142:143], v[140:141], v[144:145]
	v_div_scale_f64 v[140:141], s[10:11], v[142:143], v[142:143], 1.0
	v_rcp_f64_e32 v[146:147], v[140:141]
	s_nop 0
	v_fma_f64 v[148:149], -v[140:141], v[146:147], 1.0
	v_fmac_f64_e32 v[146:147], v[146:147], v[148:149]
	v_fma_f64 v[148:149], -v[140:141], v[146:147], 1.0
	v_fmac_f64_e32 v[146:147], v[146:147], v[148:149]
	v_div_scale_f64 v[148:149], vcc, 1.0, v[142:143], 1.0
	v_mul_f64 v[150:151], v[148:149], v[146:147]
	v_fma_f64 v[140:141], -v[140:141], v[150:151], v[148:149]
	s_nop 1
	v_div_fmas_f64 v[140:141], v[140:141], v[146:147], v[150:151]
	v_div_fixup_f64 v[146:147], v[140:141], v[142:143], 1.0
	v_mul_f64 v[144:145], v[144:145], v[146:147]
	v_xor_b32_e32 v147, 0x80000000, v147
                                        ; implicit-def: $vgpr140_vgpr141
.LBB43_122:
	s_andn2_saveexec_b64 s[2:3], s[2:3]
	s_cbranch_execz .LBB43_124
; %bb.123:
	v_div_scale_f64 v[144:145], s[10:11], v[140:141], v[140:141], v[142:143]
	v_rcp_f64_e32 v[146:147], v[144:145]
	v_div_scale_f64 v[148:149], vcc, v[142:143], v[140:141], v[142:143]
	v_fma_f64 v[150:151], -v[144:145], v[146:147], 1.0
	v_fmac_f64_e32 v[146:147], v[146:147], v[150:151]
	v_fma_f64 v[150:151], -v[144:145], v[146:147], 1.0
	v_fmac_f64_e32 v[146:147], v[146:147], v[150:151]
	v_mul_f64 v[150:151], v[148:149], v[146:147]
	v_fma_f64 v[144:145], -v[144:145], v[150:151], v[148:149]
	v_div_fmas_f64 v[144:145], v[144:145], v[146:147], v[150:151]
	v_div_fixup_f64 v[146:147], v[144:145], v[140:141], v[142:143]
	v_fmac_f64_e32 v[140:141], v[142:143], v[146:147]
	v_div_scale_f64 v[142:143], s[10:11], v[140:141], v[140:141], 1.0
	v_rcp_f64_e32 v[144:145], v[142:143]
	s_nop 0
	v_fma_f64 v[148:149], -v[142:143], v[144:145], 1.0
	v_fmac_f64_e32 v[144:145], v[144:145], v[148:149]
	v_fma_f64 v[148:149], -v[142:143], v[144:145], 1.0
	v_fmac_f64_e32 v[144:145], v[144:145], v[148:149]
	v_div_scale_f64 v[148:149], vcc, 1.0, v[140:141], 1.0
	v_mul_f64 v[150:151], v[148:149], v[144:145]
	v_fma_f64 v[142:143], -v[142:143], v[150:151], v[148:149]
	s_nop 1
	v_div_fmas_f64 v[142:143], v[142:143], v[144:145], v[150:151]
	v_div_fixup_f64 v[144:145], v[142:143], v[140:141], 1.0
	v_mul_f64 v[146:147], v[146:147], -v[144:145]
.LBB43_124:
	s_or_b64 exec, exec, s[2:3]
	ds_write2_b64 v223, v[144:145], v[146:147] offset1:1
.LBB43_125:
	s_or_b64 exec, exec, s[4:5]
	s_waitcnt lgkmcnt(0)
	s_barrier
	ds_read2_b64 v[140:143], v223 offset1:1
	v_cmp_lt_u32_e32 vcc, 13, v222
	s_and_saveexec_b64 s[2:3], vcc
	s_cbranch_execz .LBB43_127
; %bb.126:
	ds_read2_b64 v[144:147], v224 offset0:28 offset1:29
	ds_read2_b64 v[148:151], v224 offset0:30 offset1:31
	s_waitcnt vmcnt(8) lgkmcnt(2)
	v_mul_f64 v[152:153], v[140:141], v[38:39]
	v_fmac_f64_e32 v[152:153], v[142:143], v[36:37]
	v_mul_f64 v[38:39], v[142:143], v[38:39]
	v_fma_f64 v[36:37], v[140:141], v[36:37], -v[38:39]
	s_waitcnt lgkmcnt(1)
	v_mul_f64 v[38:39], v[146:147], v[152:153]
	v_fma_f64 v[38:39], v[144:145], v[36:37], -v[38:39]
	v_mul_f64 v[144:145], v[144:145], v[152:153]
	v_fmac_f64_e32 v[144:145], v[146:147], v[36:37]
	s_waitcnt vmcnt(7)
	v_add_f64 v[32:33], v[32:33], -v[38:39]
	v_add_f64 v[34:35], v[34:35], -v[144:145]
	s_waitcnt lgkmcnt(0)
	v_mul_f64 v[38:39], v[150:151], v[152:153]
	ds_read2_b64 v[144:147], v224 offset0:32 offset1:33
	v_fma_f64 v[38:39], v[148:149], v[36:37], -v[38:39]
	v_mul_f64 v[148:149], v[148:149], v[152:153]
	v_fmac_f64_e32 v[148:149], v[150:151], v[36:37]
	s_waitcnt vmcnt(6)
	v_add_f64 v[30:31], v[30:31], -v[148:149]
	ds_read2_b64 v[148:151], v224 offset0:34 offset1:35
	v_add_f64 v[28:29], v[28:29], -v[38:39]
	s_waitcnt lgkmcnt(1)
	v_mul_f64 v[38:39], v[146:147], v[152:153]
	v_fma_f64 v[38:39], v[144:145], v[36:37], -v[38:39]
	v_mul_f64 v[144:145], v[144:145], v[152:153]
	v_fmac_f64_e32 v[144:145], v[146:147], v[36:37]
	s_waitcnt vmcnt(5)
	v_add_f64 v[24:25], v[24:25], -v[38:39]
	v_add_f64 v[26:27], v[26:27], -v[144:145]
	s_waitcnt lgkmcnt(0)
	v_mul_f64 v[38:39], v[150:151], v[152:153]
	ds_read2_b64 v[144:147], v224 offset0:36 offset1:37
	v_fma_f64 v[38:39], v[148:149], v[36:37], -v[38:39]
	v_mul_f64 v[148:149], v[148:149], v[152:153]
	v_fmac_f64_e32 v[148:149], v[150:151], v[36:37]
	s_waitcnt vmcnt(4)
	v_add_f64 v[22:23], v[22:23], -v[148:149]
	ds_read2_b64 v[148:151], v224 offset0:38 offset1:39
	v_add_f64 v[20:21], v[20:21], -v[38:39]
	;; [unrolled: 18-line block ×3, first 2 shown]
	s_waitcnt lgkmcnt(1)
	v_mul_f64 v[38:39], v[146:147], v[152:153]
	v_fma_f64 v[38:39], v[144:145], v[36:37], -v[38:39]
	v_mul_f64 v[144:145], v[144:145], v[152:153]
	v_fmac_f64_e32 v[144:145], v[146:147], v[36:37]
	s_waitcnt vmcnt(1)
	v_add_f64 v[8:9], v[8:9], -v[38:39]
	v_add_f64 v[10:11], v[10:11], -v[144:145]
	s_waitcnt lgkmcnt(0)
	v_mul_f64 v[38:39], v[150:151], v[152:153]
	v_mul_f64 v[144:145], v[148:149], v[152:153]
	v_fma_f64 v[38:39], v[148:149], v[36:37], -v[38:39]
	v_fmac_f64_e32 v[144:145], v[150:151], v[36:37]
	s_waitcnt vmcnt(0)
	v_add_f64 v[84:85], v[84:85], -v[38:39]
	v_add_f64 v[86:87], v[86:87], -v[144:145]
	v_mov_b64_e32 v[38:39], v[152:153]
.LBB43_127:
	s_or_b64 exec, exec, s[2:3]
	v_cmp_eq_u32_e32 vcc, 14, v222
	s_waitcnt lgkmcnt(0)
	s_barrier
	s_and_saveexec_b64 s[4:5], vcc
	s_cbranch_execz .LBB43_134
; %bb.128:
	s_waitcnt vmcnt(7)
	ds_write2_b64 v223, v[32:33], v[34:35] offset1:1
	s_waitcnt vmcnt(6)
	ds_write2_b64 v224, v[28:29], v[30:31] offset0:30 offset1:31
	s_waitcnt vmcnt(5)
	ds_write2_b64 v224, v[24:25], v[26:27] offset0:32 offset1:33
	;; [unrolled: 2-line block ×7, first 2 shown]
	ds_read2_b64 v[144:147], v223 offset1:1
	s_waitcnt lgkmcnt(0)
	v_cmp_neq_f64_e32 vcc, 0, v[144:145]
	v_cmp_neq_f64_e64 s[2:3], 0, v[146:147]
	s_or_b64 s[2:3], vcc, s[2:3]
	s_and_b64 exec, exec, s[2:3]
	s_cbranch_execz .LBB43_134
; %bb.129:
	v_cmp_ngt_f64_e64 s[2:3], |v[144:145]|, |v[146:147]|
                                        ; implicit-def: $vgpr148_vgpr149
	s_and_saveexec_b64 s[10:11], s[2:3]
	s_xor_b64 s[2:3], exec, s[10:11]
                                        ; implicit-def: $vgpr150_vgpr151
	s_cbranch_execz .LBB43_131
; %bb.130:
	v_div_scale_f64 v[148:149], s[10:11], v[146:147], v[146:147], v[144:145]
	v_rcp_f64_e32 v[150:151], v[148:149]
	v_div_scale_f64 v[152:153], vcc, v[144:145], v[146:147], v[144:145]
	v_fma_f64 v[154:155], -v[148:149], v[150:151], 1.0
	v_fmac_f64_e32 v[150:151], v[150:151], v[154:155]
	v_fma_f64 v[154:155], -v[148:149], v[150:151], 1.0
	v_fmac_f64_e32 v[150:151], v[150:151], v[154:155]
	v_mul_f64 v[154:155], v[152:153], v[150:151]
	v_fma_f64 v[148:149], -v[148:149], v[154:155], v[152:153]
	v_div_fmas_f64 v[148:149], v[148:149], v[150:151], v[154:155]
	v_div_fixup_f64 v[148:149], v[148:149], v[146:147], v[144:145]
	v_fmac_f64_e32 v[146:147], v[144:145], v[148:149]
	v_div_scale_f64 v[144:145], s[10:11], v[146:147], v[146:147], 1.0
	v_rcp_f64_e32 v[150:151], v[144:145]
	s_nop 0
	v_fma_f64 v[152:153], -v[144:145], v[150:151], 1.0
	v_fmac_f64_e32 v[150:151], v[150:151], v[152:153]
	v_fma_f64 v[152:153], -v[144:145], v[150:151], 1.0
	v_fmac_f64_e32 v[150:151], v[150:151], v[152:153]
	v_div_scale_f64 v[152:153], vcc, 1.0, v[146:147], 1.0
	v_mul_f64 v[154:155], v[152:153], v[150:151]
	v_fma_f64 v[144:145], -v[144:145], v[154:155], v[152:153]
	s_nop 1
	v_div_fmas_f64 v[144:145], v[144:145], v[150:151], v[154:155]
	v_div_fixup_f64 v[150:151], v[144:145], v[146:147], 1.0
	v_mul_f64 v[148:149], v[148:149], v[150:151]
	v_xor_b32_e32 v151, 0x80000000, v151
                                        ; implicit-def: $vgpr144_vgpr145
.LBB43_131:
	s_andn2_saveexec_b64 s[2:3], s[2:3]
	s_cbranch_execz .LBB43_133
; %bb.132:
	v_div_scale_f64 v[148:149], s[10:11], v[144:145], v[144:145], v[146:147]
	v_rcp_f64_e32 v[150:151], v[148:149]
	v_div_scale_f64 v[152:153], vcc, v[146:147], v[144:145], v[146:147]
	v_fma_f64 v[154:155], -v[148:149], v[150:151], 1.0
	v_fmac_f64_e32 v[150:151], v[150:151], v[154:155]
	v_fma_f64 v[154:155], -v[148:149], v[150:151], 1.0
	v_fmac_f64_e32 v[150:151], v[150:151], v[154:155]
	v_mul_f64 v[154:155], v[152:153], v[150:151]
	v_fma_f64 v[148:149], -v[148:149], v[154:155], v[152:153]
	v_div_fmas_f64 v[148:149], v[148:149], v[150:151], v[154:155]
	v_div_fixup_f64 v[150:151], v[148:149], v[144:145], v[146:147]
	v_fmac_f64_e32 v[144:145], v[146:147], v[150:151]
	v_div_scale_f64 v[146:147], s[10:11], v[144:145], v[144:145], 1.0
	v_rcp_f64_e32 v[148:149], v[146:147]
	s_nop 0
	v_fma_f64 v[152:153], -v[146:147], v[148:149], 1.0
	v_fmac_f64_e32 v[148:149], v[148:149], v[152:153]
	v_fma_f64 v[152:153], -v[146:147], v[148:149], 1.0
	v_fmac_f64_e32 v[148:149], v[148:149], v[152:153]
	v_div_scale_f64 v[152:153], vcc, 1.0, v[144:145], 1.0
	v_mul_f64 v[154:155], v[152:153], v[148:149]
	v_fma_f64 v[146:147], -v[146:147], v[154:155], v[152:153]
	s_nop 1
	v_div_fmas_f64 v[146:147], v[146:147], v[148:149], v[154:155]
	v_div_fixup_f64 v[148:149], v[146:147], v[144:145], 1.0
	v_mul_f64 v[150:151], v[150:151], -v[148:149]
.LBB43_133:
	s_or_b64 exec, exec, s[2:3]
	ds_write2_b64 v223, v[148:149], v[150:151] offset1:1
.LBB43_134:
	s_or_b64 exec, exec, s[4:5]
	s_waitcnt lgkmcnt(0)
	s_barrier
	ds_read2_b64 v[144:147], v223 offset1:1
	v_cmp_lt_u32_e32 vcc, 14, v222
	s_and_saveexec_b64 s[2:3], vcc
	s_cbranch_execz .LBB43_136
; %bb.135:
	ds_read2_b64 v[148:151], v224 offset0:30 offset1:31
	ds_read2_b64 v[152:155], v224 offset0:32 offset1:33
	s_waitcnt vmcnt(7) lgkmcnt(2)
	v_mul_f64 v[156:157], v[144:145], v[34:35]
	v_fmac_f64_e32 v[156:157], v[146:147], v[32:33]
	v_mul_f64 v[34:35], v[146:147], v[34:35]
	v_fma_f64 v[32:33], v[144:145], v[32:33], -v[34:35]
	s_waitcnt lgkmcnt(1)
	v_mul_f64 v[34:35], v[150:151], v[156:157]
	v_fma_f64 v[34:35], v[148:149], v[32:33], -v[34:35]
	v_mul_f64 v[148:149], v[148:149], v[156:157]
	v_fmac_f64_e32 v[148:149], v[150:151], v[32:33]
	s_waitcnt vmcnt(6)
	v_add_f64 v[30:31], v[30:31], -v[148:149]
	ds_read2_b64 v[148:151], v224 offset0:34 offset1:35
	v_add_f64 v[28:29], v[28:29], -v[34:35]
	s_waitcnt lgkmcnt(1)
	v_mul_f64 v[34:35], v[154:155], v[156:157]
	v_fma_f64 v[34:35], v[152:153], v[32:33], -v[34:35]
	v_mul_f64 v[152:153], v[152:153], v[156:157]
	v_fmac_f64_e32 v[152:153], v[154:155], v[32:33]
	s_waitcnt vmcnt(5)
	v_add_f64 v[24:25], v[24:25], -v[34:35]
	v_add_f64 v[26:27], v[26:27], -v[152:153]
	ds_read2_b64 v[152:155], v224 offset0:36 offset1:37
	s_waitcnt lgkmcnt(1)
	v_mul_f64 v[34:35], v[150:151], v[156:157]
	v_fma_f64 v[34:35], v[148:149], v[32:33], -v[34:35]
	v_mul_f64 v[148:149], v[148:149], v[156:157]
	v_fmac_f64_e32 v[148:149], v[150:151], v[32:33]
	s_waitcnt vmcnt(4)
	v_add_f64 v[22:23], v[22:23], -v[148:149]
	ds_read2_b64 v[148:151], v224 offset0:38 offset1:39
	v_add_f64 v[20:21], v[20:21], -v[34:35]
	s_waitcnt lgkmcnt(1)
	v_mul_f64 v[34:35], v[154:155], v[156:157]
	v_fma_f64 v[34:35], v[152:153], v[32:33], -v[34:35]
	v_mul_f64 v[152:153], v[152:153], v[156:157]
	v_fmac_f64_e32 v[152:153], v[154:155], v[32:33]
	s_waitcnt vmcnt(3)
	v_add_f64 v[16:17], v[16:17], -v[34:35]
	v_add_f64 v[18:19], v[18:19], -v[152:153]
	ds_read2_b64 v[152:155], v224 offset0:40 offset1:41
	s_waitcnt lgkmcnt(1)
	v_mul_f64 v[34:35], v[150:151], v[156:157]
	v_fma_f64 v[34:35], v[148:149], v[32:33], -v[34:35]
	v_mul_f64 v[148:149], v[148:149], v[156:157]
	v_fmac_f64_e32 v[148:149], v[150:151], v[32:33]
	s_waitcnt vmcnt(2)
	v_add_f64 v[14:15], v[14:15], -v[148:149]
	ds_read2_b64 v[148:151], v224 offset0:42 offset1:43
	v_add_f64 v[12:13], v[12:13], -v[34:35]
	s_waitcnt lgkmcnt(1)
	v_mul_f64 v[34:35], v[154:155], v[156:157]
	v_fma_f64 v[34:35], v[152:153], v[32:33], -v[34:35]
	s_waitcnt vmcnt(1)
	v_add_f64 v[8:9], v[8:9], -v[34:35]
	s_waitcnt lgkmcnt(0)
	v_mul_f64 v[34:35], v[150:151], v[156:157]
	v_mul_f64 v[152:153], v[152:153], v[156:157]
	v_fma_f64 v[34:35], v[148:149], v[32:33], -v[34:35]
	v_mul_f64 v[148:149], v[148:149], v[156:157]
	v_fmac_f64_e32 v[152:153], v[154:155], v[32:33]
	v_fmac_f64_e32 v[148:149], v[150:151], v[32:33]
	v_add_f64 v[10:11], v[10:11], -v[152:153]
	s_waitcnt vmcnt(0)
	v_add_f64 v[84:85], v[84:85], -v[34:35]
	v_add_f64 v[86:87], v[86:87], -v[148:149]
	v_mov_b64_e32 v[34:35], v[156:157]
.LBB43_136:
	s_or_b64 exec, exec, s[2:3]
	v_cmp_eq_u32_e32 vcc, 15, v222
	s_waitcnt lgkmcnt(0)
	s_barrier
	s_and_saveexec_b64 s[4:5], vcc
	s_cbranch_execz .LBB43_143
; %bb.137:
	s_waitcnt vmcnt(6)
	ds_write2_b64 v223, v[28:29], v[30:31] offset1:1
	s_waitcnt vmcnt(5)
	ds_write2_b64 v224, v[24:25], v[26:27] offset0:32 offset1:33
	s_waitcnt vmcnt(4)
	ds_write2_b64 v224, v[20:21], v[22:23] offset0:34 offset1:35
	;; [unrolled: 2-line block ×6, first 2 shown]
	ds_read2_b64 v[148:151], v223 offset1:1
	s_waitcnt lgkmcnt(0)
	v_cmp_neq_f64_e32 vcc, 0, v[148:149]
	v_cmp_neq_f64_e64 s[2:3], 0, v[150:151]
	s_or_b64 s[2:3], vcc, s[2:3]
	s_and_b64 exec, exec, s[2:3]
	s_cbranch_execz .LBB43_143
; %bb.138:
	v_cmp_ngt_f64_e64 s[2:3], |v[148:149]|, |v[150:151]|
                                        ; implicit-def: $vgpr152_vgpr153
	s_and_saveexec_b64 s[10:11], s[2:3]
	s_xor_b64 s[2:3], exec, s[10:11]
                                        ; implicit-def: $vgpr154_vgpr155
	s_cbranch_execz .LBB43_140
; %bb.139:
	v_div_scale_f64 v[152:153], s[10:11], v[150:151], v[150:151], v[148:149]
	v_rcp_f64_e32 v[154:155], v[152:153]
	v_div_scale_f64 v[156:157], vcc, v[148:149], v[150:151], v[148:149]
	v_fma_f64 v[158:159], -v[152:153], v[154:155], 1.0
	v_fmac_f64_e32 v[154:155], v[154:155], v[158:159]
	v_fma_f64 v[158:159], -v[152:153], v[154:155], 1.0
	v_fmac_f64_e32 v[154:155], v[154:155], v[158:159]
	v_mul_f64 v[158:159], v[156:157], v[154:155]
	v_fma_f64 v[152:153], -v[152:153], v[158:159], v[156:157]
	v_div_fmas_f64 v[152:153], v[152:153], v[154:155], v[158:159]
	v_div_fixup_f64 v[152:153], v[152:153], v[150:151], v[148:149]
	v_fmac_f64_e32 v[150:151], v[148:149], v[152:153]
	v_div_scale_f64 v[148:149], s[10:11], v[150:151], v[150:151], 1.0
	v_rcp_f64_e32 v[154:155], v[148:149]
	s_nop 0
	v_fma_f64 v[156:157], -v[148:149], v[154:155], 1.0
	v_fmac_f64_e32 v[154:155], v[154:155], v[156:157]
	v_fma_f64 v[156:157], -v[148:149], v[154:155], 1.0
	v_fmac_f64_e32 v[154:155], v[154:155], v[156:157]
	v_div_scale_f64 v[156:157], vcc, 1.0, v[150:151], 1.0
	v_mul_f64 v[158:159], v[156:157], v[154:155]
	v_fma_f64 v[148:149], -v[148:149], v[158:159], v[156:157]
	s_nop 1
	v_div_fmas_f64 v[148:149], v[148:149], v[154:155], v[158:159]
	v_div_fixup_f64 v[154:155], v[148:149], v[150:151], 1.0
	v_mul_f64 v[152:153], v[152:153], v[154:155]
	v_xor_b32_e32 v155, 0x80000000, v155
                                        ; implicit-def: $vgpr148_vgpr149
.LBB43_140:
	s_andn2_saveexec_b64 s[2:3], s[2:3]
	s_cbranch_execz .LBB43_142
; %bb.141:
	v_div_scale_f64 v[152:153], s[10:11], v[148:149], v[148:149], v[150:151]
	v_rcp_f64_e32 v[154:155], v[152:153]
	v_div_scale_f64 v[156:157], vcc, v[150:151], v[148:149], v[150:151]
	v_fma_f64 v[158:159], -v[152:153], v[154:155], 1.0
	v_fmac_f64_e32 v[154:155], v[154:155], v[158:159]
	v_fma_f64 v[158:159], -v[152:153], v[154:155], 1.0
	v_fmac_f64_e32 v[154:155], v[154:155], v[158:159]
	v_mul_f64 v[158:159], v[156:157], v[154:155]
	v_fma_f64 v[152:153], -v[152:153], v[158:159], v[156:157]
	v_div_fmas_f64 v[152:153], v[152:153], v[154:155], v[158:159]
	v_div_fixup_f64 v[154:155], v[152:153], v[148:149], v[150:151]
	v_fmac_f64_e32 v[148:149], v[150:151], v[154:155]
	v_div_scale_f64 v[150:151], s[10:11], v[148:149], v[148:149], 1.0
	v_rcp_f64_e32 v[152:153], v[150:151]
	s_nop 0
	v_fma_f64 v[156:157], -v[150:151], v[152:153], 1.0
	v_fmac_f64_e32 v[152:153], v[152:153], v[156:157]
	v_fma_f64 v[156:157], -v[150:151], v[152:153], 1.0
	v_fmac_f64_e32 v[152:153], v[152:153], v[156:157]
	v_div_scale_f64 v[156:157], vcc, 1.0, v[148:149], 1.0
	v_mul_f64 v[158:159], v[156:157], v[152:153]
	v_fma_f64 v[150:151], -v[150:151], v[158:159], v[156:157]
	s_nop 1
	v_div_fmas_f64 v[150:151], v[150:151], v[152:153], v[158:159]
	v_div_fixup_f64 v[152:153], v[150:151], v[148:149], 1.0
	v_mul_f64 v[154:155], v[154:155], -v[152:153]
.LBB43_142:
	s_or_b64 exec, exec, s[2:3]
	ds_write2_b64 v223, v[152:153], v[154:155] offset1:1
.LBB43_143:
	s_or_b64 exec, exec, s[4:5]
	s_waitcnt lgkmcnt(0)
	s_barrier
	ds_read2_b64 v[148:151], v223 offset1:1
	v_cmp_lt_u32_e32 vcc, 15, v222
	s_and_saveexec_b64 s[2:3], vcc
	s_cbranch_execz .LBB43_145
; %bb.144:
	ds_read2_b64 v[152:155], v224 offset0:32 offset1:33
	ds_read2_b64 v[156:159], v224 offset0:34 offset1:35
	s_waitcnt vmcnt(6) lgkmcnt(2)
	v_mul_f64 v[160:161], v[148:149], v[30:31]
	v_fmac_f64_e32 v[160:161], v[150:151], v[28:29]
	v_mul_f64 v[30:31], v[150:151], v[30:31]
	v_fma_f64 v[28:29], v[148:149], v[28:29], -v[30:31]
	s_waitcnt lgkmcnt(1)
	v_mul_f64 v[30:31], v[154:155], v[160:161]
	v_fma_f64 v[30:31], v[152:153], v[28:29], -v[30:31]
	v_mul_f64 v[152:153], v[152:153], v[160:161]
	v_fmac_f64_e32 v[152:153], v[154:155], v[28:29]
	s_waitcnt vmcnt(5)
	v_add_f64 v[24:25], v[24:25], -v[30:31]
	v_add_f64 v[26:27], v[26:27], -v[152:153]
	s_waitcnt lgkmcnt(0)
	v_mul_f64 v[30:31], v[158:159], v[160:161]
	ds_read2_b64 v[152:155], v224 offset0:36 offset1:37
	v_fma_f64 v[30:31], v[156:157], v[28:29], -v[30:31]
	v_mul_f64 v[156:157], v[156:157], v[160:161]
	v_fmac_f64_e32 v[156:157], v[158:159], v[28:29]
	s_waitcnt vmcnt(4)
	v_add_f64 v[22:23], v[22:23], -v[156:157]
	ds_read2_b64 v[156:159], v224 offset0:38 offset1:39
	v_add_f64 v[20:21], v[20:21], -v[30:31]
	s_waitcnt lgkmcnt(1)
	v_mul_f64 v[30:31], v[154:155], v[160:161]
	v_fma_f64 v[30:31], v[152:153], v[28:29], -v[30:31]
	v_mul_f64 v[152:153], v[152:153], v[160:161]
	v_fmac_f64_e32 v[152:153], v[154:155], v[28:29]
	s_waitcnt vmcnt(3)
	v_add_f64 v[16:17], v[16:17], -v[30:31]
	v_add_f64 v[18:19], v[18:19], -v[152:153]
	s_waitcnt lgkmcnt(0)
	v_mul_f64 v[30:31], v[158:159], v[160:161]
	ds_read2_b64 v[152:155], v224 offset0:40 offset1:41
	v_fma_f64 v[30:31], v[156:157], v[28:29], -v[30:31]
	v_mul_f64 v[156:157], v[156:157], v[160:161]
	v_fmac_f64_e32 v[156:157], v[158:159], v[28:29]
	s_waitcnt vmcnt(2)
	v_add_f64 v[14:15], v[14:15], -v[156:157]
	ds_read2_b64 v[156:159], v224 offset0:42 offset1:43
	v_add_f64 v[12:13], v[12:13], -v[30:31]
	s_waitcnt lgkmcnt(1)
	v_mul_f64 v[30:31], v[154:155], v[160:161]
	v_fma_f64 v[30:31], v[152:153], v[28:29], -v[30:31]
	v_mul_f64 v[152:153], v[152:153], v[160:161]
	v_fmac_f64_e32 v[152:153], v[154:155], v[28:29]
	s_waitcnt vmcnt(1)
	v_add_f64 v[8:9], v[8:9], -v[30:31]
	v_add_f64 v[10:11], v[10:11], -v[152:153]
	s_waitcnt lgkmcnt(0)
	v_mul_f64 v[30:31], v[158:159], v[160:161]
	v_mul_f64 v[152:153], v[156:157], v[160:161]
	v_fma_f64 v[30:31], v[156:157], v[28:29], -v[30:31]
	v_fmac_f64_e32 v[152:153], v[158:159], v[28:29]
	s_waitcnt vmcnt(0)
	v_add_f64 v[84:85], v[84:85], -v[30:31]
	v_add_f64 v[86:87], v[86:87], -v[152:153]
	v_mov_b64_e32 v[30:31], v[160:161]
.LBB43_145:
	s_or_b64 exec, exec, s[2:3]
	v_cmp_eq_u32_e32 vcc, 16, v222
	s_waitcnt lgkmcnt(0)
	s_barrier
	s_and_saveexec_b64 s[4:5], vcc
	s_cbranch_execz .LBB43_152
; %bb.146:
	s_waitcnt vmcnt(5)
	ds_write2_b64 v223, v[24:25], v[26:27] offset1:1
	s_waitcnt vmcnt(4)
	ds_write2_b64 v224, v[20:21], v[22:23] offset0:34 offset1:35
	s_waitcnt vmcnt(3)
	ds_write2_b64 v224, v[16:17], v[18:19] offset0:36 offset1:37
	;; [unrolled: 2-line block ×5, first 2 shown]
	ds_read2_b64 v[152:155], v223 offset1:1
	s_waitcnt lgkmcnt(0)
	v_cmp_neq_f64_e32 vcc, 0, v[152:153]
	v_cmp_neq_f64_e64 s[2:3], 0, v[154:155]
	s_or_b64 s[2:3], vcc, s[2:3]
	s_and_b64 exec, exec, s[2:3]
	s_cbranch_execz .LBB43_152
; %bb.147:
	v_cmp_ngt_f64_e64 s[2:3], |v[152:153]|, |v[154:155]|
                                        ; implicit-def: $vgpr156_vgpr157
	s_and_saveexec_b64 s[10:11], s[2:3]
	s_xor_b64 s[2:3], exec, s[10:11]
                                        ; implicit-def: $vgpr158_vgpr159
	s_cbranch_execz .LBB43_149
; %bb.148:
	v_div_scale_f64 v[156:157], s[10:11], v[154:155], v[154:155], v[152:153]
	v_rcp_f64_e32 v[158:159], v[156:157]
	v_div_scale_f64 v[160:161], vcc, v[152:153], v[154:155], v[152:153]
	v_fma_f64 v[162:163], -v[156:157], v[158:159], 1.0
	v_fmac_f64_e32 v[158:159], v[158:159], v[162:163]
	v_fma_f64 v[162:163], -v[156:157], v[158:159], 1.0
	v_fmac_f64_e32 v[158:159], v[158:159], v[162:163]
	v_mul_f64 v[162:163], v[160:161], v[158:159]
	v_fma_f64 v[156:157], -v[156:157], v[162:163], v[160:161]
	v_div_fmas_f64 v[156:157], v[156:157], v[158:159], v[162:163]
	v_div_fixup_f64 v[156:157], v[156:157], v[154:155], v[152:153]
	v_fmac_f64_e32 v[154:155], v[152:153], v[156:157]
	v_div_scale_f64 v[152:153], s[10:11], v[154:155], v[154:155], 1.0
	v_rcp_f64_e32 v[158:159], v[152:153]
	s_nop 0
	v_fma_f64 v[160:161], -v[152:153], v[158:159], 1.0
	v_fmac_f64_e32 v[158:159], v[158:159], v[160:161]
	v_fma_f64 v[160:161], -v[152:153], v[158:159], 1.0
	v_fmac_f64_e32 v[158:159], v[158:159], v[160:161]
	v_div_scale_f64 v[160:161], vcc, 1.0, v[154:155], 1.0
	v_mul_f64 v[162:163], v[160:161], v[158:159]
	v_fma_f64 v[152:153], -v[152:153], v[162:163], v[160:161]
	s_nop 1
	v_div_fmas_f64 v[152:153], v[152:153], v[158:159], v[162:163]
	v_div_fixup_f64 v[158:159], v[152:153], v[154:155], 1.0
	v_mul_f64 v[156:157], v[156:157], v[158:159]
	v_xor_b32_e32 v159, 0x80000000, v159
                                        ; implicit-def: $vgpr152_vgpr153
.LBB43_149:
	s_andn2_saveexec_b64 s[2:3], s[2:3]
	s_cbranch_execz .LBB43_151
; %bb.150:
	v_div_scale_f64 v[156:157], s[10:11], v[152:153], v[152:153], v[154:155]
	v_rcp_f64_e32 v[158:159], v[156:157]
	v_div_scale_f64 v[160:161], vcc, v[154:155], v[152:153], v[154:155]
	v_fma_f64 v[162:163], -v[156:157], v[158:159], 1.0
	v_fmac_f64_e32 v[158:159], v[158:159], v[162:163]
	v_fma_f64 v[162:163], -v[156:157], v[158:159], 1.0
	v_fmac_f64_e32 v[158:159], v[158:159], v[162:163]
	v_mul_f64 v[162:163], v[160:161], v[158:159]
	v_fma_f64 v[156:157], -v[156:157], v[162:163], v[160:161]
	v_div_fmas_f64 v[156:157], v[156:157], v[158:159], v[162:163]
	v_div_fixup_f64 v[158:159], v[156:157], v[152:153], v[154:155]
	v_fmac_f64_e32 v[152:153], v[154:155], v[158:159]
	v_div_scale_f64 v[154:155], s[10:11], v[152:153], v[152:153], 1.0
	v_rcp_f64_e32 v[156:157], v[154:155]
	s_nop 0
	v_fma_f64 v[160:161], -v[154:155], v[156:157], 1.0
	v_fmac_f64_e32 v[156:157], v[156:157], v[160:161]
	v_fma_f64 v[160:161], -v[154:155], v[156:157], 1.0
	v_fmac_f64_e32 v[156:157], v[156:157], v[160:161]
	v_div_scale_f64 v[160:161], vcc, 1.0, v[152:153], 1.0
	v_mul_f64 v[162:163], v[160:161], v[156:157]
	v_fma_f64 v[154:155], -v[154:155], v[162:163], v[160:161]
	s_nop 1
	v_div_fmas_f64 v[154:155], v[154:155], v[156:157], v[162:163]
	v_div_fixup_f64 v[156:157], v[154:155], v[152:153], 1.0
	v_mul_f64 v[158:159], v[158:159], -v[156:157]
.LBB43_151:
	s_or_b64 exec, exec, s[2:3]
	ds_write2_b64 v223, v[156:157], v[158:159] offset1:1
.LBB43_152:
	s_or_b64 exec, exec, s[4:5]
	s_waitcnt lgkmcnt(0)
	s_barrier
	ds_read2_b64 v[152:155], v223 offset1:1
	v_cmp_lt_u32_e32 vcc, 16, v222
	s_and_saveexec_b64 s[2:3], vcc
	s_cbranch_execz .LBB43_154
; %bb.153:
	ds_read2_b64 v[156:159], v224 offset0:34 offset1:35
	ds_read2_b64 v[160:163], v224 offset0:36 offset1:37
	s_waitcnt vmcnt(5) lgkmcnt(2)
	v_mul_f64 v[164:165], v[152:153], v[26:27]
	v_fmac_f64_e32 v[164:165], v[154:155], v[24:25]
	v_mul_f64 v[26:27], v[154:155], v[26:27]
	v_fma_f64 v[24:25], v[152:153], v[24:25], -v[26:27]
	s_waitcnt lgkmcnt(1)
	v_mul_f64 v[26:27], v[158:159], v[164:165]
	v_fma_f64 v[26:27], v[156:157], v[24:25], -v[26:27]
	v_mul_f64 v[156:157], v[156:157], v[164:165]
	v_fmac_f64_e32 v[156:157], v[158:159], v[24:25]
	s_waitcnt vmcnt(4)
	v_add_f64 v[22:23], v[22:23], -v[156:157]
	ds_read2_b64 v[156:159], v224 offset0:38 offset1:39
	v_add_f64 v[20:21], v[20:21], -v[26:27]
	s_waitcnt lgkmcnt(1)
	v_mul_f64 v[26:27], v[162:163], v[164:165]
	v_fma_f64 v[26:27], v[160:161], v[24:25], -v[26:27]
	v_mul_f64 v[160:161], v[160:161], v[164:165]
	v_fmac_f64_e32 v[160:161], v[162:163], v[24:25]
	s_waitcnt vmcnt(3)
	v_add_f64 v[16:17], v[16:17], -v[26:27]
	v_add_f64 v[18:19], v[18:19], -v[160:161]
	ds_read2_b64 v[160:163], v224 offset0:40 offset1:41
	s_waitcnt lgkmcnt(1)
	v_mul_f64 v[26:27], v[158:159], v[164:165]
	v_fma_f64 v[26:27], v[156:157], v[24:25], -v[26:27]
	v_mul_f64 v[156:157], v[156:157], v[164:165]
	v_fmac_f64_e32 v[156:157], v[158:159], v[24:25]
	s_waitcnt vmcnt(2)
	v_add_f64 v[14:15], v[14:15], -v[156:157]
	ds_read2_b64 v[156:159], v224 offset0:42 offset1:43
	v_add_f64 v[12:13], v[12:13], -v[26:27]
	s_waitcnt lgkmcnt(1)
	v_mul_f64 v[26:27], v[162:163], v[164:165]
	v_fma_f64 v[26:27], v[160:161], v[24:25], -v[26:27]
	s_waitcnt vmcnt(1)
	v_add_f64 v[8:9], v[8:9], -v[26:27]
	s_waitcnt lgkmcnt(0)
	v_mul_f64 v[26:27], v[158:159], v[164:165]
	v_mul_f64 v[160:161], v[160:161], v[164:165]
	v_fma_f64 v[26:27], v[156:157], v[24:25], -v[26:27]
	v_mul_f64 v[156:157], v[156:157], v[164:165]
	v_fmac_f64_e32 v[160:161], v[162:163], v[24:25]
	v_fmac_f64_e32 v[156:157], v[158:159], v[24:25]
	v_add_f64 v[10:11], v[10:11], -v[160:161]
	s_waitcnt vmcnt(0)
	v_add_f64 v[84:85], v[84:85], -v[26:27]
	v_add_f64 v[86:87], v[86:87], -v[156:157]
	v_mov_b64_e32 v[26:27], v[164:165]
.LBB43_154:
	s_or_b64 exec, exec, s[2:3]
	v_cmp_eq_u32_e32 vcc, 17, v222
	s_waitcnt lgkmcnt(0)
	s_barrier
	s_and_saveexec_b64 s[4:5], vcc
	s_cbranch_execz .LBB43_161
; %bb.155:
	s_waitcnt vmcnt(4)
	ds_write2_b64 v223, v[20:21], v[22:23] offset1:1
	s_waitcnt vmcnt(3)
	ds_write2_b64 v224, v[16:17], v[18:19] offset0:36 offset1:37
	s_waitcnt vmcnt(2)
	ds_write2_b64 v224, v[12:13], v[14:15] offset0:38 offset1:39
	;; [unrolled: 2-line block ×4, first 2 shown]
	ds_read2_b64 v[156:159], v223 offset1:1
	s_waitcnt lgkmcnt(0)
	v_cmp_neq_f64_e32 vcc, 0, v[156:157]
	v_cmp_neq_f64_e64 s[2:3], 0, v[158:159]
	s_or_b64 s[2:3], vcc, s[2:3]
	s_and_b64 exec, exec, s[2:3]
	s_cbranch_execz .LBB43_161
; %bb.156:
	v_cmp_ngt_f64_e64 s[2:3], |v[156:157]|, |v[158:159]|
                                        ; implicit-def: $vgpr160_vgpr161
	s_and_saveexec_b64 s[10:11], s[2:3]
	s_xor_b64 s[2:3], exec, s[10:11]
                                        ; implicit-def: $vgpr162_vgpr163
	s_cbranch_execz .LBB43_158
; %bb.157:
	v_div_scale_f64 v[160:161], s[10:11], v[158:159], v[158:159], v[156:157]
	v_rcp_f64_e32 v[162:163], v[160:161]
	v_div_scale_f64 v[164:165], vcc, v[156:157], v[158:159], v[156:157]
	v_fma_f64 v[166:167], -v[160:161], v[162:163], 1.0
	v_fmac_f64_e32 v[162:163], v[162:163], v[166:167]
	v_fma_f64 v[166:167], -v[160:161], v[162:163], 1.0
	v_fmac_f64_e32 v[162:163], v[162:163], v[166:167]
	v_mul_f64 v[166:167], v[164:165], v[162:163]
	v_fma_f64 v[160:161], -v[160:161], v[166:167], v[164:165]
	v_div_fmas_f64 v[160:161], v[160:161], v[162:163], v[166:167]
	v_div_fixup_f64 v[160:161], v[160:161], v[158:159], v[156:157]
	v_fmac_f64_e32 v[158:159], v[156:157], v[160:161]
	v_div_scale_f64 v[156:157], s[10:11], v[158:159], v[158:159], 1.0
	v_rcp_f64_e32 v[162:163], v[156:157]
	s_nop 0
	v_fma_f64 v[164:165], -v[156:157], v[162:163], 1.0
	v_fmac_f64_e32 v[162:163], v[162:163], v[164:165]
	v_fma_f64 v[164:165], -v[156:157], v[162:163], 1.0
	v_fmac_f64_e32 v[162:163], v[162:163], v[164:165]
	v_div_scale_f64 v[164:165], vcc, 1.0, v[158:159], 1.0
	v_mul_f64 v[166:167], v[164:165], v[162:163]
	v_fma_f64 v[156:157], -v[156:157], v[166:167], v[164:165]
	s_nop 1
	v_div_fmas_f64 v[156:157], v[156:157], v[162:163], v[166:167]
	v_div_fixup_f64 v[162:163], v[156:157], v[158:159], 1.0
	v_mul_f64 v[160:161], v[160:161], v[162:163]
	v_xor_b32_e32 v163, 0x80000000, v163
                                        ; implicit-def: $vgpr156_vgpr157
.LBB43_158:
	s_andn2_saveexec_b64 s[2:3], s[2:3]
	s_cbranch_execz .LBB43_160
; %bb.159:
	v_div_scale_f64 v[160:161], s[10:11], v[156:157], v[156:157], v[158:159]
	v_rcp_f64_e32 v[162:163], v[160:161]
	v_div_scale_f64 v[164:165], vcc, v[158:159], v[156:157], v[158:159]
	v_fma_f64 v[166:167], -v[160:161], v[162:163], 1.0
	v_fmac_f64_e32 v[162:163], v[162:163], v[166:167]
	v_fma_f64 v[166:167], -v[160:161], v[162:163], 1.0
	v_fmac_f64_e32 v[162:163], v[162:163], v[166:167]
	v_mul_f64 v[166:167], v[164:165], v[162:163]
	v_fma_f64 v[160:161], -v[160:161], v[166:167], v[164:165]
	v_div_fmas_f64 v[160:161], v[160:161], v[162:163], v[166:167]
	v_div_fixup_f64 v[162:163], v[160:161], v[156:157], v[158:159]
	v_fmac_f64_e32 v[156:157], v[158:159], v[162:163]
	v_div_scale_f64 v[158:159], s[10:11], v[156:157], v[156:157], 1.0
	v_rcp_f64_e32 v[160:161], v[158:159]
	s_nop 0
	v_fma_f64 v[164:165], -v[158:159], v[160:161], 1.0
	v_fmac_f64_e32 v[160:161], v[160:161], v[164:165]
	v_fma_f64 v[164:165], -v[158:159], v[160:161], 1.0
	v_fmac_f64_e32 v[160:161], v[160:161], v[164:165]
	v_div_scale_f64 v[164:165], vcc, 1.0, v[156:157], 1.0
	v_mul_f64 v[166:167], v[164:165], v[160:161]
	v_fma_f64 v[158:159], -v[158:159], v[166:167], v[164:165]
	s_nop 1
	v_div_fmas_f64 v[158:159], v[158:159], v[160:161], v[166:167]
	v_div_fixup_f64 v[160:161], v[158:159], v[156:157], 1.0
	v_mul_f64 v[162:163], v[162:163], -v[160:161]
.LBB43_160:
	s_or_b64 exec, exec, s[2:3]
	ds_write2_b64 v223, v[160:161], v[162:163] offset1:1
.LBB43_161:
	s_or_b64 exec, exec, s[4:5]
	s_waitcnt lgkmcnt(0)
	s_barrier
	ds_read2_b64 v[156:159], v223 offset1:1
	v_cmp_lt_u32_e32 vcc, 17, v222
	s_and_saveexec_b64 s[2:3], vcc
	s_cbranch_execz .LBB43_163
; %bb.162:
	ds_read2_b64 v[160:163], v224 offset0:36 offset1:37
	ds_read2_b64 v[164:167], v224 offset0:38 offset1:39
	s_waitcnt vmcnt(4) lgkmcnt(2)
	v_mul_f64 v[168:169], v[156:157], v[22:23]
	v_fmac_f64_e32 v[168:169], v[158:159], v[20:21]
	v_mul_f64 v[22:23], v[158:159], v[22:23]
	v_fma_f64 v[20:21], v[156:157], v[20:21], -v[22:23]
	s_waitcnt lgkmcnt(1)
	v_mul_f64 v[22:23], v[162:163], v[168:169]
	v_fma_f64 v[22:23], v[160:161], v[20:21], -v[22:23]
	v_mul_f64 v[160:161], v[160:161], v[168:169]
	v_fmac_f64_e32 v[160:161], v[162:163], v[20:21]
	s_waitcnt vmcnt(3)
	v_add_f64 v[16:17], v[16:17], -v[22:23]
	v_add_f64 v[18:19], v[18:19], -v[160:161]
	s_waitcnt lgkmcnt(0)
	v_mul_f64 v[22:23], v[166:167], v[168:169]
	ds_read2_b64 v[160:163], v224 offset0:40 offset1:41
	v_fma_f64 v[22:23], v[164:165], v[20:21], -v[22:23]
	v_mul_f64 v[164:165], v[164:165], v[168:169]
	v_fmac_f64_e32 v[164:165], v[166:167], v[20:21]
	s_waitcnt vmcnt(2)
	v_add_f64 v[14:15], v[14:15], -v[164:165]
	ds_read2_b64 v[164:167], v224 offset0:42 offset1:43
	v_add_f64 v[12:13], v[12:13], -v[22:23]
	s_waitcnt lgkmcnt(1)
	v_mul_f64 v[22:23], v[162:163], v[168:169]
	v_fma_f64 v[22:23], v[160:161], v[20:21], -v[22:23]
	v_mul_f64 v[160:161], v[160:161], v[168:169]
	v_fmac_f64_e32 v[160:161], v[162:163], v[20:21]
	s_waitcnt vmcnt(1)
	v_add_f64 v[8:9], v[8:9], -v[22:23]
	v_add_f64 v[10:11], v[10:11], -v[160:161]
	s_waitcnt lgkmcnt(0)
	v_mul_f64 v[22:23], v[166:167], v[168:169]
	v_mul_f64 v[160:161], v[164:165], v[168:169]
	v_fma_f64 v[22:23], v[164:165], v[20:21], -v[22:23]
	v_fmac_f64_e32 v[160:161], v[166:167], v[20:21]
	s_waitcnt vmcnt(0)
	v_add_f64 v[84:85], v[84:85], -v[22:23]
	v_add_f64 v[86:87], v[86:87], -v[160:161]
	v_mov_b64_e32 v[22:23], v[168:169]
.LBB43_163:
	s_or_b64 exec, exec, s[2:3]
	v_cmp_eq_u32_e32 vcc, 18, v222
	s_waitcnt lgkmcnt(0)
	s_barrier
	s_and_saveexec_b64 s[4:5], vcc
	s_cbranch_execz .LBB43_170
; %bb.164:
	s_waitcnt vmcnt(3)
	ds_write2_b64 v223, v[16:17], v[18:19] offset1:1
	s_waitcnt vmcnt(2)
	ds_write2_b64 v224, v[12:13], v[14:15] offset0:38 offset1:39
	s_waitcnt vmcnt(1)
	ds_write2_b64 v224, v[8:9], v[10:11] offset0:40 offset1:41
	;; [unrolled: 2-line block ×3, first 2 shown]
	ds_read2_b64 v[160:163], v223 offset1:1
	s_waitcnt lgkmcnt(0)
	v_cmp_neq_f64_e32 vcc, 0, v[160:161]
	v_cmp_neq_f64_e64 s[2:3], 0, v[162:163]
	s_or_b64 s[2:3], vcc, s[2:3]
	s_and_b64 exec, exec, s[2:3]
	s_cbranch_execz .LBB43_170
; %bb.165:
	v_cmp_ngt_f64_e64 s[2:3], |v[160:161]|, |v[162:163]|
                                        ; implicit-def: $vgpr164_vgpr165
	s_and_saveexec_b64 s[10:11], s[2:3]
	s_xor_b64 s[2:3], exec, s[10:11]
                                        ; implicit-def: $vgpr166_vgpr167
	s_cbranch_execz .LBB43_167
; %bb.166:
	v_div_scale_f64 v[164:165], s[10:11], v[162:163], v[162:163], v[160:161]
	v_rcp_f64_e32 v[166:167], v[164:165]
	v_div_scale_f64 v[168:169], vcc, v[160:161], v[162:163], v[160:161]
	v_fma_f64 v[170:171], -v[164:165], v[166:167], 1.0
	v_fmac_f64_e32 v[166:167], v[166:167], v[170:171]
	v_fma_f64 v[170:171], -v[164:165], v[166:167], 1.0
	v_fmac_f64_e32 v[166:167], v[166:167], v[170:171]
	v_mul_f64 v[170:171], v[168:169], v[166:167]
	v_fma_f64 v[164:165], -v[164:165], v[170:171], v[168:169]
	v_div_fmas_f64 v[164:165], v[164:165], v[166:167], v[170:171]
	v_div_fixup_f64 v[164:165], v[164:165], v[162:163], v[160:161]
	v_fmac_f64_e32 v[162:163], v[160:161], v[164:165]
	v_div_scale_f64 v[160:161], s[10:11], v[162:163], v[162:163], 1.0
	v_rcp_f64_e32 v[166:167], v[160:161]
	s_nop 0
	v_fma_f64 v[168:169], -v[160:161], v[166:167], 1.0
	v_fmac_f64_e32 v[166:167], v[166:167], v[168:169]
	v_fma_f64 v[168:169], -v[160:161], v[166:167], 1.0
	v_fmac_f64_e32 v[166:167], v[166:167], v[168:169]
	v_div_scale_f64 v[168:169], vcc, 1.0, v[162:163], 1.0
	v_mul_f64 v[170:171], v[168:169], v[166:167]
	v_fma_f64 v[160:161], -v[160:161], v[170:171], v[168:169]
	s_nop 1
	v_div_fmas_f64 v[160:161], v[160:161], v[166:167], v[170:171]
	v_div_fixup_f64 v[166:167], v[160:161], v[162:163], 1.0
	v_mul_f64 v[164:165], v[164:165], v[166:167]
	v_xor_b32_e32 v167, 0x80000000, v167
                                        ; implicit-def: $vgpr160_vgpr161
.LBB43_167:
	s_andn2_saveexec_b64 s[2:3], s[2:3]
	s_cbranch_execz .LBB43_169
; %bb.168:
	v_div_scale_f64 v[164:165], s[10:11], v[160:161], v[160:161], v[162:163]
	v_rcp_f64_e32 v[166:167], v[164:165]
	v_div_scale_f64 v[168:169], vcc, v[162:163], v[160:161], v[162:163]
	v_fma_f64 v[170:171], -v[164:165], v[166:167], 1.0
	v_fmac_f64_e32 v[166:167], v[166:167], v[170:171]
	v_fma_f64 v[170:171], -v[164:165], v[166:167], 1.0
	v_fmac_f64_e32 v[166:167], v[166:167], v[170:171]
	v_mul_f64 v[170:171], v[168:169], v[166:167]
	v_fma_f64 v[164:165], -v[164:165], v[170:171], v[168:169]
	v_div_fmas_f64 v[164:165], v[164:165], v[166:167], v[170:171]
	v_div_fixup_f64 v[166:167], v[164:165], v[160:161], v[162:163]
	v_fmac_f64_e32 v[160:161], v[162:163], v[166:167]
	v_div_scale_f64 v[162:163], s[10:11], v[160:161], v[160:161], 1.0
	v_rcp_f64_e32 v[164:165], v[162:163]
	s_nop 0
	v_fma_f64 v[168:169], -v[162:163], v[164:165], 1.0
	v_fmac_f64_e32 v[164:165], v[164:165], v[168:169]
	v_fma_f64 v[168:169], -v[162:163], v[164:165], 1.0
	v_fmac_f64_e32 v[164:165], v[164:165], v[168:169]
	v_div_scale_f64 v[168:169], vcc, 1.0, v[160:161], 1.0
	v_mul_f64 v[170:171], v[168:169], v[164:165]
	v_fma_f64 v[162:163], -v[162:163], v[170:171], v[168:169]
	s_nop 1
	v_div_fmas_f64 v[162:163], v[162:163], v[164:165], v[170:171]
	v_div_fixup_f64 v[164:165], v[162:163], v[160:161], 1.0
	v_mul_f64 v[166:167], v[166:167], -v[164:165]
.LBB43_169:
	s_or_b64 exec, exec, s[2:3]
	ds_write2_b64 v223, v[164:165], v[166:167] offset1:1
.LBB43_170:
	s_or_b64 exec, exec, s[4:5]
	s_waitcnt lgkmcnt(0)
	s_barrier
	ds_read2_b64 v[160:163], v223 offset1:1
	v_cmp_lt_u32_e32 vcc, 18, v222
	s_and_saveexec_b64 s[2:3], vcc
	s_cbranch_execz .LBB43_172
; %bb.171:
	ds_read2_b64 v[164:167], v224 offset0:38 offset1:39
	ds_read2_b64 v[168:171], v224 offset0:40 offset1:41
	s_waitcnt vmcnt(3) lgkmcnt(2)
	v_mul_f64 v[172:173], v[160:161], v[18:19]
	v_fmac_f64_e32 v[172:173], v[162:163], v[16:17]
	v_mul_f64 v[18:19], v[162:163], v[18:19]
	v_fma_f64 v[16:17], v[160:161], v[16:17], -v[18:19]
	s_waitcnt lgkmcnt(1)
	v_mul_f64 v[18:19], v[166:167], v[172:173]
	v_fma_f64 v[18:19], v[164:165], v[16:17], -v[18:19]
	v_mul_f64 v[164:165], v[164:165], v[172:173]
	v_fmac_f64_e32 v[164:165], v[166:167], v[16:17]
	s_waitcnt vmcnt(2)
	v_add_f64 v[14:15], v[14:15], -v[164:165]
	ds_read2_b64 v[164:167], v224 offset0:42 offset1:43
	v_add_f64 v[12:13], v[12:13], -v[18:19]
	s_waitcnt lgkmcnt(1)
	v_mul_f64 v[18:19], v[170:171], v[172:173]
	v_fma_f64 v[18:19], v[168:169], v[16:17], -v[18:19]
	s_waitcnt vmcnt(1)
	v_add_f64 v[8:9], v[8:9], -v[18:19]
	s_waitcnt lgkmcnt(0)
	v_mul_f64 v[18:19], v[166:167], v[172:173]
	v_mul_f64 v[168:169], v[168:169], v[172:173]
	v_fma_f64 v[18:19], v[164:165], v[16:17], -v[18:19]
	v_mul_f64 v[164:165], v[164:165], v[172:173]
	v_fmac_f64_e32 v[168:169], v[170:171], v[16:17]
	v_fmac_f64_e32 v[164:165], v[166:167], v[16:17]
	v_add_f64 v[10:11], v[10:11], -v[168:169]
	s_waitcnt vmcnt(0)
	v_add_f64 v[84:85], v[84:85], -v[18:19]
	v_add_f64 v[86:87], v[86:87], -v[164:165]
	v_mov_b64_e32 v[18:19], v[172:173]
.LBB43_172:
	s_or_b64 exec, exec, s[2:3]
	v_cmp_eq_u32_e32 vcc, 19, v222
	s_waitcnt lgkmcnt(0)
	s_barrier
	s_and_saveexec_b64 s[4:5], vcc
	s_cbranch_execz .LBB43_179
; %bb.173:
	s_waitcnt vmcnt(2)
	ds_write2_b64 v223, v[12:13], v[14:15] offset1:1
	s_waitcnt vmcnt(1)
	ds_write2_b64 v224, v[8:9], v[10:11] offset0:40 offset1:41
	s_waitcnt vmcnt(0)
	ds_write2_b64 v224, v[84:85], v[86:87] offset0:42 offset1:43
	ds_read2_b64 v[164:167], v223 offset1:1
	s_waitcnt lgkmcnt(0)
	v_cmp_neq_f64_e32 vcc, 0, v[164:165]
	v_cmp_neq_f64_e64 s[2:3], 0, v[166:167]
	s_or_b64 s[2:3], vcc, s[2:3]
	s_and_b64 exec, exec, s[2:3]
	s_cbranch_execz .LBB43_179
; %bb.174:
	v_cmp_ngt_f64_e64 s[2:3], |v[164:165]|, |v[166:167]|
                                        ; implicit-def: $vgpr168_vgpr169
	s_and_saveexec_b64 s[10:11], s[2:3]
	s_xor_b64 s[2:3], exec, s[10:11]
                                        ; implicit-def: $vgpr170_vgpr171
	s_cbranch_execz .LBB43_176
; %bb.175:
	v_div_scale_f64 v[168:169], s[10:11], v[166:167], v[166:167], v[164:165]
	v_rcp_f64_e32 v[170:171], v[168:169]
	v_div_scale_f64 v[172:173], vcc, v[164:165], v[166:167], v[164:165]
	v_fma_f64 v[174:175], -v[168:169], v[170:171], 1.0
	v_fmac_f64_e32 v[170:171], v[170:171], v[174:175]
	v_fma_f64 v[174:175], -v[168:169], v[170:171], 1.0
	v_fmac_f64_e32 v[170:171], v[170:171], v[174:175]
	v_mul_f64 v[174:175], v[172:173], v[170:171]
	v_fma_f64 v[168:169], -v[168:169], v[174:175], v[172:173]
	v_div_fmas_f64 v[168:169], v[168:169], v[170:171], v[174:175]
	v_div_fixup_f64 v[168:169], v[168:169], v[166:167], v[164:165]
	v_fmac_f64_e32 v[166:167], v[164:165], v[168:169]
	v_div_scale_f64 v[164:165], s[10:11], v[166:167], v[166:167], 1.0
	v_rcp_f64_e32 v[170:171], v[164:165]
	s_nop 0
	v_fma_f64 v[172:173], -v[164:165], v[170:171], 1.0
	v_fmac_f64_e32 v[170:171], v[170:171], v[172:173]
	v_fma_f64 v[172:173], -v[164:165], v[170:171], 1.0
	v_fmac_f64_e32 v[170:171], v[170:171], v[172:173]
	v_div_scale_f64 v[172:173], vcc, 1.0, v[166:167], 1.0
	v_mul_f64 v[174:175], v[172:173], v[170:171]
	v_fma_f64 v[164:165], -v[164:165], v[174:175], v[172:173]
	s_nop 1
	v_div_fmas_f64 v[164:165], v[164:165], v[170:171], v[174:175]
	v_div_fixup_f64 v[170:171], v[164:165], v[166:167], 1.0
	v_mul_f64 v[168:169], v[168:169], v[170:171]
	v_xor_b32_e32 v171, 0x80000000, v171
                                        ; implicit-def: $vgpr164_vgpr165
.LBB43_176:
	s_andn2_saveexec_b64 s[2:3], s[2:3]
	s_cbranch_execz .LBB43_178
; %bb.177:
	v_div_scale_f64 v[168:169], s[10:11], v[164:165], v[164:165], v[166:167]
	v_rcp_f64_e32 v[170:171], v[168:169]
	v_div_scale_f64 v[172:173], vcc, v[166:167], v[164:165], v[166:167]
	v_fma_f64 v[174:175], -v[168:169], v[170:171], 1.0
	v_fmac_f64_e32 v[170:171], v[170:171], v[174:175]
	v_fma_f64 v[174:175], -v[168:169], v[170:171], 1.0
	v_fmac_f64_e32 v[170:171], v[170:171], v[174:175]
	v_mul_f64 v[174:175], v[172:173], v[170:171]
	v_fma_f64 v[168:169], -v[168:169], v[174:175], v[172:173]
	v_div_fmas_f64 v[168:169], v[168:169], v[170:171], v[174:175]
	v_div_fixup_f64 v[170:171], v[168:169], v[164:165], v[166:167]
	v_fmac_f64_e32 v[164:165], v[166:167], v[170:171]
	v_div_scale_f64 v[166:167], s[10:11], v[164:165], v[164:165], 1.0
	v_rcp_f64_e32 v[168:169], v[166:167]
	s_nop 0
	v_fma_f64 v[172:173], -v[166:167], v[168:169], 1.0
	v_fmac_f64_e32 v[168:169], v[168:169], v[172:173]
	v_fma_f64 v[172:173], -v[166:167], v[168:169], 1.0
	v_fmac_f64_e32 v[168:169], v[168:169], v[172:173]
	v_div_scale_f64 v[172:173], vcc, 1.0, v[164:165], 1.0
	v_mul_f64 v[174:175], v[172:173], v[168:169]
	v_fma_f64 v[166:167], -v[166:167], v[174:175], v[172:173]
	s_nop 1
	v_div_fmas_f64 v[166:167], v[166:167], v[168:169], v[174:175]
	v_div_fixup_f64 v[168:169], v[166:167], v[164:165], 1.0
	v_mul_f64 v[170:171], v[170:171], -v[168:169]
.LBB43_178:
	s_or_b64 exec, exec, s[2:3]
	ds_write2_b64 v223, v[168:169], v[170:171] offset1:1
.LBB43_179:
	s_or_b64 exec, exec, s[4:5]
	s_waitcnt lgkmcnt(0)
	s_barrier
	ds_read2_b64 v[164:167], v223 offset1:1
	v_cmp_lt_u32_e32 vcc, 19, v222
	s_and_saveexec_b64 s[2:3], vcc
	s_cbranch_execz .LBB43_181
; %bb.180:
	ds_read2_b64 v[168:171], v224 offset0:40 offset1:41
	ds_read2_b64 v[172:175], v224 offset0:42 offset1:43
	s_waitcnt vmcnt(2) lgkmcnt(2)
	v_mul_f64 v[226:227], v[164:165], v[14:15]
	v_fmac_f64_e32 v[226:227], v[166:167], v[12:13]
	v_mul_f64 v[14:15], v[166:167], v[14:15]
	v_fma_f64 v[12:13], v[164:165], v[12:13], -v[14:15]
	s_waitcnt lgkmcnt(1)
	v_mul_f64 v[14:15], v[170:171], v[226:227]
	v_fma_f64 v[14:15], v[168:169], v[12:13], -v[14:15]
	v_mul_f64 v[168:169], v[168:169], v[226:227]
	v_fmac_f64_e32 v[168:169], v[170:171], v[12:13]
	s_waitcnt vmcnt(1)
	v_add_f64 v[8:9], v[8:9], -v[14:15]
	v_add_f64 v[10:11], v[10:11], -v[168:169]
	s_waitcnt lgkmcnt(0)
	v_mul_f64 v[14:15], v[174:175], v[226:227]
	v_mul_f64 v[168:169], v[172:173], v[226:227]
	v_fma_f64 v[14:15], v[172:173], v[12:13], -v[14:15]
	v_fmac_f64_e32 v[168:169], v[174:175], v[12:13]
	s_waitcnt vmcnt(0)
	v_add_f64 v[84:85], v[84:85], -v[14:15]
	v_add_f64 v[86:87], v[86:87], -v[168:169]
	v_mov_b64_e32 v[14:15], v[226:227]
.LBB43_181:
	s_or_b64 exec, exec, s[2:3]
	v_cmp_eq_u32_e32 vcc, 20, v222
	s_waitcnt lgkmcnt(0)
	s_barrier
	s_and_saveexec_b64 s[4:5], vcc
	s_cbranch_execz .LBB43_188
; %bb.182:
	s_waitcnt vmcnt(1)
	ds_write2_b64 v223, v[8:9], v[10:11] offset1:1
	s_waitcnt vmcnt(0)
	ds_write2_b64 v224, v[84:85], v[86:87] offset0:42 offset1:43
	ds_read2_b64 v[168:171], v223 offset1:1
	s_waitcnt lgkmcnt(0)
	v_cmp_neq_f64_e32 vcc, 0, v[168:169]
	v_cmp_neq_f64_e64 s[2:3], 0, v[170:171]
	s_or_b64 s[2:3], vcc, s[2:3]
	s_and_b64 exec, exec, s[2:3]
	s_cbranch_execz .LBB43_188
; %bb.183:
	v_cmp_ngt_f64_e64 s[2:3], |v[168:169]|, |v[170:171]|
                                        ; implicit-def: $vgpr172_vgpr173
	s_and_saveexec_b64 s[10:11], s[2:3]
	s_xor_b64 s[2:3], exec, s[10:11]
                                        ; implicit-def: $vgpr174_vgpr175
	s_cbranch_execz .LBB43_185
; %bb.184:
	v_div_scale_f64 v[172:173], s[10:11], v[170:171], v[170:171], v[168:169]
	v_rcp_f64_e32 v[174:175], v[172:173]
	v_div_scale_f64 v[226:227], vcc, v[168:169], v[170:171], v[168:169]
	v_fma_f64 v[228:229], -v[172:173], v[174:175], 1.0
	v_fmac_f64_e32 v[174:175], v[174:175], v[228:229]
	v_fma_f64 v[228:229], -v[172:173], v[174:175], 1.0
	v_fmac_f64_e32 v[174:175], v[174:175], v[228:229]
	v_mul_f64 v[228:229], v[226:227], v[174:175]
	v_fma_f64 v[172:173], -v[172:173], v[228:229], v[226:227]
	v_div_fmas_f64 v[172:173], v[172:173], v[174:175], v[228:229]
	v_div_fixup_f64 v[172:173], v[172:173], v[170:171], v[168:169]
	v_fmac_f64_e32 v[170:171], v[168:169], v[172:173]
	v_div_scale_f64 v[168:169], s[10:11], v[170:171], v[170:171], 1.0
	v_rcp_f64_e32 v[174:175], v[168:169]
	s_nop 0
	v_fma_f64 v[226:227], -v[168:169], v[174:175], 1.0
	v_fmac_f64_e32 v[174:175], v[174:175], v[226:227]
	v_fma_f64 v[226:227], -v[168:169], v[174:175], 1.0
	v_fmac_f64_e32 v[174:175], v[174:175], v[226:227]
	v_div_scale_f64 v[226:227], vcc, 1.0, v[170:171], 1.0
	v_mul_f64 v[228:229], v[226:227], v[174:175]
	v_fma_f64 v[168:169], -v[168:169], v[228:229], v[226:227]
	s_nop 1
	v_div_fmas_f64 v[168:169], v[168:169], v[174:175], v[228:229]
	v_div_fixup_f64 v[174:175], v[168:169], v[170:171], 1.0
	v_mul_f64 v[172:173], v[172:173], v[174:175]
	v_xor_b32_e32 v175, 0x80000000, v175
                                        ; implicit-def: $vgpr168_vgpr169
.LBB43_185:
	s_andn2_saveexec_b64 s[2:3], s[2:3]
	s_cbranch_execz .LBB43_187
; %bb.186:
	v_div_scale_f64 v[172:173], s[10:11], v[168:169], v[168:169], v[170:171]
	v_rcp_f64_e32 v[174:175], v[172:173]
	v_div_scale_f64 v[226:227], vcc, v[170:171], v[168:169], v[170:171]
	v_fma_f64 v[228:229], -v[172:173], v[174:175], 1.0
	v_fmac_f64_e32 v[174:175], v[174:175], v[228:229]
	v_fma_f64 v[228:229], -v[172:173], v[174:175], 1.0
	v_fmac_f64_e32 v[174:175], v[174:175], v[228:229]
	v_mul_f64 v[228:229], v[226:227], v[174:175]
	v_fma_f64 v[172:173], -v[172:173], v[228:229], v[226:227]
	v_div_fmas_f64 v[172:173], v[172:173], v[174:175], v[228:229]
	v_div_fixup_f64 v[174:175], v[172:173], v[168:169], v[170:171]
	v_fmac_f64_e32 v[168:169], v[170:171], v[174:175]
	v_div_scale_f64 v[170:171], s[10:11], v[168:169], v[168:169], 1.0
	v_rcp_f64_e32 v[172:173], v[170:171]
	s_nop 0
	v_fma_f64 v[226:227], -v[170:171], v[172:173], 1.0
	v_fmac_f64_e32 v[172:173], v[172:173], v[226:227]
	v_fma_f64 v[226:227], -v[170:171], v[172:173], 1.0
	v_fmac_f64_e32 v[172:173], v[172:173], v[226:227]
	v_div_scale_f64 v[226:227], vcc, 1.0, v[168:169], 1.0
	v_mul_f64 v[228:229], v[226:227], v[172:173]
	v_fma_f64 v[170:171], -v[170:171], v[228:229], v[226:227]
	s_nop 1
	v_div_fmas_f64 v[170:171], v[170:171], v[172:173], v[228:229]
	v_div_fixup_f64 v[172:173], v[170:171], v[168:169], 1.0
	v_mul_f64 v[174:175], v[174:175], -v[172:173]
.LBB43_187:
	s_or_b64 exec, exec, s[2:3]
	ds_write2_b64 v223, v[172:173], v[174:175] offset1:1
.LBB43_188:
	s_or_b64 exec, exec, s[4:5]
	s_waitcnt lgkmcnt(0)
	s_barrier
	ds_read2_b64 v[168:171], v223 offset1:1
	v_cmp_lt_u32_e32 vcc, 20, v222
	s_and_saveexec_b64 s[2:3], vcc
	s_cbranch_execz .LBB43_190
; %bb.189:
	ds_read2_b64 v[172:175], v224 offset0:42 offset1:43
	s_waitcnt vmcnt(1) lgkmcnt(1)
	v_mul_f64 v[224:225], v[168:169], v[10:11]
	v_mul_f64 v[10:11], v[170:171], v[10:11]
	v_fmac_f64_e32 v[224:225], v[170:171], v[8:9]
	v_fma_f64 v[8:9], v[168:169], v[8:9], -v[10:11]
	s_waitcnt lgkmcnt(0)
	v_mul_f64 v[10:11], v[174:175], v[224:225]
	v_fma_f64 v[10:11], v[172:173], v[8:9], -v[10:11]
	v_mul_f64 v[172:173], v[172:173], v[224:225]
	v_fmac_f64_e32 v[172:173], v[174:175], v[8:9]
	s_waitcnt vmcnt(0)
	v_add_f64 v[84:85], v[84:85], -v[10:11]
	v_add_f64 v[86:87], v[86:87], -v[172:173]
	v_mov_b64_e32 v[10:11], v[224:225]
.LBB43_190:
	s_or_b64 exec, exec, s[2:3]
	v_cmp_eq_u32_e32 vcc, 21, v222
	s_waitcnt lgkmcnt(0)
	s_barrier
	s_and_saveexec_b64 s[4:5], vcc
	s_cbranch_execz .LBB43_197
; %bb.191:
	s_waitcnt vmcnt(0)
	v_cmp_neq_f64_e32 vcc, 0, v[84:85]
	v_cmp_neq_f64_e64 s[2:3], 0, v[86:87]
	s_or_b64 s[2:3], vcc, s[2:3]
	ds_write2_b64 v223, v[84:85], v[86:87] offset1:1
	s_and_b64 exec, exec, s[2:3]
	s_cbranch_execz .LBB43_197
; %bb.192:
	v_cmp_ngt_f64_e64 s[2:3], |v[84:85]|, |v[86:87]|
                                        ; implicit-def: $vgpr172_vgpr173
	s_and_saveexec_b64 s[10:11], s[2:3]
	s_xor_b64 s[2:3], exec, s[10:11]
                                        ; implicit-def: $vgpr174_vgpr175
	s_cbranch_execz .LBB43_194
; %bb.193:
	v_div_scale_f64 v[172:173], s[10:11], v[86:87], v[86:87], v[84:85]
	v_rcp_f64_e32 v[174:175], v[172:173]
	v_div_scale_f64 v[224:225], vcc, v[84:85], v[86:87], v[84:85]
	v_fma_f64 v[226:227], -v[172:173], v[174:175], 1.0
	v_fmac_f64_e32 v[174:175], v[174:175], v[226:227]
	v_fma_f64 v[226:227], -v[172:173], v[174:175], 1.0
	v_fmac_f64_e32 v[174:175], v[174:175], v[226:227]
	v_mul_f64 v[226:227], v[224:225], v[174:175]
	v_fma_f64 v[172:173], -v[172:173], v[226:227], v[224:225]
	v_div_fmas_f64 v[172:173], v[172:173], v[174:175], v[226:227]
	v_div_fixup_f64 v[172:173], v[172:173], v[86:87], v[84:85]
	v_fma_f64 v[174:175], v[84:85], v[172:173], v[86:87]
	v_div_scale_f64 v[224:225], s[10:11], v[174:175], v[174:175], 1.0
	v_rcp_f64_e32 v[226:227], v[224:225]
	s_nop 0
	v_fma_f64 v[228:229], -v[224:225], v[226:227], 1.0
	v_fmac_f64_e32 v[226:227], v[226:227], v[228:229]
	v_fma_f64 v[228:229], -v[224:225], v[226:227], 1.0
	v_fmac_f64_e32 v[226:227], v[226:227], v[228:229]
	v_div_scale_f64 v[228:229], vcc, 1.0, v[174:175], 1.0
	v_mul_f64 v[230:231], v[228:229], v[226:227]
	v_fma_f64 v[224:225], -v[224:225], v[230:231], v[228:229]
	s_nop 1
	v_div_fmas_f64 v[224:225], v[224:225], v[226:227], v[230:231]
	v_div_fixup_f64 v[174:175], v[224:225], v[174:175], 1.0
	v_mul_f64 v[172:173], v[172:173], v[174:175]
	v_xor_b32_e32 v175, 0x80000000, v175
.LBB43_194:
	s_andn2_saveexec_b64 s[2:3], s[2:3]
	s_cbranch_execz .LBB43_196
; %bb.195:
	v_div_scale_f64 v[172:173], s[10:11], v[84:85], v[84:85], v[86:87]
	v_rcp_f64_e32 v[174:175], v[172:173]
	v_div_scale_f64 v[224:225], vcc, v[86:87], v[84:85], v[86:87]
	v_fma_f64 v[226:227], -v[172:173], v[174:175], 1.0
	v_fmac_f64_e32 v[174:175], v[174:175], v[226:227]
	v_fma_f64 v[226:227], -v[172:173], v[174:175], 1.0
	v_fmac_f64_e32 v[174:175], v[174:175], v[226:227]
	v_mul_f64 v[226:227], v[224:225], v[174:175]
	v_fma_f64 v[172:173], -v[172:173], v[226:227], v[224:225]
	v_div_fmas_f64 v[172:173], v[172:173], v[174:175], v[226:227]
	v_div_fixup_f64 v[174:175], v[172:173], v[84:85], v[86:87]
	v_fma_f64 v[172:173], v[86:87], v[174:175], v[84:85]
	v_div_scale_f64 v[224:225], s[10:11], v[172:173], v[172:173], 1.0
	v_rcp_f64_e32 v[226:227], v[224:225]
	s_nop 0
	v_fma_f64 v[228:229], -v[224:225], v[226:227], 1.0
	v_fmac_f64_e32 v[226:227], v[226:227], v[228:229]
	v_fma_f64 v[228:229], -v[224:225], v[226:227], 1.0
	v_fmac_f64_e32 v[226:227], v[226:227], v[228:229]
	v_div_scale_f64 v[228:229], vcc, 1.0, v[172:173], 1.0
	v_mul_f64 v[230:231], v[228:229], v[226:227]
	v_fma_f64 v[224:225], -v[224:225], v[230:231], v[228:229]
	s_nop 1
	v_div_fmas_f64 v[224:225], v[224:225], v[226:227], v[230:231]
	v_div_fixup_f64 v[172:173], v[224:225], v[172:173], 1.0
	v_mul_f64 v[174:175], v[174:175], -v[172:173]
.LBB43_196:
	s_or_b64 exec, exec, s[2:3]
	ds_write2_b64 v223, v[172:173], v[174:175] offset1:1
.LBB43_197:
	s_or_b64 exec, exec, s[4:5]
	s_waitcnt lgkmcnt(0)
	s_barrier
	ds_read2_b64 v[172:175], v223 offset1:1
	s_waitcnt lgkmcnt(0)
	s_barrier
	s_and_saveexec_b64 s[2:3], s[0:1]
	s_cbranch_execz .LBB43_200
; %bb.198:
	v_cmp_eq_f64_e32 vcc, 0, v[88:89]
	v_cmp_eq_f64_e64 s[0:1], 0, v[90:91]
	s_and_b64 s[4:5], vcc, s[0:1]
	v_cmp_neq_f64_e32 vcc, 0, v[92:93]
	v_cmp_neq_f64_e64 s[0:1], 0, v[94:95]
	s_or_b64 s[0:1], vcc, s[0:1]
	v_cndmask_b32_e64 v88, 0, 1, s[4:5]
	s_or_b64 vcc, s[0:1], s[4:5]
	v_cndmask_b32_e32 v88, 2, v88, vcc
	v_cmp_eq_f64_e32 vcc, 0, v[96:97]
	v_cmp_eq_f64_e64 s[0:1], 0, v[98:99]
	s_and_b64 s[0:1], vcc, s[0:1]
	v_cmp_eq_u32_e32 vcc, 0, v88
	s_and_b64 s[0:1], s[0:1], vcc
	v_cndmask_b32_e64 v88, v88, 3, s[0:1]
	v_cmp_eq_f64_e32 vcc, 0, v[100:101]
	v_cmp_eq_f64_e64 s[0:1], 0, v[102:103]
	s_and_b64 s[0:1], vcc, s[0:1]
	v_cmp_eq_u32_e32 vcc, 0, v88
	s_and_b64 s[0:1], s[0:1], vcc
	v_cndmask_b32_e64 v88, v88, 4, s[0:1]
	;; [unrolled: 6-line block ×6, first 2 shown]
	v_mov_b32_e32 v88, s6
	v_mov_b32_e32 v89, s7
	v_lshl_add_u64 v[88:89], v[198:199], 2, v[88:89]
	global_load_dword v91, v[88:89], off
	v_cmp_eq_f64_e32 vcc, 0, v[120:121]
	v_cmp_eq_f64_e64 s[0:1], 0, v[122:123]
	s_and_b64 s[0:1], vcc, s[0:1]
	v_cmp_eq_u32_e32 vcc, 0, v90
	s_and_b64 s[0:1], s[0:1], vcc
	v_cndmask_b32_e64 v90, v90, 9, s[0:1]
	v_cmp_eq_f64_e32 vcc, 0, v[124:125]
	v_cmp_eq_f64_e64 s[0:1], 0, v[126:127]
	s_and_b64 s[0:1], vcc, s[0:1]
	v_cmp_eq_u32_e32 vcc, 0, v90
	s_and_b64 s[0:1], s[0:1], vcc
	v_cndmask_b32_e64 v90, v90, 10, s[0:1]
	;; [unrolled: 6-line block ×14, first 2 shown]
	s_waitcnt vmcnt(0)
	v_cmp_eq_u32_e32 vcc, 0, v91
	v_cmp_ne_u32_e64 s[0:1], 0, v90
	s_and_b64 s[0:1], vcc, s[0:1]
	s_and_b64 exec, exec, s[0:1]
	s_cbranch_execz .LBB43_200
; %bb.199:
	v_add_u32_e32 v90, s9, v90
	global_store_dword v[88:89], v90, off
.LBB43_200:
	s_or_b64 exec, exec, s[2:3]
	s_waitcnt vmcnt(0)
	v_mul_f64 v[88:89], v[174:175], v[86:87]
	v_mul_f64 v[90:91], v[172:173], v[86:87]
	v_fma_f64 v[88:89], v[172:173], v[84:85], -v[88:89]
	v_fmac_f64_e32 v[90:91], v[174:175], v[84:85]
	v_cmp_lt_u32_e32 vcc, 21, v222
	s_nop 1
	v_cndmask_b32_e32 v87, v87, v91, vcc
	v_cndmask_b32_e32 v86, v86, v90, vcc
	;; [unrolled: 1-line block ×4, first 2 shown]
	global_store_dwordx4 v[176:177], v[4:7], off
	global_store_dwordx4 v[178:179], v[0:3], off
	global_store_dwordx4 v[180:181], v[80:83], off
	global_store_dwordx4 v[182:183], v[76:79], off
	global_store_dwordx4 v[184:185], v[72:75], off
	global_store_dwordx4 v[186:187], v[68:71], off
	global_store_dwordx4 v[188:189], v[64:67], off
	global_store_dwordx4 v[190:191], v[60:63], off
	global_store_dwordx4 v[192:193], v[56:59], off
	global_store_dwordx4 v[194:195], v[52:55], off
	global_store_dwordx4 v[196:197], v[48:51], off
	global_store_dwordx4 v[200:201], v[44:47], off
	global_store_dwordx4 v[202:203], v[40:43], off
	global_store_dwordx4 v[204:205], v[36:39], off
	global_store_dwordx4 v[206:207], v[32:35], off
	global_store_dwordx4 v[208:209], v[28:31], off
	global_store_dwordx4 v[210:211], v[24:27], off
	global_store_dwordx4 v[212:213], v[20:23], off
	global_store_dwordx4 v[214:215], v[16:19], off
	global_store_dwordx4 v[216:217], v[12:15], off
	global_store_dwordx4 v[218:219], v[8:11], off
	global_store_dwordx4 v[220:221], v[84:87], off
.LBB43_201:
	s_endpgm
	.section	.rodata,"a",@progbits
	.p2align	6, 0x0
	.amdhsa_kernel _ZN9rocsolver6v33100L23getf2_npvt_small_kernelILi22E19rocblas_complex_numIdEiiPS3_EEvT1_T3_lS5_lPT2_S5_S5_
		.amdhsa_group_segment_fixed_size 0
		.amdhsa_private_segment_fixed_size 0
		.amdhsa_kernarg_size 312
		.amdhsa_user_sgpr_count 2
		.amdhsa_user_sgpr_dispatch_ptr 0
		.amdhsa_user_sgpr_queue_ptr 0
		.amdhsa_user_sgpr_kernarg_segment_ptr 1
		.amdhsa_user_sgpr_dispatch_id 0
		.amdhsa_user_sgpr_kernarg_preload_length 0
		.amdhsa_user_sgpr_kernarg_preload_offset 0
		.amdhsa_user_sgpr_private_segment_size 0
		.amdhsa_uses_dynamic_stack 0
		.amdhsa_enable_private_segment 0
		.amdhsa_system_sgpr_workgroup_id_x 1
		.amdhsa_system_sgpr_workgroup_id_y 1
		.amdhsa_system_sgpr_workgroup_id_z 0
		.amdhsa_system_sgpr_workgroup_info 0
		.amdhsa_system_vgpr_workitem_id 1
		.amdhsa_next_free_vgpr 232
		.amdhsa_next_free_sgpr 16
		.amdhsa_accum_offset 232
		.amdhsa_reserve_vcc 1
		.amdhsa_float_round_mode_32 0
		.amdhsa_float_round_mode_16_64 0
		.amdhsa_float_denorm_mode_32 3
		.amdhsa_float_denorm_mode_16_64 3
		.amdhsa_dx10_clamp 1
		.amdhsa_ieee_mode 1
		.amdhsa_fp16_overflow 0
		.amdhsa_tg_split 0
		.amdhsa_exception_fp_ieee_invalid_op 0
		.amdhsa_exception_fp_denorm_src 0
		.amdhsa_exception_fp_ieee_div_zero 0
		.amdhsa_exception_fp_ieee_overflow 0
		.amdhsa_exception_fp_ieee_underflow 0
		.amdhsa_exception_fp_ieee_inexact 0
		.amdhsa_exception_int_div_zero 0
	.end_amdhsa_kernel
	.section	.text._ZN9rocsolver6v33100L23getf2_npvt_small_kernelILi22E19rocblas_complex_numIdEiiPS3_EEvT1_T3_lS5_lPT2_S5_S5_,"axG",@progbits,_ZN9rocsolver6v33100L23getf2_npvt_small_kernelILi22E19rocblas_complex_numIdEiiPS3_EEvT1_T3_lS5_lPT2_S5_S5_,comdat
.Lfunc_end43:
	.size	_ZN9rocsolver6v33100L23getf2_npvt_small_kernelILi22E19rocblas_complex_numIdEiiPS3_EEvT1_T3_lS5_lPT2_S5_S5_, .Lfunc_end43-_ZN9rocsolver6v33100L23getf2_npvt_small_kernelILi22E19rocblas_complex_numIdEiiPS3_EEvT1_T3_lS5_lPT2_S5_S5_
                                        ; -- End function
	.set _ZN9rocsolver6v33100L23getf2_npvt_small_kernelILi22E19rocblas_complex_numIdEiiPS3_EEvT1_T3_lS5_lPT2_S5_S5_.num_vgpr, 232
	.set _ZN9rocsolver6v33100L23getf2_npvt_small_kernelILi22E19rocblas_complex_numIdEiiPS3_EEvT1_T3_lS5_lPT2_S5_S5_.num_agpr, 0
	.set _ZN9rocsolver6v33100L23getf2_npvt_small_kernelILi22E19rocblas_complex_numIdEiiPS3_EEvT1_T3_lS5_lPT2_S5_S5_.numbered_sgpr, 16
	.set _ZN9rocsolver6v33100L23getf2_npvt_small_kernelILi22E19rocblas_complex_numIdEiiPS3_EEvT1_T3_lS5_lPT2_S5_S5_.num_named_barrier, 0
	.set _ZN9rocsolver6v33100L23getf2_npvt_small_kernelILi22E19rocblas_complex_numIdEiiPS3_EEvT1_T3_lS5_lPT2_S5_S5_.private_seg_size, 0
	.set _ZN9rocsolver6v33100L23getf2_npvt_small_kernelILi22E19rocblas_complex_numIdEiiPS3_EEvT1_T3_lS5_lPT2_S5_S5_.uses_vcc, 1
	.set _ZN9rocsolver6v33100L23getf2_npvt_small_kernelILi22E19rocblas_complex_numIdEiiPS3_EEvT1_T3_lS5_lPT2_S5_S5_.uses_flat_scratch, 0
	.set _ZN9rocsolver6v33100L23getf2_npvt_small_kernelILi22E19rocblas_complex_numIdEiiPS3_EEvT1_T3_lS5_lPT2_S5_S5_.has_dyn_sized_stack, 0
	.set _ZN9rocsolver6v33100L23getf2_npvt_small_kernelILi22E19rocblas_complex_numIdEiiPS3_EEvT1_T3_lS5_lPT2_S5_S5_.has_recursion, 0
	.set _ZN9rocsolver6v33100L23getf2_npvt_small_kernelILi22E19rocblas_complex_numIdEiiPS3_EEvT1_T3_lS5_lPT2_S5_S5_.has_indirect_call, 0
	.section	.AMDGPU.csdata,"",@progbits
; Kernel info:
; codeLenInByte = 29992
; TotalNumSgprs: 22
; NumVgprs: 232
; NumAgprs: 0
; TotalNumVgprs: 232
; ScratchSize: 0
; MemoryBound: 1
; FloatMode: 240
; IeeeMode: 1
; LDSByteSize: 0 bytes/workgroup (compile time only)
; SGPRBlocks: 2
; VGPRBlocks: 28
; NumSGPRsForWavesPerEU: 22
; NumVGPRsForWavesPerEU: 232
; AccumOffset: 232
; Occupancy: 2
; WaveLimiterHint : 0
; COMPUTE_PGM_RSRC2:SCRATCH_EN: 0
; COMPUTE_PGM_RSRC2:USER_SGPR: 2
; COMPUTE_PGM_RSRC2:TRAP_HANDLER: 0
; COMPUTE_PGM_RSRC2:TGID_X_EN: 1
; COMPUTE_PGM_RSRC2:TGID_Y_EN: 1
; COMPUTE_PGM_RSRC2:TGID_Z_EN: 0
; COMPUTE_PGM_RSRC2:TIDIG_COMP_CNT: 1
; COMPUTE_PGM_RSRC3_GFX90A:ACCUM_OFFSET: 57
; COMPUTE_PGM_RSRC3_GFX90A:TG_SPLIT: 0
	.section	.text._ZN9rocsolver6v33100L18getf2_small_kernelILi23E19rocblas_complex_numIdEiiPS3_EEvT1_T3_lS5_lPS5_llPT2_S5_S5_S7_l,"axG",@progbits,_ZN9rocsolver6v33100L18getf2_small_kernelILi23E19rocblas_complex_numIdEiiPS3_EEvT1_T3_lS5_lPS5_llPT2_S5_S5_S7_l,comdat
	.globl	_ZN9rocsolver6v33100L18getf2_small_kernelILi23E19rocblas_complex_numIdEiiPS3_EEvT1_T3_lS5_lPS5_llPT2_S5_S5_S7_l ; -- Begin function _ZN9rocsolver6v33100L18getf2_small_kernelILi23E19rocblas_complex_numIdEiiPS3_EEvT1_T3_lS5_lPS5_llPT2_S5_S5_S7_l
	.p2align	8
	.type	_ZN9rocsolver6v33100L18getf2_small_kernelILi23E19rocblas_complex_numIdEiiPS3_EEvT1_T3_lS5_lPS5_llPT2_S5_S5_S7_l,@function
_ZN9rocsolver6v33100L18getf2_small_kernelILi23E19rocblas_complex_numIdEiiPS3_EEvT1_T3_lS5_lPS5_llPT2_S5_S5_S7_l: ; @_ZN9rocsolver6v33100L18getf2_small_kernelILi23E19rocblas_complex_numIdEiiPS3_EEvT1_T3_lS5_lPS5_llPT2_S5_S5_S7_l
; %bb.0:
	s_load_dword s2, s[0:1], 0x6c
	s_load_dwordx2 s[12:13], s[0:1], 0x48
	v_bfe_u32 v92, v0, 10, 10
	s_waitcnt lgkmcnt(0)
	s_lshr_b32 s2, s2, 16
	s_mul_i32 s3, s3, s2
	v_add_u32_e32 v98, s3, v92
	v_cmp_gt_i32_e32 vcc, s12, v98
	s_and_saveexec_b64 s[2:3], vcc
	s_cbranch_execz .LBB44_484
; %bb.1:
	s_load_dwordx4 s[4:7], s[0:1], 0x50
	v_ashrrev_i32_e32 v99, 31, v98
	v_mov_b64_e32 v[100:101], 0
	s_waitcnt lgkmcnt(0)
	s_cmp_eq_u64 s[4:5], 0
	s_cselect_b64 s[14:15], -1, 0
	s_and_b64 vcc, exec, s[14:15]
	s_cbranch_vccnz .LBB44_3
; %bb.2:
	v_mul_lo_u32 v1, s7, v98
	v_mul_lo_u32 v4, s6, v99
	v_mad_u64_u32 v[2:3], s[2:3], s6, v98, 0
	v_add3_u32 v3, v3, v4, v1
	v_lshl_add_u64 v[100:101], v[2:3], 2, s[4:5]
.LBB44_3:
	s_load_dwordx4 s[16:19], s[0:1], 0x8
	s_load_dwordx8 s[4:11], s[0:1], 0x20
	s_load_dword s2, s[0:1], 0x18
	s_load_dword s20, s[0:1], 0x0
	v_and_b32_e32 v106, 0x3ff, v0
	s_waitcnt lgkmcnt(0)
	v_mov_b32_e32 v2, s16
	v_mul_lo_u32 v1, s5, v98
	v_mul_lo_u32 v6, s4, v99
	v_mad_u64_u32 v[4:5], s[4:5], s4, v98, 0
	v_mov_b32_e32 v3, s17
	v_add3_u32 v5, v5, v6, v1
	v_lshl_add_u64 v[2:3], v[4:5], 4, v[2:3]
	s_add_i32 s12, s2, s2
	v_lshl_add_u64 v[96:97], s[18:19], 4, v[2:3]
	v_add_u32_e32 v2, s12, v106
	v_add_u32_e32 v4, s2, v2
	;; [unrolled: 1-line block ×3, first 2 shown]
	v_lshlrev_b32_e32 v102, 4, v106
	v_mov_b32_e32 v103, 0
	v_add_u32_e32 v8, s2, v6
	v_lshl_add_u64 v[0:1], v[96:97], 0, v[102:103]
	s_ashr_i32 s3, s2, 31
	v_ashrrev_i32_e32 v9, 31, v8
	v_add_u32_e32 v12, s2, v8
	v_lshl_add_u64 v[10:11], s[2:3], 4, v[0:1]
	global_load_dwordx4 v[64:67], v[0:1], off
	global_load_dwordx4 v[60:63], v[10:11], off
	v_lshl_add_u64 v[0:1], v[8:9], 4, v[96:97]
	v_ashrrev_i32_e32 v13, 31, v12
	v_add_u32_e32 v8, s2, v12
	v_lshl_add_u64 v[10:11], v[12:13], 4, v[96:97]
	v_add_u32_e32 v12, s2, v8
	v_add_u32_e32 v14, s2, v12
	;; [unrolled: 1-line block ×3, first 2 shown]
	v_ashrrev_i32_e32 v17, 31, v16
	v_add_u32_e32 v18, s2, v16
	v_lshl_add_u64 v[20:21], v[16:17], 4, v[96:97]
	v_ashrrev_i32_e32 v19, 31, v18
	v_add_u32_e32 v16, s2, v18
	v_lshl_add_u64 v[22:23], v[18:19], 4, v[96:97]
	;; [unrolled: 3-line block ×10, first 2 shown]
	v_ashrrev_i32_e32 v17, 31, v16
	v_add_u32_e32 v18, s2, v16
	v_ashrrev_i32_e32 v3, 31, v2
	v_ashrrev_i32_e32 v5, 31, v4
	;; [unrolled: 1-line block ×6, first 2 shown]
	v_lshl_add_u64 v[116:117], v[16:17], 4, v[96:97]
	v_add_u32_e32 v16, s2, v18
	v_lshl_add_u64 v[2:3], v[2:3], 4, v[96:97]
	v_lshl_add_u64 v[4:5], v[4:5], 4, v[96:97]
	;; [unrolled: 1-line block ×6, first 2 shown]
	v_ashrrev_i32_e32 v19, 31, v18
	v_ashrrev_i32_e32 v17, 31, v16
	v_lshl_add_u64 v[118:119], v[18:19], 4, v[96:97]
	v_lshl_add_u64 v[120:121], v[16:17], 4, v[96:97]
	global_load_dwordx4 v[84:87], v[2:3], off
	global_load_dwordx4 v[80:83], v[4:5], off
	;; [unrolled: 1-line block ×15, first 2 shown]
                                        ; kill: killed $vgpr108_vgpr109
                                        ; kill: killed $vgpr8_vgpr9
                                        ; kill: killed $vgpr12_vgpr13
                                        ; kill: killed $vgpr14_vgpr15
                                        ; kill: killed $vgpr20_vgpr21
                                        ; kill: killed $vgpr22_vgpr23
                                        ; kill: killed $vgpr2_vgpr3
                                        ; kill: killed $vgpr88_vgpr89
                                        ; kill: killed $vgpr4_vgpr5
                                        ; kill: killed $vgpr90_vgpr91
                                        ; kill: killed $vgpr6_vgpr7
                                        ; kill: killed $vgpr94_vgpr95
                                        ; kill: killed $vgpr0_vgpr1
                                        ; kill: killed $vgpr104_vgpr105
                                        ; kill: killed $vgpr10_vgpr11
	global_load_dwordx4 v[20:23], v[110:111], off
	global_load_dwordx4 v[12:15], v[112:113], off
	;; [unrolled: 1-line block ×6, first 2 shown]
	s_load_dwordx2 s[4:5], s[0:1], 0x40
	s_max_i32 s0, s20, 23
	v_mul_lo_u32 v105, s0, v92
	v_lshl_add_u32 v104, v105, 4, 0
	v_add_u32_e32 v92, v104, v102
	s_cmp_lt_i32 s20, 2
	v_lshlrev_b32_e32 v108, 4, v105
	s_waitcnt vmcnt(22)
	ds_write2_b64 v92, v[64:65], v[66:67] offset1:1
	s_waitcnt lgkmcnt(0)
	s_barrier
	ds_read2_b64 v[92:95], v104 offset1:1
	s_cbranch_scc1 .LBB44_6
; %bb.4:
	v_add3_u32 v102, v108, 0, 16
	s_mov_b32 s16, 1
	v_mov_b32_e32 v103, 0
.LBB44_5:                               ; =>This Inner Loop Header: Depth=1
	ds_read2_b64 v[110:113], v102 offset1:1
	s_waitcnt lgkmcnt(1)
	v_xor_b32_e32 v105, 0x80000000, v93
	v_xor_b32_e32 v107, 0x80000000, v95
	v_cmp_gt_f64_e32 vcc, 0, v[94:95]
	v_cmp_gt_f64_e64 s[0:1], 0, v[92:93]
	v_mov_b32_e32 v114, v92
	v_mov_b32_e32 v116, v94
	v_cndmask_b32_e64 v115, v93, v105, s[0:1]
	v_cndmask_b32_e32 v117, v95, v107, vcc
	s_waitcnt lgkmcnt(0)
	v_xor_b32_e32 v105, 0x80000000, v111
	v_xor_b32_e32 v107, 0x80000000, v113
	v_cmp_gt_f64_e32 vcc, 0, v[112:113]
	v_cmp_gt_f64_e64 s[0:1], 0, v[110:111]
	v_add_f64 v[114:115], v[114:115], v[116:117]
	v_mov_b32_e32 v116, v110
	v_mov_b32_e32 v118, v112
	v_cndmask_b32_e64 v117, v111, v105, s[0:1]
	v_cndmask_b32_e32 v119, v113, v107, vcc
	v_add_f64 v[116:117], v[116:117], v[118:119]
	v_mov_b32_e32 v109, s16
	s_add_i32 s16, s16, 1
	v_cmp_lt_f64_e32 vcc, v[114:115], v[116:117]
	v_add_u32_e32 v102, 16, v102
	s_cmp_eq_u32 s20, s16
	v_cndmask_b32_e32 v93, v93, v111, vcc
	v_cndmask_b32_e32 v92, v92, v110, vcc
	;; [unrolled: 1-line block ×5, first 2 shown]
	s_cbranch_scc0 .LBB44_5
.LBB44_6:
	s_waitcnt lgkmcnt(0)
	v_cmp_neq_f64_e32 vcc, 0, v[92:93]
	v_cmp_neq_f64_e64 s[0:1], 0, v[94:95]
	s_or_b64 s[16:17], vcc, s[0:1]
	v_mov_b32_e32 v107, 1
	v_mov_b32_e32 v109, 1
	s_and_saveexec_b64 s[0:1], s[16:17]
	s_cbranch_execz .LBB44_12
; %bb.7:
	v_cmp_ngt_f64_e64 s[16:17], |v[92:93]|, |v[94:95]|
	s_and_saveexec_b64 s[18:19], s[16:17]
	s_xor_b64 s[16:17], exec, s[18:19]
	s_cbranch_execz .LBB44_9
; %bb.8:
	v_div_scale_f64 v[110:111], s[18:19], v[94:95], v[94:95], v[92:93]
	v_rcp_f64_e32 v[112:113], v[110:111]
	v_div_scale_f64 v[114:115], vcc, v[92:93], v[94:95], v[92:93]
	v_fma_f64 v[116:117], -v[110:111], v[112:113], 1.0
	v_fmac_f64_e32 v[112:113], v[112:113], v[116:117]
	v_fma_f64 v[116:117], -v[110:111], v[112:113], 1.0
	v_fmac_f64_e32 v[112:113], v[112:113], v[116:117]
	v_mul_f64 v[116:117], v[114:115], v[112:113]
	v_fma_f64 v[110:111], -v[110:111], v[116:117], v[114:115]
	v_div_fmas_f64 v[110:111], v[110:111], v[112:113], v[116:117]
	v_div_fixup_f64 v[110:111], v[110:111], v[94:95], v[92:93]
	v_fmac_f64_e32 v[94:95], v[92:93], v[110:111]
	v_div_scale_f64 v[92:93], s[18:19], v[94:95], v[94:95], 1.0
	v_rcp_f64_e32 v[112:113], v[92:93]
	s_nop 0
	v_fma_f64 v[114:115], -v[92:93], v[112:113], 1.0
	v_fmac_f64_e32 v[112:113], v[112:113], v[114:115]
	v_fma_f64 v[114:115], -v[92:93], v[112:113], 1.0
	v_fmac_f64_e32 v[112:113], v[112:113], v[114:115]
	v_div_scale_f64 v[114:115], vcc, 1.0, v[94:95], 1.0
	v_mul_f64 v[116:117], v[114:115], v[112:113]
	v_fma_f64 v[92:93], -v[92:93], v[116:117], v[114:115]
	s_nop 1
	v_div_fmas_f64 v[92:93], v[92:93], v[112:113], v[116:117]
	v_div_fixup_f64 v[94:95], v[92:93], v[94:95], 1.0
	v_mul_f64 v[92:93], v[110:111], v[94:95]
	v_xor_b32_e32 v95, 0x80000000, v95
.LBB44_9:
	s_andn2_saveexec_b64 s[16:17], s[16:17]
	s_cbranch_execz .LBB44_11
; %bb.10:
	v_div_scale_f64 v[110:111], s[18:19], v[92:93], v[92:93], v[94:95]
	v_rcp_f64_e32 v[112:113], v[110:111]
	v_div_scale_f64 v[114:115], vcc, v[94:95], v[92:93], v[94:95]
	v_fma_f64 v[116:117], -v[110:111], v[112:113], 1.0
	v_fmac_f64_e32 v[112:113], v[112:113], v[116:117]
	v_fma_f64 v[116:117], -v[110:111], v[112:113], 1.0
	v_fmac_f64_e32 v[112:113], v[112:113], v[116:117]
	v_mul_f64 v[116:117], v[114:115], v[112:113]
	v_fma_f64 v[110:111], -v[110:111], v[116:117], v[114:115]
	v_div_fmas_f64 v[110:111], v[110:111], v[112:113], v[116:117]
	v_div_fixup_f64 v[110:111], v[110:111], v[92:93], v[94:95]
	v_fmac_f64_e32 v[92:93], v[94:95], v[110:111]
	v_div_scale_f64 v[94:95], s[18:19], v[92:93], v[92:93], 1.0
	v_rcp_f64_e32 v[112:113], v[94:95]
	s_nop 0
	v_fma_f64 v[114:115], -v[94:95], v[112:113], 1.0
	v_fmac_f64_e32 v[112:113], v[112:113], v[114:115]
	v_fma_f64 v[114:115], -v[94:95], v[112:113], 1.0
	v_fmac_f64_e32 v[112:113], v[112:113], v[114:115]
	v_div_scale_f64 v[114:115], vcc, 1.0, v[92:93], 1.0
	v_mul_f64 v[116:117], v[114:115], v[112:113]
	v_fma_f64 v[94:95], -v[94:95], v[116:117], v[114:115]
	s_nop 1
	v_div_fmas_f64 v[94:95], v[94:95], v[112:113], v[116:117]
	v_div_fixup_f64 v[92:93], v[94:95], v[92:93], 1.0
	v_mul_f64 v[94:95], v[110:111], -v[92:93]
.LBB44_11:
	s_or_b64 exec, exec, s[16:17]
	v_mov_b32_e32 v109, 0
	v_mov_b32_e32 v107, 2
.LBB44_12:
	s_or_b64 exec, exec, s[0:1]
	v_cmp_ne_u32_e32 vcc, v106, v103
	s_and_saveexec_b64 s[0:1], vcc
	s_xor_b64 s[0:1], exec, s[0:1]
	s_cbranch_execz .LBB44_18
; %bb.13:
	v_cmp_eq_u32_e32 vcc, 0, v106
	s_and_saveexec_b64 s[16:17], vcc
	s_cbranch_execz .LBB44_17
; %bb.14:
	v_cmp_ne_u32_e32 vcc, 0, v103
	s_xor_b64 s[18:19], s[14:15], -1
	s_and_b64 s[22:23], s[18:19], vcc
	s_and_saveexec_b64 s[18:19], s[22:23]
	s_cbranch_execz .LBB44_16
; %bb.15:
	v_ashrrev_i32_e32 v111, 31, v103
	v_mov_b32_e32 v110, v103
	v_lshl_add_u64 v[110:111], v[110:111], 2, v[100:101]
	global_load_dword v102, v[110:111], off
	global_load_dword v105, v[100:101], off
	s_waitcnt vmcnt(1)
	global_store_dword v[100:101], v102, off
	s_waitcnt vmcnt(1)
	global_store_dword v[110:111], v105, off
.LBB44_16:
	s_or_b64 exec, exec, s[18:19]
	v_mov_b32_e32 v106, v103
.LBB44_17:
	s_or_b64 exec, exec, s[16:17]
.LBB44_18:
	s_or_saveexec_b64 s[0:1], s[0:1]
	v_mov_b32_e32 v105, v106
	s_xor_b64 exec, exec, s[0:1]
	s_cbranch_execz .LBB44_20
; %bb.19:
	v_mov_b32_e32 v105, 0
	s_waitcnt vmcnt(21)
	ds_write2_b64 v104, v[60:61], v[62:63] offset0:2 offset1:3
	s_waitcnt vmcnt(20)
	ds_write2_b64 v104, v[84:85], v[86:87] offset0:4 offset1:5
	;; [unrolled: 2-line block ×22, first 2 shown]
.LBB44_20:
	s_or_b64 exec, exec, s[0:1]
	v_cmp_lt_i32_e32 vcc, 0, v105
	s_waitcnt lgkmcnt(0)
	s_barrier
	s_and_saveexec_b64 s[0:1], vcc
	s_cbranch_execz .LBB44_22
; %bb.21:
	ds_read2_b64 v[110:113], v104 offset0:2 offset1:3
	v_mul_f64 v[102:103], v[94:95], v[66:67]
	v_mul_f64 v[66:67], v[92:93], v[66:67]
	v_fma_f64 v[102:103], v[92:93], v[64:65], -v[102:103]
	v_fmac_f64_e32 v[66:67], v[94:95], v[64:65]
	ds_read2_b64 v[92:95], v104 offset0:4 offset1:5
	s_waitcnt lgkmcnt(1)
	v_mul_f64 v[64:65], v[112:113], v[66:67]
	v_fma_f64 v[64:65], v[110:111], v[102:103], -v[64:65]
	v_mul_f64 v[110:111], v[110:111], v[66:67]
	v_fmac_f64_e32 v[110:111], v[112:113], v[102:103]
	s_waitcnt vmcnt(21)
	v_add_f64 v[60:61], v[60:61], -v[64:65]
	s_waitcnt lgkmcnt(0)
	v_mul_f64 v[64:65], v[94:95], v[66:67]
	v_add_f64 v[62:63], v[62:63], -v[110:111]
	v_fma_f64 v[64:65], v[92:93], v[102:103], -v[64:65]
	v_mul_f64 v[92:93], v[92:93], v[66:67]
	ds_read2_b64 v[110:113], v104 offset0:6 offset1:7
	v_fmac_f64_e32 v[92:93], v[94:95], v[102:103]
	s_waitcnt vmcnt(20)
	v_add_f64 v[86:87], v[86:87], -v[92:93]
	ds_read2_b64 v[92:95], v104 offset0:8 offset1:9
	v_add_f64 v[84:85], v[84:85], -v[64:65]
	s_waitcnt lgkmcnt(1)
	v_mul_f64 v[64:65], v[112:113], v[66:67]
	v_fma_f64 v[64:65], v[110:111], v[102:103], -v[64:65]
	v_mul_f64 v[110:111], v[110:111], v[66:67]
	v_fmac_f64_e32 v[110:111], v[112:113], v[102:103]
	s_waitcnt vmcnt(19)
	v_add_f64 v[80:81], v[80:81], -v[64:65]
	s_waitcnt lgkmcnt(0)
	v_mul_f64 v[64:65], v[94:95], v[66:67]
	v_add_f64 v[82:83], v[82:83], -v[110:111]
	v_fma_f64 v[64:65], v[92:93], v[102:103], -v[64:65]
	v_mul_f64 v[92:93], v[92:93], v[66:67]
	ds_read2_b64 v[110:113], v104 offset0:10 offset1:11
	v_fmac_f64_e32 v[92:93], v[94:95], v[102:103]
	s_waitcnt vmcnt(18)
	v_add_f64 v[78:79], v[78:79], -v[92:93]
	ds_read2_b64 v[92:95], v104 offset0:12 offset1:13
	v_add_f64 v[76:77], v[76:77], -v[64:65]
	;; [unrolled: 18-line block ×10, first 2 shown]
	s_waitcnt lgkmcnt(1)
	v_mul_f64 v[64:65], v[112:113], v[66:67]
	v_fma_f64 v[64:65], v[110:111], v[102:103], -v[64:65]
	s_waitcnt vmcnt(1)
	v_add_f64 v[0:1], v[0:1], -v[64:65]
	s_waitcnt lgkmcnt(0)
	v_mul_f64 v[64:65], v[94:95], v[66:67]
	v_mul_f64 v[110:111], v[110:111], v[66:67]
	v_fma_f64 v[64:65], v[92:93], v[102:103], -v[64:65]
	v_mul_f64 v[92:93], v[92:93], v[66:67]
	v_fmac_f64_e32 v[110:111], v[112:113], v[102:103]
	v_fmac_f64_e32 v[92:93], v[94:95], v[102:103]
	v_add_f64 v[2:3], v[2:3], -v[110:111]
	s_waitcnt vmcnt(0)
	v_add_f64 v[88:89], v[88:89], -v[64:65]
	v_add_f64 v[90:91], v[90:91], -v[92:93]
	v_mov_b64_e32 v[64:65], v[102:103]
.LBB44_22:
	s_or_b64 exec, exec, s[0:1]
	v_lshl_add_u32 v92, v105, 4, v104
	s_barrier
	s_waitcnt vmcnt(21)
	ds_write2_b64 v92, v[60:61], v[62:63] offset1:1
	s_waitcnt lgkmcnt(0)
	s_barrier
	ds_read2_b64 v[92:95], v104 offset0:2 offset1:3
	s_cmp_lt_i32 s20, 3
	v_mov_b32_e32 v102, 1
	s_cbranch_scc1 .LBB44_25
; %bb.23:
	v_add3_u32 v103, v108, 0, 32
	s_mov_b32 s16, 2
	v_mov_b32_e32 v102, 1
.LBB44_24:                              ; =>This Inner Loop Header: Depth=1
	ds_read2_b64 v[110:113], v103 offset1:1
	s_waitcnt lgkmcnt(1)
	v_xor_b32_e32 v115, 0x80000000, v93
	v_xor_b32_e32 v117, 0x80000000, v95
	v_cmp_gt_f64_e32 vcc, 0, v[94:95]
	v_cmp_gt_f64_e64 s[0:1], 0, v[92:93]
	v_mov_b32_e32 v114, v92
	v_mov_b32_e32 v116, v94
	v_cndmask_b32_e64 v115, v93, v115, s[0:1]
	v_cndmask_b32_e32 v117, v95, v117, vcc
	v_add_f64 v[114:115], v[114:115], v[116:117]
	s_waitcnt lgkmcnt(0)
	v_xor_b32_e32 v117, 0x80000000, v111
	v_xor_b32_e32 v119, 0x80000000, v113
	v_cmp_gt_f64_e32 vcc, 0, v[112:113]
	v_cmp_gt_f64_e64 s[0:1], 0, v[110:111]
	v_mov_b32_e32 v116, v110
	v_mov_b32_e32 v118, v112
	v_cndmask_b32_e64 v117, v111, v117, s[0:1]
	v_cndmask_b32_e32 v119, v113, v119, vcc
	v_add_f64 v[116:117], v[116:117], v[118:119]
	v_mov_b32_e32 v120, s16
	s_add_i32 s16, s16, 1
	v_cmp_lt_f64_e32 vcc, v[114:115], v[116:117]
	v_add_u32_e32 v103, 16, v103
	s_cmp_lg_u32 s20, s16
	v_cndmask_b32_e32 v93, v93, v111, vcc
	v_cndmask_b32_e32 v92, v92, v110, vcc
	;; [unrolled: 1-line block ×5, first 2 shown]
	s_cbranch_scc1 .LBB44_24
.LBB44_25:
	s_waitcnt lgkmcnt(0)
	v_cmp_neq_f64_e32 vcc, 0, v[92:93]
	v_cmp_neq_f64_e64 s[0:1], 0, v[94:95]
	s_or_b64 s[16:17], vcc, s[0:1]
	s_and_saveexec_b64 s[0:1], s[16:17]
	s_cbranch_execz .LBB44_31
; %bb.26:
	v_cmp_ngt_f64_e64 s[16:17], |v[92:93]|, |v[94:95]|
	s_and_saveexec_b64 s[18:19], s[16:17]
	s_xor_b64 s[16:17], exec, s[18:19]
	s_cbranch_execz .LBB44_28
; %bb.27:
	v_div_scale_f64 v[110:111], s[18:19], v[94:95], v[94:95], v[92:93]
	v_rcp_f64_e32 v[112:113], v[110:111]
	v_div_scale_f64 v[114:115], vcc, v[92:93], v[94:95], v[92:93]
	v_fma_f64 v[116:117], -v[110:111], v[112:113], 1.0
	v_fmac_f64_e32 v[112:113], v[112:113], v[116:117]
	v_fma_f64 v[116:117], -v[110:111], v[112:113], 1.0
	v_fmac_f64_e32 v[112:113], v[112:113], v[116:117]
	v_mul_f64 v[116:117], v[114:115], v[112:113]
	v_fma_f64 v[110:111], -v[110:111], v[116:117], v[114:115]
	v_div_fmas_f64 v[110:111], v[110:111], v[112:113], v[116:117]
	v_div_fixup_f64 v[110:111], v[110:111], v[94:95], v[92:93]
	v_fmac_f64_e32 v[94:95], v[92:93], v[110:111]
	v_div_scale_f64 v[92:93], s[18:19], v[94:95], v[94:95], 1.0
	v_rcp_f64_e32 v[112:113], v[92:93]
	s_nop 0
	v_fma_f64 v[114:115], -v[92:93], v[112:113], 1.0
	v_fmac_f64_e32 v[112:113], v[112:113], v[114:115]
	v_fma_f64 v[114:115], -v[92:93], v[112:113], 1.0
	v_fmac_f64_e32 v[112:113], v[112:113], v[114:115]
	v_div_scale_f64 v[114:115], vcc, 1.0, v[94:95], 1.0
	v_mul_f64 v[116:117], v[114:115], v[112:113]
	v_fma_f64 v[92:93], -v[92:93], v[116:117], v[114:115]
	s_nop 1
	v_div_fmas_f64 v[92:93], v[92:93], v[112:113], v[116:117]
	v_div_fixup_f64 v[94:95], v[92:93], v[94:95], 1.0
	v_mul_f64 v[92:93], v[110:111], v[94:95]
	v_xor_b32_e32 v95, 0x80000000, v95
.LBB44_28:
	s_andn2_saveexec_b64 s[16:17], s[16:17]
	s_cbranch_execz .LBB44_30
; %bb.29:
	v_div_scale_f64 v[110:111], s[18:19], v[92:93], v[92:93], v[94:95]
	v_rcp_f64_e32 v[112:113], v[110:111]
	v_div_scale_f64 v[114:115], vcc, v[94:95], v[92:93], v[94:95]
	v_fma_f64 v[116:117], -v[110:111], v[112:113], 1.0
	v_fmac_f64_e32 v[112:113], v[112:113], v[116:117]
	v_fma_f64 v[116:117], -v[110:111], v[112:113], 1.0
	v_fmac_f64_e32 v[112:113], v[112:113], v[116:117]
	v_mul_f64 v[116:117], v[114:115], v[112:113]
	v_fma_f64 v[110:111], -v[110:111], v[116:117], v[114:115]
	v_div_fmas_f64 v[110:111], v[110:111], v[112:113], v[116:117]
	v_div_fixup_f64 v[110:111], v[110:111], v[92:93], v[94:95]
	v_fmac_f64_e32 v[92:93], v[94:95], v[110:111]
	v_div_scale_f64 v[94:95], s[18:19], v[92:93], v[92:93], 1.0
	v_rcp_f64_e32 v[112:113], v[94:95]
	s_nop 0
	v_fma_f64 v[114:115], -v[94:95], v[112:113], 1.0
	v_fmac_f64_e32 v[112:113], v[112:113], v[114:115]
	v_fma_f64 v[114:115], -v[94:95], v[112:113], 1.0
	v_fmac_f64_e32 v[112:113], v[112:113], v[114:115]
	v_div_scale_f64 v[114:115], vcc, 1.0, v[92:93], 1.0
	v_mul_f64 v[116:117], v[114:115], v[112:113]
	v_fma_f64 v[94:95], -v[94:95], v[116:117], v[114:115]
	s_nop 1
	v_div_fmas_f64 v[94:95], v[94:95], v[112:113], v[116:117]
	v_div_fixup_f64 v[92:93], v[94:95], v[92:93], 1.0
	v_mul_f64 v[94:95], v[110:111], -v[92:93]
.LBB44_30:
	s_or_b64 exec, exec, s[16:17]
	v_mov_b32_e32 v107, v109
.LBB44_31:
	s_or_b64 exec, exec, s[0:1]
	v_cmp_ne_u32_e32 vcc, v105, v102
	s_and_saveexec_b64 s[0:1], vcc
	s_xor_b64 s[0:1], exec, s[0:1]
	s_cbranch_execz .LBB44_37
; %bb.32:
	v_cmp_eq_u32_e32 vcc, 1, v105
	s_and_saveexec_b64 s[16:17], vcc
	s_cbranch_execz .LBB44_36
; %bb.33:
	v_cmp_ne_u32_e32 vcc, 1, v102
	s_xor_b64 s[18:19], s[14:15], -1
	s_and_b64 s[22:23], s[18:19], vcc
	s_and_saveexec_b64 s[18:19], s[22:23]
	s_cbranch_execz .LBB44_35
; %bb.34:
	v_ashrrev_i32_e32 v103, 31, v102
	v_lshl_add_u64 v[110:111], v[102:103], 2, v[100:101]
	global_load_dword v103, v[110:111], off
	global_load_dword v105, v[100:101], off offset:4
	s_waitcnt vmcnt(1)
	global_store_dword v[100:101], v103, off offset:4
	s_waitcnt vmcnt(1)
	global_store_dword v[110:111], v105, off
.LBB44_35:
	s_or_b64 exec, exec, s[18:19]
	v_mov_b32_e32 v105, v102
	v_mov_b32_e32 v106, v102
.LBB44_36:
	s_or_b64 exec, exec, s[16:17]
.LBB44_37:
	s_andn2_saveexec_b64 s[0:1], s[0:1]
	s_cbranch_execz .LBB44_39
; %bb.38:
	v_mov_b32_e32 v105, 1
	s_waitcnt vmcnt(20)
	ds_write2_b64 v104, v[84:85], v[86:87] offset0:4 offset1:5
	s_waitcnt vmcnt(19)
	ds_write2_b64 v104, v[80:81], v[82:83] offset0:6 offset1:7
	;; [unrolled: 2-line block ×21, first 2 shown]
.LBB44_39:
	s_or_b64 exec, exec, s[0:1]
	v_cmp_lt_i32_e32 vcc, 1, v105
	s_waitcnt lgkmcnt(0)
	s_barrier
	s_and_saveexec_b64 s[0:1], vcc
	s_cbranch_execz .LBB44_41
; %bb.40:
	ds_read2_b64 v[110:113], v104 offset0:4 offset1:5
	v_mul_f64 v[102:103], v[94:95], v[62:63]
	v_mul_f64 v[62:63], v[92:93], v[62:63]
	v_fmac_f64_e32 v[62:63], v[94:95], v[60:61]
	v_fma_f64 v[102:103], v[92:93], v[60:61], -v[102:103]
	ds_read2_b64 v[92:95], v104 offset0:6 offset1:7
	s_waitcnt lgkmcnt(1)
	v_mul_f64 v[60:61], v[112:113], v[62:63]
	v_fma_f64 v[60:61], v[110:111], v[102:103], -v[60:61]
	v_mul_f64 v[110:111], v[110:111], v[62:63]
	v_fmac_f64_e32 v[110:111], v[112:113], v[102:103]
	s_waitcnt vmcnt(20)
	v_add_f64 v[86:87], v[86:87], -v[110:111]
	ds_read2_b64 v[110:113], v104 offset0:8 offset1:9
	v_add_f64 v[84:85], v[84:85], -v[60:61]
	s_waitcnt lgkmcnt(1)
	v_mul_f64 v[60:61], v[94:95], v[62:63]
	v_fma_f64 v[60:61], v[92:93], v[102:103], -v[60:61]
	v_mul_f64 v[92:93], v[92:93], v[62:63]
	v_fmac_f64_e32 v[92:93], v[94:95], v[102:103]
	s_waitcnt vmcnt(19)
	v_add_f64 v[80:81], v[80:81], -v[60:61]
	v_add_f64 v[82:83], v[82:83], -v[92:93]
	ds_read2_b64 v[92:95], v104 offset0:10 offset1:11
	s_waitcnt lgkmcnt(1)
	v_mul_f64 v[60:61], v[112:113], v[62:63]
	v_fma_f64 v[60:61], v[110:111], v[102:103], -v[60:61]
	v_mul_f64 v[110:111], v[110:111], v[62:63]
	v_fmac_f64_e32 v[110:111], v[112:113], v[102:103]
	s_waitcnt vmcnt(18)
	v_add_f64 v[78:79], v[78:79], -v[110:111]
	ds_read2_b64 v[110:113], v104 offset0:12 offset1:13
	v_add_f64 v[76:77], v[76:77], -v[60:61]
	s_waitcnt lgkmcnt(1)
	v_mul_f64 v[60:61], v[94:95], v[62:63]
	v_fma_f64 v[60:61], v[92:93], v[102:103], -v[60:61]
	v_mul_f64 v[92:93], v[92:93], v[62:63]
	v_fmac_f64_e32 v[92:93], v[94:95], v[102:103]
	s_waitcnt vmcnt(17)
	v_add_f64 v[72:73], v[72:73], -v[60:61]
	v_add_f64 v[74:75], v[74:75], -v[92:93]
	;; [unrolled: 18-line block ×10, first 2 shown]
	s_waitcnt lgkmcnt(0)
	v_mul_f64 v[60:61], v[112:113], v[62:63]
	v_mul_f64 v[92:93], v[110:111], v[62:63]
	v_fma_f64 v[60:61], v[110:111], v[102:103], -v[60:61]
	v_fmac_f64_e32 v[92:93], v[112:113], v[102:103]
	s_waitcnt vmcnt(0)
	v_add_f64 v[88:89], v[88:89], -v[60:61]
	v_add_f64 v[90:91], v[90:91], -v[92:93]
	v_mov_b64_e32 v[60:61], v[102:103]
.LBB44_41:
	s_or_b64 exec, exec, s[0:1]
	v_lshl_add_u32 v92, v105, 4, v104
	s_barrier
	s_waitcnt vmcnt(20)
	ds_write2_b64 v92, v[84:85], v[86:87] offset1:1
	s_waitcnt lgkmcnt(0)
	s_barrier
	ds_read2_b64 v[92:95], v104 offset0:4 offset1:5
	s_cmp_lt_i32 s20, 4
	v_mov_b32_e32 v102, 2
	s_cbranch_scc1 .LBB44_44
; %bb.42:
	v_add3_u32 v103, v108, 0, 48
	s_mov_b32 s16, 3
	v_mov_b32_e32 v102, 2
.LBB44_43:                              ; =>This Inner Loop Header: Depth=1
	ds_read2_b64 v[110:113], v103 offset1:1
	s_waitcnt lgkmcnt(1)
	v_xor_b32_e32 v109, 0x80000000, v93
	v_xor_b32_e32 v117, 0x80000000, v95
	v_cmp_gt_f64_e32 vcc, 0, v[94:95]
	v_cmp_gt_f64_e64 s[0:1], 0, v[92:93]
	v_mov_b32_e32 v114, v92
	v_mov_b32_e32 v116, v94
	v_cndmask_b32_e64 v115, v93, v109, s[0:1]
	v_cndmask_b32_e32 v117, v95, v117, vcc
	s_waitcnt lgkmcnt(0)
	v_xor_b32_e32 v109, 0x80000000, v111
	v_xor_b32_e32 v119, 0x80000000, v113
	v_cmp_gt_f64_e32 vcc, 0, v[112:113]
	v_cmp_gt_f64_e64 s[0:1], 0, v[110:111]
	v_add_f64 v[114:115], v[114:115], v[116:117]
	v_mov_b32_e32 v116, v110
	v_mov_b32_e32 v118, v112
	v_cndmask_b32_e64 v117, v111, v109, s[0:1]
	v_cndmask_b32_e32 v119, v113, v119, vcc
	v_add_f64 v[116:117], v[116:117], v[118:119]
	v_mov_b32_e32 v120, s16
	s_add_i32 s16, s16, 1
	v_cmp_lt_f64_e32 vcc, v[114:115], v[116:117]
	v_add_u32_e32 v103, 16, v103
	s_cmp_lg_u32 s20, s16
	v_cndmask_b32_e32 v93, v93, v111, vcc
	v_cndmask_b32_e32 v92, v92, v110, vcc
	;; [unrolled: 1-line block ×5, first 2 shown]
	s_cbranch_scc1 .LBB44_43
.LBB44_44:
	s_waitcnt lgkmcnt(0)
	v_cmp_eq_f64_e32 vcc, 0, v[92:93]
	v_cmp_eq_f64_e64 s[0:1], 0, v[94:95]
	s_and_b64 s[0:1], vcc, s[0:1]
	s_and_saveexec_b64 s[16:17], s[0:1]
	s_xor_b64 s[0:1], exec, s[16:17]
; %bb.45:
	v_cmp_ne_u32_e32 vcc, 0, v107
	s_nop 1
	v_cndmask_b32_e32 v107, 3, v107, vcc
; %bb.46:
	s_andn2_saveexec_b64 s[0:1], s[0:1]
	s_cbranch_execz .LBB44_52
; %bb.47:
	v_cmp_ngt_f64_e64 s[16:17], |v[92:93]|, |v[94:95]|
	s_and_saveexec_b64 s[18:19], s[16:17]
	s_xor_b64 s[16:17], exec, s[18:19]
	s_cbranch_execz .LBB44_49
; %bb.48:
	v_div_scale_f64 v[110:111], s[18:19], v[94:95], v[94:95], v[92:93]
	v_rcp_f64_e32 v[112:113], v[110:111]
	v_div_scale_f64 v[114:115], vcc, v[92:93], v[94:95], v[92:93]
	v_fma_f64 v[116:117], -v[110:111], v[112:113], 1.0
	v_fmac_f64_e32 v[112:113], v[112:113], v[116:117]
	v_fma_f64 v[116:117], -v[110:111], v[112:113], 1.0
	v_fmac_f64_e32 v[112:113], v[112:113], v[116:117]
	v_mul_f64 v[116:117], v[114:115], v[112:113]
	v_fma_f64 v[110:111], -v[110:111], v[116:117], v[114:115]
	v_div_fmas_f64 v[110:111], v[110:111], v[112:113], v[116:117]
	v_div_fixup_f64 v[110:111], v[110:111], v[94:95], v[92:93]
	v_fmac_f64_e32 v[94:95], v[92:93], v[110:111]
	v_div_scale_f64 v[92:93], s[18:19], v[94:95], v[94:95], 1.0
	v_rcp_f64_e32 v[112:113], v[92:93]
	s_nop 0
	v_fma_f64 v[114:115], -v[92:93], v[112:113], 1.0
	v_fmac_f64_e32 v[112:113], v[112:113], v[114:115]
	v_fma_f64 v[114:115], -v[92:93], v[112:113], 1.0
	v_fmac_f64_e32 v[112:113], v[112:113], v[114:115]
	v_div_scale_f64 v[114:115], vcc, 1.0, v[94:95], 1.0
	v_mul_f64 v[116:117], v[114:115], v[112:113]
	v_fma_f64 v[92:93], -v[92:93], v[116:117], v[114:115]
	s_nop 1
	v_div_fmas_f64 v[92:93], v[92:93], v[112:113], v[116:117]
	v_div_fixup_f64 v[94:95], v[92:93], v[94:95], 1.0
	v_mul_f64 v[92:93], v[110:111], v[94:95]
	v_xor_b32_e32 v95, 0x80000000, v95
.LBB44_49:
	s_andn2_saveexec_b64 s[16:17], s[16:17]
	s_cbranch_execz .LBB44_51
; %bb.50:
	v_div_scale_f64 v[110:111], s[18:19], v[92:93], v[92:93], v[94:95]
	v_rcp_f64_e32 v[112:113], v[110:111]
	v_div_scale_f64 v[114:115], vcc, v[94:95], v[92:93], v[94:95]
	v_fma_f64 v[116:117], -v[110:111], v[112:113], 1.0
	v_fmac_f64_e32 v[112:113], v[112:113], v[116:117]
	v_fma_f64 v[116:117], -v[110:111], v[112:113], 1.0
	v_fmac_f64_e32 v[112:113], v[112:113], v[116:117]
	v_mul_f64 v[116:117], v[114:115], v[112:113]
	v_fma_f64 v[110:111], -v[110:111], v[116:117], v[114:115]
	v_div_fmas_f64 v[110:111], v[110:111], v[112:113], v[116:117]
	v_div_fixup_f64 v[110:111], v[110:111], v[92:93], v[94:95]
	v_fmac_f64_e32 v[92:93], v[94:95], v[110:111]
	v_div_scale_f64 v[94:95], s[18:19], v[92:93], v[92:93], 1.0
	v_rcp_f64_e32 v[112:113], v[94:95]
	s_nop 0
	v_fma_f64 v[114:115], -v[94:95], v[112:113], 1.0
	v_fmac_f64_e32 v[112:113], v[112:113], v[114:115]
	v_fma_f64 v[114:115], -v[94:95], v[112:113], 1.0
	v_fmac_f64_e32 v[112:113], v[112:113], v[114:115]
	v_div_scale_f64 v[114:115], vcc, 1.0, v[92:93], 1.0
	v_mul_f64 v[116:117], v[114:115], v[112:113]
	v_fma_f64 v[94:95], -v[94:95], v[116:117], v[114:115]
	s_nop 1
	v_div_fmas_f64 v[94:95], v[94:95], v[112:113], v[116:117]
	v_div_fixup_f64 v[92:93], v[94:95], v[92:93], 1.0
	v_mul_f64 v[94:95], v[110:111], -v[92:93]
.LBB44_51:
	s_or_b64 exec, exec, s[16:17]
.LBB44_52:
	s_or_b64 exec, exec, s[0:1]
	v_cmp_ne_u32_e32 vcc, v105, v102
	s_and_saveexec_b64 s[0:1], vcc
	s_xor_b64 s[0:1], exec, s[0:1]
	s_cbranch_execz .LBB44_58
; %bb.53:
	v_cmp_eq_u32_e32 vcc, 2, v105
	s_and_saveexec_b64 s[16:17], vcc
	s_cbranch_execz .LBB44_57
; %bb.54:
	v_cmp_ne_u32_e32 vcc, 2, v102
	s_xor_b64 s[18:19], s[14:15], -1
	s_and_b64 s[22:23], s[18:19], vcc
	s_and_saveexec_b64 s[18:19], s[22:23]
	s_cbranch_execz .LBB44_56
; %bb.55:
	v_ashrrev_i32_e32 v103, 31, v102
	v_lshl_add_u64 v[110:111], v[102:103], 2, v[100:101]
	global_load_dword v103, v[110:111], off
	global_load_dword v105, v[100:101], off offset:8
	s_waitcnt vmcnt(1)
	global_store_dword v[100:101], v103, off offset:8
	s_waitcnt vmcnt(1)
	global_store_dword v[110:111], v105, off
.LBB44_56:
	s_or_b64 exec, exec, s[18:19]
	v_mov_b32_e32 v105, v102
	v_mov_b32_e32 v106, v102
.LBB44_57:
	s_or_b64 exec, exec, s[16:17]
.LBB44_58:
	s_andn2_saveexec_b64 s[0:1], s[0:1]
	s_cbranch_execz .LBB44_60
; %bb.59:
	v_mov_b32_e32 v105, 2
	s_waitcnt vmcnt(19)
	ds_write2_b64 v104, v[80:81], v[82:83] offset0:6 offset1:7
	s_waitcnt vmcnt(18)
	ds_write2_b64 v104, v[76:77], v[78:79] offset0:8 offset1:9
	;; [unrolled: 2-line block ×20, first 2 shown]
.LBB44_60:
	s_or_b64 exec, exec, s[0:1]
	v_cmp_lt_i32_e32 vcc, 2, v105
	s_waitcnt lgkmcnt(0)
	s_barrier
	s_and_saveexec_b64 s[0:1], vcc
	s_cbranch_execz .LBB44_62
; %bb.61:
	ds_read2_b64 v[110:113], v104 offset0:6 offset1:7
	v_mul_f64 v[102:103], v[94:95], v[86:87]
	v_mul_f64 v[86:87], v[92:93], v[86:87]
	v_fma_f64 v[102:103], v[92:93], v[84:85], -v[102:103]
	v_fmac_f64_e32 v[86:87], v[94:95], v[84:85]
	ds_read2_b64 v[92:95], v104 offset0:8 offset1:9
	s_waitcnt lgkmcnt(1)
	v_mul_f64 v[84:85], v[112:113], v[86:87]
	v_fma_f64 v[84:85], v[110:111], v[102:103], -v[84:85]
	v_mul_f64 v[110:111], v[110:111], v[86:87]
	v_fmac_f64_e32 v[110:111], v[112:113], v[102:103]
	s_waitcnt vmcnt(19)
	v_add_f64 v[80:81], v[80:81], -v[84:85]
	s_waitcnt lgkmcnt(0)
	v_mul_f64 v[84:85], v[94:95], v[86:87]
	v_add_f64 v[82:83], v[82:83], -v[110:111]
	v_fma_f64 v[84:85], v[92:93], v[102:103], -v[84:85]
	v_mul_f64 v[92:93], v[92:93], v[86:87]
	ds_read2_b64 v[110:113], v104 offset0:10 offset1:11
	v_fmac_f64_e32 v[92:93], v[94:95], v[102:103]
	s_waitcnt vmcnt(18)
	v_add_f64 v[78:79], v[78:79], -v[92:93]
	ds_read2_b64 v[92:95], v104 offset0:12 offset1:13
	v_add_f64 v[76:77], v[76:77], -v[84:85]
	s_waitcnt lgkmcnt(1)
	v_mul_f64 v[84:85], v[112:113], v[86:87]
	v_fma_f64 v[84:85], v[110:111], v[102:103], -v[84:85]
	v_mul_f64 v[110:111], v[110:111], v[86:87]
	v_fmac_f64_e32 v[110:111], v[112:113], v[102:103]
	s_waitcnt vmcnt(17)
	v_add_f64 v[72:73], v[72:73], -v[84:85]
	s_waitcnt lgkmcnt(0)
	v_mul_f64 v[84:85], v[94:95], v[86:87]
	v_add_f64 v[74:75], v[74:75], -v[110:111]
	v_fma_f64 v[84:85], v[92:93], v[102:103], -v[84:85]
	v_mul_f64 v[92:93], v[92:93], v[86:87]
	ds_read2_b64 v[110:113], v104 offset0:14 offset1:15
	v_fmac_f64_e32 v[92:93], v[94:95], v[102:103]
	s_waitcnt vmcnt(16)
	v_add_f64 v[70:71], v[70:71], -v[92:93]
	ds_read2_b64 v[92:95], v104 offset0:16 offset1:17
	v_add_f64 v[68:69], v[68:69], -v[84:85]
	;; [unrolled: 18-line block ×9, first 2 shown]
	s_waitcnt lgkmcnt(1)
	v_mul_f64 v[84:85], v[112:113], v[86:87]
	v_fma_f64 v[84:85], v[110:111], v[102:103], -v[84:85]
	s_waitcnt vmcnt(1)
	v_add_f64 v[0:1], v[0:1], -v[84:85]
	s_waitcnt lgkmcnt(0)
	v_mul_f64 v[84:85], v[94:95], v[86:87]
	v_mul_f64 v[110:111], v[110:111], v[86:87]
	v_fma_f64 v[84:85], v[92:93], v[102:103], -v[84:85]
	v_mul_f64 v[92:93], v[92:93], v[86:87]
	v_fmac_f64_e32 v[110:111], v[112:113], v[102:103]
	v_fmac_f64_e32 v[92:93], v[94:95], v[102:103]
	v_add_f64 v[2:3], v[2:3], -v[110:111]
	s_waitcnt vmcnt(0)
	v_add_f64 v[88:89], v[88:89], -v[84:85]
	v_add_f64 v[90:91], v[90:91], -v[92:93]
	v_mov_b64_e32 v[84:85], v[102:103]
.LBB44_62:
	s_or_b64 exec, exec, s[0:1]
	v_lshl_add_u32 v92, v105, 4, v104
	s_barrier
	s_waitcnt vmcnt(19)
	ds_write2_b64 v92, v[80:81], v[82:83] offset1:1
	s_waitcnt lgkmcnt(0)
	s_barrier
	ds_read2_b64 v[92:95], v104 offset0:6 offset1:7
	s_mov_b32 s16, 4
	s_cmp_lt_i32 s20, 5
	v_mov_b32_e32 v102, 3
	s_cbranch_scc1 .LBB44_65
; %bb.63:
	v_add3_u32 v103, v108, 0, 64
	v_mov_b32_e32 v102, 3
.LBB44_64:                              ; =>This Inner Loop Header: Depth=1
	ds_read2_b64 v[108:111], v103 offset1:1
	s_waitcnt lgkmcnt(1)
	v_xor_b32_e32 v113, 0x80000000, v93
	v_xor_b32_e32 v115, 0x80000000, v95
	v_cmp_gt_f64_e32 vcc, 0, v[94:95]
	v_cmp_gt_f64_e64 s[0:1], 0, v[92:93]
	v_mov_b32_e32 v112, v92
	v_mov_b32_e32 v114, v94
	v_cndmask_b32_e64 v113, v93, v113, s[0:1]
	v_cndmask_b32_e32 v115, v95, v115, vcc
	v_add_f64 v[112:113], v[112:113], v[114:115]
	s_waitcnt lgkmcnt(0)
	v_xor_b32_e32 v115, 0x80000000, v109
	v_xor_b32_e32 v117, 0x80000000, v111
	v_cmp_gt_f64_e32 vcc, 0, v[110:111]
	v_cmp_gt_f64_e64 s[0:1], 0, v[108:109]
	v_mov_b32_e32 v114, v108
	v_mov_b32_e32 v116, v110
	v_cndmask_b32_e64 v115, v109, v115, s[0:1]
	v_cndmask_b32_e32 v117, v111, v117, vcc
	v_add_f64 v[114:115], v[114:115], v[116:117]
	v_mov_b32_e32 v118, s16
	s_add_i32 s16, s16, 1
	v_cmp_lt_f64_e32 vcc, v[112:113], v[114:115]
	v_add_u32_e32 v103, 16, v103
	s_cmp_lg_u32 s20, s16
	v_cndmask_b32_e32 v93, v93, v109, vcc
	v_cndmask_b32_e32 v92, v92, v108, vcc
	;; [unrolled: 1-line block ×5, first 2 shown]
	s_cbranch_scc1 .LBB44_64
.LBB44_65:
	s_waitcnt lgkmcnt(0)
	v_cmp_eq_f64_e32 vcc, 0, v[92:93]
	v_cmp_eq_f64_e64 s[0:1], 0, v[94:95]
	s_and_b64 s[0:1], vcc, s[0:1]
	s_and_saveexec_b64 s[16:17], s[0:1]
	s_xor_b64 s[0:1], exec, s[16:17]
; %bb.66:
	v_cmp_ne_u32_e32 vcc, 0, v107
	s_nop 1
	v_cndmask_b32_e32 v107, 4, v107, vcc
; %bb.67:
	s_andn2_saveexec_b64 s[0:1], s[0:1]
	s_cbranch_execz .LBB44_73
; %bb.68:
	v_cmp_ngt_f64_e64 s[16:17], |v[92:93]|, |v[94:95]|
	s_and_saveexec_b64 s[18:19], s[16:17]
	s_xor_b64 s[16:17], exec, s[18:19]
	s_cbranch_execz .LBB44_70
; %bb.69:
	v_div_scale_f64 v[108:109], s[18:19], v[94:95], v[94:95], v[92:93]
	v_rcp_f64_e32 v[110:111], v[108:109]
	v_div_scale_f64 v[112:113], vcc, v[92:93], v[94:95], v[92:93]
	v_fma_f64 v[114:115], -v[108:109], v[110:111], 1.0
	v_fmac_f64_e32 v[110:111], v[110:111], v[114:115]
	v_fma_f64 v[114:115], -v[108:109], v[110:111], 1.0
	v_fmac_f64_e32 v[110:111], v[110:111], v[114:115]
	v_mul_f64 v[114:115], v[112:113], v[110:111]
	v_fma_f64 v[108:109], -v[108:109], v[114:115], v[112:113]
	v_div_fmas_f64 v[108:109], v[108:109], v[110:111], v[114:115]
	v_div_fixup_f64 v[108:109], v[108:109], v[94:95], v[92:93]
	v_fmac_f64_e32 v[94:95], v[92:93], v[108:109]
	v_div_scale_f64 v[92:93], s[18:19], v[94:95], v[94:95], 1.0
	v_rcp_f64_e32 v[110:111], v[92:93]
	s_nop 0
	v_fma_f64 v[112:113], -v[92:93], v[110:111], 1.0
	v_fmac_f64_e32 v[110:111], v[110:111], v[112:113]
	v_fma_f64 v[112:113], -v[92:93], v[110:111], 1.0
	v_fmac_f64_e32 v[110:111], v[110:111], v[112:113]
	v_div_scale_f64 v[112:113], vcc, 1.0, v[94:95], 1.0
	v_mul_f64 v[114:115], v[112:113], v[110:111]
	v_fma_f64 v[92:93], -v[92:93], v[114:115], v[112:113]
	s_nop 1
	v_div_fmas_f64 v[92:93], v[92:93], v[110:111], v[114:115]
	v_div_fixup_f64 v[94:95], v[92:93], v[94:95], 1.0
	v_mul_f64 v[92:93], v[108:109], v[94:95]
	v_xor_b32_e32 v95, 0x80000000, v95
.LBB44_70:
	s_andn2_saveexec_b64 s[16:17], s[16:17]
	s_cbranch_execz .LBB44_72
; %bb.71:
	v_div_scale_f64 v[108:109], s[18:19], v[92:93], v[92:93], v[94:95]
	v_rcp_f64_e32 v[110:111], v[108:109]
	v_div_scale_f64 v[112:113], vcc, v[94:95], v[92:93], v[94:95]
	v_fma_f64 v[114:115], -v[108:109], v[110:111], 1.0
	v_fmac_f64_e32 v[110:111], v[110:111], v[114:115]
	v_fma_f64 v[114:115], -v[108:109], v[110:111], 1.0
	v_fmac_f64_e32 v[110:111], v[110:111], v[114:115]
	v_mul_f64 v[114:115], v[112:113], v[110:111]
	v_fma_f64 v[108:109], -v[108:109], v[114:115], v[112:113]
	v_div_fmas_f64 v[108:109], v[108:109], v[110:111], v[114:115]
	v_div_fixup_f64 v[108:109], v[108:109], v[92:93], v[94:95]
	v_fmac_f64_e32 v[92:93], v[94:95], v[108:109]
	v_div_scale_f64 v[94:95], s[18:19], v[92:93], v[92:93], 1.0
	v_rcp_f64_e32 v[110:111], v[94:95]
	s_nop 0
	v_fma_f64 v[112:113], -v[94:95], v[110:111], 1.0
	v_fmac_f64_e32 v[110:111], v[110:111], v[112:113]
	v_fma_f64 v[112:113], -v[94:95], v[110:111], 1.0
	v_fmac_f64_e32 v[110:111], v[110:111], v[112:113]
	v_div_scale_f64 v[112:113], vcc, 1.0, v[92:93], 1.0
	v_mul_f64 v[114:115], v[112:113], v[110:111]
	v_fma_f64 v[94:95], -v[94:95], v[114:115], v[112:113]
	s_nop 1
	v_div_fmas_f64 v[94:95], v[94:95], v[110:111], v[114:115]
	v_div_fixup_f64 v[92:93], v[94:95], v[92:93], 1.0
	v_mul_f64 v[94:95], v[108:109], -v[92:93]
.LBB44_72:
	s_or_b64 exec, exec, s[16:17]
.LBB44_73:
	s_or_b64 exec, exec, s[0:1]
	v_cmp_ne_u32_e32 vcc, v105, v102
	s_and_saveexec_b64 s[0:1], vcc
	s_xor_b64 s[0:1], exec, s[0:1]
	s_cbranch_execz .LBB44_79
; %bb.74:
	v_cmp_eq_u32_e32 vcc, 3, v105
	s_and_saveexec_b64 s[16:17], vcc
	s_cbranch_execz .LBB44_78
; %bb.75:
	v_cmp_ne_u32_e32 vcc, 3, v102
	s_xor_b64 s[18:19], s[14:15], -1
	s_and_b64 s[22:23], s[18:19], vcc
	s_and_saveexec_b64 s[18:19], s[22:23]
	s_cbranch_execz .LBB44_77
; %bb.76:
	v_ashrrev_i32_e32 v103, 31, v102
	v_lshl_add_u64 v[108:109], v[102:103], 2, v[100:101]
	global_load_dword v103, v[108:109], off
	global_load_dword v105, v[100:101], off offset:12
	s_waitcnt vmcnt(1)
	global_store_dword v[100:101], v103, off offset:12
	s_waitcnt vmcnt(1)
	global_store_dword v[108:109], v105, off
.LBB44_77:
	s_or_b64 exec, exec, s[18:19]
	v_mov_b32_e32 v105, v102
	v_mov_b32_e32 v106, v102
.LBB44_78:
	s_or_b64 exec, exec, s[16:17]
.LBB44_79:
	s_andn2_saveexec_b64 s[0:1], s[0:1]
	s_cbranch_execz .LBB44_81
; %bb.80:
	v_mov_b32_e32 v105, 3
	s_waitcnt vmcnt(18)
	ds_write2_b64 v104, v[76:77], v[78:79] offset0:8 offset1:9
	s_waitcnt vmcnt(17)
	ds_write2_b64 v104, v[72:73], v[74:75] offset0:10 offset1:11
	s_waitcnt vmcnt(16)
	ds_write2_b64 v104, v[68:69], v[70:71] offset0:12 offset1:13
	s_waitcnt vmcnt(15)
	ds_write2_b64 v104, v[56:57], v[58:59] offset0:14 offset1:15
	s_waitcnt vmcnt(14)
	ds_write2_b64 v104, v[52:53], v[54:55] offset0:16 offset1:17
	s_waitcnt vmcnt(13)
	ds_write2_b64 v104, v[48:49], v[50:51] offset0:18 offset1:19
	s_waitcnt vmcnt(12)
	ds_write2_b64 v104, v[44:45], v[46:47] offset0:20 offset1:21
	s_waitcnt vmcnt(11)
	ds_write2_b64 v104, v[40:41], v[42:43] offset0:22 offset1:23
	s_waitcnt vmcnt(10)
	ds_write2_b64 v104, v[36:37], v[38:39] offset0:24 offset1:25
	s_waitcnt vmcnt(9)
	ds_write2_b64 v104, v[32:33], v[34:35] offset0:26 offset1:27
	s_waitcnt vmcnt(8)
	ds_write2_b64 v104, v[28:29], v[30:31] offset0:28 offset1:29
	s_waitcnt vmcnt(7)
	ds_write2_b64 v104, v[24:25], v[26:27] offset0:30 offset1:31
	s_waitcnt vmcnt(6)
	ds_write2_b64 v104, v[16:17], v[18:19] offset0:32 offset1:33
	s_waitcnt vmcnt(5)
	ds_write2_b64 v104, v[20:21], v[22:23] offset0:34 offset1:35
	s_waitcnt vmcnt(4)
	ds_write2_b64 v104, v[12:13], v[14:15] offset0:36 offset1:37
	s_waitcnt vmcnt(3)
	ds_write2_b64 v104, v[8:9], v[10:11] offset0:38 offset1:39
	s_waitcnt vmcnt(2)
	ds_write2_b64 v104, v[4:5], v[6:7] offset0:40 offset1:41
	s_waitcnt vmcnt(1)
	ds_write2_b64 v104, v[0:1], v[2:3] offset0:42 offset1:43
	s_waitcnt vmcnt(0)
	ds_write2_b64 v104, v[88:89], v[90:91] offset0:44 offset1:45
.LBB44_81:
	s_or_b64 exec, exec, s[0:1]
	v_cmp_lt_i32_e32 vcc, 3, v105
	s_waitcnt lgkmcnt(0)
	s_barrier
	s_and_saveexec_b64 s[0:1], vcc
	s_cbranch_execz .LBB44_83
; %bb.82:
	ds_read2_b64 v[108:111], v104 offset0:8 offset1:9
	v_mul_f64 v[102:103], v[94:95], v[82:83]
	v_mul_f64 v[82:83], v[92:93], v[82:83]
	v_fmac_f64_e32 v[82:83], v[94:95], v[80:81]
	v_fma_f64 v[102:103], v[92:93], v[80:81], -v[102:103]
	ds_read2_b64 v[92:95], v104 offset0:10 offset1:11
	s_waitcnt lgkmcnt(1)
	v_mul_f64 v[80:81], v[110:111], v[82:83]
	v_fma_f64 v[80:81], v[108:109], v[102:103], -v[80:81]
	v_mul_f64 v[108:109], v[108:109], v[82:83]
	v_fmac_f64_e32 v[108:109], v[110:111], v[102:103]
	s_waitcnt vmcnt(18)
	v_add_f64 v[78:79], v[78:79], -v[108:109]
	ds_read2_b64 v[108:111], v104 offset0:12 offset1:13
	v_add_f64 v[76:77], v[76:77], -v[80:81]
	s_waitcnt lgkmcnt(1)
	v_mul_f64 v[80:81], v[94:95], v[82:83]
	v_fma_f64 v[80:81], v[92:93], v[102:103], -v[80:81]
	v_mul_f64 v[92:93], v[92:93], v[82:83]
	v_fmac_f64_e32 v[92:93], v[94:95], v[102:103]
	s_waitcnt vmcnt(17)
	v_add_f64 v[72:73], v[72:73], -v[80:81]
	v_add_f64 v[74:75], v[74:75], -v[92:93]
	ds_read2_b64 v[92:95], v104 offset0:14 offset1:15
	s_waitcnt lgkmcnt(1)
	v_mul_f64 v[80:81], v[110:111], v[82:83]
	v_fma_f64 v[80:81], v[108:109], v[102:103], -v[80:81]
	v_mul_f64 v[108:109], v[108:109], v[82:83]
	v_fmac_f64_e32 v[108:109], v[110:111], v[102:103]
	s_waitcnt vmcnt(16)
	v_add_f64 v[70:71], v[70:71], -v[108:109]
	ds_read2_b64 v[108:111], v104 offset0:16 offset1:17
	v_add_f64 v[68:69], v[68:69], -v[80:81]
	s_waitcnt lgkmcnt(1)
	v_mul_f64 v[80:81], v[94:95], v[82:83]
	v_fma_f64 v[80:81], v[92:93], v[102:103], -v[80:81]
	v_mul_f64 v[92:93], v[92:93], v[82:83]
	v_fmac_f64_e32 v[92:93], v[94:95], v[102:103]
	s_waitcnt vmcnt(15)
	v_add_f64 v[56:57], v[56:57], -v[80:81]
	v_add_f64 v[58:59], v[58:59], -v[92:93]
	;; [unrolled: 18-line block ×9, first 2 shown]
	s_waitcnt lgkmcnt(0)
	v_mul_f64 v[80:81], v[110:111], v[82:83]
	v_mul_f64 v[92:93], v[108:109], v[82:83]
	v_fma_f64 v[80:81], v[108:109], v[102:103], -v[80:81]
	v_fmac_f64_e32 v[92:93], v[110:111], v[102:103]
	s_waitcnt vmcnt(0)
	v_add_f64 v[88:89], v[88:89], -v[80:81]
	v_add_f64 v[90:91], v[90:91], -v[92:93]
	v_mov_b64_e32 v[80:81], v[102:103]
.LBB44_83:
	s_or_b64 exec, exec, s[0:1]
	v_lshl_add_u32 v92, v105, 4, v104
	s_barrier
	s_waitcnt vmcnt(18)
	ds_write2_b64 v92, v[76:77], v[78:79] offset1:1
	s_waitcnt lgkmcnt(0)
	s_barrier
	ds_read2_b64 v[92:95], v104 offset0:8 offset1:9
	s_cmp_lt_i32 s20, 6
	v_mov_b32_e32 v102, 4
	s_cbranch_scc1 .LBB44_86
; %bb.84:
	v_mov_b32_e32 v102, 4
	v_add_u32_e32 v103, 0x50, v104
	s_mov_b32 s16, 5
.LBB44_85:                              ; =>This Inner Loop Header: Depth=1
	ds_read2_b64 v[108:111], v103 offset1:1
	s_waitcnt lgkmcnt(1)
	v_xor_b32_e32 v113, 0x80000000, v93
	v_xor_b32_e32 v115, 0x80000000, v95
	v_cmp_gt_f64_e32 vcc, 0, v[94:95]
	v_cmp_gt_f64_e64 s[0:1], 0, v[92:93]
	v_mov_b32_e32 v112, v92
	v_mov_b32_e32 v114, v94
	v_cndmask_b32_e64 v113, v93, v113, s[0:1]
	v_cndmask_b32_e32 v115, v95, v115, vcc
	v_add_f64 v[112:113], v[112:113], v[114:115]
	s_waitcnt lgkmcnt(0)
	v_xor_b32_e32 v115, 0x80000000, v109
	v_xor_b32_e32 v117, 0x80000000, v111
	v_cmp_gt_f64_e32 vcc, 0, v[110:111]
	v_cmp_gt_f64_e64 s[0:1], 0, v[108:109]
	v_mov_b32_e32 v114, v108
	v_mov_b32_e32 v116, v110
	v_cndmask_b32_e64 v115, v109, v115, s[0:1]
	v_cndmask_b32_e32 v117, v111, v117, vcc
	v_add_f64 v[114:115], v[114:115], v[116:117]
	v_mov_b32_e32 v118, s16
	s_add_i32 s16, s16, 1
	v_cmp_lt_f64_e32 vcc, v[112:113], v[114:115]
	v_add_u32_e32 v103, 16, v103
	s_cmp_lg_u32 s20, s16
	v_cndmask_b32_e32 v93, v93, v109, vcc
	v_cndmask_b32_e32 v92, v92, v108, vcc
	;; [unrolled: 1-line block ×5, first 2 shown]
	s_cbranch_scc1 .LBB44_85
.LBB44_86:
	s_waitcnt lgkmcnt(0)
	v_cmp_eq_f64_e32 vcc, 0, v[92:93]
	v_cmp_eq_f64_e64 s[0:1], 0, v[94:95]
	s_and_b64 s[0:1], vcc, s[0:1]
	s_and_saveexec_b64 s[16:17], s[0:1]
	s_xor_b64 s[0:1], exec, s[16:17]
; %bb.87:
	v_cmp_ne_u32_e32 vcc, 0, v107
	s_nop 1
	v_cndmask_b32_e32 v107, 5, v107, vcc
; %bb.88:
	s_andn2_saveexec_b64 s[0:1], s[0:1]
	s_cbranch_execz .LBB44_94
; %bb.89:
	v_cmp_ngt_f64_e64 s[16:17], |v[92:93]|, |v[94:95]|
	s_and_saveexec_b64 s[18:19], s[16:17]
	s_xor_b64 s[16:17], exec, s[18:19]
	s_cbranch_execz .LBB44_91
; %bb.90:
	v_div_scale_f64 v[108:109], s[18:19], v[94:95], v[94:95], v[92:93]
	v_rcp_f64_e32 v[110:111], v[108:109]
	v_div_scale_f64 v[112:113], vcc, v[92:93], v[94:95], v[92:93]
	v_fma_f64 v[114:115], -v[108:109], v[110:111], 1.0
	v_fmac_f64_e32 v[110:111], v[110:111], v[114:115]
	v_fma_f64 v[114:115], -v[108:109], v[110:111], 1.0
	v_fmac_f64_e32 v[110:111], v[110:111], v[114:115]
	v_mul_f64 v[114:115], v[112:113], v[110:111]
	v_fma_f64 v[108:109], -v[108:109], v[114:115], v[112:113]
	v_div_fmas_f64 v[108:109], v[108:109], v[110:111], v[114:115]
	v_div_fixup_f64 v[108:109], v[108:109], v[94:95], v[92:93]
	v_fmac_f64_e32 v[94:95], v[92:93], v[108:109]
	v_div_scale_f64 v[92:93], s[18:19], v[94:95], v[94:95], 1.0
	v_rcp_f64_e32 v[110:111], v[92:93]
	s_nop 0
	v_fma_f64 v[112:113], -v[92:93], v[110:111], 1.0
	v_fmac_f64_e32 v[110:111], v[110:111], v[112:113]
	v_fma_f64 v[112:113], -v[92:93], v[110:111], 1.0
	v_fmac_f64_e32 v[110:111], v[110:111], v[112:113]
	v_div_scale_f64 v[112:113], vcc, 1.0, v[94:95], 1.0
	v_mul_f64 v[114:115], v[112:113], v[110:111]
	v_fma_f64 v[92:93], -v[92:93], v[114:115], v[112:113]
	s_nop 1
	v_div_fmas_f64 v[92:93], v[92:93], v[110:111], v[114:115]
	v_div_fixup_f64 v[94:95], v[92:93], v[94:95], 1.0
	v_mul_f64 v[92:93], v[108:109], v[94:95]
	v_xor_b32_e32 v95, 0x80000000, v95
.LBB44_91:
	s_andn2_saveexec_b64 s[16:17], s[16:17]
	s_cbranch_execz .LBB44_93
; %bb.92:
	v_div_scale_f64 v[108:109], s[18:19], v[92:93], v[92:93], v[94:95]
	v_rcp_f64_e32 v[110:111], v[108:109]
	v_div_scale_f64 v[112:113], vcc, v[94:95], v[92:93], v[94:95]
	v_fma_f64 v[114:115], -v[108:109], v[110:111], 1.0
	v_fmac_f64_e32 v[110:111], v[110:111], v[114:115]
	v_fma_f64 v[114:115], -v[108:109], v[110:111], 1.0
	v_fmac_f64_e32 v[110:111], v[110:111], v[114:115]
	v_mul_f64 v[114:115], v[112:113], v[110:111]
	v_fma_f64 v[108:109], -v[108:109], v[114:115], v[112:113]
	v_div_fmas_f64 v[108:109], v[108:109], v[110:111], v[114:115]
	v_div_fixup_f64 v[108:109], v[108:109], v[92:93], v[94:95]
	v_fmac_f64_e32 v[92:93], v[94:95], v[108:109]
	v_div_scale_f64 v[94:95], s[18:19], v[92:93], v[92:93], 1.0
	v_rcp_f64_e32 v[110:111], v[94:95]
	s_nop 0
	v_fma_f64 v[112:113], -v[94:95], v[110:111], 1.0
	v_fmac_f64_e32 v[110:111], v[110:111], v[112:113]
	v_fma_f64 v[112:113], -v[94:95], v[110:111], 1.0
	v_fmac_f64_e32 v[110:111], v[110:111], v[112:113]
	v_div_scale_f64 v[112:113], vcc, 1.0, v[92:93], 1.0
	v_mul_f64 v[114:115], v[112:113], v[110:111]
	v_fma_f64 v[94:95], -v[94:95], v[114:115], v[112:113]
	s_nop 1
	v_div_fmas_f64 v[94:95], v[94:95], v[110:111], v[114:115]
	v_div_fixup_f64 v[92:93], v[94:95], v[92:93], 1.0
	v_mul_f64 v[94:95], v[108:109], -v[92:93]
.LBB44_93:
	s_or_b64 exec, exec, s[16:17]
.LBB44_94:
	s_or_b64 exec, exec, s[0:1]
	v_cmp_ne_u32_e32 vcc, v105, v102
	s_and_saveexec_b64 s[0:1], vcc
	s_xor_b64 s[0:1], exec, s[0:1]
	s_cbranch_execz .LBB44_100
; %bb.95:
	v_cmp_eq_u32_e32 vcc, 4, v105
	s_and_saveexec_b64 s[16:17], vcc
	s_cbranch_execz .LBB44_99
; %bb.96:
	v_cmp_ne_u32_e32 vcc, 4, v102
	s_xor_b64 s[18:19], s[14:15], -1
	s_and_b64 s[22:23], s[18:19], vcc
	s_and_saveexec_b64 s[18:19], s[22:23]
	s_cbranch_execz .LBB44_98
; %bb.97:
	v_ashrrev_i32_e32 v103, 31, v102
	v_lshl_add_u64 v[108:109], v[102:103], 2, v[100:101]
	global_load_dword v103, v[108:109], off
	global_load_dword v105, v[100:101], off offset:16
	s_waitcnt vmcnt(1)
	global_store_dword v[100:101], v103, off offset:16
	s_waitcnt vmcnt(1)
	global_store_dword v[108:109], v105, off
.LBB44_98:
	s_or_b64 exec, exec, s[18:19]
	v_mov_b32_e32 v105, v102
	v_mov_b32_e32 v106, v102
.LBB44_99:
	s_or_b64 exec, exec, s[16:17]
.LBB44_100:
	s_andn2_saveexec_b64 s[0:1], s[0:1]
	s_cbranch_execz .LBB44_102
; %bb.101:
	v_mov_b32_e32 v105, 4
	s_waitcnt vmcnt(17)
	ds_write2_b64 v104, v[72:73], v[74:75] offset0:10 offset1:11
	s_waitcnt vmcnt(16)
	ds_write2_b64 v104, v[68:69], v[70:71] offset0:12 offset1:13
	s_waitcnt vmcnt(15)
	ds_write2_b64 v104, v[56:57], v[58:59] offset0:14 offset1:15
	s_waitcnt vmcnt(14)
	ds_write2_b64 v104, v[52:53], v[54:55] offset0:16 offset1:17
	s_waitcnt vmcnt(13)
	ds_write2_b64 v104, v[48:49], v[50:51] offset0:18 offset1:19
	s_waitcnt vmcnt(12)
	ds_write2_b64 v104, v[44:45], v[46:47] offset0:20 offset1:21
	s_waitcnt vmcnt(11)
	ds_write2_b64 v104, v[40:41], v[42:43] offset0:22 offset1:23
	s_waitcnt vmcnt(10)
	ds_write2_b64 v104, v[36:37], v[38:39] offset0:24 offset1:25
	s_waitcnt vmcnt(9)
	ds_write2_b64 v104, v[32:33], v[34:35] offset0:26 offset1:27
	s_waitcnt vmcnt(8)
	ds_write2_b64 v104, v[28:29], v[30:31] offset0:28 offset1:29
	s_waitcnt vmcnt(7)
	ds_write2_b64 v104, v[24:25], v[26:27] offset0:30 offset1:31
	s_waitcnt vmcnt(6)
	ds_write2_b64 v104, v[16:17], v[18:19] offset0:32 offset1:33
	s_waitcnt vmcnt(5)
	ds_write2_b64 v104, v[20:21], v[22:23] offset0:34 offset1:35
	s_waitcnt vmcnt(4)
	ds_write2_b64 v104, v[12:13], v[14:15] offset0:36 offset1:37
	s_waitcnt vmcnt(3)
	ds_write2_b64 v104, v[8:9], v[10:11] offset0:38 offset1:39
	s_waitcnt vmcnt(2)
	ds_write2_b64 v104, v[4:5], v[6:7] offset0:40 offset1:41
	s_waitcnt vmcnt(1)
	ds_write2_b64 v104, v[0:1], v[2:3] offset0:42 offset1:43
	s_waitcnt vmcnt(0)
	ds_write2_b64 v104, v[88:89], v[90:91] offset0:44 offset1:45
.LBB44_102:
	s_or_b64 exec, exec, s[0:1]
	v_cmp_lt_i32_e32 vcc, 4, v105
	s_waitcnt lgkmcnt(0)
	s_barrier
	s_and_saveexec_b64 s[0:1], vcc
	s_cbranch_execz .LBB44_104
; %bb.103:
	ds_read2_b64 v[108:111], v104 offset0:10 offset1:11
	v_mul_f64 v[102:103], v[94:95], v[78:79]
	v_mul_f64 v[78:79], v[92:93], v[78:79]
	v_fma_f64 v[102:103], v[92:93], v[76:77], -v[102:103]
	v_fmac_f64_e32 v[78:79], v[94:95], v[76:77]
	ds_read2_b64 v[92:95], v104 offset0:12 offset1:13
	s_waitcnt lgkmcnt(1)
	v_mul_f64 v[76:77], v[110:111], v[78:79]
	v_fma_f64 v[76:77], v[108:109], v[102:103], -v[76:77]
	v_mul_f64 v[108:109], v[108:109], v[78:79]
	v_fmac_f64_e32 v[108:109], v[110:111], v[102:103]
	s_waitcnt vmcnt(17)
	v_add_f64 v[72:73], v[72:73], -v[76:77]
	s_waitcnt lgkmcnt(0)
	v_mul_f64 v[76:77], v[94:95], v[78:79]
	v_add_f64 v[74:75], v[74:75], -v[108:109]
	v_fma_f64 v[76:77], v[92:93], v[102:103], -v[76:77]
	v_mul_f64 v[92:93], v[92:93], v[78:79]
	ds_read2_b64 v[108:111], v104 offset0:14 offset1:15
	v_fmac_f64_e32 v[92:93], v[94:95], v[102:103]
	s_waitcnt vmcnt(16)
	v_add_f64 v[70:71], v[70:71], -v[92:93]
	ds_read2_b64 v[92:95], v104 offset0:16 offset1:17
	v_add_f64 v[68:69], v[68:69], -v[76:77]
	s_waitcnt lgkmcnt(1)
	v_mul_f64 v[76:77], v[110:111], v[78:79]
	v_fma_f64 v[76:77], v[108:109], v[102:103], -v[76:77]
	v_mul_f64 v[108:109], v[108:109], v[78:79]
	v_fmac_f64_e32 v[108:109], v[110:111], v[102:103]
	s_waitcnt vmcnt(15)
	v_add_f64 v[56:57], v[56:57], -v[76:77]
	s_waitcnt lgkmcnt(0)
	v_mul_f64 v[76:77], v[94:95], v[78:79]
	v_add_f64 v[58:59], v[58:59], -v[108:109]
	v_fma_f64 v[76:77], v[92:93], v[102:103], -v[76:77]
	v_mul_f64 v[92:93], v[92:93], v[78:79]
	ds_read2_b64 v[108:111], v104 offset0:18 offset1:19
	v_fmac_f64_e32 v[92:93], v[94:95], v[102:103]
	s_waitcnt vmcnt(14)
	v_add_f64 v[54:55], v[54:55], -v[92:93]
	ds_read2_b64 v[92:95], v104 offset0:20 offset1:21
	v_add_f64 v[52:53], v[52:53], -v[76:77]
	;; [unrolled: 18-line block ×8, first 2 shown]
	s_waitcnt lgkmcnt(1)
	v_mul_f64 v[76:77], v[110:111], v[78:79]
	v_fma_f64 v[76:77], v[108:109], v[102:103], -v[76:77]
	s_waitcnt vmcnt(1)
	v_add_f64 v[0:1], v[0:1], -v[76:77]
	s_waitcnt lgkmcnt(0)
	v_mul_f64 v[76:77], v[94:95], v[78:79]
	v_mul_f64 v[108:109], v[108:109], v[78:79]
	v_fma_f64 v[76:77], v[92:93], v[102:103], -v[76:77]
	v_mul_f64 v[92:93], v[92:93], v[78:79]
	v_fmac_f64_e32 v[108:109], v[110:111], v[102:103]
	v_fmac_f64_e32 v[92:93], v[94:95], v[102:103]
	v_add_f64 v[2:3], v[2:3], -v[108:109]
	s_waitcnt vmcnt(0)
	v_add_f64 v[88:89], v[88:89], -v[76:77]
	v_add_f64 v[90:91], v[90:91], -v[92:93]
	v_mov_b64_e32 v[76:77], v[102:103]
.LBB44_104:
	s_or_b64 exec, exec, s[0:1]
	v_lshl_add_u32 v92, v105, 4, v104
	s_barrier
	s_waitcnt vmcnt(17)
	ds_write2_b64 v92, v[72:73], v[74:75] offset1:1
	s_waitcnt lgkmcnt(0)
	s_barrier
	ds_read2_b64 v[92:95], v104 offset0:10 offset1:11
	s_cmp_lt_i32 s20, 7
	v_mov_b32_e32 v102, 5
	s_cbranch_scc1 .LBB44_107
; %bb.105:
	v_add_u32_e32 v103, 0x60, v104
	s_mov_b32 s16, 6
	v_mov_b32_e32 v102, 5
.LBB44_106:                             ; =>This Inner Loop Header: Depth=1
	ds_read2_b64 v[108:111], v103 offset1:1
	s_waitcnt lgkmcnt(1)
	v_xor_b32_e32 v113, 0x80000000, v93
	v_xor_b32_e32 v115, 0x80000000, v95
	v_cmp_gt_f64_e32 vcc, 0, v[94:95]
	v_cmp_gt_f64_e64 s[0:1], 0, v[92:93]
	v_mov_b32_e32 v112, v92
	v_mov_b32_e32 v114, v94
	v_cndmask_b32_e64 v113, v93, v113, s[0:1]
	v_cndmask_b32_e32 v115, v95, v115, vcc
	v_add_f64 v[112:113], v[112:113], v[114:115]
	s_waitcnt lgkmcnt(0)
	v_xor_b32_e32 v115, 0x80000000, v109
	v_xor_b32_e32 v117, 0x80000000, v111
	v_cmp_gt_f64_e32 vcc, 0, v[110:111]
	v_cmp_gt_f64_e64 s[0:1], 0, v[108:109]
	v_mov_b32_e32 v114, v108
	v_mov_b32_e32 v116, v110
	v_cndmask_b32_e64 v115, v109, v115, s[0:1]
	v_cndmask_b32_e32 v117, v111, v117, vcc
	v_add_f64 v[114:115], v[114:115], v[116:117]
	v_mov_b32_e32 v118, s16
	s_add_i32 s16, s16, 1
	v_cmp_lt_f64_e32 vcc, v[112:113], v[114:115]
	v_add_u32_e32 v103, 16, v103
	s_cmp_lg_u32 s20, s16
	v_cndmask_b32_e32 v93, v93, v109, vcc
	v_cndmask_b32_e32 v92, v92, v108, vcc
	;; [unrolled: 1-line block ×5, first 2 shown]
	s_cbranch_scc1 .LBB44_106
.LBB44_107:
	s_waitcnt lgkmcnt(0)
	v_cmp_eq_f64_e32 vcc, 0, v[92:93]
	v_cmp_eq_f64_e64 s[0:1], 0, v[94:95]
	s_and_b64 s[0:1], vcc, s[0:1]
	s_and_saveexec_b64 s[16:17], s[0:1]
	s_xor_b64 s[0:1], exec, s[16:17]
; %bb.108:
	v_cmp_ne_u32_e32 vcc, 0, v107
	s_nop 1
	v_cndmask_b32_e32 v107, 6, v107, vcc
; %bb.109:
	s_andn2_saveexec_b64 s[0:1], s[0:1]
	s_cbranch_execz .LBB44_115
; %bb.110:
	v_cmp_ngt_f64_e64 s[16:17], |v[92:93]|, |v[94:95]|
	s_and_saveexec_b64 s[18:19], s[16:17]
	s_xor_b64 s[16:17], exec, s[18:19]
	s_cbranch_execz .LBB44_112
; %bb.111:
	v_div_scale_f64 v[108:109], s[18:19], v[94:95], v[94:95], v[92:93]
	v_rcp_f64_e32 v[110:111], v[108:109]
	v_div_scale_f64 v[112:113], vcc, v[92:93], v[94:95], v[92:93]
	v_fma_f64 v[114:115], -v[108:109], v[110:111], 1.0
	v_fmac_f64_e32 v[110:111], v[110:111], v[114:115]
	v_fma_f64 v[114:115], -v[108:109], v[110:111], 1.0
	v_fmac_f64_e32 v[110:111], v[110:111], v[114:115]
	v_mul_f64 v[114:115], v[112:113], v[110:111]
	v_fma_f64 v[108:109], -v[108:109], v[114:115], v[112:113]
	v_div_fmas_f64 v[108:109], v[108:109], v[110:111], v[114:115]
	v_div_fixup_f64 v[108:109], v[108:109], v[94:95], v[92:93]
	v_fmac_f64_e32 v[94:95], v[92:93], v[108:109]
	v_div_scale_f64 v[92:93], s[18:19], v[94:95], v[94:95], 1.0
	v_rcp_f64_e32 v[110:111], v[92:93]
	s_nop 0
	v_fma_f64 v[112:113], -v[92:93], v[110:111], 1.0
	v_fmac_f64_e32 v[110:111], v[110:111], v[112:113]
	v_fma_f64 v[112:113], -v[92:93], v[110:111], 1.0
	v_fmac_f64_e32 v[110:111], v[110:111], v[112:113]
	v_div_scale_f64 v[112:113], vcc, 1.0, v[94:95], 1.0
	v_mul_f64 v[114:115], v[112:113], v[110:111]
	v_fma_f64 v[92:93], -v[92:93], v[114:115], v[112:113]
	s_nop 1
	v_div_fmas_f64 v[92:93], v[92:93], v[110:111], v[114:115]
	v_div_fixup_f64 v[94:95], v[92:93], v[94:95], 1.0
	v_mul_f64 v[92:93], v[108:109], v[94:95]
	v_xor_b32_e32 v95, 0x80000000, v95
.LBB44_112:
	s_andn2_saveexec_b64 s[16:17], s[16:17]
	s_cbranch_execz .LBB44_114
; %bb.113:
	v_div_scale_f64 v[108:109], s[18:19], v[92:93], v[92:93], v[94:95]
	v_rcp_f64_e32 v[110:111], v[108:109]
	v_div_scale_f64 v[112:113], vcc, v[94:95], v[92:93], v[94:95]
	v_fma_f64 v[114:115], -v[108:109], v[110:111], 1.0
	v_fmac_f64_e32 v[110:111], v[110:111], v[114:115]
	v_fma_f64 v[114:115], -v[108:109], v[110:111], 1.0
	v_fmac_f64_e32 v[110:111], v[110:111], v[114:115]
	v_mul_f64 v[114:115], v[112:113], v[110:111]
	v_fma_f64 v[108:109], -v[108:109], v[114:115], v[112:113]
	v_div_fmas_f64 v[108:109], v[108:109], v[110:111], v[114:115]
	v_div_fixup_f64 v[108:109], v[108:109], v[92:93], v[94:95]
	v_fmac_f64_e32 v[92:93], v[94:95], v[108:109]
	v_div_scale_f64 v[94:95], s[18:19], v[92:93], v[92:93], 1.0
	v_rcp_f64_e32 v[110:111], v[94:95]
	s_nop 0
	v_fma_f64 v[112:113], -v[94:95], v[110:111], 1.0
	v_fmac_f64_e32 v[110:111], v[110:111], v[112:113]
	v_fma_f64 v[112:113], -v[94:95], v[110:111], 1.0
	v_fmac_f64_e32 v[110:111], v[110:111], v[112:113]
	v_div_scale_f64 v[112:113], vcc, 1.0, v[92:93], 1.0
	v_mul_f64 v[114:115], v[112:113], v[110:111]
	v_fma_f64 v[94:95], -v[94:95], v[114:115], v[112:113]
	s_nop 1
	v_div_fmas_f64 v[94:95], v[94:95], v[110:111], v[114:115]
	v_div_fixup_f64 v[92:93], v[94:95], v[92:93], 1.0
	v_mul_f64 v[94:95], v[108:109], -v[92:93]
.LBB44_114:
	s_or_b64 exec, exec, s[16:17]
.LBB44_115:
	s_or_b64 exec, exec, s[0:1]
	v_cmp_ne_u32_e32 vcc, v105, v102
	s_and_saveexec_b64 s[0:1], vcc
	s_xor_b64 s[0:1], exec, s[0:1]
	s_cbranch_execz .LBB44_121
; %bb.116:
	v_cmp_eq_u32_e32 vcc, 5, v105
	s_and_saveexec_b64 s[16:17], vcc
	s_cbranch_execz .LBB44_120
; %bb.117:
	v_cmp_ne_u32_e32 vcc, 5, v102
	s_xor_b64 s[18:19], s[14:15], -1
	s_and_b64 s[22:23], s[18:19], vcc
	s_and_saveexec_b64 s[18:19], s[22:23]
	s_cbranch_execz .LBB44_119
; %bb.118:
	v_ashrrev_i32_e32 v103, 31, v102
	v_lshl_add_u64 v[108:109], v[102:103], 2, v[100:101]
	global_load_dword v103, v[108:109], off
	global_load_dword v105, v[100:101], off offset:20
	s_waitcnt vmcnt(1)
	global_store_dword v[100:101], v103, off offset:20
	s_waitcnt vmcnt(1)
	global_store_dword v[108:109], v105, off
.LBB44_119:
	s_or_b64 exec, exec, s[18:19]
	v_mov_b32_e32 v105, v102
	v_mov_b32_e32 v106, v102
.LBB44_120:
	s_or_b64 exec, exec, s[16:17]
.LBB44_121:
	s_andn2_saveexec_b64 s[0:1], s[0:1]
	s_cbranch_execz .LBB44_123
; %bb.122:
	v_mov_b32_e32 v105, 5
	s_waitcnt vmcnt(16)
	ds_write2_b64 v104, v[68:69], v[70:71] offset0:12 offset1:13
	s_waitcnt vmcnt(15)
	ds_write2_b64 v104, v[56:57], v[58:59] offset0:14 offset1:15
	;; [unrolled: 2-line block ×17, first 2 shown]
.LBB44_123:
	s_or_b64 exec, exec, s[0:1]
	v_cmp_lt_i32_e32 vcc, 5, v105
	s_waitcnt lgkmcnt(0)
	s_barrier
	s_and_saveexec_b64 s[0:1], vcc
	s_cbranch_execz .LBB44_125
; %bb.124:
	ds_read2_b64 v[108:111], v104 offset0:12 offset1:13
	v_mul_f64 v[102:103], v[94:95], v[74:75]
	v_mul_f64 v[74:75], v[92:93], v[74:75]
	v_fmac_f64_e32 v[74:75], v[94:95], v[72:73]
	v_fma_f64 v[102:103], v[92:93], v[72:73], -v[102:103]
	ds_read2_b64 v[92:95], v104 offset0:14 offset1:15
	s_waitcnt lgkmcnt(1)
	v_mul_f64 v[72:73], v[110:111], v[74:75]
	v_fma_f64 v[72:73], v[108:109], v[102:103], -v[72:73]
	v_mul_f64 v[108:109], v[108:109], v[74:75]
	v_fmac_f64_e32 v[108:109], v[110:111], v[102:103]
	s_waitcnt vmcnt(16)
	v_add_f64 v[70:71], v[70:71], -v[108:109]
	ds_read2_b64 v[108:111], v104 offset0:16 offset1:17
	v_add_f64 v[68:69], v[68:69], -v[72:73]
	s_waitcnt lgkmcnt(1)
	v_mul_f64 v[72:73], v[94:95], v[74:75]
	v_fma_f64 v[72:73], v[92:93], v[102:103], -v[72:73]
	v_mul_f64 v[92:93], v[92:93], v[74:75]
	v_fmac_f64_e32 v[92:93], v[94:95], v[102:103]
	s_waitcnt vmcnt(15)
	v_add_f64 v[56:57], v[56:57], -v[72:73]
	v_add_f64 v[58:59], v[58:59], -v[92:93]
	ds_read2_b64 v[92:95], v104 offset0:18 offset1:19
	s_waitcnt lgkmcnt(1)
	v_mul_f64 v[72:73], v[110:111], v[74:75]
	v_fma_f64 v[72:73], v[108:109], v[102:103], -v[72:73]
	v_mul_f64 v[108:109], v[108:109], v[74:75]
	v_fmac_f64_e32 v[108:109], v[110:111], v[102:103]
	s_waitcnt vmcnt(14)
	v_add_f64 v[54:55], v[54:55], -v[108:109]
	ds_read2_b64 v[108:111], v104 offset0:20 offset1:21
	v_add_f64 v[52:53], v[52:53], -v[72:73]
	s_waitcnt lgkmcnt(1)
	v_mul_f64 v[72:73], v[94:95], v[74:75]
	v_fma_f64 v[72:73], v[92:93], v[102:103], -v[72:73]
	v_mul_f64 v[92:93], v[92:93], v[74:75]
	v_fmac_f64_e32 v[92:93], v[94:95], v[102:103]
	s_waitcnt vmcnt(13)
	v_add_f64 v[48:49], v[48:49], -v[72:73]
	v_add_f64 v[50:51], v[50:51], -v[92:93]
	;; [unrolled: 18-line block ×8, first 2 shown]
	s_waitcnt lgkmcnt(0)
	v_mul_f64 v[72:73], v[110:111], v[74:75]
	v_mul_f64 v[92:93], v[108:109], v[74:75]
	v_fma_f64 v[72:73], v[108:109], v[102:103], -v[72:73]
	v_fmac_f64_e32 v[92:93], v[110:111], v[102:103]
	s_waitcnt vmcnt(0)
	v_add_f64 v[88:89], v[88:89], -v[72:73]
	v_add_f64 v[90:91], v[90:91], -v[92:93]
	v_mov_b64_e32 v[72:73], v[102:103]
.LBB44_125:
	s_or_b64 exec, exec, s[0:1]
	v_lshl_add_u32 v92, v105, 4, v104
	s_barrier
	s_waitcnt vmcnt(16)
	ds_write2_b64 v92, v[68:69], v[70:71] offset1:1
	s_waitcnt lgkmcnt(0)
	s_barrier
	ds_read2_b64 v[92:95], v104 offset0:12 offset1:13
	s_cmp_lt_i32 s20, 8
	v_mov_b32_e32 v102, 6
	s_cbranch_scc1 .LBB44_128
; %bb.126:
	v_add_u32_e32 v103, 0x70, v104
	s_mov_b32 s16, 7
	v_mov_b32_e32 v102, 6
.LBB44_127:                             ; =>This Inner Loop Header: Depth=1
	ds_read2_b64 v[108:111], v103 offset1:1
	s_waitcnt lgkmcnt(1)
	v_xor_b32_e32 v113, 0x80000000, v93
	v_xor_b32_e32 v115, 0x80000000, v95
	v_cmp_gt_f64_e32 vcc, 0, v[94:95]
	v_cmp_gt_f64_e64 s[0:1], 0, v[92:93]
	v_mov_b32_e32 v112, v92
	v_mov_b32_e32 v114, v94
	v_cndmask_b32_e64 v113, v93, v113, s[0:1]
	v_cndmask_b32_e32 v115, v95, v115, vcc
	v_add_f64 v[112:113], v[112:113], v[114:115]
	s_waitcnt lgkmcnt(0)
	v_xor_b32_e32 v115, 0x80000000, v109
	v_xor_b32_e32 v117, 0x80000000, v111
	v_cmp_gt_f64_e32 vcc, 0, v[110:111]
	v_cmp_gt_f64_e64 s[0:1], 0, v[108:109]
	v_mov_b32_e32 v114, v108
	v_mov_b32_e32 v116, v110
	v_cndmask_b32_e64 v115, v109, v115, s[0:1]
	v_cndmask_b32_e32 v117, v111, v117, vcc
	v_add_f64 v[114:115], v[114:115], v[116:117]
	v_mov_b32_e32 v118, s16
	s_add_i32 s16, s16, 1
	v_cmp_lt_f64_e32 vcc, v[112:113], v[114:115]
	v_add_u32_e32 v103, 16, v103
	s_cmp_lg_u32 s20, s16
	v_cndmask_b32_e32 v93, v93, v109, vcc
	v_cndmask_b32_e32 v92, v92, v108, vcc
	v_cndmask_b32_e32 v95, v95, v111, vcc
	v_cndmask_b32_e32 v94, v94, v110, vcc
	v_cndmask_b32_e32 v102, v102, v118, vcc
	s_cbranch_scc1 .LBB44_127
.LBB44_128:
	s_waitcnt lgkmcnt(0)
	v_cmp_eq_f64_e32 vcc, 0, v[92:93]
	v_cmp_eq_f64_e64 s[0:1], 0, v[94:95]
	s_and_b64 s[0:1], vcc, s[0:1]
	s_and_saveexec_b64 s[16:17], s[0:1]
	s_xor_b64 s[0:1], exec, s[16:17]
; %bb.129:
	v_cmp_ne_u32_e32 vcc, 0, v107
	s_nop 1
	v_cndmask_b32_e32 v107, 7, v107, vcc
; %bb.130:
	s_andn2_saveexec_b64 s[0:1], s[0:1]
	s_cbranch_execz .LBB44_136
; %bb.131:
	v_cmp_ngt_f64_e64 s[16:17], |v[92:93]|, |v[94:95]|
	s_and_saveexec_b64 s[18:19], s[16:17]
	s_xor_b64 s[16:17], exec, s[18:19]
	s_cbranch_execz .LBB44_133
; %bb.132:
	v_div_scale_f64 v[108:109], s[18:19], v[94:95], v[94:95], v[92:93]
	v_rcp_f64_e32 v[110:111], v[108:109]
	v_div_scale_f64 v[112:113], vcc, v[92:93], v[94:95], v[92:93]
	v_fma_f64 v[114:115], -v[108:109], v[110:111], 1.0
	v_fmac_f64_e32 v[110:111], v[110:111], v[114:115]
	v_fma_f64 v[114:115], -v[108:109], v[110:111], 1.0
	v_fmac_f64_e32 v[110:111], v[110:111], v[114:115]
	v_mul_f64 v[114:115], v[112:113], v[110:111]
	v_fma_f64 v[108:109], -v[108:109], v[114:115], v[112:113]
	v_div_fmas_f64 v[108:109], v[108:109], v[110:111], v[114:115]
	v_div_fixup_f64 v[108:109], v[108:109], v[94:95], v[92:93]
	v_fmac_f64_e32 v[94:95], v[92:93], v[108:109]
	v_div_scale_f64 v[92:93], s[18:19], v[94:95], v[94:95], 1.0
	v_rcp_f64_e32 v[110:111], v[92:93]
	s_nop 0
	v_fma_f64 v[112:113], -v[92:93], v[110:111], 1.0
	v_fmac_f64_e32 v[110:111], v[110:111], v[112:113]
	v_fma_f64 v[112:113], -v[92:93], v[110:111], 1.0
	v_fmac_f64_e32 v[110:111], v[110:111], v[112:113]
	v_div_scale_f64 v[112:113], vcc, 1.0, v[94:95], 1.0
	v_mul_f64 v[114:115], v[112:113], v[110:111]
	v_fma_f64 v[92:93], -v[92:93], v[114:115], v[112:113]
	s_nop 1
	v_div_fmas_f64 v[92:93], v[92:93], v[110:111], v[114:115]
	v_div_fixup_f64 v[94:95], v[92:93], v[94:95], 1.0
	v_mul_f64 v[92:93], v[108:109], v[94:95]
	v_xor_b32_e32 v95, 0x80000000, v95
.LBB44_133:
	s_andn2_saveexec_b64 s[16:17], s[16:17]
	s_cbranch_execz .LBB44_135
; %bb.134:
	v_div_scale_f64 v[108:109], s[18:19], v[92:93], v[92:93], v[94:95]
	v_rcp_f64_e32 v[110:111], v[108:109]
	v_div_scale_f64 v[112:113], vcc, v[94:95], v[92:93], v[94:95]
	v_fma_f64 v[114:115], -v[108:109], v[110:111], 1.0
	v_fmac_f64_e32 v[110:111], v[110:111], v[114:115]
	v_fma_f64 v[114:115], -v[108:109], v[110:111], 1.0
	v_fmac_f64_e32 v[110:111], v[110:111], v[114:115]
	v_mul_f64 v[114:115], v[112:113], v[110:111]
	v_fma_f64 v[108:109], -v[108:109], v[114:115], v[112:113]
	v_div_fmas_f64 v[108:109], v[108:109], v[110:111], v[114:115]
	v_div_fixup_f64 v[108:109], v[108:109], v[92:93], v[94:95]
	v_fmac_f64_e32 v[92:93], v[94:95], v[108:109]
	v_div_scale_f64 v[94:95], s[18:19], v[92:93], v[92:93], 1.0
	v_rcp_f64_e32 v[110:111], v[94:95]
	s_nop 0
	v_fma_f64 v[112:113], -v[94:95], v[110:111], 1.0
	v_fmac_f64_e32 v[110:111], v[110:111], v[112:113]
	v_fma_f64 v[112:113], -v[94:95], v[110:111], 1.0
	v_fmac_f64_e32 v[110:111], v[110:111], v[112:113]
	v_div_scale_f64 v[112:113], vcc, 1.0, v[92:93], 1.0
	v_mul_f64 v[114:115], v[112:113], v[110:111]
	v_fma_f64 v[94:95], -v[94:95], v[114:115], v[112:113]
	s_nop 1
	v_div_fmas_f64 v[94:95], v[94:95], v[110:111], v[114:115]
	v_div_fixup_f64 v[92:93], v[94:95], v[92:93], 1.0
	v_mul_f64 v[94:95], v[108:109], -v[92:93]
.LBB44_135:
	s_or_b64 exec, exec, s[16:17]
.LBB44_136:
	s_or_b64 exec, exec, s[0:1]
	v_cmp_ne_u32_e32 vcc, v105, v102
	s_and_saveexec_b64 s[0:1], vcc
	s_xor_b64 s[0:1], exec, s[0:1]
	s_cbranch_execz .LBB44_142
; %bb.137:
	v_cmp_eq_u32_e32 vcc, 6, v105
	s_and_saveexec_b64 s[16:17], vcc
	s_cbranch_execz .LBB44_141
; %bb.138:
	v_cmp_ne_u32_e32 vcc, 6, v102
	s_xor_b64 s[18:19], s[14:15], -1
	s_and_b64 s[22:23], s[18:19], vcc
	s_and_saveexec_b64 s[18:19], s[22:23]
	s_cbranch_execz .LBB44_140
; %bb.139:
	v_ashrrev_i32_e32 v103, 31, v102
	v_lshl_add_u64 v[108:109], v[102:103], 2, v[100:101]
	global_load_dword v103, v[108:109], off
	global_load_dword v105, v[100:101], off offset:24
	s_waitcnt vmcnt(1)
	global_store_dword v[100:101], v103, off offset:24
	s_waitcnt vmcnt(1)
	global_store_dword v[108:109], v105, off
.LBB44_140:
	s_or_b64 exec, exec, s[18:19]
	v_mov_b32_e32 v105, v102
	v_mov_b32_e32 v106, v102
.LBB44_141:
	s_or_b64 exec, exec, s[16:17]
.LBB44_142:
	s_andn2_saveexec_b64 s[0:1], s[0:1]
	s_cbranch_execz .LBB44_144
; %bb.143:
	v_mov_b32_e32 v105, 6
	s_waitcnt vmcnt(15)
	ds_write2_b64 v104, v[56:57], v[58:59] offset0:14 offset1:15
	s_waitcnt vmcnt(14)
	ds_write2_b64 v104, v[52:53], v[54:55] offset0:16 offset1:17
	;; [unrolled: 2-line block ×16, first 2 shown]
.LBB44_144:
	s_or_b64 exec, exec, s[0:1]
	v_cmp_lt_i32_e32 vcc, 6, v105
	s_waitcnt lgkmcnt(0)
	s_barrier
	s_and_saveexec_b64 s[0:1], vcc
	s_cbranch_execz .LBB44_146
; %bb.145:
	ds_read2_b64 v[108:111], v104 offset0:14 offset1:15
	v_mul_f64 v[102:103], v[92:93], v[70:71]
	v_mul_f64 v[70:71], v[94:95], v[70:71]
	v_fmac_f64_e32 v[102:103], v[94:95], v[68:69]
	v_fma_f64 v[68:69], v[92:93], v[68:69], -v[70:71]
	ds_read2_b64 v[92:95], v104 offset0:16 offset1:17
	s_waitcnt lgkmcnt(1)
	v_mul_f64 v[70:71], v[110:111], v[102:103]
	v_fma_f64 v[70:71], v[108:109], v[68:69], -v[70:71]
	v_mul_f64 v[108:109], v[108:109], v[102:103]
	v_fmac_f64_e32 v[108:109], v[110:111], v[68:69]
	s_waitcnt vmcnt(15)
	v_add_f64 v[56:57], v[56:57], -v[70:71]
	s_waitcnt lgkmcnt(0)
	v_mul_f64 v[70:71], v[94:95], v[102:103]
	v_add_f64 v[58:59], v[58:59], -v[108:109]
	v_fma_f64 v[70:71], v[92:93], v[68:69], -v[70:71]
	v_mul_f64 v[92:93], v[92:93], v[102:103]
	ds_read2_b64 v[108:111], v104 offset0:18 offset1:19
	v_fmac_f64_e32 v[92:93], v[94:95], v[68:69]
	s_waitcnt vmcnt(14)
	v_add_f64 v[54:55], v[54:55], -v[92:93]
	ds_read2_b64 v[92:95], v104 offset0:20 offset1:21
	v_add_f64 v[52:53], v[52:53], -v[70:71]
	s_waitcnt lgkmcnt(1)
	v_mul_f64 v[70:71], v[110:111], v[102:103]
	v_fma_f64 v[70:71], v[108:109], v[68:69], -v[70:71]
	v_mul_f64 v[108:109], v[108:109], v[102:103]
	v_fmac_f64_e32 v[108:109], v[110:111], v[68:69]
	s_waitcnt vmcnt(13)
	v_add_f64 v[48:49], v[48:49], -v[70:71]
	s_waitcnt lgkmcnt(0)
	v_mul_f64 v[70:71], v[94:95], v[102:103]
	v_add_f64 v[50:51], v[50:51], -v[108:109]
	v_fma_f64 v[70:71], v[92:93], v[68:69], -v[70:71]
	v_mul_f64 v[92:93], v[92:93], v[102:103]
	ds_read2_b64 v[108:111], v104 offset0:22 offset1:23
	v_fmac_f64_e32 v[92:93], v[94:95], v[68:69]
	s_waitcnt vmcnt(12)
	v_add_f64 v[46:47], v[46:47], -v[92:93]
	ds_read2_b64 v[92:95], v104 offset0:24 offset1:25
	v_add_f64 v[44:45], v[44:45], -v[70:71]
	;; [unrolled: 18-line block ×7, first 2 shown]
	s_waitcnt lgkmcnt(1)
	v_mul_f64 v[70:71], v[110:111], v[102:103]
	v_fma_f64 v[70:71], v[108:109], v[68:69], -v[70:71]
	s_waitcnt vmcnt(1)
	v_add_f64 v[0:1], v[0:1], -v[70:71]
	s_waitcnt lgkmcnt(0)
	v_mul_f64 v[70:71], v[94:95], v[102:103]
	v_mul_f64 v[108:109], v[108:109], v[102:103]
	v_fma_f64 v[70:71], v[92:93], v[68:69], -v[70:71]
	v_mul_f64 v[92:93], v[92:93], v[102:103]
	v_fmac_f64_e32 v[108:109], v[110:111], v[68:69]
	v_fmac_f64_e32 v[92:93], v[94:95], v[68:69]
	v_add_f64 v[2:3], v[2:3], -v[108:109]
	s_waitcnt vmcnt(0)
	v_add_f64 v[88:89], v[88:89], -v[70:71]
	v_add_f64 v[90:91], v[90:91], -v[92:93]
	v_mov_b64_e32 v[70:71], v[102:103]
.LBB44_146:
	s_or_b64 exec, exec, s[0:1]
	v_lshl_add_u32 v92, v105, 4, v104
	s_barrier
	s_waitcnt vmcnt(15)
	ds_write2_b64 v92, v[56:57], v[58:59] offset1:1
	s_waitcnt lgkmcnt(0)
	s_barrier
	ds_read2_b64 v[92:95], v104 offset0:14 offset1:15
	s_cmp_lt_i32 s20, 9
	v_mov_b32_e32 v102, 7
	s_cbranch_scc1 .LBB44_149
; %bb.147:
	v_add_u32_e32 v103, 0x80, v104
	s_mov_b32 s16, 8
	v_mov_b32_e32 v102, 7
.LBB44_148:                             ; =>This Inner Loop Header: Depth=1
	ds_read2_b64 v[108:111], v103 offset1:1
	s_waitcnt lgkmcnt(1)
	v_xor_b32_e32 v113, 0x80000000, v93
	v_xor_b32_e32 v115, 0x80000000, v95
	v_cmp_gt_f64_e32 vcc, 0, v[94:95]
	v_cmp_gt_f64_e64 s[0:1], 0, v[92:93]
	v_mov_b32_e32 v112, v92
	v_mov_b32_e32 v114, v94
	v_cndmask_b32_e64 v113, v93, v113, s[0:1]
	v_cndmask_b32_e32 v115, v95, v115, vcc
	v_add_f64 v[112:113], v[112:113], v[114:115]
	s_waitcnt lgkmcnt(0)
	v_xor_b32_e32 v115, 0x80000000, v109
	v_xor_b32_e32 v117, 0x80000000, v111
	v_cmp_gt_f64_e32 vcc, 0, v[110:111]
	v_cmp_gt_f64_e64 s[0:1], 0, v[108:109]
	v_mov_b32_e32 v114, v108
	v_mov_b32_e32 v116, v110
	v_cndmask_b32_e64 v115, v109, v115, s[0:1]
	v_cndmask_b32_e32 v117, v111, v117, vcc
	v_add_f64 v[114:115], v[114:115], v[116:117]
	v_mov_b32_e32 v118, s16
	s_add_i32 s16, s16, 1
	v_cmp_lt_f64_e32 vcc, v[112:113], v[114:115]
	v_add_u32_e32 v103, 16, v103
	s_cmp_lg_u32 s20, s16
	v_cndmask_b32_e32 v93, v93, v109, vcc
	v_cndmask_b32_e32 v92, v92, v108, vcc
	;; [unrolled: 1-line block ×5, first 2 shown]
	s_cbranch_scc1 .LBB44_148
.LBB44_149:
	s_waitcnt lgkmcnt(0)
	v_cmp_eq_f64_e32 vcc, 0, v[92:93]
	v_cmp_eq_f64_e64 s[0:1], 0, v[94:95]
	s_and_b64 s[0:1], vcc, s[0:1]
	s_and_saveexec_b64 s[16:17], s[0:1]
	s_xor_b64 s[0:1], exec, s[16:17]
; %bb.150:
	v_cmp_ne_u32_e32 vcc, 0, v107
	s_nop 1
	v_cndmask_b32_e32 v107, 8, v107, vcc
; %bb.151:
	s_andn2_saveexec_b64 s[0:1], s[0:1]
	s_cbranch_execz .LBB44_157
; %bb.152:
	v_cmp_ngt_f64_e64 s[16:17], |v[92:93]|, |v[94:95]|
	s_and_saveexec_b64 s[18:19], s[16:17]
	s_xor_b64 s[16:17], exec, s[18:19]
	s_cbranch_execz .LBB44_154
; %bb.153:
	v_div_scale_f64 v[108:109], s[18:19], v[94:95], v[94:95], v[92:93]
	v_rcp_f64_e32 v[110:111], v[108:109]
	v_div_scale_f64 v[112:113], vcc, v[92:93], v[94:95], v[92:93]
	v_fma_f64 v[114:115], -v[108:109], v[110:111], 1.0
	v_fmac_f64_e32 v[110:111], v[110:111], v[114:115]
	v_fma_f64 v[114:115], -v[108:109], v[110:111], 1.0
	v_fmac_f64_e32 v[110:111], v[110:111], v[114:115]
	v_mul_f64 v[114:115], v[112:113], v[110:111]
	v_fma_f64 v[108:109], -v[108:109], v[114:115], v[112:113]
	v_div_fmas_f64 v[108:109], v[108:109], v[110:111], v[114:115]
	v_div_fixup_f64 v[108:109], v[108:109], v[94:95], v[92:93]
	v_fmac_f64_e32 v[94:95], v[92:93], v[108:109]
	v_div_scale_f64 v[92:93], s[18:19], v[94:95], v[94:95], 1.0
	v_rcp_f64_e32 v[110:111], v[92:93]
	s_nop 0
	v_fma_f64 v[112:113], -v[92:93], v[110:111], 1.0
	v_fmac_f64_e32 v[110:111], v[110:111], v[112:113]
	v_fma_f64 v[112:113], -v[92:93], v[110:111], 1.0
	v_fmac_f64_e32 v[110:111], v[110:111], v[112:113]
	v_div_scale_f64 v[112:113], vcc, 1.0, v[94:95], 1.0
	v_mul_f64 v[114:115], v[112:113], v[110:111]
	v_fma_f64 v[92:93], -v[92:93], v[114:115], v[112:113]
	s_nop 1
	v_div_fmas_f64 v[92:93], v[92:93], v[110:111], v[114:115]
	v_div_fixup_f64 v[94:95], v[92:93], v[94:95], 1.0
	v_mul_f64 v[92:93], v[108:109], v[94:95]
	v_xor_b32_e32 v95, 0x80000000, v95
.LBB44_154:
	s_andn2_saveexec_b64 s[16:17], s[16:17]
	s_cbranch_execz .LBB44_156
; %bb.155:
	v_div_scale_f64 v[108:109], s[18:19], v[92:93], v[92:93], v[94:95]
	v_rcp_f64_e32 v[110:111], v[108:109]
	v_div_scale_f64 v[112:113], vcc, v[94:95], v[92:93], v[94:95]
	v_fma_f64 v[114:115], -v[108:109], v[110:111], 1.0
	v_fmac_f64_e32 v[110:111], v[110:111], v[114:115]
	v_fma_f64 v[114:115], -v[108:109], v[110:111], 1.0
	v_fmac_f64_e32 v[110:111], v[110:111], v[114:115]
	v_mul_f64 v[114:115], v[112:113], v[110:111]
	v_fma_f64 v[108:109], -v[108:109], v[114:115], v[112:113]
	v_div_fmas_f64 v[108:109], v[108:109], v[110:111], v[114:115]
	v_div_fixup_f64 v[108:109], v[108:109], v[92:93], v[94:95]
	v_fmac_f64_e32 v[92:93], v[94:95], v[108:109]
	v_div_scale_f64 v[94:95], s[18:19], v[92:93], v[92:93], 1.0
	v_rcp_f64_e32 v[110:111], v[94:95]
	s_nop 0
	v_fma_f64 v[112:113], -v[94:95], v[110:111], 1.0
	v_fmac_f64_e32 v[110:111], v[110:111], v[112:113]
	v_fma_f64 v[112:113], -v[94:95], v[110:111], 1.0
	v_fmac_f64_e32 v[110:111], v[110:111], v[112:113]
	v_div_scale_f64 v[112:113], vcc, 1.0, v[92:93], 1.0
	v_mul_f64 v[114:115], v[112:113], v[110:111]
	v_fma_f64 v[94:95], -v[94:95], v[114:115], v[112:113]
	s_nop 1
	v_div_fmas_f64 v[94:95], v[94:95], v[110:111], v[114:115]
	v_div_fixup_f64 v[92:93], v[94:95], v[92:93], 1.0
	v_mul_f64 v[94:95], v[108:109], -v[92:93]
.LBB44_156:
	s_or_b64 exec, exec, s[16:17]
.LBB44_157:
	s_or_b64 exec, exec, s[0:1]
	v_cmp_ne_u32_e32 vcc, v105, v102
	s_and_saveexec_b64 s[0:1], vcc
	s_xor_b64 s[0:1], exec, s[0:1]
	s_cbranch_execz .LBB44_163
; %bb.158:
	v_cmp_eq_u32_e32 vcc, 7, v105
	s_and_saveexec_b64 s[16:17], vcc
	s_cbranch_execz .LBB44_162
; %bb.159:
	v_cmp_ne_u32_e32 vcc, 7, v102
	s_xor_b64 s[18:19], s[14:15], -1
	s_and_b64 s[22:23], s[18:19], vcc
	s_and_saveexec_b64 s[18:19], s[22:23]
	s_cbranch_execz .LBB44_161
; %bb.160:
	v_ashrrev_i32_e32 v103, 31, v102
	v_lshl_add_u64 v[108:109], v[102:103], 2, v[100:101]
	global_load_dword v103, v[108:109], off
	global_load_dword v105, v[100:101], off offset:28
	s_waitcnt vmcnt(1)
	global_store_dword v[100:101], v103, off offset:28
	s_waitcnt vmcnt(1)
	global_store_dword v[108:109], v105, off
.LBB44_161:
	s_or_b64 exec, exec, s[18:19]
	v_mov_b32_e32 v105, v102
	v_mov_b32_e32 v106, v102
.LBB44_162:
	s_or_b64 exec, exec, s[16:17]
.LBB44_163:
	s_andn2_saveexec_b64 s[0:1], s[0:1]
	s_cbranch_execz .LBB44_165
; %bb.164:
	v_mov_b32_e32 v105, 7
	s_waitcnt vmcnt(14)
	ds_write2_b64 v104, v[52:53], v[54:55] offset0:16 offset1:17
	s_waitcnt vmcnt(13)
	ds_write2_b64 v104, v[48:49], v[50:51] offset0:18 offset1:19
	;; [unrolled: 2-line block ×15, first 2 shown]
.LBB44_165:
	s_or_b64 exec, exec, s[0:1]
	v_cmp_lt_i32_e32 vcc, 7, v105
	s_waitcnt lgkmcnt(0)
	s_barrier
	s_and_saveexec_b64 s[0:1], vcc
	s_cbranch_execz .LBB44_167
; %bb.166:
	ds_read2_b64 v[108:111], v104 offset0:16 offset1:17
	v_mul_f64 v[102:103], v[92:93], v[58:59]
	v_fmac_f64_e32 v[102:103], v[94:95], v[56:57]
	v_mul_f64 v[58:59], v[94:95], v[58:59]
	v_fma_f64 v[56:57], v[92:93], v[56:57], -v[58:59]
	ds_read2_b64 v[92:95], v104 offset0:18 offset1:19
	s_waitcnt lgkmcnt(1)
	v_mul_f64 v[58:59], v[110:111], v[102:103]
	v_fma_f64 v[58:59], v[108:109], v[56:57], -v[58:59]
	v_mul_f64 v[108:109], v[108:109], v[102:103]
	v_fmac_f64_e32 v[108:109], v[110:111], v[56:57]
	s_waitcnt vmcnt(14)
	v_add_f64 v[54:55], v[54:55], -v[108:109]
	ds_read2_b64 v[108:111], v104 offset0:20 offset1:21
	v_add_f64 v[52:53], v[52:53], -v[58:59]
	s_waitcnt lgkmcnt(1)
	v_mul_f64 v[58:59], v[94:95], v[102:103]
	v_fma_f64 v[58:59], v[92:93], v[56:57], -v[58:59]
	v_mul_f64 v[92:93], v[92:93], v[102:103]
	v_fmac_f64_e32 v[92:93], v[94:95], v[56:57]
	s_waitcnt vmcnt(13)
	v_add_f64 v[48:49], v[48:49], -v[58:59]
	v_add_f64 v[50:51], v[50:51], -v[92:93]
	ds_read2_b64 v[92:95], v104 offset0:22 offset1:23
	s_waitcnt lgkmcnt(1)
	v_mul_f64 v[58:59], v[110:111], v[102:103]
	v_fma_f64 v[58:59], v[108:109], v[56:57], -v[58:59]
	v_mul_f64 v[108:109], v[108:109], v[102:103]
	v_fmac_f64_e32 v[108:109], v[110:111], v[56:57]
	s_waitcnt vmcnt(12)
	v_add_f64 v[46:47], v[46:47], -v[108:109]
	ds_read2_b64 v[108:111], v104 offset0:24 offset1:25
	v_add_f64 v[44:45], v[44:45], -v[58:59]
	s_waitcnt lgkmcnt(1)
	v_mul_f64 v[58:59], v[94:95], v[102:103]
	v_fma_f64 v[58:59], v[92:93], v[56:57], -v[58:59]
	v_mul_f64 v[92:93], v[92:93], v[102:103]
	v_fmac_f64_e32 v[92:93], v[94:95], v[56:57]
	s_waitcnt vmcnt(11)
	v_add_f64 v[40:41], v[40:41], -v[58:59]
	v_add_f64 v[42:43], v[42:43], -v[92:93]
	;; [unrolled: 18-line block ×7, first 2 shown]
	s_waitcnt lgkmcnt(0)
	v_mul_f64 v[58:59], v[110:111], v[102:103]
	v_mul_f64 v[92:93], v[108:109], v[102:103]
	v_fma_f64 v[58:59], v[108:109], v[56:57], -v[58:59]
	v_fmac_f64_e32 v[92:93], v[110:111], v[56:57]
	s_waitcnt vmcnt(0)
	v_add_f64 v[88:89], v[88:89], -v[58:59]
	v_add_f64 v[90:91], v[90:91], -v[92:93]
	v_mov_b64_e32 v[58:59], v[102:103]
.LBB44_167:
	s_or_b64 exec, exec, s[0:1]
	v_lshl_add_u32 v92, v105, 4, v104
	s_barrier
	s_waitcnt vmcnt(14)
	ds_write2_b64 v92, v[52:53], v[54:55] offset1:1
	s_waitcnt lgkmcnt(0)
	s_barrier
	ds_read2_b64 v[92:95], v104 offset0:16 offset1:17
	s_cmp_lt_i32 s20, 10
	v_mov_b32_e32 v102, 8
	s_cbranch_scc1 .LBB44_170
; %bb.168:
	v_add_u32_e32 v103, 0x90, v104
	s_mov_b32 s16, 9
	v_mov_b32_e32 v102, 8
.LBB44_169:                             ; =>This Inner Loop Header: Depth=1
	ds_read2_b64 v[108:111], v103 offset1:1
	s_waitcnt lgkmcnt(1)
	v_xor_b32_e32 v113, 0x80000000, v93
	v_xor_b32_e32 v115, 0x80000000, v95
	v_cmp_gt_f64_e32 vcc, 0, v[94:95]
	v_cmp_gt_f64_e64 s[0:1], 0, v[92:93]
	v_mov_b32_e32 v112, v92
	v_mov_b32_e32 v114, v94
	v_cndmask_b32_e64 v113, v93, v113, s[0:1]
	v_cndmask_b32_e32 v115, v95, v115, vcc
	v_add_f64 v[112:113], v[112:113], v[114:115]
	s_waitcnt lgkmcnt(0)
	v_xor_b32_e32 v115, 0x80000000, v109
	v_xor_b32_e32 v117, 0x80000000, v111
	v_cmp_gt_f64_e32 vcc, 0, v[110:111]
	v_cmp_gt_f64_e64 s[0:1], 0, v[108:109]
	v_mov_b32_e32 v114, v108
	v_mov_b32_e32 v116, v110
	v_cndmask_b32_e64 v115, v109, v115, s[0:1]
	v_cndmask_b32_e32 v117, v111, v117, vcc
	v_add_f64 v[114:115], v[114:115], v[116:117]
	v_mov_b32_e32 v118, s16
	s_add_i32 s16, s16, 1
	v_cmp_lt_f64_e32 vcc, v[112:113], v[114:115]
	v_add_u32_e32 v103, 16, v103
	s_cmp_lg_u32 s20, s16
	v_cndmask_b32_e32 v93, v93, v109, vcc
	v_cndmask_b32_e32 v92, v92, v108, vcc
	;; [unrolled: 1-line block ×5, first 2 shown]
	s_cbranch_scc1 .LBB44_169
.LBB44_170:
	s_waitcnt lgkmcnt(0)
	v_cmp_eq_f64_e32 vcc, 0, v[92:93]
	v_cmp_eq_f64_e64 s[0:1], 0, v[94:95]
	s_and_b64 s[0:1], vcc, s[0:1]
	s_and_saveexec_b64 s[16:17], s[0:1]
	s_xor_b64 s[0:1], exec, s[16:17]
; %bb.171:
	v_cmp_ne_u32_e32 vcc, 0, v107
	s_nop 1
	v_cndmask_b32_e32 v107, 9, v107, vcc
; %bb.172:
	s_andn2_saveexec_b64 s[0:1], s[0:1]
	s_cbranch_execz .LBB44_178
; %bb.173:
	v_cmp_ngt_f64_e64 s[16:17], |v[92:93]|, |v[94:95]|
	s_and_saveexec_b64 s[18:19], s[16:17]
	s_xor_b64 s[16:17], exec, s[18:19]
	s_cbranch_execz .LBB44_175
; %bb.174:
	v_div_scale_f64 v[108:109], s[18:19], v[94:95], v[94:95], v[92:93]
	v_rcp_f64_e32 v[110:111], v[108:109]
	v_div_scale_f64 v[112:113], vcc, v[92:93], v[94:95], v[92:93]
	v_fma_f64 v[114:115], -v[108:109], v[110:111], 1.0
	v_fmac_f64_e32 v[110:111], v[110:111], v[114:115]
	v_fma_f64 v[114:115], -v[108:109], v[110:111], 1.0
	v_fmac_f64_e32 v[110:111], v[110:111], v[114:115]
	v_mul_f64 v[114:115], v[112:113], v[110:111]
	v_fma_f64 v[108:109], -v[108:109], v[114:115], v[112:113]
	v_div_fmas_f64 v[108:109], v[108:109], v[110:111], v[114:115]
	v_div_fixup_f64 v[108:109], v[108:109], v[94:95], v[92:93]
	v_fmac_f64_e32 v[94:95], v[92:93], v[108:109]
	v_div_scale_f64 v[92:93], s[18:19], v[94:95], v[94:95], 1.0
	v_rcp_f64_e32 v[110:111], v[92:93]
	s_nop 0
	v_fma_f64 v[112:113], -v[92:93], v[110:111], 1.0
	v_fmac_f64_e32 v[110:111], v[110:111], v[112:113]
	v_fma_f64 v[112:113], -v[92:93], v[110:111], 1.0
	v_fmac_f64_e32 v[110:111], v[110:111], v[112:113]
	v_div_scale_f64 v[112:113], vcc, 1.0, v[94:95], 1.0
	v_mul_f64 v[114:115], v[112:113], v[110:111]
	v_fma_f64 v[92:93], -v[92:93], v[114:115], v[112:113]
	s_nop 1
	v_div_fmas_f64 v[92:93], v[92:93], v[110:111], v[114:115]
	v_div_fixup_f64 v[94:95], v[92:93], v[94:95], 1.0
	v_mul_f64 v[92:93], v[108:109], v[94:95]
	v_xor_b32_e32 v95, 0x80000000, v95
.LBB44_175:
	s_andn2_saveexec_b64 s[16:17], s[16:17]
	s_cbranch_execz .LBB44_177
; %bb.176:
	v_div_scale_f64 v[108:109], s[18:19], v[92:93], v[92:93], v[94:95]
	v_rcp_f64_e32 v[110:111], v[108:109]
	v_div_scale_f64 v[112:113], vcc, v[94:95], v[92:93], v[94:95]
	v_fma_f64 v[114:115], -v[108:109], v[110:111], 1.0
	v_fmac_f64_e32 v[110:111], v[110:111], v[114:115]
	v_fma_f64 v[114:115], -v[108:109], v[110:111], 1.0
	v_fmac_f64_e32 v[110:111], v[110:111], v[114:115]
	v_mul_f64 v[114:115], v[112:113], v[110:111]
	v_fma_f64 v[108:109], -v[108:109], v[114:115], v[112:113]
	v_div_fmas_f64 v[108:109], v[108:109], v[110:111], v[114:115]
	v_div_fixup_f64 v[108:109], v[108:109], v[92:93], v[94:95]
	v_fmac_f64_e32 v[92:93], v[94:95], v[108:109]
	v_div_scale_f64 v[94:95], s[18:19], v[92:93], v[92:93], 1.0
	v_rcp_f64_e32 v[110:111], v[94:95]
	s_nop 0
	v_fma_f64 v[112:113], -v[94:95], v[110:111], 1.0
	v_fmac_f64_e32 v[110:111], v[110:111], v[112:113]
	v_fma_f64 v[112:113], -v[94:95], v[110:111], 1.0
	v_fmac_f64_e32 v[110:111], v[110:111], v[112:113]
	v_div_scale_f64 v[112:113], vcc, 1.0, v[92:93], 1.0
	v_mul_f64 v[114:115], v[112:113], v[110:111]
	v_fma_f64 v[94:95], -v[94:95], v[114:115], v[112:113]
	s_nop 1
	v_div_fmas_f64 v[94:95], v[94:95], v[110:111], v[114:115]
	v_div_fixup_f64 v[92:93], v[94:95], v[92:93], 1.0
	v_mul_f64 v[94:95], v[108:109], -v[92:93]
.LBB44_177:
	s_or_b64 exec, exec, s[16:17]
.LBB44_178:
	s_or_b64 exec, exec, s[0:1]
	v_cmp_ne_u32_e32 vcc, v105, v102
	s_and_saveexec_b64 s[0:1], vcc
	s_xor_b64 s[0:1], exec, s[0:1]
	s_cbranch_execz .LBB44_184
; %bb.179:
	v_cmp_eq_u32_e32 vcc, 8, v105
	s_and_saveexec_b64 s[16:17], vcc
	s_cbranch_execz .LBB44_183
; %bb.180:
	v_cmp_ne_u32_e32 vcc, 8, v102
	s_xor_b64 s[18:19], s[14:15], -1
	s_and_b64 s[22:23], s[18:19], vcc
	s_and_saveexec_b64 s[18:19], s[22:23]
	s_cbranch_execz .LBB44_182
; %bb.181:
	v_ashrrev_i32_e32 v103, 31, v102
	v_lshl_add_u64 v[108:109], v[102:103], 2, v[100:101]
	global_load_dword v103, v[108:109], off
	global_load_dword v105, v[100:101], off offset:32
	s_waitcnt vmcnt(1)
	global_store_dword v[100:101], v103, off offset:32
	s_waitcnt vmcnt(1)
	global_store_dword v[108:109], v105, off
.LBB44_182:
	s_or_b64 exec, exec, s[18:19]
	v_mov_b32_e32 v105, v102
	v_mov_b32_e32 v106, v102
.LBB44_183:
	s_or_b64 exec, exec, s[16:17]
.LBB44_184:
	s_andn2_saveexec_b64 s[0:1], s[0:1]
	s_cbranch_execz .LBB44_186
; %bb.185:
	v_mov_b32_e32 v105, 8
	s_waitcnt vmcnt(13)
	ds_write2_b64 v104, v[48:49], v[50:51] offset0:18 offset1:19
	s_waitcnt vmcnt(12)
	ds_write2_b64 v104, v[44:45], v[46:47] offset0:20 offset1:21
	;; [unrolled: 2-line block ×14, first 2 shown]
.LBB44_186:
	s_or_b64 exec, exec, s[0:1]
	v_cmp_lt_i32_e32 vcc, 8, v105
	s_waitcnt lgkmcnt(0)
	s_barrier
	s_and_saveexec_b64 s[0:1], vcc
	s_cbranch_execz .LBB44_188
; %bb.187:
	ds_read2_b64 v[108:111], v104 offset0:18 offset1:19
	v_mul_f64 v[102:103], v[92:93], v[54:55]
	v_mul_f64 v[54:55], v[94:95], v[54:55]
	v_fmac_f64_e32 v[102:103], v[94:95], v[52:53]
	v_fma_f64 v[52:53], v[92:93], v[52:53], -v[54:55]
	ds_read2_b64 v[92:95], v104 offset0:20 offset1:21
	s_waitcnt lgkmcnt(1)
	v_mul_f64 v[54:55], v[110:111], v[102:103]
	v_fma_f64 v[54:55], v[108:109], v[52:53], -v[54:55]
	v_mul_f64 v[108:109], v[108:109], v[102:103]
	v_fmac_f64_e32 v[108:109], v[110:111], v[52:53]
	s_waitcnt vmcnt(13)
	v_add_f64 v[48:49], v[48:49], -v[54:55]
	s_waitcnt lgkmcnt(0)
	v_mul_f64 v[54:55], v[94:95], v[102:103]
	v_add_f64 v[50:51], v[50:51], -v[108:109]
	v_fma_f64 v[54:55], v[92:93], v[52:53], -v[54:55]
	v_mul_f64 v[92:93], v[92:93], v[102:103]
	ds_read2_b64 v[108:111], v104 offset0:22 offset1:23
	v_fmac_f64_e32 v[92:93], v[94:95], v[52:53]
	s_waitcnt vmcnt(12)
	v_add_f64 v[46:47], v[46:47], -v[92:93]
	ds_read2_b64 v[92:95], v104 offset0:24 offset1:25
	v_add_f64 v[44:45], v[44:45], -v[54:55]
	s_waitcnt lgkmcnt(1)
	v_mul_f64 v[54:55], v[110:111], v[102:103]
	v_fma_f64 v[54:55], v[108:109], v[52:53], -v[54:55]
	v_mul_f64 v[108:109], v[108:109], v[102:103]
	v_fmac_f64_e32 v[108:109], v[110:111], v[52:53]
	s_waitcnt vmcnt(11)
	v_add_f64 v[40:41], v[40:41], -v[54:55]
	s_waitcnt lgkmcnt(0)
	v_mul_f64 v[54:55], v[94:95], v[102:103]
	v_add_f64 v[42:43], v[42:43], -v[108:109]
	v_fma_f64 v[54:55], v[92:93], v[52:53], -v[54:55]
	v_mul_f64 v[92:93], v[92:93], v[102:103]
	ds_read2_b64 v[108:111], v104 offset0:26 offset1:27
	v_fmac_f64_e32 v[92:93], v[94:95], v[52:53]
	s_waitcnt vmcnt(10)
	v_add_f64 v[38:39], v[38:39], -v[92:93]
	ds_read2_b64 v[92:95], v104 offset0:28 offset1:29
	v_add_f64 v[36:37], v[36:37], -v[54:55]
	;; [unrolled: 18-line block ×6, first 2 shown]
	s_waitcnt lgkmcnt(1)
	v_mul_f64 v[54:55], v[110:111], v[102:103]
	v_fma_f64 v[54:55], v[108:109], v[52:53], -v[54:55]
	s_waitcnt vmcnt(1)
	v_add_f64 v[0:1], v[0:1], -v[54:55]
	s_waitcnt lgkmcnt(0)
	v_mul_f64 v[54:55], v[94:95], v[102:103]
	v_mul_f64 v[108:109], v[108:109], v[102:103]
	v_fma_f64 v[54:55], v[92:93], v[52:53], -v[54:55]
	v_mul_f64 v[92:93], v[92:93], v[102:103]
	v_fmac_f64_e32 v[108:109], v[110:111], v[52:53]
	v_fmac_f64_e32 v[92:93], v[94:95], v[52:53]
	v_add_f64 v[2:3], v[2:3], -v[108:109]
	s_waitcnt vmcnt(0)
	v_add_f64 v[88:89], v[88:89], -v[54:55]
	v_add_f64 v[90:91], v[90:91], -v[92:93]
	v_mov_b64_e32 v[54:55], v[102:103]
.LBB44_188:
	s_or_b64 exec, exec, s[0:1]
	v_lshl_add_u32 v92, v105, 4, v104
	s_barrier
	s_waitcnt vmcnt(13)
	ds_write2_b64 v92, v[48:49], v[50:51] offset1:1
	s_waitcnt lgkmcnt(0)
	s_barrier
	ds_read2_b64 v[92:95], v104 offset0:18 offset1:19
	s_cmp_lt_i32 s20, 11
	v_mov_b32_e32 v102, 9
	s_cbranch_scc1 .LBB44_191
; %bb.189:
	v_add_u32_e32 v103, 0xa0, v104
	s_mov_b32 s16, 10
	v_mov_b32_e32 v102, 9
.LBB44_190:                             ; =>This Inner Loop Header: Depth=1
	ds_read2_b64 v[108:111], v103 offset1:1
	s_waitcnt lgkmcnt(1)
	v_xor_b32_e32 v113, 0x80000000, v93
	v_xor_b32_e32 v115, 0x80000000, v95
	v_cmp_gt_f64_e32 vcc, 0, v[94:95]
	v_cmp_gt_f64_e64 s[0:1], 0, v[92:93]
	v_mov_b32_e32 v112, v92
	v_mov_b32_e32 v114, v94
	v_cndmask_b32_e64 v113, v93, v113, s[0:1]
	v_cndmask_b32_e32 v115, v95, v115, vcc
	v_add_f64 v[112:113], v[112:113], v[114:115]
	s_waitcnt lgkmcnt(0)
	v_xor_b32_e32 v115, 0x80000000, v109
	v_xor_b32_e32 v117, 0x80000000, v111
	v_cmp_gt_f64_e32 vcc, 0, v[110:111]
	v_cmp_gt_f64_e64 s[0:1], 0, v[108:109]
	v_mov_b32_e32 v114, v108
	v_mov_b32_e32 v116, v110
	v_cndmask_b32_e64 v115, v109, v115, s[0:1]
	v_cndmask_b32_e32 v117, v111, v117, vcc
	v_add_f64 v[114:115], v[114:115], v[116:117]
	v_mov_b32_e32 v118, s16
	s_add_i32 s16, s16, 1
	v_cmp_lt_f64_e32 vcc, v[112:113], v[114:115]
	v_add_u32_e32 v103, 16, v103
	s_cmp_lg_u32 s20, s16
	v_cndmask_b32_e32 v93, v93, v109, vcc
	v_cndmask_b32_e32 v92, v92, v108, vcc
	v_cndmask_b32_e32 v95, v95, v111, vcc
	v_cndmask_b32_e32 v94, v94, v110, vcc
	v_cndmask_b32_e32 v102, v102, v118, vcc
	s_cbranch_scc1 .LBB44_190
.LBB44_191:
	s_waitcnt lgkmcnt(0)
	v_cmp_eq_f64_e32 vcc, 0, v[92:93]
	v_cmp_eq_f64_e64 s[0:1], 0, v[94:95]
	s_and_b64 s[0:1], vcc, s[0:1]
	s_and_saveexec_b64 s[16:17], s[0:1]
	s_xor_b64 s[0:1], exec, s[16:17]
; %bb.192:
	v_cmp_ne_u32_e32 vcc, 0, v107
	s_nop 1
	v_cndmask_b32_e32 v107, 10, v107, vcc
; %bb.193:
	s_andn2_saveexec_b64 s[0:1], s[0:1]
	s_cbranch_execz .LBB44_199
; %bb.194:
	v_cmp_ngt_f64_e64 s[16:17], |v[92:93]|, |v[94:95]|
	s_and_saveexec_b64 s[18:19], s[16:17]
	s_xor_b64 s[16:17], exec, s[18:19]
	s_cbranch_execz .LBB44_196
; %bb.195:
	v_div_scale_f64 v[108:109], s[18:19], v[94:95], v[94:95], v[92:93]
	v_rcp_f64_e32 v[110:111], v[108:109]
	v_div_scale_f64 v[112:113], vcc, v[92:93], v[94:95], v[92:93]
	v_fma_f64 v[114:115], -v[108:109], v[110:111], 1.0
	v_fmac_f64_e32 v[110:111], v[110:111], v[114:115]
	v_fma_f64 v[114:115], -v[108:109], v[110:111], 1.0
	v_fmac_f64_e32 v[110:111], v[110:111], v[114:115]
	v_mul_f64 v[114:115], v[112:113], v[110:111]
	v_fma_f64 v[108:109], -v[108:109], v[114:115], v[112:113]
	v_div_fmas_f64 v[108:109], v[108:109], v[110:111], v[114:115]
	v_div_fixup_f64 v[108:109], v[108:109], v[94:95], v[92:93]
	v_fmac_f64_e32 v[94:95], v[92:93], v[108:109]
	v_div_scale_f64 v[92:93], s[18:19], v[94:95], v[94:95], 1.0
	v_rcp_f64_e32 v[110:111], v[92:93]
	s_nop 0
	v_fma_f64 v[112:113], -v[92:93], v[110:111], 1.0
	v_fmac_f64_e32 v[110:111], v[110:111], v[112:113]
	v_fma_f64 v[112:113], -v[92:93], v[110:111], 1.0
	v_fmac_f64_e32 v[110:111], v[110:111], v[112:113]
	v_div_scale_f64 v[112:113], vcc, 1.0, v[94:95], 1.0
	v_mul_f64 v[114:115], v[112:113], v[110:111]
	v_fma_f64 v[92:93], -v[92:93], v[114:115], v[112:113]
	s_nop 1
	v_div_fmas_f64 v[92:93], v[92:93], v[110:111], v[114:115]
	v_div_fixup_f64 v[94:95], v[92:93], v[94:95], 1.0
	v_mul_f64 v[92:93], v[108:109], v[94:95]
	v_xor_b32_e32 v95, 0x80000000, v95
.LBB44_196:
	s_andn2_saveexec_b64 s[16:17], s[16:17]
	s_cbranch_execz .LBB44_198
; %bb.197:
	v_div_scale_f64 v[108:109], s[18:19], v[92:93], v[92:93], v[94:95]
	v_rcp_f64_e32 v[110:111], v[108:109]
	v_div_scale_f64 v[112:113], vcc, v[94:95], v[92:93], v[94:95]
	v_fma_f64 v[114:115], -v[108:109], v[110:111], 1.0
	v_fmac_f64_e32 v[110:111], v[110:111], v[114:115]
	v_fma_f64 v[114:115], -v[108:109], v[110:111], 1.0
	v_fmac_f64_e32 v[110:111], v[110:111], v[114:115]
	v_mul_f64 v[114:115], v[112:113], v[110:111]
	v_fma_f64 v[108:109], -v[108:109], v[114:115], v[112:113]
	v_div_fmas_f64 v[108:109], v[108:109], v[110:111], v[114:115]
	v_div_fixup_f64 v[108:109], v[108:109], v[92:93], v[94:95]
	v_fmac_f64_e32 v[92:93], v[94:95], v[108:109]
	v_div_scale_f64 v[94:95], s[18:19], v[92:93], v[92:93], 1.0
	v_rcp_f64_e32 v[110:111], v[94:95]
	s_nop 0
	v_fma_f64 v[112:113], -v[94:95], v[110:111], 1.0
	v_fmac_f64_e32 v[110:111], v[110:111], v[112:113]
	v_fma_f64 v[112:113], -v[94:95], v[110:111], 1.0
	v_fmac_f64_e32 v[110:111], v[110:111], v[112:113]
	v_div_scale_f64 v[112:113], vcc, 1.0, v[92:93], 1.0
	v_mul_f64 v[114:115], v[112:113], v[110:111]
	v_fma_f64 v[94:95], -v[94:95], v[114:115], v[112:113]
	s_nop 1
	v_div_fmas_f64 v[94:95], v[94:95], v[110:111], v[114:115]
	v_div_fixup_f64 v[92:93], v[94:95], v[92:93], 1.0
	v_mul_f64 v[94:95], v[108:109], -v[92:93]
.LBB44_198:
	s_or_b64 exec, exec, s[16:17]
.LBB44_199:
	s_or_b64 exec, exec, s[0:1]
	v_cmp_ne_u32_e32 vcc, v105, v102
	s_and_saveexec_b64 s[0:1], vcc
	s_xor_b64 s[0:1], exec, s[0:1]
	s_cbranch_execz .LBB44_205
; %bb.200:
	v_cmp_eq_u32_e32 vcc, 9, v105
	s_and_saveexec_b64 s[16:17], vcc
	s_cbranch_execz .LBB44_204
; %bb.201:
	v_cmp_ne_u32_e32 vcc, 9, v102
	s_xor_b64 s[18:19], s[14:15], -1
	s_and_b64 s[22:23], s[18:19], vcc
	s_and_saveexec_b64 s[18:19], s[22:23]
	s_cbranch_execz .LBB44_203
; %bb.202:
	v_ashrrev_i32_e32 v103, 31, v102
	v_lshl_add_u64 v[108:109], v[102:103], 2, v[100:101]
	global_load_dword v103, v[108:109], off
	global_load_dword v105, v[100:101], off offset:36
	s_waitcnt vmcnt(1)
	global_store_dword v[100:101], v103, off offset:36
	s_waitcnt vmcnt(1)
	global_store_dword v[108:109], v105, off
.LBB44_203:
	s_or_b64 exec, exec, s[18:19]
	v_mov_b32_e32 v105, v102
	v_mov_b32_e32 v106, v102
.LBB44_204:
	s_or_b64 exec, exec, s[16:17]
.LBB44_205:
	s_andn2_saveexec_b64 s[0:1], s[0:1]
	s_cbranch_execz .LBB44_207
; %bb.206:
	v_mov_b32_e32 v105, 9
	s_waitcnt vmcnt(12)
	ds_write2_b64 v104, v[44:45], v[46:47] offset0:20 offset1:21
	s_waitcnt vmcnt(11)
	ds_write2_b64 v104, v[40:41], v[42:43] offset0:22 offset1:23
	;; [unrolled: 2-line block ×13, first 2 shown]
.LBB44_207:
	s_or_b64 exec, exec, s[0:1]
	v_cmp_lt_i32_e32 vcc, 9, v105
	s_waitcnt lgkmcnt(0)
	s_barrier
	s_and_saveexec_b64 s[0:1], vcc
	s_cbranch_execz .LBB44_209
; %bb.208:
	ds_read2_b64 v[108:111], v104 offset0:20 offset1:21
	v_mul_f64 v[102:103], v[92:93], v[50:51]
	v_fmac_f64_e32 v[102:103], v[94:95], v[48:49]
	v_mul_f64 v[50:51], v[94:95], v[50:51]
	v_fma_f64 v[48:49], v[92:93], v[48:49], -v[50:51]
	ds_read2_b64 v[92:95], v104 offset0:22 offset1:23
	s_waitcnt lgkmcnt(1)
	v_mul_f64 v[50:51], v[110:111], v[102:103]
	v_fma_f64 v[50:51], v[108:109], v[48:49], -v[50:51]
	v_mul_f64 v[108:109], v[108:109], v[102:103]
	v_fmac_f64_e32 v[108:109], v[110:111], v[48:49]
	s_waitcnt vmcnt(12)
	v_add_f64 v[46:47], v[46:47], -v[108:109]
	ds_read2_b64 v[108:111], v104 offset0:24 offset1:25
	v_add_f64 v[44:45], v[44:45], -v[50:51]
	s_waitcnt lgkmcnt(1)
	v_mul_f64 v[50:51], v[94:95], v[102:103]
	v_fma_f64 v[50:51], v[92:93], v[48:49], -v[50:51]
	v_mul_f64 v[92:93], v[92:93], v[102:103]
	v_fmac_f64_e32 v[92:93], v[94:95], v[48:49]
	s_waitcnt vmcnt(11)
	v_add_f64 v[40:41], v[40:41], -v[50:51]
	v_add_f64 v[42:43], v[42:43], -v[92:93]
	ds_read2_b64 v[92:95], v104 offset0:26 offset1:27
	s_waitcnt lgkmcnt(1)
	v_mul_f64 v[50:51], v[110:111], v[102:103]
	v_fma_f64 v[50:51], v[108:109], v[48:49], -v[50:51]
	v_mul_f64 v[108:109], v[108:109], v[102:103]
	v_fmac_f64_e32 v[108:109], v[110:111], v[48:49]
	s_waitcnt vmcnt(10)
	v_add_f64 v[38:39], v[38:39], -v[108:109]
	ds_read2_b64 v[108:111], v104 offset0:28 offset1:29
	v_add_f64 v[36:37], v[36:37], -v[50:51]
	s_waitcnt lgkmcnt(1)
	v_mul_f64 v[50:51], v[94:95], v[102:103]
	v_fma_f64 v[50:51], v[92:93], v[48:49], -v[50:51]
	v_mul_f64 v[92:93], v[92:93], v[102:103]
	v_fmac_f64_e32 v[92:93], v[94:95], v[48:49]
	s_waitcnt vmcnt(9)
	v_add_f64 v[32:33], v[32:33], -v[50:51]
	v_add_f64 v[34:35], v[34:35], -v[92:93]
	;; [unrolled: 18-line block ×6, first 2 shown]
	s_waitcnt lgkmcnt(0)
	v_mul_f64 v[50:51], v[110:111], v[102:103]
	v_mul_f64 v[92:93], v[108:109], v[102:103]
	v_fma_f64 v[50:51], v[108:109], v[48:49], -v[50:51]
	v_fmac_f64_e32 v[92:93], v[110:111], v[48:49]
	s_waitcnt vmcnt(0)
	v_add_f64 v[88:89], v[88:89], -v[50:51]
	v_add_f64 v[90:91], v[90:91], -v[92:93]
	v_mov_b64_e32 v[50:51], v[102:103]
.LBB44_209:
	s_or_b64 exec, exec, s[0:1]
	v_lshl_add_u32 v92, v105, 4, v104
	s_barrier
	s_waitcnt vmcnt(12)
	ds_write2_b64 v92, v[44:45], v[46:47] offset1:1
	s_waitcnt lgkmcnt(0)
	s_barrier
	ds_read2_b64 v[92:95], v104 offset0:20 offset1:21
	s_cmp_lt_i32 s20, 12
	v_mov_b32_e32 v102, 10
	s_cbranch_scc1 .LBB44_212
; %bb.210:
	v_add_u32_e32 v103, 0xb0, v104
	s_mov_b32 s16, 11
	v_mov_b32_e32 v102, 10
.LBB44_211:                             ; =>This Inner Loop Header: Depth=1
	ds_read2_b64 v[108:111], v103 offset1:1
	s_waitcnt lgkmcnt(1)
	v_xor_b32_e32 v113, 0x80000000, v93
	v_xor_b32_e32 v115, 0x80000000, v95
	v_cmp_gt_f64_e32 vcc, 0, v[94:95]
	v_cmp_gt_f64_e64 s[0:1], 0, v[92:93]
	v_mov_b32_e32 v112, v92
	v_mov_b32_e32 v114, v94
	v_cndmask_b32_e64 v113, v93, v113, s[0:1]
	v_cndmask_b32_e32 v115, v95, v115, vcc
	v_add_f64 v[112:113], v[112:113], v[114:115]
	s_waitcnt lgkmcnt(0)
	v_xor_b32_e32 v115, 0x80000000, v109
	v_xor_b32_e32 v117, 0x80000000, v111
	v_cmp_gt_f64_e32 vcc, 0, v[110:111]
	v_cmp_gt_f64_e64 s[0:1], 0, v[108:109]
	v_mov_b32_e32 v114, v108
	v_mov_b32_e32 v116, v110
	v_cndmask_b32_e64 v115, v109, v115, s[0:1]
	v_cndmask_b32_e32 v117, v111, v117, vcc
	v_add_f64 v[114:115], v[114:115], v[116:117]
	v_mov_b32_e32 v118, s16
	s_add_i32 s16, s16, 1
	v_cmp_lt_f64_e32 vcc, v[112:113], v[114:115]
	v_add_u32_e32 v103, 16, v103
	s_cmp_lg_u32 s20, s16
	v_cndmask_b32_e32 v93, v93, v109, vcc
	v_cndmask_b32_e32 v92, v92, v108, vcc
	;; [unrolled: 1-line block ×5, first 2 shown]
	s_cbranch_scc1 .LBB44_211
.LBB44_212:
	s_waitcnt lgkmcnt(0)
	v_cmp_eq_f64_e32 vcc, 0, v[92:93]
	v_cmp_eq_f64_e64 s[0:1], 0, v[94:95]
	s_and_b64 s[0:1], vcc, s[0:1]
	s_and_saveexec_b64 s[16:17], s[0:1]
	s_xor_b64 s[0:1], exec, s[16:17]
; %bb.213:
	v_cmp_ne_u32_e32 vcc, 0, v107
	s_nop 1
	v_cndmask_b32_e32 v107, 11, v107, vcc
; %bb.214:
	s_andn2_saveexec_b64 s[0:1], s[0:1]
	s_cbranch_execz .LBB44_220
; %bb.215:
	v_cmp_ngt_f64_e64 s[16:17], |v[92:93]|, |v[94:95]|
	s_and_saveexec_b64 s[18:19], s[16:17]
	s_xor_b64 s[16:17], exec, s[18:19]
	s_cbranch_execz .LBB44_217
; %bb.216:
	v_div_scale_f64 v[108:109], s[18:19], v[94:95], v[94:95], v[92:93]
	v_rcp_f64_e32 v[110:111], v[108:109]
	v_div_scale_f64 v[112:113], vcc, v[92:93], v[94:95], v[92:93]
	v_fma_f64 v[114:115], -v[108:109], v[110:111], 1.0
	v_fmac_f64_e32 v[110:111], v[110:111], v[114:115]
	v_fma_f64 v[114:115], -v[108:109], v[110:111], 1.0
	v_fmac_f64_e32 v[110:111], v[110:111], v[114:115]
	v_mul_f64 v[114:115], v[112:113], v[110:111]
	v_fma_f64 v[108:109], -v[108:109], v[114:115], v[112:113]
	v_div_fmas_f64 v[108:109], v[108:109], v[110:111], v[114:115]
	v_div_fixup_f64 v[108:109], v[108:109], v[94:95], v[92:93]
	v_fmac_f64_e32 v[94:95], v[92:93], v[108:109]
	v_div_scale_f64 v[92:93], s[18:19], v[94:95], v[94:95], 1.0
	v_rcp_f64_e32 v[110:111], v[92:93]
	s_nop 0
	v_fma_f64 v[112:113], -v[92:93], v[110:111], 1.0
	v_fmac_f64_e32 v[110:111], v[110:111], v[112:113]
	v_fma_f64 v[112:113], -v[92:93], v[110:111], 1.0
	v_fmac_f64_e32 v[110:111], v[110:111], v[112:113]
	v_div_scale_f64 v[112:113], vcc, 1.0, v[94:95], 1.0
	v_mul_f64 v[114:115], v[112:113], v[110:111]
	v_fma_f64 v[92:93], -v[92:93], v[114:115], v[112:113]
	s_nop 1
	v_div_fmas_f64 v[92:93], v[92:93], v[110:111], v[114:115]
	v_div_fixup_f64 v[94:95], v[92:93], v[94:95], 1.0
	v_mul_f64 v[92:93], v[108:109], v[94:95]
	v_xor_b32_e32 v95, 0x80000000, v95
.LBB44_217:
	s_andn2_saveexec_b64 s[16:17], s[16:17]
	s_cbranch_execz .LBB44_219
; %bb.218:
	v_div_scale_f64 v[108:109], s[18:19], v[92:93], v[92:93], v[94:95]
	v_rcp_f64_e32 v[110:111], v[108:109]
	v_div_scale_f64 v[112:113], vcc, v[94:95], v[92:93], v[94:95]
	v_fma_f64 v[114:115], -v[108:109], v[110:111], 1.0
	v_fmac_f64_e32 v[110:111], v[110:111], v[114:115]
	v_fma_f64 v[114:115], -v[108:109], v[110:111], 1.0
	v_fmac_f64_e32 v[110:111], v[110:111], v[114:115]
	v_mul_f64 v[114:115], v[112:113], v[110:111]
	v_fma_f64 v[108:109], -v[108:109], v[114:115], v[112:113]
	v_div_fmas_f64 v[108:109], v[108:109], v[110:111], v[114:115]
	v_div_fixup_f64 v[108:109], v[108:109], v[92:93], v[94:95]
	v_fmac_f64_e32 v[92:93], v[94:95], v[108:109]
	v_div_scale_f64 v[94:95], s[18:19], v[92:93], v[92:93], 1.0
	v_rcp_f64_e32 v[110:111], v[94:95]
	s_nop 0
	v_fma_f64 v[112:113], -v[94:95], v[110:111], 1.0
	v_fmac_f64_e32 v[110:111], v[110:111], v[112:113]
	v_fma_f64 v[112:113], -v[94:95], v[110:111], 1.0
	v_fmac_f64_e32 v[110:111], v[110:111], v[112:113]
	v_div_scale_f64 v[112:113], vcc, 1.0, v[92:93], 1.0
	v_mul_f64 v[114:115], v[112:113], v[110:111]
	v_fma_f64 v[94:95], -v[94:95], v[114:115], v[112:113]
	s_nop 1
	v_div_fmas_f64 v[94:95], v[94:95], v[110:111], v[114:115]
	v_div_fixup_f64 v[92:93], v[94:95], v[92:93], 1.0
	v_mul_f64 v[94:95], v[108:109], -v[92:93]
.LBB44_219:
	s_or_b64 exec, exec, s[16:17]
.LBB44_220:
	s_or_b64 exec, exec, s[0:1]
	v_cmp_ne_u32_e32 vcc, v105, v102
	s_and_saveexec_b64 s[0:1], vcc
	s_xor_b64 s[0:1], exec, s[0:1]
	s_cbranch_execz .LBB44_226
; %bb.221:
	v_cmp_eq_u32_e32 vcc, 10, v105
	s_and_saveexec_b64 s[16:17], vcc
	s_cbranch_execz .LBB44_225
; %bb.222:
	v_cmp_ne_u32_e32 vcc, 10, v102
	s_xor_b64 s[18:19], s[14:15], -1
	s_and_b64 s[22:23], s[18:19], vcc
	s_and_saveexec_b64 s[18:19], s[22:23]
	s_cbranch_execz .LBB44_224
; %bb.223:
	v_ashrrev_i32_e32 v103, 31, v102
	v_lshl_add_u64 v[108:109], v[102:103], 2, v[100:101]
	global_load_dword v103, v[108:109], off
	global_load_dword v105, v[100:101], off offset:40
	s_waitcnt vmcnt(1)
	global_store_dword v[100:101], v103, off offset:40
	s_waitcnt vmcnt(1)
	global_store_dword v[108:109], v105, off
.LBB44_224:
	s_or_b64 exec, exec, s[18:19]
	v_mov_b32_e32 v105, v102
	v_mov_b32_e32 v106, v102
.LBB44_225:
	s_or_b64 exec, exec, s[16:17]
.LBB44_226:
	s_andn2_saveexec_b64 s[0:1], s[0:1]
	s_cbranch_execz .LBB44_228
; %bb.227:
	v_mov_b32_e32 v105, 10
	s_waitcnt vmcnt(11)
	ds_write2_b64 v104, v[40:41], v[42:43] offset0:22 offset1:23
	s_waitcnt vmcnt(10)
	ds_write2_b64 v104, v[36:37], v[38:39] offset0:24 offset1:25
	;; [unrolled: 2-line block ×12, first 2 shown]
.LBB44_228:
	s_or_b64 exec, exec, s[0:1]
	v_cmp_lt_i32_e32 vcc, 10, v105
	s_waitcnt lgkmcnt(0)
	s_barrier
	s_and_saveexec_b64 s[0:1], vcc
	s_cbranch_execz .LBB44_230
; %bb.229:
	ds_read2_b64 v[108:111], v104 offset0:22 offset1:23
	v_mul_f64 v[102:103], v[92:93], v[46:47]
	v_mul_f64 v[46:47], v[94:95], v[46:47]
	v_fmac_f64_e32 v[102:103], v[94:95], v[44:45]
	v_fma_f64 v[44:45], v[92:93], v[44:45], -v[46:47]
	ds_read2_b64 v[92:95], v104 offset0:24 offset1:25
	s_waitcnt lgkmcnt(1)
	v_mul_f64 v[46:47], v[110:111], v[102:103]
	v_fma_f64 v[46:47], v[108:109], v[44:45], -v[46:47]
	v_mul_f64 v[108:109], v[108:109], v[102:103]
	v_fmac_f64_e32 v[108:109], v[110:111], v[44:45]
	s_waitcnt vmcnt(11)
	v_add_f64 v[40:41], v[40:41], -v[46:47]
	s_waitcnt lgkmcnt(0)
	v_mul_f64 v[46:47], v[94:95], v[102:103]
	v_add_f64 v[42:43], v[42:43], -v[108:109]
	v_fma_f64 v[46:47], v[92:93], v[44:45], -v[46:47]
	v_mul_f64 v[92:93], v[92:93], v[102:103]
	ds_read2_b64 v[108:111], v104 offset0:26 offset1:27
	v_fmac_f64_e32 v[92:93], v[94:95], v[44:45]
	s_waitcnt vmcnt(10)
	v_add_f64 v[38:39], v[38:39], -v[92:93]
	ds_read2_b64 v[92:95], v104 offset0:28 offset1:29
	v_add_f64 v[36:37], v[36:37], -v[46:47]
	s_waitcnt lgkmcnt(1)
	v_mul_f64 v[46:47], v[110:111], v[102:103]
	v_fma_f64 v[46:47], v[108:109], v[44:45], -v[46:47]
	v_mul_f64 v[108:109], v[108:109], v[102:103]
	v_fmac_f64_e32 v[108:109], v[110:111], v[44:45]
	s_waitcnt vmcnt(9)
	v_add_f64 v[32:33], v[32:33], -v[46:47]
	s_waitcnt lgkmcnt(0)
	v_mul_f64 v[46:47], v[94:95], v[102:103]
	v_add_f64 v[34:35], v[34:35], -v[108:109]
	v_fma_f64 v[46:47], v[92:93], v[44:45], -v[46:47]
	v_mul_f64 v[92:93], v[92:93], v[102:103]
	ds_read2_b64 v[108:111], v104 offset0:30 offset1:31
	v_fmac_f64_e32 v[92:93], v[94:95], v[44:45]
	s_waitcnt vmcnt(8)
	v_add_f64 v[30:31], v[30:31], -v[92:93]
	ds_read2_b64 v[92:95], v104 offset0:32 offset1:33
	v_add_f64 v[28:29], v[28:29], -v[46:47]
	;; [unrolled: 18-line block ×5, first 2 shown]
	s_waitcnt lgkmcnt(1)
	v_mul_f64 v[46:47], v[110:111], v[102:103]
	v_fma_f64 v[46:47], v[108:109], v[44:45], -v[46:47]
	s_waitcnt vmcnt(1)
	v_add_f64 v[0:1], v[0:1], -v[46:47]
	s_waitcnt lgkmcnt(0)
	v_mul_f64 v[46:47], v[94:95], v[102:103]
	v_mul_f64 v[108:109], v[108:109], v[102:103]
	v_fma_f64 v[46:47], v[92:93], v[44:45], -v[46:47]
	v_mul_f64 v[92:93], v[92:93], v[102:103]
	v_fmac_f64_e32 v[108:109], v[110:111], v[44:45]
	v_fmac_f64_e32 v[92:93], v[94:95], v[44:45]
	v_add_f64 v[2:3], v[2:3], -v[108:109]
	s_waitcnt vmcnt(0)
	v_add_f64 v[88:89], v[88:89], -v[46:47]
	v_add_f64 v[90:91], v[90:91], -v[92:93]
	v_mov_b64_e32 v[46:47], v[102:103]
.LBB44_230:
	s_or_b64 exec, exec, s[0:1]
	v_lshl_add_u32 v92, v105, 4, v104
	s_barrier
	s_waitcnt vmcnt(11)
	ds_write2_b64 v92, v[40:41], v[42:43] offset1:1
	s_waitcnt lgkmcnt(0)
	s_barrier
	ds_read2_b64 v[92:95], v104 offset0:22 offset1:23
	s_cmp_lt_i32 s20, 13
	v_mov_b32_e32 v102, 11
	s_cbranch_scc1 .LBB44_233
; %bb.231:
	v_add_u32_e32 v103, 0xc0, v104
	s_mov_b32 s16, 12
	v_mov_b32_e32 v102, 11
.LBB44_232:                             ; =>This Inner Loop Header: Depth=1
	ds_read2_b64 v[108:111], v103 offset1:1
	s_waitcnt lgkmcnt(1)
	v_xor_b32_e32 v113, 0x80000000, v93
	v_xor_b32_e32 v115, 0x80000000, v95
	v_cmp_gt_f64_e32 vcc, 0, v[94:95]
	v_cmp_gt_f64_e64 s[0:1], 0, v[92:93]
	v_mov_b32_e32 v112, v92
	v_mov_b32_e32 v114, v94
	v_cndmask_b32_e64 v113, v93, v113, s[0:1]
	v_cndmask_b32_e32 v115, v95, v115, vcc
	v_add_f64 v[112:113], v[112:113], v[114:115]
	s_waitcnt lgkmcnt(0)
	v_xor_b32_e32 v115, 0x80000000, v109
	v_xor_b32_e32 v117, 0x80000000, v111
	v_cmp_gt_f64_e32 vcc, 0, v[110:111]
	v_cmp_gt_f64_e64 s[0:1], 0, v[108:109]
	v_mov_b32_e32 v114, v108
	v_mov_b32_e32 v116, v110
	v_cndmask_b32_e64 v115, v109, v115, s[0:1]
	v_cndmask_b32_e32 v117, v111, v117, vcc
	v_add_f64 v[114:115], v[114:115], v[116:117]
	v_mov_b32_e32 v118, s16
	s_add_i32 s16, s16, 1
	v_cmp_lt_f64_e32 vcc, v[112:113], v[114:115]
	v_add_u32_e32 v103, 16, v103
	s_cmp_lg_u32 s20, s16
	v_cndmask_b32_e32 v93, v93, v109, vcc
	v_cndmask_b32_e32 v92, v92, v108, vcc
	;; [unrolled: 1-line block ×5, first 2 shown]
	s_cbranch_scc1 .LBB44_232
.LBB44_233:
	s_waitcnt lgkmcnt(0)
	v_cmp_eq_f64_e32 vcc, 0, v[92:93]
	v_cmp_eq_f64_e64 s[0:1], 0, v[94:95]
	s_and_b64 s[0:1], vcc, s[0:1]
	s_and_saveexec_b64 s[16:17], s[0:1]
	s_xor_b64 s[0:1], exec, s[16:17]
; %bb.234:
	v_cmp_ne_u32_e32 vcc, 0, v107
	s_nop 1
	v_cndmask_b32_e32 v107, 12, v107, vcc
; %bb.235:
	s_andn2_saveexec_b64 s[0:1], s[0:1]
	s_cbranch_execz .LBB44_241
; %bb.236:
	v_cmp_ngt_f64_e64 s[16:17], |v[92:93]|, |v[94:95]|
	s_and_saveexec_b64 s[18:19], s[16:17]
	s_xor_b64 s[16:17], exec, s[18:19]
	s_cbranch_execz .LBB44_238
; %bb.237:
	v_div_scale_f64 v[108:109], s[18:19], v[94:95], v[94:95], v[92:93]
	v_rcp_f64_e32 v[110:111], v[108:109]
	v_div_scale_f64 v[112:113], vcc, v[92:93], v[94:95], v[92:93]
	v_fma_f64 v[114:115], -v[108:109], v[110:111], 1.0
	v_fmac_f64_e32 v[110:111], v[110:111], v[114:115]
	v_fma_f64 v[114:115], -v[108:109], v[110:111], 1.0
	v_fmac_f64_e32 v[110:111], v[110:111], v[114:115]
	v_mul_f64 v[114:115], v[112:113], v[110:111]
	v_fma_f64 v[108:109], -v[108:109], v[114:115], v[112:113]
	v_div_fmas_f64 v[108:109], v[108:109], v[110:111], v[114:115]
	v_div_fixup_f64 v[108:109], v[108:109], v[94:95], v[92:93]
	v_fmac_f64_e32 v[94:95], v[92:93], v[108:109]
	v_div_scale_f64 v[92:93], s[18:19], v[94:95], v[94:95], 1.0
	v_rcp_f64_e32 v[110:111], v[92:93]
	s_nop 0
	v_fma_f64 v[112:113], -v[92:93], v[110:111], 1.0
	v_fmac_f64_e32 v[110:111], v[110:111], v[112:113]
	v_fma_f64 v[112:113], -v[92:93], v[110:111], 1.0
	v_fmac_f64_e32 v[110:111], v[110:111], v[112:113]
	v_div_scale_f64 v[112:113], vcc, 1.0, v[94:95], 1.0
	v_mul_f64 v[114:115], v[112:113], v[110:111]
	v_fma_f64 v[92:93], -v[92:93], v[114:115], v[112:113]
	s_nop 1
	v_div_fmas_f64 v[92:93], v[92:93], v[110:111], v[114:115]
	v_div_fixup_f64 v[94:95], v[92:93], v[94:95], 1.0
	v_mul_f64 v[92:93], v[108:109], v[94:95]
	v_xor_b32_e32 v95, 0x80000000, v95
.LBB44_238:
	s_andn2_saveexec_b64 s[16:17], s[16:17]
	s_cbranch_execz .LBB44_240
; %bb.239:
	v_div_scale_f64 v[108:109], s[18:19], v[92:93], v[92:93], v[94:95]
	v_rcp_f64_e32 v[110:111], v[108:109]
	v_div_scale_f64 v[112:113], vcc, v[94:95], v[92:93], v[94:95]
	v_fma_f64 v[114:115], -v[108:109], v[110:111], 1.0
	v_fmac_f64_e32 v[110:111], v[110:111], v[114:115]
	v_fma_f64 v[114:115], -v[108:109], v[110:111], 1.0
	v_fmac_f64_e32 v[110:111], v[110:111], v[114:115]
	v_mul_f64 v[114:115], v[112:113], v[110:111]
	v_fma_f64 v[108:109], -v[108:109], v[114:115], v[112:113]
	v_div_fmas_f64 v[108:109], v[108:109], v[110:111], v[114:115]
	v_div_fixup_f64 v[108:109], v[108:109], v[92:93], v[94:95]
	v_fmac_f64_e32 v[92:93], v[94:95], v[108:109]
	v_div_scale_f64 v[94:95], s[18:19], v[92:93], v[92:93], 1.0
	v_rcp_f64_e32 v[110:111], v[94:95]
	s_nop 0
	v_fma_f64 v[112:113], -v[94:95], v[110:111], 1.0
	v_fmac_f64_e32 v[110:111], v[110:111], v[112:113]
	v_fma_f64 v[112:113], -v[94:95], v[110:111], 1.0
	v_fmac_f64_e32 v[110:111], v[110:111], v[112:113]
	v_div_scale_f64 v[112:113], vcc, 1.0, v[92:93], 1.0
	v_mul_f64 v[114:115], v[112:113], v[110:111]
	v_fma_f64 v[94:95], -v[94:95], v[114:115], v[112:113]
	s_nop 1
	v_div_fmas_f64 v[94:95], v[94:95], v[110:111], v[114:115]
	v_div_fixup_f64 v[92:93], v[94:95], v[92:93], 1.0
	v_mul_f64 v[94:95], v[108:109], -v[92:93]
.LBB44_240:
	s_or_b64 exec, exec, s[16:17]
.LBB44_241:
	s_or_b64 exec, exec, s[0:1]
	v_cmp_ne_u32_e32 vcc, v105, v102
	s_and_saveexec_b64 s[0:1], vcc
	s_xor_b64 s[0:1], exec, s[0:1]
	s_cbranch_execz .LBB44_247
; %bb.242:
	v_cmp_eq_u32_e32 vcc, 11, v105
	s_and_saveexec_b64 s[16:17], vcc
	s_cbranch_execz .LBB44_246
; %bb.243:
	v_cmp_ne_u32_e32 vcc, 11, v102
	s_xor_b64 s[18:19], s[14:15], -1
	s_and_b64 s[22:23], s[18:19], vcc
	s_and_saveexec_b64 s[18:19], s[22:23]
	s_cbranch_execz .LBB44_245
; %bb.244:
	v_ashrrev_i32_e32 v103, 31, v102
	v_lshl_add_u64 v[108:109], v[102:103], 2, v[100:101]
	global_load_dword v103, v[108:109], off
	global_load_dword v105, v[100:101], off offset:44
	s_waitcnt vmcnt(1)
	global_store_dword v[100:101], v103, off offset:44
	s_waitcnt vmcnt(1)
	global_store_dword v[108:109], v105, off
.LBB44_245:
	s_or_b64 exec, exec, s[18:19]
	v_mov_b32_e32 v105, v102
	v_mov_b32_e32 v106, v102
.LBB44_246:
	s_or_b64 exec, exec, s[16:17]
.LBB44_247:
	s_andn2_saveexec_b64 s[0:1], s[0:1]
	s_cbranch_execz .LBB44_249
; %bb.248:
	v_mov_b32_e32 v105, 11
	s_waitcnt vmcnt(10)
	ds_write2_b64 v104, v[36:37], v[38:39] offset0:24 offset1:25
	s_waitcnt vmcnt(9)
	ds_write2_b64 v104, v[32:33], v[34:35] offset0:26 offset1:27
	;; [unrolled: 2-line block ×11, first 2 shown]
.LBB44_249:
	s_or_b64 exec, exec, s[0:1]
	v_cmp_lt_i32_e32 vcc, 11, v105
	s_waitcnt lgkmcnt(0)
	s_barrier
	s_and_saveexec_b64 s[0:1], vcc
	s_cbranch_execz .LBB44_251
; %bb.250:
	ds_read2_b64 v[108:111], v104 offset0:24 offset1:25
	v_mul_f64 v[102:103], v[92:93], v[42:43]
	v_fmac_f64_e32 v[102:103], v[94:95], v[40:41]
	v_mul_f64 v[42:43], v[94:95], v[42:43]
	v_fma_f64 v[40:41], v[92:93], v[40:41], -v[42:43]
	ds_read2_b64 v[92:95], v104 offset0:26 offset1:27
	s_waitcnt lgkmcnt(1)
	v_mul_f64 v[42:43], v[110:111], v[102:103]
	v_fma_f64 v[42:43], v[108:109], v[40:41], -v[42:43]
	v_mul_f64 v[108:109], v[108:109], v[102:103]
	v_fmac_f64_e32 v[108:109], v[110:111], v[40:41]
	s_waitcnt vmcnt(10)
	v_add_f64 v[38:39], v[38:39], -v[108:109]
	ds_read2_b64 v[108:111], v104 offset0:28 offset1:29
	v_add_f64 v[36:37], v[36:37], -v[42:43]
	s_waitcnt lgkmcnt(1)
	v_mul_f64 v[42:43], v[94:95], v[102:103]
	v_fma_f64 v[42:43], v[92:93], v[40:41], -v[42:43]
	v_mul_f64 v[92:93], v[92:93], v[102:103]
	v_fmac_f64_e32 v[92:93], v[94:95], v[40:41]
	s_waitcnt vmcnt(9)
	v_add_f64 v[32:33], v[32:33], -v[42:43]
	v_add_f64 v[34:35], v[34:35], -v[92:93]
	ds_read2_b64 v[92:95], v104 offset0:30 offset1:31
	s_waitcnt lgkmcnt(1)
	v_mul_f64 v[42:43], v[110:111], v[102:103]
	v_fma_f64 v[42:43], v[108:109], v[40:41], -v[42:43]
	v_mul_f64 v[108:109], v[108:109], v[102:103]
	v_fmac_f64_e32 v[108:109], v[110:111], v[40:41]
	s_waitcnt vmcnt(8)
	v_add_f64 v[30:31], v[30:31], -v[108:109]
	ds_read2_b64 v[108:111], v104 offset0:32 offset1:33
	v_add_f64 v[28:29], v[28:29], -v[42:43]
	s_waitcnt lgkmcnt(1)
	v_mul_f64 v[42:43], v[94:95], v[102:103]
	v_fma_f64 v[42:43], v[92:93], v[40:41], -v[42:43]
	v_mul_f64 v[92:93], v[92:93], v[102:103]
	v_fmac_f64_e32 v[92:93], v[94:95], v[40:41]
	s_waitcnt vmcnt(7)
	v_add_f64 v[24:25], v[24:25], -v[42:43]
	v_add_f64 v[26:27], v[26:27], -v[92:93]
	;; [unrolled: 18-line block ×5, first 2 shown]
	s_waitcnt lgkmcnt(0)
	v_mul_f64 v[42:43], v[110:111], v[102:103]
	v_mul_f64 v[92:93], v[108:109], v[102:103]
	v_fma_f64 v[42:43], v[108:109], v[40:41], -v[42:43]
	v_fmac_f64_e32 v[92:93], v[110:111], v[40:41]
	s_waitcnt vmcnt(0)
	v_add_f64 v[88:89], v[88:89], -v[42:43]
	v_add_f64 v[90:91], v[90:91], -v[92:93]
	v_mov_b64_e32 v[42:43], v[102:103]
.LBB44_251:
	s_or_b64 exec, exec, s[0:1]
	v_lshl_add_u32 v92, v105, 4, v104
	s_barrier
	s_waitcnt vmcnt(10)
	ds_write2_b64 v92, v[36:37], v[38:39] offset1:1
	s_waitcnt lgkmcnt(0)
	s_barrier
	ds_read2_b64 v[92:95], v104 offset0:24 offset1:25
	s_cmp_lt_i32 s20, 14
	v_mov_b32_e32 v102, 12
	s_cbranch_scc1 .LBB44_254
; %bb.252:
	v_add_u32_e32 v103, 0xd0, v104
	s_mov_b32 s16, 13
	v_mov_b32_e32 v102, 12
.LBB44_253:                             ; =>This Inner Loop Header: Depth=1
	ds_read2_b64 v[108:111], v103 offset1:1
	s_waitcnt lgkmcnt(1)
	v_xor_b32_e32 v113, 0x80000000, v93
	v_xor_b32_e32 v115, 0x80000000, v95
	v_cmp_gt_f64_e32 vcc, 0, v[94:95]
	v_cmp_gt_f64_e64 s[0:1], 0, v[92:93]
	v_mov_b32_e32 v112, v92
	v_mov_b32_e32 v114, v94
	v_cndmask_b32_e64 v113, v93, v113, s[0:1]
	v_cndmask_b32_e32 v115, v95, v115, vcc
	v_add_f64 v[112:113], v[112:113], v[114:115]
	s_waitcnt lgkmcnt(0)
	v_xor_b32_e32 v115, 0x80000000, v109
	v_xor_b32_e32 v117, 0x80000000, v111
	v_cmp_gt_f64_e32 vcc, 0, v[110:111]
	v_cmp_gt_f64_e64 s[0:1], 0, v[108:109]
	v_mov_b32_e32 v114, v108
	v_mov_b32_e32 v116, v110
	v_cndmask_b32_e64 v115, v109, v115, s[0:1]
	v_cndmask_b32_e32 v117, v111, v117, vcc
	v_add_f64 v[114:115], v[114:115], v[116:117]
	v_mov_b32_e32 v118, s16
	s_add_i32 s16, s16, 1
	v_cmp_lt_f64_e32 vcc, v[112:113], v[114:115]
	v_add_u32_e32 v103, 16, v103
	s_cmp_lg_u32 s20, s16
	v_cndmask_b32_e32 v93, v93, v109, vcc
	v_cndmask_b32_e32 v92, v92, v108, vcc
	;; [unrolled: 1-line block ×5, first 2 shown]
	s_cbranch_scc1 .LBB44_253
.LBB44_254:
	s_waitcnt lgkmcnt(0)
	v_cmp_eq_f64_e32 vcc, 0, v[92:93]
	v_cmp_eq_f64_e64 s[0:1], 0, v[94:95]
	s_and_b64 s[0:1], vcc, s[0:1]
	s_and_saveexec_b64 s[16:17], s[0:1]
	s_xor_b64 s[0:1], exec, s[16:17]
; %bb.255:
	v_cmp_ne_u32_e32 vcc, 0, v107
	s_nop 1
	v_cndmask_b32_e32 v107, 13, v107, vcc
; %bb.256:
	s_andn2_saveexec_b64 s[0:1], s[0:1]
	s_cbranch_execz .LBB44_262
; %bb.257:
	v_cmp_ngt_f64_e64 s[16:17], |v[92:93]|, |v[94:95]|
	s_and_saveexec_b64 s[18:19], s[16:17]
	s_xor_b64 s[16:17], exec, s[18:19]
	s_cbranch_execz .LBB44_259
; %bb.258:
	v_div_scale_f64 v[108:109], s[18:19], v[94:95], v[94:95], v[92:93]
	v_rcp_f64_e32 v[110:111], v[108:109]
	v_div_scale_f64 v[112:113], vcc, v[92:93], v[94:95], v[92:93]
	v_fma_f64 v[114:115], -v[108:109], v[110:111], 1.0
	v_fmac_f64_e32 v[110:111], v[110:111], v[114:115]
	v_fma_f64 v[114:115], -v[108:109], v[110:111], 1.0
	v_fmac_f64_e32 v[110:111], v[110:111], v[114:115]
	v_mul_f64 v[114:115], v[112:113], v[110:111]
	v_fma_f64 v[108:109], -v[108:109], v[114:115], v[112:113]
	v_div_fmas_f64 v[108:109], v[108:109], v[110:111], v[114:115]
	v_div_fixup_f64 v[108:109], v[108:109], v[94:95], v[92:93]
	v_fmac_f64_e32 v[94:95], v[92:93], v[108:109]
	v_div_scale_f64 v[92:93], s[18:19], v[94:95], v[94:95], 1.0
	v_rcp_f64_e32 v[110:111], v[92:93]
	s_nop 0
	v_fma_f64 v[112:113], -v[92:93], v[110:111], 1.0
	v_fmac_f64_e32 v[110:111], v[110:111], v[112:113]
	v_fma_f64 v[112:113], -v[92:93], v[110:111], 1.0
	v_fmac_f64_e32 v[110:111], v[110:111], v[112:113]
	v_div_scale_f64 v[112:113], vcc, 1.0, v[94:95], 1.0
	v_mul_f64 v[114:115], v[112:113], v[110:111]
	v_fma_f64 v[92:93], -v[92:93], v[114:115], v[112:113]
	s_nop 1
	v_div_fmas_f64 v[92:93], v[92:93], v[110:111], v[114:115]
	v_div_fixup_f64 v[94:95], v[92:93], v[94:95], 1.0
	v_mul_f64 v[92:93], v[108:109], v[94:95]
	v_xor_b32_e32 v95, 0x80000000, v95
.LBB44_259:
	s_andn2_saveexec_b64 s[16:17], s[16:17]
	s_cbranch_execz .LBB44_261
; %bb.260:
	v_div_scale_f64 v[108:109], s[18:19], v[92:93], v[92:93], v[94:95]
	v_rcp_f64_e32 v[110:111], v[108:109]
	v_div_scale_f64 v[112:113], vcc, v[94:95], v[92:93], v[94:95]
	v_fma_f64 v[114:115], -v[108:109], v[110:111], 1.0
	v_fmac_f64_e32 v[110:111], v[110:111], v[114:115]
	v_fma_f64 v[114:115], -v[108:109], v[110:111], 1.0
	v_fmac_f64_e32 v[110:111], v[110:111], v[114:115]
	v_mul_f64 v[114:115], v[112:113], v[110:111]
	v_fma_f64 v[108:109], -v[108:109], v[114:115], v[112:113]
	v_div_fmas_f64 v[108:109], v[108:109], v[110:111], v[114:115]
	v_div_fixup_f64 v[108:109], v[108:109], v[92:93], v[94:95]
	v_fmac_f64_e32 v[92:93], v[94:95], v[108:109]
	v_div_scale_f64 v[94:95], s[18:19], v[92:93], v[92:93], 1.0
	v_rcp_f64_e32 v[110:111], v[94:95]
	s_nop 0
	v_fma_f64 v[112:113], -v[94:95], v[110:111], 1.0
	v_fmac_f64_e32 v[110:111], v[110:111], v[112:113]
	v_fma_f64 v[112:113], -v[94:95], v[110:111], 1.0
	v_fmac_f64_e32 v[110:111], v[110:111], v[112:113]
	v_div_scale_f64 v[112:113], vcc, 1.0, v[92:93], 1.0
	v_mul_f64 v[114:115], v[112:113], v[110:111]
	v_fma_f64 v[94:95], -v[94:95], v[114:115], v[112:113]
	s_nop 1
	v_div_fmas_f64 v[94:95], v[94:95], v[110:111], v[114:115]
	v_div_fixup_f64 v[92:93], v[94:95], v[92:93], 1.0
	v_mul_f64 v[94:95], v[108:109], -v[92:93]
.LBB44_261:
	s_or_b64 exec, exec, s[16:17]
.LBB44_262:
	s_or_b64 exec, exec, s[0:1]
	v_cmp_ne_u32_e32 vcc, v105, v102
	s_and_saveexec_b64 s[0:1], vcc
	s_xor_b64 s[0:1], exec, s[0:1]
	s_cbranch_execz .LBB44_268
; %bb.263:
	v_cmp_eq_u32_e32 vcc, 12, v105
	s_and_saveexec_b64 s[16:17], vcc
	s_cbranch_execz .LBB44_267
; %bb.264:
	v_cmp_ne_u32_e32 vcc, 12, v102
	s_xor_b64 s[18:19], s[14:15], -1
	s_and_b64 s[22:23], s[18:19], vcc
	s_and_saveexec_b64 s[18:19], s[22:23]
	s_cbranch_execz .LBB44_266
; %bb.265:
	v_ashrrev_i32_e32 v103, 31, v102
	v_lshl_add_u64 v[108:109], v[102:103], 2, v[100:101]
	global_load_dword v103, v[108:109], off
	global_load_dword v105, v[100:101], off offset:48
	s_waitcnt vmcnt(1)
	global_store_dword v[100:101], v103, off offset:48
	s_waitcnt vmcnt(1)
	global_store_dword v[108:109], v105, off
.LBB44_266:
	s_or_b64 exec, exec, s[18:19]
	v_mov_b32_e32 v105, v102
	v_mov_b32_e32 v106, v102
.LBB44_267:
	s_or_b64 exec, exec, s[16:17]
.LBB44_268:
	s_andn2_saveexec_b64 s[0:1], s[0:1]
	s_cbranch_execz .LBB44_270
; %bb.269:
	v_mov_b32_e32 v105, 12
	s_waitcnt vmcnt(9)
	ds_write2_b64 v104, v[32:33], v[34:35] offset0:26 offset1:27
	s_waitcnt vmcnt(8)
	ds_write2_b64 v104, v[28:29], v[30:31] offset0:28 offset1:29
	;; [unrolled: 2-line block ×10, first 2 shown]
.LBB44_270:
	s_or_b64 exec, exec, s[0:1]
	v_cmp_lt_i32_e32 vcc, 12, v105
	s_waitcnt lgkmcnt(0)
	s_barrier
	s_and_saveexec_b64 s[0:1], vcc
	s_cbranch_execz .LBB44_272
; %bb.271:
	ds_read2_b64 v[108:111], v104 offset0:26 offset1:27
	v_mul_f64 v[102:103], v[92:93], v[38:39]
	v_mul_f64 v[38:39], v[94:95], v[38:39]
	v_fmac_f64_e32 v[102:103], v[94:95], v[36:37]
	v_fma_f64 v[36:37], v[92:93], v[36:37], -v[38:39]
	ds_read2_b64 v[92:95], v104 offset0:28 offset1:29
	s_waitcnt lgkmcnt(1)
	v_mul_f64 v[38:39], v[110:111], v[102:103]
	v_fma_f64 v[38:39], v[108:109], v[36:37], -v[38:39]
	v_mul_f64 v[108:109], v[108:109], v[102:103]
	v_fmac_f64_e32 v[108:109], v[110:111], v[36:37]
	s_waitcnt vmcnt(9)
	v_add_f64 v[32:33], v[32:33], -v[38:39]
	s_waitcnt lgkmcnt(0)
	v_mul_f64 v[38:39], v[94:95], v[102:103]
	v_add_f64 v[34:35], v[34:35], -v[108:109]
	v_fma_f64 v[38:39], v[92:93], v[36:37], -v[38:39]
	v_mul_f64 v[92:93], v[92:93], v[102:103]
	ds_read2_b64 v[108:111], v104 offset0:30 offset1:31
	v_fmac_f64_e32 v[92:93], v[94:95], v[36:37]
	s_waitcnt vmcnt(8)
	v_add_f64 v[30:31], v[30:31], -v[92:93]
	ds_read2_b64 v[92:95], v104 offset0:32 offset1:33
	v_add_f64 v[28:29], v[28:29], -v[38:39]
	s_waitcnt lgkmcnt(1)
	v_mul_f64 v[38:39], v[110:111], v[102:103]
	v_fma_f64 v[38:39], v[108:109], v[36:37], -v[38:39]
	v_mul_f64 v[108:109], v[108:109], v[102:103]
	v_fmac_f64_e32 v[108:109], v[110:111], v[36:37]
	s_waitcnt vmcnt(7)
	v_add_f64 v[24:25], v[24:25], -v[38:39]
	s_waitcnt lgkmcnt(0)
	v_mul_f64 v[38:39], v[94:95], v[102:103]
	v_add_f64 v[26:27], v[26:27], -v[108:109]
	v_fma_f64 v[38:39], v[92:93], v[36:37], -v[38:39]
	v_mul_f64 v[92:93], v[92:93], v[102:103]
	ds_read2_b64 v[108:111], v104 offset0:34 offset1:35
	v_fmac_f64_e32 v[92:93], v[94:95], v[36:37]
	s_waitcnt vmcnt(6)
	v_add_f64 v[18:19], v[18:19], -v[92:93]
	ds_read2_b64 v[92:95], v104 offset0:36 offset1:37
	v_add_f64 v[16:17], v[16:17], -v[38:39]
	;; [unrolled: 18-line block ×4, first 2 shown]
	s_waitcnt lgkmcnt(1)
	v_mul_f64 v[38:39], v[110:111], v[102:103]
	v_fma_f64 v[38:39], v[108:109], v[36:37], -v[38:39]
	s_waitcnt vmcnt(1)
	v_add_f64 v[0:1], v[0:1], -v[38:39]
	s_waitcnt lgkmcnt(0)
	v_mul_f64 v[38:39], v[94:95], v[102:103]
	v_mul_f64 v[108:109], v[108:109], v[102:103]
	v_fma_f64 v[38:39], v[92:93], v[36:37], -v[38:39]
	v_mul_f64 v[92:93], v[92:93], v[102:103]
	v_fmac_f64_e32 v[108:109], v[110:111], v[36:37]
	v_fmac_f64_e32 v[92:93], v[94:95], v[36:37]
	v_add_f64 v[2:3], v[2:3], -v[108:109]
	s_waitcnt vmcnt(0)
	v_add_f64 v[88:89], v[88:89], -v[38:39]
	v_add_f64 v[90:91], v[90:91], -v[92:93]
	v_mov_b64_e32 v[38:39], v[102:103]
.LBB44_272:
	s_or_b64 exec, exec, s[0:1]
	v_lshl_add_u32 v92, v105, 4, v104
	s_barrier
	s_waitcnt vmcnt(9)
	ds_write2_b64 v92, v[32:33], v[34:35] offset1:1
	s_waitcnt lgkmcnt(0)
	s_barrier
	ds_read2_b64 v[92:95], v104 offset0:26 offset1:27
	s_cmp_lt_i32 s20, 15
	v_mov_b32_e32 v102, 13
	s_cbranch_scc1 .LBB44_275
; %bb.273:
	v_add_u32_e32 v103, 0xe0, v104
	s_mov_b32 s16, 14
	v_mov_b32_e32 v102, 13
.LBB44_274:                             ; =>This Inner Loop Header: Depth=1
	ds_read2_b64 v[108:111], v103 offset1:1
	s_waitcnt lgkmcnt(1)
	v_xor_b32_e32 v113, 0x80000000, v93
	v_xor_b32_e32 v115, 0x80000000, v95
	v_cmp_gt_f64_e32 vcc, 0, v[94:95]
	v_cmp_gt_f64_e64 s[0:1], 0, v[92:93]
	v_mov_b32_e32 v112, v92
	v_mov_b32_e32 v114, v94
	v_cndmask_b32_e64 v113, v93, v113, s[0:1]
	v_cndmask_b32_e32 v115, v95, v115, vcc
	v_add_f64 v[112:113], v[112:113], v[114:115]
	s_waitcnt lgkmcnt(0)
	v_xor_b32_e32 v115, 0x80000000, v109
	v_xor_b32_e32 v117, 0x80000000, v111
	v_cmp_gt_f64_e32 vcc, 0, v[110:111]
	v_cmp_gt_f64_e64 s[0:1], 0, v[108:109]
	v_mov_b32_e32 v114, v108
	v_mov_b32_e32 v116, v110
	v_cndmask_b32_e64 v115, v109, v115, s[0:1]
	v_cndmask_b32_e32 v117, v111, v117, vcc
	v_add_f64 v[114:115], v[114:115], v[116:117]
	v_mov_b32_e32 v118, s16
	s_add_i32 s16, s16, 1
	v_cmp_lt_f64_e32 vcc, v[112:113], v[114:115]
	v_add_u32_e32 v103, 16, v103
	s_cmp_lg_u32 s20, s16
	v_cndmask_b32_e32 v93, v93, v109, vcc
	v_cndmask_b32_e32 v92, v92, v108, vcc
	;; [unrolled: 1-line block ×5, first 2 shown]
	s_cbranch_scc1 .LBB44_274
.LBB44_275:
	s_waitcnt lgkmcnt(0)
	v_cmp_eq_f64_e32 vcc, 0, v[92:93]
	v_cmp_eq_f64_e64 s[0:1], 0, v[94:95]
	s_and_b64 s[0:1], vcc, s[0:1]
	s_and_saveexec_b64 s[16:17], s[0:1]
	s_xor_b64 s[0:1], exec, s[16:17]
; %bb.276:
	v_cmp_ne_u32_e32 vcc, 0, v107
	s_nop 1
	v_cndmask_b32_e32 v107, 14, v107, vcc
; %bb.277:
	s_andn2_saveexec_b64 s[0:1], s[0:1]
	s_cbranch_execz .LBB44_283
; %bb.278:
	v_cmp_ngt_f64_e64 s[16:17], |v[92:93]|, |v[94:95]|
	s_and_saveexec_b64 s[18:19], s[16:17]
	s_xor_b64 s[16:17], exec, s[18:19]
	s_cbranch_execz .LBB44_280
; %bb.279:
	v_div_scale_f64 v[108:109], s[18:19], v[94:95], v[94:95], v[92:93]
	v_rcp_f64_e32 v[110:111], v[108:109]
	v_div_scale_f64 v[112:113], vcc, v[92:93], v[94:95], v[92:93]
	v_fma_f64 v[114:115], -v[108:109], v[110:111], 1.0
	v_fmac_f64_e32 v[110:111], v[110:111], v[114:115]
	v_fma_f64 v[114:115], -v[108:109], v[110:111], 1.0
	v_fmac_f64_e32 v[110:111], v[110:111], v[114:115]
	v_mul_f64 v[114:115], v[112:113], v[110:111]
	v_fma_f64 v[108:109], -v[108:109], v[114:115], v[112:113]
	v_div_fmas_f64 v[108:109], v[108:109], v[110:111], v[114:115]
	v_div_fixup_f64 v[108:109], v[108:109], v[94:95], v[92:93]
	v_fmac_f64_e32 v[94:95], v[92:93], v[108:109]
	v_div_scale_f64 v[92:93], s[18:19], v[94:95], v[94:95], 1.0
	v_rcp_f64_e32 v[110:111], v[92:93]
	s_nop 0
	v_fma_f64 v[112:113], -v[92:93], v[110:111], 1.0
	v_fmac_f64_e32 v[110:111], v[110:111], v[112:113]
	v_fma_f64 v[112:113], -v[92:93], v[110:111], 1.0
	v_fmac_f64_e32 v[110:111], v[110:111], v[112:113]
	v_div_scale_f64 v[112:113], vcc, 1.0, v[94:95], 1.0
	v_mul_f64 v[114:115], v[112:113], v[110:111]
	v_fma_f64 v[92:93], -v[92:93], v[114:115], v[112:113]
	s_nop 1
	v_div_fmas_f64 v[92:93], v[92:93], v[110:111], v[114:115]
	v_div_fixup_f64 v[94:95], v[92:93], v[94:95], 1.0
	v_mul_f64 v[92:93], v[108:109], v[94:95]
	v_xor_b32_e32 v95, 0x80000000, v95
.LBB44_280:
	s_andn2_saveexec_b64 s[16:17], s[16:17]
	s_cbranch_execz .LBB44_282
; %bb.281:
	v_div_scale_f64 v[108:109], s[18:19], v[92:93], v[92:93], v[94:95]
	v_rcp_f64_e32 v[110:111], v[108:109]
	v_div_scale_f64 v[112:113], vcc, v[94:95], v[92:93], v[94:95]
	v_fma_f64 v[114:115], -v[108:109], v[110:111], 1.0
	v_fmac_f64_e32 v[110:111], v[110:111], v[114:115]
	v_fma_f64 v[114:115], -v[108:109], v[110:111], 1.0
	v_fmac_f64_e32 v[110:111], v[110:111], v[114:115]
	v_mul_f64 v[114:115], v[112:113], v[110:111]
	v_fma_f64 v[108:109], -v[108:109], v[114:115], v[112:113]
	v_div_fmas_f64 v[108:109], v[108:109], v[110:111], v[114:115]
	v_div_fixup_f64 v[108:109], v[108:109], v[92:93], v[94:95]
	v_fmac_f64_e32 v[92:93], v[94:95], v[108:109]
	v_div_scale_f64 v[94:95], s[18:19], v[92:93], v[92:93], 1.0
	v_rcp_f64_e32 v[110:111], v[94:95]
	s_nop 0
	v_fma_f64 v[112:113], -v[94:95], v[110:111], 1.0
	v_fmac_f64_e32 v[110:111], v[110:111], v[112:113]
	v_fma_f64 v[112:113], -v[94:95], v[110:111], 1.0
	v_fmac_f64_e32 v[110:111], v[110:111], v[112:113]
	v_div_scale_f64 v[112:113], vcc, 1.0, v[92:93], 1.0
	v_mul_f64 v[114:115], v[112:113], v[110:111]
	v_fma_f64 v[94:95], -v[94:95], v[114:115], v[112:113]
	s_nop 1
	v_div_fmas_f64 v[94:95], v[94:95], v[110:111], v[114:115]
	v_div_fixup_f64 v[92:93], v[94:95], v[92:93], 1.0
	v_mul_f64 v[94:95], v[108:109], -v[92:93]
.LBB44_282:
	s_or_b64 exec, exec, s[16:17]
.LBB44_283:
	s_or_b64 exec, exec, s[0:1]
	v_cmp_ne_u32_e32 vcc, v105, v102
	s_and_saveexec_b64 s[0:1], vcc
	s_xor_b64 s[0:1], exec, s[0:1]
	s_cbranch_execz .LBB44_289
; %bb.284:
	v_cmp_eq_u32_e32 vcc, 13, v105
	s_and_saveexec_b64 s[16:17], vcc
	s_cbranch_execz .LBB44_288
; %bb.285:
	v_cmp_ne_u32_e32 vcc, 13, v102
	s_xor_b64 s[18:19], s[14:15], -1
	s_and_b64 s[22:23], s[18:19], vcc
	s_and_saveexec_b64 s[18:19], s[22:23]
	s_cbranch_execz .LBB44_287
; %bb.286:
	v_ashrrev_i32_e32 v103, 31, v102
	v_lshl_add_u64 v[108:109], v[102:103], 2, v[100:101]
	global_load_dword v103, v[108:109], off
	global_load_dword v105, v[100:101], off offset:52
	s_waitcnt vmcnt(1)
	global_store_dword v[100:101], v103, off offset:52
	s_waitcnt vmcnt(1)
	global_store_dword v[108:109], v105, off
.LBB44_287:
	s_or_b64 exec, exec, s[18:19]
	v_mov_b32_e32 v105, v102
	v_mov_b32_e32 v106, v102
.LBB44_288:
	s_or_b64 exec, exec, s[16:17]
.LBB44_289:
	s_andn2_saveexec_b64 s[0:1], s[0:1]
	s_cbranch_execz .LBB44_291
; %bb.290:
	v_mov_b32_e32 v105, 13
	s_waitcnt vmcnt(8)
	ds_write2_b64 v104, v[28:29], v[30:31] offset0:28 offset1:29
	s_waitcnt vmcnt(7)
	ds_write2_b64 v104, v[24:25], v[26:27] offset0:30 offset1:31
	;; [unrolled: 2-line block ×9, first 2 shown]
.LBB44_291:
	s_or_b64 exec, exec, s[0:1]
	v_cmp_lt_i32_e32 vcc, 13, v105
	s_waitcnt lgkmcnt(0)
	s_barrier
	s_and_saveexec_b64 s[0:1], vcc
	s_cbranch_execz .LBB44_293
; %bb.292:
	ds_read2_b64 v[108:111], v104 offset0:28 offset1:29
	v_mul_f64 v[102:103], v[92:93], v[34:35]
	v_fmac_f64_e32 v[102:103], v[94:95], v[32:33]
	v_mul_f64 v[34:35], v[94:95], v[34:35]
	v_fma_f64 v[32:33], v[92:93], v[32:33], -v[34:35]
	ds_read2_b64 v[92:95], v104 offset0:30 offset1:31
	s_waitcnt lgkmcnt(1)
	v_mul_f64 v[34:35], v[110:111], v[102:103]
	v_fma_f64 v[34:35], v[108:109], v[32:33], -v[34:35]
	v_mul_f64 v[108:109], v[108:109], v[102:103]
	v_fmac_f64_e32 v[108:109], v[110:111], v[32:33]
	s_waitcnt vmcnt(8)
	v_add_f64 v[30:31], v[30:31], -v[108:109]
	ds_read2_b64 v[108:111], v104 offset0:32 offset1:33
	v_add_f64 v[28:29], v[28:29], -v[34:35]
	s_waitcnt lgkmcnt(1)
	v_mul_f64 v[34:35], v[94:95], v[102:103]
	v_fma_f64 v[34:35], v[92:93], v[32:33], -v[34:35]
	v_mul_f64 v[92:93], v[92:93], v[102:103]
	v_fmac_f64_e32 v[92:93], v[94:95], v[32:33]
	s_waitcnt vmcnt(7)
	v_add_f64 v[24:25], v[24:25], -v[34:35]
	v_add_f64 v[26:27], v[26:27], -v[92:93]
	ds_read2_b64 v[92:95], v104 offset0:34 offset1:35
	s_waitcnt lgkmcnt(1)
	v_mul_f64 v[34:35], v[110:111], v[102:103]
	v_fma_f64 v[34:35], v[108:109], v[32:33], -v[34:35]
	v_mul_f64 v[108:109], v[108:109], v[102:103]
	v_fmac_f64_e32 v[108:109], v[110:111], v[32:33]
	s_waitcnt vmcnt(6)
	v_add_f64 v[18:19], v[18:19], -v[108:109]
	ds_read2_b64 v[108:111], v104 offset0:36 offset1:37
	v_add_f64 v[16:17], v[16:17], -v[34:35]
	s_waitcnt lgkmcnt(1)
	v_mul_f64 v[34:35], v[94:95], v[102:103]
	v_fma_f64 v[34:35], v[92:93], v[32:33], -v[34:35]
	v_mul_f64 v[92:93], v[92:93], v[102:103]
	v_fmac_f64_e32 v[92:93], v[94:95], v[32:33]
	s_waitcnt vmcnt(5)
	v_add_f64 v[20:21], v[20:21], -v[34:35]
	v_add_f64 v[22:23], v[22:23], -v[92:93]
	;; [unrolled: 18-line block ×4, first 2 shown]
	s_waitcnt lgkmcnt(0)
	v_mul_f64 v[34:35], v[110:111], v[102:103]
	v_mul_f64 v[92:93], v[108:109], v[102:103]
	v_fma_f64 v[34:35], v[108:109], v[32:33], -v[34:35]
	v_fmac_f64_e32 v[92:93], v[110:111], v[32:33]
	s_waitcnt vmcnt(0)
	v_add_f64 v[88:89], v[88:89], -v[34:35]
	v_add_f64 v[90:91], v[90:91], -v[92:93]
	v_mov_b64_e32 v[34:35], v[102:103]
.LBB44_293:
	s_or_b64 exec, exec, s[0:1]
	v_lshl_add_u32 v92, v105, 4, v104
	s_barrier
	s_waitcnt vmcnt(8)
	ds_write2_b64 v92, v[28:29], v[30:31] offset1:1
	s_waitcnt lgkmcnt(0)
	s_barrier
	ds_read2_b64 v[92:95], v104 offset0:28 offset1:29
	s_cmp_lt_i32 s20, 16
	v_mov_b32_e32 v102, 14
	s_cbranch_scc1 .LBB44_296
; %bb.294:
	v_add_u32_e32 v103, 0xf0, v104
	s_mov_b32 s16, 15
	v_mov_b32_e32 v102, 14
.LBB44_295:                             ; =>This Inner Loop Header: Depth=1
	ds_read2_b64 v[108:111], v103 offset1:1
	s_waitcnt lgkmcnt(1)
	v_xor_b32_e32 v113, 0x80000000, v93
	v_xor_b32_e32 v115, 0x80000000, v95
	v_cmp_gt_f64_e32 vcc, 0, v[94:95]
	v_cmp_gt_f64_e64 s[0:1], 0, v[92:93]
	v_mov_b32_e32 v112, v92
	v_mov_b32_e32 v114, v94
	v_cndmask_b32_e64 v113, v93, v113, s[0:1]
	v_cndmask_b32_e32 v115, v95, v115, vcc
	v_add_f64 v[112:113], v[112:113], v[114:115]
	s_waitcnt lgkmcnt(0)
	v_xor_b32_e32 v115, 0x80000000, v109
	v_xor_b32_e32 v117, 0x80000000, v111
	v_cmp_gt_f64_e32 vcc, 0, v[110:111]
	v_cmp_gt_f64_e64 s[0:1], 0, v[108:109]
	v_mov_b32_e32 v114, v108
	v_mov_b32_e32 v116, v110
	v_cndmask_b32_e64 v115, v109, v115, s[0:1]
	v_cndmask_b32_e32 v117, v111, v117, vcc
	v_add_f64 v[114:115], v[114:115], v[116:117]
	v_mov_b32_e32 v118, s16
	s_add_i32 s16, s16, 1
	v_cmp_lt_f64_e32 vcc, v[112:113], v[114:115]
	v_add_u32_e32 v103, 16, v103
	s_cmp_lg_u32 s20, s16
	v_cndmask_b32_e32 v93, v93, v109, vcc
	v_cndmask_b32_e32 v92, v92, v108, vcc
	;; [unrolled: 1-line block ×5, first 2 shown]
	s_cbranch_scc1 .LBB44_295
.LBB44_296:
	s_waitcnt lgkmcnt(0)
	v_cmp_eq_f64_e32 vcc, 0, v[92:93]
	v_cmp_eq_f64_e64 s[0:1], 0, v[94:95]
	s_and_b64 s[0:1], vcc, s[0:1]
	s_and_saveexec_b64 s[16:17], s[0:1]
	s_xor_b64 s[0:1], exec, s[16:17]
; %bb.297:
	v_cmp_ne_u32_e32 vcc, 0, v107
	s_nop 1
	v_cndmask_b32_e32 v107, 15, v107, vcc
; %bb.298:
	s_andn2_saveexec_b64 s[0:1], s[0:1]
	s_cbranch_execz .LBB44_304
; %bb.299:
	v_cmp_ngt_f64_e64 s[16:17], |v[92:93]|, |v[94:95]|
	s_and_saveexec_b64 s[18:19], s[16:17]
	s_xor_b64 s[16:17], exec, s[18:19]
	s_cbranch_execz .LBB44_301
; %bb.300:
	v_div_scale_f64 v[108:109], s[18:19], v[94:95], v[94:95], v[92:93]
	v_rcp_f64_e32 v[110:111], v[108:109]
	v_div_scale_f64 v[112:113], vcc, v[92:93], v[94:95], v[92:93]
	v_fma_f64 v[114:115], -v[108:109], v[110:111], 1.0
	v_fmac_f64_e32 v[110:111], v[110:111], v[114:115]
	v_fma_f64 v[114:115], -v[108:109], v[110:111], 1.0
	v_fmac_f64_e32 v[110:111], v[110:111], v[114:115]
	v_mul_f64 v[114:115], v[112:113], v[110:111]
	v_fma_f64 v[108:109], -v[108:109], v[114:115], v[112:113]
	v_div_fmas_f64 v[108:109], v[108:109], v[110:111], v[114:115]
	v_div_fixup_f64 v[108:109], v[108:109], v[94:95], v[92:93]
	v_fmac_f64_e32 v[94:95], v[92:93], v[108:109]
	v_div_scale_f64 v[92:93], s[18:19], v[94:95], v[94:95], 1.0
	v_rcp_f64_e32 v[110:111], v[92:93]
	s_nop 0
	v_fma_f64 v[112:113], -v[92:93], v[110:111], 1.0
	v_fmac_f64_e32 v[110:111], v[110:111], v[112:113]
	v_fma_f64 v[112:113], -v[92:93], v[110:111], 1.0
	v_fmac_f64_e32 v[110:111], v[110:111], v[112:113]
	v_div_scale_f64 v[112:113], vcc, 1.0, v[94:95], 1.0
	v_mul_f64 v[114:115], v[112:113], v[110:111]
	v_fma_f64 v[92:93], -v[92:93], v[114:115], v[112:113]
	s_nop 1
	v_div_fmas_f64 v[92:93], v[92:93], v[110:111], v[114:115]
	v_div_fixup_f64 v[94:95], v[92:93], v[94:95], 1.0
	v_mul_f64 v[92:93], v[108:109], v[94:95]
	v_xor_b32_e32 v95, 0x80000000, v95
.LBB44_301:
	s_andn2_saveexec_b64 s[16:17], s[16:17]
	s_cbranch_execz .LBB44_303
; %bb.302:
	v_div_scale_f64 v[108:109], s[18:19], v[92:93], v[92:93], v[94:95]
	v_rcp_f64_e32 v[110:111], v[108:109]
	v_div_scale_f64 v[112:113], vcc, v[94:95], v[92:93], v[94:95]
	v_fma_f64 v[114:115], -v[108:109], v[110:111], 1.0
	v_fmac_f64_e32 v[110:111], v[110:111], v[114:115]
	v_fma_f64 v[114:115], -v[108:109], v[110:111], 1.0
	v_fmac_f64_e32 v[110:111], v[110:111], v[114:115]
	v_mul_f64 v[114:115], v[112:113], v[110:111]
	v_fma_f64 v[108:109], -v[108:109], v[114:115], v[112:113]
	v_div_fmas_f64 v[108:109], v[108:109], v[110:111], v[114:115]
	v_div_fixup_f64 v[108:109], v[108:109], v[92:93], v[94:95]
	v_fmac_f64_e32 v[92:93], v[94:95], v[108:109]
	v_div_scale_f64 v[94:95], s[18:19], v[92:93], v[92:93], 1.0
	v_rcp_f64_e32 v[110:111], v[94:95]
	s_nop 0
	v_fma_f64 v[112:113], -v[94:95], v[110:111], 1.0
	v_fmac_f64_e32 v[110:111], v[110:111], v[112:113]
	v_fma_f64 v[112:113], -v[94:95], v[110:111], 1.0
	v_fmac_f64_e32 v[110:111], v[110:111], v[112:113]
	v_div_scale_f64 v[112:113], vcc, 1.0, v[92:93], 1.0
	v_mul_f64 v[114:115], v[112:113], v[110:111]
	v_fma_f64 v[94:95], -v[94:95], v[114:115], v[112:113]
	s_nop 1
	v_div_fmas_f64 v[94:95], v[94:95], v[110:111], v[114:115]
	v_div_fixup_f64 v[92:93], v[94:95], v[92:93], 1.0
	v_mul_f64 v[94:95], v[108:109], -v[92:93]
.LBB44_303:
	s_or_b64 exec, exec, s[16:17]
.LBB44_304:
	s_or_b64 exec, exec, s[0:1]
	v_cmp_ne_u32_e32 vcc, v105, v102
	s_and_saveexec_b64 s[0:1], vcc
	s_xor_b64 s[0:1], exec, s[0:1]
	s_cbranch_execz .LBB44_310
; %bb.305:
	v_cmp_eq_u32_e32 vcc, 14, v105
	s_and_saveexec_b64 s[16:17], vcc
	s_cbranch_execz .LBB44_309
; %bb.306:
	v_cmp_ne_u32_e32 vcc, 14, v102
	s_xor_b64 s[18:19], s[14:15], -1
	s_and_b64 s[22:23], s[18:19], vcc
	s_and_saveexec_b64 s[18:19], s[22:23]
	s_cbranch_execz .LBB44_308
; %bb.307:
	v_ashrrev_i32_e32 v103, 31, v102
	v_lshl_add_u64 v[108:109], v[102:103], 2, v[100:101]
	global_load_dword v103, v[108:109], off
	global_load_dword v105, v[100:101], off offset:56
	s_waitcnt vmcnt(1)
	global_store_dword v[100:101], v103, off offset:56
	s_waitcnt vmcnt(1)
	global_store_dword v[108:109], v105, off
.LBB44_308:
	s_or_b64 exec, exec, s[18:19]
	v_mov_b32_e32 v105, v102
	v_mov_b32_e32 v106, v102
.LBB44_309:
	s_or_b64 exec, exec, s[16:17]
.LBB44_310:
	s_andn2_saveexec_b64 s[0:1], s[0:1]
	s_cbranch_execz .LBB44_312
; %bb.311:
	v_mov_b32_e32 v105, 14
	s_waitcnt vmcnt(7)
	ds_write2_b64 v104, v[24:25], v[26:27] offset0:30 offset1:31
	s_waitcnt vmcnt(6)
	ds_write2_b64 v104, v[16:17], v[18:19] offset0:32 offset1:33
	;; [unrolled: 2-line block ×8, first 2 shown]
.LBB44_312:
	s_or_b64 exec, exec, s[0:1]
	v_cmp_lt_i32_e32 vcc, 14, v105
	s_waitcnt lgkmcnt(0)
	s_barrier
	s_and_saveexec_b64 s[0:1], vcc
	s_cbranch_execz .LBB44_314
; %bb.313:
	ds_read2_b64 v[108:111], v104 offset0:30 offset1:31
	v_mul_f64 v[102:103], v[92:93], v[30:31]
	v_mul_f64 v[30:31], v[94:95], v[30:31]
	v_fmac_f64_e32 v[102:103], v[94:95], v[28:29]
	v_fma_f64 v[28:29], v[92:93], v[28:29], -v[30:31]
	ds_read2_b64 v[92:95], v104 offset0:32 offset1:33
	s_waitcnt lgkmcnt(1)
	v_mul_f64 v[30:31], v[110:111], v[102:103]
	v_fma_f64 v[30:31], v[108:109], v[28:29], -v[30:31]
	v_mul_f64 v[108:109], v[108:109], v[102:103]
	v_fmac_f64_e32 v[108:109], v[110:111], v[28:29]
	s_waitcnt vmcnt(7)
	v_add_f64 v[24:25], v[24:25], -v[30:31]
	s_waitcnt lgkmcnt(0)
	v_mul_f64 v[30:31], v[94:95], v[102:103]
	v_add_f64 v[26:27], v[26:27], -v[108:109]
	v_fma_f64 v[30:31], v[92:93], v[28:29], -v[30:31]
	v_mul_f64 v[92:93], v[92:93], v[102:103]
	ds_read2_b64 v[108:111], v104 offset0:34 offset1:35
	v_fmac_f64_e32 v[92:93], v[94:95], v[28:29]
	s_waitcnt vmcnt(6)
	v_add_f64 v[18:19], v[18:19], -v[92:93]
	ds_read2_b64 v[92:95], v104 offset0:36 offset1:37
	v_add_f64 v[16:17], v[16:17], -v[30:31]
	s_waitcnt lgkmcnt(1)
	v_mul_f64 v[30:31], v[110:111], v[102:103]
	v_fma_f64 v[30:31], v[108:109], v[28:29], -v[30:31]
	v_mul_f64 v[108:109], v[108:109], v[102:103]
	v_fmac_f64_e32 v[108:109], v[110:111], v[28:29]
	s_waitcnt vmcnt(5)
	v_add_f64 v[20:21], v[20:21], -v[30:31]
	s_waitcnt lgkmcnt(0)
	v_mul_f64 v[30:31], v[94:95], v[102:103]
	v_add_f64 v[22:23], v[22:23], -v[108:109]
	v_fma_f64 v[30:31], v[92:93], v[28:29], -v[30:31]
	v_mul_f64 v[92:93], v[92:93], v[102:103]
	ds_read2_b64 v[108:111], v104 offset0:38 offset1:39
	v_fmac_f64_e32 v[92:93], v[94:95], v[28:29]
	s_waitcnt vmcnt(4)
	v_add_f64 v[14:15], v[14:15], -v[92:93]
	ds_read2_b64 v[92:95], v104 offset0:40 offset1:41
	v_add_f64 v[12:13], v[12:13], -v[30:31]
	;; [unrolled: 18-line block ×3, first 2 shown]
	s_waitcnt lgkmcnt(1)
	v_mul_f64 v[30:31], v[110:111], v[102:103]
	v_fma_f64 v[30:31], v[108:109], v[28:29], -v[30:31]
	s_waitcnt vmcnt(1)
	v_add_f64 v[0:1], v[0:1], -v[30:31]
	s_waitcnt lgkmcnt(0)
	v_mul_f64 v[30:31], v[94:95], v[102:103]
	v_mul_f64 v[108:109], v[108:109], v[102:103]
	v_fma_f64 v[30:31], v[92:93], v[28:29], -v[30:31]
	v_mul_f64 v[92:93], v[92:93], v[102:103]
	v_fmac_f64_e32 v[108:109], v[110:111], v[28:29]
	v_fmac_f64_e32 v[92:93], v[94:95], v[28:29]
	v_add_f64 v[2:3], v[2:3], -v[108:109]
	s_waitcnt vmcnt(0)
	v_add_f64 v[88:89], v[88:89], -v[30:31]
	v_add_f64 v[90:91], v[90:91], -v[92:93]
	v_mov_b64_e32 v[30:31], v[102:103]
.LBB44_314:
	s_or_b64 exec, exec, s[0:1]
	v_lshl_add_u32 v92, v105, 4, v104
	s_barrier
	s_waitcnt vmcnt(7)
	ds_write2_b64 v92, v[24:25], v[26:27] offset1:1
	s_waitcnt lgkmcnt(0)
	s_barrier
	ds_read2_b64 v[92:95], v104 offset0:30 offset1:31
	s_cmp_lt_i32 s20, 17
	v_mov_b32_e32 v102, 15
	s_cbranch_scc1 .LBB44_317
; %bb.315:
	v_add_u32_e32 v103, 0x100, v104
	s_mov_b32 s16, 16
	v_mov_b32_e32 v102, 15
.LBB44_316:                             ; =>This Inner Loop Header: Depth=1
	ds_read2_b64 v[108:111], v103 offset1:1
	s_waitcnt lgkmcnt(1)
	v_xor_b32_e32 v113, 0x80000000, v93
	v_xor_b32_e32 v115, 0x80000000, v95
	v_cmp_gt_f64_e32 vcc, 0, v[94:95]
	v_cmp_gt_f64_e64 s[0:1], 0, v[92:93]
	v_mov_b32_e32 v112, v92
	v_mov_b32_e32 v114, v94
	v_cndmask_b32_e64 v113, v93, v113, s[0:1]
	v_cndmask_b32_e32 v115, v95, v115, vcc
	v_add_f64 v[112:113], v[112:113], v[114:115]
	s_waitcnt lgkmcnt(0)
	v_xor_b32_e32 v115, 0x80000000, v109
	v_xor_b32_e32 v117, 0x80000000, v111
	v_cmp_gt_f64_e32 vcc, 0, v[110:111]
	v_cmp_gt_f64_e64 s[0:1], 0, v[108:109]
	v_mov_b32_e32 v114, v108
	v_mov_b32_e32 v116, v110
	v_cndmask_b32_e64 v115, v109, v115, s[0:1]
	v_cndmask_b32_e32 v117, v111, v117, vcc
	v_add_f64 v[114:115], v[114:115], v[116:117]
	v_mov_b32_e32 v118, s16
	s_add_i32 s16, s16, 1
	v_cmp_lt_f64_e32 vcc, v[112:113], v[114:115]
	v_add_u32_e32 v103, 16, v103
	s_cmp_lg_u32 s20, s16
	v_cndmask_b32_e32 v93, v93, v109, vcc
	v_cndmask_b32_e32 v92, v92, v108, vcc
	;; [unrolled: 1-line block ×5, first 2 shown]
	s_cbranch_scc1 .LBB44_316
.LBB44_317:
	s_waitcnt lgkmcnt(0)
	v_cmp_eq_f64_e32 vcc, 0, v[92:93]
	v_cmp_eq_f64_e64 s[0:1], 0, v[94:95]
	s_and_b64 s[0:1], vcc, s[0:1]
	s_and_saveexec_b64 s[16:17], s[0:1]
	s_xor_b64 s[0:1], exec, s[16:17]
; %bb.318:
	v_cmp_ne_u32_e32 vcc, 0, v107
	s_nop 1
	v_cndmask_b32_e32 v107, 16, v107, vcc
; %bb.319:
	s_andn2_saveexec_b64 s[0:1], s[0:1]
	s_cbranch_execz .LBB44_325
; %bb.320:
	v_cmp_ngt_f64_e64 s[16:17], |v[92:93]|, |v[94:95]|
	s_and_saveexec_b64 s[18:19], s[16:17]
	s_xor_b64 s[16:17], exec, s[18:19]
	s_cbranch_execz .LBB44_322
; %bb.321:
	v_div_scale_f64 v[108:109], s[18:19], v[94:95], v[94:95], v[92:93]
	v_rcp_f64_e32 v[110:111], v[108:109]
	v_div_scale_f64 v[112:113], vcc, v[92:93], v[94:95], v[92:93]
	v_fma_f64 v[114:115], -v[108:109], v[110:111], 1.0
	v_fmac_f64_e32 v[110:111], v[110:111], v[114:115]
	v_fma_f64 v[114:115], -v[108:109], v[110:111], 1.0
	v_fmac_f64_e32 v[110:111], v[110:111], v[114:115]
	v_mul_f64 v[114:115], v[112:113], v[110:111]
	v_fma_f64 v[108:109], -v[108:109], v[114:115], v[112:113]
	v_div_fmas_f64 v[108:109], v[108:109], v[110:111], v[114:115]
	v_div_fixup_f64 v[108:109], v[108:109], v[94:95], v[92:93]
	v_fmac_f64_e32 v[94:95], v[92:93], v[108:109]
	v_div_scale_f64 v[92:93], s[18:19], v[94:95], v[94:95], 1.0
	v_rcp_f64_e32 v[110:111], v[92:93]
	s_nop 0
	v_fma_f64 v[112:113], -v[92:93], v[110:111], 1.0
	v_fmac_f64_e32 v[110:111], v[110:111], v[112:113]
	v_fma_f64 v[112:113], -v[92:93], v[110:111], 1.0
	v_fmac_f64_e32 v[110:111], v[110:111], v[112:113]
	v_div_scale_f64 v[112:113], vcc, 1.0, v[94:95], 1.0
	v_mul_f64 v[114:115], v[112:113], v[110:111]
	v_fma_f64 v[92:93], -v[92:93], v[114:115], v[112:113]
	s_nop 1
	v_div_fmas_f64 v[92:93], v[92:93], v[110:111], v[114:115]
	v_div_fixup_f64 v[94:95], v[92:93], v[94:95], 1.0
	v_mul_f64 v[92:93], v[108:109], v[94:95]
	v_xor_b32_e32 v95, 0x80000000, v95
.LBB44_322:
	s_andn2_saveexec_b64 s[16:17], s[16:17]
	s_cbranch_execz .LBB44_324
; %bb.323:
	v_div_scale_f64 v[108:109], s[18:19], v[92:93], v[92:93], v[94:95]
	v_rcp_f64_e32 v[110:111], v[108:109]
	v_div_scale_f64 v[112:113], vcc, v[94:95], v[92:93], v[94:95]
	v_fma_f64 v[114:115], -v[108:109], v[110:111], 1.0
	v_fmac_f64_e32 v[110:111], v[110:111], v[114:115]
	v_fma_f64 v[114:115], -v[108:109], v[110:111], 1.0
	v_fmac_f64_e32 v[110:111], v[110:111], v[114:115]
	v_mul_f64 v[114:115], v[112:113], v[110:111]
	v_fma_f64 v[108:109], -v[108:109], v[114:115], v[112:113]
	v_div_fmas_f64 v[108:109], v[108:109], v[110:111], v[114:115]
	v_div_fixup_f64 v[108:109], v[108:109], v[92:93], v[94:95]
	v_fmac_f64_e32 v[92:93], v[94:95], v[108:109]
	v_div_scale_f64 v[94:95], s[18:19], v[92:93], v[92:93], 1.0
	v_rcp_f64_e32 v[110:111], v[94:95]
	s_nop 0
	v_fma_f64 v[112:113], -v[94:95], v[110:111], 1.0
	v_fmac_f64_e32 v[110:111], v[110:111], v[112:113]
	v_fma_f64 v[112:113], -v[94:95], v[110:111], 1.0
	v_fmac_f64_e32 v[110:111], v[110:111], v[112:113]
	v_div_scale_f64 v[112:113], vcc, 1.0, v[92:93], 1.0
	v_mul_f64 v[114:115], v[112:113], v[110:111]
	v_fma_f64 v[94:95], -v[94:95], v[114:115], v[112:113]
	s_nop 1
	v_div_fmas_f64 v[94:95], v[94:95], v[110:111], v[114:115]
	v_div_fixup_f64 v[92:93], v[94:95], v[92:93], 1.0
	v_mul_f64 v[94:95], v[108:109], -v[92:93]
.LBB44_324:
	s_or_b64 exec, exec, s[16:17]
.LBB44_325:
	s_or_b64 exec, exec, s[0:1]
	v_cmp_ne_u32_e32 vcc, v105, v102
	s_and_saveexec_b64 s[0:1], vcc
	s_xor_b64 s[0:1], exec, s[0:1]
	s_cbranch_execz .LBB44_331
; %bb.326:
	v_cmp_eq_u32_e32 vcc, 15, v105
	s_and_saveexec_b64 s[16:17], vcc
	s_cbranch_execz .LBB44_330
; %bb.327:
	v_cmp_ne_u32_e32 vcc, 15, v102
	s_xor_b64 s[18:19], s[14:15], -1
	s_and_b64 s[22:23], s[18:19], vcc
	s_and_saveexec_b64 s[18:19], s[22:23]
	s_cbranch_execz .LBB44_329
; %bb.328:
	v_ashrrev_i32_e32 v103, 31, v102
	v_lshl_add_u64 v[108:109], v[102:103], 2, v[100:101]
	global_load_dword v103, v[108:109], off
	global_load_dword v105, v[100:101], off offset:60
	s_waitcnt vmcnt(1)
	global_store_dword v[100:101], v103, off offset:60
	s_waitcnt vmcnt(1)
	global_store_dword v[108:109], v105, off
.LBB44_329:
	s_or_b64 exec, exec, s[18:19]
	v_mov_b32_e32 v105, v102
	v_mov_b32_e32 v106, v102
.LBB44_330:
	s_or_b64 exec, exec, s[16:17]
.LBB44_331:
	s_andn2_saveexec_b64 s[0:1], s[0:1]
	s_cbranch_execz .LBB44_333
; %bb.332:
	v_mov_b32_e32 v105, 15
	s_waitcnt vmcnt(6)
	ds_write2_b64 v104, v[16:17], v[18:19] offset0:32 offset1:33
	s_waitcnt vmcnt(5)
	ds_write2_b64 v104, v[20:21], v[22:23] offset0:34 offset1:35
	;; [unrolled: 2-line block ×7, first 2 shown]
.LBB44_333:
	s_or_b64 exec, exec, s[0:1]
	v_cmp_lt_i32_e32 vcc, 15, v105
	s_waitcnt lgkmcnt(0)
	s_barrier
	s_and_saveexec_b64 s[0:1], vcc
	s_cbranch_execz .LBB44_335
; %bb.334:
	ds_read2_b64 v[108:111], v104 offset0:32 offset1:33
	v_mul_f64 v[102:103], v[92:93], v[26:27]
	v_fmac_f64_e32 v[102:103], v[94:95], v[24:25]
	v_mul_f64 v[26:27], v[94:95], v[26:27]
	v_fma_f64 v[24:25], v[92:93], v[24:25], -v[26:27]
	ds_read2_b64 v[92:95], v104 offset0:34 offset1:35
	s_waitcnt lgkmcnt(1)
	v_mul_f64 v[26:27], v[110:111], v[102:103]
	v_fma_f64 v[26:27], v[108:109], v[24:25], -v[26:27]
	v_mul_f64 v[108:109], v[108:109], v[102:103]
	v_fmac_f64_e32 v[108:109], v[110:111], v[24:25]
	s_waitcnt vmcnt(6)
	v_add_f64 v[18:19], v[18:19], -v[108:109]
	ds_read2_b64 v[108:111], v104 offset0:36 offset1:37
	v_add_f64 v[16:17], v[16:17], -v[26:27]
	s_waitcnt lgkmcnt(1)
	v_mul_f64 v[26:27], v[94:95], v[102:103]
	v_fma_f64 v[26:27], v[92:93], v[24:25], -v[26:27]
	v_mul_f64 v[92:93], v[92:93], v[102:103]
	v_fmac_f64_e32 v[92:93], v[94:95], v[24:25]
	s_waitcnt vmcnt(5)
	v_add_f64 v[20:21], v[20:21], -v[26:27]
	v_add_f64 v[22:23], v[22:23], -v[92:93]
	ds_read2_b64 v[92:95], v104 offset0:38 offset1:39
	s_waitcnt lgkmcnt(1)
	v_mul_f64 v[26:27], v[110:111], v[102:103]
	v_fma_f64 v[26:27], v[108:109], v[24:25], -v[26:27]
	v_mul_f64 v[108:109], v[108:109], v[102:103]
	v_fmac_f64_e32 v[108:109], v[110:111], v[24:25]
	s_waitcnt vmcnt(4)
	v_add_f64 v[14:15], v[14:15], -v[108:109]
	ds_read2_b64 v[108:111], v104 offset0:40 offset1:41
	v_add_f64 v[12:13], v[12:13], -v[26:27]
	s_waitcnt lgkmcnt(1)
	v_mul_f64 v[26:27], v[94:95], v[102:103]
	v_fma_f64 v[26:27], v[92:93], v[24:25], -v[26:27]
	v_mul_f64 v[92:93], v[92:93], v[102:103]
	v_fmac_f64_e32 v[92:93], v[94:95], v[24:25]
	s_waitcnt vmcnt(3)
	v_add_f64 v[8:9], v[8:9], -v[26:27]
	v_add_f64 v[10:11], v[10:11], -v[92:93]
	;; [unrolled: 18-line block ×3, first 2 shown]
	s_waitcnt lgkmcnt(0)
	v_mul_f64 v[26:27], v[110:111], v[102:103]
	v_mul_f64 v[92:93], v[108:109], v[102:103]
	v_fma_f64 v[26:27], v[108:109], v[24:25], -v[26:27]
	v_fmac_f64_e32 v[92:93], v[110:111], v[24:25]
	s_waitcnt vmcnt(0)
	v_add_f64 v[88:89], v[88:89], -v[26:27]
	v_add_f64 v[90:91], v[90:91], -v[92:93]
	v_mov_b64_e32 v[26:27], v[102:103]
.LBB44_335:
	s_or_b64 exec, exec, s[0:1]
	v_lshl_add_u32 v92, v105, 4, v104
	s_barrier
	s_waitcnt vmcnt(6)
	ds_write2_b64 v92, v[16:17], v[18:19] offset1:1
	s_waitcnt lgkmcnt(0)
	s_barrier
	ds_read2_b64 v[92:95], v104 offset0:32 offset1:33
	s_cmp_lt_i32 s20, 18
	v_mov_b32_e32 v102, 16
	s_cbranch_scc1 .LBB44_338
; %bb.336:
	v_add_u32_e32 v103, 0x110, v104
	s_mov_b32 s16, 17
	v_mov_b32_e32 v102, 16
.LBB44_337:                             ; =>This Inner Loop Header: Depth=1
	ds_read2_b64 v[108:111], v103 offset1:1
	s_waitcnt lgkmcnt(1)
	v_xor_b32_e32 v113, 0x80000000, v93
	v_xor_b32_e32 v115, 0x80000000, v95
	v_cmp_gt_f64_e32 vcc, 0, v[94:95]
	v_cmp_gt_f64_e64 s[0:1], 0, v[92:93]
	v_mov_b32_e32 v112, v92
	v_mov_b32_e32 v114, v94
	v_cndmask_b32_e64 v113, v93, v113, s[0:1]
	v_cndmask_b32_e32 v115, v95, v115, vcc
	v_add_f64 v[112:113], v[112:113], v[114:115]
	s_waitcnt lgkmcnt(0)
	v_xor_b32_e32 v115, 0x80000000, v109
	v_xor_b32_e32 v117, 0x80000000, v111
	v_cmp_gt_f64_e32 vcc, 0, v[110:111]
	v_cmp_gt_f64_e64 s[0:1], 0, v[108:109]
	v_mov_b32_e32 v114, v108
	v_mov_b32_e32 v116, v110
	v_cndmask_b32_e64 v115, v109, v115, s[0:1]
	v_cndmask_b32_e32 v117, v111, v117, vcc
	v_add_f64 v[114:115], v[114:115], v[116:117]
	v_mov_b32_e32 v118, s16
	s_add_i32 s16, s16, 1
	v_cmp_lt_f64_e32 vcc, v[112:113], v[114:115]
	v_add_u32_e32 v103, 16, v103
	s_cmp_lg_u32 s20, s16
	v_cndmask_b32_e32 v93, v93, v109, vcc
	v_cndmask_b32_e32 v92, v92, v108, vcc
	;; [unrolled: 1-line block ×5, first 2 shown]
	s_cbranch_scc1 .LBB44_337
.LBB44_338:
	s_waitcnt lgkmcnt(0)
	v_cmp_eq_f64_e32 vcc, 0, v[92:93]
	v_cmp_eq_f64_e64 s[0:1], 0, v[94:95]
	s_and_b64 s[0:1], vcc, s[0:1]
	s_and_saveexec_b64 s[16:17], s[0:1]
	s_xor_b64 s[0:1], exec, s[16:17]
; %bb.339:
	v_cmp_ne_u32_e32 vcc, 0, v107
	s_nop 1
	v_cndmask_b32_e32 v107, 17, v107, vcc
; %bb.340:
	s_andn2_saveexec_b64 s[0:1], s[0:1]
	s_cbranch_execz .LBB44_346
; %bb.341:
	v_cmp_ngt_f64_e64 s[16:17], |v[92:93]|, |v[94:95]|
	s_and_saveexec_b64 s[18:19], s[16:17]
	s_xor_b64 s[16:17], exec, s[18:19]
	s_cbranch_execz .LBB44_343
; %bb.342:
	v_div_scale_f64 v[108:109], s[18:19], v[94:95], v[94:95], v[92:93]
	v_rcp_f64_e32 v[110:111], v[108:109]
	v_div_scale_f64 v[112:113], vcc, v[92:93], v[94:95], v[92:93]
	v_fma_f64 v[114:115], -v[108:109], v[110:111], 1.0
	v_fmac_f64_e32 v[110:111], v[110:111], v[114:115]
	v_fma_f64 v[114:115], -v[108:109], v[110:111], 1.0
	v_fmac_f64_e32 v[110:111], v[110:111], v[114:115]
	v_mul_f64 v[114:115], v[112:113], v[110:111]
	v_fma_f64 v[108:109], -v[108:109], v[114:115], v[112:113]
	v_div_fmas_f64 v[108:109], v[108:109], v[110:111], v[114:115]
	v_div_fixup_f64 v[108:109], v[108:109], v[94:95], v[92:93]
	v_fmac_f64_e32 v[94:95], v[92:93], v[108:109]
	v_div_scale_f64 v[92:93], s[18:19], v[94:95], v[94:95], 1.0
	v_rcp_f64_e32 v[110:111], v[92:93]
	s_nop 0
	v_fma_f64 v[112:113], -v[92:93], v[110:111], 1.0
	v_fmac_f64_e32 v[110:111], v[110:111], v[112:113]
	v_fma_f64 v[112:113], -v[92:93], v[110:111], 1.0
	v_fmac_f64_e32 v[110:111], v[110:111], v[112:113]
	v_div_scale_f64 v[112:113], vcc, 1.0, v[94:95], 1.0
	v_mul_f64 v[114:115], v[112:113], v[110:111]
	v_fma_f64 v[92:93], -v[92:93], v[114:115], v[112:113]
	s_nop 1
	v_div_fmas_f64 v[92:93], v[92:93], v[110:111], v[114:115]
	v_div_fixup_f64 v[94:95], v[92:93], v[94:95], 1.0
	v_mul_f64 v[92:93], v[108:109], v[94:95]
	v_xor_b32_e32 v95, 0x80000000, v95
.LBB44_343:
	s_andn2_saveexec_b64 s[16:17], s[16:17]
	s_cbranch_execz .LBB44_345
; %bb.344:
	v_div_scale_f64 v[108:109], s[18:19], v[92:93], v[92:93], v[94:95]
	v_rcp_f64_e32 v[110:111], v[108:109]
	v_div_scale_f64 v[112:113], vcc, v[94:95], v[92:93], v[94:95]
	v_fma_f64 v[114:115], -v[108:109], v[110:111], 1.0
	v_fmac_f64_e32 v[110:111], v[110:111], v[114:115]
	v_fma_f64 v[114:115], -v[108:109], v[110:111], 1.0
	v_fmac_f64_e32 v[110:111], v[110:111], v[114:115]
	v_mul_f64 v[114:115], v[112:113], v[110:111]
	v_fma_f64 v[108:109], -v[108:109], v[114:115], v[112:113]
	v_div_fmas_f64 v[108:109], v[108:109], v[110:111], v[114:115]
	v_div_fixup_f64 v[108:109], v[108:109], v[92:93], v[94:95]
	v_fmac_f64_e32 v[92:93], v[94:95], v[108:109]
	v_div_scale_f64 v[94:95], s[18:19], v[92:93], v[92:93], 1.0
	v_rcp_f64_e32 v[110:111], v[94:95]
	s_nop 0
	v_fma_f64 v[112:113], -v[94:95], v[110:111], 1.0
	v_fmac_f64_e32 v[110:111], v[110:111], v[112:113]
	v_fma_f64 v[112:113], -v[94:95], v[110:111], 1.0
	v_fmac_f64_e32 v[110:111], v[110:111], v[112:113]
	v_div_scale_f64 v[112:113], vcc, 1.0, v[92:93], 1.0
	v_mul_f64 v[114:115], v[112:113], v[110:111]
	v_fma_f64 v[94:95], -v[94:95], v[114:115], v[112:113]
	s_nop 1
	v_div_fmas_f64 v[94:95], v[94:95], v[110:111], v[114:115]
	v_div_fixup_f64 v[92:93], v[94:95], v[92:93], 1.0
	v_mul_f64 v[94:95], v[108:109], -v[92:93]
.LBB44_345:
	s_or_b64 exec, exec, s[16:17]
.LBB44_346:
	s_or_b64 exec, exec, s[0:1]
	v_cmp_ne_u32_e32 vcc, v105, v102
	s_and_saveexec_b64 s[0:1], vcc
	s_xor_b64 s[0:1], exec, s[0:1]
	s_cbranch_execz .LBB44_352
; %bb.347:
	v_cmp_eq_u32_e32 vcc, 16, v105
	s_and_saveexec_b64 s[16:17], vcc
	s_cbranch_execz .LBB44_351
; %bb.348:
	v_cmp_ne_u32_e32 vcc, 16, v102
	s_xor_b64 s[18:19], s[14:15], -1
	s_and_b64 s[22:23], s[18:19], vcc
	s_and_saveexec_b64 s[18:19], s[22:23]
	s_cbranch_execz .LBB44_350
; %bb.349:
	v_ashrrev_i32_e32 v103, 31, v102
	v_lshl_add_u64 v[108:109], v[102:103], 2, v[100:101]
	global_load_dword v103, v[108:109], off
	global_load_dword v105, v[100:101], off offset:64
	s_waitcnt vmcnt(1)
	global_store_dword v[100:101], v103, off offset:64
	s_waitcnt vmcnt(1)
	global_store_dword v[108:109], v105, off
.LBB44_350:
	s_or_b64 exec, exec, s[18:19]
	v_mov_b32_e32 v105, v102
	v_mov_b32_e32 v106, v102
.LBB44_351:
	s_or_b64 exec, exec, s[16:17]
.LBB44_352:
	s_andn2_saveexec_b64 s[0:1], s[0:1]
	s_cbranch_execz .LBB44_354
; %bb.353:
	v_mov_b32_e32 v105, 16
	s_waitcnt vmcnt(5)
	ds_write2_b64 v104, v[20:21], v[22:23] offset0:34 offset1:35
	s_waitcnt vmcnt(4)
	ds_write2_b64 v104, v[12:13], v[14:15] offset0:36 offset1:37
	;; [unrolled: 2-line block ×6, first 2 shown]
.LBB44_354:
	s_or_b64 exec, exec, s[0:1]
	v_cmp_lt_i32_e32 vcc, 16, v105
	s_waitcnt lgkmcnt(0)
	s_barrier
	s_and_saveexec_b64 s[0:1], vcc
	s_cbranch_execz .LBB44_356
; %bb.355:
	ds_read2_b64 v[108:111], v104 offset0:34 offset1:35
	v_mul_f64 v[102:103], v[92:93], v[18:19]
	v_mul_f64 v[18:19], v[94:95], v[18:19]
	v_fmac_f64_e32 v[102:103], v[94:95], v[16:17]
	v_fma_f64 v[16:17], v[92:93], v[16:17], -v[18:19]
	ds_read2_b64 v[92:95], v104 offset0:36 offset1:37
	s_waitcnt lgkmcnt(1)
	v_mul_f64 v[18:19], v[110:111], v[102:103]
	v_fma_f64 v[18:19], v[108:109], v[16:17], -v[18:19]
	v_mul_f64 v[108:109], v[108:109], v[102:103]
	v_fmac_f64_e32 v[108:109], v[110:111], v[16:17]
	s_waitcnt vmcnt(5)
	v_add_f64 v[20:21], v[20:21], -v[18:19]
	s_waitcnt lgkmcnt(0)
	v_mul_f64 v[18:19], v[94:95], v[102:103]
	v_add_f64 v[22:23], v[22:23], -v[108:109]
	v_fma_f64 v[18:19], v[92:93], v[16:17], -v[18:19]
	v_mul_f64 v[92:93], v[92:93], v[102:103]
	ds_read2_b64 v[108:111], v104 offset0:38 offset1:39
	v_fmac_f64_e32 v[92:93], v[94:95], v[16:17]
	s_waitcnt vmcnt(4)
	v_add_f64 v[14:15], v[14:15], -v[92:93]
	ds_read2_b64 v[92:95], v104 offset0:40 offset1:41
	v_add_f64 v[12:13], v[12:13], -v[18:19]
	s_waitcnt lgkmcnt(1)
	v_mul_f64 v[18:19], v[110:111], v[102:103]
	v_fma_f64 v[18:19], v[108:109], v[16:17], -v[18:19]
	v_mul_f64 v[108:109], v[108:109], v[102:103]
	v_fmac_f64_e32 v[108:109], v[110:111], v[16:17]
	s_waitcnt vmcnt(3)
	v_add_f64 v[8:9], v[8:9], -v[18:19]
	s_waitcnt lgkmcnt(0)
	v_mul_f64 v[18:19], v[94:95], v[102:103]
	v_add_f64 v[10:11], v[10:11], -v[108:109]
	v_fma_f64 v[18:19], v[92:93], v[16:17], -v[18:19]
	v_mul_f64 v[92:93], v[92:93], v[102:103]
	ds_read2_b64 v[108:111], v104 offset0:42 offset1:43
	v_fmac_f64_e32 v[92:93], v[94:95], v[16:17]
	s_waitcnt vmcnt(2)
	v_add_f64 v[6:7], v[6:7], -v[92:93]
	ds_read2_b64 v[92:95], v104 offset0:44 offset1:45
	v_add_f64 v[4:5], v[4:5], -v[18:19]
	s_waitcnt lgkmcnt(1)
	v_mul_f64 v[18:19], v[110:111], v[102:103]
	v_fma_f64 v[18:19], v[108:109], v[16:17], -v[18:19]
	s_waitcnt vmcnt(1)
	v_add_f64 v[0:1], v[0:1], -v[18:19]
	s_waitcnt lgkmcnt(0)
	v_mul_f64 v[18:19], v[94:95], v[102:103]
	v_mul_f64 v[108:109], v[108:109], v[102:103]
	v_fma_f64 v[18:19], v[92:93], v[16:17], -v[18:19]
	v_mul_f64 v[92:93], v[92:93], v[102:103]
	v_fmac_f64_e32 v[108:109], v[110:111], v[16:17]
	v_fmac_f64_e32 v[92:93], v[94:95], v[16:17]
	v_add_f64 v[2:3], v[2:3], -v[108:109]
	s_waitcnt vmcnt(0)
	v_add_f64 v[88:89], v[88:89], -v[18:19]
	v_add_f64 v[90:91], v[90:91], -v[92:93]
	v_mov_b64_e32 v[18:19], v[102:103]
.LBB44_356:
	s_or_b64 exec, exec, s[0:1]
	v_lshl_add_u32 v92, v105, 4, v104
	s_barrier
	s_waitcnt vmcnt(5)
	ds_write2_b64 v92, v[20:21], v[22:23] offset1:1
	s_waitcnt lgkmcnt(0)
	s_barrier
	ds_read2_b64 v[92:95], v104 offset0:34 offset1:35
	s_cmp_lt_i32 s20, 19
	v_mov_b32_e32 v102, 17
	s_cbranch_scc1 .LBB44_359
; %bb.357:
	v_add_u32_e32 v103, 0x120, v104
	s_mov_b32 s16, 18
	v_mov_b32_e32 v102, 17
.LBB44_358:                             ; =>This Inner Loop Header: Depth=1
	ds_read2_b64 v[108:111], v103 offset1:1
	s_waitcnt lgkmcnt(1)
	v_xor_b32_e32 v113, 0x80000000, v93
	v_xor_b32_e32 v115, 0x80000000, v95
	v_cmp_gt_f64_e32 vcc, 0, v[94:95]
	v_cmp_gt_f64_e64 s[0:1], 0, v[92:93]
	v_mov_b32_e32 v112, v92
	v_mov_b32_e32 v114, v94
	v_cndmask_b32_e64 v113, v93, v113, s[0:1]
	v_cndmask_b32_e32 v115, v95, v115, vcc
	v_add_f64 v[112:113], v[112:113], v[114:115]
	s_waitcnt lgkmcnt(0)
	v_xor_b32_e32 v115, 0x80000000, v109
	v_xor_b32_e32 v117, 0x80000000, v111
	v_cmp_gt_f64_e32 vcc, 0, v[110:111]
	v_cmp_gt_f64_e64 s[0:1], 0, v[108:109]
	v_mov_b32_e32 v114, v108
	v_mov_b32_e32 v116, v110
	v_cndmask_b32_e64 v115, v109, v115, s[0:1]
	v_cndmask_b32_e32 v117, v111, v117, vcc
	v_add_f64 v[114:115], v[114:115], v[116:117]
	v_mov_b32_e32 v118, s16
	s_add_i32 s16, s16, 1
	v_cmp_lt_f64_e32 vcc, v[112:113], v[114:115]
	v_add_u32_e32 v103, 16, v103
	s_cmp_lg_u32 s20, s16
	v_cndmask_b32_e32 v93, v93, v109, vcc
	v_cndmask_b32_e32 v92, v92, v108, vcc
	v_cndmask_b32_e32 v95, v95, v111, vcc
	v_cndmask_b32_e32 v94, v94, v110, vcc
	v_cndmask_b32_e32 v102, v102, v118, vcc
	s_cbranch_scc1 .LBB44_358
.LBB44_359:
	s_waitcnt lgkmcnt(0)
	v_cmp_eq_f64_e32 vcc, 0, v[92:93]
	v_cmp_eq_f64_e64 s[0:1], 0, v[94:95]
	s_and_b64 s[0:1], vcc, s[0:1]
	s_and_saveexec_b64 s[16:17], s[0:1]
	s_xor_b64 s[0:1], exec, s[16:17]
; %bb.360:
	v_cmp_ne_u32_e32 vcc, 0, v107
	s_nop 1
	v_cndmask_b32_e32 v107, 18, v107, vcc
; %bb.361:
	s_andn2_saveexec_b64 s[0:1], s[0:1]
	s_cbranch_execz .LBB44_367
; %bb.362:
	v_cmp_ngt_f64_e64 s[16:17], |v[92:93]|, |v[94:95]|
	s_and_saveexec_b64 s[18:19], s[16:17]
	s_xor_b64 s[16:17], exec, s[18:19]
	s_cbranch_execz .LBB44_364
; %bb.363:
	v_div_scale_f64 v[108:109], s[18:19], v[94:95], v[94:95], v[92:93]
	v_rcp_f64_e32 v[110:111], v[108:109]
	v_div_scale_f64 v[112:113], vcc, v[92:93], v[94:95], v[92:93]
	v_fma_f64 v[114:115], -v[108:109], v[110:111], 1.0
	v_fmac_f64_e32 v[110:111], v[110:111], v[114:115]
	v_fma_f64 v[114:115], -v[108:109], v[110:111], 1.0
	v_fmac_f64_e32 v[110:111], v[110:111], v[114:115]
	v_mul_f64 v[114:115], v[112:113], v[110:111]
	v_fma_f64 v[108:109], -v[108:109], v[114:115], v[112:113]
	v_div_fmas_f64 v[108:109], v[108:109], v[110:111], v[114:115]
	v_div_fixup_f64 v[108:109], v[108:109], v[94:95], v[92:93]
	v_fmac_f64_e32 v[94:95], v[92:93], v[108:109]
	v_div_scale_f64 v[92:93], s[18:19], v[94:95], v[94:95], 1.0
	v_rcp_f64_e32 v[110:111], v[92:93]
	s_nop 0
	v_fma_f64 v[112:113], -v[92:93], v[110:111], 1.0
	v_fmac_f64_e32 v[110:111], v[110:111], v[112:113]
	v_fma_f64 v[112:113], -v[92:93], v[110:111], 1.0
	v_fmac_f64_e32 v[110:111], v[110:111], v[112:113]
	v_div_scale_f64 v[112:113], vcc, 1.0, v[94:95], 1.0
	v_mul_f64 v[114:115], v[112:113], v[110:111]
	v_fma_f64 v[92:93], -v[92:93], v[114:115], v[112:113]
	s_nop 1
	v_div_fmas_f64 v[92:93], v[92:93], v[110:111], v[114:115]
	v_div_fixup_f64 v[94:95], v[92:93], v[94:95], 1.0
	v_mul_f64 v[92:93], v[108:109], v[94:95]
	v_xor_b32_e32 v95, 0x80000000, v95
.LBB44_364:
	s_andn2_saveexec_b64 s[16:17], s[16:17]
	s_cbranch_execz .LBB44_366
; %bb.365:
	v_div_scale_f64 v[108:109], s[18:19], v[92:93], v[92:93], v[94:95]
	v_rcp_f64_e32 v[110:111], v[108:109]
	v_div_scale_f64 v[112:113], vcc, v[94:95], v[92:93], v[94:95]
	v_fma_f64 v[114:115], -v[108:109], v[110:111], 1.0
	v_fmac_f64_e32 v[110:111], v[110:111], v[114:115]
	v_fma_f64 v[114:115], -v[108:109], v[110:111], 1.0
	v_fmac_f64_e32 v[110:111], v[110:111], v[114:115]
	v_mul_f64 v[114:115], v[112:113], v[110:111]
	v_fma_f64 v[108:109], -v[108:109], v[114:115], v[112:113]
	v_div_fmas_f64 v[108:109], v[108:109], v[110:111], v[114:115]
	v_div_fixup_f64 v[108:109], v[108:109], v[92:93], v[94:95]
	v_fmac_f64_e32 v[92:93], v[94:95], v[108:109]
	v_div_scale_f64 v[94:95], s[18:19], v[92:93], v[92:93], 1.0
	v_rcp_f64_e32 v[110:111], v[94:95]
	s_nop 0
	v_fma_f64 v[112:113], -v[94:95], v[110:111], 1.0
	v_fmac_f64_e32 v[110:111], v[110:111], v[112:113]
	v_fma_f64 v[112:113], -v[94:95], v[110:111], 1.0
	v_fmac_f64_e32 v[110:111], v[110:111], v[112:113]
	v_div_scale_f64 v[112:113], vcc, 1.0, v[92:93], 1.0
	v_mul_f64 v[114:115], v[112:113], v[110:111]
	v_fma_f64 v[94:95], -v[94:95], v[114:115], v[112:113]
	s_nop 1
	v_div_fmas_f64 v[94:95], v[94:95], v[110:111], v[114:115]
	v_div_fixup_f64 v[92:93], v[94:95], v[92:93], 1.0
	v_mul_f64 v[94:95], v[108:109], -v[92:93]
.LBB44_366:
	s_or_b64 exec, exec, s[16:17]
.LBB44_367:
	s_or_b64 exec, exec, s[0:1]
	v_cmp_ne_u32_e32 vcc, v105, v102
	s_and_saveexec_b64 s[0:1], vcc
	s_xor_b64 s[0:1], exec, s[0:1]
	s_cbranch_execz .LBB44_373
; %bb.368:
	v_cmp_eq_u32_e32 vcc, 17, v105
	s_and_saveexec_b64 s[16:17], vcc
	s_cbranch_execz .LBB44_372
; %bb.369:
	v_cmp_ne_u32_e32 vcc, 17, v102
	s_xor_b64 s[18:19], s[14:15], -1
	s_and_b64 s[22:23], s[18:19], vcc
	s_and_saveexec_b64 s[18:19], s[22:23]
	s_cbranch_execz .LBB44_371
; %bb.370:
	v_ashrrev_i32_e32 v103, 31, v102
	v_lshl_add_u64 v[108:109], v[102:103], 2, v[100:101]
	global_load_dword v103, v[108:109], off
	global_load_dword v105, v[100:101], off offset:68
	s_waitcnt vmcnt(1)
	global_store_dword v[100:101], v103, off offset:68
	s_waitcnt vmcnt(1)
	global_store_dword v[108:109], v105, off
.LBB44_371:
	s_or_b64 exec, exec, s[18:19]
	v_mov_b32_e32 v105, v102
	v_mov_b32_e32 v106, v102
.LBB44_372:
	s_or_b64 exec, exec, s[16:17]
.LBB44_373:
	s_andn2_saveexec_b64 s[0:1], s[0:1]
	s_cbranch_execz .LBB44_375
; %bb.374:
	v_mov_b32_e32 v105, 17
	s_waitcnt vmcnt(4)
	ds_write2_b64 v104, v[12:13], v[14:15] offset0:36 offset1:37
	s_waitcnt vmcnt(3)
	ds_write2_b64 v104, v[8:9], v[10:11] offset0:38 offset1:39
	;; [unrolled: 2-line block ×5, first 2 shown]
.LBB44_375:
	s_or_b64 exec, exec, s[0:1]
	v_cmp_lt_i32_e32 vcc, 17, v105
	s_waitcnt lgkmcnt(0)
	s_barrier
	s_and_saveexec_b64 s[0:1], vcc
	s_cbranch_execz .LBB44_377
; %bb.376:
	ds_read2_b64 v[108:111], v104 offset0:36 offset1:37
	v_mul_f64 v[102:103], v[92:93], v[22:23]
	v_fmac_f64_e32 v[102:103], v[94:95], v[20:21]
	v_mul_f64 v[22:23], v[94:95], v[22:23]
	v_fma_f64 v[20:21], v[92:93], v[20:21], -v[22:23]
	ds_read2_b64 v[92:95], v104 offset0:38 offset1:39
	s_waitcnt lgkmcnt(1)
	v_mul_f64 v[22:23], v[110:111], v[102:103]
	v_fma_f64 v[22:23], v[108:109], v[20:21], -v[22:23]
	v_mul_f64 v[108:109], v[108:109], v[102:103]
	v_fmac_f64_e32 v[108:109], v[110:111], v[20:21]
	s_waitcnt vmcnt(4)
	v_add_f64 v[14:15], v[14:15], -v[108:109]
	ds_read2_b64 v[108:111], v104 offset0:40 offset1:41
	v_add_f64 v[12:13], v[12:13], -v[22:23]
	s_waitcnt lgkmcnt(1)
	v_mul_f64 v[22:23], v[94:95], v[102:103]
	v_fma_f64 v[22:23], v[92:93], v[20:21], -v[22:23]
	v_mul_f64 v[92:93], v[92:93], v[102:103]
	v_fmac_f64_e32 v[92:93], v[94:95], v[20:21]
	s_waitcnt vmcnt(3)
	v_add_f64 v[8:9], v[8:9], -v[22:23]
	v_add_f64 v[10:11], v[10:11], -v[92:93]
	ds_read2_b64 v[92:95], v104 offset0:42 offset1:43
	s_waitcnt lgkmcnt(1)
	v_mul_f64 v[22:23], v[110:111], v[102:103]
	v_fma_f64 v[22:23], v[108:109], v[20:21], -v[22:23]
	v_mul_f64 v[108:109], v[108:109], v[102:103]
	v_fmac_f64_e32 v[108:109], v[110:111], v[20:21]
	s_waitcnt vmcnt(2)
	v_add_f64 v[6:7], v[6:7], -v[108:109]
	ds_read2_b64 v[108:111], v104 offset0:44 offset1:45
	v_add_f64 v[4:5], v[4:5], -v[22:23]
	s_waitcnt lgkmcnt(1)
	v_mul_f64 v[22:23], v[94:95], v[102:103]
	v_fma_f64 v[22:23], v[92:93], v[20:21], -v[22:23]
	v_mul_f64 v[92:93], v[92:93], v[102:103]
	v_fmac_f64_e32 v[92:93], v[94:95], v[20:21]
	s_waitcnt vmcnt(1)
	v_add_f64 v[0:1], v[0:1], -v[22:23]
	v_add_f64 v[2:3], v[2:3], -v[92:93]
	s_waitcnt lgkmcnt(0)
	v_mul_f64 v[22:23], v[110:111], v[102:103]
	v_mul_f64 v[92:93], v[108:109], v[102:103]
	v_fma_f64 v[22:23], v[108:109], v[20:21], -v[22:23]
	v_fmac_f64_e32 v[92:93], v[110:111], v[20:21]
	s_waitcnt vmcnt(0)
	v_add_f64 v[88:89], v[88:89], -v[22:23]
	v_add_f64 v[90:91], v[90:91], -v[92:93]
	v_mov_b64_e32 v[22:23], v[102:103]
.LBB44_377:
	s_or_b64 exec, exec, s[0:1]
	v_lshl_add_u32 v92, v105, 4, v104
	s_barrier
	s_waitcnt vmcnt(4)
	ds_write2_b64 v92, v[12:13], v[14:15] offset1:1
	s_waitcnt lgkmcnt(0)
	s_barrier
	ds_read2_b64 v[92:95], v104 offset0:36 offset1:37
	s_cmp_lt_i32 s20, 20
	v_mov_b32_e32 v102, 18
	s_cbranch_scc1 .LBB44_380
; %bb.378:
	v_add_u32_e32 v103, 0x130, v104
	s_mov_b32 s16, 19
	v_mov_b32_e32 v102, 18
.LBB44_379:                             ; =>This Inner Loop Header: Depth=1
	ds_read2_b64 v[108:111], v103 offset1:1
	s_waitcnt lgkmcnt(1)
	v_xor_b32_e32 v113, 0x80000000, v93
	v_xor_b32_e32 v115, 0x80000000, v95
	v_cmp_gt_f64_e32 vcc, 0, v[94:95]
	v_cmp_gt_f64_e64 s[0:1], 0, v[92:93]
	v_mov_b32_e32 v112, v92
	v_mov_b32_e32 v114, v94
	v_cndmask_b32_e64 v113, v93, v113, s[0:1]
	v_cndmask_b32_e32 v115, v95, v115, vcc
	v_add_f64 v[112:113], v[112:113], v[114:115]
	s_waitcnt lgkmcnt(0)
	v_xor_b32_e32 v115, 0x80000000, v109
	v_xor_b32_e32 v117, 0x80000000, v111
	v_cmp_gt_f64_e32 vcc, 0, v[110:111]
	v_cmp_gt_f64_e64 s[0:1], 0, v[108:109]
	v_mov_b32_e32 v114, v108
	v_mov_b32_e32 v116, v110
	v_cndmask_b32_e64 v115, v109, v115, s[0:1]
	v_cndmask_b32_e32 v117, v111, v117, vcc
	v_add_f64 v[114:115], v[114:115], v[116:117]
	v_mov_b32_e32 v118, s16
	s_add_i32 s16, s16, 1
	v_cmp_lt_f64_e32 vcc, v[112:113], v[114:115]
	v_add_u32_e32 v103, 16, v103
	s_cmp_lg_u32 s20, s16
	v_cndmask_b32_e32 v93, v93, v109, vcc
	v_cndmask_b32_e32 v92, v92, v108, vcc
	;; [unrolled: 1-line block ×5, first 2 shown]
	s_cbranch_scc1 .LBB44_379
.LBB44_380:
	s_waitcnt lgkmcnt(0)
	v_cmp_eq_f64_e32 vcc, 0, v[92:93]
	v_cmp_eq_f64_e64 s[0:1], 0, v[94:95]
	s_and_b64 s[0:1], vcc, s[0:1]
	s_and_saveexec_b64 s[16:17], s[0:1]
	s_xor_b64 s[0:1], exec, s[16:17]
; %bb.381:
	v_cmp_ne_u32_e32 vcc, 0, v107
	s_nop 1
	v_cndmask_b32_e32 v107, 19, v107, vcc
; %bb.382:
	s_andn2_saveexec_b64 s[0:1], s[0:1]
	s_cbranch_execz .LBB44_388
; %bb.383:
	v_cmp_ngt_f64_e64 s[16:17], |v[92:93]|, |v[94:95]|
	s_and_saveexec_b64 s[18:19], s[16:17]
	s_xor_b64 s[16:17], exec, s[18:19]
	s_cbranch_execz .LBB44_385
; %bb.384:
	v_div_scale_f64 v[108:109], s[18:19], v[94:95], v[94:95], v[92:93]
	v_rcp_f64_e32 v[110:111], v[108:109]
	v_div_scale_f64 v[112:113], vcc, v[92:93], v[94:95], v[92:93]
	v_fma_f64 v[114:115], -v[108:109], v[110:111], 1.0
	v_fmac_f64_e32 v[110:111], v[110:111], v[114:115]
	v_fma_f64 v[114:115], -v[108:109], v[110:111], 1.0
	v_fmac_f64_e32 v[110:111], v[110:111], v[114:115]
	v_mul_f64 v[114:115], v[112:113], v[110:111]
	v_fma_f64 v[108:109], -v[108:109], v[114:115], v[112:113]
	v_div_fmas_f64 v[108:109], v[108:109], v[110:111], v[114:115]
	v_div_fixup_f64 v[108:109], v[108:109], v[94:95], v[92:93]
	v_fmac_f64_e32 v[94:95], v[92:93], v[108:109]
	v_div_scale_f64 v[92:93], s[18:19], v[94:95], v[94:95], 1.0
	v_rcp_f64_e32 v[110:111], v[92:93]
	s_nop 0
	v_fma_f64 v[112:113], -v[92:93], v[110:111], 1.0
	v_fmac_f64_e32 v[110:111], v[110:111], v[112:113]
	v_fma_f64 v[112:113], -v[92:93], v[110:111], 1.0
	v_fmac_f64_e32 v[110:111], v[110:111], v[112:113]
	v_div_scale_f64 v[112:113], vcc, 1.0, v[94:95], 1.0
	v_mul_f64 v[114:115], v[112:113], v[110:111]
	v_fma_f64 v[92:93], -v[92:93], v[114:115], v[112:113]
	s_nop 1
	v_div_fmas_f64 v[92:93], v[92:93], v[110:111], v[114:115]
	v_div_fixup_f64 v[94:95], v[92:93], v[94:95], 1.0
	v_mul_f64 v[92:93], v[108:109], v[94:95]
	v_xor_b32_e32 v95, 0x80000000, v95
.LBB44_385:
	s_andn2_saveexec_b64 s[16:17], s[16:17]
	s_cbranch_execz .LBB44_387
; %bb.386:
	v_div_scale_f64 v[108:109], s[18:19], v[92:93], v[92:93], v[94:95]
	v_rcp_f64_e32 v[110:111], v[108:109]
	v_div_scale_f64 v[112:113], vcc, v[94:95], v[92:93], v[94:95]
	v_fma_f64 v[114:115], -v[108:109], v[110:111], 1.0
	v_fmac_f64_e32 v[110:111], v[110:111], v[114:115]
	v_fma_f64 v[114:115], -v[108:109], v[110:111], 1.0
	v_fmac_f64_e32 v[110:111], v[110:111], v[114:115]
	v_mul_f64 v[114:115], v[112:113], v[110:111]
	v_fma_f64 v[108:109], -v[108:109], v[114:115], v[112:113]
	v_div_fmas_f64 v[108:109], v[108:109], v[110:111], v[114:115]
	v_div_fixup_f64 v[108:109], v[108:109], v[92:93], v[94:95]
	v_fmac_f64_e32 v[92:93], v[94:95], v[108:109]
	v_div_scale_f64 v[94:95], s[18:19], v[92:93], v[92:93], 1.0
	v_rcp_f64_e32 v[110:111], v[94:95]
	s_nop 0
	v_fma_f64 v[112:113], -v[94:95], v[110:111], 1.0
	v_fmac_f64_e32 v[110:111], v[110:111], v[112:113]
	v_fma_f64 v[112:113], -v[94:95], v[110:111], 1.0
	v_fmac_f64_e32 v[110:111], v[110:111], v[112:113]
	v_div_scale_f64 v[112:113], vcc, 1.0, v[92:93], 1.0
	v_mul_f64 v[114:115], v[112:113], v[110:111]
	v_fma_f64 v[94:95], -v[94:95], v[114:115], v[112:113]
	s_nop 1
	v_div_fmas_f64 v[94:95], v[94:95], v[110:111], v[114:115]
	v_div_fixup_f64 v[92:93], v[94:95], v[92:93], 1.0
	v_mul_f64 v[94:95], v[108:109], -v[92:93]
.LBB44_387:
	s_or_b64 exec, exec, s[16:17]
.LBB44_388:
	s_or_b64 exec, exec, s[0:1]
	v_cmp_ne_u32_e32 vcc, v105, v102
	s_and_saveexec_b64 s[0:1], vcc
	s_xor_b64 s[0:1], exec, s[0:1]
	s_cbranch_execz .LBB44_394
; %bb.389:
	v_cmp_eq_u32_e32 vcc, 18, v105
	s_and_saveexec_b64 s[16:17], vcc
	s_cbranch_execz .LBB44_393
; %bb.390:
	v_cmp_ne_u32_e32 vcc, 18, v102
	s_xor_b64 s[18:19], s[14:15], -1
	s_and_b64 s[22:23], s[18:19], vcc
	s_and_saveexec_b64 s[18:19], s[22:23]
	s_cbranch_execz .LBB44_392
; %bb.391:
	v_ashrrev_i32_e32 v103, 31, v102
	v_lshl_add_u64 v[108:109], v[102:103], 2, v[100:101]
	global_load_dword v103, v[108:109], off
	global_load_dword v105, v[100:101], off offset:72
	s_waitcnt vmcnt(1)
	global_store_dword v[100:101], v103, off offset:72
	s_waitcnt vmcnt(1)
	global_store_dword v[108:109], v105, off
.LBB44_392:
	s_or_b64 exec, exec, s[18:19]
	v_mov_b32_e32 v105, v102
	v_mov_b32_e32 v106, v102
.LBB44_393:
	s_or_b64 exec, exec, s[16:17]
.LBB44_394:
	s_andn2_saveexec_b64 s[0:1], s[0:1]
	s_cbranch_execz .LBB44_396
; %bb.395:
	v_mov_b32_e32 v105, 18
	s_waitcnt vmcnt(3)
	ds_write2_b64 v104, v[8:9], v[10:11] offset0:38 offset1:39
	s_waitcnt vmcnt(2)
	ds_write2_b64 v104, v[4:5], v[6:7] offset0:40 offset1:41
	;; [unrolled: 2-line block ×4, first 2 shown]
.LBB44_396:
	s_or_b64 exec, exec, s[0:1]
	v_cmp_lt_i32_e32 vcc, 18, v105
	s_waitcnt lgkmcnt(0)
	s_barrier
	s_and_saveexec_b64 s[0:1], vcc
	s_cbranch_execz .LBB44_398
; %bb.397:
	ds_read2_b64 v[108:111], v104 offset0:38 offset1:39
	v_mul_f64 v[102:103], v[92:93], v[14:15]
	v_mul_f64 v[14:15], v[94:95], v[14:15]
	v_fmac_f64_e32 v[102:103], v[94:95], v[12:13]
	v_fma_f64 v[12:13], v[92:93], v[12:13], -v[14:15]
	ds_read2_b64 v[92:95], v104 offset0:40 offset1:41
	s_waitcnt lgkmcnt(1)
	v_mul_f64 v[14:15], v[110:111], v[102:103]
	v_fma_f64 v[14:15], v[108:109], v[12:13], -v[14:15]
	v_mul_f64 v[108:109], v[108:109], v[102:103]
	v_fmac_f64_e32 v[108:109], v[110:111], v[12:13]
	s_waitcnt vmcnt(3)
	v_add_f64 v[8:9], v[8:9], -v[14:15]
	s_waitcnt lgkmcnt(0)
	v_mul_f64 v[14:15], v[94:95], v[102:103]
	v_add_f64 v[10:11], v[10:11], -v[108:109]
	v_fma_f64 v[14:15], v[92:93], v[12:13], -v[14:15]
	v_mul_f64 v[92:93], v[92:93], v[102:103]
	ds_read2_b64 v[108:111], v104 offset0:42 offset1:43
	v_fmac_f64_e32 v[92:93], v[94:95], v[12:13]
	s_waitcnt vmcnt(2)
	v_add_f64 v[6:7], v[6:7], -v[92:93]
	ds_read2_b64 v[92:95], v104 offset0:44 offset1:45
	v_add_f64 v[4:5], v[4:5], -v[14:15]
	s_waitcnt lgkmcnt(1)
	v_mul_f64 v[14:15], v[110:111], v[102:103]
	v_fma_f64 v[14:15], v[108:109], v[12:13], -v[14:15]
	s_waitcnt vmcnt(1)
	v_add_f64 v[0:1], v[0:1], -v[14:15]
	s_waitcnt lgkmcnt(0)
	v_mul_f64 v[14:15], v[94:95], v[102:103]
	v_mul_f64 v[108:109], v[108:109], v[102:103]
	v_fma_f64 v[14:15], v[92:93], v[12:13], -v[14:15]
	v_mul_f64 v[92:93], v[92:93], v[102:103]
	v_fmac_f64_e32 v[108:109], v[110:111], v[12:13]
	v_fmac_f64_e32 v[92:93], v[94:95], v[12:13]
	v_add_f64 v[2:3], v[2:3], -v[108:109]
	s_waitcnt vmcnt(0)
	v_add_f64 v[88:89], v[88:89], -v[14:15]
	v_add_f64 v[90:91], v[90:91], -v[92:93]
	v_mov_b64_e32 v[14:15], v[102:103]
.LBB44_398:
	s_or_b64 exec, exec, s[0:1]
	v_lshl_add_u32 v92, v105, 4, v104
	s_barrier
	s_waitcnt vmcnt(3)
	ds_write2_b64 v92, v[8:9], v[10:11] offset1:1
	s_waitcnt lgkmcnt(0)
	s_barrier
	ds_read2_b64 v[92:95], v104 offset0:38 offset1:39
	s_cmp_lt_i32 s20, 21
	v_mov_b32_e32 v102, 19
	s_cbranch_scc1 .LBB44_401
; %bb.399:
	v_add_u32_e32 v103, 0x140, v104
	s_mov_b32 s16, 20
	v_mov_b32_e32 v102, 19
.LBB44_400:                             ; =>This Inner Loop Header: Depth=1
	ds_read2_b64 v[108:111], v103 offset1:1
	s_waitcnt lgkmcnt(1)
	v_xor_b32_e32 v113, 0x80000000, v93
	v_xor_b32_e32 v115, 0x80000000, v95
	v_cmp_gt_f64_e32 vcc, 0, v[94:95]
	v_cmp_gt_f64_e64 s[0:1], 0, v[92:93]
	v_mov_b32_e32 v112, v92
	v_mov_b32_e32 v114, v94
	v_cndmask_b32_e64 v113, v93, v113, s[0:1]
	v_cndmask_b32_e32 v115, v95, v115, vcc
	v_add_f64 v[112:113], v[112:113], v[114:115]
	s_waitcnt lgkmcnt(0)
	v_xor_b32_e32 v115, 0x80000000, v109
	v_xor_b32_e32 v117, 0x80000000, v111
	v_cmp_gt_f64_e32 vcc, 0, v[110:111]
	v_cmp_gt_f64_e64 s[0:1], 0, v[108:109]
	v_mov_b32_e32 v114, v108
	v_mov_b32_e32 v116, v110
	v_cndmask_b32_e64 v115, v109, v115, s[0:1]
	v_cndmask_b32_e32 v117, v111, v117, vcc
	v_add_f64 v[114:115], v[114:115], v[116:117]
	v_mov_b32_e32 v118, s16
	s_add_i32 s16, s16, 1
	v_cmp_lt_f64_e32 vcc, v[112:113], v[114:115]
	v_add_u32_e32 v103, 16, v103
	s_cmp_lg_u32 s20, s16
	v_cndmask_b32_e32 v93, v93, v109, vcc
	v_cndmask_b32_e32 v92, v92, v108, vcc
	;; [unrolled: 1-line block ×5, first 2 shown]
	s_cbranch_scc1 .LBB44_400
.LBB44_401:
	s_waitcnt lgkmcnt(0)
	v_cmp_eq_f64_e32 vcc, 0, v[92:93]
	v_cmp_eq_f64_e64 s[0:1], 0, v[94:95]
	s_and_b64 s[0:1], vcc, s[0:1]
	s_and_saveexec_b64 s[16:17], s[0:1]
	s_xor_b64 s[0:1], exec, s[16:17]
; %bb.402:
	v_cmp_ne_u32_e32 vcc, 0, v107
	s_nop 1
	v_cndmask_b32_e32 v107, 20, v107, vcc
; %bb.403:
	s_andn2_saveexec_b64 s[0:1], s[0:1]
	s_cbranch_execz .LBB44_409
; %bb.404:
	v_cmp_ngt_f64_e64 s[16:17], |v[92:93]|, |v[94:95]|
	s_and_saveexec_b64 s[18:19], s[16:17]
	s_xor_b64 s[16:17], exec, s[18:19]
	s_cbranch_execz .LBB44_406
; %bb.405:
	v_div_scale_f64 v[108:109], s[18:19], v[94:95], v[94:95], v[92:93]
	v_rcp_f64_e32 v[110:111], v[108:109]
	v_div_scale_f64 v[112:113], vcc, v[92:93], v[94:95], v[92:93]
	v_fma_f64 v[114:115], -v[108:109], v[110:111], 1.0
	v_fmac_f64_e32 v[110:111], v[110:111], v[114:115]
	v_fma_f64 v[114:115], -v[108:109], v[110:111], 1.0
	v_fmac_f64_e32 v[110:111], v[110:111], v[114:115]
	v_mul_f64 v[114:115], v[112:113], v[110:111]
	v_fma_f64 v[108:109], -v[108:109], v[114:115], v[112:113]
	v_div_fmas_f64 v[108:109], v[108:109], v[110:111], v[114:115]
	v_div_fixup_f64 v[108:109], v[108:109], v[94:95], v[92:93]
	v_fmac_f64_e32 v[94:95], v[92:93], v[108:109]
	v_div_scale_f64 v[92:93], s[18:19], v[94:95], v[94:95], 1.0
	v_rcp_f64_e32 v[110:111], v[92:93]
	s_nop 0
	v_fma_f64 v[112:113], -v[92:93], v[110:111], 1.0
	v_fmac_f64_e32 v[110:111], v[110:111], v[112:113]
	v_fma_f64 v[112:113], -v[92:93], v[110:111], 1.0
	v_fmac_f64_e32 v[110:111], v[110:111], v[112:113]
	v_div_scale_f64 v[112:113], vcc, 1.0, v[94:95], 1.0
	v_mul_f64 v[114:115], v[112:113], v[110:111]
	v_fma_f64 v[92:93], -v[92:93], v[114:115], v[112:113]
	s_nop 1
	v_div_fmas_f64 v[92:93], v[92:93], v[110:111], v[114:115]
	v_div_fixup_f64 v[94:95], v[92:93], v[94:95], 1.0
	v_mul_f64 v[92:93], v[108:109], v[94:95]
	v_xor_b32_e32 v95, 0x80000000, v95
.LBB44_406:
	s_andn2_saveexec_b64 s[16:17], s[16:17]
	s_cbranch_execz .LBB44_408
; %bb.407:
	v_div_scale_f64 v[108:109], s[18:19], v[92:93], v[92:93], v[94:95]
	v_rcp_f64_e32 v[110:111], v[108:109]
	v_div_scale_f64 v[112:113], vcc, v[94:95], v[92:93], v[94:95]
	v_fma_f64 v[114:115], -v[108:109], v[110:111], 1.0
	v_fmac_f64_e32 v[110:111], v[110:111], v[114:115]
	v_fma_f64 v[114:115], -v[108:109], v[110:111], 1.0
	v_fmac_f64_e32 v[110:111], v[110:111], v[114:115]
	v_mul_f64 v[114:115], v[112:113], v[110:111]
	v_fma_f64 v[108:109], -v[108:109], v[114:115], v[112:113]
	v_div_fmas_f64 v[108:109], v[108:109], v[110:111], v[114:115]
	v_div_fixup_f64 v[108:109], v[108:109], v[92:93], v[94:95]
	v_fmac_f64_e32 v[92:93], v[94:95], v[108:109]
	v_div_scale_f64 v[94:95], s[18:19], v[92:93], v[92:93], 1.0
	v_rcp_f64_e32 v[110:111], v[94:95]
	s_nop 0
	v_fma_f64 v[112:113], -v[94:95], v[110:111], 1.0
	v_fmac_f64_e32 v[110:111], v[110:111], v[112:113]
	v_fma_f64 v[112:113], -v[94:95], v[110:111], 1.0
	v_fmac_f64_e32 v[110:111], v[110:111], v[112:113]
	v_div_scale_f64 v[112:113], vcc, 1.0, v[92:93], 1.0
	v_mul_f64 v[114:115], v[112:113], v[110:111]
	v_fma_f64 v[94:95], -v[94:95], v[114:115], v[112:113]
	s_nop 1
	v_div_fmas_f64 v[94:95], v[94:95], v[110:111], v[114:115]
	v_div_fixup_f64 v[92:93], v[94:95], v[92:93], 1.0
	v_mul_f64 v[94:95], v[108:109], -v[92:93]
.LBB44_408:
	s_or_b64 exec, exec, s[16:17]
.LBB44_409:
	s_or_b64 exec, exec, s[0:1]
	v_cmp_ne_u32_e32 vcc, v105, v102
	s_and_saveexec_b64 s[0:1], vcc
	s_xor_b64 s[0:1], exec, s[0:1]
	s_cbranch_execz .LBB44_415
; %bb.410:
	v_cmp_eq_u32_e32 vcc, 19, v105
	s_and_saveexec_b64 s[16:17], vcc
	s_cbranch_execz .LBB44_414
; %bb.411:
	v_cmp_ne_u32_e32 vcc, 19, v102
	s_xor_b64 s[18:19], s[14:15], -1
	s_and_b64 s[22:23], s[18:19], vcc
	s_and_saveexec_b64 s[18:19], s[22:23]
	s_cbranch_execz .LBB44_413
; %bb.412:
	v_ashrrev_i32_e32 v103, 31, v102
	v_lshl_add_u64 v[108:109], v[102:103], 2, v[100:101]
	global_load_dword v103, v[108:109], off
	global_load_dword v105, v[100:101], off offset:76
	s_waitcnt vmcnt(1)
	global_store_dword v[100:101], v103, off offset:76
	s_waitcnt vmcnt(1)
	global_store_dword v[108:109], v105, off
.LBB44_413:
	s_or_b64 exec, exec, s[18:19]
	v_mov_b32_e32 v105, v102
	v_mov_b32_e32 v106, v102
.LBB44_414:
	s_or_b64 exec, exec, s[16:17]
.LBB44_415:
	s_andn2_saveexec_b64 s[0:1], s[0:1]
	s_cbranch_execz .LBB44_417
; %bb.416:
	v_mov_b32_e32 v105, 19
	s_waitcnt vmcnt(2)
	ds_write2_b64 v104, v[4:5], v[6:7] offset0:40 offset1:41
	s_waitcnt vmcnt(1)
	ds_write2_b64 v104, v[0:1], v[2:3] offset0:42 offset1:43
	;; [unrolled: 2-line block ×3, first 2 shown]
.LBB44_417:
	s_or_b64 exec, exec, s[0:1]
	v_cmp_lt_i32_e32 vcc, 19, v105
	s_waitcnt lgkmcnt(0)
	s_barrier
	s_and_saveexec_b64 s[0:1], vcc
	s_cbranch_execz .LBB44_419
; %bb.418:
	ds_read2_b64 v[108:111], v104 offset0:40 offset1:41
	v_mul_f64 v[102:103], v[92:93], v[10:11]
	v_fmac_f64_e32 v[102:103], v[94:95], v[8:9]
	v_mul_f64 v[10:11], v[94:95], v[10:11]
	v_fma_f64 v[8:9], v[92:93], v[8:9], -v[10:11]
	ds_read2_b64 v[92:95], v104 offset0:42 offset1:43
	s_waitcnt lgkmcnt(1)
	v_mul_f64 v[10:11], v[110:111], v[102:103]
	v_fma_f64 v[10:11], v[108:109], v[8:9], -v[10:11]
	v_mul_f64 v[108:109], v[108:109], v[102:103]
	v_fmac_f64_e32 v[108:109], v[110:111], v[8:9]
	s_waitcnt vmcnt(2)
	v_add_f64 v[6:7], v[6:7], -v[108:109]
	ds_read2_b64 v[108:111], v104 offset0:44 offset1:45
	v_add_f64 v[4:5], v[4:5], -v[10:11]
	s_waitcnt lgkmcnt(1)
	v_mul_f64 v[10:11], v[94:95], v[102:103]
	v_fma_f64 v[10:11], v[92:93], v[8:9], -v[10:11]
	v_mul_f64 v[92:93], v[92:93], v[102:103]
	v_fmac_f64_e32 v[92:93], v[94:95], v[8:9]
	s_waitcnt vmcnt(1)
	v_add_f64 v[0:1], v[0:1], -v[10:11]
	v_add_f64 v[2:3], v[2:3], -v[92:93]
	s_waitcnt lgkmcnt(0)
	v_mul_f64 v[10:11], v[110:111], v[102:103]
	v_mul_f64 v[92:93], v[108:109], v[102:103]
	v_fma_f64 v[10:11], v[108:109], v[8:9], -v[10:11]
	v_fmac_f64_e32 v[92:93], v[110:111], v[8:9]
	s_waitcnt vmcnt(0)
	v_add_f64 v[88:89], v[88:89], -v[10:11]
	v_add_f64 v[90:91], v[90:91], -v[92:93]
	v_mov_b64_e32 v[10:11], v[102:103]
.LBB44_419:
	s_or_b64 exec, exec, s[0:1]
	v_lshl_add_u32 v92, v105, 4, v104
	s_barrier
	s_waitcnt vmcnt(2)
	ds_write2_b64 v92, v[4:5], v[6:7] offset1:1
	s_waitcnt lgkmcnt(0)
	s_barrier
	ds_read2_b64 v[92:95], v104 offset0:40 offset1:41
	s_cmp_lt_i32 s20, 22
	v_mov_b32_e32 v102, 20
	s_cbranch_scc1 .LBB44_422
; %bb.420:
	v_add_u32_e32 v103, 0x150, v104
	s_mov_b32 s16, 21
	v_mov_b32_e32 v102, 20
.LBB44_421:                             ; =>This Inner Loop Header: Depth=1
	ds_read2_b64 v[108:111], v103 offset1:1
	s_waitcnt lgkmcnt(1)
	v_xor_b32_e32 v113, 0x80000000, v93
	v_xor_b32_e32 v115, 0x80000000, v95
	v_cmp_gt_f64_e32 vcc, 0, v[94:95]
	v_cmp_gt_f64_e64 s[0:1], 0, v[92:93]
	v_mov_b32_e32 v112, v92
	v_mov_b32_e32 v114, v94
	v_cndmask_b32_e64 v113, v93, v113, s[0:1]
	v_cndmask_b32_e32 v115, v95, v115, vcc
	v_add_f64 v[112:113], v[112:113], v[114:115]
	s_waitcnt lgkmcnt(0)
	v_xor_b32_e32 v115, 0x80000000, v109
	v_xor_b32_e32 v117, 0x80000000, v111
	v_cmp_gt_f64_e32 vcc, 0, v[110:111]
	v_cmp_gt_f64_e64 s[0:1], 0, v[108:109]
	v_mov_b32_e32 v114, v108
	v_mov_b32_e32 v116, v110
	v_cndmask_b32_e64 v115, v109, v115, s[0:1]
	v_cndmask_b32_e32 v117, v111, v117, vcc
	v_add_f64 v[114:115], v[114:115], v[116:117]
	v_mov_b32_e32 v118, s16
	s_add_i32 s16, s16, 1
	v_cmp_lt_f64_e32 vcc, v[112:113], v[114:115]
	v_add_u32_e32 v103, 16, v103
	s_cmp_lg_u32 s20, s16
	v_cndmask_b32_e32 v93, v93, v109, vcc
	v_cndmask_b32_e32 v92, v92, v108, vcc
	;; [unrolled: 1-line block ×5, first 2 shown]
	s_cbranch_scc1 .LBB44_421
.LBB44_422:
	s_waitcnt lgkmcnt(0)
	v_cmp_eq_f64_e32 vcc, 0, v[92:93]
	v_cmp_eq_f64_e64 s[0:1], 0, v[94:95]
	s_and_b64 s[0:1], vcc, s[0:1]
	s_and_saveexec_b64 s[16:17], s[0:1]
	s_xor_b64 s[0:1], exec, s[16:17]
; %bb.423:
	v_cmp_ne_u32_e32 vcc, 0, v107
	s_nop 1
	v_cndmask_b32_e32 v107, 21, v107, vcc
; %bb.424:
	s_andn2_saveexec_b64 s[0:1], s[0:1]
	s_cbranch_execz .LBB44_430
; %bb.425:
	v_cmp_ngt_f64_e64 s[16:17], |v[92:93]|, |v[94:95]|
	s_and_saveexec_b64 s[18:19], s[16:17]
	s_xor_b64 s[16:17], exec, s[18:19]
	s_cbranch_execz .LBB44_427
; %bb.426:
	v_div_scale_f64 v[108:109], s[18:19], v[94:95], v[94:95], v[92:93]
	v_rcp_f64_e32 v[110:111], v[108:109]
	v_div_scale_f64 v[112:113], vcc, v[92:93], v[94:95], v[92:93]
	v_fma_f64 v[114:115], -v[108:109], v[110:111], 1.0
	v_fmac_f64_e32 v[110:111], v[110:111], v[114:115]
	v_fma_f64 v[114:115], -v[108:109], v[110:111], 1.0
	v_fmac_f64_e32 v[110:111], v[110:111], v[114:115]
	v_mul_f64 v[114:115], v[112:113], v[110:111]
	v_fma_f64 v[108:109], -v[108:109], v[114:115], v[112:113]
	v_div_fmas_f64 v[108:109], v[108:109], v[110:111], v[114:115]
	v_div_fixup_f64 v[108:109], v[108:109], v[94:95], v[92:93]
	v_fmac_f64_e32 v[94:95], v[92:93], v[108:109]
	v_div_scale_f64 v[92:93], s[18:19], v[94:95], v[94:95], 1.0
	v_rcp_f64_e32 v[110:111], v[92:93]
	s_nop 0
	v_fma_f64 v[112:113], -v[92:93], v[110:111], 1.0
	v_fmac_f64_e32 v[110:111], v[110:111], v[112:113]
	v_fma_f64 v[112:113], -v[92:93], v[110:111], 1.0
	v_fmac_f64_e32 v[110:111], v[110:111], v[112:113]
	v_div_scale_f64 v[112:113], vcc, 1.0, v[94:95], 1.0
	v_mul_f64 v[114:115], v[112:113], v[110:111]
	v_fma_f64 v[92:93], -v[92:93], v[114:115], v[112:113]
	s_nop 1
	v_div_fmas_f64 v[92:93], v[92:93], v[110:111], v[114:115]
	v_div_fixup_f64 v[94:95], v[92:93], v[94:95], 1.0
	v_mul_f64 v[92:93], v[108:109], v[94:95]
	v_xor_b32_e32 v95, 0x80000000, v95
.LBB44_427:
	s_andn2_saveexec_b64 s[16:17], s[16:17]
	s_cbranch_execz .LBB44_429
; %bb.428:
	v_div_scale_f64 v[108:109], s[18:19], v[92:93], v[92:93], v[94:95]
	v_rcp_f64_e32 v[110:111], v[108:109]
	v_div_scale_f64 v[112:113], vcc, v[94:95], v[92:93], v[94:95]
	v_fma_f64 v[114:115], -v[108:109], v[110:111], 1.0
	v_fmac_f64_e32 v[110:111], v[110:111], v[114:115]
	v_fma_f64 v[114:115], -v[108:109], v[110:111], 1.0
	v_fmac_f64_e32 v[110:111], v[110:111], v[114:115]
	v_mul_f64 v[114:115], v[112:113], v[110:111]
	v_fma_f64 v[108:109], -v[108:109], v[114:115], v[112:113]
	v_div_fmas_f64 v[108:109], v[108:109], v[110:111], v[114:115]
	v_div_fixup_f64 v[108:109], v[108:109], v[92:93], v[94:95]
	v_fmac_f64_e32 v[92:93], v[94:95], v[108:109]
	v_div_scale_f64 v[94:95], s[18:19], v[92:93], v[92:93], 1.0
	v_rcp_f64_e32 v[110:111], v[94:95]
	s_nop 0
	v_fma_f64 v[112:113], -v[94:95], v[110:111], 1.0
	v_fmac_f64_e32 v[110:111], v[110:111], v[112:113]
	v_fma_f64 v[112:113], -v[94:95], v[110:111], 1.0
	v_fmac_f64_e32 v[110:111], v[110:111], v[112:113]
	v_div_scale_f64 v[112:113], vcc, 1.0, v[92:93], 1.0
	v_mul_f64 v[114:115], v[112:113], v[110:111]
	v_fma_f64 v[94:95], -v[94:95], v[114:115], v[112:113]
	s_nop 1
	v_div_fmas_f64 v[94:95], v[94:95], v[110:111], v[114:115]
	v_div_fixup_f64 v[92:93], v[94:95], v[92:93], 1.0
	v_mul_f64 v[94:95], v[108:109], -v[92:93]
.LBB44_429:
	s_or_b64 exec, exec, s[16:17]
.LBB44_430:
	s_or_b64 exec, exec, s[0:1]
	v_cmp_ne_u32_e32 vcc, v105, v102
	s_and_saveexec_b64 s[0:1], vcc
	s_xor_b64 s[0:1], exec, s[0:1]
	s_cbranch_execz .LBB44_436
; %bb.431:
	v_cmp_eq_u32_e32 vcc, 20, v105
	s_and_saveexec_b64 s[16:17], vcc
	s_cbranch_execz .LBB44_435
; %bb.432:
	v_cmp_ne_u32_e32 vcc, 20, v102
	s_xor_b64 s[18:19], s[14:15], -1
	s_and_b64 s[22:23], s[18:19], vcc
	s_and_saveexec_b64 s[18:19], s[22:23]
	s_cbranch_execz .LBB44_434
; %bb.433:
	v_ashrrev_i32_e32 v103, 31, v102
	v_lshl_add_u64 v[108:109], v[102:103], 2, v[100:101]
	global_load_dword v103, v[108:109], off
	global_load_dword v105, v[100:101], off offset:80
	s_waitcnt vmcnt(1)
	global_store_dword v[100:101], v103, off offset:80
	s_waitcnt vmcnt(1)
	global_store_dword v[108:109], v105, off
.LBB44_434:
	s_or_b64 exec, exec, s[18:19]
	v_mov_b32_e32 v105, v102
	v_mov_b32_e32 v106, v102
.LBB44_435:
	s_or_b64 exec, exec, s[16:17]
.LBB44_436:
	s_andn2_saveexec_b64 s[0:1], s[0:1]
	s_cbranch_execz .LBB44_438
; %bb.437:
	v_mov_b32_e32 v105, 20
	s_waitcnt vmcnt(1)
	ds_write2_b64 v104, v[0:1], v[2:3] offset0:42 offset1:43
	s_waitcnt vmcnt(0)
	ds_write2_b64 v104, v[88:89], v[90:91] offset0:44 offset1:45
.LBB44_438:
	s_or_b64 exec, exec, s[0:1]
	v_cmp_lt_i32_e32 vcc, 20, v105
	s_waitcnt lgkmcnt(0)
	s_barrier
	s_and_saveexec_b64 s[0:1], vcc
	s_cbranch_execz .LBB44_440
; %bb.439:
	ds_read2_b64 v[108:111], v104 offset0:42 offset1:43
	v_mul_f64 v[102:103], v[92:93], v[6:7]
	v_mul_f64 v[6:7], v[94:95], v[6:7]
	v_fmac_f64_e32 v[102:103], v[94:95], v[4:5]
	v_fma_f64 v[4:5], v[92:93], v[4:5], -v[6:7]
	ds_read2_b64 v[92:95], v104 offset0:44 offset1:45
	s_waitcnt lgkmcnt(1)
	v_mul_f64 v[6:7], v[110:111], v[102:103]
	v_fma_f64 v[6:7], v[108:109], v[4:5], -v[6:7]
	s_waitcnt vmcnt(1)
	v_add_f64 v[0:1], v[0:1], -v[6:7]
	v_mul_f64 v[108:109], v[108:109], v[102:103]
	s_waitcnt lgkmcnt(0)
	v_mul_f64 v[6:7], v[94:95], v[102:103]
	v_fma_f64 v[6:7], v[92:93], v[4:5], -v[6:7]
	v_mul_f64 v[92:93], v[92:93], v[102:103]
	v_fmac_f64_e32 v[108:109], v[110:111], v[4:5]
	v_fmac_f64_e32 v[92:93], v[94:95], v[4:5]
	v_add_f64 v[2:3], v[2:3], -v[108:109]
	s_waitcnt vmcnt(0)
	v_add_f64 v[88:89], v[88:89], -v[6:7]
	v_add_f64 v[90:91], v[90:91], -v[92:93]
	v_mov_b64_e32 v[6:7], v[102:103]
.LBB44_440:
	s_or_b64 exec, exec, s[0:1]
	v_lshl_add_u32 v92, v105, 4, v104
	s_barrier
	s_waitcnt vmcnt(1)
	ds_write2_b64 v92, v[0:1], v[2:3] offset1:1
	s_waitcnt lgkmcnt(0)
	s_barrier
	ds_read2_b64 v[92:95], v104 offset0:42 offset1:43
	s_cmp_lt_i32 s20, 23
	v_mov_b32_e32 v102, 21
	s_cbranch_scc1 .LBB44_443
; %bb.441:
	v_add_u32_e32 v103, 0x160, v104
	s_mov_b32 s16, 22
	v_mov_b32_e32 v102, 21
.LBB44_442:                             ; =>This Inner Loop Header: Depth=1
	ds_read2_b64 v[108:111], v103 offset1:1
	s_waitcnt lgkmcnt(1)
	v_xor_b32_e32 v113, 0x80000000, v93
	v_xor_b32_e32 v115, 0x80000000, v95
	v_cmp_gt_f64_e32 vcc, 0, v[94:95]
	v_cmp_gt_f64_e64 s[0:1], 0, v[92:93]
	v_mov_b32_e32 v112, v92
	v_mov_b32_e32 v114, v94
	v_cndmask_b32_e64 v113, v93, v113, s[0:1]
	v_cndmask_b32_e32 v115, v95, v115, vcc
	v_add_f64 v[112:113], v[112:113], v[114:115]
	s_waitcnt lgkmcnt(0)
	v_xor_b32_e32 v115, 0x80000000, v109
	v_xor_b32_e32 v117, 0x80000000, v111
	v_cmp_gt_f64_e32 vcc, 0, v[110:111]
	v_cmp_gt_f64_e64 s[0:1], 0, v[108:109]
	v_mov_b32_e32 v114, v108
	v_mov_b32_e32 v116, v110
	v_cndmask_b32_e64 v115, v109, v115, s[0:1]
	v_cndmask_b32_e32 v117, v111, v117, vcc
	v_add_f64 v[114:115], v[114:115], v[116:117]
	v_mov_b32_e32 v118, s16
	s_add_i32 s16, s16, 1
	v_cmp_lt_f64_e32 vcc, v[112:113], v[114:115]
	v_add_u32_e32 v103, 16, v103
	s_cmp_lg_u32 s20, s16
	v_cndmask_b32_e32 v93, v93, v109, vcc
	v_cndmask_b32_e32 v92, v92, v108, vcc
	;; [unrolled: 1-line block ×5, first 2 shown]
	s_cbranch_scc1 .LBB44_442
.LBB44_443:
	s_waitcnt lgkmcnt(0)
	v_cmp_eq_f64_e32 vcc, 0, v[92:93]
	v_cmp_eq_f64_e64 s[0:1], 0, v[94:95]
	s_and_b64 s[0:1], vcc, s[0:1]
	s_and_saveexec_b64 s[16:17], s[0:1]
	s_xor_b64 s[0:1], exec, s[16:17]
; %bb.444:
	v_cmp_ne_u32_e32 vcc, 0, v107
	s_nop 1
	v_cndmask_b32_e32 v107, 22, v107, vcc
; %bb.445:
	s_andn2_saveexec_b64 s[0:1], s[0:1]
	s_cbranch_execz .LBB44_451
; %bb.446:
	v_cmp_ngt_f64_e64 s[16:17], |v[92:93]|, |v[94:95]|
	s_and_saveexec_b64 s[18:19], s[16:17]
	s_xor_b64 s[16:17], exec, s[18:19]
	s_cbranch_execz .LBB44_448
; %bb.447:
	v_div_scale_f64 v[108:109], s[18:19], v[94:95], v[94:95], v[92:93]
	v_rcp_f64_e32 v[110:111], v[108:109]
	v_div_scale_f64 v[112:113], vcc, v[92:93], v[94:95], v[92:93]
	v_fma_f64 v[114:115], -v[108:109], v[110:111], 1.0
	v_fmac_f64_e32 v[110:111], v[110:111], v[114:115]
	v_fma_f64 v[114:115], -v[108:109], v[110:111], 1.0
	v_fmac_f64_e32 v[110:111], v[110:111], v[114:115]
	v_mul_f64 v[114:115], v[112:113], v[110:111]
	v_fma_f64 v[108:109], -v[108:109], v[114:115], v[112:113]
	v_div_fmas_f64 v[108:109], v[108:109], v[110:111], v[114:115]
	v_div_fixup_f64 v[108:109], v[108:109], v[94:95], v[92:93]
	v_fmac_f64_e32 v[94:95], v[92:93], v[108:109]
	v_div_scale_f64 v[92:93], s[18:19], v[94:95], v[94:95], 1.0
	v_rcp_f64_e32 v[110:111], v[92:93]
	s_nop 0
	v_fma_f64 v[112:113], -v[92:93], v[110:111], 1.0
	v_fmac_f64_e32 v[110:111], v[110:111], v[112:113]
	v_fma_f64 v[112:113], -v[92:93], v[110:111], 1.0
	v_fmac_f64_e32 v[110:111], v[110:111], v[112:113]
	v_div_scale_f64 v[112:113], vcc, 1.0, v[94:95], 1.0
	v_mul_f64 v[114:115], v[112:113], v[110:111]
	v_fma_f64 v[92:93], -v[92:93], v[114:115], v[112:113]
	s_nop 1
	v_div_fmas_f64 v[92:93], v[92:93], v[110:111], v[114:115]
	v_div_fixup_f64 v[94:95], v[92:93], v[94:95], 1.0
	v_mul_f64 v[92:93], v[108:109], v[94:95]
	v_xor_b32_e32 v95, 0x80000000, v95
.LBB44_448:
	s_andn2_saveexec_b64 s[16:17], s[16:17]
	s_cbranch_execz .LBB44_450
; %bb.449:
	v_div_scale_f64 v[108:109], s[18:19], v[92:93], v[92:93], v[94:95]
	v_rcp_f64_e32 v[110:111], v[108:109]
	v_div_scale_f64 v[112:113], vcc, v[94:95], v[92:93], v[94:95]
	v_fma_f64 v[114:115], -v[108:109], v[110:111], 1.0
	v_fmac_f64_e32 v[110:111], v[110:111], v[114:115]
	v_fma_f64 v[114:115], -v[108:109], v[110:111], 1.0
	v_fmac_f64_e32 v[110:111], v[110:111], v[114:115]
	v_mul_f64 v[114:115], v[112:113], v[110:111]
	v_fma_f64 v[108:109], -v[108:109], v[114:115], v[112:113]
	v_div_fmas_f64 v[108:109], v[108:109], v[110:111], v[114:115]
	v_div_fixup_f64 v[108:109], v[108:109], v[92:93], v[94:95]
	v_fmac_f64_e32 v[92:93], v[94:95], v[108:109]
	v_div_scale_f64 v[94:95], s[18:19], v[92:93], v[92:93], 1.0
	v_rcp_f64_e32 v[110:111], v[94:95]
	s_nop 0
	v_fma_f64 v[112:113], -v[94:95], v[110:111], 1.0
	v_fmac_f64_e32 v[110:111], v[110:111], v[112:113]
	v_fma_f64 v[112:113], -v[94:95], v[110:111], 1.0
	v_fmac_f64_e32 v[110:111], v[110:111], v[112:113]
	v_div_scale_f64 v[112:113], vcc, 1.0, v[92:93], 1.0
	v_mul_f64 v[114:115], v[112:113], v[110:111]
	v_fma_f64 v[94:95], -v[94:95], v[114:115], v[112:113]
	s_nop 1
	v_div_fmas_f64 v[94:95], v[94:95], v[110:111], v[114:115]
	v_div_fixup_f64 v[92:93], v[94:95], v[92:93], 1.0
	v_mul_f64 v[94:95], v[108:109], -v[92:93]
.LBB44_450:
	s_or_b64 exec, exec, s[16:17]
.LBB44_451:
	s_or_b64 exec, exec, s[0:1]
	v_cmp_ne_u32_e32 vcc, v105, v102
	s_and_saveexec_b64 s[0:1], vcc
	s_xor_b64 s[0:1], exec, s[0:1]
	s_cbranch_execz .LBB44_457
; %bb.452:
	v_cmp_eq_u32_e32 vcc, 21, v105
	s_and_saveexec_b64 s[16:17], vcc
	s_cbranch_execz .LBB44_456
; %bb.453:
	v_cmp_ne_u32_e32 vcc, 21, v102
	s_xor_b64 s[18:19], s[14:15], -1
	s_and_b64 s[22:23], s[18:19], vcc
	s_and_saveexec_b64 s[18:19], s[22:23]
	s_cbranch_execz .LBB44_455
; %bb.454:
	v_ashrrev_i32_e32 v103, 31, v102
	v_lshl_add_u64 v[108:109], v[102:103], 2, v[100:101]
	global_load_dword v103, v[108:109], off
	global_load_dword v105, v[100:101], off offset:84
	s_waitcnt vmcnt(1)
	global_store_dword v[100:101], v103, off offset:84
	s_waitcnt vmcnt(1)
	global_store_dword v[108:109], v105, off
.LBB44_455:
	s_or_b64 exec, exec, s[18:19]
	v_mov_b32_e32 v105, v102
	v_mov_b32_e32 v106, v102
.LBB44_456:
	s_or_b64 exec, exec, s[16:17]
.LBB44_457:
	s_andn2_saveexec_b64 s[0:1], s[0:1]
	s_cbranch_execz .LBB44_459
; %bb.458:
	v_mov_b32_e32 v105, 21
	s_waitcnt vmcnt(0)
	ds_write2_b64 v104, v[88:89], v[90:91] offset0:44 offset1:45
.LBB44_459:
	s_or_b64 exec, exec, s[0:1]
	v_cmp_lt_i32_e32 vcc, 21, v105
	s_waitcnt lgkmcnt(0)
	s_barrier
	s_and_saveexec_b64 s[0:1], vcc
	s_cbranch_execz .LBB44_461
; %bb.460:
	ds_read2_b64 v[108:111], v104 offset0:44 offset1:45
	v_mul_f64 v[102:103], v[92:93], v[2:3]
	v_mul_f64 v[2:3], v[94:95], v[2:3]
	v_fmac_f64_e32 v[102:103], v[94:95], v[0:1]
	v_fma_f64 v[0:1], v[92:93], v[0:1], -v[2:3]
	s_waitcnt lgkmcnt(0)
	v_mul_f64 v[2:3], v[110:111], v[102:103]
	v_mul_f64 v[92:93], v[108:109], v[102:103]
	v_fma_f64 v[2:3], v[108:109], v[0:1], -v[2:3]
	v_fmac_f64_e32 v[92:93], v[110:111], v[0:1]
	s_waitcnt vmcnt(0)
	v_add_f64 v[88:89], v[88:89], -v[2:3]
	v_add_f64 v[90:91], v[90:91], -v[92:93]
	v_mov_b64_e32 v[2:3], v[102:103]
.LBB44_461:
	s_or_b64 exec, exec, s[0:1]
	v_lshl_add_u32 v92, v105, 4, v104
	s_barrier
	s_waitcnt vmcnt(0)
	ds_write2_b64 v92, v[88:89], v[90:91] offset1:1
	s_waitcnt lgkmcnt(0)
	s_barrier
	ds_read2_b64 v[92:95], v104 offset0:44 offset1:45
	s_cmp_lt_i32 s20, 24
	v_mov_b32_e32 v102, 22
	s_cbranch_scc1 .LBB44_464
; %bb.462:
	v_add_u32_e32 v103, 0x170, v104
	s_mov_b32 s16, 23
	v_mov_b32_e32 v102, 22
.LBB44_463:                             ; =>This Inner Loop Header: Depth=1
	ds_read2_b64 v[108:111], v103 offset1:1
	s_waitcnt lgkmcnt(1)
	v_xor_b32_e32 v104, 0x80000000, v93
	v_xor_b32_e32 v115, 0x80000000, v95
	v_cmp_gt_f64_e32 vcc, 0, v[94:95]
	v_cmp_gt_f64_e64 s[0:1], 0, v[92:93]
	v_mov_b32_e32 v112, v92
	v_mov_b32_e32 v114, v94
	v_cndmask_b32_e64 v113, v93, v104, s[0:1]
	v_cndmask_b32_e32 v115, v95, v115, vcc
	s_waitcnt lgkmcnt(0)
	v_xor_b32_e32 v104, 0x80000000, v109
	v_xor_b32_e32 v117, 0x80000000, v111
	v_cmp_gt_f64_e32 vcc, 0, v[110:111]
	v_cmp_gt_f64_e64 s[0:1], 0, v[108:109]
	v_add_f64 v[112:113], v[112:113], v[114:115]
	v_mov_b32_e32 v114, v108
	v_mov_b32_e32 v116, v110
	v_cndmask_b32_e64 v115, v109, v104, s[0:1]
	v_cndmask_b32_e32 v117, v111, v117, vcc
	v_add_f64 v[114:115], v[114:115], v[116:117]
	v_mov_b32_e32 v118, s16
	s_add_i32 s16, s16, 1
	v_cmp_lt_f64_e32 vcc, v[112:113], v[114:115]
	v_add_u32_e32 v103, 16, v103
	s_cmp_lg_u32 s20, s16
	v_cndmask_b32_e32 v93, v93, v109, vcc
	v_cndmask_b32_e32 v92, v92, v108, vcc
	;; [unrolled: 1-line block ×5, first 2 shown]
	s_cbranch_scc1 .LBB44_463
.LBB44_464:
	s_waitcnt lgkmcnt(0)
	v_cmp_eq_f64_e32 vcc, 0, v[92:93]
	v_cmp_eq_f64_e64 s[0:1], 0, v[94:95]
	s_and_b64 s[0:1], vcc, s[0:1]
	s_and_saveexec_b64 s[16:17], s[0:1]
	s_xor_b64 s[0:1], exec, s[16:17]
; %bb.465:
	v_cmp_ne_u32_e32 vcc, 0, v107
	s_nop 1
	v_cndmask_b32_e32 v107, 23, v107, vcc
; %bb.466:
	s_andn2_saveexec_b64 s[0:1], s[0:1]
	s_cbranch_execz .LBB44_472
; %bb.467:
	v_cmp_ngt_f64_e64 s[16:17], |v[92:93]|, |v[94:95]|
	s_and_saveexec_b64 s[18:19], s[16:17]
	s_xor_b64 s[16:17], exec, s[18:19]
	s_cbranch_execz .LBB44_469
; %bb.468:
	v_div_scale_f64 v[108:109], s[18:19], v[94:95], v[94:95], v[92:93]
	v_rcp_f64_e32 v[110:111], v[108:109]
	v_div_scale_f64 v[112:113], vcc, v[92:93], v[94:95], v[92:93]
	v_fma_f64 v[114:115], -v[108:109], v[110:111], 1.0
	v_fmac_f64_e32 v[110:111], v[110:111], v[114:115]
	v_fma_f64 v[114:115], -v[108:109], v[110:111], 1.0
	v_fmac_f64_e32 v[110:111], v[110:111], v[114:115]
	v_mul_f64 v[114:115], v[112:113], v[110:111]
	v_fma_f64 v[108:109], -v[108:109], v[114:115], v[112:113]
	v_div_fmas_f64 v[108:109], v[108:109], v[110:111], v[114:115]
	v_div_fixup_f64 v[108:109], v[108:109], v[94:95], v[92:93]
	v_fmac_f64_e32 v[94:95], v[92:93], v[108:109]
	v_div_scale_f64 v[92:93], s[18:19], v[94:95], v[94:95], 1.0
	v_rcp_f64_e32 v[110:111], v[92:93]
	s_nop 0
	v_fma_f64 v[112:113], -v[92:93], v[110:111], 1.0
	v_fmac_f64_e32 v[110:111], v[110:111], v[112:113]
	v_fma_f64 v[112:113], -v[92:93], v[110:111], 1.0
	v_fmac_f64_e32 v[110:111], v[110:111], v[112:113]
	v_div_scale_f64 v[112:113], vcc, 1.0, v[94:95], 1.0
	v_mul_f64 v[114:115], v[112:113], v[110:111]
	v_fma_f64 v[92:93], -v[92:93], v[114:115], v[112:113]
	s_nop 1
	v_div_fmas_f64 v[92:93], v[92:93], v[110:111], v[114:115]
	v_div_fixup_f64 v[94:95], v[92:93], v[94:95], 1.0
	v_mul_f64 v[92:93], v[108:109], v[94:95]
	v_xor_b32_e32 v95, 0x80000000, v95
.LBB44_469:
	s_andn2_saveexec_b64 s[16:17], s[16:17]
	s_cbranch_execz .LBB44_471
; %bb.470:
	v_div_scale_f64 v[108:109], s[18:19], v[92:93], v[92:93], v[94:95]
	v_rcp_f64_e32 v[110:111], v[108:109]
	v_div_scale_f64 v[112:113], vcc, v[94:95], v[92:93], v[94:95]
	v_fma_f64 v[114:115], -v[108:109], v[110:111], 1.0
	v_fmac_f64_e32 v[110:111], v[110:111], v[114:115]
	v_fma_f64 v[114:115], -v[108:109], v[110:111], 1.0
	v_fmac_f64_e32 v[110:111], v[110:111], v[114:115]
	v_mul_f64 v[114:115], v[112:113], v[110:111]
	v_fma_f64 v[108:109], -v[108:109], v[114:115], v[112:113]
	v_div_fmas_f64 v[108:109], v[108:109], v[110:111], v[114:115]
	v_div_fixup_f64 v[108:109], v[108:109], v[92:93], v[94:95]
	v_fmac_f64_e32 v[92:93], v[94:95], v[108:109]
	v_div_scale_f64 v[94:95], s[18:19], v[92:93], v[92:93], 1.0
	v_rcp_f64_e32 v[110:111], v[94:95]
	s_nop 0
	v_fma_f64 v[112:113], -v[94:95], v[110:111], 1.0
	v_fmac_f64_e32 v[110:111], v[110:111], v[112:113]
	v_fma_f64 v[112:113], -v[94:95], v[110:111], 1.0
	v_fmac_f64_e32 v[110:111], v[110:111], v[112:113]
	v_div_scale_f64 v[112:113], vcc, 1.0, v[92:93], 1.0
	v_mul_f64 v[114:115], v[112:113], v[110:111]
	v_fma_f64 v[94:95], -v[94:95], v[114:115], v[112:113]
	s_nop 1
	v_div_fmas_f64 v[94:95], v[94:95], v[110:111], v[114:115]
	v_div_fixup_f64 v[92:93], v[94:95], v[92:93], 1.0
	v_mul_f64 v[94:95], v[108:109], -v[92:93]
.LBB44_471:
	s_or_b64 exec, exec, s[16:17]
.LBB44_472:
	s_or_b64 exec, exec, s[0:1]
	v_cmp_ne_u32_e32 vcc, v105, v102
	v_mov_b32_e32 v104, 22
	s_and_saveexec_b64 s[0:1], vcc
	s_cbranch_execz .LBB44_478
; %bb.473:
	v_cmp_eq_u32_e32 vcc, 22, v105
	s_and_saveexec_b64 s[16:17], vcc
	s_cbranch_execz .LBB44_477
; %bb.474:
	v_cmp_ne_u32_e32 vcc, 22, v102
	s_xor_b64 s[14:15], s[14:15], -1
	s_and_b64 s[18:19], s[14:15], vcc
	s_and_saveexec_b64 s[14:15], s[18:19]
	s_cbranch_execz .LBB44_476
; %bb.475:
	v_ashrrev_i32_e32 v103, 31, v102
	v_lshl_add_u64 v[104:105], v[102:103], 2, v[100:101]
	global_load_dword v103, v[104:105], off
	global_load_dword v106, v[100:101], off offset:88
	s_waitcnt vmcnt(1)
	global_store_dword v[100:101], v103, off offset:88
	s_waitcnt vmcnt(1)
	global_store_dword v[104:105], v106, off
.LBB44_476:
	s_or_b64 exec, exec, s[14:15]
	v_mov_b32_e32 v105, v102
	v_mov_b32_e32 v106, v102
.LBB44_477:
	s_or_b64 exec, exec, s[16:17]
	v_mov_b32_e32 v104, v105
.LBB44_478:
	s_or_b64 exec, exec, s[0:1]
	v_cmp_gt_i32_e32 vcc, 23, v104
	v_ashrrev_i32_e32 v105, 31, v104
	s_barrier
	s_barrier
	s_and_saveexec_b64 s[0:1], vcc
	s_cbranch_execz .LBB44_480
; %bb.479:
	v_mov_b32_e32 v100, s6
	v_mov_b32_e32 v101, s7
	v_mul_lo_u32 v108, s11, v98
	v_mul_lo_u32 v109, s10, v99
	v_mad_u64_u32 v[102:103], s[6:7], s10, v98, 0
	v_add3_u32 v103, v103, v109, v108
	v_lshl_add_u64 v[100:101], v[102:103], 2, v[100:101]
	v_lshl_add_u64 v[100:101], s[8:9], 2, v[100:101]
	v_lshl_add_u64 v[100:101], v[104:105], 2, v[100:101]
	v_add3_u32 v102, v106, s13, 1
	global_store_dword v[100:101], v102, off
.LBB44_480:
	s_or_b64 exec, exec, s[0:1]
	v_cmp_eq_u32_e32 vcc, 0, v104
	s_and_saveexec_b64 s[6:7], vcc
	s_cbranch_execz .LBB44_483
; %bb.481:
	v_mov_b32_e32 v100, s4
	v_mov_b32_e32 v101, s5
	v_lshl_add_u64 v[98:99], v[98:99], 2, v[100:101]
	global_load_dword v100, v[98:99], off
	v_cmp_ne_u32_e64 s[0:1], 0, v107
	s_waitcnt vmcnt(0)
	v_cmp_eq_u32_e32 vcc, 0, v100
	s_and_b64 s[0:1], vcc, s[0:1]
	s_and_b64 exec, exec, s[0:1]
	s_cbranch_execz .LBB44_483
; %bb.482:
	v_add_u32_e32 v100, s13, v107
	global_store_dword v[98:99], v100, off
.LBB44_483:
	s_or_b64 exec, exec, s[6:7]
	v_mul_f64 v[98:99], v[94:95], v[90:91]
	v_fma_f64 v[98:99], v[92:93], v[88:89], -v[98:99]
	v_mul_f64 v[92:93], v[92:93], v[90:91]
	v_fmac_f64_e32 v[92:93], v[94:95], v[88:89]
	v_cmp_lt_i32_e32 vcc, 22, v104
	s_nop 1
	v_cndmask_b32_e32 v91, v91, v93, vcc
	v_cndmask_b32_e32 v90, v90, v92, vcc
	v_lshl_add_u64 v[92:93], v[104:105], 4, v[96:97]
	global_store_dwordx4 v[92:93], v[64:67], off
	v_cndmask_b32_e32 v89, v89, v99, vcc
	v_cndmask_b32_e32 v88, v88, v98, vcc
	v_lshl_add_u64 v[64:65], s[2:3], 4, v[92:93]
	global_store_dwordx4 v[64:65], v[60:63], off
	s_nop 1
	v_add_u32_e32 v60, s12, v104
	v_ashrrev_i32_e32 v61, 31, v60
	v_lshl_add_u64 v[62:63], v[60:61], 4, v[96:97]
	v_add_u32_e32 v60, s2, v60
	v_ashrrev_i32_e32 v61, 31, v60
	global_store_dwordx4 v[62:63], v[84:87], off
	v_lshl_add_u64 v[62:63], v[60:61], 4, v[96:97]
	v_add_u32_e32 v60, s2, v60
	v_ashrrev_i32_e32 v61, 31, v60
	global_store_dwordx4 v[62:63], v[80:83], off
	v_lshl_add_u64 v[62:63], v[60:61], 4, v[96:97]
	v_add_u32_e32 v60, s2, v60
	v_ashrrev_i32_e32 v61, 31, v60
	global_store_dwordx4 v[62:63], v[76:79], off
	v_lshl_add_u64 v[62:63], v[60:61], 4, v[96:97]
	v_add_u32_e32 v60, s2, v60
	v_ashrrev_i32_e32 v61, 31, v60
	global_store_dwordx4 v[62:63], v[72:75], off
	v_lshl_add_u64 v[62:63], v[60:61], 4, v[96:97]
	v_add_u32_e32 v60, s2, v60
	v_ashrrev_i32_e32 v61, 31, v60
	global_store_dwordx4 v[62:63], v[68:71], off
	v_lshl_add_u64 v[62:63], v[60:61], 4, v[96:97]
	global_store_dwordx4 v[62:63], v[56:59], off
	s_nop 1
	v_add_u32_e32 v56, s2, v60
	v_ashrrev_i32_e32 v57, 31, v56
	v_lshl_add_u64 v[58:59], v[56:57], 4, v[96:97]
	global_store_dwordx4 v[58:59], v[52:55], off
	s_nop 1
	v_add_u32_e32 v52, s2, v56
	v_ashrrev_i32_e32 v53, 31, v52
	;; [unrolled: 5-line block ×10, first 2 shown]
	v_lshl_add_u64 v[18:19], v[16:17], 4, v[96:97]
	v_add_u32_e32 v16, s2, v16
	v_ashrrev_i32_e32 v17, 31, v16
	global_store_dwordx4 v[18:19], v[20:23], off
	v_lshl_add_u64 v[18:19], v[16:17], 4, v[96:97]
	global_store_dwordx4 v[18:19], v[12:15], off
	s_nop 1
	v_add_u32_e32 v12, s2, v16
	v_ashrrev_i32_e32 v13, 31, v12
	v_lshl_add_u64 v[14:15], v[12:13], 4, v[96:97]
	global_store_dwordx4 v[14:15], v[8:11], off
	s_nop 1
	v_add_u32_e32 v8, s2, v12
	v_ashrrev_i32_e32 v9, 31, v8
	;; [unrolled: 5-line block ×4, first 2 shown]
	v_lshl_add_u64 v[0:1], v[0:1], 4, v[96:97]
	global_store_dwordx4 v[0:1], v[88:91], off
.LBB44_484:
	s_endpgm
	.section	.rodata,"a",@progbits
	.p2align	6, 0x0
	.amdhsa_kernel _ZN9rocsolver6v33100L18getf2_small_kernelILi23E19rocblas_complex_numIdEiiPS3_EEvT1_T3_lS5_lPS5_llPT2_S5_S5_S7_l
		.amdhsa_group_segment_fixed_size 0
		.amdhsa_private_segment_fixed_size 0
		.amdhsa_kernarg_size 352
		.amdhsa_user_sgpr_count 2
		.amdhsa_user_sgpr_dispatch_ptr 0
		.amdhsa_user_sgpr_queue_ptr 0
		.amdhsa_user_sgpr_kernarg_segment_ptr 1
		.amdhsa_user_sgpr_dispatch_id 0
		.amdhsa_user_sgpr_kernarg_preload_length 0
		.amdhsa_user_sgpr_kernarg_preload_offset 0
		.amdhsa_user_sgpr_private_segment_size 0
		.amdhsa_uses_dynamic_stack 0
		.amdhsa_enable_private_segment 0
		.amdhsa_system_sgpr_workgroup_id_x 1
		.amdhsa_system_sgpr_workgroup_id_y 1
		.amdhsa_system_sgpr_workgroup_id_z 0
		.amdhsa_system_sgpr_workgroup_info 0
		.amdhsa_system_vgpr_workitem_id 1
		.amdhsa_next_free_vgpr 122
		.amdhsa_next_free_sgpr 24
		.amdhsa_accum_offset 124
		.amdhsa_reserve_vcc 1
		.amdhsa_float_round_mode_32 0
		.amdhsa_float_round_mode_16_64 0
		.amdhsa_float_denorm_mode_32 3
		.amdhsa_float_denorm_mode_16_64 3
		.amdhsa_dx10_clamp 1
		.amdhsa_ieee_mode 1
		.amdhsa_fp16_overflow 0
		.amdhsa_tg_split 0
		.amdhsa_exception_fp_ieee_invalid_op 0
		.amdhsa_exception_fp_denorm_src 0
		.amdhsa_exception_fp_ieee_div_zero 0
		.amdhsa_exception_fp_ieee_overflow 0
		.amdhsa_exception_fp_ieee_underflow 0
		.amdhsa_exception_fp_ieee_inexact 0
		.amdhsa_exception_int_div_zero 0
	.end_amdhsa_kernel
	.section	.text._ZN9rocsolver6v33100L18getf2_small_kernelILi23E19rocblas_complex_numIdEiiPS3_EEvT1_T3_lS5_lPS5_llPT2_S5_S5_S7_l,"axG",@progbits,_ZN9rocsolver6v33100L18getf2_small_kernelILi23E19rocblas_complex_numIdEiiPS3_EEvT1_T3_lS5_lPS5_llPT2_S5_S5_S7_l,comdat
.Lfunc_end44:
	.size	_ZN9rocsolver6v33100L18getf2_small_kernelILi23E19rocblas_complex_numIdEiiPS3_EEvT1_T3_lS5_lPS5_llPT2_S5_S5_S7_l, .Lfunc_end44-_ZN9rocsolver6v33100L18getf2_small_kernelILi23E19rocblas_complex_numIdEiiPS3_EEvT1_T3_lS5_lPS5_llPT2_S5_S5_S7_l
                                        ; -- End function
	.set _ZN9rocsolver6v33100L18getf2_small_kernelILi23E19rocblas_complex_numIdEiiPS3_EEvT1_T3_lS5_lPS5_llPT2_S5_S5_S7_l.num_vgpr, 122
	.set _ZN9rocsolver6v33100L18getf2_small_kernelILi23E19rocblas_complex_numIdEiiPS3_EEvT1_T3_lS5_lPS5_llPT2_S5_S5_S7_l.num_agpr, 0
	.set _ZN9rocsolver6v33100L18getf2_small_kernelILi23E19rocblas_complex_numIdEiiPS3_EEvT1_T3_lS5_lPS5_llPT2_S5_S5_S7_l.numbered_sgpr, 24
	.set _ZN9rocsolver6v33100L18getf2_small_kernelILi23E19rocblas_complex_numIdEiiPS3_EEvT1_T3_lS5_lPS5_llPT2_S5_S5_S7_l.num_named_barrier, 0
	.set _ZN9rocsolver6v33100L18getf2_small_kernelILi23E19rocblas_complex_numIdEiiPS3_EEvT1_T3_lS5_lPS5_llPT2_S5_S5_S7_l.private_seg_size, 0
	.set _ZN9rocsolver6v33100L18getf2_small_kernelILi23E19rocblas_complex_numIdEiiPS3_EEvT1_T3_lS5_lPS5_llPT2_S5_S5_S7_l.uses_vcc, 1
	.set _ZN9rocsolver6v33100L18getf2_small_kernelILi23E19rocblas_complex_numIdEiiPS3_EEvT1_T3_lS5_lPS5_llPT2_S5_S5_S7_l.uses_flat_scratch, 0
	.set _ZN9rocsolver6v33100L18getf2_small_kernelILi23E19rocblas_complex_numIdEiiPS3_EEvT1_T3_lS5_lPS5_llPT2_S5_S5_S7_l.has_dyn_sized_stack, 0
	.set _ZN9rocsolver6v33100L18getf2_small_kernelILi23E19rocblas_complex_numIdEiiPS3_EEvT1_T3_lS5_lPS5_llPT2_S5_S5_S7_l.has_recursion, 0
	.set _ZN9rocsolver6v33100L18getf2_small_kernelILi23E19rocblas_complex_numIdEiiPS3_EEvT1_T3_lS5_lPS5_llPT2_S5_S5_S7_l.has_indirect_call, 0
	.section	.AMDGPU.csdata,"",@progbits
; Kernel info:
; codeLenInByte = 39652
; TotalNumSgprs: 30
; NumVgprs: 122
; NumAgprs: 0
; TotalNumVgprs: 122
; ScratchSize: 0
; MemoryBound: 0
; FloatMode: 240
; IeeeMode: 1
; LDSByteSize: 0 bytes/workgroup (compile time only)
; SGPRBlocks: 3
; VGPRBlocks: 15
; NumSGPRsForWavesPerEU: 30
; NumVGPRsForWavesPerEU: 122
; AccumOffset: 124
; Occupancy: 4
; WaveLimiterHint : 0
; COMPUTE_PGM_RSRC2:SCRATCH_EN: 0
; COMPUTE_PGM_RSRC2:USER_SGPR: 2
; COMPUTE_PGM_RSRC2:TRAP_HANDLER: 0
; COMPUTE_PGM_RSRC2:TGID_X_EN: 1
; COMPUTE_PGM_RSRC2:TGID_Y_EN: 1
; COMPUTE_PGM_RSRC2:TGID_Z_EN: 0
; COMPUTE_PGM_RSRC2:TIDIG_COMP_CNT: 1
; COMPUTE_PGM_RSRC3_GFX90A:ACCUM_OFFSET: 30
; COMPUTE_PGM_RSRC3_GFX90A:TG_SPLIT: 0
	.section	.text._ZN9rocsolver6v33100L23getf2_npvt_small_kernelILi23E19rocblas_complex_numIdEiiPS3_EEvT1_T3_lS5_lPT2_S5_S5_,"axG",@progbits,_ZN9rocsolver6v33100L23getf2_npvt_small_kernelILi23E19rocblas_complex_numIdEiiPS3_EEvT1_T3_lS5_lPT2_S5_S5_,comdat
	.globl	_ZN9rocsolver6v33100L23getf2_npvt_small_kernelILi23E19rocblas_complex_numIdEiiPS3_EEvT1_T3_lS5_lPT2_S5_S5_ ; -- Begin function _ZN9rocsolver6v33100L23getf2_npvt_small_kernelILi23E19rocblas_complex_numIdEiiPS3_EEvT1_T3_lS5_lPT2_S5_S5_
	.p2align	8
	.type	_ZN9rocsolver6v33100L23getf2_npvt_small_kernelILi23E19rocblas_complex_numIdEiiPS3_EEvT1_T3_lS5_lPT2_S5_S5_,@function
_ZN9rocsolver6v33100L23getf2_npvt_small_kernelILi23E19rocblas_complex_numIdEiiPS3_EEvT1_T3_lS5_lPT2_S5_S5_: ; @_ZN9rocsolver6v33100L23getf2_npvt_small_kernelILi23E19rocblas_complex_numIdEiiPS3_EEvT1_T3_lS5_lPT2_S5_S5_
; %bb.0:
	s_load_dword s2, s[0:1], 0x44
	s_load_dwordx2 s[8:9], s[0:1], 0x30
	v_bfe_u32 v92, v0, 10, 10
	s_waitcnt lgkmcnt(0)
	s_lshr_b32 s10, s2, 16
	s_mul_i32 s3, s3, s10
	v_add_u32_e32 v206, s3, v92
	v_cmp_gt_i32_e32 vcc, s8, v206
	s_and_saveexec_b64 s[2:3], vcc
	s_cbranch_execz .LBB45_210
; %bb.1:
	s_load_dwordx4 s[12:15], s[0:1], 0x8
	s_load_dword s2, s[0:1], 0x18
	s_load_dwordx4 s[4:7], s[0:1], 0x20
	v_ashrrev_i32_e32 v207, 31, v206
	v_and_b32_e32 v232, 0x3ff, v0
	s_waitcnt lgkmcnt(0)
	v_mov_b32_e32 v2, s12
	v_mov_b32_e32 v3, s13
	v_mul_lo_u32 v4, s5, v206
	v_mul_lo_u32 v5, s4, v207
	v_mad_u64_u32 v[0:1], s[0:1], s4, v206, 0
	v_add3_u32 v1, v1, v5, v4
	s_add_i32 s0, s2, s2
	v_lshl_add_u64 v[0:1], v[0:1], 4, v[2:3]
	v_add_u32_e32 v10, s0, v232
	v_lshl_add_u64 v[8:9], s[14:15], 4, v[0:1]
	v_ashrrev_i32_e32 v11, 31, v10
	v_lshl_add_u64 v[188:189], v[10:11], 4, v[8:9]
	v_add_u32_e32 v10, s2, v10
	v_ashrrev_i32_e32 v11, 31, v10
	v_lshl_add_u64 v[190:191], v[10:11], 4, v[8:9]
	v_add_u32_e32 v10, s2, v10
	;; [unrolled: 3-line block ×19, first 2 shown]
	v_ashrrev_i32_e32 v11, 31, v10
	v_lshlrev_b32_e32 v0, 4, v232
	v_mov_b32_e32 v1, 0
	v_lshl_add_u64 v[228:229], v[10:11], 4, v[8:9]
	v_add_u32_e32 v10, s2, v10
	s_ashr_i32 s3, s2, 31
	v_lshl_add_u64 v[184:185], v[8:9], 0, v[0:1]
	v_ashrrev_i32_e32 v11, 31, v10
	v_lshl_add_u64 v[186:187], s[2:3], 4, v[184:185]
	global_load_dwordx4 v[4:7], v[184:185], off
	global_load_dwordx4 v[0:3], v[186:187], off
	v_lshl_add_u64 v[230:231], v[10:11], 4, v[8:9]
	global_load_dwordx4 v[84:87], v[188:189], off
	global_load_dwordx4 v[80:83], v[190:191], off
	;; [unrolled: 1-line block ×21, first 2 shown]
	s_mulk_i32 s10, 0x170
	s_movk_i32 s0, 0x170
	s_add_i32 s1, s10, 0
	v_mad_u32_u24 v234, v92, s0, 0
	v_lshl_add_u32 v233, v92, 4, s1
	v_cmp_ne_u32_e64 s[2:3], 0, v232
	v_cmp_eq_u32_e64 s[0:1], 0, v232
	s_and_saveexec_b64 s[10:11], s[0:1]
	s_cbranch_execz .LBB45_8
; %bb.2:
	s_waitcnt vmcnt(22)
	ds_write2_b64 v233, v[4:5], v[6:7] offset1:1
	s_waitcnt vmcnt(21)
	ds_write2_b64 v234, v[0:1], v[2:3] offset0:2 offset1:3
	s_waitcnt vmcnt(20)
	ds_write2_b64 v234, v[84:85], v[86:87] offset0:4 offset1:5
	;; [unrolled: 2-line block ×22, first 2 shown]
	ds_read2_b64 v[92:95], v233 offset1:1
	s_waitcnt lgkmcnt(0)
	v_cmp_neq_f64_e32 vcc, 0, v[92:93]
	v_cmp_neq_f64_e64 s[4:5], 0, v[94:95]
	s_or_b64 s[4:5], vcc, s[4:5]
	s_and_b64 exec, exec, s[4:5]
	s_cbranch_execz .LBB45_8
; %bb.3:
	v_cmp_ngt_f64_e64 s[4:5], |v[92:93]|, |v[94:95]|
                                        ; implicit-def: $vgpr96_vgpr97
	s_and_saveexec_b64 s[12:13], s[4:5]
	s_xor_b64 s[4:5], exec, s[12:13]
                                        ; implicit-def: $vgpr98_vgpr99
	s_cbranch_execz .LBB45_5
; %bb.4:
	v_div_scale_f64 v[96:97], s[12:13], v[94:95], v[94:95], v[92:93]
	v_rcp_f64_e32 v[98:99], v[96:97]
	v_div_scale_f64 v[100:101], vcc, v[92:93], v[94:95], v[92:93]
	v_fma_f64 v[102:103], -v[96:97], v[98:99], 1.0
	v_fmac_f64_e32 v[98:99], v[98:99], v[102:103]
	v_fma_f64 v[102:103], -v[96:97], v[98:99], 1.0
	v_fmac_f64_e32 v[98:99], v[98:99], v[102:103]
	v_mul_f64 v[102:103], v[100:101], v[98:99]
	v_fma_f64 v[96:97], -v[96:97], v[102:103], v[100:101]
	v_div_fmas_f64 v[96:97], v[96:97], v[98:99], v[102:103]
	v_div_fixup_f64 v[96:97], v[96:97], v[94:95], v[92:93]
	v_fmac_f64_e32 v[94:95], v[92:93], v[96:97]
	v_div_scale_f64 v[92:93], s[12:13], v[94:95], v[94:95], 1.0
	v_rcp_f64_e32 v[98:99], v[92:93]
	s_nop 0
	v_fma_f64 v[100:101], -v[92:93], v[98:99], 1.0
	v_fmac_f64_e32 v[98:99], v[98:99], v[100:101]
	v_fma_f64 v[100:101], -v[92:93], v[98:99], 1.0
	v_fmac_f64_e32 v[98:99], v[98:99], v[100:101]
	v_div_scale_f64 v[100:101], vcc, 1.0, v[94:95], 1.0
	v_mul_f64 v[102:103], v[100:101], v[98:99]
	v_fma_f64 v[92:93], -v[92:93], v[102:103], v[100:101]
	s_nop 1
	v_div_fmas_f64 v[92:93], v[92:93], v[98:99], v[102:103]
	v_div_fixup_f64 v[98:99], v[92:93], v[94:95], 1.0
	v_mul_f64 v[96:97], v[96:97], v[98:99]
	v_xor_b32_e32 v99, 0x80000000, v99
                                        ; implicit-def: $vgpr92_vgpr93
.LBB45_5:
	s_andn2_saveexec_b64 s[4:5], s[4:5]
	s_cbranch_execz .LBB45_7
; %bb.6:
	v_div_scale_f64 v[96:97], s[12:13], v[92:93], v[92:93], v[94:95]
	v_rcp_f64_e32 v[98:99], v[96:97]
	v_div_scale_f64 v[100:101], vcc, v[94:95], v[92:93], v[94:95]
	v_fma_f64 v[102:103], -v[96:97], v[98:99], 1.0
	v_fmac_f64_e32 v[98:99], v[98:99], v[102:103]
	v_fma_f64 v[102:103], -v[96:97], v[98:99], 1.0
	v_fmac_f64_e32 v[98:99], v[98:99], v[102:103]
	v_mul_f64 v[102:103], v[100:101], v[98:99]
	v_fma_f64 v[96:97], -v[96:97], v[102:103], v[100:101]
	v_div_fmas_f64 v[96:97], v[96:97], v[98:99], v[102:103]
	v_div_fixup_f64 v[98:99], v[96:97], v[92:93], v[94:95]
	v_fmac_f64_e32 v[92:93], v[94:95], v[98:99]
	v_div_scale_f64 v[94:95], s[12:13], v[92:93], v[92:93], 1.0
	v_rcp_f64_e32 v[96:97], v[94:95]
	s_nop 0
	v_fma_f64 v[100:101], -v[94:95], v[96:97], 1.0
	v_fmac_f64_e32 v[96:97], v[96:97], v[100:101]
	v_fma_f64 v[100:101], -v[94:95], v[96:97], 1.0
	v_fmac_f64_e32 v[96:97], v[96:97], v[100:101]
	v_div_scale_f64 v[100:101], vcc, 1.0, v[92:93], 1.0
	v_mul_f64 v[102:103], v[100:101], v[96:97]
	v_fma_f64 v[94:95], -v[94:95], v[102:103], v[100:101]
	s_nop 1
	v_div_fmas_f64 v[94:95], v[94:95], v[96:97], v[102:103]
	v_div_fixup_f64 v[96:97], v[94:95], v[92:93], 1.0
	v_mul_f64 v[98:99], v[98:99], -v[96:97]
.LBB45_7:
	s_or_b64 exec, exec, s[4:5]
	ds_write2_b64 v233, v[96:97], v[98:99] offset1:1
.LBB45_8:
	s_or_b64 exec, exec, s[10:11]
	s_waitcnt lgkmcnt(0)
	s_barrier
	ds_read2_b64 v[92:95], v233 offset1:1
	s_and_saveexec_b64 s[4:5], s[2:3]
	s_cbranch_execz .LBB45_10
; %bb.9:
	ds_read2_b64 v[98:101], v234 offset0:2 offset1:3
	ds_read2_b64 v[102:105], v234 offset0:4 offset1:5
	s_waitcnt vmcnt(22) lgkmcnt(2)
	v_mul_f64 v[96:97], v[94:95], v[6:7]
	v_mul_f64 v[6:7], v[92:93], v[6:7]
	v_fmac_f64_e32 v[6:7], v[94:95], v[4:5]
	v_fma_f64 v[96:97], v[92:93], v[4:5], -v[96:97]
	s_waitcnt lgkmcnt(1)
	v_mul_f64 v[4:5], v[100:101], v[6:7]
	v_fma_f64 v[4:5], v[98:99], v[96:97], -v[4:5]
	v_mul_f64 v[98:99], v[98:99], v[6:7]
	v_fmac_f64_e32 v[98:99], v[100:101], v[96:97]
	s_waitcnt vmcnt(21)
	v_add_f64 v[0:1], v[0:1], -v[4:5]
	v_add_f64 v[2:3], v[2:3], -v[98:99]
	s_waitcnt lgkmcnt(0)
	v_mul_f64 v[4:5], v[104:105], v[6:7]
	ds_read2_b64 v[98:101], v234 offset0:6 offset1:7
	v_fma_f64 v[4:5], v[102:103], v[96:97], -v[4:5]
	v_mul_f64 v[102:103], v[102:103], v[6:7]
	v_fmac_f64_e32 v[102:103], v[104:105], v[96:97]
	s_waitcnt vmcnt(20)
	v_add_f64 v[86:87], v[86:87], -v[102:103]
	ds_read2_b64 v[102:105], v234 offset0:8 offset1:9
	v_add_f64 v[84:85], v[84:85], -v[4:5]
	s_waitcnt lgkmcnt(1)
	v_mul_f64 v[4:5], v[100:101], v[6:7]
	v_fma_f64 v[4:5], v[98:99], v[96:97], -v[4:5]
	v_mul_f64 v[98:99], v[98:99], v[6:7]
	v_fmac_f64_e32 v[98:99], v[100:101], v[96:97]
	s_waitcnt vmcnt(19)
	v_add_f64 v[80:81], v[80:81], -v[4:5]
	v_add_f64 v[82:83], v[82:83], -v[98:99]
	s_waitcnt lgkmcnt(0)
	v_mul_f64 v[4:5], v[104:105], v[6:7]
	ds_read2_b64 v[98:101], v234 offset0:10 offset1:11
	v_fma_f64 v[4:5], v[102:103], v[96:97], -v[4:5]
	v_mul_f64 v[102:103], v[102:103], v[6:7]
	v_fmac_f64_e32 v[102:103], v[104:105], v[96:97]
	s_waitcnt vmcnt(18)
	v_add_f64 v[78:79], v[78:79], -v[102:103]
	ds_read2_b64 v[102:105], v234 offset0:12 offset1:13
	v_add_f64 v[76:77], v[76:77], -v[4:5]
	;; [unrolled: 18-line block ×10, first 2 shown]
	s_waitcnt lgkmcnt(1)
	v_mul_f64 v[4:5], v[100:101], v[6:7]
	v_fma_f64 v[4:5], v[98:99], v[96:97], -v[4:5]
	v_mul_f64 v[98:99], v[98:99], v[6:7]
	v_fmac_f64_e32 v[98:99], v[100:101], v[96:97]
	s_waitcnt vmcnt(1)
	v_add_f64 v[8:9], v[8:9], -v[4:5]
	v_add_f64 v[10:11], v[10:11], -v[98:99]
	s_waitcnt lgkmcnt(0)
	v_mul_f64 v[4:5], v[104:105], v[6:7]
	v_mul_f64 v[98:99], v[102:103], v[6:7]
	v_fma_f64 v[4:5], v[102:103], v[96:97], -v[4:5]
	v_fmac_f64_e32 v[98:99], v[104:105], v[96:97]
	s_waitcnt vmcnt(0)
	v_add_f64 v[88:89], v[88:89], -v[4:5]
	v_add_f64 v[90:91], v[90:91], -v[98:99]
	v_mov_b64_e32 v[4:5], v[96:97]
.LBB45_10:
	s_or_b64 exec, exec, s[4:5]
	v_cmp_eq_u32_e32 vcc, 1, v232
	s_waitcnt lgkmcnt(0)
	s_barrier
	s_and_saveexec_b64 s[4:5], vcc
	s_cbranch_execz .LBB45_17
; %bb.11:
	s_waitcnt vmcnt(21)
	ds_write2_b64 v233, v[0:1], v[2:3] offset1:1
	s_waitcnt vmcnt(20)
	ds_write2_b64 v234, v[84:85], v[86:87] offset0:4 offset1:5
	s_waitcnt vmcnt(19)
	ds_write2_b64 v234, v[80:81], v[82:83] offset0:6 offset1:7
	;; [unrolled: 2-line block ×21, first 2 shown]
	ds_read2_b64 v[96:99], v233 offset1:1
	s_waitcnt lgkmcnt(0)
	v_cmp_neq_f64_e32 vcc, 0, v[96:97]
	v_cmp_neq_f64_e64 s[2:3], 0, v[98:99]
	s_or_b64 s[2:3], vcc, s[2:3]
	s_and_b64 exec, exec, s[2:3]
	s_cbranch_execz .LBB45_17
; %bb.12:
	v_cmp_ngt_f64_e64 s[2:3], |v[96:97]|, |v[98:99]|
                                        ; implicit-def: $vgpr100_vgpr101
	s_and_saveexec_b64 s[10:11], s[2:3]
	s_xor_b64 s[2:3], exec, s[10:11]
                                        ; implicit-def: $vgpr102_vgpr103
	s_cbranch_execz .LBB45_14
; %bb.13:
	v_div_scale_f64 v[100:101], s[10:11], v[98:99], v[98:99], v[96:97]
	v_rcp_f64_e32 v[102:103], v[100:101]
	v_div_scale_f64 v[104:105], vcc, v[96:97], v[98:99], v[96:97]
	v_fma_f64 v[106:107], -v[100:101], v[102:103], 1.0
	v_fmac_f64_e32 v[102:103], v[102:103], v[106:107]
	v_fma_f64 v[106:107], -v[100:101], v[102:103], 1.0
	v_fmac_f64_e32 v[102:103], v[102:103], v[106:107]
	v_mul_f64 v[106:107], v[104:105], v[102:103]
	v_fma_f64 v[100:101], -v[100:101], v[106:107], v[104:105]
	v_div_fmas_f64 v[100:101], v[100:101], v[102:103], v[106:107]
	v_div_fixup_f64 v[100:101], v[100:101], v[98:99], v[96:97]
	v_fmac_f64_e32 v[98:99], v[96:97], v[100:101]
	v_div_scale_f64 v[96:97], s[10:11], v[98:99], v[98:99], 1.0
	v_rcp_f64_e32 v[102:103], v[96:97]
	s_nop 0
	v_fma_f64 v[104:105], -v[96:97], v[102:103], 1.0
	v_fmac_f64_e32 v[102:103], v[102:103], v[104:105]
	v_fma_f64 v[104:105], -v[96:97], v[102:103], 1.0
	v_fmac_f64_e32 v[102:103], v[102:103], v[104:105]
	v_div_scale_f64 v[104:105], vcc, 1.0, v[98:99], 1.0
	v_mul_f64 v[106:107], v[104:105], v[102:103]
	v_fma_f64 v[96:97], -v[96:97], v[106:107], v[104:105]
	s_nop 1
	v_div_fmas_f64 v[96:97], v[96:97], v[102:103], v[106:107]
	v_div_fixup_f64 v[102:103], v[96:97], v[98:99], 1.0
	v_mul_f64 v[100:101], v[100:101], v[102:103]
	v_xor_b32_e32 v103, 0x80000000, v103
                                        ; implicit-def: $vgpr96_vgpr97
.LBB45_14:
	s_andn2_saveexec_b64 s[2:3], s[2:3]
	s_cbranch_execz .LBB45_16
; %bb.15:
	v_div_scale_f64 v[100:101], s[10:11], v[96:97], v[96:97], v[98:99]
	v_rcp_f64_e32 v[102:103], v[100:101]
	v_div_scale_f64 v[104:105], vcc, v[98:99], v[96:97], v[98:99]
	v_fma_f64 v[106:107], -v[100:101], v[102:103], 1.0
	v_fmac_f64_e32 v[102:103], v[102:103], v[106:107]
	v_fma_f64 v[106:107], -v[100:101], v[102:103], 1.0
	v_fmac_f64_e32 v[102:103], v[102:103], v[106:107]
	v_mul_f64 v[106:107], v[104:105], v[102:103]
	v_fma_f64 v[100:101], -v[100:101], v[106:107], v[104:105]
	v_div_fmas_f64 v[100:101], v[100:101], v[102:103], v[106:107]
	v_div_fixup_f64 v[102:103], v[100:101], v[96:97], v[98:99]
	v_fmac_f64_e32 v[96:97], v[98:99], v[102:103]
	v_div_scale_f64 v[98:99], s[10:11], v[96:97], v[96:97], 1.0
	v_rcp_f64_e32 v[100:101], v[98:99]
	s_nop 0
	v_fma_f64 v[104:105], -v[98:99], v[100:101], 1.0
	v_fmac_f64_e32 v[100:101], v[100:101], v[104:105]
	v_fma_f64 v[104:105], -v[98:99], v[100:101], 1.0
	v_fmac_f64_e32 v[100:101], v[100:101], v[104:105]
	v_div_scale_f64 v[104:105], vcc, 1.0, v[96:97], 1.0
	v_mul_f64 v[106:107], v[104:105], v[100:101]
	v_fma_f64 v[98:99], -v[98:99], v[106:107], v[104:105]
	s_nop 1
	v_div_fmas_f64 v[98:99], v[98:99], v[100:101], v[106:107]
	v_div_fixup_f64 v[100:101], v[98:99], v[96:97], 1.0
	v_mul_f64 v[102:103], v[102:103], -v[100:101]
.LBB45_16:
	s_or_b64 exec, exec, s[2:3]
	ds_write2_b64 v233, v[100:101], v[102:103] offset1:1
.LBB45_17:
	s_or_b64 exec, exec, s[4:5]
	s_waitcnt lgkmcnt(0)
	s_barrier
	ds_read2_b64 v[96:99], v233 offset1:1
	v_cmp_lt_u32_e32 vcc, 1, v232
	s_and_saveexec_b64 s[2:3], vcc
	s_cbranch_execz .LBB45_19
; %bb.18:
	ds_read2_b64 v[102:105], v234 offset0:4 offset1:5
	ds_read2_b64 v[106:109], v234 offset0:6 offset1:7
	s_waitcnt vmcnt(21) lgkmcnt(2)
	v_mul_f64 v[100:101], v[98:99], v[2:3]
	v_mul_f64 v[2:3], v[96:97], v[2:3]
	v_fmac_f64_e32 v[2:3], v[98:99], v[0:1]
	v_fma_f64 v[100:101], v[96:97], v[0:1], -v[100:101]
	s_waitcnt lgkmcnt(1)
	v_mul_f64 v[0:1], v[104:105], v[2:3]
	v_fma_f64 v[0:1], v[102:103], v[100:101], -v[0:1]
	v_mul_f64 v[102:103], v[102:103], v[2:3]
	v_fmac_f64_e32 v[102:103], v[104:105], v[100:101]
	s_waitcnt vmcnt(20)
	v_add_f64 v[86:87], v[86:87], -v[102:103]
	ds_read2_b64 v[102:105], v234 offset0:8 offset1:9
	v_add_f64 v[84:85], v[84:85], -v[0:1]
	s_waitcnt lgkmcnt(1)
	v_mul_f64 v[0:1], v[108:109], v[2:3]
	v_fma_f64 v[0:1], v[106:107], v[100:101], -v[0:1]
	v_mul_f64 v[106:107], v[106:107], v[2:3]
	v_fmac_f64_e32 v[106:107], v[108:109], v[100:101]
	s_waitcnt vmcnt(19)
	v_add_f64 v[80:81], v[80:81], -v[0:1]
	v_add_f64 v[82:83], v[82:83], -v[106:107]
	ds_read2_b64 v[106:109], v234 offset0:10 offset1:11
	s_waitcnt lgkmcnt(1)
	v_mul_f64 v[0:1], v[104:105], v[2:3]
	v_fma_f64 v[0:1], v[102:103], v[100:101], -v[0:1]
	v_mul_f64 v[102:103], v[102:103], v[2:3]
	v_fmac_f64_e32 v[102:103], v[104:105], v[100:101]
	s_waitcnt vmcnt(18)
	v_add_f64 v[78:79], v[78:79], -v[102:103]
	ds_read2_b64 v[102:105], v234 offset0:12 offset1:13
	v_add_f64 v[76:77], v[76:77], -v[0:1]
	s_waitcnt lgkmcnt(1)
	v_mul_f64 v[0:1], v[108:109], v[2:3]
	v_fma_f64 v[0:1], v[106:107], v[100:101], -v[0:1]
	v_mul_f64 v[106:107], v[106:107], v[2:3]
	v_fmac_f64_e32 v[106:107], v[108:109], v[100:101]
	s_waitcnt vmcnt(17)
	v_add_f64 v[72:73], v[72:73], -v[0:1]
	v_add_f64 v[74:75], v[74:75], -v[106:107]
	ds_read2_b64 v[106:109], v234 offset0:14 offset1:15
	;; [unrolled: 18-line block ×9, first 2 shown]
	s_waitcnt lgkmcnt(1)
	v_mul_f64 v[0:1], v[104:105], v[2:3]
	v_fma_f64 v[0:1], v[102:103], v[100:101], -v[0:1]
	v_mul_f64 v[102:103], v[102:103], v[2:3]
	v_fmac_f64_e32 v[102:103], v[104:105], v[100:101]
	s_waitcnt vmcnt(2)
	v_add_f64 v[14:15], v[14:15], -v[102:103]
	ds_read2_b64 v[102:105], v234 offset0:44 offset1:45
	v_add_f64 v[12:13], v[12:13], -v[0:1]
	s_waitcnt lgkmcnt(1)
	v_mul_f64 v[0:1], v[108:109], v[2:3]
	v_fma_f64 v[0:1], v[106:107], v[100:101], -v[0:1]
	s_waitcnt vmcnt(1)
	v_add_f64 v[8:9], v[8:9], -v[0:1]
	s_waitcnt lgkmcnt(0)
	v_mul_f64 v[0:1], v[104:105], v[2:3]
	v_mul_f64 v[106:107], v[106:107], v[2:3]
	v_fma_f64 v[0:1], v[102:103], v[100:101], -v[0:1]
	v_mul_f64 v[102:103], v[102:103], v[2:3]
	v_fmac_f64_e32 v[106:107], v[108:109], v[100:101]
	v_fmac_f64_e32 v[102:103], v[104:105], v[100:101]
	v_add_f64 v[10:11], v[10:11], -v[106:107]
	s_waitcnt vmcnt(0)
	v_add_f64 v[88:89], v[88:89], -v[0:1]
	v_add_f64 v[90:91], v[90:91], -v[102:103]
	v_mov_b64_e32 v[0:1], v[100:101]
.LBB45_19:
	s_or_b64 exec, exec, s[2:3]
	v_cmp_eq_u32_e32 vcc, 2, v232
	s_waitcnt lgkmcnt(0)
	s_barrier
	s_and_saveexec_b64 s[4:5], vcc
	s_cbranch_execz .LBB45_26
; %bb.20:
	s_waitcnt vmcnt(20)
	ds_write2_b64 v233, v[84:85], v[86:87] offset1:1
	s_waitcnt vmcnt(19)
	ds_write2_b64 v234, v[80:81], v[82:83] offset0:6 offset1:7
	s_waitcnt vmcnt(18)
	ds_write2_b64 v234, v[76:77], v[78:79] offset0:8 offset1:9
	;; [unrolled: 2-line block ×20, first 2 shown]
	ds_read2_b64 v[100:103], v233 offset1:1
	s_waitcnt lgkmcnt(0)
	v_cmp_neq_f64_e32 vcc, 0, v[100:101]
	v_cmp_neq_f64_e64 s[2:3], 0, v[102:103]
	s_or_b64 s[2:3], vcc, s[2:3]
	s_and_b64 exec, exec, s[2:3]
	s_cbranch_execz .LBB45_26
; %bb.21:
	v_cmp_ngt_f64_e64 s[2:3], |v[100:101]|, |v[102:103]|
                                        ; implicit-def: $vgpr104_vgpr105
	s_and_saveexec_b64 s[10:11], s[2:3]
	s_xor_b64 s[2:3], exec, s[10:11]
                                        ; implicit-def: $vgpr106_vgpr107
	s_cbranch_execz .LBB45_23
; %bb.22:
	v_div_scale_f64 v[104:105], s[10:11], v[102:103], v[102:103], v[100:101]
	v_rcp_f64_e32 v[106:107], v[104:105]
	v_div_scale_f64 v[108:109], vcc, v[100:101], v[102:103], v[100:101]
	v_fma_f64 v[110:111], -v[104:105], v[106:107], 1.0
	v_fmac_f64_e32 v[106:107], v[106:107], v[110:111]
	v_fma_f64 v[110:111], -v[104:105], v[106:107], 1.0
	v_fmac_f64_e32 v[106:107], v[106:107], v[110:111]
	v_mul_f64 v[110:111], v[108:109], v[106:107]
	v_fma_f64 v[104:105], -v[104:105], v[110:111], v[108:109]
	v_div_fmas_f64 v[104:105], v[104:105], v[106:107], v[110:111]
	v_div_fixup_f64 v[104:105], v[104:105], v[102:103], v[100:101]
	v_fmac_f64_e32 v[102:103], v[100:101], v[104:105]
	v_div_scale_f64 v[100:101], s[10:11], v[102:103], v[102:103], 1.0
	v_rcp_f64_e32 v[106:107], v[100:101]
	s_nop 0
	v_fma_f64 v[108:109], -v[100:101], v[106:107], 1.0
	v_fmac_f64_e32 v[106:107], v[106:107], v[108:109]
	v_fma_f64 v[108:109], -v[100:101], v[106:107], 1.0
	v_fmac_f64_e32 v[106:107], v[106:107], v[108:109]
	v_div_scale_f64 v[108:109], vcc, 1.0, v[102:103], 1.0
	v_mul_f64 v[110:111], v[108:109], v[106:107]
	v_fma_f64 v[100:101], -v[100:101], v[110:111], v[108:109]
	s_nop 1
	v_div_fmas_f64 v[100:101], v[100:101], v[106:107], v[110:111]
	v_div_fixup_f64 v[106:107], v[100:101], v[102:103], 1.0
	v_mul_f64 v[104:105], v[104:105], v[106:107]
	v_xor_b32_e32 v107, 0x80000000, v107
                                        ; implicit-def: $vgpr100_vgpr101
.LBB45_23:
	s_andn2_saveexec_b64 s[2:3], s[2:3]
	s_cbranch_execz .LBB45_25
; %bb.24:
	v_div_scale_f64 v[104:105], s[10:11], v[100:101], v[100:101], v[102:103]
	v_rcp_f64_e32 v[106:107], v[104:105]
	v_div_scale_f64 v[108:109], vcc, v[102:103], v[100:101], v[102:103]
	v_fma_f64 v[110:111], -v[104:105], v[106:107], 1.0
	v_fmac_f64_e32 v[106:107], v[106:107], v[110:111]
	v_fma_f64 v[110:111], -v[104:105], v[106:107], 1.0
	v_fmac_f64_e32 v[106:107], v[106:107], v[110:111]
	v_mul_f64 v[110:111], v[108:109], v[106:107]
	v_fma_f64 v[104:105], -v[104:105], v[110:111], v[108:109]
	v_div_fmas_f64 v[104:105], v[104:105], v[106:107], v[110:111]
	v_div_fixup_f64 v[106:107], v[104:105], v[100:101], v[102:103]
	v_fmac_f64_e32 v[100:101], v[102:103], v[106:107]
	v_div_scale_f64 v[102:103], s[10:11], v[100:101], v[100:101], 1.0
	v_rcp_f64_e32 v[104:105], v[102:103]
	s_nop 0
	v_fma_f64 v[108:109], -v[102:103], v[104:105], 1.0
	v_fmac_f64_e32 v[104:105], v[104:105], v[108:109]
	v_fma_f64 v[108:109], -v[102:103], v[104:105], 1.0
	v_fmac_f64_e32 v[104:105], v[104:105], v[108:109]
	v_div_scale_f64 v[108:109], vcc, 1.0, v[100:101], 1.0
	v_mul_f64 v[110:111], v[108:109], v[104:105]
	v_fma_f64 v[102:103], -v[102:103], v[110:111], v[108:109]
	s_nop 1
	v_div_fmas_f64 v[102:103], v[102:103], v[104:105], v[110:111]
	v_div_fixup_f64 v[104:105], v[102:103], v[100:101], 1.0
	v_mul_f64 v[106:107], v[106:107], -v[104:105]
.LBB45_25:
	s_or_b64 exec, exec, s[2:3]
	ds_write2_b64 v233, v[104:105], v[106:107] offset1:1
.LBB45_26:
	s_or_b64 exec, exec, s[4:5]
	s_waitcnt lgkmcnt(0)
	s_barrier
	ds_read2_b64 v[100:103], v233 offset1:1
	v_cmp_lt_u32_e32 vcc, 2, v232
	s_and_saveexec_b64 s[2:3], vcc
	s_cbranch_execz .LBB45_28
; %bb.27:
	ds_read2_b64 v[106:109], v234 offset0:6 offset1:7
	ds_read2_b64 v[110:113], v234 offset0:8 offset1:9
	s_waitcnt vmcnt(20) lgkmcnt(2)
	v_mul_f64 v[104:105], v[102:103], v[86:87]
	v_mul_f64 v[86:87], v[100:101], v[86:87]
	v_fmac_f64_e32 v[86:87], v[102:103], v[84:85]
	v_fma_f64 v[104:105], v[100:101], v[84:85], -v[104:105]
	s_waitcnt lgkmcnt(1)
	v_mul_f64 v[84:85], v[108:109], v[86:87]
	v_fma_f64 v[84:85], v[106:107], v[104:105], -v[84:85]
	v_mul_f64 v[106:107], v[106:107], v[86:87]
	v_fmac_f64_e32 v[106:107], v[108:109], v[104:105]
	s_waitcnt vmcnt(19)
	v_add_f64 v[80:81], v[80:81], -v[84:85]
	v_add_f64 v[82:83], v[82:83], -v[106:107]
	s_waitcnt lgkmcnt(0)
	v_mul_f64 v[84:85], v[112:113], v[86:87]
	ds_read2_b64 v[106:109], v234 offset0:10 offset1:11
	v_fma_f64 v[84:85], v[110:111], v[104:105], -v[84:85]
	v_mul_f64 v[110:111], v[110:111], v[86:87]
	v_fmac_f64_e32 v[110:111], v[112:113], v[104:105]
	s_waitcnt vmcnt(18)
	v_add_f64 v[78:79], v[78:79], -v[110:111]
	ds_read2_b64 v[110:113], v234 offset0:12 offset1:13
	v_add_f64 v[76:77], v[76:77], -v[84:85]
	s_waitcnt lgkmcnt(1)
	v_mul_f64 v[84:85], v[108:109], v[86:87]
	v_fma_f64 v[84:85], v[106:107], v[104:105], -v[84:85]
	v_mul_f64 v[106:107], v[106:107], v[86:87]
	v_fmac_f64_e32 v[106:107], v[108:109], v[104:105]
	s_waitcnt vmcnt(17)
	v_add_f64 v[72:73], v[72:73], -v[84:85]
	v_add_f64 v[74:75], v[74:75], -v[106:107]
	s_waitcnt lgkmcnt(0)
	v_mul_f64 v[84:85], v[112:113], v[86:87]
	ds_read2_b64 v[106:109], v234 offset0:14 offset1:15
	v_fma_f64 v[84:85], v[110:111], v[104:105], -v[84:85]
	v_mul_f64 v[110:111], v[110:111], v[86:87]
	v_fmac_f64_e32 v[110:111], v[112:113], v[104:105]
	s_waitcnt vmcnt(16)
	v_add_f64 v[70:71], v[70:71], -v[110:111]
	ds_read2_b64 v[110:113], v234 offset0:16 offset1:17
	v_add_f64 v[68:69], v[68:69], -v[84:85]
	;; [unrolled: 18-line block ×9, first 2 shown]
	s_waitcnt lgkmcnt(1)
	v_mul_f64 v[84:85], v[108:109], v[86:87]
	v_fma_f64 v[84:85], v[106:107], v[104:105], -v[84:85]
	v_mul_f64 v[106:107], v[106:107], v[86:87]
	v_fmac_f64_e32 v[106:107], v[108:109], v[104:105]
	s_waitcnt vmcnt(1)
	v_add_f64 v[8:9], v[8:9], -v[84:85]
	v_add_f64 v[10:11], v[10:11], -v[106:107]
	s_waitcnt lgkmcnt(0)
	v_mul_f64 v[84:85], v[112:113], v[86:87]
	v_mul_f64 v[106:107], v[110:111], v[86:87]
	v_fma_f64 v[84:85], v[110:111], v[104:105], -v[84:85]
	v_fmac_f64_e32 v[106:107], v[112:113], v[104:105]
	s_waitcnt vmcnt(0)
	v_add_f64 v[88:89], v[88:89], -v[84:85]
	v_add_f64 v[90:91], v[90:91], -v[106:107]
	v_mov_b64_e32 v[84:85], v[104:105]
.LBB45_28:
	s_or_b64 exec, exec, s[2:3]
	v_cmp_eq_u32_e32 vcc, 3, v232
	s_waitcnt lgkmcnt(0)
	s_barrier
	s_and_saveexec_b64 s[4:5], vcc
	s_cbranch_execz .LBB45_35
; %bb.29:
	s_waitcnt vmcnt(19)
	ds_write2_b64 v233, v[80:81], v[82:83] offset1:1
	s_waitcnt vmcnt(18)
	ds_write2_b64 v234, v[76:77], v[78:79] offset0:8 offset1:9
	s_waitcnt vmcnt(17)
	ds_write2_b64 v234, v[72:73], v[74:75] offset0:10 offset1:11
	;; [unrolled: 2-line block ×19, first 2 shown]
	ds_read2_b64 v[104:107], v233 offset1:1
	s_waitcnt lgkmcnt(0)
	v_cmp_neq_f64_e32 vcc, 0, v[104:105]
	v_cmp_neq_f64_e64 s[2:3], 0, v[106:107]
	s_or_b64 s[2:3], vcc, s[2:3]
	s_and_b64 exec, exec, s[2:3]
	s_cbranch_execz .LBB45_35
; %bb.30:
	v_cmp_ngt_f64_e64 s[2:3], |v[104:105]|, |v[106:107]|
                                        ; implicit-def: $vgpr108_vgpr109
	s_and_saveexec_b64 s[10:11], s[2:3]
	s_xor_b64 s[2:3], exec, s[10:11]
                                        ; implicit-def: $vgpr110_vgpr111
	s_cbranch_execz .LBB45_32
; %bb.31:
	v_div_scale_f64 v[108:109], s[10:11], v[106:107], v[106:107], v[104:105]
	v_rcp_f64_e32 v[110:111], v[108:109]
	v_div_scale_f64 v[112:113], vcc, v[104:105], v[106:107], v[104:105]
	v_fma_f64 v[114:115], -v[108:109], v[110:111], 1.0
	v_fmac_f64_e32 v[110:111], v[110:111], v[114:115]
	v_fma_f64 v[114:115], -v[108:109], v[110:111], 1.0
	v_fmac_f64_e32 v[110:111], v[110:111], v[114:115]
	v_mul_f64 v[114:115], v[112:113], v[110:111]
	v_fma_f64 v[108:109], -v[108:109], v[114:115], v[112:113]
	v_div_fmas_f64 v[108:109], v[108:109], v[110:111], v[114:115]
	v_div_fixup_f64 v[108:109], v[108:109], v[106:107], v[104:105]
	v_fmac_f64_e32 v[106:107], v[104:105], v[108:109]
	v_div_scale_f64 v[104:105], s[10:11], v[106:107], v[106:107], 1.0
	v_rcp_f64_e32 v[110:111], v[104:105]
	s_nop 0
	v_fma_f64 v[112:113], -v[104:105], v[110:111], 1.0
	v_fmac_f64_e32 v[110:111], v[110:111], v[112:113]
	v_fma_f64 v[112:113], -v[104:105], v[110:111], 1.0
	v_fmac_f64_e32 v[110:111], v[110:111], v[112:113]
	v_div_scale_f64 v[112:113], vcc, 1.0, v[106:107], 1.0
	v_mul_f64 v[114:115], v[112:113], v[110:111]
	v_fma_f64 v[104:105], -v[104:105], v[114:115], v[112:113]
	s_nop 1
	v_div_fmas_f64 v[104:105], v[104:105], v[110:111], v[114:115]
	v_div_fixup_f64 v[110:111], v[104:105], v[106:107], 1.0
	v_mul_f64 v[108:109], v[108:109], v[110:111]
	v_xor_b32_e32 v111, 0x80000000, v111
                                        ; implicit-def: $vgpr104_vgpr105
.LBB45_32:
	s_andn2_saveexec_b64 s[2:3], s[2:3]
	s_cbranch_execz .LBB45_34
; %bb.33:
	v_div_scale_f64 v[108:109], s[10:11], v[104:105], v[104:105], v[106:107]
	v_rcp_f64_e32 v[110:111], v[108:109]
	v_div_scale_f64 v[112:113], vcc, v[106:107], v[104:105], v[106:107]
	v_fma_f64 v[114:115], -v[108:109], v[110:111], 1.0
	v_fmac_f64_e32 v[110:111], v[110:111], v[114:115]
	v_fma_f64 v[114:115], -v[108:109], v[110:111], 1.0
	v_fmac_f64_e32 v[110:111], v[110:111], v[114:115]
	v_mul_f64 v[114:115], v[112:113], v[110:111]
	v_fma_f64 v[108:109], -v[108:109], v[114:115], v[112:113]
	v_div_fmas_f64 v[108:109], v[108:109], v[110:111], v[114:115]
	v_div_fixup_f64 v[110:111], v[108:109], v[104:105], v[106:107]
	v_fmac_f64_e32 v[104:105], v[106:107], v[110:111]
	v_div_scale_f64 v[106:107], s[10:11], v[104:105], v[104:105], 1.0
	v_rcp_f64_e32 v[108:109], v[106:107]
	s_nop 0
	v_fma_f64 v[112:113], -v[106:107], v[108:109], 1.0
	v_fmac_f64_e32 v[108:109], v[108:109], v[112:113]
	v_fma_f64 v[112:113], -v[106:107], v[108:109], 1.0
	v_fmac_f64_e32 v[108:109], v[108:109], v[112:113]
	v_div_scale_f64 v[112:113], vcc, 1.0, v[104:105], 1.0
	v_mul_f64 v[114:115], v[112:113], v[108:109]
	v_fma_f64 v[106:107], -v[106:107], v[114:115], v[112:113]
	s_nop 1
	v_div_fmas_f64 v[106:107], v[106:107], v[108:109], v[114:115]
	v_div_fixup_f64 v[108:109], v[106:107], v[104:105], 1.0
	v_mul_f64 v[110:111], v[110:111], -v[108:109]
.LBB45_34:
	s_or_b64 exec, exec, s[2:3]
	ds_write2_b64 v233, v[108:109], v[110:111] offset1:1
.LBB45_35:
	s_or_b64 exec, exec, s[4:5]
	s_waitcnt lgkmcnt(0)
	s_barrier
	ds_read2_b64 v[104:107], v233 offset1:1
	v_cmp_lt_u32_e32 vcc, 3, v232
	s_and_saveexec_b64 s[2:3], vcc
	s_cbranch_execz .LBB45_37
; %bb.36:
	ds_read2_b64 v[110:113], v234 offset0:8 offset1:9
	ds_read2_b64 v[114:117], v234 offset0:10 offset1:11
	s_waitcnt vmcnt(19) lgkmcnt(2)
	v_mul_f64 v[108:109], v[106:107], v[82:83]
	v_mul_f64 v[82:83], v[104:105], v[82:83]
	v_fmac_f64_e32 v[82:83], v[106:107], v[80:81]
	v_fma_f64 v[108:109], v[104:105], v[80:81], -v[108:109]
	s_waitcnt lgkmcnt(1)
	v_mul_f64 v[80:81], v[112:113], v[82:83]
	v_fma_f64 v[80:81], v[110:111], v[108:109], -v[80:81]
	v_mul_f64 v[110:111], v[110:111], v[82:83]
	v_fmac_f64_e32 v[110:111], v[112:113], v[108:109]
	s_waitcnt vmcnt(18)
	v_add_f64 v[78:79], v[78:79], -v[110:111]
	ds_read2_b64 v[110:113], v234 offset0:12 offset1:13
	v_add_f64 v[76:77], v[76:77], -v[80:81]
	s_waitcnt lgkmcnt(1)
	v_mul_f64 v[80:81], v[116:117], v[82:83]
	v_fma_f64 v[80:81], v[114:115], v[108:109], -v[80:81]
	v_mul_f64 v[114:115], v[114:115], v[82:83]
	v_fmac_f64_e32 v[114:115], v[116:117], v[108:109]
	s_waitcnt vmcnt(17)
	v_add_f64 v[72:73], v[72:73], -v[80:81]
	v_add_f64 v[74:75], v[74:75], -v[114:115]
	ds_read2_b64 v[114:117], v234 offset0:14 offset1:15
	s_waitcnt lgkmcnt(1)
	v_mul_f64 v[80:81], v[112:113], v[82:83]
	v_fma_f64 v[80:81], v[110:111], v[108:109], -v[80:81]
	v_mul_f64 v[110:111], v[110:111], v[82:83]
	v_fmac_f64_e32 v[110:111], v[112:113], v[108:109]
	s_waitcnt vmcnt(16)
	v_add_f64 v[70:71], v[70:71], -v[110:111]
	ds_read2_b64 v[110:113], v234 offset0:16 offset1:17
	v_add_f64 v[68:69], v[68:69], -v[80:81]
	s_waitcnt lgkmcnt(1)
	v_mul_f64 v[80:81], v[116:117], v[82:83]
	v_fma_f64 v[80:81], v[114:115], v[108:109], -v[80:81]
	v_mul_f64 v[114:115], v[114:115], v[82:83]
	v_fmac_f64_e32 v[114:115], v[116:117], v[108:109]
	s_waitcnt vmcnt(15)
	v_add_f64 v[64:65], v[64:65], -v[80:81]
	v_add_f64 v[66:67], v[66:67], -v[114:115]
	ds_read2_b64 v[114:117], v234 offset0:18 offset1:19
	;; [unrolled: 18-line block ×8, first 2 shown]
	s_waitcnt lgkmcnt(1)
	v_mul_f64 v[80:81], v[112:113], v[82:83]
	v_fma_f64 v[80:81], v[110:111], v[108:109], -v[80:81]
	v_mul_f64 v[110:111], v[110:111], v[82:83]
	v_fmac_f64_e32 v[110:111], v[112:113], v[108:109]
	s_waitcnt vmcnt(2)
	v_add_f64 v[14:15], v[14:15], -v[110:111]
	ds_read2_b64 v[110:113], v234 offset0:44 offset1:45
	v_add_f64 v[12:13], v[12:13], -v[80:81]
	s_waitcnt lgkmcnt(1)
	v_mul_f64 v[80:81], v[116:117], v[82:83]
	v_fma_f64 v[80:81], v[114:115], v[108:109], -v[80:81]
	s_waitcnt vmcnt(1)
	v_add_f64 v[8:9], v[8:9], -v[80:81]
	s_waitcnt lgkmcnt(0)
	v_mul_f64 v[80:81], v[112:113], v[82:83]
	v_mul_f64 v[114:115], v[114:115], v[82:83]
	v_fma_f64 v[80:81], v[110:111], v[108:109], -v[80:81]
	v_mul_f64 v[110:111], v[110:111], v[82:83]
	v_fmac_f64_e32 v[114:115], v[116:117], v[108:109]
	v_fmac_f64_e32 v[110:111], v[112:113], v[108:109]
	v_add_f64 v[10:11], v[10:11], -v[114:115]
	s_waitcnt vmcnt(0)
	v_add_f64 v[88:89], v[88:89], -v[80:81]
	v_add_f64 v[90:91], v[90:91], -v[110:111]
	v_mov_b64_e32 v[80:81], v[108:109]
.LBB45_37:
	s_or_b64 exec, exec, s[2:3]
	v_cmp_eq_u32_e32 vcc, 4, v232
	s_waitcnt lgkmcnt(0)
	s_barrier
	s_and_saveexec_b64 s[4:5], vcc
	s_cbranch_execz .LBB45_44
; %bb.38:
	s_waitcnt vmcnt(18)
	ds_write2_b64 v233, v[76:77], v[78:79] offset1:1
	s_waitcnt vmcnt(17)
	ds_write2_b64 v234, v[72:73], v[74:75] offset0:10 offset1:11
	s_waitcnt vmcnt(16)
	ds_write2_b64 v234, v[68:69], v[70:71] offset0:12 offset1:13
	;; [unrolled: 2-line block ×18, first 2 shown]
	ds_read2_b64 v[108:111], v233 offset1:1
	s_waitcnt lgkmcnt(0)
	v_cmp_neq_f64_e32 vcc, 0, v[108:109]
	v_cmp_neq_f64_e64 s[2:3], 0, v[110:111]
	s_or_b64 s[2:3], vcc, s[2:3]
	s_and_b64 exec, exec, s[2:3]
	s_cbranch_execz .LBB45_44
; %bb.39:
	v_cmp_ngt_f64_e64 s[2:3], |v[108:109]|, |v[110:111]|
                                        ; implicit-def: $vgpr112_vgpr113
	s_and_saveexec_b64 s[10:11], s[2:3]
	s_xor_b64 s[2:3], exec, s[10:11]
                                        ; implicit-def: $vgpr114_vgpr115
	s_cbranch_execz .LBB45_41
; %bb.40:
	v_div_scale_f64 v[112:113], s[10:11], v[110:111], v[110:111], v[108:109]
	v_rcp_f64_e32 v[114:115], v[112:113]
	v_div_scale_f64 v[116:117], vcc, v[108:109], v[110:111], v[108:109]
	v_fma_f64 v[118:119], -v[112:113], v[114:115], 1.0
	v_fmac_f64_e32 v[114:115], v[114:115], v[118:119]
	v_fma_f64 v[118:119], -v[112:113], v[114:115], 1.0
	v_fmac_f64_e32 v[114:115], v[114:115], v[118:119]
	v_mul_f64 v[118:119], v[116:117], v[114:115]
	v_fma_f64 v[112:113], -v[112:113], v[118:119], v[116:117]
	v_div_fmas_f64 v[112:113], v[112:113], v[114:115], v[118:119]
	v_div_fixup_f64 v[112:113], v[112:113], v[110:111], v[108:109]
	v_fmac_f64_e32 v[110:111], v[108:109], v[112:113]
	v_div_scale_f64 v[108:109], s[10:11], v[110:111], v[110:111], 1.0
	v_rcp_f64_e32 v[114:115], v[108:109]
	s_nop 0
	v_fma_f64 v[116:117], -v[108:109], v[114:115], 1.0
	v_fmac_f64_e32 v[114:115], v[114:115], v[116:117]
	v_fma_f64 v[116:117], -v[108:109], v[114:115], 1.0
	v_fmac_f64_e32 v[114:115], v[114:115], v[116:117]
	v_div_scale_f64 v[116:117], vcc, 1.0, v[110:111], 1.0
	v_mul_f64 v[118:119], v[116:117], v[114:115]
	v_fma_f64 v[108:109], -v[108:109], v[118:119], v[116:117]
	s_nop 1
	v_div_fmas_f64 v[108:109], v[108:109], v[114:115], v[118:119]
	v_div_fixup_f64 v[114:115], v[108:109], v[110:111], 1.0
	v_mul_f64 v[112:113], v[112:113], v[114:115]
	v_xor_b32_e32 v115, 0x80000000, v115
                                        ; implicit-def: $vgpr108_vgpr109
.LBB45_41:
	s_andn2_saveexec_b64 s[2:3], s[2:3]
	s_cbranch_execz .LBB45_43
; %bb.42:
	v_div_scale_f64 v[112:113], s[10:11], v[108:109], v[108:109], v[110:111]
	v_rcp_f64_e32 v[114:115], v[112:113]
	v_div_scale_f64 v[116:117], vcc, v[110:111], v[108:109], v[110:111]
	v_fma_f64 v[118:119], -v[112:113], v[114:115], 1.0
	v_fmac_f64_e32 v[114:115], v[114:115], v[118:119]
	v_fma_f64 v[118:119], -v[112:113], v[114:115], 1.0
	v_fmac_f64_e32 v[114:115], v[114:115], v[118:119]
	v_mul_f64 v[118:119], v[116:117], v[114:115]
	v_fma_f64 v[112:113], -v[112:113], v[118:119], v[116:117]
	v_div_fmas_f64 v[112:113], v[112:113], v[114:115], v[118:119]
	v_div_fixup_f64 v[114:115], v[112:113], v[108:109], v[110:111]
	v_fmac_f64_e32 v[108:109], v[110:111], v[114:115]
	v_div_scale_f64 v[110:111], s[10:11], v[108:109], v[108:109], 1.0
	v_rcp_f64_e32 v[112:113], v[110:111]
	s_nop 0
	v_fma_f64 v[116:117], -v[110:111], v[112:113], 1.0
	v_fmac_f64_e32 v[112:113], v[112:113], v[116:117]
	v_fma_f64 v[116:117], -v[110:111], v[112:113], 1.0
	v_fmac_f64_e32 v[112:113], v[112:113], v[116:117]
	v_div_scale_f64 v[116:117], vcc, 1.0, v[108:109], 1.0
	v_mul_f64 v[118:119], v[116:117], v[112:113]
	v_fma_f64 v[110:111], -v[110:111], v[118:119], v[116:117]
	s_nop 1
	v_div_fmas_f64 v[110:111], v[110:111], v[112:113], v[118:119]
	v_div_fixup_f64 v[112:113], v[110:111], v[108:109], 1.0
	v_mul_f64 v[114:115], v[114:115], -v[112:113]
.LBB45_43:
	s_or_b64 exec, exec, s[2:3]
	ds_write2_b64 v233, v[112:113], v[114:115] offset1:1
.LBB45_44:
	s_or_b64 exec, exec, s[4:5]
	s_waitcnt lgkmcnt(0)
	s_barrier
	ds_read2_b64 v[108:111], v233 offset1:1
	v_cmp_lt_u32_e32 vcc, 4, v232
	s_and_saveexec_b64 s[2:3], vcc
	s_cbranch_execz .LBB45_46
; %bb.45:
	ds_read2_b64 v[114:117], v234 offset0:10 offset1:11
	ds_read2_b64 v[118:121], v234 offset0:12 offset1:13
	s_waitcnt vmcnt(18) lgkmcnt(2)
	v_mul_f64 v[112:113], v[110:111], v[78:79]
	v_mul_f64 v[78:79], v[108:109], v[78:79]
	v_fmac_f64_e32 v[78:79], v[110:111], v[76:77]
	v_fma_f64 v[112:113], v[108:109], v[76:77], -v[112:113]
	s_waitcnt lgkmcnt(1)
	v_mul_f64 v[76:77], v[116:117], v[78:79]
	v_fma_f64 v[76:77], v[114:115], v[112:113], -v[76:77]
	v_mul_f64 v[114:115], v[114:115], v[78:79]
	v_fmac_f64_e32 v[114:115], v[116:117], v[112:113]
	s_waitcnt vmcnt(17)
	v_add_f64 v[72:73], v[72:73], -v[76:77]
	v_add_f64 v[74:75], v[74:75], -v[114:115]
	s_waitcnt lgkmcnt(0)
	v_mul_f64 v[76:77], v[120:121], v[78:79]
	ds_read2_b64 v[114:117], v234 offset0:14 offset1:15
	v_fma_f64 v[76:77], v[118:119], v[112:113], -v[76:77]
	v_mul_f64 v[118:119], v[118:119], v[78:79]
	v_fmac_f64_e32 v[118:119], v[120:121], v[112:113]
	s_waitcnt vmcnt(16)
	v_add_f64 v[70:71], v[70:71], -v[118:119]
	ds_read2_b64 v[118:121], v234 offset0:16 offset1:17
	v_add_f64 v[68:69], v[68:69], -v[76:77]
	s_waitcnt lgkmcnt(1)
	v_mul_f64 v[76:77], v[116:117], v[78:79]
	v_fma_f64 v[76:77], v[114:115], v[112:113], -v[76:77]
	v_mul_f64 v[114:115], v[114:115], v[78:79]
	v_fmac_f64_e32 v[114:115], v[116:117], v[112:113]
	s_waitcnt vmcnt(15)
	v_add_f64 v[64:65], v[64:65], -v[76:77]
	v_add_f64 v[66:67], v[66:67], -v[114:115]
	s_waitcnt lgkmcnt(0)
	v_mul_f64 v[76:77], v[120:121], v[78:79]
	ds_read2_b64 v[114:117], v234 offset0:18 offset1:19
	v_fma_f64 v[76:77], v[118:119], v[112:113], -v[76:77]
	v_mul_f64 v[118:119], v[118:119], v[78:79]
	v_fmac_f64_e32 v[118:119], v[120:121], v[112:113]
	s_waitcnt vmcnt(14)
	v_add_f64 v[62:63], v[62:63], -v[118:119]
	ds_read2_b64 v[118:121], v234 offset0:20 offset1:21
	v_add_f64 v[60:61], v[60:61], -v[76:77]
	;; [unrolled: 18-line block ×8, first 2 shown]
	s_waitcnt lgkmcnt(1)
	v_mul_f64 v[76:77], v[116:117], v[78:79]
	v_fma_f64 v[76:77], v[114:115], v[112:113], -v[76:77]
	v_mul_f64 v[114:115], v[114:115], v[78:79]
	v_fmac_f64_e32 v[114:115], v[116:117], v[112:113]
	s_waitcnt vmcnt(1)
	v_add_f64 v[8:9], v[8:9], -v[76:77]
	v_add_f64 v[10:11], v[10:11], -v[114:115]
	s_waitcnt lgkmcnt(0)
	v_mul_f64 v[76:77], v[120:121], v[78:79]
	v_mul_f64 v[114:115], v[118:119], v[78:79]
	v_fma_f64 v[76:77], v[118:119], v[112:113], -v[76:77]
	v_fmac_f64_e32 v[114:115], v[120:121], v[112:113]
	s_waitcnt vmcnt(0)
	v_add_f64 v[88:89], v[88:89], -v[76:77]
	v_add_f64 v[90:91], v[90:91], -v[114:115]
	v_mov_b64_e32 v[76:77], v[112:113]
.LBB45_46:
	s_or_b64 exec, exec, s[2:3]
	v_cmp_eq_u32_e32 vcc, 5, v232
	s_waitcnt lgkmcnt(0)
	s_barrier
	s_and_saveexec_b64 s[4:5], vcc
	s_cbranch_execz .LBB45_53
; %bb.47:
	s_waitcnt vmcnt(17)
	ds_write2_b64 v233, v[72:73], v[74:75] offset1:1
	s_waitcnt vmcnt(16)
	ds_write2_b64 v234, v[68:69], v[70:71] offset0:12 offset1:13
	s_waitcnt vmcnt(15)
	ds_write2_b64 v234, v[64:65], v[66:67] offset0:14 offset1:15
	;; [unrolled: 2-line block ×17, first 2 shown]
	ds_read2_b64 v[112:115], v233 offset1:1
	s_waitcnt lgkmcnt(0)
	v_cmp_neq_f64_e32 vcc, 0, v[112:113]
	v_cmp_neq_f64_e64 s[2:3], 0, v[114:115]
	s_or_b64 s[2:3], vcc, s[2:3]
	s_and_b64 exec, exec, s[2:3]
	s_cbranch_execz .LBB45_53
; %bb.48:
	v_cmp_ngt_f64_e64 s[2:3], |v[112:113]|, |v[114:115]|
                                        ; implicit-def: $vgpr116_vgpr117
	s_and_saveexec_b64 s[10:11], s[2:3]
	s_xor_b64 s[2:3], exec, s[10:11]
                                        ; implicit-def: $vgpr118_vgpr119
	s_cbranch_execz .LBB45_50
; %bb.49:
	v_div_scale_f64 v[116:117], s[10:11], v[114:115], v[114:115], v[112:113]
	v_rcp_f64_e32 v[118:119], v[116:117]
	v_div_scale_f64 v[120:121], vcc, v[112:113], v[114:115], v[112:113]
	v_fma_f64 v[122:123], -v[116:117], v[118:119], 1.0
	v_fmac_f64_e32 v[118:119], v[118:119], v[122:123]
	v_fma_f64 v[122:123], -v[116:117], v[118:119], 1.0
	v_fmac_f64_e32 v[118:119], v[118:119], v[122:123]
	v_mul_f64 v[122:123], v[120:121], v[118:119]
	v_fma_f64 v[116:117], -v[116:117], v[122:123], v[120:121]
	v_div_fmas_f64 v[116:117], v[116:117], v[118:119], v[122:123]
	v_div_fixup_f64 v[116:117], v[116:117], v[114:115], v[112:113]
	v_fmac_f64_e32 v[114:115], v[112:113], v[116:117]
	v_div_scale_f64 v[112:113], s[10:11], v[114:115], v[114:115], 1.0
	v_rcp_f64_e32 v[118:119], v[112:113]
	s_nop 0
	v_fma_f64 v[120:121], -v[112:113], v[118:119], 1.0
	v_fmac_f64_e32 v[118:119], v[118:119], v[120:121]
	v_fma_f64 v[120:121], -v[112:113], v[118:119], 1.0
	v_fmac_f64_e32 v[118:119], v[118:119], v[120:121]
	v_div_scale_f64 v[120:121], vcc, 1.0, v[114:115], 1.0
	v_mul_f64 v[122:123], v[120:121], v[118:119]
	v_fma_f64 v[112:113], -v[112:113], v[122:123], v[120:121]
	s_nop 1
	v_div_fmas_f64 v[112:113], v[112:113], v[118:119], v[122:123]
	v_div_fixup_f64 v[118:119], v[112:113], v[114:115], 1.0
	v_mul_f64 v[116:117], v[116:117], v[118:119]
	v_xor_b32_e32 v119, 0x80000000, v119
                                        ; implicit-def: $vgpr112_vgpr113
.LBB45_50:
	s_andn2_saveexec_b64 s[2:3], s[2:3]
	s_cbranch_execz .LBB45_52
; %bb.51:
	v_div_scale_f64 v[116:117], s[10:11], v[112:113], v[112:113], v[114:115]
	v_rcp_f64_e32 v[118:119], v[116:117]
	v_div_scale_f64 v[120:121], vcc, v[114:115], v[112:113], v[114:115]
	v_fma_f64 v[122:123], -v[116:117], v[118:119], 1.0
	v_fmac_f64_e32 v[118:119], v[118:119], v[122:123]
	v_fma_f64 v[122:123], -v[116:117], v[118:119], 1.0
	v_fmac_f64_e32 v[118:119], v[118:119], v[122:123]
	v_mul_f64 v[122:123], v[120:121], v[118:119]
	v_fma_f64 v[116:117], -v[116:117], v[122:123], v[120:121]
	v_div_fmas_f64 v[116:117], v[116:117], v[118:119], v[122:123]
	v_div_fixup_f64 v[118:119], v[116:117], v[112:113], v[114:115]
	v_fmac_f64_e32 v[112:113], v[114:115], v[118:119]
	v_div_scale_f64 v[114:115], s[10:11], v[112:113], v[112:113], 1.0
	v_rcp_f64_e32 v[116:117], v[114:115]
	s_nop 0
	v_fma_f64 v[120:121], -v[114:115], v[116:117], 1.0
	v_fmac_f64_e32 v[116:117], v[116:117], v[120:121]
	v_fma_f64 v[120:121], -v[114:115], v[116:117], 1.0
	v_fmac_f64_e32 v[116:117], v[116:117], v[120:121]
	v_div_scale_f64 v[120:121], vcc, 1.0, v[112:113], 1.0
	v_mul_f64 v[122:123], v[120:121], v[116:117]
	v_fma_f64 v[114:115], -v[114:115], v[122:123], v[120:121]
	s_nop 1
	v_div_fmas_f64 v[114:115], v[114:115], v[116:117], v[122:123]
	v_div_fixup_f64 v[116:117], v[114:115], v[112:113], 1.0
	v_mul_f64 v[118:119], v[118:119], -v[116:117]
.LBB45_52:
	s_or_b64 exec, exec, s[2:3]
	ds_write2_b64 v233, v[116:117], v[118:119] offset1:1
.LBB45_53:
	s_or_b64 exec, exec, s[4:5]
	s_waitcnt lgkmcnt(0)
	s_barrier
	ds_read2_b64 v[112:115], v233 offset1:1
	v_cmp_lt_u32_e32 vcc, 5, v232
	s_and_saveexec_b64 s[2:3], vcc
	s_cbranch_execz .LBB45_55
; %bb.54:
	ds_read2_b64 v[118:121], v234 offset0:12 offset1:13
	ds_read2_b64 v[122:125], v234 offset0:14 offset1:15
	s_waitcnt vmcnt(17) lgkmcnt(2)
	v_mul_f64 v[116:117], v[114:115], v[74:75]
	v_mul_f64 v[74:75], v[112:113], v[74:75]
	v_fmac_f64_e32 v[74:75], v[114:115], v[72:73]
	v_fma_f64 v[116:117], v[112:113], v[72:73], -v[116:117]
	s_waitcnt lgkmcnt(1)
	v_mul_f64 v[72:73], v[120:121], v[74:75]
	v_fma_f64 v[72:73], v[118:119], v[116:117], -v[72:73]
	v_mul_f64 v[118:119], v[118:119], v[74:75]
	v_fmac_f64_e32 v[118:119], v[120:121], v[116:117]
	s_waitcnt vmcnt(16)
	v_add_f64 v[70:71], v[70:71], -v[118:119]
	ds_read2_b64 v[118:121], v234 offset0:16 offset1:17
	v_add_f64 v[68:69], v[68:69], -v[72:73]
	s_waitcnt lgkmcnt(1)
	v_mul_f64 v[72:73], v[124:125], v[74:75]
	v_fma_f64 v[72:73], v[122:123], v[116:117], -v[72:73]
	v_mul_f64 v[122:123], v[122:123], v[74:75]
	v_fmac_f64_e32 v[122:123], v[124:125], v[116:117]
	s_waitcnt vmcnt(15)
	v_add_f64 v[64:65], v[64:65], -v[72:73]
	v_add_f64 v[66:67], v[66:67], -v[122:123]
	ds_read2_b64 v[122:125], v234 offset0:18 offset1:19
	s_waitcnt lgkmcnt(1)
	v_mul_f64 v[72:73], v[120:121], v[74:75]
	v_fma_f64 v[72:73], v[118:119], v[116:117], -v[72:73]
	v_mul_f64 v[118:119], v[118:119], v[74:75]
	v_fmac_f64_e32 v[118:119], v[120:121], v[116:117]
	s_waitcnt vmcnt(14)
	v_add_f64 v[62:63], v[62:63], -v[118:119]
	ds_read2_b64 v[118:121], v234 offset0:20 offset1:21
	v_add_f64 v[60:61], v[60:61], -v[72:73]
	s_waitcnt lgkmcnt(1)
	v_mul_f64 v[72:73], v[124:125], v[74:75]
	v_fma_f64 v[72:73], v[122:123], v[116:117], -v[72:73]
	v_mul_f64 v[122:123], v[122:123], v[74:75]
	v_fmac_f64_e32 v[122:123], v[124:125], v[116:117]
	s_waitcnt vmcnt(13)
	v_add_f64 v[56:57], v[56:57], -v[72:73]
	v_add_f64 v[58:59], v[58:59], -v[122:123]
	ds_read2_b64 v[122:125], v234 offset0:22 offset1:23
	s_waitcnt lgkmcnt(1)
	v_mul_f64 v[72:73], v[120:121], v[74:75]
	v_fma_f64 v[72:73], v[118:119], v[116:117], -v[72:73]
	v_mul_f64 v[118:119], v[118:119], v[74:75]
	v_fmac_f64_e32 v[118:119], v[120:121], v[116:117]
	s_waitcnt vmcnt(12)
	v_add_f64 v[54:55], v[54:55], -v[118:119]
	ds_read2_b64 v[118:121], v234 offset0:24 offset1:25
	v_add_f64 v[52:53], v[52:53], -v[72:73]
	s_waitcnt lgkmcnt(1)
	v_mul_f64 v[72:73], v[124:125], v[74:75]
	v_fma_f64 v[72:73], v[122:123], v[116:117], -v[72:73]
	v_mul_f64 v[122:123], v[122:123], v[74:75]
	v_fmac_f64_e32 v[122:123], v[124:125], v[116:117]
	s_waitcnt vmcnt(11)
	v_add_f64 v[48:49], v[48:49], -v[72:73]
	v_add_f64 v[50:51], v[50:51], -v[122:123]
	ds_read2_b64 v[122:125], v234 offset0:26 offset1:27
	s_waitcnt lgkmcnt(1)
	v_mul_f64 v[72:73], v[120:121], v[74:75]
	v_fma_f64 v[72:73], v[118:119], v[116:117], -v[72:73]
	v_mul_f64 v[118:119], v[118:119], v[74:75]
	v_fmac_f64_e32 v[118:119], v[120:121], v[116:117]
	s_waitcnt vmcnt(10)
	v_add_f64 v[46:47], v[46:47], -v[118:119]
	ds_read2_b64 v[118:121], v234 offset0:28 offset1:29
	v_add_f64 v[44:45], v[44:45], -v[72:73]
	s_waitcnt lgkmcnt(1)
	v_mul_f64 v[72:73], v[124:125], v[74:75]
	v_fma_f64 v[72:73], v[122:123], v[116:117], -v[72:73]
	v_mul_f64 v[122:123], v[122:123], v[74:75]
	v_fmac_f64_e32 v[122:123], v[124:125], v[116:117]
	s_waitcnt vmcnt(9)
	v_add_f64 v[40:41], v[40:41], -v[72:73]
	v_add_f64 v[42:43], v[42:43], -v[122:123]
	ds_read2_b64 v[122:125], v234 offset0:30 offset1:31
	s_waitcnt lgkmcnt(1)
	v_mul_f64 v[72:73], v[120:121], v[74:75]
	v_fma_f64 v[72:73], v[118:119], v[116:117], -v[72:73]
	v_mul_f64 v[118:119], v[118:119], v[74:75]
	v_fmac_f64_e32 v[118:119], v[120:121], v[116:117]
	s_waitcnt vmcnt(8)
	v_add_f64 v[38:39], v[38:39], -v[118:119]
	ds_read2_b64 v[118:121], v234 offset0:32 offset1:33
	v_add_f64 v[36:37], v[36:37], -v[72:73]
	s_waitcnt lgkmcnt(1)
	v_mul_f64 v[72:73], v[124:125], v[74:75]
	v_fma_f64 v[72:73], v[122:123], v[116:117], -v[72:73]
	v_mul_f64 v[122:123], v[122:123], v[74:75]
	v_fmac_f64_e32 v[122:123], v[124:125], v[116:117]
	s_waitcnt vmcnt(7)
	v_add_f64 v[32:33], v[32:33], -v[72:73]
	v_add_f64 v[34:35], v[34:35], -v[122:123]
	ds_read2_b64 v[122:125], v234 offset0:34 offset1:35
	s_waitcnt lgkmcnt(1)
	v_mul_f64 v[72:73], v[120:121], v[74:75]
	v_fma_f64 v[72:73], v[118:119], v[116:117], -v[72:73]
	v_mul_f64 v[118:119], v[118:119], v[74:75]
	v_fmac_f64_e32 v[118:119], v[120:121], v[116:117]
	s_waitcnt vmcnt(6)
	v_add_f64 v[30:31], v[30:31], -v[118:119]
	ds_read2_b64 v[118:121], v234 offset0:36 offset1:37
	v_add_f64 v[28:29], v[28:29], -v[72:73]
	s_waitcnt lgkmcnt(1)
	v_mul_f64 v[72:73], v[124:125], v[74:75]
	v_fma_f64 v[72:73], v[122:123], v[116:117], -v[72:73]
	v_mul_f64 v[122:123], v[122:123], v[74:75]
	v_fmac_f64_e32 v[122:123], v[124:125], v[116:117]
	s_waitcnt vmcnt(5)
	v_add_f64 v[24:25], v[24:25], -v[72:73]
	v_add_f64 v[26:27], v[26:27], -v[122:123]
	ds_read2_b64 v[122:125], v234 offset0:38 offset1:39
	s_waitcnt lgkmcnt(1)
	v_mul_f64 v[72:73], v[120:121], v[74:75]
	v_fma_f64 v[72:73], v[118:119], v[116:117], -v[72:73]
	v_mul_f64 v[118:119], v[118:119], v[74:75]
	v_fmac_f64_e32 v[118:119], v[120:121], v[116:117]
	s_waitcnt vmcnt(4)
	v_add_f64 v[22:23], v[22:23], -v[118:119]
	ds_read2_b64 v[118:121], v234 offset0:40 offset1:41
	v_add_f64 v[20:21], v[20:21], -v[72:73]
	s_waitcnt lgkmcnt(1)
	v_mul_f64 v[72:73], v[124:125], v[74:75]
	v_fma_f64 v[72:73], v[122:123], v[116:117], -v[72:73]
	v_mul_f64 v[122:123], v[122:123], v[74:75]
	v_fmac_f64_e32 v[122:123], v[124:125], v[116:117]
	s_waitcnt vmcnt(3)
	v_add_f64 v[16:17], v[16:17], -v[72:73]
	v_add_f64 v[18:19], v[18:19], -v[122:123]
	ds_read2_b64 v[122:125], v234 offset0:42 offset1:43
	s_waitcnt lgkmcnt(1)
	v_mul_f64 v[72:73], v[120:121], v[74:75]
	v_fma_f64 v[72:73], v[118:119], v[116:117], -v[72:73]
	v_mul_f64 v[118:119], v[118:119], v[74:75]
	v_fmac_f64_e32 v[118:119], v[120:121], v[116:117]
	s_waitcnt vmcnt(2)
	v_add_f64 v[14:15], v[14:15], -v[118:119]
	ds_read2_b64 v[118:121], v234 offset0:44 offset1:45
	v_add_f64 v[12:13], v[12:13], -v[72:73]
	s_waitcnt lgkmcnt(1)
	v_mul_f64 v[72:73], v[124:125], v[74:75]
	v_fma_f64 v[72:73], v[122:123], v[116:117], -v[72:73]
	s_waitcnt vmcnt(1)
	v_add_f64 v[8:9], v[8:9], -v[72:73]
	s_waitcnt lgkmcnt(0)
	v_mul_f64 v[72:73], v[120:121], v[74:75]
	v_mul_f64 v[122:123], v[122:123], v[74:75]
	v_fma_f64 v[72:73], v[118:119], v[116:117], -v[72:73]
	v_mul_f64 v[118:119], v[118:119], v[74:75]
	v_fmac_f64_e32 v[122:123], v[124:125], v[116:117]
	v_fmac_f64_e32 v[118:119], v[120:121], v[116:117]
	v_add_f64 v[10:11], v[10:11], -v[122:123]
	s_waitcnt vmcnt(0)
	v_add_f64 v[88:89], v[88:89], -v[72:73]
	v_add_f64 v[90:91], v[90:91], -v[118:119]
	v_mov_b64_e32 v[72:73], v[116:117]
.LBB45_55:
	s_or_b64 exec, exec, s[2:3]
	v_cmp_eq_u32_e32 vcc, 6, v232
	s_waitcnt lgkmcnt(0)
	s_barrier
	s_and_saveexec_b64 s[4:5], vcc
	s_cbranch_execz .LBB45_62
; %bb.56:
	s_waitcnt vmcnt(16)
	ds_write2_b64 v233, v[68:69], v[70:71] offset1:1
	s_waitcnt vmcnt(15)
	ds_write2_b64 v234, v[64:65], v[66:67] offset0:14 offset1:15
	s_waitcnt vmcnt(14)
	ds_write2_b64 v234, v[60:61], v[62:63] offset0:16 offset1:17
	;; [unrolled: 2-line block ×16, first 2 shown]
	ds_read2_b64 v[116:119], v233 offset1:1
	s_waitcnt lgkmcnt(0)
	v_cmp_neq_f64_e32 vcc, 0, v[116:117]
	v_cmp_neq_f64_e64 s[2:3], 0, v[118:119]
	s_or_b64 s[2:3], vcc, s[2:3]
	s_and_b64 exec, exec, s[2:3]
	s_cbranch_execz .LBB45_62
; %bb.57:
	v_cmp_ngt_f64_e64 s[2:3], |v[116:117]|, |v[118:119]|
                                        ; implicit-def: $vgpr120_vgpr121
	s_and_saveexec_b64 s[10:11], s[2:3]
	s_xor_b64 s[2:3], exec, s[10:11]
                                        ; implicit-def: $vgpr122_vgpr123
	s_cbranch_execz .LBB45_59
; %bb.58:
	v_div_scale_f64 v[120:121], s[10:11], v[118:119], v[118:119], v[116:117]
	v_rcp_f64_e32 v[122:123], v[120:121]
	v_div_scale_f64 v[124:125], vcc, v[116:117], v[118:119], v[116:117]
	v_fma_f64 v[126:127], -v[120:121], v[122:123], 1.0
	v_fmac_f64_e32 v[122:123], v[122:123], v[126:127]
	v_fma_f64 v[126:127], -v[120:121], v[122:123], 1.0
	v_fmac_f64_e32 v[122:123], v[122:123], v[126:127]
	v_mul_f64 v[126:127], v[124:125], v[122:123]
	v_fma_f64 v[120:121], -v[120:121], v[126:127], v[124:125]
	v_div_fmas_f64 v[120:121], v[120:121], v[122:123], v[126:127]
	v_div_fixup_f64 v[120:121], v[120:121], v[118:119], v[116:117]
	v_fmac_f64_e32 v[118:119], v[116:117], v[120:121]
	v_div_scale_f64 v[116:117], s[10:11], v[118:119], v[118:119], 1.0
	v_rcp_f64_e32 v[122:123], v[116:117]
	s_nop 0
	v_fma_f64 v[124:125], -v[116:117], v[122:123], 1.0
	v_fmac_f64_e32 v[122:123], v[122:123], v[124:125]
	v_fma_f64 v[124:125], -v[116:117], v[122:123], 1.0
	v_fmac_f64_e32 v[122:123], v[122:123], v[124:125]
	v_div_scale_f64 v[124:125], vcc, 1.0, v[118:119], 1.0
	v_mul_f64 v[126:127], v[124:125], v[122:123]
	v_fma_f64 v[116:117], -v[116:117], v[126:127], v[124:125]
	s_nop 1
	v_div_fmas_f64 v[116:117], v[116:117], v[122:123], v[126:127]
	v_div_fixup_f64 v[122:123], v[116:117], v[118:119], 1.0
	v_mul_f64 v[120:121], v[120:121], v[122:123]
	v_xor_b32_e32 v123, 0x80000000, v123
                                        ; implicit-def: $vgpr116_vgpr117
.LBB45_59:
	s_andn2_saveexec_b64 s[2:3], s[2:3]
	s_cbranch_execz .LBB45_61
; %bb.60:
	v_div_scale_f64 v[120:121], s[10:11], v[116:117], v[116:117], v[118:119]
	v_rcp_f64_e32 v[122:123], v[120:121]
	v_div_scale_f64 v[124:125], vcc, v[118:119], v[116:117], v[118:119]
	v_fma_f64 v[126:127], -v[120:121], v[122:123], 1.0
	v_fmac_f64_e32 v[122:123], v[122:123], v[126:127]
	v_fma_f64 v[126:127], -v[120:121], v[122:123], 1.0
	v_fmac_f64_e32 v[122:123], v[122:123], v[126:127]
	v_mul_f64 v[126:127], v[124:125], v[122:123]
	v_fma_f64 v[120:121], -v[120:121], v[126:127], v[124:125]
	v_div_fmas_f64 v[120:121], v[120:121], v[122:123], v[126:127]
	v_div_fixup_f64 v[122:123], v[120:121], v[116:117], v[118:119]
	v_fmac_f64_e32 v[116:117], v[118:119], v[122:123]
	v_div_scale_f64 v[118:119], s[10:11], v[116:117], v[116:117], 1.0
	v_rcp_f64_e32 v[120:121], v[118:119]
	s_nop 0
	v_fma_f64 v[124:125], -v[118:119], v[120:121], 1.0
	v_fmac_f64_e32 v[120:121], v[120:121], v[124:125]
	v_fma_f64 v[124:125], -v[118:119], v[120:121], 1.0
	v_fmac_f64_e32 v[120:121], v[120:121], v[124:125]
	v_div_scale_f64 v[124:125], vcc, 1.0, v[116:117], 1.0
	v_mul_f64 v[126:127], v[124:125], v[120:121]
	v_fma_f64 v[118:119], -v[118:119], v[126:127], v[124:125]
	s_nop 1
	v_div_fmas_f64 v[118:119], v[118:119], v[120:121], v[126:127]
	v_div_fixup_f64 v[120:121], v[118:119], v[116:117], 1.0
	v_mul_f64 v[122:123], v[122:123], -v[120:121]
.LBB45_61:
	s_or_b64 exec, exec, s[2:3]
	ds_write2_b64 v233, v[120:121], v[122:123] offset1:1
.LBB45_62:
	s_or_b64 exec, exec, s[4:5]
	s_waitcnt lgkmcnt(0)
	s_barrier
	ds_read2_b64 v[116:119], v233 offset1:1
	v_cmp_lt_u32_e32 vcc, 6, v232
	s_and_saveexec_b64 s[2:3], vcc
	s_cbranch_execz .LBB45_64
; %bb.63:
	ds_read2_b64 v[122:125], v234 offset0:14 offset1:15
	ds_read2_b64 v[126:129], v234 offset0:16 offset1:17
	s_waitcnt vmcnt(16) lgkmcnt(2)
	v_mul_f64 v[120:121], v[116:117], v[70:71]
	v_fmac_f64_e32 v[120:121], v[118:119], v[68:69]
	v_mul_f64 v[70:71], v[118:119], v[70:71]
	v_fma_f64 v[68:69], v[116:117], v[68:69], -v[70:71]
	s_waitcnt lgkmcnt(1)
	v_mul_f64 v[70:71], v[124:125], v[120:121]
	v_fma_f64 v[70:71], v[122:123], v[68:69], -v[70:71]
	v_mul_f64 v[122:123], v[122:123], v[120:121]
	v_fmac_f64_e32 v[122:123], v[124:125], v[68:69]
	s_waitcnt vmcnt(15)
	v_add_f64 v[64:65], v[64:65], -v[70:71]
	v_add_f64 v[66:67], v[66:67], -v[122:123]
	s_waitcnt lgkmcnt(0)
	v_mul_f64 v[70:71], v[128:129], v[120:121]
	ds_read2_b64 v[122:125], v234 offset0:18 offset1:19
	v_fma_f64 v[70:71], v[126:127], v[68:69], -v[70:71]
	v_mul_f64 v[126:127], v[126:127], v[120:121]
	v_fmac_f64_e32 v[126:127], v[128:129], v[68:69]
	s_waitcnt vmcnt(14)
	v_add_f64 v[62:63], v[62:63], -v[126:127]
	ds_read2_b64 v[126:129], v234 offset0:20 offset1:21
	v_add_f64 v[60:61], v[60:61], -v[70:71]
	s_waitcnt lgkmcnt(1)
	v_mul_f64 v[70:71], v[124:125], v[120:121]
	v_fma_f64 v[70:71], v[122:123], v[68:69], -v[70:71]
	v_mul_f64 v[122:123], v[122:123], v[120:121]
	v_fmac_f64_e32 v[122:123], v[124:125], v[68:69]
	s_waitcnt vmcnt(13)
	v_add_f64 v[56:57], v[56:57], -v[70:71]
	v_add_f64 v[58:59], v[58:59], -v[122:123]
	s_waitcnt lgkmcnt(0)
	v_mul_f64 v[70:71], v[128:129], v[120:121]
	ds_read2_b64 v[122:125], v234 offset0:22 offset1:23
	v_fma_f64 v[70:71], v[126:127], v[68:69], -v[70:71]
	v_mul_f64 v[126:127], v[126:127], v[120:121]
	v_fmac_f64_e32 v[126:127], v[128:129], v[68:69]
	s_waitcnt vmcnt(12)
	v_add_f64 v[54:55], v[54:55], -v[126:127]
	ds_read2_b64 v[126:129], v234 offset0:24 offset1:25
	v_add_f64 v[52:53], v[52:53], -v[70:71]
	;; [unrolled: 18-line block ×7, first 2 shown]
	s_waitcnt lgkmcnt(1)
	v_mul_f64 v[70:71], v[124:125], v[120:121]
	v_fma_f64 v[70:71], v[122:123], v[68:69], -v[70:71]
	v_mul_f64 v[122:123], v[122:123], v[120:121]
	v_fmac_f64_e32 v[122:123], v[124:125], v[68:69]
	s_waitcnt vmcnt(1)
	v_add_f64 v[8:9], v[8:9], -v[70:71]
	v_add_f64 v[10:11], v[10:11], -v[122:123]
	s_waitcnt lgkmcnt(0)
	v_mul_f64 v[70:71], v[128:129], v[120:121]
	v_mul_f64 v[122:123], v[126:127], v[120:121]
	v_fma_f64 v[70:71], v[126:127], v[68:69], -v[70:71]
	v_fmac_f64_e32 v[122:123], v[128:129], v[68:69]
	s_waitcnt vmcnt(0)
	v_add_f64 v[88:89], v[88:89], -v[70:71]
	v_add_f64 v[90:91], v[90:91], -v[122:123]
	v_mov_b64_e32 v[70:71], v[120:121]
.LBB45_64:
	s_or_b64 exec, exec, s[2:3]
	v_cmp_eq_u32_e32 vcc, 7, v232
	s_waitcnt lgkmcnt(0)
	s_barrier
	s_and_saveexec_b64 s[4:5], vcc
	s_cbranch_execz .LBB45_71
; %bb.65:
	s_waitcnt vmcnt(15)
	ds_write2_b64 v233, v[64:65], v[66:67] offset1:1
	s_waitcnt vmcnt(14)
	ds_write2_b64 v234, v[60:61], v[62:63] offset0:16 offset1:17
	s_waitcnt vmcnt(13)
	ds_write2_b64 v234, v[56:57], v[58:59] offset0:18 offset1:19
	;; [unrolled: 2-line block ×15, first 2 shown]
	ds_read2_b64 v[120:123], v233 offset1:1
	s_waitcnt lgkmcnt(0)
	v_cmp_neq_f64_e32 vcc, 0, v[120:121]
	v_cmp_neq_f64_e64 s[2:3], 0, v[122:123]
	s_or_b64 s[2:3], vcc, s[2:3]
	s_and_b64 exec, exec, s[2:3]
	s_cbranch_execz .LBB45_71
; %bb.66:
	v_cmp_ngt_f64_e64 s[2:3], |v[120:121]|, |v[122:123]|
                                        ; implicit-def: $vgpr124_vgpr125
	s_and_saveexec_b64 s[10:11], s[2:3]
	s_xor_b64 s[2:3], exec, s[10:11]
                                        ; implicit-def: $vgpr126_vgpr127
	s_cbranch_execz .LBB45_68
; %bb.67:
	v_div_scale_f64 v[124:125], s[10:11], v[122:123], v[122:123], v[120:121]
	v_rcp_f64_e32 v[126:127], v[124:125]
	v_div_scale_f64 v[128:129], vcc, v[120:121], v[122:123], v[120:121]
	v_fma_f64 v[130:131], -v[124:125], v[126:127], 1.0
	v_fmac_f64_e32 v[126:127], v[126:127], v[130:131]
	v_fma_f64 v[130:131], -v[124:125], v[126:127], 1.0
	v_fmac_f64_e32 v[126:127], v[126:127], v[130:131]
	v_mul_f64 v[130:131], v[128:129], v[126:127]
	v_fma_f64 v[124:125], -v[124:125], v[130:131], v[128:129]
	v_div_fmas_f64 v[124:125], v[124:125], v[126:127], v[130:131]
	v_div_fixup_f64 v[124:125], v[124:125], v[122:123], v[120:121]
	v_fmac_f64_e32 v[122:123], v[120:121], v[124:125]
	v_div_scale_f64 v[120:121], s[10:11], v[122:123], v[122:123], 1.0
	v_rcp_f64_e32 v[126:127], v[120:121]
	s_nop 0
	v_fma_f64 v[128:129], -v[120:121], v[126:127], 1.0
	v_fmac_f64_e32 v[126:127], v[126:127], v[128:129]
	v_fma_f64 v[128:129], -v[120:121], v[126:127], 1.0
	v_fmac_f64_e32 v[126:127], v[126:127], v[128:129]
	v_div_scale_f64 v[128:129], vcc, 1.0, v[122:123], 1.0
	v_mul_f64 v[130:131], v[128:129], v[126:127]
	v_fma_f64 v[120:121], -v[120:121], v[130:131], v[128:129]
	s_nop 1
	v_div_fmas_f64 v[120:121], v[120:121], v[126:127], v[130:131]
	v_div_fixup_f64 v[126:127], v[120:121], v[122:123], 1.0
	v_mul_f64 v[124:125], v[124:125], v[126:127]
	v_xor_b32_e32 v127, 0x80000000, v127
                                        ; implicit-def: $vgpr120_vgpr121
.LBB45_68:
	s_andn2_saveexec_b64 s[2:3], s[2:3]
	s_cbranch_execz .LBB45_70
; %bb.69:
	v_div_scale_f64 v[124:125], s[10:11], v[120:121], v[120:121], v[122:123]
	v_rcp_f64_e32 v[126:127], v[124:125]
	v_div_scale_f64 v[128:129], vcc, v[122:123], v[120:121], v[122:123]
	v_fma_f64 v[130:131], -v[124:125], v[126:127], 1.0
	v_fmac_f64_e32 v[126:127], v[126:127], v[130:131]
	v_fma_f64 v[130:131], -v[124:125], v[126:127], 1.0
	v_fmac_f64_e32 v[126:127], v[126:127], v[130:131]
	v_mul_f64 v[130:131], v[128:129], v[126:127]
	v_fma_f64 v[124:125], -v[124:125], v[130:131], v[128:129]
	v_div_fmas_f64 v[124:125], v[124:125], v[126:127], v[130:131]
	v_div_fixup_f64 v[126:127], v[124:125], v[120:121], v[122:123]
	v_fmac_f64_e32 v[120:121], v[122:123], v[126:127]
	v_div_scale_f64 v[122:123], s[10:11], v[120:121], v[120:121], 1.0
	v_rcp_f64_e32 v[124:125], v[122:123]
	s_nop 0
	v_fma_f64 v[128:129], -v[122:123], v[124:125], 1.0
	v_fmac_f64_e32 v[124:125], v[124:125], v[128:129]
	v_fma_f64 v[128:129], -v[122:123], v[124:125], 1.0
	v_fmac_f64_e32 v[124:125], v[124:125], v[128:129]
	v_div_scale_f64 v[128:129], vcc, 1.0, v[120:121], 1.0
	v_mul_f64 v[130:131], v[128:129], v[124:125]
	v_fma_f64 v[122:123], -v[122:123], v[130:131], v[128:129]
	s_nop 1
	v_div_fmas_f64 v[122:123], v[122:123], v[124:125], v[130:131]
	v_div_fixup_f64 v[124:125], v[122:123], v[120:121], 1.0
	v_mul_f64 v[126:127], v[126:127], -v[124:125]
.LBB45_70:
	s_or_b64 exec, exec, s[2:3]
	ds_write2_b64 v233, v[124:125], v[126:127] offset1:1
.LBB45_71:
	s_or_b64 exec, exec, s[4:5]
	s_waitcnt lgkmcnt(0)
	s_barrier
	ds_read2_b64 v[120:123], v233 offset1:1
	v_cmp_lt_u32_e32 vcc, 7, v232
	s_and_saveexec_b64 s[2:3], vcc
	s_cbranch_execz .LBB45_73
; %bb.72:
	ds_read2_b64 v[126:129], v234 offset0:16 offset1:17
	ds_read2_b64 v[130:133], v234 offset0:18 offset1:19
	s_waitcnt vmcnt(15) lgkmcnt(2)
	v_mul_f64 v[124:125], v[120:121], v[66:67]
	v_fmac_f64_e32 v[124:125], v[122:123], v[64:65]
	v_mul_f64 v[66:67], v[122:123], v[66:67]
	v_fma_f64 v[64:65], v[120:121], v[64:65], -v[66:67]
	s_waitcnt lgkmcnt(1)
	v_mul_f64 v[66:67], v[128:129], v[124:125]
	v_fma_f64 v[66:67], v[126:127], v[64:65], -v[66:67]
	v_mul_f64 v[126:127], v[126:127], v[124:125]
	v_fmac_f64_e32 v[126:127], v[128:129], v[64:65]
	s_waitcnt vmcnt(14)
	v_add_f64 v[62:63], v[62:63], -v[126:127]
	ds_read2_b64 v[126:129], v234 offset0:20 offset1:21
	v_add_f64 v[60:61], v[60:61], -v[66:67]
	s_waitcnt lgkmcnt(1)
	v_mul_f64 v[66:67], v[132:133], v[124:125]
	v_fma_f64 v[66:67], v[130:131], v[64:65], -v[66:67]
	v_mul_f64 v[130:131], v[130:131], v[124:125]
	v_fmac_f64_e32 v[130:131], v[132:133], v[64:65]
	s_waitcnt vmcnt(13)
	v_add_f64 v[56:57], v[56:57], -v[66:67]
	v_add_f64 v[58:59], v[58:59], -v[130:131]
	ds_read2_b64 v[130:133], v234 offset0:22 offset1:23
	s_waitcnt lgkmcnt(1)
	v_mul_f64 v[66:67], v[128:129], v[124:125]
	v_fma_f64 v[66:67], v[126:127], v[64:65], -v[66:67]
	v_mul_f64 v[126:127], v[126:127], v[124:125]
	v_fmac_f64_e32 v[126:127], v[128:129], v[64:65]
	s_waitcnt vmcnt(12)
	v_add_f64 v[54:55], v[54:55], -v[126:127]
	ds_read2_b64 v[126:129], v234 offset0:24 offset1:25
	v_add_f64 v[52:53], v[52:53], -v[66:67]
	s_waitcnt lgkmcnt(1)
	v_mul_f64 v[66:67], v[132:133], v[124:125]
	v_fma_f64 v[66:67], v[130:131], v[64:65], -v[66:67]
	v_mul_f64 v[130:131], v[130:131], v[124:125]
	v_fmac_f64_e32 v[130:131], v[132:133], v[64:65]
	s_waitcnt vmcnt(11)
	v_add_f64 v[48:49], v[48:49], -v[66:67]
	v_add_f64 v[50:51], v[50:51], -v[130:131]
	ds_read2_b64 v[130:133], v234 offset0:26 offset1:27
	;; [unrolled: 18-line block ×6, first 2 shown]
	s_waitcnt lgkmcnt(1)
	v_mul_f64 v[66:67], v[128:129], v[124:125]
	v_fma_f64 v[66:67], v[126:127], v[64:65], -v[66:67]
	v_mul_f64 v[126:127], v[126:127], v[124:125]
	v_fmac_f64_e32 v[126:127], v[128:129], v[64:65]
	s_waitcnt vmcnt(2)
	v_add_f64 v[14:15], v[14:15], -v[126:127]
	ds_read2_b64 v[126:129], v234 offset0:44 offset1:45
	v_add_f64 v[12:13], v[12:13], -v[66:67]
	s_waitcnt lgkmcnt(1)
	v_mul_f64 v[66:67], v[132:133], v[124:125]
	v_fma_f64 v[66:67], v[130:131], v[64:65], -v[66:67]
	s_waitcnt vmcnt(1)
	v_add_f64 v[8:9], v[8:9], -v[66:67]
	s_waitcnt lgkmcnt(0)
	v_mul_f64 v[66:67], v[128:129], v[124:125]
	v_mul_f64 v[130:131], v[130:131], v[124:125]
	v_fma_f64 v[66:67], v[126:127], v[64:65], -v[66:67]
	v_mul_f64 v[126:127], v[126:127], v[124:125]
	v_fmac_f64_e32 v[130:131], v[132:133], v[64:65]
	v_fmac_f64_e32 v[126:127], v[128:129], v[64:65]
	v_add_f64 v[10:11], v[10:11], -v[130:131]
	s_waitcnt vmcnt(0)
	v_add_f64 v[88:89], v[88:89], -v[66:67]
	v_add_f64 v[90:91], v[90:91], -v[126:127]
	v_mov_b64_e32 v[66:67], v[124:125]
.LBB45_73:
	s_or_b64 exec, exec, s[2:3]
	v_cmp_eq_u32_e32 vcc, 8, v232
	s_waitcnt lgkmcnt(0)
	s_barrier
	s_and_saveexec_b64 s[4:5], vcc
	s_cbranch_execz .LBB45_80
; %bb.74:
	s_waitcnt vmcnt(14)
	ds_write2_b64 v233, v[60:61], v[62:63] offset1:1
	s_waitcnt vmcnt(13)
	ds_write2_b64 v234, v[56:57], v[58:59] offset0:18 offset1:19
	s_waitcnt vmcnt(12)
	ds_write2_b64 v234, v[52:53], v[54:55] offset0:20 offset1:21
	;; [unrolled: 2-line block ×14, first 2 shown]
	ds_read2_b64 v[124:127], v233 offset1:1
	s_waitcnt lgkmcnt(0)
	v_cmp_neq_f64_e32 vcc, 0, v[124:125]
	v_cmp_neq_f64_e64 s[2:3], 0, v[126:127]
	s_or_b64 s[2:3], vcc, s[2:3]
	s_and_b64 exec, exec, s[2:3]
	s_cbranch_execz .LBB45_80
; %bb.75:
	v_cmp_ngt_f64_e64 s[2:3], |v[124:125]|, |v[126:127]|
                                        ; implicit-def: $vgpr128_vgpr129
	s_and_saveexec_b64 s[10:11], s[2:3]
	s_xor_b64 s[2:3], exec, s[10:11]
                                        ; implicit-def: $vgpr130_vgpr131
	s_cbranch_execz .LBB45_77
; %bb.76:
	v_div_scale_f64 v[128:129], s[10:11], v[126:127], v[126:127], v[124:125]
	v_rcp_f64_e32 v[130:131], v[128:129]
	v_div_scale_f64 v[132:133], vcc, v[124:125], v[126:127], v[124:125]
	v_fma_f64 v[134:135], -v[128:129], v[130:131], 1.0
	v_fmac_f64_e32 v[130:131], v[130:131], v[134:135]
	v_fma_f64 v[134:135], -v[128:129], v[130:131], 1.0
	v_fmac_f64_e32 v[130:131], v[130:131], v[134:135]
	v_mul_f64 v[134:135], v[132:133], v[130:131]
	v_fma_f64 v[128:129], -v[128:129], v[134:135], v[132:133]
	v_div_fmas_f64 v[128:129], v[128:129], v[130:131], v[134:135]
	v_div_fixup_f64 v[128:129], v[128:129], v[126:127], v[124:125]
	v_fmac_f64_e32 v[126:127], v[124:125], v[128:129]
	v_div_scale_f64 v[124:125], s[10:11], v[126:127], v[126:127], 1.0
	v_rcp_f64_e32 v[130:131], v[124:125]
	s_nop 0
	v_fma_f64 v[132:133], -v[124:125], v[130:131], 1.0
	v_fmac_f64_e32 v[130:131], v[130:131], v[132:133]
	v_fma_f64 v[132:133], -v[124:125], v[130:131], 1.0
	v_fmac_f64_e32 v[130:131], v[130:131], v[132:133]
	v_div_scale_f64 v[132:133], vcc, 1.0, v[126:127], 1.0
	v_mul_f64 v[134:135], v[132:133], v[130:131]
	v_fma_f64 v[124:125], -v[124:125], v[134:135], v[132:133]
	s_nop 1
	v_div_fmas_f64 v[124:125], v[124:125], v[130:131], v[134:135]
	v_div_fixup_f64 v[130:131], v[124:125], v[126:127], 1.0
	v_mul_f64 v[128:129], v[128:129], v[130:131]
	v_xor_b32_e32 v131, 0x80000000, v131
                                        ; implicit-def: $vgpr124_vgpr125
.LBB45_77:
	s_andn2_saveexec_b64 s[2:3], s[2:3]
	s_cbranch_execz .LBB45_79
; %bb.78:
	v_div_scale_f64 v[128:129], s[10:11], v[124:125], v[124:125], v[126:127]
	v_rcp_f64_e32 v[130:131], v[128:129]
	v_div_scale_f64 v[132:133], vcc, v[126:127], v[124:125], v[126:127]
	v_fma_f64 v[134:135], -v[128:129], v[130:131], 1.0
	v_fmac_f64_e32 v[130:131], v[130:131], v[134:135]
	v_fma_f64 v[134:135], -v[128:129], v[130:131], 1.0
	v_fmac_f64_e32 v[130:131], v[130:131], v[134:135]
	v_mul_f64 v[134:135], v[132:133], v[130:131]
	v_fma_f64 v[128:129], -v[128:129], v[134:135], v[132:133]
	v_div_fmas_f64 v[128:129], v[128:129], v[130:131], v[134:135]
	v_div_fixup_f64 v[130:131], v[128:129], v[124:125], v[126:127]
	v_fmac_f64_e32 v[124:125], v[126:127], v[130:131]
	v_div_scale_f64 v[126:127], s[10:11], v[124:125], v[124:125], 1.0
	v_rcp_f64_e32 v[128:129], v[126:127]
	s_nop 0
	v_fma_f64 v[132:133], -v[126:127], v[128:129], 1.0
	v_fmac_f64_e32 v[128:129], v[128:129], v[132:133]
	v_fma_f64 v[132:133], -v[126:127], v[128:129], 1.0
	v_fmac_f64_e32 v[128:129], v[128:129], v[132:133]
	v_div_scale_f64 v[132:133], vcc, 1.0, v[124:125], 1.0
	v_mul_f64 v[134:135], v[132:133], v[128:129]
	v_fma_f64 v[126:127], -v[126:127], v[134:135], v[132:133]
	s_nop 1
	v_div_fmas_f64 v[126:127], v[126:127], v[128:129], v[134:135]
	v_div_fixup_f64 v[128:129], v[126:127], v[124:125], 1.0
	v_mul_f64 v[130:131], v[130:131], -v[128:129]
.LBB45_79:
	s_or_b64 exec, exec, s[2:3]
	ds_write2_b64 v233, v[128:129], v[130:131] offset1:1
.LBB45_80:
	s_or_b64 exec, exec, s[4:5]
	s_waitcnt lgkmcnt(0)
	s_barrier
	ds_read2_b64 v[124:127], v233 offset1:1
	v_cmp_lt_u32_e32 vcc, 8, v232
	s_and_saveexec_b64 s[2:3], vcc
	s_cbranch_execz .LBB45_82
; %bb.81:
	ds_read2_b64 v[130:133], v234 offset0:18 offset1:19
	ds_read2_b64 v[134:137], v234 offset0:20 offset1:21
	s_waitcnt vmcnt(14) lgkmcnt(2)
	v_mul_f64 v[128:129], v[124:125], v[62:63]
	v_fmac_f64_e32 v[128:129], v[126:127], v[60:61]
	v_mul_f64 v[62:63], v[126:127], v[62:63]
	v_fma_f64 v[60:61], v[124:125], v[60:61], -v[62:63]
	s_waitcnt lgkmcnt(1)
	v_mul_f64 v[62:63], v[132:133], v[128:129]
	v_fma_f64 v[62:63], v[130:131], v[60:61], -v[62:63]
	v_mul_f64 v[130:131], v[130:131], v[128:129]
	v_fmac_f64_e32 v[130:131], v[132:133], v[60:61]
	s_waitcnt vmcnt(13)
	v_add_f64 v[56:57], v[56:57], -v[62:63]
	v_add_f64 v[58:59], v[58:59], -v[130:131]
	s_waitcnt lgkmcnt(0)
	v_mul_f64 v[62:63], v[136:137], v[128:129]
	ds_read2_b64 v[130:133], v234 offset0:22 offset1:23
	v_fma_f64 v[62:63], v[134:135], v[60:61], -v[62:63]
	v_mul_f64 v[134:135], v[134:135], v[128:129]
	v_fmac_f64_e32 v[134:135], v[136:137], v[60:61]
	s_waitcnt vmcnt(12)
	v_add_f64 v[54:55], v[54:55], -v[134:135]
	ds_read2_b64 v[134:137], v234 offset0:24 offset1:25
	v_add_f64 v[52:53], v[52:53], -v[62:63]
	s_waitcnt lgkmcnt(1)
	v_mul_f64 v[62:63], v[132:133], v[128:129]
	v_fma_f64 v[62:63], v[130:131], v[60:61], -v[62:63]
	v_mul_f64 v[130:131], v[130:131], v[128:129]
	v_fmac_f64_e32 v[130:131], v[132:133], v[60:61]
	s_waitcnt vmcnt(11)
	v_add_f64 v[48:49], v[48:49], -v[62:63]
	v_add_f64 v[50:51], v[50:51], -v[130:131]
	s_waitcnt lgkmcnt(0)
	v_mul_f64 v[62:63], v[136:137], v[128:129]
	ds_read2_b64 v[130:133], v234 offset0:26 offset1:27
	v_fma_f64 v[62:63], v[134:135], v[60:61], -v[62:63]
	v_mul_f64 v[134:135], v[134:135], v[128:129]
	v_fmac_f64_e32 v[134:135], v[136:137], v[60:61]
	s_waitcnt vmcnt(10)
	v_add_f64 v[46:47], v[46:47], -v[134:135]
	ds_read2_b64 v[134:137], v234 offset0:28 offset1:29
	v_add_f64 v[44:45], v[44:45], -v[62:63]
	;; [unrolled: 18-line block ×6, first 2 shown]
	s_waitcnt lgkmcnt(1)
	v_mul_f64 v[62:63], v[132:133], v[128:129]
	v_fma_f64 v[62:63], v[130:131], v[60:61], -v[62:63]
	v_mul_f64 v[130:131], v[130:131], v[128:129]
	v_fmac_f64_e32 v[130:131], v[132:133], v[60:61]
	s_waitcnt vmcnt(1)
	v_add_f64 v[8:9], v[8:9], -v[62:63]
	v_add_f64 v[10:11], v[10:11], -v[130:131]
	s_waitcnt lgkmcnt(0)
	v_mul_f64 v[62:63], v[136:137], v[128:129]
	v_mul_f64 v[130:131], v[134:135], v[128:129]
	v_fma_f64 v[62:63], v[134:135], v[60:61], -v[62:63]
	v_fmac_f64_e32 v[130:131], v[136:137], v[60:61]
	s_waitcnt vmcnt(0)
	v_add_f64 v[88:89], v[88:89], -v[62:63]
	v_add_f64 v[90:91], v[90:91], -v[130:131]
	v_mov_b64_e32 v[62:63], v[128:129]
.LBB45_82:
	s_or_b64 exec, exec, s[2:3]
	v_cmp_eq_u32_e32 vcc, 9, v232
	s_waitcnt lgkmcnt(0)
	s_barrier
	s_and_saveexec_b64 s[4:5], vcc
	s_cbranch_execz .LBB45_89
; %bb.83:
	s_waitcnt vmcnt(13)
	ds_write2_b64 v233, v[56:57], v[58:59] offset1:1
	s_waitcnt vmcnt(12)
	ds_write2_b64 v234, v[52:53], v[54:55] offset0:20 offset1:21
	s_waitcnt vmcnt(11)
	ds_write2_b64 v234, v[48:49], v[50:51] offset0:22 offset1:23
	;; [unrolled: 2-line block ×13, first 2 shown]
	ds_read2_b64 v[128:131], v233 offset1:1
	s_waitcnt lgkmcnt(0)
	v_cmp_neq_f64_e32 vcc, 0, v[128:129]
	v_cmp_neq_f64_e64 s[2:3], 0, v[130:131]
	s_or_b64 s[2:3], vcc, s[2:3]
	s_and_b64 exec, exec, s[2:3]
	s_cbranch_execz .LBB45_89
; %bb.84:
	v_cmp_ngt_f64_e64 s[2:3], |v[128:129]|, |v[130:131]|
                                        ; implicit-def: $vgpr132_vgpr133
	s_and_saveexec_b64 s[10:11], s[2:3]
	s_xor_b64 s[2:3], exec, s[10:11]
                                        ; implicit-def: $vgpr134_vgpr135
	s_cbranch_execz .LBB45_86
; %bb.85:
	v_div_scale_f64 v[132:133], s[10:11], v[130:131], v[130:131], v[128:129]
	v_rcp_f64_e32 v[134:135], v[132:133]
	v_div_scale_f64 v[136:137], vcc, v[128:129], v[130:131], v[128:129]
	v_fma_f64 v[138:139], -v[132:133], v[134:135], 1.0
	v_fmac_f64_e32 v[134:135], v[134:135], v[138:139]
	v_fma_f64 v[138:139], -v[132:133], v[134:135], 1.0
	v_fmac_f64_e32 v[134:135], v[134:135], v[138:139]
	v_mul_f64 v[138:139], v[136:137], v[134:135]
	v_fma_f64 v[132:133], -v[132:133], v[138:139], v[136:137]
	v_div_fmas_f64 v[132:133], v[132:133], v[134:135], v[138:139]
	v_div_fixup_f64 v[132:133], v[132:133], v[130:131], v[128:129]
	v_fmac_f64_e32 v[130:131], v[128:129], v[132:133]
	v_div_scale_f64 v[128:129], s[10:11], v[130:131], v[130:131], 1.0
	v_rcp_f64_e32 v[134:135], v[128:129]
	s_nop 0
	v_fma_f64 v[136:137], -v[128:129], v[134:135], 1.0
	v_fmac_f64_e32 v[134:135], v[134:135], v[136:137]
	v_fma_f64 v[136:137], -v[128:129], v[134:135], 1.0
	v_fmac_f64_e32 v[134:135], v[134:135], v[136:137]
	v_div_scale_f64 v[136:137], vcc, 1.0, v[130:131], 1.0
	v_mul_f64 v[138:139], v[136:137], v[134:135]
	v_fma_f64 v[128:129], -v[128:129], v[138:139], v[136:137]
	s_nop 1
	v_div_fmas_f64 v[128:129], v[128:129], v[134:135], v[138:139]
	v_div_fixup_f64 v[134:135], v[128:129], v[130:131], 1.0
	v_mul_f64 v[132:133], v[132:133], v[134:135]
	v_xor_b32_e32 v135, 0x80000000, v135
                                        ; implicit-def: $vgpr128_vgpr129
.LBB45_86:
	s_andn2_saveexec_b64 s[2:3], s[2:3]
	s_cbranch_execz .LBB45_88
; %bb.87:
	v_div_scale_f64 v[132:133], s[10:11], v[128:129], v[128:129], v[130:131]
	v_rcp_f64_e32 v[134:135], v[132:133]
	v_div_scale_f64 v[136:137], vcc, v[130:131], v[128:129], v[130:131]
	v_fma_f64 v[138:139], -v[132:133], v[134:135], 1.0
	v_fmac_f64_e32 v[134:135], v[134:135], v[138:139]
	v_fma_f64 v[138:139], -v[132:133], v[134:135], 1.0
	v_fmac_f64_e32 v[134:135], v[134:135], v[138:139]
	v_mul_f64 v[138:139], v[136:137], v[134:135]
	v_fma_f64 v[132:133], -v[132:133], v[138:139], v[136:137]
	v_div_fmas_f64 v[132:133], v[132:133], v[134:135], v[138:139]
	v_div_fixup_f64 v[134:135], v[132:133], v[128:129], v[130:131]
	v_fmac_f64_e32 v[128:129], v[130:131], v[134:135]
	v_div_scale_f64 v[130:131], s[10:11], v[128:129], v[128:129], 1.0
	v_rcp_f64_e32 v[132:133], v[130:131]
	s_nop 0
	v_fma_f64 v[136:137], -v[130:131], v[132:133], 1.0
	v_fmac_f64_e32 v[132:133], v[132:133], v[136:137]
	v_fma_f64 v[136:137], -v[130:131], v[132:133], 1.0
	v_fmac_f64_e32 v[132:133], v[132:133], v[136:137]
	v_div_scale_f64 v[136:137], vcc, 1.0, v[128:129], 1.0
	v_mul_f64 v[138:139], v[136:137], v[132:133]
	v_fma_f64 v[130:131], -v[130:131], v[138:139], v[136:137]
	s_nop 1
	v_div_fmas_f64 v[130:131], v[130:131], v[132:133], v[138:139]
	v_div_fixup_f64 v[132:133], v[130:131], v[128:129], 1.0
	v_mul_f64 v[134:135], v[134:135], -v[132:133]
.LBB45_88:
	s_or_b64 exec, exec, s[2:3]
	ds_write2_b64 v233, v[132:133], v[134:135] offset1:1
.LBB45_89:
	s_or_b64 exec, exec, s[4:5]
	s_waitcnt lgkmcnt(0)
	s_barrier
	ds_read2_b64 v[128:131], v233 offset1:1
	v_cmp_lt_u32_e32 vcc, 9, v232
	s_and_saveexec_b64 s[2:3], vcc
	s_cbranch_execz .LBB45_91
; %bb.90:
	ds_read2_b64 v[132:135], v234 offset0:20 offset1:21
	ds_read2_b64 v[136:139], v234 offset0:22 offset1:23
	s_waitcnt vmcnt(13) lgkmcnt(2)
	v_mul_f64 v[140:141], v[128:129], v[58:59]
	v_fmac_f64_e32 v[140:141], v[130:131], v[56:57]
	v_mul_f64 v[58:59], v[130:131], v[58:59]
	v_fma_f64 v[56:57], v[128:129], v[56:57], -v[58:59]
	s_waitcnt lgkmcnt(1)
	v_mul_f64 v[58:59], v[134:135], v[140:141]
	v_fma_f64 v[58:59], v[132:133], v[56:57], -v[58:59]
	v_mul_f64 v[132:133], v[132:133], v[140:141]
	v_fmac_f64_e32 v[132:133], v[134:135], v[56:57]
	s_waitcnt vmcnt(12)
	v_add_f64 v[54:55], v[54:55], -v[132:133]
	ds_read2_b64 v[132:135], v234 offset0:24 offset1:25
	v_add_f64 v[52:53], v[52:53], -v[58:59]
	s_waitcnt lgkmcnt(1)
	v_mul_f64 v[58:59], v[138:139], v[140:141]
	v_fma_f64 v[58:59], v[136:137], v[56:57], -v[58:59]
	v_mul_f64 v[136:137], v[136:137], v[140:141]
	v_fmac_f64_e32 v[136:137], v[138:139], v[56:57]
	s_waitcnt vmcnt(11)
	v_add_f64 v[48:49], v[48:49], -v[58:59]
	v_add_f64 v[50:51], v[50:51], -v[136:137]
	ds_read2_b64 v[136:139], v234 offset0:26 offset1:27
	s_waitcnt lgkmcnt(1)
	v_mul_f64 v[58:59], v[134:135], v[140:141]
	v_fma_f64 v[58:59], v[132:133], v[56:57], -v[58:59]
	v_mul_f64 v[132:133], v[132:133], v[140:141]
	v_fmac_f64_e32 v[132:133], v[134:135], v[56:57]
	s_waitcnt vmcnt(10)
	v_add_f64 v[46:47], v[46:47], -v[132:133]
	ds_read2_b64 v[132:135], v234 offset0:28 offset1:29
	v_add_f64 v[44:45], v[44:45], -v[58:59]
	s_waitcnt lgkmcnt(1)
	v_mul_f64 v[58:59], v[138:139], v[140:141]
	v_fma_f64 v[58:59], v[136:137], v[56:57], -v[58:59]
	v_mul_f64 v[136:137], v[136:137], v[140:141]
	v_fmac_f64_e32 v[136:137], v[138:139], v[56:57]
	s_waitcnt vmcnt(9)
	v_add_f64 v[40:41], v[40:41], -v[58:59]
	v_add_f64 v[42:43], v[42:43], -v[136:137]
	ds_read2_b64 v[136:139], v234 offset0:30 offset1:31
	;; [unrolled: 18-line block ×5, first 2 shown]
	s_waitcnt lgkmcnt(1)
	v_mul_f64 v[58:59], v[134:135], v[140:141]
	v_fma_f64 v[58:59], v[132:133], v[56:57], -v[58:59]
	v_mul_f64 v[132:133], v[132:133], v[140:141]
	v_fmac_f64_e32 v[132:133], v[134:135], v[56:57]
	s_waitcnt vmcnt(2)
	v_add_f64 v[14:15], v[14:15], -v[132:133]
	ds_read2_b64 v[132:135], v234 offset0:44 offset1:45
	v_add_f64 v[12:13], v[12:13], -v[58:59]
	s_waitcnt lgkmcnt(1)
	v_mul_f64 v[58:59], v[138:139], v[140:141]
	v_fma_f64 v[58:59], v[136:137], v[56:57], -v[58:59]
	s_waitcnt vmcnt(1)
	v_add_f64 v[8:9], v[8:9], -v[58:59]
	s_waitcnt lgkmcnt(0)
	v_mul_f64 v[58:59], v[134:135], v[140:141]
	v_mul_f64 v[136:137], v[136:137], v[140:141]
	v_fma_f64 v[58:59], v[132:133], v[56:57], -v[58:59]
	v_mul_f64 v[132:133], v[132:133], v[140:141]
	v_fmac_f64_e32 v[136:137], v[138:139], v[56:57]
	v_fmac_f64_e32 v[132:133], v[134:135], v[56:57]
	v_add_f64 v[10:11], v[10:11], -v[136:137]
	s_waitcnt vmcnt(0)
	v_add_f64 v[88:89], v[88:89], -v[58:59]
	v_add_f64 v[90:91], v[90:91], -v[132:133]
	v_mov_b64_e32 v[58:59], v[140:141]
.LBB45_91:
	s_or_b64 exec, exec, s[2:3]
	v_cmp_eq_u32_e32 vcc, 10, v232
	s_waitcnt lgkmcnt(0)
	s_barrier
	s_and_saveexec_b64 s[4:5], vcc
	s_cbranch_execz .LBB45_98
; %bb.92:
	s_waitcnt vmcnt(12)
	ds_write2_b64 v233, v[52:53], v[54:55] offset1:1
	s_waitcnt vmcnt(11)
	ds_write2_b64 v234, v[48:49], v[50:51] offset0:22 offset1:23
	s_waitcnt vmcnt(10)
	ds_write2_b64 v234, v[44:45], v[46:47] offset0:24 offset1:25
	;; [unrolled: 2-line block ×12, first 2 shown]
	ds_read2_b64 v[132:135], v233 offset1:1
	s_waitcnt lgkmcnt(0)
	v_cmp_neq_f64_e32 vcc, 0, v[132:133]
	v_cmp_neq_f64_e64 s[2:3], 0, v[134:135]
	s_or_b64 s[2:3], vcc, s[2:3]
	s_and_b64 exec, exec, s[2:3]
	s_cbranch_execz .LBB45_98
; %bb.93:
	v_cmp_ngt_f64_e64 s[2:3], |v[132:133]|, |v[134:135]|
                                        ; implicit-def: $vgpr136_vgpr137
	s_and_saveexec_b64 s[10:11], s[2:3]
	s_xor_b64 s[2:3], exec, s[10:11]
                                        ; implicit-def: $vgpr138_vgpr139
	s_cbranch_execz .LBB45_95
; %bb.94:
	v_div_scale_f64 v[136:137], s[10:11], v[134:135], v[134:135], v[132:133]
	v_rcp_f64_e32 v[138:139], v[136:137]
	v_div_scale_f64 v[140:141], vcc, v[132:133], v[134:135], v[132:133]
	v_fma_f64 v[142:143], -v[136:137], v[138:139], 1.0
	v_fmac_f64_e32 v[138:139], v[138:139], v[142:143]
	v_fma_f64 v[142:143], -v[136:137], v[138:139], 1.0
	v_fmac_f64_e32 v[138:139], v[138:139], v[142:143]
	v_mul_f64 v[142:143], v[140:141], v[138:139]
	v_fma_f64 v[136:137], -v[136:137], v[142:143], v[140:141]
	v_div_fmas_f64 v[136:137], v[136:137], v[138:139], v[142:143]
	v_div_fixup_f64 v[136:137], v[136:137], v[134:135], v[132:133]
	v_fmac_f64_e32 v[134:135], v[132:133], v[136:137]
	v_div_scale_f64 v[132:133], s[10:11], v[134:135], v[134:135], 1.0
	v_rcp_f64_e32 v[138:139], v[132:133]
	s_nop 0
	v_fma_f64 v[140:141], -v[132:133], v[138:139], 1.0
	v_fmac_f64_e32 v[138:139], v[138:139], v[140:141]
	v_fma_f64 v[140:141], -v[132:133], v[138:139], 1.0
	v_fmac_f64_e32 v[138:139], v[138:139], v[140:141]
	v_div_scale_f64 v[140:141], vcc, 1.0, v[134:135], 1.0
	v_mul_f64 v[142:143], v[140:141], v[138:139]
	v_fma_f64 v[132:133], -v[132:133], v[142:143], v[140:141]
	s_nop 1
	v_div_fmas_f64 v[132:133], v[132:133], v[138:139], v[142:143]
	v_div_fixup_f64 v[138:139], v[132:133], v[134:135], 1.0
	v_mul_f64 v[136:137], v[136:137], v[138:139]
	v_xor_b32_e32 v139, 0x80000000, v139
                                        ; implicit-def: $vgpr132_vgpr133
.LBB45_95:
	s_andn2_saveexec_b64 s[2:3], s[2:3]
	s_cbranch_execz .LBB45_97
; %bb.96:
	v_div_scale_f64 v[136:137], s[10:11], v[132:133], v[132:133], v[134:135]
	v_rcp_f64_e32 v[138:139], v[136:137]
	v_div_scale_f64 v[140:141], vcc, v[134:135], v[132:133], v[134:135]
	v_fma_f64 v[142:143], -v[136:137], v[138:139], 1.0
	v_fmac_f64_e32 v[138:139], v[138:139], v[142:143]
	v_fma_f64 v[142:143], -v[136:137], v[138:139], 1.0
	v_fmac_f64_e32 v[138:139], v[138:139], v[142:143]
	v_mul_f64 v[142:143], v[140:141], v[138:139]
	v_fma_f64 v[136:137], -v[136:137], v[142:143], v[140:141]
	v_div_fmas_f64 v[136:137], v[136:137], v[138:139], v[142:143]
	v_div_fixup_f64 v[138:139], v[136:137], v[132:133], v[134:135]
	v_fmac_f64_e32 v[132:133], v[134:135], v[138:139]
	v_div_scale_f64 v[134:135], s[10:11], v[132:133], v[132:133], 1.0
	v_rcp_f64_e32 v[136:137], v[134:135]
	s_nop 0
	v_fma_f64 v[140:141], -v[134:135], v[136:137], 1.0
	v_fmac_f64_e32 v[136:137], v[136:137], v[140:141]
	v_fma_f64 v[140:141], -v[134:135], v[136:137], 1.0
	v_fmac_f64_e32 v[136:137], v[136:137], v[140:141]
	v_div_scale_f64 v[140:141], vcc, 1.0, v[132:133], 1.0
	v_mul_f64 v[142:143], v[140:141], v[136:137]
	v_fma_f64 v[134:135], -v[134:135], v[142:143], v[140:141]
	s_nop 1
	v_div_fmas_f64 v[134:135], v[134:135], v[136:137], v[142:143]
	v_div_fixup_f64 v[136:137], v[134:135], v[132:133], 1.0
	v_mul_f64 v[138:139], v[138:139], -v[136:137]
.LBB45_97:
	s_or_b64 exec, exec, s[2:3]
	ds_write2_b64 v233, v[136:137], v[138:139] offset1:1
.LBB45_98:
	s_or_b64 exec, exec, s[4:5]
	s_waitcnt lgkmcnt(0)
	s_barrier
	ds_read2_b64 v[132:135], v233 offset1:1
	v_cmp_lt_u32_e32 vcc, 10, v232
	s_and_saveexec_b64 s[2:3], vcc
	s_cbranch_execz .LBB45_100
; %bb.99:
	ds_read2_b64 v[136:139], v234 offset0:22 offset1:23
	ds_read2_b64 v[140:143], v234 offset0:24 offset1:25
	s_waitcnt vmcnt(12) lgkmcnt(2)
	v_mul_f64 v[144:145], v[132:133], v[54:55]
	v_fmac_f64_e32 v[144:145], v[134:135], v[52:53]
	v_mul_f64 v[54:55], v[134:135], v[54:55]
	v_fma_f64 v[52:53], v[132:133], v[52:53], -v[54:55]
	s_waitcnt lgkmcnt(1)
	v_mul_f64 v[54:55], v[138:139], v[144:145]
	v_fma_f64 v[54:55], v[136:137], v[52:53], -v[54:55]
	v_mul_f64 v[136:137], v[136:137], v[144:145]
	v_fmac_f64_e32 v[136:137], v[138:139], v[52:53]
	s_waitcnt vmcnt(11)
	v_add_f64 v[48:49], v[48:49], -v[54:55]
	v_add_f64 v[50:51], v[50:51], -v[136:137]
	s_waitcnt lgkmcnt(0)
	v_mul_f64 v[54:55], v[142:143], v[144:145]
	ds_read2_b64 v[136:139], v234 offset0:26 offset1:27
	v_fma_f64 v[54:55], v[140:141], v[52:53], -v[54:55]
	v_mul_f64 v[140:141], v[140:141], v[144:145]
	v_fmac_f64_e32 v[140:141], v[142:143], v[52:53]
	s_waitcnt vmcnt(10)
	v_add_f64 v[46:47], v[46:47], -v[140:141]
	ds_read2_b64 v[140:143], v234 offset0:28 offset1:29
	v_add_f64 v[44:45], v[44:45], -v[54:55]
	s_waitcnt lgkmcnt(1)
	v_mul_f64 v[54:55], v[138:139], v[144:145]
	v_fma_f64 v[54:55], v[136:137], v[52:53], -v[54:55]
	v_mul_f64 v[136:137], v[136:137], v[144:145]
	v_fmac_f64_e32 v[136:137], v[138:139], v[52:53]
	s_waitcnt vmcnt(9)
	v_add_f64 v[40:41], v[40:41], -v[54:55]
	v_add_f64 v[42:43], v[42:43], -v[136:137]
	s_waitcnt lgkmcnt(0)
	v_mul_f64 v[54:55], v[142:143], v[144:145]
	ds_read2_b64 v[136:139], v234 offset0:30 offset1:31
	v_fma_f64 v[54:55], v[140:141], v[52:53], -v[54:55]
	v_mul_f64 v[140:141], v[140:141], v[144:145]
	v_fmac_f64_e32 v[140:141], v[142:143], v[52:53]
	s_waitcnt vmcnt(8)
	v_add_f64 v[38:39], v[38:39], -v[140:141]
	ds_read2_b64 v[140:143], v234 offset0:32 offset1:33
	v_add_f64 v[36:37], v[36:37], -v[54:55]
	;; [unrolled: 18-line block ×5, first 2 shown]
	s_waitcnt lgkmcnt(1)
	v_mul_f64 v[54:55], v[138:139], v[144:145]
	v_fma_f64 v[54:55], v[136:137], v[52:53], -v[54:55]
	v_mul_f64 v[136:137], v[136:137], v[144:145]
	v_fmac_f64_e32 v[136:137], v[138:139], v[52:53]
	s_waitcnt vmcnt(1)
	v_add_f64 v[8:9], v[8:9], -v[54:55]
	v_add_f64 v[10:11], v[10:11], -v[136:137]
	s_waitcnt lgkmcnt(0)
	v_mul_f64 v[54:55], v[142:143], v[144:145]
	v_mul_f64 v[136:137], v[140:141], v[144:145]
	v_fma_f64 v[54:55], v[140:141], v[52:53], -v[54:55]
	v_fmac_f64_e32 v[136:137], v[142:143], v[52:53]
	s_waitcnt vmcnt(0)
	v_add_f64 v[88:89], v[88:89], -v[54:55]
	v_add_f64 v[90:91], v[90:91], -v[136:137]
	v_mov_b64_e32 v[54:55], v[144:145]
.LBB45_100:
	s_or_b64 exec, exec, s[2:3]
	v_cmp_eq_u32_e32 vcc, 11, v232
	s_waitcnt lgkmcnt(0)
	s_barrier
	s_and_saveexec_b64 s[4:5], vcc
	s_cbranch_execz .LBB45_107
; %bb.101:
	s_waitcnt vmcnt(11)
	ds_write2_b64 v233, v[48:49], v[50:51] offset1:1
	s_waitcnt vmcnt(10)
	ds_write2_b64 v234, v[44:45], v[46:47] offset0:24 offset1:25
	s_waitcnt vmcnt(9)
	ds_write2_b64 v234, v[40:41], v[42:43] offset0:26 offset1:27
	;; [unrolled: 2-line block ×11, first 2 shown]
	ds_read2_b64 v[136:139], v233 offset1:1
	s_waitcnt lgkmcnt(0)
	v_cmp_neq_f64_e32 vcc, 0, v[136:137]
	v_cmp_neq_f64_e64 s[2:3], 0, v[138:139]
	s_or_b64 s[2:3], vcc, s[2:3]
	s_and_b64 exec, exec, s[2:3]
	s_cbranch_execz .LBB45_107
; %bb.102:
	v_cmp_ngt_f64_e64 s[2:3], |v[136:137]|, |v[138:139]|
                                        ; implicit-def: $vgpr140_vgpr141
	s_and_saveexec_b64 s[10:11], s[2:3]
	s_xor_b64 s[2:3], exec, s[10:11]
                                        ; implicit-def: $vgpr142_vgpr143
	s_cbranch_execz .LBB45_104
; %bb.103:
	v_div_scale_f64 v[140:141], s[10:11], v[138:139], v[138:139], v[136:137]
	v_rcp_f64_e32 v[142:143], v[140:141]
	v_div_scale_f64 v[144:145], vcc, v[136:137], v[138:139], v[136:137]
	v_fma_f64 v[146:147], -v[140:141], v[142:143], 1.0
	v_fmac_f64_e32 v[142:143], v[142:143], v[146:147]
	v_fma_f64 v[146:147], -v[140:141], v[142:143], 1.0
	v_fmac_f64_e32 v[142:143], v[142:143], v[146:147]
	v_mul_f64 v[146:147], v[144:145], v[142:143]
	v_fma_f64 v[140:141], -v[140:141], v[146:147], v[144:145]
	v_div_fmas_f64 v[140:141], v[140:141], v[142:143], v[146:147]
	v_div_fixup_f64 v[140:141], v[140:141], v[138:139], v[136:137]
	v_fmac_f64_e32 v[138:139], v[136:137], v[140:141]
	v_div_scale_f64 v[136:137], s[10:11], v[138:139], v[138:139], 1.0
	v_rcp_f64_e32 v[142:143], v[136:137]
	s_nop 0
	v_fma_f64 v[144:145], -v[136:137], v[142:143], 1.0
	v_fmac_f64_e32 v[142:143], v[142:143], v[144:145]
	v_fma_f64 v[144:145], -v[136:137], v[142:143], 1.0
	v_fmac_f64_e32 v[142:143], v[142:143], v[144:145]
	v_div_scale_f64 v[144:145], vcc, 1.0, v[138:139], 1.0
	v_mul_f64 v[146:147], v[144:145], v[142:143]
	v_fma_f64 v[136:137], -v[136:137], v[146:147], v[144:145]
	s_nop 1
	v_div_fmas_f64 v[136:137], v[136:137], v[142:143], v[146:147]
	v_div_fixup_f64 v[142:143], v[136:137], v[138:139], 1.0
	v_mul_f64 v[140:141], v[140:141], v[142:143]
	v_xor_b32_e32 v143, 0x80000000, v143
                                        ; implicit-def: $vgpr136_vgpr137
.LBB45_104:
	s_andn2_saveexec_b64 s[2:3], s[2:3]
	s_cbranch_execz .LBB45_106
; %bb.105:
	v_div_scale_f64 v[140:141], s[10:11], v[136:137], v[136:137], v[138:139]
	v_rcp_f64_e32 v[142:143], v[140:141]
	v_div_scale_f64 v[144:145], vcc, v[138:139], v[136:137], v[138:139]
	v_fma_f64 v[146:147], -v[140:141], v[142:143], 1.0
	v_fmac_f64_e32 v[142:143], v[142:143], v[146:147]
	v_fma_f64 v[146:147], -v[140:141], v[142:143], 1.0
	v_fmac_f64_e32 v[142:143], v[142:143], v[146:147]
	v_mul_f64 v[146:147], v[144:145], v[142:143]
	v_fma_f64 v[140:141], -v[140:141], v[146:147], v[144:145]
	v_div_fmas_f64 v[140:141], v[140:141], v[142:143], v[146:147]
	v_div_fixup_f64 v[142:143], v[140:141], v[136:137], v[138:139]
	v_fmac_f64_e32 v[136:137], v[138:139], v[142:143]
	v_div_scale_f64 v[138:139], s[10:11], v[136:137], v[136:137], 1.0
	v_rcp_f64_e32 v[140:141], v[138:139]
	s_nop 0
	v_fma_f64 v[144:145], -v[138:139], v[140:141], 1.0
	v_fmac_f64_e32 v[140:141], v[140:141], v[144:145]
	v_fma_f64 v[144:145], -v[138:139], v[140:141], 1.0
	v_fmac_f64_e32 v[140:141], v[140:141], v[144:145]
	v_div_scale_f64 v[144:145], vcc, 1.0, v[136:137], 1.0
	v_mul_f64 v[146:147], v[144:145], v[140:141]
	v_fma_f64 v[138:139], -v[138:139], v[146:147], v[144:145]
	s_nop 1
	v_div_fmas_f64 v[138:139], v[138:139], v[140:141], v[146:147]
	v_div_fixup_f64 v[140:141], v[138:139], v[136:137], 1.0
	v_mul_f64 v[142:143], v[142:143], -v[140:141]
.LBB45_106:
	s_or_b64 exec, exec, s[2:3]
	ds_write2_b64 v233, v[140:141], v[142:143] offset1:1
.LBB45_107:
	s_or_b64 exec, exec, s[4:5]
	s_waitcnt lgkmcnt(0)
	s_barrier
	ds_read2_b64 v[136:139], v233 offset1:1
	v_cmp_lt_u32_e32 vcc, 11, v232
	s_and_saveexec_b64 s[2:3], vcc
	s_cbranch_execz .LBB45_109
; %bb.108:
	ds_read2_b64 v[140:143], v234 offset0:24 offset1:25
	ds_read2_b64 v[144:147], v234 offset0:26 offset1:27
	s_waitcnt vmcnt(11) lgkmcnt(2)
	v_mul_f64 v[148:149], v[136:137], v[50:51]
	v_fmac_f64_e32 v[148:149], v[138:139], v[48:49]
	v_mul_f64 v[50:51], v[138:139], v[50:51]
	v_fma_f64 v[48:49], v[136:137], v[48:49], -v[50:51]
	s_waitcnt lgkmcnt(1)
	v_mul_f64 v[50:51], v[142:143], v[148:149]
	v_fma_f64 v[50:51], v[140:141], v[48:49], -v[50:51]
	v_mul_f64 v[140:141], v[140:141], v[148:149]
	v_fmac_f64_e32 v[140:141], v[142:143], v[48:49]
	s_waitcnt vmcnt(10)
	v_add_f64 v[46:47], v[46:47], -v[140:141]
	ds_read2_b64 v[140:143], v234 offset0:28 offset1:29
	v_add_f64 v[44:45], v[44:45], -v[50:51]
	s_waitcnt lgkmcnt(1)
	v_mul_f64 v[50:51], v[146:147], v[148:149]
	v_fma_f64 v[50:51], v[144:145], v[48:49], -v[50:51]
	v_mul_f64 v[144:145], v[144:145], v[148:149]
	v_fmac_f64_e32 v[144:145], v[146:147], v[48:49]
	s_waitcnt vmcnt(9)
	v_add_f64 v[40:41], v[40:41], -v[50:51]
	v_add_f64 v[42:43], v[42:43], -v[144:145]
	ds_read2_b64 v[144:147], v234 offset0:30 offset1:31
	s_waitcnt lgkmcnt(1)
	v_mul_f64 v[50:51], v[142:143], v[148:149]
	v_fma_f64 v[50:51], v[140:141], v[48:49], -v[50:51]
	v_mul_f64 v[140:141], v[140:141], v[148:149]
	v_fmac_f64_e32 v[140:141], v[142:143], v[48:49]
	s_waitcnt vmcnt(8)
	v_add_f64 v[38:39], v[38:39], -v[140:141]
	ds_read2_b64 v[140:143], v234 offset0:32 offset1:33
	v_add_f64 v[36:37], v[36:37], -v[50:51]
	s_waitcnt lgkmcnt(1)
	v_mul_f64 v[50:51], v[146:147], v[148:149]
	v_fma_f64 v[50:51], v[144:145], v[48:49], -v[50:51]
	v_mul_f64 v[144:145], v[144:145], v[148:149]
	v_fmac_f64_e32 v[144:145], v[146:147], v[48:49]
	s_waitcnt vmcnt(7)
	v_add_f64 v[32:33], v[32:33], -v[50:51]
	v_add_f64 v[34:35], v[34:35], -v[144:145]
	ds_read2_b64 v[144:147], v234 offset0:34 offset1:35
	;; [unrolled: 18-line block ×4, first 2 shown]
	s_waitcnt lgkmcnt(1)
	v_mul_f64 v[50:51], v[142:143], v[148:149]
	v_fma_f64 v[50:51], v[140:141], v[48:49], -v[50:51]
	v_mul_f64 v[140:141], v[140:141], v[148:149]
	v_fmac_f64_e32 v[140:141], v[142:143], v[48:49]
	s_waitcnt vmcnt(2)
	v_add_f64 v[14:15], v[14:15], -v[140:141]
	ds_read2_b64 v[140:143], v234 offset0:44 offset1:45
	v_add_f64 v[12:13], v[12:13], -v[50:51]
	s_waitcnt lgkmcnt(1)
	v_mul_f64 v[50:51], v[146:147], v[148:149]
	v_fma_f64 v[50:51], v[144:145], v[48:49], -v[50:51]
	s_waitcnt vmcnt(1)
	v_add_f64 v[8:9], v[8:9], -v[50:51]
	s_waitcnt lgkmcnt(0)
	v_mul_f64 v[50:51], v[142:143], v[148:149]
	v_mul_f64 v[144:145], v[144:145], v[148:149]
	v_fma_f64 v[50:51], v[140:141], v[48:49], -v[50:51]
	v_mul_f64 v[140:141], v[140:141], v[148:149]
	v_fmac_f64_e32 v[144:145], v[146:147], v[48:49]
	v_fmac_f64_e32 v[140:141], v[142:143], v[48:49]
	v_add_f64 v[10:11], v[10:11], -v[144:145]
	s_waitcnt vmcnt(0)
	v_add_f64 v[88:89], v[88:89], -v[50:51]
	v_add_f64 v[90:91], v[90:91], -v[140:141]
	v_mov_b64_e32 v[50:51], v[148:149]
.LBB45_109:
	s_or_b64 exec, exec, s[2:3]
	v_cmp_eq_u32_e32 vcc, 12, v232
	s_waitcnt lgkmcnt(0)
	s_barrier
	s_and_saveexec_b64 s[4:5], vcc
	s_cbranch_execz .LBB45_116
; %bb.110:
	s_waitcnt vmcnt(10)
	ds_write2_b64 v233, v[44:45], v[46:47] offset1:1
	s_waitcnt vmcnt(9)
	ds_write2_b64 v234, v[40:41], v[42:43] offset0:26 offset1:27
	s_waitcnt vmcnt(8)
	ds_write2_b64 v234, v[36:37], v[38:39] offset0:28 offset1:29
	;; [unrolled: 2-line block ×10, first 2 shown]
	ds_read2_b64 v[140:143], v233 offset1:1
	s_waitcnt lgkmcnt(0)
	v_cmp_neq_f64_e32 vcc, 0, v[140:141]
	v_cmp_neq_f64_e64 s[2:3], 0, v[142:143]
	s_or_b64 s[2:3], vcc, s[2:3]
	s_and_b64 exec, exec, s[2:3]
	s_cbranch_execz .LBB45_116
; %bb.111:
	v_cmp_ngt_f64_e64 s[2:3], |v[140:141]|, |v[142:143]|
                                        ; implicit-def: $vgpr144_vgpr145
	s_and_saveexec_b64 s[10:11], s[2:3]
	s_xor_b64 s[2:3], exec, s[10:11]
                                        ; implicit-def: $vgpr146_vgpr147
	s_cbranch_execz .LBB45_113
; %bb.112:
	v_div_scale_f64 v[144:145], s[10:11], v[142:143], v[142:143], v[140:141]
	v_rcp_f64_e32 v[146:147], v[144:145]
	v_div_scale_f64 v[148:149], vcc, v[140:141], v[142:143], v[140:141]
	v_fma_f64 v[150:151], -v[144:145], v[146:147], 1.0
	v_fmac_f64_e32 v[146:147], v[146:147], v[150:151]
	v_fma_f64 v[150:151], -v[144:145], v[146:147], 1.0
	v_fmac_f64_e32 v[146:147], v[146:147], v[150:151]
	v_mul_f64 v[150:151], v[148:149], v[146:147]
	v_fma_f64 v[144:145], -v[144:145], v[150:151], v[148:149]
	v_div_fmas_f64 v[144:145], v[144:145], v[146:147], v[150:151]
	v_div_fixup_f64 v[144:145], v[144:145], v[142:143], v[140:141]
	v_fmac_f64_e32 v[142:143], v[140:141], v[144:145]
	v_div_scale_f64 v[140:141], s[10:11], v[142:143], v[142:143], 1.0
	v_rcp_f64_e32 v[146:147], v[140:141]
	s_nop 0
	v_fma_f64 v[148:149], -v[140:141], v[146:147], 1.0
	v_fmac_f64_e32 v[146:147], v[146:147], v[148:149]
	v_fma_f64 v[148:149], -v[140:141], v[146:147], 1.0
	v_fmac_f64_e32 v[146:147], v[146:147], v[148:149]
	v_div_scale_f64 v[148:149], vcc, 1.0, v[142:143], 1.0
	v_mul_f64 v[150:151], v[148:149], v[146:147]
	v_fma_f64 v[140:141], -v[140:141], v[150:151], v[148:149]
	s_nop 1
	v_div_fmas_f64 v[140:141], v[140:141], v[146:147], v[150:151]
	v_div_fixup_f64 v[146:147], v[140:141], v[142:143], 1.0
	v_mul_f64 v[144:145], v[144:145], v[146:147]
	v_xor_b32_e32 v147, 0x80000000, v147
                                        ; implicit-def: $vgpr140_vgpr141
.LBB45_113:
	s_andn2_saveexec_b64 s[2:3], s[2:3]
	s_cbranch_execz .LBB45_115
; %bb.114:
	v_div_scale_f64 v[144:145], s[10:11], v[140:141], v[140:141], v[142:143]
	v_rcp_f64_e32 v[146:147], v[144:145]
	v_div_scale_f64 v[148:149], vcc, v[142:143], v[140:141], v[142:143]
	v_fma_f64 v[150:151], -v[144:145], v[146:147], 1.0
	v_fmac_f64_e32 v[146:147], v[146:147], v[150:151]
	v_fma_f64 v[150:151], -v[144:145], v[146:147], 1.0
	v_fmac_f64_e32 v[146:147], v[146:147], v[150:151]
	v_mul_f64 v[150:151], v[148:149], v[146:147]
	v_fma_f64 v[144:145], -v[144:145], v[150:151], v[148:149]
	v_div_fmas_f64 v[144:145], v[144:145], v[146:147], v[150:151]
	v_div_fixup_f64 v[146:147], v[144:145], v[140:141], v[142:143]
	v_fmac_f64_e32 v[140:141], v[142:143], v[146:147]
	v_div_scale_f64 v[142:143], s[10:11], v[140:141], v[140:141], 1.0
	v_rcp_f64_e32 v[144:145], v[142:143]
	s_nop 0
	v_fma_f64 v[148:149], -v[142:143], v[144:145], 1.0
	v_fmac_f64_e32 v[144:145], v[144:145], v[148:149]
	v_fma_f64 v[148:149], -v[142:143], v[144:145], 1.0
	v_fmac_f64_e32 v[144:145], v[144:145], v[148:149]
	v_div_scale_f64 v[148:149], vcc, 1.0, v[140:141], 1.0
	v_mul_f64 v[150:151], v[148:149], v[144:145]
	v_fma_f64 v[142:143], -v[142:143], v[150:151], v[148:149]
	s_nop 1
	v_div_fmas_f64 v[142:143], v[142:143], v[144:145], v[150:151]
	v_div_fixup_f64 v[144:145], v[142:143], v[140:141], 1.0
	v_mul_f64 v[146:147], v[146:147], -v[144:145]
.LBB45_115:
	s_or_b64 exec, exec, s[2:3]
	ds_write2_b64 v233, v[144:145], v[146:147] offset1:1
.LBB45_116:
	s_or_b64 exec, exec, s[4:5]
	s_waitcnt lgkmcnt(0)
	s_barrier
	ds_read2_b64 v[140:143], v233 offset1:1
	v_cmp_lt_u32_e32 vcc, 12, v232
	s_and_saveexec_b64 s[2:3], vcc
	s_cbranch_execz .LBB45_118
; %bb.117:
	ds_read2_b64 v[144:147], v234 offset0:26 offset1:27
	ds_read2_b64 v[148:151], v234 offset0:28 offset1:29
	s_waitcnt vmcnt(10) lgkmcnt(2)
	v_mul_f64 v[152:153], v[140:141], v[46:47]
	v_fmac_f64_e32 v[152:153], v[142:143], v[44:45]
	v_mul_f64 v[46:47], v[142:143], v[46:47]
	v_fma_f64 v[44:45], v[140:141], v[44:45], -v[46:47]
	s_waitcnt lgkmcnt(1)
	v_mul_f64 v[46:47], v[146:147], v[152:153]
	v_fma_f64 v[46:47], v[144:145], v[44:45], -v[46:47]
	v_mul_f64 v[144:145], v[144:145], v[152:153]
	v_fmac_f64_e32 v[144:145], v[146:147], v[44:45]
	s_waitcnt vmcnt(9)
	v_add_f64 v[40:41], v[40:41], -v[46:47]
	v_add_f64 v[42:43], v[42:43], -v[144:145]
	s_waitcnt lgkmcnt(0)
	v_mul_f64 v[46:47], v[150:151], v[152:153]
	ds_read2_b64 v[144:147], v234 offset0:30 offset1:31
	v_fma_f64 v[46:47], v[148:149], v[44:45], -v[46:47]
	v_mul_f64 v[148:149], v[148:149], v[152:153]
	v_fmac_f64_e32 v[148:149], v[150:151], v[44:45]
	s_waitcnt vmcnt(8)
	v_add_f64 v[38:39], v[38:39], -v[148:149]
	ds_read2_b64 v[148:151], v234 offset0:32 offset1:33
	v_add_f64 v[36:37], v[36:37], -v[46:47]
	s_waitcnt lgkmcnt(1)
	v_mul_f64 v[46:47], v[146:147], v[152:153]
	v_fma_f64 v[46:47], v[144:145], v[44:45], -v[46:47]
	v_mul_f64 v[144:145], v[144:145], v[152:153]
	v_fmac_f64_e32 v[144:145], v[146:147], v[44:45]
	s_waitcnt vmcnt(7)
	v_add_f64 v[32:33], v[32:33], -v[46:47]
	v_add_f64 v[34:35], v[34:35], -v[144:145]
	s_waitcnt lgkmcnt(0)
	v_mul_f64 v[46:47], v[150:151], v[152:153]
	ds_read2_b64 v[144:147], v234 offset0:34 offset1:35
	v_fma_f64 v[46:47], v[148:149], v[44:45], -v[46:47]
	v_mul_f64 v[148:149], v[148:149], v[152:153]
	v_fmac_f64_e32 v[148:149], v[150:151], v[44:45]
	s_waitcnt vmcnt(6)
	v_add_f64 v[30:31], v[30:31], -v[148:149]
	ds_read2_b64 v[148:151], v234 offset0:36 offset1:37
	v_add_f64 v[28:29], v[28:29], -v[46:47]
	;; [unrolled: 18-line block ×4, first 2 shown]
	s_waitcnt lgkmcnt(1)
	v_mul_f64 v[46:47], v[146:147], v[152:153]
	v_fma_f64 v[46:47], v[144:145], v[44:45], -v[46:47]
	v_mul_f64 v[144:145], v[144:145], v[152:153]
	v_fmac_f64_e32 v[144:145], v[146:147], v[44:45]
	s_waitcnt vmcnt(1)
	v_add_f64 v[8:9], v[8:9], -v[46:47]
	v_add_f64 v[10:11], v[10:11], -v[144:145]
	s_waitcnt lgkmcnt(0)
	v_mul_f64 v[46:47], v[150:151], v[152:153]
	v_mul_f64 v[144:145], v[148:149], v[152:153]
	v_fma_f64 v[46:47], v[148:149], v[44:45], -v[46:47]
	v_fmac_f64_e32 v[144:145], v[150:151], v[44:45]
	s_waitcnt vmcnt(0)
	v_add_f64 v[88:89], v[88:89], -v[46:47]
	v_add_f64 v[90:91], v[90:91], -v[144:145]
	v_mov_b64_e32 v[46:47], v[152:153]
.LBB45_118:
	s_or_b64 exec, exec, s[2:3]
	v_cmp_eq_u32_e32 vcc, 13, v232
	s_waitcnt lgkmcnt(0)
	s_barrier
	s_and_saveexec_b64 s[4:5], vcc
	s_cbranch_execz .LBB45_125
; %bb.119:
	s_waitcnt vmcnt(9)
	ds_write2_b64 v233, v[40:41], v[42:43] offset1:1
	s_waitcnt vmcnt(8)
	ds_write2_b64 v234, v[36:37], v[38:39] offset0:28 offset1:29
	s_waitcnt vmcnt(7)
	ds_write2_b64 v234, v[32:33], v[34:35] offset0:30 offset1:31
	s_waitcnt vmcnt(6)
	ds_write2_b64 v234, v[28:29], v[30:31] offset0:32 offset1:33
	s_waitcnt vmcnt(5)
	ds_write2_b64 v234, v[24:25], v[26:27] offset0:34 offset1:35
	s_waitcnt vmcnt(4)
	ds_write2_b64 v234, v[20:21], v[22:23] offset0:36 offset1:37
	s_waitcnt vmcnt(3)
	ds_write2_b64 v234, v[16:17], v[18:19] offset0:38 offset1:39
	s_waitcnt vmcnt(2)
	ds_write2_b64 v234, v[12:13], v[14:15] offset0:40 offset1:41
	s_waitcnt vmcnt(1)
	ds_write2_b64 v234, v[8:9], v[10:11] offset0:42 offset1:43
	s_waitcnt vmcnt(0)
	ds_write2_b64 v234, v[88:89], v[90:91] offset0:44 offset1:45
	ds_read2_b64 v[144:147], v233 offset1:1
	s_waitcnt lgkmcnt(0)
	v_cmp_neq_f64_e32 vcc, 0, v[144:145]
	v_cmp_neq_f64_e64 s[2:3], 0, v[146:147]
	s_or_b64 s[2:3], vcc, s[2:3]
	s_and_b64 exec, exec, s[2:3]
	s_cbranch_execz .LBB45_125
; %bb.120:
	v_cmp_ngt_f64_e64 s[2:3], |v[144:145]|, |v[146:147]|
                                        ; implicit-def: $vgpr148_vgpr149
	s_and_saveexec_b64 s[10:11], s[2:3]
	s_xor_b64 s[2:3], exec, s[10:11]
                                        ; implicit-def: $vgpr150_vgpr151
	s_cbranch_execz .LBB45_122
; %bb.121:
	v_div_scale_f64 v[148:149], s[10:11], v[146:147], v[146:147], v[144:145]
	v_rcp_f64_e32 v[150:151], v[148:149]
	v_div_scale_f64 v[152:153], vcc, v[144:145], v[146:147], v[144:145]
	v_fma_f64 v[154:155], -v[148:149], v[150:151], 1.0
	v_fmac_f64_e32 v[150:151], v[150:151], v[154:155]
	v_fma_f64 v[154:155], -v[148:149], v[150:151], 1.0
	v_fmac_f64_e32 v[150:151], v[150:151], v[154:155]
	v_mul_f64 v[154:155], v[152:153], v[150:151]
	v_fma_f64 v[148:149], -v[148:149], v[154:155], v[152:153]
	v_div_fmas_f64 v[148:149], v[148:149], v[150:151], v[154:155]
	v_div_fixup_f64 v[148:149], v[148:149], v[146:147], v[144:145]
	v_fmac_f64_e32 v[146:147], v[144:145], v[148:149]
	v_div_scale_f64 v[144:145], s[10:11], v[146:147], v[146:147], 1.0
	v_rcp_f64_e32 v[150:151], v[144:145]
	s_nop 0
	v_fma_f64 v[152:153], -v[144:145], v[150:151], 1.0
	v_fmac_f64_e32 v[150:151], v[150:151], v[152:153]
	v_fma_f64 v[152:153], -v[144:145], v[150:151], 1.0
	v_fmac_f64_e32 v[150:151], v[150:151], v[152:153]
	v_div_scale_f64 v[152:153], vcc, 1.0, v[146:147], 1.0
	v_mul_f64 v[154:155], v[152:153], v[150:151]
	v_fma_f64 v[144:145], -v[144:145], v[154:155], v[152:153]
	s_nop 1
	v_div_fmas_f64 v[144:145], v[144:145], v[150:151], v[154:155]
	v_div_fixup_f64 v[150:151], v[144:145], v[146:147], 1.0
	v_mul_f64 v[148:149], v[148:149], v[150:151]
	v_xor_b32_e32 v151, 0x80000000, v151
                                        ; implicit-def: $vgpr144_vgpr145
.LBB45_122:
	s_andn2_saveexec_b64 s[2:3], s[2:3]
	s_cbranch_execz .LBB45_124
; %bb.123:
	v_div_scale_f64 v[148:149], s[10:11], v[144:145], v[144:145], v[146:147]
	v_rcp_f64_e32 v[150:151], v[148:149]
	v_div_scale_f64 v[152:153], vcc, v[146:147], v[144:145], v[146:147]
	v_fma_f64 v[154:155], -v[148:149], v[150:151], 1.0
	v_fmac_f64_e32 v[150:151], v[150:151], v[154:155]
	v_fma_f64 v[154:155], -v[148:149], v[150:151], 1.0
	v_fmac_f64_e32 v[150:151], v[150:151], v[154:155]
	v_mul_f64 v[154:155], v[152:153], v[150:151]
	v_fma_f64 v[148:149], -v[148:149], v[154:155], v[152:153]
	v_div_fmas_f64 v[148:149], v[148:149], v[150:151], v[154:155]
	v_div_fixup_f64 v[150:151], v[148:149], v[144:145], v[146:147]
	v_fmac_f64_e32 v[144:145], v[146:147], v[150:151]
	v_div_scale_f64 v[146:147], s[10:11], v[144:145], v[144:145], 1.0
	v_rcp_f64_e32 v[148:149], v[146:147]
	s_nop 0
	v_fma_f64 v[152:153], -v[146:147], v[148:149], 1.0
	v_fmac_f64_e32 v[148:149], v[148:149], v[152:153]
	v_fma_f64 v[152:153], -v[146:147], v[148:149], 1.0
	v_fmac_f64_e32 v[148:149], v[148:149], v[152:153]
	v_div_scale_f64 v[152:153], vcc, 1.0, v[144:145], 1.0
	v_mul_f64 v[154:155], v[152:153], v[148:149]
	v_fma_f64 v[146:147], -v[146:147], v[154:155], v[152:153]
	s_nop 1
	v_div_fmas_f64 v[146:147], v[146:147], v[148:149], v[154:155]
	v_div_fixup_f64 v[148:149], v[146:147], v[144:145], 1.0
	v_mul_f64 v[150:151], v[150:151], -v[148:149]
.LBB45_124:
	s_or_b64 exec, exec, s[2:3]
	ds_write2_b64 v233, v[148:149], v[150:151] offset1:1
.LBB45_125:
	s_or_b64 exec, exec, s[4:5]
	s_waitcnt lgkmcnt(0)
	s_barrier
	ds_read2_b64 v[144:147], v233 offset1:1
	v_cmp_lt_u32_e32 vcc, 13, v232
	s_and_saveexec_b64 s[2:3], vcc
	s_cbranch_execz .LBB45_127
; %bb.126:
	ds_read2_b64 v[148:151], v234 offset0:28 offset1:29
	ds_read2_b64 v[152:155], v234 offset0:30 offset1:31
	s_waitcnt vmcnt(9) lgkmcnt(2)
	v_mul_f64 v[156:157], v[144:145], v[42:43]
	v_fmac_f64_e32 v[156:157], v[146:147], v[40:41]
	v_mul_f64 v[42:43], v[146:147], v[42:43]
	v_fma_f64 v[40:41], v[144:145], v[40:41], -v[42:43]
	s_waitcnt lgkmcnt(1)
	v_mul_f64 v[42:43], v[150:151], v[156:157]
	v_fma_f64 v[42:43], v[148:149], v[40:41], -v[42:43]
	v_mul_f64 v[148:149], v[148:149], v[156:157]
	v_fmac_f64_e32 v[148:149], v[150:151], v[40:41]
	s_waitcnt vmcnt(8)
	v_add_f64 v[38:39], v[38:39], -v[148:149]
	ds_read2_b64 v[148:151], v234 offset0:32 offset1:33
	v_add_f64 v[36:37], v[36:37], -v[42:43]
	s_waitcnt lgkmcnt(1)
	v_mul_f64 v[42:43], v[154:155], v[156:157]
	v_fma_f64 v[42:43], v[152:153], v[40:41], -v[42:43]
	v_mul_f64 v[152:153], v[152:153], v[156:157]
	v_fmac_f64_e32 v[152:153], v[154:155], v[40:41]
	s_waitcnt vmcnt(7)
	v_add_f64 v[32:33], v[32:33], -v[42:43]
	v_add_f64 v[34:35], v[34:35], -v[152:153]
	ds_read2_b64 v[152:155], v234 offset0:34 offset1:35
	s_waitcnt lgkmcnt(1)
	v_mul_f64 v[42:43], v[150:151], v[156:157]
	v_fma_f64 v[42:43], v[148:149], v[40:41], -v[42:43]
	v_mul_f64 v[148:149], v[148:149], v[156:157]
	v_fmac_f64_e32 v[148:149], v[150:151], v[40:41]
	s_waitcnt vmcnt(6)
	v_add_f64 v[30:31], v[30:31], -v[148:149]
	ds_read2_b64 v[148:151], v234 offset0:36 offset1:37
	v_add_f64 v[28:29], v[28:29], -v[42:43]
	s_waitcnt lgkmcnt(1)
	v_mul_f64 v[42:43], v[154:155], v[156:157]
	v_fma_f64 v[42:43], v[152:153], v[40:41], -v[42:43]
	v_mul_f64 v[152:153], v[152:153], v[156:157]
	v_fmac_f64_e32 v[152:153], v[154:155], v[40:41]
	s_waitcnt vmcnt(5)
	v_add_f64 v[24:25], v[24:25], -v[42:43]
	v_add_f64 v[26:27], v[26:27], -v[152:153]
	ds_read2_b64 v[152:155], v234 offset0:38 offset1:39
	;; [unrolled: 18-line block ×3, first 2 shown]
	s_waitcnt lgkmcnt(1)
	v_mul_f64 v[42:43], v[150:151], v[156:157]
	v_fma_f64 v[42:43], v[148:149], v[40:41], -v[42:43]
	v_mul_f64 v[148:149], v[148:149], v[156:157]
	v_fmac_f64_e32 v[148:149], v[150:151], v[40:41]
	s_waitcnt vmcnt(2)
	v_add_f64 v[14:15], v[14:15], -v[148:149]
	ds_read2_b64 v[148:151], v234 offset0:44 offset1:45
	v_add_f64 v[12:13], v[12:13], -v[42:43]
	s_waitcnt lgkmcnt(1)
	v_mul_f64 v[42:43], v[154:155], v[156:157]
	v_fma_f64 v[42:43], v[152:153], v[40:41], -v[42:43]
	s_waitcnt vmcnt(1)
	v_add_f64 v[8:9], v[8:9], -v[42:43]
	s_waitcnt lgkmcnt(0)
	v_mul_f64 v[42:43], v[150:151], v[156:157]
	v_mul_f64 v[152:153], v[152:153], v[156:157]
	v_fma_f64 v[42:43], v[148:149], v[40:41], -v[42:43]
	v_mul_f64 v[148:149], v[148:149], v[156:157]
	v_fmac_f64_e32 v[152:153], v[154:155], v[40:41]
	v_fmac_f64_e32 v[148:149], v[150:151], v[40:41]
	v_add_f64 v[10:11], v[10:11], -v[152:153]
	s_waitcnt vmcnt(0)
	v_add_f64 v[88:89], v[88:89], -v[42:43]
	v_add_f64 v[90:91], v[90:91], -v[148:149]
	v_mov_b64_e32 v[42:43], v[156:157]
.LBB45_127:
	s_or_b64 exec, exec, s[2:3]
	v_cmp_eq_u32_e32 vcc, 14, v232
	s_waitcnt lgkmcnt(0)
	s_barrier
	s_and_saveexec_b64 s[4:5], vcc
	s_cbranch_execz .LBB45_134
; %bb.128:
	s_waitcnt vmcnt(8)
	ds_write2_b64 v233, v[36:37], v[38:39] offset1:1
	s_waitcnt vmcnt(7)
	ds_write2_b64 v234, v[32:33], v[34:35] offset0:30 offset1:31
	s_waitcnt vmcnt(6)
	ds_write2_b64 v234, v[28:29], v[30:31] offset0:32 offset1:33
	s_waitcnt vmcnt(5)
	ds_write2_b64 v234, v[24:25], v[26:27] offset0:34 offset1:35
	s_waitcnt vmcnt(4)
	ds_write2_b64 v234, v[20:21], v[22:23] offset0:36 offset1:37
	s_waitcnt vmcnt(3)
	ds_write2_b64 v234, v[16:17], v[18:19] offset0:38 offset1:39
	s_waitcnt vmcnt(2)
	ds_write2_b64 v234, v[12:13], v[14:15] offset0:40 offset1:41
	s_waitcnt vmcnt(1)
	ds_write2_b64 v234, v[8:9], v[10:11] offset0:42 offset1:43
	s_waitcnt vmcnt(0)
	ds_write2_b64 v234, v[88:89], v[90:91] offset0:44 offset1:45
	ds_read2_b64 v[148:151], v233 offset1:1
	s_waitcnt lgkmcnt(0)
	v_cmp_neq_f64_e32 vcc, 0, v[148:149]
	v_cmp_neq_f64_e64 s[2:3], 0, v[150:151]
	s_or_b64 s[2:3], vcc, s[2:3]
	s_and_b64 exec, exec, s[2:3]
	s_cbranch_execz .LBB45_134
; %bb.129:
	v_cmp_ngt_f64_e64 s[2:3], |v[148:149]|, |v[150:151]|
                                        ; implicit-def: $vgpr152_vgpr153
	s_and_saveexec_b64 s[10:11], s[2:3]
	s_xor_b64 s[2:3], exec, s[10:11]
                                        ; implicit-def: $vgpr154_vgpr155
	s_cbranch_execz .LBB45_131
; %bb.130:
	v_div_scale_f64 v[152:153], s[10:11], v[150:151], v[150:151], v[148:149]
	v_rcp_f64_e32 v[154:155], v[152:153]
	v_div_scale_f64 v[156:157], vcc, v[148:149], v[150:151], v[148:149]
	v_fma_f64 v[158:159], -v[152:153], v[154:155], 1.0
	v_fmac_f64_e32 v[154:155], v[154:155], v[158:159]
	v_fma_f64 v[158:159], -v[152:153], v[154:155], 1.0
	v_fmac_f64_e32 v[154:155], v[154:155], v[158:159]
	v_mul_f64 v[158:159], v[156:157], v[154:155]
	v_fma_f64 v[152:153], -v[152:153], v[158:159], v[156:157]
	v_div_fmas_f64 v[152:153], v[152:153], v[154:155], v[158:159]
	v_div_fixup_f64 v[152:153], v[152:153], v[150:151], v[148:149]
	v_fmac_f64_e32 v[150:151], v[148:149], v[152:153]
	v_div_scale_f64 v[148:149], s[10:11], v[150:151], v[150:151], 1.0
	v_rcp_f64_e32 v[154:155], v[148:149]
	s_nop 0
	v_fma_f64 v[156:157], -v[148:149], v[154:155], 1.0
	v_fmac_f64_e32 v[154:155], v[154:155], v[156:157]
	v_fma_f64 v[156:157], -v[148:149], v[154:155], 1.0
	v_fmac_f64_e32 v[154:155], v[154:155], v[156:157]
	v_div_scale_f64 v[156:157], vcc, 1.0, v[150:151], 1.0
	v_mul_f64 v[158:159], v[156:157], v[154:155]
	v_fma_f64 v[148:149], -v[148:149], v[158:159], v[156:157]
	s_nop 1
	v_div_fmas_f64 v[148:149], v[148:149], v[154:155], v[158:159]
	v_div_fixup_f64 v[154:155], v[148:149], v[150:151], 1.0
	v_mul_f64 v[152:153], v[152:153], v[154:155]
	v_xor_b32_e32 v155, 0x80000000, v155
                                        ; implicit-def: $vgpr148_vgpr149
.LBB45_131:
	s_andn2_saveexec_b64 s[2:3], s[2:3]
	s_cbranch_execz .LBB45_133
; %bb.132:
	v_div_scale_f64 v[152:153], s[10:11], v[148:149], v[148:149], v[150:151]
	v_rcp_f64_e32 v[154:155], v[152:153]
	v_div_scale_f64 v[156:157], vcc, v[150:151], v[148:149], v[150:151]
	v_fma_f64 v[158:159], -v[152:153], v[154:155], 1.0
	v_fmac_f64_e32 v[154:155], v[154:155], v[158:159]
	v_fma_f64 v[158:159], -v[152:153], v[154:155], 1.0
	v_fmac_f64_e32 v[154:155], v[154:155], v[158:159]
	v_mul_f64 v[158:159], v[156:157], v[154:155]
	v_fma_f64 v[152:153], -v[152:153], v[158:159], v[156:157]
	v_div_fmas_f64 v[152:153], v[152:153], v[154:155], v[158:159]
	v_div_fixup_f64 v[154:155], v[152:153], v[148:149], v[150:151]
	v_fmac_f64_e32 v[148:149], v[150:151], v[154:155]
	v_div_scale_f64 v[150:151], s[10:11], v[148:149], v[148:149], 1.0
	v_rcp_f64_e32 v[152:153], v[150:151]
	s_nop 0
	v_fma_f64 v[156:157], -v[150:151], v[152:153], 1.0
	v_fmac_f64_e32 v[152:153], v[152:153], v[156:157]
	v_fma_f64 v[156:157], -v[150:151], v[152:153], 1.0
	v_fmac_f64_e32 v[152:153], v[152:153], v[156:157]
	v_div_scale_f64 v[156:157], vcc, 1.0, v[148:149], 1.0
	v_mul_f64 v[158:159], v[156:157], v[152:153]
	v_fma_f64 v[150:151], -v[150:151], v[158:159], v[156:157]
	s_nop 1
	v_div_fmas_f64 v[150:151], v[150:151], v[152:153], v[158:159]
	v_div_fixup_f64 v[152:153], v[150:151], v[148:149], 1.0
	v_mul_f64 v[154:155], v[154:155], -v[152:153]
.LBB45_133:
	s_or_b64 exec, exec, s[2:3]
	ds_write2_b64 v233, v[152:153], v[154:155] offset1:1
.LBB45_134:
	s_or_b64 exec, exec, s[4:5]
	s_waitcnt lgkmcnt(0)
	s_barrier
	ds_read2_b64 v[148:151], v233 offset1:1
	v_cmp_lt_u32_e32 vcc, 14, v232
	s_and_saveexec_b64 s[2:3], vcc
	s_cbranch_execz .LBB45_136
; %bb.135:
	ds_read2_b64 v[152:155], v234 offset0:30 offset1:31
	ds_read2_b64 v[156:159], v234 offset0:32 offset1:33
	s_waitcnt vmcnt(8) lgkmcnt(2)
	v_mul_f64 v[160:161], v[148:149], v[38:39]
	v_fmac_f64_e32 v[160:161], v[150:151], v[36:37]
	v_mul_f64 v[38:39], v[150:151], v[38:39]
	v_fma_f64 v[36:37], v[148:149], v[36:37], -v[38:39]
	s_waitcnt lgkmcnt(1)
	v_mul_f64 v[38:39], v[154:155], v[160:161]
	v_fma_f64 v[38:39], v[152:153], v[36:37], -v[38:39]
	v_mul_f64 v[152:153], v[152:153], v[160:161]
	v_fmac_f64_e32 v[152:153], v[154:155], v[36:37]
	s_waitcnt vmcnt(7)
	v_add_f64 v[32:33], v[32:33], -v[38:39]
	v_add_f64 v[34:35], v[34:35], -v[152:153]
	s_waitcnt lgkmcnt(0)
	v_mul_f64 v[38:39], v[158:159], v[160:161]
	ds_read2_b64 v[152:155], v234 offset0:34 offset1:35
	v_fma_f64 v[38:39], v[156:157], v[36:37], -v[38:39]
	v_mul_f64 v[156:157], v[156:157], v[160:161]
	v_fmac_f64_e32 v[156:157], v[158:159], v[36:37]
	s_waitcnt vmcnt(6)
	v_add_f64 v[30:31], v[30:31], -v[156:157]
	ds_read2_b64 v[156:159], v234 offset0:36 offset1:37
	v_add_f64 v[28:29], v[28:29], -v[38:39]
	s_waitcnt lgkmcnt(1)
	v_mul_f64 v[38:39], v[154:155], v[160:161]
	v_fma_f64 v[38:39], v[152:153], v[36:37], -v[38:39]
	v_mul_f64 v[152:153], v[152:153], v[160:161]
	v_fmac_f64_e32 v[152:153], v[154:155], v[36:37]
	s_waitcnt vmcnt(5)
	v_add_f64 v[24:25], v[24:25], -v[38:39]
	v_add_f64 v[26:27], v[26:27], -v[152:153]
	s_waitcnt lgkmcnt(0)
	v_mul_f64 v[38:39], v[158:159], v[160:161]
	ds_read2_b64 v[152:155], v234 offset0:38 offset1:39
	v_fma_f64 v[38:39], v[156:157], v[36:37], -v[38:39]
	v_mul_f64 v[156:157], v[156:157], v[160:161]
	v_fmac_f64_e32 v[156:157], v[158:159], v[36:37]
	s_waitcnt vmcnt(4)
	v_add_f64 v[22:23], v[22:23], -v[156:157]
	ds_read2_b64 v[156:159], v234 offset0:40 offset1:41
	v_add_f64 v[20:21], v[20:21], -v[38:39]
	;; [unrolled: 18-line block ×3, first 2 shown]
	s_waitcnt lgkmcnt(1)
	v_mul_f64 v[38:39], v[154:155], v[160:161]
	v_fma_f64 v[38:39], v[152:153], v[36:37], -v[38:39]
	v_mul_f64 v[152:153], v[152:153], v[160:161]
	v_fmac_f64_e32 v[152:153], v[154:155], v[36:37]
	s_waitcnt vmcnt(1)
	v_add_f64 v[8:9], v[8:9], -v[38:39]
	v_add_f64 v[10:11], v[10:11], -v[152:153]
	s_waitcnt lgkmcnt(0)
	v_mul_f64 v[38:39], v[158:159], v[160:161]
	v_mul_f64 v[152:153], v[156:157], v[160:161]
	v_fma_f64 v[38:39], v[156:157], v[36:37], -v[38:39]
	v_fmac_f64_e32 v[152:153], v[158:159], v[36:37]
	s_waitcnt vmcnt(0)
	v_add_f64 v[88:89], v[88:89], -v[38:39]
	v_add_f64 v[90:91], v[90:91], -v[152:153]
	v_mov_b64_e32 v[38:39], v[160:161]
.LBB45_136:
	s_or_b64 exec, exec, s[2:3]
	v_cmp_eq_u32_e32 vcc, 15, v232
	s_waitcnt lgkmcnt(0)
	s_barrier
	s_and_saveexec_b64 s[4:5], vcc
	s_cbranch_execz .LBB45_143
; %bb.137:
	s_waitcnt vmcnt(7)
	ds_write2_b64 v233, v[32:33], v[34:35] offset1:1
	s_waitcnt vmcnt(6)
	ds_write2_b64 v234, v[28:29], v[30:31] offset0:32 offset1:33
	s_waitcnt vmcnt(5)
	ds_write2_b64 v234, v[24:25], v[26:27] offset0:34 offset1:35
	;; [unrolled: 2-line block ×7, first 2 shown]
	ds_read2_b64 v[152:155], v233 offset1:1
	s_waitcnt lgkmcnt(0)
	v_cmp_neq_f64_e32 vcc, 0, v[152:153]
	v_cmp_neq_f64_e64 s[2:3], 0, v[154:155]
	s_or_b64 s[2:3], vcc, s[2:3]
	s_and_b64 exec, exec, s[2:3]
	s_cbranch_execz .LBB45_143
; %bb.138:
	v_cmp_ngt_f64_e64 s[2:3], |v[152:153]|, |v[154:155]|
                                        ; implicit-def: $vgpr156_vgpr157
	s_and_saveexec_b64 s[10:11], s[2:3]
	s_xor_b64 s[2:3], exec, s[10:11]
                                        ; implicit-def: $vgpr158_vgpr159
	s_cbranch_execz .LBB45_140
; %bb.139:
	v_div_scale_f64 v[156:157], s[10:11], v[154:155], v[154:155], v[152:153]
	v_rcp_f64_e32 v[158:159], v[156:157]
	v_div_scale_f64 v[160:161], vcc, v[152:153], v[154:155], v[152:153]
	v_fma_f64 v[162:163], -v[156:157], v[158:159], 1.0
	v_fmac_f64_e32 v[158:159], v[158:159], v[162:163]
	v_fma_f64 v[162:163], -v[156:157], v[158:159], 1.0
	v_fmac_f64_e32 v[158:159], v[158:159], v[162:163]
	v_mul_f64 v[162:163], v[160:161], v[158:159]
	v_fma_f64 v[156:157], -v[156:157], v[162:163], v[160:161]
	v_div_fmas_f64 v[156:157], v[156:157], v[158:159], v[162:163]
	v_div_fixup_f64 v[156:157], v[156:157], v[154:155], v[152:153]
	v_fmac_f64_e32 v[154:155], v[152:153], v[156:157]
	v_div_scale_f64 v[152:153], s[10:11], v[154:155], v[154:155], 1.0
	v_rcp_f64_e32 v[158:159], v[152:153]
	s_nop 0
	v_fma_f64 v[160:161], -v[152:153], v[158:159], 1.0
	v_fmac_f64_e32 v[158:159], v[158:159], v[160:161]
	v_fma_f64 v[160:161], -v[152:153], v[158:159], 1.0
	v_fmac_f64_e32 v[158:159], v[158:159], v[160:161]
	v_div_scale_f64 v[160:161], vcc, 1.0, v[154:155], 1.0
	v_mul_f64 v[162:163], v[160:161], v[158:159]
	v_fma_f64 v[152:153], -v[152:153], v[162:163], v[160:161]
	s_nop 1
	v_div_fmas_f64 v[152:153], v[152:153], v[158:159], v[162:163]
	v_div_fixup_f64 v[158:159], v[152:153], v[154:155], 1.0
	v_mul_f64 v[156:157], v[156:157], v[158:159]
	v_xor_b32_e32 v159, 0x80000000, v159
                                        ; implicit-def: $vgpr152_vgpr153
.LBB45_140:
	s_andn2_saveexec_b64 s[2:3], s[2:3]
	s_cbranch_execz .LBB45_142
; %bb.141:
	v_div_scale_f64 v[156:157], s[10:11], v[152:153], v[152:153], v[154:155]
	v_rcp_f64_e32 v[158:159], v[156:157]
	v_div_scale_f64 v[160:161], vcc, v[154:155], v[152:153], v[154:155]
	v_fma_f64 v[162:163], -v[156:157], v[158:159], 1.0
	v_fmac_f64_e32 v[158:159], v[158:159], v[162:163]
	v_fma_f64 v[162:163], -v[156:157], v[158:159], 1.0
	v_fmac_f64_e32 v[158:159], v[158:159], v[162:163]
	v_mul_f64 v[162:163], v[160:161], v[158:159]
	v_fma_f64 v[156:157], -v[156:157], v[162:163], v[160:161]
	v_div_fmas_f64 v[156:157], v[156:157], v[158:159], v[162:163]
	v_div_fixup_f64 v[158:159], v[156:157], v[152:153], v[154:155]
	v_fmac_f64_e32 v[152:153], v[154:155], v[158:159]
	v_div_scale_f64 v[154:155], s[10:11], v[152:153], v[152:153], 1.0
	v_rcp_f64_e32 v[156:157], v[154:155]
	s_nop 0
	v_fma_f64 v[160:161], -v[154:155], v[156:157], 1.0
	v_fmac_f64_e32 v[156:157], v[156:157], v[160:161]
	v_fma_f64 v[160:161], -v[154:155], v[156:157], 1.0
	v_fmac_f64_e32 v[156:157], v[156:157], v[160:161]
	v_div_scale_f64 v[160:161], vcc, 1.0, v[152:153], 1.0
	v_mul_f64 v[162:163], v[160:161], v[156:157]
	v_fma_f64 v[154:155], -v[154:155], v[162:163], v[160:161]
	s_nop 1
	v_div_fmas_f64 v[154:155], v[154:155], v[156:157], v[162:163]
	v_div_fixup_f64 v[156:157], v[154:155], v[152:153], 1.0
	v_mul_f64 v[158:159], v[158:159], -v[156:157]
.LBB45_142:
	s_or_b64 exec, exec, s[2:3]
	ds_write2_b64 v233, v[156:157], v[158:159] offset1:1
.LBB45_143:
	s_or_b64 exec, exec, s[4:5]
	s_waitcnt lgkmcnt(0)
	s_barrier
	ds_read2_b64 v[152:155], v233 offset1:1
	v_cmp_lt_u32_e32 vcc, 15, v232
	s_and_saveexec_b64 s[2:3], vcc
	s_cbranch_execz .LBB45_145
; %bb.144:
	ds_read2_b64 v[156:159], v234 offset0:32 offset1:33
	ds_read2_b64 v[160:163], v234 offset0:34 offset1:35
	s_waitcnt vmcnt(7) lgkmcnt(2)
	v_mul_f64 v[164:165], v[152:153], v[34:35]
	v_fmac_f64_e32 v[164:165], v[154:155], v[32:33]
	v_mul_f64 v[34:35], v[154:155], v[34:35]
	v_fma_f64 v[32:33], v[152:153], v[32:33], -v[34:35]
	s_waitcnt lgkmcnt(1)
	v_mul_f64 v[34:35], v[158:159], v[164:165]
	v_fma_f64 v[34:35], v[156:157], v[32:33], -v[34:35]
	v_mul_f64 v[156:157], v[156:157], v[164:165]
	v_fmac_f64_e32 v[156:157], v[158:159], v[32:33]
	s_waitcnt vmcnt(6)
	v_add_f64 v[30:31], v[30:31], -v[156:157]
	ds_read2_b64 v[156:159], v234 offset0:36 offset1:37
	v_add_f64 v[28:29], v[28:29], -v[34:35]
	s_waitcnt lgkmcnt(1)
	v_mul_f64 v[34:35], v[162:163], v[164:165]
	v_fma_f64 v[34:35], v[160:161], v[32:33], -v[34:35]
	v_mul_f64 v[160:161], v[160:161], v[164:165]
	v_fmac_f64_e32 v[160:161], v[162:163], v[32:33]
	s_waitcnt vmcnt(5)
	v_add_f64 v[24:25], v[24:25], -v[34:35]
	v_add_f64 v[26:27], v[26:27], -v[160:161]
	ds_read2_b64 v[160:163], v234 offset0:38 offset1:39
	s_waitcnt lgkmcnt(1)
	v_mul_f64 v[34:35], v[158:159], v[164:165]
	v_fma_f64 v[34:35], v[156:157], v[32:33], -v[34:35]
	v_mul_f64 v[156:157], v[156:157], v[164:165]
	v_fmac_f64_e32 v[156:157], v[158:159], v[32:33]
	s_waitcnt vmcnt(4)
	v_add_f64 v[22:23], v[22:23], -v[156:157]
	ds_read2_b64 v[156:159], v234 offset0:40 offset1:41
	v_add_f64 v[20:21], v[20:21], -v[34:35]
	s_waitcnt lgkmcnt(1)
	v_mul_f64 v[34:35], v[162:163], v[164:165]
	v_fma_f64 v[34:35], v[160:161], v[32:33], -v[34:35]
	v_mul_f64 v[160:161], v[160:161], v[164:165]
	v_fmac_f64_e32 v[160:161], v[162:163], v[32:33]
	s_waitcnt vmcnt(3)
	v_add_f64 v[16:17], v[16:17], -v[34:35]
	v_add_f64 v[18:19], v[18:19], -v[160:161]
	ds_read2_b64 v[160:163], v234 offset0:42 offset1:43
	s_waitcnt lgkmcnt(1)
	v_mul_f64 v[34:35], v[158:159], v[164:165]
	v_fma_f64 v[34:35], v[156:157], v[32:33], -v[34:35]
	v_mul_f64 v[156:157], v[156:157], v[164:165]
	v_fmac_f64_e32 v[156:157], v[158:159], v[32:33]
	s_waitcnt vmcnt(2)
	v_add_f64 v[14:15], v[14:15], -v[156:157]
	ds_read2_b64 v[156:159], v234 offset0:44 offset1:45
	v_add_f64 v[12:13], v[12:13], -v[34:35]
	s_waitcnt lgkmcnt(1)
	v_mul_f64 v[34:35], v[162:163], v[164:165]
	v_fma_f64 v[34:35], v[160:161], v[32:33], -v[34:35]
	s_waitcnt vmcnt(1)
	v_add_f64 v[8:9], v[8:9], -v[34:35]
	s_waitcnt lgkmcnt(0)
	v_mul_f64 v[34:35], v[158:159], v[164:165]
	v_mul_f64 v[160:161], v[160:161], v[164:165]
	v_fma_f64 v[34:35], v[156:157], v[32:33], -v[34:35]
	v_mul_f64 v[156:157], v[156:157], v[164:165]
	v_fmac_f64_e32 v[160:161], v[162:163], v[32:33]
	v_fmac_f64_e32 v[156:157], v[158:159], v[32:33]
	v_add_f64 v[10:11], v[10:11], -v[160:161]
	s_waitcnt vmcnt(0)
	v_add_f64 v[88:89], v[88:89], -v[34:35]
	v_add_f64 v[90:91], v[90:91], -v[156:157]
	v_mov_b64_e32 v[34:35], v[164:165]
.LBB45_145:
	s_or_b64 exec, exec, s[2:3]
	v_cmp_eq_u32_e32 vcc, 16, v232
	s_waitcnt lgkmcnt(0)
	s_barrier
	s_and_saveexec_b64 s[4:5], vcc
	s_cbranch_execz .LBB45_152
; %bb.146:
	s_waitcnt vmcnt(6)
	ds_write2_b64 v233, v[28:29], v[30:31] offset1:1
	s_waitcnt vmcnt(5)
	ds_write2_b64 v234, v[24:25], v[26:27] offset0:34 offset1:35
	s_waitcnt vmcnt(4)
	ds_write2_b64 v234, v[20:21], v[22:23] offset0:36 offset1:37
	;; [unrolled: 2-line block ×6, first 2 shown]
	ds_read2_b64 v[156:159], v233 offset1:1
	s_waitcnt lgkmcnt(0)
	v_cmp_neq_f64_e32 vcc, 0, v[156:157]
	v_cmp_neq_f64_e64 s[2:3], 0, v[158:159]
	s_or_b64 s[2:3], vcc, s[2:3]
	s_and_b64 exec, exec, s[2:3]
	s_cbranch_execz .LBB45_152
; %bb.147:
	v_cmp_ngt_f64_e64 s[2:3], |v[156:157]|, |v[158:159]|
                                        ; implicit-def: $vgpr160_vgpr161
	s_and_saveexec_b64 s[10:11], s[2:3]
	s_xor_b64 s[2:3], exec, s[10:11]
                                        ; implicit-def: $vgpr162_vgpr163
	s_cbranch_execz .LBB45_149
; %bb.148:
	v_div_scale_f64 v[160:161], s[10:11], v[158:159], v[158:159], v[156:157]
	v_rcp_f64_e32 v[162:163], v[160:161]
	v_div_scale_f64 v[164:165], vcc, v[156:157], v[158:159], v[156:157]
	v_fma_f64 v[166:167], -v[160:161], v[162:163], 1.0
	v_fmac_f64_e32 v[162:163], v[162:163], v[166:167]
	v_fma_f64 v[166:167], -v[160:161], v[162:163], 1.0
	v_fmac_f64_e32 v[162:163], v[162:163], v[166:167]
	v_mul_f64 v[166:167], v[164:165], v[162:163]
	v_fma_f64 v[160:161], -v[160:161], v[166:167], v[164:165]
	v_div_fmas_f64 v[160:161], v[160:161], v[162:163], v[166:167]
	v_div_fixup_f64 v[160:161], v[160:161], v[158:159], v[156:157]
	v_fmac_f64_e32 v[158:159], v[156:157], v[160:161]
	v_div_scale_f64 v[156:157], s[10:11], v[158:159], v[158:159], 1.0
	v_rcp_f64_e32 v[162:163], v[156:157]
	s_nop 0
	v_fma_f64 v[164:165], -v[156:157], v[162:163], 1.0
	v_fmac_f64_e32 v[162:163], v[162:163], v[164:165]
	v_fma_f64 v[164:165], -v[156:157], v[162:163], 1.0
	v_fmac_f64_e32 v[162:163], v[162:163], v[164:165]
	v_div_scale_f64 v[164:165], vcc, 1.0, v[158:159], 1.0
	v_mul_f64 v[166:167], v[164:165], v[162:163]
	v_fma_f64 v[156:157], -v[156:157], v[166:167], v[164:165]
	s_nop 1
	v_div_fmas_f64 v[156:157], v[156:157], v[162:163], v[166:167]
	v_div_fixup_f64 v[162:163], v[156:157], v[158:159], 1.0
	v_mul_f64 v[160:161], v[160:161], v[162:163]
	v_xor_b32_e32 v163, 0x80000000, v163
                                        ; implicit-def: $vgpr156_vgpr157
.LBB45_149:
	s_andn2_saveexec_b64 s[2:3], s[2:3]
	s_cbranch_execz .LBB45_151
; %bb.150:
	v_div_scale_f64 v[160:161], s[10:11], v[156:157], v[156:157], v[158:159]
	v_rcp_f64_e32 v[162:163], v[160:161]
	v_div_scale_f64 v[164:165], vcc, v[158:159], v[156:157], v[158:159]
	v_fma_f64 v[166:167], -v[160:161], v[162:163], 1.0
	v_fmac_f64_e32 v[162:163], v[162:163], v[166:167]
	v_fma_f64 v[166:167], -v[160:161], v[162:163], 1.0
	v_fmac_f64_e32 v[162:163], v[162:163], v[166:167]
	v_mul_f64 v[166:167], v[164:165], v[162:163]
	v_fma_f64 v[160:161], -v[160:161], v[166:167], v[164:165]
	v_div_fmas_f64 v[160:161], v[160:161], v[162:163], v[166:167]
	v_div_fixup_f64 v[162:163], v[160:161], v[156:157], v[158:159]
	v_fmac_f64_e32 v[156:157], v[158:159], v[162:163]
	v_div_scale_f64 v[158:159], s[10:11], v[156:157], v[156:157], 1.0
	v_rcp_f64_e32 v[160:161], v[158:159]
	s_nop 0
	v_fma_f64 v[164:165], -v[158:159], v[160:161], 1.0
	v_fmac_f64_e32 v[160:161], v[160:161], v[164:165]
	v_fma_f64 v[164:165], -v[158:159], v[160:161], 1.0
	v_fmac_f64_e32 v[160:161], v[160:161], v[164:165]
	v_div_scale_f64 v[164:165], vcc, 1.0, v[156:157], 1.0
	v_mul_f64 v[166:167], v[164:165], v[160:161]
	v_fma_f64 v[158:159], -v[158:159], v[166:167], v[164:165]
	s_nop 1
	v_div_fmas_f64 v[158:159], v[158:159], v[160:161], v[166:167]
	v_div_fixup_f64 v[160:161], v[158:159], v[156:157], 1.0
	v_mul_f64 v[162:163], v[162:163], -v[160:161]
.LBB45_151:
	s_or_b64 exec, exec, s[2:3]
	ds_write2_b64 v233, v[160:161], v[162:163] offset1:1
.LBB45_152:
	s_or_b64 exec, exec, s[4:5]
	s_waitcnt lgkmcnt(0)
	s_barrier
	ds_read2_b64 v[156:159], v233 offset1:1
	v_cmp_lt_u32_e32 vcc, 16, v232
	s_and_saveexec_b64 s[2:3], vcc
	s_cbranch_execz .LBB45_154
; %bb.153:
	ds_read2_b64 v[160:163], v234 offset0:34 offset1:35
	ds_read2_b64 v[164:167], v234 offset0:36 offset1:37
	s_waitcnt vmcnt(6) lgkmcnt(2)
	v_mul_f64 v[168:169], v[156:157], v[30:31]
	v_fmac_f64_e32 v[168:169], v[158:159], v[28:29]
	v_mul_f64 v[30:31], v[158:159], v[30:31]
	v_fma_f64 v[28:29], v[156:157], v[28:29], -v[30:31]
	s_waitcnt lgkmcnt(1)
	v_mul_f64 v[30:31], v[162:163], v[168:169]
	v_fma_f64 v[30:31], v[160:161], v[28:29], -v[30:31]
	v_mul_f64 v[160:161], v[160:161], v[168:169]
	v_fmac_f64_e32 v[160:161], v[162:163], v[28:29]
	s_waitcnt vmcnt(5)
	v_add_f64 v[24:25], v[24:25], -v[30:31]
	v_add_f64 v[26:27], v[26:27], -v[160:161]
	s_waitcnt lgkmcnt(0)
	v_mul_f64 v[30:31], v[166:167], v[168:169]
	ds_read2_b64 v[160:163], v234 offset0:38 offset1:39
	v_fma_f64 v[30:31], v[164:165], v[28:29], -v[30:31]
	v_mul_f64 v[164:165], v[164:165], v[168:169]
	v_fmac_f64_e32 v[164:165], v[166:167], v[28:29]
	s_waitcnt vmcnt(4)
	v_add_f64 v[22:23], v[22:23], -v[164:165]
	ds_read2_b64 v[164:167], v234 offset0:40 offset1:41
	v_add_f64 v[20:21], v[20:21], -v[30:31]
	s_waitcnt lgkmcnt(1)
	v_mul_f64 v[30:31], v[162:163], v[168:169]
	v_fma_f64 v[30:31], v[160:161], v[28:29], -v[30:31]
	v_mul_f64 v[160:161], v[160:161], v[168:169]
	v_fmac_f64_e32 v[160:161], v[162:163], v[28:29]
	s_waitcnt vmcnt(3)
	v_add_f64 v[16:17], v[16:17], -v[30:31]
	v_add_f64 v[18:19], v[18:19], -v[160:161]
	s_waitcnt lgkmcnt(0)
	v_mul_f64 v[30:31], v[166:167], v[168:169]
	ds_read2_b64 v[160:163], v234 offset0:42 offset1:43
	v_fma_f64 v[30:31], v[164:165], v[28:29], -v[30:31]
	v_mul_f64 v[164:165], v[164:165], v[168:169]
	v_fmac_f64_e32 v[164:165], v[166:167], v[28:29]
	s_waitcnt vmcnt(2)
	v_add_f64 v[14:15], v[14:15], -v[164:165]
	ds_read2_b64 v[164:167], v234 offset0:44 offset1:45
	v_add_f64 v[12:13], v[12:13], -v[30:31]
	s_waitcnt lgkmcnt(1)
	v_mul_f64 v[30:31], v[162:163], v[168:169]
	v_fma_f64 v[30:31], v[160:161], v[28:29], -v[30:31]
	v_mul_f64 v[160:161], v[160:161], v[168:169]
	v_fmac_f64_e32 v[160:161], v[162:163], v[28:29]
	s_waitcnt vmcnt(1)
	v_add_f64 v[8:9], v[8:9], -v[30:31]
	v_add_f64 v[10:11], v[10:11], -v[160:161]
	s_waitcnt lgkmcnt(0)
	v_mul_f64 v[30:31], v[166:167], v[168:169]
	v_mul_f64 v[160:161], v[164:165], v[168:169]
	v_fma_f64 v[30:31], v[164:165], v[28:29], -v[30:31]
	v_fmac_f64_e32 v[160:161], v[166:167], v[28:29]
	s_waitcnt vmcnt(0)
	v_add_f64 v[88:89], v[88:89], -v[30:31]
	v_add_f64 v[90:91], v[90:91], -v[160:161]
	v_mov_b64_e32 v[30:31], v[168:169]
.LBB45_154:
	s_or_b64 exec, exec, s[2:3]
	v_cmp_eq_u32_e32 vcc, 17, v232
	s_waitcnt lgkmcnt(0)
	s_barrier
	s_and_saveexec_b64 s[4:5], vcc
	s_cbranch_execz .LBB45_161
; %bb.155:
	s_waitcnt vmcnt(5)
	ds_write2_b64 v233, v[24:25], v[26:27] offset1:1
	s_waitcnt vmcnt(4)
	ds_write2_b64 v234, v[20:21], v[22:23] offset0:36 offset1:37
	s_waitcnt vmcnt(3)
	ds_write2_b64 v234, v[16:17], v[18:19] offset0:38 offset1:39
	;; [unrolled: 2-line block ×5, first 2 shown]
	ds_read2_b64 v[160:163], v233 offset1:1
	s_waitcnt lgkmcnt(0)
	v_cmp_neq_f64_e32 vcc, 0, v[160:161]
	v_cmp_neq_f64_e64 s[2:3], 0, v[162:163]
	s_or_b64 s[2:3], vcc, s[2:3]
	s_and_b64 exec, exec, s[2:3]
	s_cbranch_execz .LBB45_161
; %bb.156:
	v_cmp_ngt_f64_e64 s[2:3], |v[160:161]|, |v[162:163]|
                                        ; implicit-def: $vgpr164_vgpr165
	s_and_saveexec_b64 s[10:11], s[2:3]
	s_xor_b64 s[2:3], exec, s[10:11]
                                        ; implicit-def: $vgpr166_vgpr167
	s_cbranch_execz .LBB45_158
; %bb.157:
	v_div_scale_f64 v[164:165], s[10:11], v[162:163], v[162:163], v[160:161]
	v_rcp_f64_e32 v[166:167], v[164:165]
	v_div_scale_f64 v[168:169], vcc, v[160:161], v[162:163], v[160:161]
	v_fma_f64 v[170:171], -v[164:165], v[166:167], 1.0
	v_fmac_f64_e32 v[166:167], v[166:167], v[170:171]
	v_fma_f64 v[170:171], -v[164:165], v[166:167], 1.0
	v_fmac_f64_e32 v[166:167], v[166:167], v[170:171]
	v_mul_f64 v[170:171], v[168:169], v[166:167]
	v_fma_f64 v[164:165], -v[164:165], v[170:171], v[168:169]
	v_div_fmas_f64 v[164:165], v[164:165], v[166:167], v[170:171]
	v_div_fixup_f64 v[164:165], v[164:165], v[162:163], v[160:161]
	v_fmac_f64_e32 v[162:163], v[160:161], v[164:165]
	v_div_scale_f64 v[160:161], s[10:11], v[162:163], v[162:163], 1.0
	v_rcp_f64_e32 v[166:167], v[160:161]
	s_nop 0
	v_fma_f64 v[168:169], -v[160:161], v[166:167], 1.0
	v_fmac_f64_e32 v[166:167], v[166:167], v[168:169]
	v_fma_f64 v[168:169], -v[160:161], v[166:167], 1.0
	v_fmac_f64_e32 v[166:167], v[166:167], v[168:169]
	v_div_scale_f64 v[168:169], vcc, 1.0, v[162:163], 1.0
	v_mul_f64 v[170:171], v[168:169], v[166:167]
	v_fma_f64 v[160:161], -v[160:161], v[170:171], v[168:169]
	s_nop 1
	v_div_fmas_f64 v[160:161], v[160:161], v[166:167], v[170:171]
	v_div_fixup_f64 v[166:167], v[160:161], v[162:163], 1.0
	v_mul_f64 v[164:165], v[164:165], v[166:167]
	v_xor_b32_e32 v167, 0x80000000, v167
                                        ; implicit-def: $vgpr160_vgpr161
.LBB45_158:
	s_andn2_saveexec_b64 s[2:3], s[2:3]
	s_cbranch_execz .LBB45_160
; %bb.159:
	v_div_scale_f64 v[164:165], s[10:11], v[160:161], v[160:161], v[162:163]
	v_rcp_f64_e32 v[166:167], v[164:165]
	v_div_scale_f64 v[168:169], vcc, v[162:163], v[160:161], v[162:163]
	v_fma_f64 v[170:171], -v[164:165], v[166:167], 1.0
	v_fmac_f64_e32 v[166:167], v[166:167], v[170:171]
	v_fma_f64 v[170:171], -v[164:165], v[166:167], 1.0
	v_fmac_f64_e32 v[166:167], v[166:167], v[170:171]
	v_mul_f64 v[170:171], v[168:169], v[166:167]
	v_fma_f64 v[164:165], -v[164:165], v[170:171], v[168:169]
	v_div_fmas_f64 v[164:165], v[164:165], v[166:167], v[170:171]
	v_div_fixup_f64 v[166:167], v[164:165], v[160:161], v[162:163]
	v_fmac_f64_e32 v[160:161], v[162:163], v[166:167]
	v_div_scale_f64 v[162:163], s[10:11], v[160:161], v[160:161], 1.0
	v_rcp_f64_e32 v[164:165], v[162:163]
	s_nop 0
	v_fma_f64 v[168:169], -v[162:163], v[164:165], 1.0
	v_fmac_f64_e32 v[164:165], v[164:165], v[168:169]
	v_fma_f64 v[168:169], -v[162:163], v[164:165], 1.0
	v_fmac_f64_e32 v[164:165], v[164:165], v[168:169]
	v_div_scale_f64 v[168:169], vcc, 1.0, v[160:161], 1.0
	v_mul_f64 v[170:171], v[168:169], v[164:165]
	v_fma_f64 v[162:163], -v[162:163], v[170:171], v[168:169]
	s_nop 1
	v_div_fmas_f64 v[162:163], v[162:163], v[164:165], v[170:171]
	v_div_fixup_f64 v[164:165], v[162:163], v[160:161], 1.0
	v_mul_f64 v[166:167], v[166:167], -v[164:165]
.LBB45_160:
	s_or_b64 exec, exec, s[2:3]
	ds_write2_b64 v233, v[164:165], v[166:167] offset1:1
.LBB45_161:
	s_or_b64 exec, exec, s[4:5]
	s_waitcnt lgkmcnt(0)
	s_barrier
	ds_read2_b64 v[160:163], v233 offset1:1
	v_cmp_lt_u32_e32 vcc, 17, v232
	s_and_saveexec_b64 s[2:3], vcc
	s_cbranch_execz .LBB45_163
; %bb.162:
	ds_read2_b64 v[164:167], v234 offset0:36 offset1:37
	ds_read2_b64 v[168:171], v234 offset0:38 offset1:39
	s_waitcnt vmcnt(5) lgkmcnt(2)
	v_mul_f64 v[172:173], v[160:161], v[26:27]
	v_fmac_f64_e32 v[172:173], v[162:163], v[24:25]
	v_mul_f64 v[26:27], v[162:163], v[26:27]
	v_fma_f64 v[24:25], v[160:161], v[24:25], -v[26:27]
	s_waitcnt lgkmcnt(1)
	v_mul_f64 v[26:27], v[166:167], v[172:173]
	v_fma_f64 v[26:27], v[164:165], v[24:25], -v[26:27]
	v_mul_f64 v[164:165], v[164:165], v[172:173]
	v_fmac_f64_e32 v[164:165], v[166:167], v[24:25]
	s_waitcnt vmcnt(4)
	v_add_f64 v[22:23], v[22:23], -v[164:165]
	ds_read2_b64 v[164:167], v234 offset0:40 offset1:41
	v_add_f64 v[20:21], v[20:21], -v[26:27]
	s_waitcnt lgkmcnt(1)
	v_mul_f64 v[26:27], v[170:171], v[172:173]
	v_fma_f64 v[26:27], v[168:169], v[24:25], -v[26:27]
	v_mul_f64 v[168:169], v[168:169], v[172:173]
	v_fmac_f64_e32 v[168:169], v[170:171], v[24:25]
	s_waitcnt vmcnt(3)
	v_add_f64 v[16:17], v[16:17], -v[26:27]
	v_add_f64 v[18:19], v[18:19], -v[168:169]
	ds_read2_b64 v[168:171], v234 offset0:42 offset1:43
	s_waitcnt lgkmcnt(1)
	v_mul_f64 v[26:27], v[166:167], v[172:173]
	v_fma_f64 v[26:27], v[164:165], v[24:25], -v[26:27]
	v_mul_f64 v[164:165], v[164:165], v[172:173]
	v_fmac_f64_e32 v[164:165], v[166:167], v[24:25]
	s_waitcnt vmcnt(2)
	v_add_f64 v[14:15], v[14:15], -v[164:165]
	ds_read2_b64 v[164:167], v234 offset0:44 offset1:45
	v_add_f64 v[12:13], v[12:13], -v[26:27]
	s_waitcnt lgkmcnt(1)
	v_mul_f64 v[26:27], v[170:171], v[172:173]
	v_fma_f64 v[26:27], v[168:169], v[24:25], -v[26:27]
	s_waitcnt vmcnt(1)
	v_add_f64 v[8:9], v[8:9], -v[26:27]
	s_waitcnt lgkmcnt(0)
	v_mul_f64 v[26:27], v[166:167], v[172:173]
	v_mul_f64 v[168:169], v[168:169], v[172:173]
	v_fma_f64 v[26:27], v[164:165], v[24:25], -v[26:27]
	v_mul_f64 v[164:165], v[164:165], v[172:173]
	v_fmac_f64_e32 v[168:169], v[170:171], v[24:25]
	v_fmac_f64_e32 v[164:165], v[166:167], v[24:25]
	v_add_f64 v[10:11], v[10:11], -v[168:169]
	s_waitcnt vmcnt(0)
	v_add_f64 v[88:89], v[88:89], -v[26:27]
	v_add_f64 v[90:91], v[90:91], -v[164:165]
	v_mov_b64_e32 v[26:27], v[172:173]
.LBB45_163:
	s_or_b64 exec, exec, s[2:3]
	v_cmp_eq_u32_e32 vcc, 18, v232
	s_waitcnt lgkmcnt(0)
	s_barrier
	s_and_saveexec_b64 s[4:5], vcc
	s_cbranch_execz .LBB45_170
; %bb.164:
	s_waitcnt vmcnt(4)
	ds_write2_b64 v233, v[20:21], v[22:23] offset1:1
	s_waitcnt vmcnt(3)
	ds_write2_b64 v234, v[16:17], v[18:19] offset0:38 offset1:39
	s_waitcnt vmcnt(2)
	ds_write2_b64 v234, v[12:13], v[14:15] offset0:40 offset1:41
	;; [unrolled: 2-line block ×4, first 2 shown]
	ds_read2_b64 v[164:167], v233 offset1:1
	s_waitcnt lgkmcnt(0)
	v_cmp_neq_f64_e32 vcc, 0, v[164:165]
	v_cmp_neq_f64_e64 s[2:3], 0, v[166:167]
	s_or_b64 s[2:3], vcc, s[2:3]
	s_and_b64 exec, exec, s[2:3]
	s_cbranch_execz .LBB45_170
; %bb.165:
	v_cmp_ngt_f64_e64 s[2:3], |v[164:165]|, |v[166:167]|
                                        ; implicit-def: $vgpr168_vgpr169
	s_and_saveexec_b64 s[10:11], s[2:3]
	s_xor_b64 s[2:3], exec, s[10:11]
                                        ; implicit-def: $vgpr170_vgpr171
	s_cbranch_execz .LBB45_167
; %bb.166:
	v_div_scale_f64 v[168:169], s[10:11], v[166:167], v[166:167], v[164:165]
	v_rcp_f64_e32 v[170:171], v[168:169]
	v_div_scale_f64 v[172:173], vcc, v[164:165], v[166:167], v[164:165]
	v_fma_f64 v[174:175], -v[168:169], v[170:171], 1.0
	v_fmac_f64_e32 v[170:171], v[170:171], v[174:175]
	v_fma_f64 v[174:175], -v[168:169], v[170:171], 1.0
	v_fmac_f64_e32 v[170:171], v[170:171], v[174:175]
	v_mul_f64 v[174:175], v[172:173], v[170:171]
	v_fma_f64 v[168:169], -v[168:169], v[174:175], v[172:173]
	v_div_fmas_f64 v[168:169], v[168:169], v[170:171], v[174:175]
	v_div_fixup_f64 v[168:169], v[168:169], v[166:167], v[164:165]
	v_fmac_f64_e32 v[166:167], v[164:165], v[168:169]
	v_div_scale_f64 v[164:165], s[10:11], v[166:167], v[166:167], 1.0
	v_rcp_f64_e32 v[170:171], v[164:165]
	s_nop 0
	v_fma_f64 v[172:173], -v[164:165], v[170:171], 1.0
	v_fmac_f64_e32 v[170:171], v[170:171], v[172:173]
	v_fma_f64 v[172:173], -v[164:165], v[170:171], 1.0
	v_fmac_f64_e32 v[170:171], v[170:171], v[172:173]
	v_div_scale_f64 v[172:173], vcc, 1.0, v[166:167], 1.0
	v_mul_f64 v[174:175], v[172:173], v[170:171]
	v_fma_f64 v[164:165], -v[164:165], v[174:175], v[172:173]
	s_nop 1
	v_div_fmas_f64 v[164:165], v[164:165], v[170:171], v[174:175]
	v_div_fixup_f64 v[170:171], v[164:165], v[166:167], 1.0
	v_mul_f64 v[168:169], v[168:169], v[170:171]
	v_xor_b32_e32 v171, 0x80000000, v171
                                        ; implicit-def: $vgpr164_vgpr165
.LBB45_167:
	s_andn2_saveexec_b64 s[2:3], s[2:3]
	s_cbranch_execz .LBB45_169
; %bb.168:
	v_div_scale_f64 v[168:169], s[10:11], v[164:165], v[164:165], v[166:167]
	v_rcp_f64_e32 v[170:171], v[168:169]
	v_div_scale_f64 v[172:173], vcc, v[166:167], v[164:165], v[166:167]
	v_fma_f64 v[174:175], -v[168:169], v[170:171], 1.0
	v_fmac_f64_e32 v[170:171], v[170:171], v[174:175]
	v_fma_f64 v[174:175], -v[168:169], v[170:171], 1.0
	v_fmac_f64_e32 v[170:171], v[170:171], v[174:175]
	v_mul_f64 v[174:175], v[172:173], v[170:171]
	v_fma_f64 v[168:169], -v[168:169], v[174:175], v[172:173]
	v_div_fmas_f64 v[168:169], v[168:169], v[170:171], v[174:175]
	v_div_fixup_f64 v[170:171], v[168:169], v[164:165], v[166:167]
	v_fmac_f64_e32 v[164:165], v[166:167], v[170:171]
	v_div_scale_f64 v[166:167], s[10:11], v[164:165], v[164:165], 1.0
	v_rcp_f64_e32 v[168:169], v[166:167]
	s_nop 0
	v_fma_f64 v[172:173], -v[166:167], v[168:169], 1.0
	v_fmac_f64_e32 v[168:169], v[168:169], v[172:173]
	v_fma_f64 v[172:173], -v[166:167], v[168:169], 1.0
	v_fmac_f64_e32 v[168:169], v[168:169], v[172:173]
	v_div_scale_f64 v[172:173], vcc, 1.0, v[164:165], 1.0
	v_mul_f64 v[174:175], v[172:173], v[168:169]
	v_fma_f64 v[166:167], -v[166:167], v[174:175], v[172:173]
	s_nop 1
	v_div_fmas_f64 v[166:167], v[166:167], v[168:169], v[174:175]
	v_div_fixup_f64 v[168:169], v[166:167], v[164:165], 1.0
	v_mul_f64 v[170:171], v[170:171], -v[168:169]
.LBB45_169:
	s_or_b64 exec, exec, s[2:3]
	ds_write2_b64 v233, v[168:169], v[170:171] offset1:1
.LBB45_170:
	s_or_b64 exec, exec, s[4:5]
	s_waitcnt lgkmcnt(0)
	s_barrier
	ds_read2_b64 v[164:167], v233 offset1:1
	v_cmp_lt_u32_e32 vcc, 18, v232
	s_and_saveexec_b64 s[2:3], vcc
	s_cbranch_execz .LBB45_172
; %bb.171:
	ds_read2_b64 v[168:171], v234 offset0:38 offset1:39
	ds_read2_b64 v[172:175], v234 offset0:40 offset1:41
	s_waitcnt vmcnt(4) lgkmcnt(2)
	v_mul_f64 v[176:177], v[164:165], v[22:23]
	v_fmac_f64_e32 v[176:177], v[166:167], v[20:21]
	v_mul_f64 v[22:23], v[166:167], v[22:23]
	v_fma_f64 v[20:21], v[164:165], v[20:21], -v[22:23]
	s_waitcnt lgkmcnt(1)
	v_mul_f64 v[22:23], v[170:171], v[176:177]
	v_fma_f64 v[22:23], v[168:169], v[20:21], -v[22:23]
	v_mul_f64 v[168:169], v[168:169], v[176:177]
	v_fmac_f64_e32 v[168:169], v[170:171], v[20:21]
	s_waitcnt vmcnt(3)
	v_add_f64 v[16:17], v[16:17], -v[22:23]
	v_add_f64 v[18:19], v[18:19], -v[168:169]
	s_waitcnt lgkmcnt(0)
	v_mul_f64 v[22:23], v[174:175], v[176:177]
	ds_read2_b64 v[168:171], v234 offset0:42 offset1:43
	v_fma_f64 v[22:23], v[172:173], v[20:21], -v[22:23]
	v_mul_f64 v[172:173], v[172:173], v[176:177]
	v_fmac_f64_e32 v[172:173], v[174:175], v[20:21]
	s_waitcnt vmcnt(2)
	v_add_f64 v[14:15], v[14:15], -v[172:173]
	ds_read2_b64 v[172:175], v234 offset0:44 offset1:45
	v_add_f64 v[12:13], v[12:13], -v[22:23]
	s_waitcnt lgkmcnt(1)
	v_mul_f64 v[22:23], v[170:171], v[176:177]
	v_fma_f64 v[22:23], v[168:169], v[20:21], -v[22:23]
	v_mul_f64 v[168:169], v[168:169], v[176:177]
	v_fmac_f64_e32 v[168:169], v[170:171], v[20:21]
	s_waitcnt vmcnt(1)
	v_add_f64 v[8:9], v[8:9], -v[22:23]
	v_add_f64 v[10:11], v[10:11], -v[168:169]
	s_waitcnt lgkmcnt(0)
	v_mul_f64 v[22:23], v[174:175], v[176:177]
	v_mul_f64 v[168:169], v[172:173], v[176:177]
	v_fma_f64 v[22:23], v[172:173], v[20:21], -v[22:23]
	v_fmac_f64_e32 v[168:169], v[174:175], v[20:21]
	s_waitcnt vmcnt(0)
	v_add_f64 v[88:89], v[88:89], -v[22:23]
	v_add_f64 v[90:91], v[90:91], -v[168:169]
	v_mov_b64_e32 v[22:23], v[176:177]
.LBB45_172:
	s_or_b64 exec, exec, s[2:3]
	v_cmp_eq_u32_e32 vcc, 19, v232
	s_waitcnt lgkmcnt(0)
	s_barrier
	s_and_saveexec_b64 s[4:5], vcc
	s_cbranch_execz .LBB45_179
; %bb.173:
	s_waitcnt vmcnt(3)
	ds_write2_b64 v233, v[16:17], v[18:19] offset1:1
	s_waitcnt vmcnt(2)
	ds_write2_b64 v234, v[12:13], v[14:15] offset0:40 offset1:41
	s_waitcnt vmcnt(1)
	ds_write2_b64 v234, v[8:9], v[10:11] offset0:42 offset1:43
	;; [unrolled: 2-line block ×3, first 2 shown]
	ds_read2_b64 v[168:171], v233 offset1:1
	s_waitcnt lgkmcnt(0)
	v_cmp_neq_f64_e32 vcc, 0, v[168:169]
	v_cmp_neq_f64_e64 s[2:3], 0, v[170:171]
	s_or_b64 s[2:3], vcc, s[2:3]
	s_and_b64 exec, exec, s[2:3]
	s_cbranch_execz .LBB45_179
; %bb.174:
	v_cmp_ngt_f64_e64 s[2:3], |v[168:169]|, |v[170:171]|
                                        ; implicit-def: $vgpr172_vgpr173
	s_and_saveexec_b64 s[10:11], s[2:3]
	s_xor_b64 s[2:3], exec, s[10:11]
                                        ; implicit-def: $vgpr174_vgpr175
	s_cbranch_execz .LBB45_176
; %bb.175:
	v_div_scale_f64 v[172:173], s[10:11], v[170:171], v[170:171], v[168:169]
	v_rcp_f64_e32 v[174:175], v[172:173]
	v_div_scale_f64 v[176:177], vcc, v[168:169], v[170:171], v[168:169]
	v_fma_f64 v[178:179], -v[172:173], v[174:175], 1.0
	v_fmac_f64_e32 v[174:175], v[174:175], v[178:179]
	v_fma_f64 v[178:179], -v[172:173], v[174:175], 1.0
	v_fmac_f64_e32 v[174:175], v[174:175], v[178:179]
	v_mul_f64 v[178:179], v[176:177], v[174:175]
	v_fma_f64 v[172:173], -v[172:173], v[178:179], v[176:177]
	v_div_fmas_f64 v[172:173], v[172:173], v[174:175], v[178:179]
	v_div_fixup_f64 v[172:173], v[172:173], v[170:171], v[168:169]
	v_fmac_f64_e32 v[170:171], v[168:169], v[172:173]
	v_div_scale_f64 v[168:169], s[10:11], v[170:171], v[170:171], 1.0
	v_rcp_f64_e32 v[174:175], v[168:169]
	s_nop 0
	v_fma_f64 v[176:177], -v[168:169], v[174:175], 1.0
	v_fmac_f64_e32 v[174:175], v[174:175], v[176:177]
	v_fma_f64 v[176:177], -v[168:169], v[174:175], 1.0
	v_fmac_f64_e32 v[174:175], v[174:175], v[176:177]
	v_div_scale_f64 v[176:177], vcc, 1.0, v[170:171], 1.0
	v_mul_f64 v[178:179], v[176:177], v[174:175]
	v_fma_f64 v[168:169], -v[168:169], v[178:179], v[176:177]
	s_nop 1
	v_div_fmas_f64 v[168:169], v[168:169], v[174:175], v[178:179]
	v_div_fixup_f64 v[174:175], v[168:169], v[170:171], 1.0
	v_mul_f64 v[172:173], v[172:173], v[174:175]
	v_xor_b32_e32 v175, 0x80000000, v175
                                        ; implicit-def: $vgpr168_vgpr169
.LBB45_176:
	s_andn2_saveexec_b64 s[2:3], s[2:3]
	s_cbranch_execz .LBB45_178
; %bb.177:
	v_div_scale_f64 v[172:173], s[10:11], v[168:169], v[168:169], v[170:171]
	v_rcp_f64_e32 v[174:175], v[172:173]
	v_div_scale_f64 v[176:177], vcc, v[170:171], v[168:169], v[170:171]
	v_fma_f64 v[178:179], -v[172:173], v[174:175], 1.0
	v_fmac_f64_e32 v[174:175], v[174:175], v[178:179]
	v_fma_f64 v[178:179], -v[172:173], v[174:175], 1.0
	v_fmac_f64_e32 v[174:175], v[174:175], v[178:179]
	v_mul_f64 v[178:179], v[176:177], v[174:175]
	v_fma_f64 v[172:173], -v[172:173], v[178:179], v[176:177]
	v_div_fmas_f64 v[172:173], v[172:173], v[174:175], v[178:179]
	v_div_fixup_f64 v[174:175], v[172:173], v[168:169], v[170:171]
	v_fmac_f64_e32 v[168:169], v[170:171], v[174:175]
	v_div_scale_f64 v[170:171], s[10:11], v[168:169], v[168:169], 1.0
	v_rcp_f64_e32 v[172:173], v[170:171]
	s_nop 0
	v_fma_f64 v[176:177], -v[170:171], v[172:173], 1.0
	v_fmac_f64_e32 v[172:173], v[172:173], v[176:177]
	v_fma_f64 v[176:177], -v[170:171], v[172:173], 1.0
	v_fmac_f64_e32 v[172:173], v[172:173], v[176:177]
	v_div_scale_f64 v[176:177], vcc, 1.0, v[168:169], 1.0
	v_mul_f64 v[178:179], v[176:177], v[172:173]
	v_fma_f64 v[170:171], -v[170:171], v[178:179], v[176:177]
	s_nop 1
	v_div_fmas_f64 v[170:171], v[170:171], v[172:173], v[178:179]
	v_div_fixup_f64 v[172:173], v[170:171], v[168:169], 1.0
	v_mul_f64 v[174:175], v[174:175], -v[172:173]
.LBB45_178:
	s_or_b64 exec, exec, s[2:3]
	ds_write2_b64 v233, v[172:173], v[174:175] offset1:1
.LBB45_179:
	s_or_b64 exec, exec, s[4:5]
	s_waitcnt lgkmcnt(0)
	s_barrier
	ds_read2_b64 v[168:171], v233 offset1:1
	v_cmp_lt_u32_e32 vcc, 19, v232
	s_and_saveexec_b64 s[2:3], vcc
	s_cbranch_execz .LBB45_181
; %bb.180:
	ds_read2_b64 v[172:175], v234 offset0:40 offset1:41
	ds_read2_b64 v[176:179], v234 offset0:42 offset1:43
	s_waitcnt vmcnt(3) lgkmcnt(2)
	v_mul_f64 v[180:181], v[168:169], v[18:19]
	v_fmac_f64_e32 v[180:181], v[170:171], v[16:17]
	v_mul_f64 v[18:19], v[170:171], v[18:19]
	v_fma_f64 v[16:17], v[168:169], v[16:17], -v[18:19]
	s_waitcnt lgkmcnt(1)
	v_mul_f64 v[18:19], v[174:175], v[180:181]
	v_fma_f64 v[18:19], v[172:173], v[16:17], -v[18:19]
	v_mul_f64 v[172:173], v[172:173], v[180:181]
	v_fmac_f64_e32 v[172:173], v[174:175], v[16:17]
	s_waitcnt vmcnt(2)
	v_add_f64 v[14:15], v[14:15], -v[172:173]
	ds_read2_b64 v[172:175], v234 offset0:44 offset1:45
	v_add_f64 v[12:13], v[12:13], -v[18:19]
	s_waitcnt lgkmcnt(1)
	v_mul_f64 v[18:19], v[178:179], v[180:181]
	v_fma_f64 v[18:19], v[176:177], v[16:17], -v[18:19]
	s_waitcnt vmcnt(1)
	v_add_f64 v[8:9], v[8:9], -v[18:19]
	s_waitcnt lgkmcnt(0)
	v_mul_f64 v[18:19], v[174:175], v[180:181]
	v_mul_f64 v[176:177], v[176:177], v[180:181]
	v_fma_f64 v[18:19], v[172:173], v[16:17], -v[18:19]
	v_mul_f64 v[172:173], v[172:173], v[180:181]
	v_fmac_f64_e32 v[176:177], v[178:179], v[16:17]
	v_fmac_f64_e32 v[172:173], v[174:175], v[16:17]
	v_add_f64 v[10:11], v[10:11], -v[176:177]
	s_waitcnt vmcnt(0)
	v_add_f64 v[88:89], v[88:89], -v[18:19]
	v_add_f64 v[90:91], v[90:91], -v[172:173]
	v_mov_b64_e32 v[18:19], v[180:181]
.LBB45_181:
	s_or_b64 exec, exec, s[2:3]
	v_cmp_eq_u32_e32 vcc, 20, v232
	s_waitcnt lgkmcnt(0)
	s_barrier
	s_and_saveexec_b64 s[4:5], vcc
	s_cbranch_execz .LBB45_188
; %bb.182:
	s_waitcnt vmcnt(2)
	ds_write2_b64 v233, v[12:13], v[14:15] offset1:1
	s_waitcnt vmcnt(1)
	ds_write2_b64 v234, v[8:9], v[10:11] offset0:42 offset1:43
	s_waitcnt vmcnt(0)
	ds_write2_b64 v234, v[88:89], v[90:91] offset0:44 offset1:45
	ds_read2_b64 v[172:175], v233 offset1:1
	s_waitcnt lgkmcnt(0)
	v_cmp_neq_f64_e32 vcc, 0, v[172:173]
	v_cmp_neq_f64_e64 s[2:3], 0, v[174:175]
	s_or_b64 s[2:3], vcc, s[2:3]
	s_and_b64 exec, exec, s[2:3]
	s_cbranch_execz .LBB45_188
; %bb.183:
	v_cmp_ngt_f64_e64 s[2:3], |v[172:173]|, |v[174:175]|
                                        ; implicit-def: $vgpr176_vgpr177
	s_and_saveexec_b64 s[10:11], s[2:3]
	s_xor_b64 s[2:3], exec, s[10:11]
                                        ; implicit-def: $vgpr178_vgpr179
	s_cbranch_execz .LBB45_185
; %bb.184:
	v_div_scale_f64 v[176:177], s[10:11], v[174:175], v[174:175], v[172:173]
	v_rcp_f64_e32 v[178:179], v[176:177]
	v_div_scale_f64 v[180:181], vcc, v[172:173], v[174:175], v[172:173]
	v_fma_f64 v[182:183], -v[176:177], v[178:179], 1.0
	v_fmac_f64_e32 v[178:179], v[178:179], v[182:183]
	v_fma_f64 v[182:183], -v[176:177], v[178:179], 1.0
	v_fmac_f64_e32 v[178:179], v[178:179], v[182:183]
	v_mul_f64 v[182:183], v[180:181], v[178:179]
	v_fma_f64 v[176:177], -v[176:177], v[182:183], v[180:181]
	v_div_fmas_f64 v[176:177], v[176:177], v[178:179], v[182:183]
	v_div_fixup_f64 v[176:177], v[176:177], v[174:175], v[172:173]
	v_fmac_f64_e32 v[174:175], v[172:173], v[176:177]
	v_div_scale_f64 v[172:173], s[10:11], v[174:175], v[174:175], 1.0
	v_rcp_f64_e32 v[178:179], v[172:173]
	s_nop 0
	v_fma_f64 v[180:181], -v[172:173], v[178:179], 1.0
	v_fmac_f64_e32 v[178:179], v[178:179], v[180:181]
	v_fma_f64 v[180:181], -v[172:173], v[178:179], 1.0
	v_fmac_f64_e32 v[178:179], v[178:179], v[180:181]
	v_div_scale_f64 v[180:181], vcc, 1.0, v[174:175], 1.0
	v_mul_f64 v[182:183], v[180:181], v[178:179]
	v_fma_f64 v[172:173], -v[172:173], v[182:183], v[180:181]
	s_nop 1
	v_div_fmas_f64 v[172:173], v[172:173], v[178:179], v[182:183]
	v_div_fixup_f64 v[178:179], v[172:173], v[174:175], 1.0
	v_mul_f64 v[176:177], v[176:177], v[178:179]
	v_xor_b32_e32 v179, 0x80000000, v179
                                        ; implicit-def: $vgpr172_vgpr173
.LBB45_185:
	s_andn2_saveexec_b64 s[2:3], s[2:3]
	s_cbranch_execz .LBB45_187
; %bb.186:
	v_div_scale_f64 v[176:177], s[10:11], v[172:173], v[172:173], v[174:175]
	v_rcp_f64_e32 v[178:179], v[176:177]
	v_div_scale_f64 v[180:181], vcc, v[174:175], v[172:173], v[174:175]
	v_fma_f64 v[182:183], -v[176:177], v[178:179], 1.0
	v_fmac_f64_e32 v[178:179], v[178:179], v[182:183]
	v_fma_f64 v[182:183], -v[176:177], v[178:179], 1.0
	v_fmac_f64_e32 v[178:179], v[178:179], v[182:183]
	v_mul_f64 v[182:183], v[180:181], v[178:179]
	v_fma_f64 v[176:177], -v[176:177], v[182:183], v[180:181]
	v_div_fmas_f64 v[176:177], v[176:177], v[178:179], v[182:183]
	v_div_fixup_f64 v[178:179], v[176:177], v[172:173], v[174:175]
	v_fmac_f64_e32 v[172:173], v[174:175], v[178:179]
	v_div_scale_f64 v[174:175], s[10:11], v[172:173], v[172:173], 1.0
	v_rcp_f64_e32 v[176:177], v[174:175]
	s_nop 0
	v_fma_f64 v[180:181], -v[174:175], v[176:177], 1.0
	v_fmac_f64_e32 v[176:177], v[176:177], v[180:181]
	v_fma_f64 v[180:181], -v[174:175], v[176:177], 1.0
	v_fmac_f64_e32 v[176:177], v[176:177], v[180:181]
	v_div_scale_f64 v[180:181], vcc, 1.0, v[172:173], 1.0
	v_mul_f64 v[182:183], v[180:181], v[176:177]
	v_fma_f64 v[174:175], -v[174:175], v[182:183], v[180:181]
	s_nop 1
	v_div_fmas_f64 v[174:175], v[174:175], v[176:177], v[182:183]
	v_div_fixup_f64 v[176:177], v[174:175], v[172:173], 1.0
	v_mul_f64 v[178:179], v[178:179], -v[176:177]
.LBB45_187:
	s_or_b64 exec, exec, s[2:3]
	ds_write2_b64 v233, v[176:177], v[178:179] offset1:1
.LBB45_188:
	s_or_b64 exec, exec, s[4:5]
	s_waitcnt lgkmcnt(0)
	s_barrier
	ds_read2_b64 v[172:175], v233 offset1:1
	v_cmp_lt_u32_e32 vcc, 20, v232
	s_and_saveexec_b64 s[2:3], vcc
	s_cbranch_execz .LBB45_190
; %bb.189:
	ds_read2_b64 v[176:179], v234 offset0:42 offset1:43
	ds_read2_b64 v[180:183], v234 offset0:44 offset1:45
	s_waitcnt vmcnt(2) lgkmcnt(2)
	v_mul_f64 v[236:237], v[172:173], v[14:15]
	v_fmac_f64_e32 v[236:237], v[174:175], v[12:13]
	v_mul_f64 v[14:15], v[174:175], v[14:15]
	v_fma_f64 v[12:13], v[172:173], v[12:13], -v[14:15]
	s_waitcnt lgkmcnt(1)
	v_mul_f64 v[14:15], v[178:179], v[236:237]
	v_fma_f64 v[14:15], v[176:177], v[12:13], -v[14:15]
	v_mul_f64 v[176:177], v[176:177], v[236:237]
	v_fmac_f64_e32 v[176:177], v[178:179], v[12:13]
	s_waitcnt vmcnt(1)
	v_add_f64 v[8:9], v[8:9], -v[14:15]
	v_add_f64 v[10:11], v[10:11], -v[176:177]
	s_waitcnt lgkmcnt(0)
	v_mul_f64 v[14:15], v[182:183], v[236:237]
	v_mul_f64 v[176:177], v[180:181], v[236:237]
	v_fma_f64 v[14:15], v[180:181], v[12:13], -v[14:15]
	v_fmac_f64_e32 v[176:177], v[182:183], v[12:13]
	s_waitcnt vmcnt(0)
	v_add_f64 v[88:89], v[88:89], -v[14:15]
	v_add_f64 v[90:91], v[90:91], -v[176:177]
	v_mov_b64_e32 v[14:15], v[236:237]
.LBB45_190:
	s_or_b64 exec, exec, s[2:3]
	v_cmp_eq_u32_e32 vcc, 21, v232
	s_waitcnt lgkmcnt(0)
	s_barrier
	s_and_saveexec_b64 s[4:5], vcc
	s_cbranch_execz .LBB45_197
; %bb.191:
	s_waitcnt vmcnt(1)
	ds_write2_b64 v233, v[8:9], v[10:11] offset1:1
	s_waitcnt vmcnt(0)
	ds_write2_b64 v234, v[88:89], v[90:91] offset0:44 offset1:45
	ds_read2_b64 v[176:179], v233 offset1:1
	s_waitcnt lgkmcnt(0)
	v_cmp_neq_f64_e32 vcc, 0, v[176:177]
	v_cmp_neq_f64_e64 s[2:3], 0, v[178:179]
	s_or_b64 s[2:3], vcc, s[2:3]
	s_and_b64 exec, exec, s[2:3]
	s_cbranch_execz .LBB45_197
; %bb.192:
	v_cmp_ngt_f64_e64 s[2:3], |v[176:177]|, |v[178:179]|
                                        ; implicit-def: $vgpr180_vgpr181
	s_and_saveexec_b64 s[10:11], s[2:3]
	s_xor_b64 s[2:3], exec, s[10:11]
                                        ; implicit-def: $vgpr182_vgpr183
	s_cbranch_execz .LBB45_194
; %bb.193:
	v_div_scale_f64 v[180:181], s[10:11], v[178:179], v[178:179], v[176:177]
	v_rcp_f64_e32 v[182:183], v[180:181]
	v_div_scale_f64 v[236:237], vcc, v[176:177], v[178:179], v[176:177]
	v_fma_f64 v[238:239], -v[180:181], v[182:183], 1.0
	v_fmac_f64_e32 v[182:183], v[182:183], v[238:239]
	v_fma_f64 v[238:239], -v[180:181], v[182:183], 1.0
	v_fmac_f64_e32 v[182:183], v[182:183], v[238:239]
	v_mul_f64 v[238:239], v[236:237], v[182:183]
	v_fma_f64 v[180:181], -v[180:181], v[238:239], v[236:237]
	v_div_fmas_f64 v[180:181], v[180:181], v[182:183], v[238:239]
	v_div_fixup_f64 v[180:181], v[180:181], v[178:179], v[176:177]
	v_fmac_f64_e32 v[178:179], v[176:177], v[180:181]
	v_div_scale_f64 v[176:177], s[10:11], v[178:179], v[178:179], 1.0
	v_rcp_f64_e32 v[182:183], v[176:177]
	s_nop 0
	v_fma_f64 v[236:237], -v[176:177], v[182:183], 1.0
	v_fmac_f64_e32 v[182:183], v[182:183], v[236:237]
	v_fma_f64 v[236:237], -v[176:177], v[182:183], 1.0
	v_fmac_f64_e32 v[182:183], v[182:183], v[236:237]
	v_div_scale_f64 v[236:237], vcc, 1.0, v[178:179], 1.0
	v_mul_f64 v[238:239], v[236:237], v[182:183]
	v_fma_f64 v[176:177], -v[176:177], v[238:239], v[236:237]
	s_nop 1
	v_div_fmas_f64 v[176:177], v[176:177], v[182:183], v[238:239]
	v_div_fixup_f64 v[182:183], v[176:177], v[178:179], 1.0
	v_mul_f64 v[180:181], v[180:181], v[182:183]
	v_xor_b32_e32 v183, 0x80000000, v183
                                        ; implicit-def: $vgpr176_vgpr177
.LBB45_194:
	s_andn2_saveexec_b64 s[2:3], s[2:3]
	s_cbranch_execz .LBB45_196
; %bb.195:
	v_div_scale_f64 v[180:181], s[10:11], v[176:177], v[176:177], v[178:179]
	v_rcp_f64_e32 v[182:183], v[180:181]
	v_div_scale_f64 v[236:237], vcc, v[178:179], v[176:177], v[178:179]
	v_fma_f64 v[238:239], -v[180:181], v[182:183], 1.0
	v_fmac_f64_e32 v[182:183], v[182:183], v[238:239]
	v_fma_f64 v[238:239], -v[180:181], v[182:183], 1.0
	v_fmac_f64_e32 v[182:183], v[182:183], v[238:239]
	v_mul_f64 v[238:239], v[236:237], v[182:183]
	v_fma_f64 v[180:181], -v[180:181], v[238:239], v[236:237]
	v_div_fmas_f64 v[180:181], v[180:181], v[182:183], v[238:239]
	v_div_fixup_f64 v[182:183], v[180:181], v[176:177], v[178:179]
	v_fmac_f64_e32 v[176:177], v[178:179], v[182:183]
	v_div_scale_f64 v[178:179], s[10:11], v[176:177], v[176:177], 1.0
	v_rcp_f64_e32 v[180:181], v[178:179]
	s_nop 0
	v_fma_f64 v[236:237], -v[178:179], v[180:181], 1.0
	v_fmac_f64_e32 v[180:181], v[180:181], v[236:237]
	v_fma_f64 v[236:237], -v[178:179], v[180:181], 1.0
	v_fmac_f64_e32 v[180:181], v[180:181], v[236:237]
	v_div_scale_f64 v[236:237], vcc, 1.0, v[176:177], 1.0
	v_mul_f64 v[238:239], v[236:237], v[180:181]
	v_fma_f64 v[178:179], -v[178:179], v[238:239], v[236:237]
	s_nop 1
	v_div_fmas_f64 v[178:179], v[178:179], v[180:181], v[238:239]
	v_div_fixup_f64 v[180:181], v[178:179], v[176:177], 1.0
	v_mul_f64 v[182:183], v[182:183], -v[180:181]
.LBB45_196:
	s_or_b64 exec, exec, s[2:3]
	ds_write2_b64 v233, v[180:181], v[182:183] offset1:1
.LBB45_197:
	s_or_b64 exec, exec, s[4:5]
	s_waitcnt lgkmcnt(0)
	s_barrier
	ds_read2_b64 v[176:179], v233 offset1:1
	v_cmp_lt_u32_e32 vcc, 21, v232
	s_and_saveexec_b64 s[2:3], vcc
	s_cbranch_execz .LBB45_199
; %bb.198:
	ds_read2_b64 v[180:183], v234 offset0:44 offset1:45
	s_waitcnt vmcnt(1) lgkmcnt(1)
	v_mul_f64 v[234:235], v[176:177], v[10:11]
	v_mul_f64 v[10:11], v[178:179], v[10:11]
	v_fmac_f64_e32 v[234:235], v[178:179], v[8:9]
	v_fma_f64 v[8:9], v[176:177], v[8:9], -v[10:11]
	s_waitcnt lgkmcnt(0)
	v_mul_f64 v[10:11], v[182:183], v[234:235]
	v_fma_f64 v[10:11], v[180:181], v[8:9], -v[10:11]
	v_mul_f64 v[180:181], v[180:181], v[234:235]
	v_fmac_f64_e32 v[180:181], v[182:183], v[8:9]
	s_waitcnt vmcnt(0)
	v_add_f64 v[88:89], v[88:89], -v[10:11]
	v_add_f64 v[90:91], v[90:91], -v[180:181]
	v_mov_b64_e32 v[10:11], v[234:235]
.LBB45_199:
	s_or_b64 exec, exec, s[2:3]
	v_cmp_eq_u32_e32 vcc, 22, v232
	s_waitcnt lgkmcnt(0)
	s_barrier
	s_and_saveexec_b64 s[4:5], vcc
	s_cbranch_execz .LBB45_206
; %bb.200:
	s_waitcnt vmcnt(0)
	v_cmp_neq_f64_e32 vcc, 0, v[88:89]
	v_cmp_neq_f64_e64 s[2:3], 0, v[90:91]
	s_or_b64 s[2:3], vcc, s[2:3]
	ds_write2_b64 v233, v[88:89], v[90:91] offset1:1
	s_and_b64 exec, exec, s[2:3]
	s_cbranch_execz .LBB45_206
; %bb.201:
	v_cmp_ngt_f64_e64 s[2:3], |v[88:89]|, |v[90:91]|
                                        ; implicit-def: $vgpr180_vgpr181
	s_and_saveexec_b64 s[10:11], s[2:3]
	s_xor_b64 s[2:3], exec, s[10:11]
                                        ; implicit-def: $vgpr182_vgpr183
	s_cbranch_execz .LBB45_203
; %bb.202:
	v_div_scale_f64 v[180:181], s[10:11], v[90:91], v[90:91], v[88:89]
	v_rcp_f64_e32 v[182:183], v[180:181]
	v_div_scale_f64 v[234:235], vcc, v[88:89], v[90:91], v[88:89]
	v_fma_f64 v[236:237], -v[180:181], v[182:183], 1.0
	v_fmac_f64_e32 v[182:183], v[182:183], v[236:237]
	v_fma_f64 v[236:237], -v[180:181], v[182:183], 1.0
	v_fmac_f64_e32 v[182:183], v[182:183], v[236:237]
	v_mul_f64 v[236:237], v[234:235], v[182:183]
	v_fma_f64 v[180:181], -v[180:181], v[236:237], v[234:235]
	v_div_fmas_f64 v[180:181], v[180:181], v[182:183], v[236:237]
	v_div_fixup_f64 v[180:181], v[180:181], v[90:91], v[88:89]
	v_fma_f64 v[182:183], v[88:89], v[180:181], v[90:91]
	v_div_scale_f64 v[234:235], s[10:11], v[182:183], v[182:183], 1.0
	v_rcp_f64_e32 v[236:237], v[234:235]
	s_nop 0
	v_fma_f64 v[238:239], -v[234:235], v[236:237], 1.0
	v_fmac_f64_e32 v[236:237], v[236:237], v[238:239]
	v_fma_f64 v[238:239], -v[234:235], v[236:237], 1.0
	v_fmac_f64_e32 v[236:237], v[236:237], v[238:239]
	v_div_scale_f64 v[238:239], vcc, 1.0, v[182:183], 1.0
	v_mul_f64 v[240:241], v[238:239], v[236:237]
	v_fma_f64 v[234:235], -v[234:235], v[240:241], v[238:239]
	s_nop 1
	v_div_fmas_f64 v[234:235], v[234:235], v[236:237], v[240:241]
	v_div_fixup_f64 v[182:183], v[234:235], v[182:183], 1.0
	v_mul_f64 v[180:181], v[180:181], v[182:183]
	v_xor_b32_e32 v183, 0x80000000, v183
.LBB45_203:
	s_andn2_saveexec_b64 s[2:3], s[2:3]
	s_cbranch_execz .LBB45_205
; %bb.204:
	v_div_scale_f64 v[180:181], s[10:11], v[88:89], v[88:89], v[90:91]
	v_rcp_f64_e32 v[182:183], v[180:181]
	v_div_scale_f64 v[234:235], vcc, v[90:91], v[88:89], v[90:91]
	v_fma_f64 v[236:237], -v[180:181], v[182:183], 1.0
	v_fmac_f64_e32 v[182:183], v[182:183], v[236:237]
	v_fma_f64 v[236:237], -v[180:181], v[182:183], 1.0
	v_fmac_f64_e32 v[182:183], v[182:183], v[236:237]
	v_mul_f64 v[236:237], v[234:235], v[182:183]
	v_fma_f64 v[180:181], -v[180:181], v[236:237], v[234:235]
	v_div_fmas_f64 v[180:181], v[180:181], v[182:183], v[236:237]
	v_div_fixup_f64 v[182:183], v[180:181], v[88:89], v[90:91]
	v_fma_f64 v[180:181], v[90:91], v[182:183], v[88:89]
	v_div_scale_f64 v[234:235], s[10:11], v[180:181], v[180:181], 1.0
	v_rcp_f64_e32 v[236:237], v[234:235]
	s_nop 0
	v_fma_f64 v[238:239], -v[234:235], v[236:237], 1.0
	v_fmac_f64_e32 v[236:237], v[236:237], v[238:239]
	v_fma_f64 v[238:239], -v[234:235], v[236:237], 1.0
	v_fmac_f64_e32 v[236:237], v[236:237], v[238:239]
	v_div_scale_f64 v[238:239], vcc, 1.0, v[180:181], 1.0
	v_mul_f64 v[240:241], v[238:239], v[236:237]
	v_fma_f64 v[234:235], -v[234:235], v[240:241], v[238:239]
	s_nop 1
	v_div_fmas_f64 v[234:235], v[234:235], v[236:237], v[240:241]
	v_div_fixup_f64 v[180:181], v[234:235], v[180:181], 1.0
	v_mul_f64 v[182:183], v[182:183], -v[180:181]
.LBB45_205:
	s_or_b64 exec, exec, s[2:3]
	ds_write2_b64 v233, v[180:181], v[182:183] offset1:1
.LBB45_206:
	s_or_b64 exec, exec, s[4:5]
	s_waitcnt lgkmcnt(0)
	s_barrier
	ds_read2_b64 v[180:183], v233 offset1:1
	s_waitcnt lgkmcnt(0)
	s_barrier
	s_and_saveexec_b64 s[2:3], s[0:1]
	s_cbranch_execz .LBB45_209
; %bb.207:
	v_cmp_eq_f64_e32 vcc, 0, v[92:93]
	v_cmp_eq_f64_e64 s[0:1], 0, v[94:95]
	s_and_b64 s[4:5], vcc, s[0:1]
	v_cmp_neq_f64_e32 vcc, 0, v[96:97]
	v_cmp_neq_f64_e64 s[0:1], 0, v[98:99]
	s_or_b64 s[0:1], vcc, s[0:1]
	v_cndmask_b32_e64 v92, 0, 1, s[4:5]
	s_or_b64 vcc, s[0:1], s[4:5]
	v_cndmask_b32_e32 v92, 2, v92, vcc
	v_cmp_eq_f64_e32 vcc, 0, v[100:101]
	v_cmp_eq_f64_e64 s[0:1], 0, v[102:103]
	s_and_b64 s[0:1], vcc, s[0:1]
	v_cmp_eq_u32_e32 vcc, 0, v92
	s_and_b64 s[0:1], s[0:1], vcc
	v_cndmask_b32_e64 v92, v92, 3, s[0:1]
	v_cmp_eq_f64_e32 vcc, 0, v[104:105]
	v_cmp_eq_f64_e64 s[0:1], 0, v[106:107]
	s_and_b64 s[0:1], vcc, s[0:1]
	v_cmp_eq_u32_e32 vcc, 0, v92
	s_and_b64 s[0:1], s[0:1], vcc
	v_cndmask_b32_e64 v92, v92, 4, s[0:1]
	;; [unrolled: 6-line block ×7, first 2 shown]
	v_mov_b32_e32 v92, s6
	v_mov_b32_e32 v93, s7
	v_lshl_add_u64 v[92:93], v[206:207], 2, v[92:93]
	global_load_dword v95, v[92:93], off
	v_cmp_eq_f64_e32 vcc, 0, v[128:129]
	v_cmp_eq_f64_e64 s[0:1], 0, v[130:131]
	s_and_b64 s[0:1], vcc, s[0:1]
	v_cmp_eq_u32_e32 vcc, 0, v94
	s_and_b64 s[0:1], s[0:1], vcc
	v_cndmask_b32_e64 v94, v94, 10, s[0:1]
	v_cmp_eq_f64_e32 vcc, 0, v[132:133]
	v_cmp_eq_f64_e64 s[0:1], 0, v[134:135]
	s_and_b64 s[0:1], vcc, s[0:1]
	v_cmp_eq_u32_e32 vcc, 0, v94
	s_and_b64 s[0:1], s[0:1], vcc
	v_cndmask_b32_e64 v94, v94, 11, s[0:1]
	;; [unrolled: 6-line block ×14, first 2 shown]
	s_waitcnt vmcnt(0)
	v_cmp_eq_u32_e32 vcc, 0, v95
	v_cmp_ne_u32_e64 s[0:1], 0, v94
	s_and_b64 s[0:1], vcc, s[0:1]
	s_and_b64 exec, exec, s[0:1]
	s_cbranch_execz .LBB45_209
; %bb.208:
	v_add_u32_e32 v94, s9, v94
	global_store_dword v[92:93], v94, off
.LBB45_209:
	s_or_b64 exec, exec, s[2:3]
	s_waitcnt vmcnt(0)
	v_mul_f64 v[92:93], v[182:183], v[90:91]
	v_mul_f64 v[94:95], v[180:181], v[90:91]
	v_fma_f64 v[92:93], v[180:181], v[88:89], -v[92:93]
	v_fmac_f64_e32 v[94:95], v[182:183], v[88:89]
	v_cmp_lt_u32_e32 vcc, 22, v232
	s_nop 1
	v_cndmask_b32_e32 v91, v91, v95, vcc
	v_cndmask_b32_e32 v90, v90, v94, vcc
	;; [unrolled: 1-line block ×4, first 2 shown]
	global_store_dwordx4 v[184:185], v[4:7], off
	global_store_dwordx4 v[186:187], v[0:3], off
	;; [unrolled: 1-line block ×23, first 2 shown]
.LBB45_210:
	s_endpgm
	.section	.rodata,"a",@progbits
	.p2align	6, 0x0
	.amdhsa_kernel _ZN9rocsolver6v33100L23getf2_npvt_small_kernelILi23E19rocblas_complex_numIdEiiPS3_EEvT1_T3_lS5_lPT2_S5_S5_
		.amdhsa_group_segment_fixed_size 0
		.amdhsa_private_segment_fixed_size 0
		.amdhsa_kernarg_size 312
		.amdhsa_user_sgpr_count 2
		.amdhsa_user_sgpr_dispatch_ptr 0
		.amdhsa_user_sgpr_queue_ptr 0
		.amdhsa_user_sgpr_kernarg_segment_ptr 1
		.amdhsa_user_sgpr_dispatch_id 0
		.amdhsa_user_sgpr_kernarg_preload_length 0
		.amdhsa_user_sgpr_kernarg_preload_offset 0
		.amdhsa_user_sgpr_private_segment_size 0
		.amdhsa_uses_dynamic_stack 0
		.amdhsa_enable_private_segment 0
		.amdhsa_system_sgpr_workgroup_id_x 1
		.amdhsa_system_sgpr_workgroup_id_y 1
		.amdhsa_system_sgpr_workgroup_id_z 0
		.amdhsa_system_sgpr_workgroup_info 0
		.amdhsa_system_vgpr_workitem_id 1
		.amdhsa_next_free_vgpr 242
		.amdhsa_next_free_sgpr 16
		.amdhsa_accum_offset 244
		.amdhsa_reserve_vcc 1
		.amdhsa_float_round_mode_32 0
		.amdhsa_float_round_mode_16_64 0
		.amdhsa_float_denorm_mode_32 3
		.amdhsa_float_denorm_mode_16_64 3
		.amdhsa_dx10_clamp 1
		.amdhsa_ieee_mode 1
		.amdhsa_fp16_overflow 0
		.amdhsa_tg_split 0
		.amdhsa_exception_fp_ieee_invalid_op 0
		.amdhsa_exception_fp_denorm_src 0
		.amdhsa_exception_fp_ieee_div_zero 0
		.amdhsa_exception_fp_ieee_overflow 0
		.amdhsa_exception_fp_ieee_underflow 0
		.amdhsa_exception_fp_ieee_inexact 0
		.amdhsa_exception_int_div_zero 0
	.end_amdhsa_kernel
	.section	.text._ZN9rocsolver6v33100L23getf2_npvt_small_kernelILi23E19rocblas_complex_numIdEiiPS3_EEvT1_T3_lS5_lPT2_S5_S5_,"axG",@progbits,_ZN9rocsolver6v33100L23getf2_npvt_small_kernelILi23E19rocblas_complex_numIdEiiPS3_EEvT1_T3_lS5_lPT2_S5_S5_,comdat
.Lfunc_end45:
	.size	_ZN9rocsolver6v33100L23getf2_npvt_small_kernelILi23E19rocblas_complex_numIdEiiPS3_EEvT1_T3_lS5_lPT2_S5_S5_, .Lfunc_end45-_ZN9rocsolver6v33100L23getf2_npvt_small_kernelILi23E19rocblas_complex_numIdEiiPS3_EEvT1_T3_lS5_lPT2_S5_S5_
                                        ; -- End function
	.set _ZN9rocsolver6v33100L23getf2_npvt_small_kernelILi23E19rocblas_complex_numIdEiiPS3_EEvT1_T3_lS5_lPT2_S5_S5_.num_vgpr, 242
	.set _ZN9rocsolver6v33100L23getf2_npvt_small_kernelILi23E19rocblas_complex_numIdEiiPS3_EEvT1_T3_lS5_lPT2_S5_S5_.num_agpr, 0
	.set _ZN9rocsolver6v33100L23getf2_npvt_small_kernelILi23E19rocblas_complex_numIdEiiPS3_EEvT1_T3_lS5_lPT2_S5_S5_.numbered_sgpr, 16
	.set _ZN9rocsolver6v33100L23getf2_npvt_small_kernelILi23E19rocblas_complex_numIdEiiPS3_EEvT1_T3_lS5_lPT2_S5_S5_.num_named_barrier, 0
	.set _ZN9rocsolver6v33100L23getf2_npvt_small_kernelILi23E19rocblas_complex_numIdEiiPS3_EEvT1_T3_lS5_lPT2_S5_S5_.private_seg_size, 0
	.set _ZN9rocsolver6v33100L23getf2_npvt_small_kernelILi23E19rocblas_complex_numIdEiiPS3_EEvT1_T3_lS5_lPT2_S5_S5_.uses_vcc, 1
	.set _ZN9rocsolver6v33100L23getf2_npvt_small_kernelILi23E19rocblas_complex_numIdEiiPS3_EEvT1_T3_lS5_lPT2_S5_S5_.uses_flat_scratch, 0
	.set _ZN9rocsolver6v33100L23getf2_npvt_small_kernelILi23E19rocblas_complex_numIdEiiPS3_EEvT1_T3_lS5_lPT2_S5_S5_.has_dyn_sized_stack, 0
	.set _ZN9rocsolver6v33100L23getf2_npvt_small_kernelILi23E19rocblas_complex_numIdEiiPS3_EEvT1_T3_lS5_lPT2_S5_S5_.has_recursion, 0
	.set _ZN9rocsolver6v33100L23getf2_npvt_small_kernelILi23E19rocblas_complex_numIdEiiPS3_EEvT1_T3_lS5_lPT2_S5_S5_.has_indirect_call, 0
	.section	.AMDGPU.csdata,"",@progbits
; Kernel info:
; codeLenInByte = 32172
; TotalNumSgprs: 22
; NumVgprs: 242
; NumAgprs: 0
; TotalNumVgprs: 242
; ScratchSize: 0
; MemoryBound: 1
; FloatMode: 240
; IeeeMode: 1
; LDSByteSize: 0 bytes/workgroup (compile time only)
; SGPRBlocks: 2
; VGPRBlocks: 30
; NumSGPRsForWavesPerEU: 22
; NumVGPRsForWavesPerEU: 242
; AccumOffset: 244
; Occupancy: 2
; WaveLimiterHint : 0
; COMPUTE_PGM_RSRC2:SCRATCH_EN: 0
; COMPUTE_PGM_RSRC2:USER_SGPR: 2
; COMPUTE_PGM_RSRC2:TRAP_HANDLER: 0
; COMPUTE_PGM_RSRC2:TGID_X_EN: 1
; COMPUTE_PGM_RSRC2:TGID_Y_EN: 1
; COMPUTE_PGM_RSRC2:TGID_Z_EN: 0
; COMPUTE_PGM_RSRC2:TIDIG_COMP_CNT: 1
; COMPUTE_PGM_RSRC3_GFX90A:ACCUM_OFFSET: 60
; COMPUTE_PGM_RSRC3_GFX90A:TG_SPLIT: 0
	.section	.text._ZN9rocsolver6v33100L18getf2_small_kernelILi24E19rocblas_complex_numIdEiiPS3_EEvT1_T3_lS5_lPS5_llPT2_S5_S5_S7_l,"axG",@progbits,_ZN9rocsolver6v33100L18getf2_small_kernelILi24E19rocblas_complex_numIdEiiPS3_EEvT1_T3_lS5_lPS5_llPT2_S5_S5_S7_l,comdat
	.globl	_ZN9rocsolver6v33100L18getf2_small_kernelILi24E19rocblas_complex_numIdEiiPS3_EEvT1_T3_lS5_lPS5_llPT2_S5_S5_S7_l ; -- Begin function _ZN9rocsolver6v33100L18getf2_small_kernelILi24E19rocblas_complex_numIdEiiPS3_EEvT1_T3_lS5_lPS5_llPT2_S5_S5_S7_l
	.p2align	8
	.type	_ZN9rocsolver6v33100L18getf2_small_kernelILi24E19rocblas_complex_numIdEiiPS3_EEvT1_T3_lS5_lPS5_llPT2_S5_S5_S7_l,@function
_ZN9rocsolver6v33100L18getf2_small_kernelILi24E19rocblas_complex_numIdEiiPS3_EEvT1_T3_lS5_lPS5_llPT2_S5_S5_S7_l: ; @_ZN9rocsolver6v33100L18getf2_small_kernelILi24E19rocblas_complex_numIdEiiPS3_EEvT1_T3_lS5_lPS5_llPT2_S5_S5_S7_l
; %bb.0:
	s_load_dword s2, s[0:1], 0x6c
	s_load_dwordx2 s[12:13], s[0:1], 0x48
	v_bfe_u32 v96, v0, 10, 10
	s_waitcnt lgkmcnt(0)
	s_lshr_b32 s2, s2, 16
	s_mul_i32 s3, s3, s2
	v_add_u32_e32 v102, s3, v96
	v_cmp_gt_i32_e32 vcc, s12, v102
	s_and_saveexec_b64 s[2:3], vcc
	s_cbranch_execz .LBB46_505
; %bb.1:
	s_load_dwordx4 s[4:7], s[0:1], 0x50
	v_ashrrev_i32_e32 v103, 31, v102
	v_mov_b64_e32 v[104:105], 0
	s_waitcnt lgkmcnt(0)
	s_cmp_eq_u64 s[4:5], 0
	s_cselect_b64 s[14:15], -1, 0
	s_and_b64 vcc, exec, s[14:15]
	s_cbranch_vccnz .LBB46_3
; %bb.2:
	v_mul_lo_u32 v1, s7, v102
	v_mul_lo_u32 v4, s6, v103
	v_mad_u64_u32 v[2:3], s[2:3], s6, v102, 0
	v_add3_u32 v3, v3, v4, v1
	v_lshl_add_u64 v[104:105], v[2:3], 2, s[4:5]
.LBB46_3:
	s_load_dwordx4 s[16:19], s[0:1], 0x8
	s_load_dwordx8 s[4:11], s[0:1], 0x20
	s_load_dword s2, s[0:1], 0x18
	s_load_dword s20, s[0:1], 0x0
	v_and_b32_e32 v110, 0x3ff, v0
	s_waitcnt lgkmcnt(0)
	v_mov_b32_e32 v2, s16
	v_mul_lo_u32 v1, s5, v102
	v_mul_lo_u32 v6, s4, v103
	v_mad_u64_u32 v[4:5], s[4:5], s4, v102, 0
	v_mov_b32_e32 v3, s17
	v_add3_u32 v5, v5, v6, v1
	v_lshl_add_u64 v[2:3], v[4:5], 4, v[2:3]
	s_add_i32 s12, s2, s2
	v_lshl_add_u64 v[100:101], s[18:19], 4, v[2:3]
	v_add_u32_e32 v2, s12, v110
	v_add_u32_e32 v4, s2, v2
	;; [unrolled: 1-line block ×3, first 2 shown]
	v_lshlrev_b32_e32 v106, 4, v110
	v_mov_b32_e32 v107, 0
	v_add_u32_e32 v8, s2, v6
	v_lshl_add_u64 v[0:1], v[100:101], 0, v[106:107]
	s_ashr_i32 s3, s2, 31
	v_ashrrev_i32_e32 v9, 31, v8
	v_add_u32_e32 v12, s2, v8
	v_lshl_add_u64 v[10:11], s[2:3], 4, v[0:1]
	global_load_dwordx4 v[68:71], v[0:1], off
	global_load_dwordx4 v[60:63], v[10:11], off
	v_lshl_add_u64 v[0:1], v[8:9], 4, v[100:101]
	v_ashrrev_i32_e32 v13, 31, v12
	v_add_u32_e32 v8, s2, v12
	v_lshl_add_u64 v[10:11], v[12:13], 4, v[100:101]
	v_add_u32_e32 v12, s2, v8
	v_add_u32_e32 v14, s2, v12
	;; [unrolled: 1-line block ×5, first 2 shown]
	v_ashrrev_i32_e32 v21, 31, v20
	v_add_u32_e32 v22, s2, v20
	v_lshl_add_u64 v[24:25], v[20:21], 4, v[100:101]
	v_ashrrev_i32_e32 v23, 31, v22
	v_add_u32_e32 v20, s2, v22
	v_lshl_add_u64 v[26:27], v[22:23], 4, v[100:101]
	;; [unrolled: 3-line block ×9, first 2 shown]
	v_add_u32_e32 v20, s2, v22
	v_ashrrev_i32_e32 v21, 31, v20
	v_ashrrev_i32_e32 v3, 31, v2
	;; [unrolled: 1-line block ×9, first 2 shown]
	v_lshl_add_u64 v[120:121], v[20:21], 4, v[100:101]
	v_add_u32_e32 v20, s2, v20
	v_lshl_add_u64 v[2:3], v[2:3], 4, v[100:101]
	v_lshl_add_u64 v[4:5], v[4:5], 4, v[100:101]
	;; [unrolled: 1-line block ×8, first 2 shown]
	v_ashrrev_i32_e32 v23, 31, v22
	v_ashrrev_i32_e32 v21, 31, v20
	v_lshl_add_u64 v[118:119], v[22:23], 4, v[100:101]
	v_lshl_add_u64 v[122:123], v[20:21], 4, v[100:101]
	global_load_dwordx4 v[88:91], v[2:3], off
	global_load_dwordx4 v[84:87], v[4:5], off
	;; [unrolled: 1-line block ×15, first 2 shown]
                                        ; kill: killed $vgpr18_vgpr19
                                        ; kill: killed $vgpr2_vgpr3
                                        ; kill: killed $vgpr24_vgpr25
                                        ; kill: killed $vgpr4_vgpr5
                                        ; kill: killed $vgpr26_vgpr27
                                        ; kill: killed $vgpr6_vgpr7
                                        ; kill: killed $vgpr92_vgpr93
                                        ; kill: killed $vgpr0_vgpr1
                                        ; kill: killed $vgpr94_vgpr95
                                        ; kill: killed $vgpr10_vgpr11
                                        ; kill: killed $vgpr98_vgpr99
                                        ; kill: killed $vgpr8_vgpr9
                                        ; kill: killed $vgpr12_vgpr13
                                        ; kill: killed $vgpr14_vgpr15
                                        ; kill: killed $vgpr16_vgpr17
	s_nop 0
	global_load_dwordx4 v[24:27], v[108:109], off
	global_load_dwordx4 v[16:19], v[112:113], off
	;; [unrolled: 1-line block ×7, first 2 shown]
	s_load_dwordx2 s[4:5], s[0:1], 0x40
	s_max_i32 s0, s20, 24
	v_mul_lo_u32 v109, s0, v96
	v_lshl_add_u32 v108, v109, 4, 0
	v_add_u32_e32 v96, v108, v106
	s_cmp_lt_i32 s20, 2
	v_lshlrev_b32_e32 v112, 4, v109
	s_waitcnt vmcnt(23)
	ds_write2_b64 v96, v[68:69], v[70:71] offset1:1
	s_waitcnt lgkmcnt(0)
	s_barrier
	ds_read2_b64 v[96:99], v108 offset1:1
	s_cbranch_scc1 .LBB46_6
; %bb.4:
	v_add3_u32 v106, v112, 0, 16
	s_mov_b32 s16, 1
	v_mov_b32_e32 v107, 0
.LBB46_5:                               ; =>This Inner Loop Header: Depth=1
	ds_read2_b64 v[114:117], v106 offset1:1
	s_waitcnt lgkmcnt(1)
	v_xor_b32_e32 v109, 0x80000000, v97
	v_xor_b32_e32 v111, 0x80000000, v99
	v_cmp_gt_f64_e32 vcc, 0, v[98:99]
	v_cmp_gt_f64_e64 s[0:1], 0, v[96:97]
	v_mov_b32_e32 v118, v96
	v_mov_b32_e32 v120, v98
	v_cndmask_b32_e64 v119, v97, v109, s[0:1]
	v_cndmask_b32_e32 v121, v99, v111, vcc
	s_waitcnt lgkmcnt(0)
	v_xor_b32_e32 v109, 0x80000000, v115
	v_xor_b32_e32 v111, 0x80000000, v117
	v_cmp_gt_f64_e32 vcc, 0, v[116:117]
	v_cmp_gt_f64_e64 s[0:1], 0, v[114:115]
	v_add_f64 v[118:119], v[118:119], v[120:121]
	v_mov_b32_e32 v120, v114
	v_mov_b32_e32 v122, v116
	v_cndmask_b32_e64 v121, v115, v109, s[0:1]
	v_cndmask_b32_e32 v123, v117, v111, vcc
	v_add_f64 v[120:121], v[120:121], v[122:123]
	v_mov_b32_e32 v113, s16
	s_add_i32 s16, s16, 1
	v_cmp_lt_f64_e32 vcc, v[118:119], v[120:121]
	v_add_u32_e32 v106, 16, v106
	s_cmp_eq_u32 s20, s16
	v_cndmask_b32_e32 v97, v97, v115, vcc
	v_cndmask_b32_e32 v96, v96, v114, vcc
	;; [unrolled: 1-line block ×5, first 2 shown]
	s_cbranch_scc0 .LBB46_5
.LBB46_6:
	s_waitcnt lgkmcnt(0)
	v_cmp_neq_f64_e32 vcc, 0, v[96:97]
	v_cmp_neq_f64_e64 s[0:1], 0, v[98:99]
	s_or_b64 s[16:17], vcc, s[0:1]
	v_mov_b32_e32 v111, 1
	v_mov_b32_e32 v113, 1
	s_and_saveexec_b64 s[0:1], s[16:17]
	s_cbranch_execz .LBB46_12
; %bb.7:
	v_cmp_ngt_f64_e64 s[16:17], |v[96:97]|, |v[98:99]|
	s_and_saveexec_b64 s[18:19], s[16:17]
	s_xor_b64 s[16:17], exec, s[18:19]
	s_cbranch_execz .LBB46_9
; %bb.8:
	v_div_scale_f64 v[114:115], s[18:19], v[98:99], v[98:99], v[96:97]
	v_rcp_f64_e32 v[116:117], v[114:115]
	v_div_scale_f64 v[118:119], vcc, v[96:97], v[98:99], v[96:97]
	v_fma_f64 v[120:121], -v[114:115], v[116:117], 1.0
	v_fmac_f64_e32 v[116:117], v[116:117], v[120:121]
	v_fma_f64 v[120:121], -v[114:115], v[116:117], 1.0
	v_fmac_f64_e32 v[116:117], v[116:117], v[120:121]
	v_mul_f64 v[120:121], v[118:119], v[116:117]
	v_fma_f64 v[114:115], -v[114:115], v[120:121], v[118:119]
	v_div_fmas_f64 v[114:115], v[114:115], v[116:117], v[120:121]
	v_div_fixup_f64 v[114:115], v[114:115], v[98:99], v[96:97]
	v_fmac_f64_e32 v[98:99], v[96:97], v[114:115]
	v_div_scale_f64 v[96:97], s[18:19], v[98:99], v[98:99], 1.0
	v_rcp_f64_e32 v[116:117], v[96:97]
	s_nop 0
	v_fma_f64 v[118:119], -v[96:97], v[116:117], 1.0
	v_fmac_f64_e32 v[116:117], v[116:117], v[118:119]
	v_fma_f64 v[118:119], -v[96:97], v[116:117], 1.0
	v_fmac_f64_e32 v[116:117], v[116:117], v[118:119]
	v_div_scale_f64 v[118:119], vcc, 1.0, v[98:99], 1.0
	v_mul_f64 v[120:121], v[118:119], v[116:117]
	v_fma_f64 v[96:97], -v[96:97], v[120:121], v[118:119]
	s_nop 1
	v_div_fmas_f64 v[96:97], v[96:97], v[116:117], v[120:121]
	v_div_fixup_f64 v[98:99], v[96:97], v[98:99], 1.0
	v_mul_f64 v[96:97], v[114:115], v[98:99]
	v_xor_b32_e32 v99, 0x80000000, v99
.LBB46_9:
	s_andn2_saveexec_b64 s[16:17], s[16:17]
	s_cbranch_execz .LBB46_11
; %bb.10:
	v_div_scale_f64 v[114:115], s[18:19], v[96:97], v[96:97], v[98:99]
	v_rcp_f64_e32 v[116:117], v[114:115]
	v_div_scale_f64 v[118:119], vcc, v[98:99], v[96:97], v[98:99]
	v_fma_f64 v[120:121], -v[114:115], v[116:117], 1.0
	v_fmac_f64_e32 v[116:117], v[116:117], v[120:121]
	v_fma_f64 v[120:121], -v[114:115], v[116:117], 1.0
	v_fmac_f64_e32 v[116:117], v[116:117], v[120:121]
	v_mul_f64 v[120:121], v[118:119], v[116:117]
	v_fma_f64 v[114:115], -v[114:115], v[120:121], v[118:119]
	v_div_fmas_f64 v[114:115], v[114:115], v[116:117], v[120:121]
	v_div_fixup_f64 v[114:115], v[114:115], v[96:97], v[98:99]
	v_fmac_f64_e32 v[96:97], v[98:99], v[114:115]
	v_div_scale_f64 v[98:99], s[18:19], v[96:97], v[96:97], 1.0
	v_rcp_f64_e32 v[116:117], v[98:99]
	s_nop 0
	v_fma_f64 v[118:119], -v[98:99], v[116:117], 1.0
	v_fmac_f64_e32 v[116:117], v[116:117], v[118:119]
	v_fma_f64 v[118:119], -v[98:99], v[116:117], 1.0
	v_fmac_f64_e32 v[116:117], v[116:117], v[118:119]
	v_div_scale_f64 v[118:119], vcc, 1.0, v[96:97], 1.0
	v_mul_f64 v[120:121], v[118:119], v[116:117]
	v_fma_f64 v[98:99], -v[98:99], v[120:121], v[118:119]
	s_nop 1
	v_div_fmas_f64 v[98:99], v[98:99], v[116:117], v[120:121]
	v_div_fixup_f64 v[96:97], v[98:99], v[96:97], 1.0
	v_mul_f64 v[98:99], v[114:115], -v[96:97]
.LBB46_11:
	s_or_b64 exec, exec, s[16:17]
	v_mov_b32_e32 v113, 0
	v_mov_b32_e32 v111, 2
.LBB46_12:
	s_or_b64 exec, exec, s[0:1]
	v_cmp_ne_u32_e32 vcc, v110, v107
	s_and_saveexec_b64 s[0:1], vcc
	s_xor_b64 s[0:1], exec, s[0:1]
	s_cbranch_execz .LBB46_18
; %bb.13:
	v_cmp_eq_u32_e32 vcc, 0, v110
	s_and_saveexec_b64 s[16:17], vcc
	s_cbranch_execz .LBB46_17
; %bb.14:
	v_cmp_ne_u32_e32 vcc, 0, v107
	s_xor_b64 s[18:19], s[14:15], -1
	s_and_b64 s[22:23], s[18:19], vcc
	s_and_saveexec_b64 s[18:19], s[22:23]
	s_cbranch_execz .LBB46_16
; %bb.15:
	v_ashrrev_i32_e32 v115, 31, v107
	v_mov_b32_e32 v114, v107
	v_lshl_add_u64 v[114:115], v[114:115], 2, v[104:105]
	global_load_dword v106, v[114:115], off
	global_load_dword v109, v[104:105], off
	s_waitcnt vmcnt(1)
	global_store_dword v[104:105], v106, off
	s_waitcnt vmcnt(1)
	global_store_dword v[114:115], v109, off
.LBB46_16:
	s_or_b64 exec, exec, s[18:19]
	v_mov_b32_e32 v110, v107
.LBB46_17:
	s_or_b64 exec, exec, s[16:17]
.LBB46_18:
	s_or_saveexec_b64 s[0:1], s[0:1]
	v_mov_b32_e32 v109, v110
	s_xor_b64 exec, exec, s[0:1]
	s_cbranch_execz .LBB46_20
; %bb.19:
	v_mov_b32_e32 v109, 0
	s_waitcnt vmcnt(22)
	ds_write2_b64 v108, v[60:61], v[62:63] offset0:2 offset1:3
	s_waitcnt vmcnt(21)
	ds_write2_b64 v108, v[88:89], v[90:91] offset0:4 offset1:5
	;; [unrolled: 2-line block ×23, first 2 shown]
.LBB46_20:
	s_or_b64 exec, exec, s[0:1]
	v_cmp_lt_i32_e32 vcc, 0, v109
	s_waitcnt lgkmcnt(0)
	s_barrier
	s_and_saveexec_b64 s[0:1], vcc
	s_cbranch_execz .LBB46_22
; %bb.21:
	ds_read2_b64 v[114:117], v108 offset0:2 offset1:3
	v_mul_f64 v[106:107], v[98:99], v[70:71]
	v_mul_f64 v[70:71], v[96:97], v[70:71]
	v_fmac_f64_e32 v[70:71], v[98:99], v[68:69]
	v_fma_f64 v[106:107], v[96:97], v[68:69], -v[106:107]
	ds_read2_b64 v[96:99], v108 offset0:4 offset1:5
	s_waitcnt lgkmcnt(1)
	v_mul_f64 v[68:69], v[116:117], v[70:71]
	v_fma_f64 v[68:69], v[114:115], v[106:107], -v[68:69]
	v_mul_f64 v[114:115], v[114:115], v[70:71]
	v_fmac_f64_e32 v[114:115], v[116:117], v[106:107]
	s_waitcnt vmcnt(22)
	v_add_f64 v[62:63], v[62:63], -v[114:115]
	ds_read2_b64 v[114:117], v108 offset0:6 offset1:7
	v_add_f64 v[60:61], v[60:61], -v[68:69]
	s_waitcnt lgkmcnt(1)
	v_mul_f64 v[68:69], v[98:99], v[70:71]
	v_fma_f64 v[68:69], v[96:97], v[106:107], -v[68:69]
	v_mul_f64 v[96:97], v[96:97], v[70:71]
	v_fmac_f64_e32 v[96:97], v[98:99], v[106:107]
	s_waitcnt vmcnt(21)
	v_add_f64 v[88:89], v[88:89], -v[68:69]
	v_add_f64 v[90:91], v[90:91], -v[96:97]
	ds_read2_b64 v[96:99], v108 offset0:8 offset1:9
	s_waitcnt lgkmcnt(1)
	v_mul_f64 v[68:69], v[116:117], v[70:71]
	v_fma_f64 v[68:69], v[114:115], v[106:107], -v[68:69]
	v_mul_f64 v[114:115], v[114:115], v[70:71]
	v_fmac_f64_e32 v[114:115], v[116:117], v[106:107]
	s_waitcnt vmcnt(20)
	v_add_f64 v[86:87], v[86:87], -v[114:115]
	ds_read2_b64 v[114:117], v108 offset0:10 offset1:11
	v_add_f64 v[84:85], v[84:85], -v[68:69]
	s_waitcnt lgkmcnt(1)
	v_mul_f64 v[68:69], v[98:99], v[70:71]
	v_fma_f64 v[68:69], v[96:97], v[106:107], -v[68:69]
	v_mul_f64 v[96:97], v[96:97], v[70:71]
	v_fmac_f64_e32 v[96:97], v[98:99], v[106:107]
	s_waitcnt vmcnt(19)
	v_add_f64 v[80:81], v[80:81], -v[68:69]
	v_add_f64 v[82:83], v[82:83], -v[96:97]
	;; [unrolled: 18-line block ×11, first 2 shown]
	s_waitcnt lgkmcnt(0)
	v_mul_f64 v[68:69], v[116:117], v[70:71]
	v_mul_f64 v[96:97], v[114:115], v[70:71]
	v_fma_f64 v[68:69], v[114:115], v[106:107], -v[68:69]
	v_fmac_f64_e32 v[96:97], v[116:117], v[106:107]
	s_waitcnt vmcnt(0)
	v_add_f64 v[92:93], v[92:93], -v[68:69]
	v_add_f64 v[94:95], v[94:95], -v[96:97]
	v_mov_b64_e32 v[68:69], v[106:107]
.LBB46_22:
	s_or_b64 exec, exec, s[0:1]
	v_lshl_add_u32 v96, v109, 4, v108
	s_barrier
	s_waitcnt vmcnt(22)
	ds_write2_b64 v96, v[60:61], v[62:63] offset1:1
	s_waitcnt lgkmcnt(0)
	s_barrier
	ds_read2_b64 v[96:99], v108 offset0:2 offset1:3
	s_cmp_lt_i32 s20, 3
	v_mov_b32_e32 v106, 1
	s_cbranch_scc1 .LBB46_25
; %bb.23:
	v_add3_u32 v107, v112, 0, 32
	s_mov_b32 s16, 2
	v_mov_b32_e32 v106, 1
.LBB46_24:                              ; =>This Inner Loop Header: Depth=1
	ds_read2_b64 v[114:117], v107 offset1:1
	s_waitcnt lgkmcnt(1)
	v_xor_b32_e32 v119, 0x80000000, v97
	v_xor_b32_e32 v121, 0x80000000, v99
	v_cmp_gt_f64_e32 vcc, 0, v[98:99]
	v_cmp_gt_f64_e64 s[0:1], 0, v[96:97]
	v_mov_b32_e32 v118, v96
	v_mov_b32_e32 v120, v98
	v_cndmask_b32_e64 v119, v97, v119, s[0:1]
	v_cndmask_b32_e32 v121, v99, v121, vcc
	v_add_f64 v[118:119], v[118:119], v[120:121]
	s_waitcnt lgkmcnt(0)
	v_xor_b32_e32 v121, 0x80000000, v115
	v_xor_b32_e32 v123, 0x80000000, v117
	v_cmp_gt_f64_e32 vcc, 0, v[116:117]
	v_cmp_gt_f64_e64 s[0:1], 0, v[114:115]
	v_mov_b32_e32 v120, v114
	v_mov_b32_e32 v122, v116
	v_cndmask_b32_e64 v121, v115, v121, s[0:1]
	v_cndmask_b32_e32 v123, v117, v123, vcc
	v_add_f64 v[120:121], v[120:121], v[122:123]
	v_mov_b32_e32 v124, s16
	s_add_i32 s16, s16, 1
	v_cmp_lt_f64_e32 vcc, v[118:119], v[120:121]
	v_add_u32_e32 v107, 16, v107
	s_cmp_lg_u32 s20, s16
	v_cndmask_b32_e32 v97, v97, v115, vcc
	v_cndmask_b32_e32 v96, v96, v114, vcc
	;; [unrolled: 1-line block ×5, first 2 shown]
	s_cbranch_scc1 .LBB46_24
.LBB46_25:
	s_waitcnt lgkmcnt(0)
	v_cmp_neq_f64_e32 vcc, 0, v[96:97]
	v_cmp_neq_f64_e64 s[0:1], 0, v[98:99]
	s_or_b64 s[16:17], vcc, s[0:1]
	s_and_saveexec_b64 s[0:1], s[16:17]
	s_cbranch_execz .LBB46_31
; %bb.26:
	v_cmp_ngt_f64_e64 s[16:17], |v[96:97]|, |v[98:99]|
	s_and_saveexec_b64 s[18:19], s[16:17]
	s_xor_b64 s[16:17], exec, s[18:19]
	s_cbranch_execz .LBB46_28
; %bb.27:
	v_div_scale_f64 v[114:115], s[18:19], v[98:99], v[98:99], v[96:97]
	v_rcp_f64_e32 v[116:117], v[114:115]
	v_div_scale_f64 v[118:119], vcc, v[96:97], v[98:99], v[96:97]
	v_fma_f64 v[120:121], -v[114:115], v[116:117], 1.0
	v_fmac_f64_e32 v[116:117], v[116:117], v[120:121]
	v_fma_f64 v[120:121], -v[114:115], v[116:117], 1.0
	v_fmac_f64_e32 v[116:117], v[116:117], v[120:121]
	v_mul_f64 v[120:121], v[118:119], v[116:117]
	v_fma_f64 v[114:115], -v[114:115], v[120:121], v[118:119]
	v_div_fmas_f64 v[114:115], v[114:115], v[116:117], v[120:121]
	v_div_fixup_f64 v[114:115], v[114:115], v[98:99], v[96:97]
	v_fmac_f64_e32 v[98:99], v[96:97], v[114:115]
	v_div_scale_f64 v[96:97], s[18:19], v[98:99], v[98:99], 1.0
	v_rcp_f64_e32 v[116:117], v[96:97]
	s_nop 0
	v_fma_f64 v[118:119], -v[96:97], v[116:117], 1.0
	v_fmac_f64_e32 v[116:117], v[116:117], v[118:119]
	v_fma_f64 v[118:119], -v[96:97], v[116:117], 1.0
	v_fmac_f64_e32 v[116:117], v[116:117], v[118:119]
	v_div_scale_f64 v[118:119], vcc, 1.0, v[98:99], 1.0
	v_mul_f64 v[120:121], v[118:119], v[116:117]
	v_fma_f64 v[96:97], -v[96:97], v[120:121], v[118:119]
	s_nop 1
	v_div_fmas_f64 v[96:97], v[96:97], v[116:117], v[120:121]
	v_div_fixup_f64 v[98:99], v[96:97], v[98:99], 1.0
	v_mul_f64 v[96:97], v[114:115], v[98:99]
	v_xor_b32_e32 v99, 0x80000000, v99
.LBB46_28:
	s_andn2_saveexec_b64 s[16:17], s[16:17]
	s_cbranch_execz .LBB46_30
; %bb.29:
	v_div_scale_f64 v[114:115], s[18:19], v[96:97], v[96:97], v[98:99]
	v_rcp_f64_e32 v[116:117], v[114:115]
	v_div_scale_f64 v[118:119], vcc, v[98:99], v[96:97], v[98:99]
	v_fma_f64 v[120:121], -v[114:115], v[116:117], 1.0
	v_fmac_f64_e32 v[116:117], v[116:117], v[120:121]
	v_fma_f64 v[120:121], -v[114:115], v[116:117], 1.0
	v_fmac_f64_e32 v[116:117], v[116:117], v[120:121]
	v_mul_f64 v[120:121], v[118:119], v[116:117]
	v_fma_f64 v[114:115], -v[114:115], v[120:121], v[118:119]
	v_div_fmas_f64 v[114:115], v[114:115], v[116:117], v[120:121]
	v_div_fixup_f64 v[114:115], v[114:115], v[96:97], v[98:99]
	v_fmac_f64_e32 v[96:97], v[98:99], v[114:115]
	v_div_scale_f64 v[98:99], s[18:19], v[96:97], v[96:97], 1.0
	v_rcp_f64_e32 v[116:117], v[98:99]
	s_nop 0
	v_fma_f64 v[118:119], -v[98:99], v[116:117], 1.0
	v_fmac_f64_e32 v[116:117], v[116:117], v[118:119]
	v_fma_f64 v[118:119], -v[98:99], v[116:117], 1.0
	v_fmac_f64_e32 v[116:117], v[116:117], v[118:119]
	v_div_scale_f64 v[118:119], vcc, 1.0, v[96:97], 1.0
	v_mul_f64 v[120:121], v[118:119], v[116:117]
	v_fma_f64 v[98:99], -v[98:99], v[120:121], v[118:119]
	s_nop 1
	v_div_fmas_f64 v[98:99], v[98:99], v[116:117], v[120:121]
	v_div_fixup_f64 v[96:97], v[98:99], v[96:97], 1.0
	v_mul_f64 v[98:99], v[114:115], -v[96:97]
.LBB46_30:
	s_or_b64 exec, exec, s[16:17]
	v_mov_b32_e32 v111, v113
.LBB46_31:
	s_or_b64 exec, exec, s[0:1]
	v_cmp_ne_u32_e32 vcc, v109, v106
	s_and_saveexec_b64 s[0:1], vcc
	s_xor_b64 s[0:1], exec, s[0:1]
	s_cbranch_execz .LBB46_37
; %bb.32:
	v_cmp_eq_u32_e32 vcc, 1, v109
	s_and_saveexec_b64 s[16:17], vcc
	s_cbranch_execz .LBB46_36
; %bb.33:
	v_cmp_ne_u32_e32 vcc, 1, v106
	s_xor_b64 s[18:19], s[14:15], -1
	s_and_b64 s[22:23], s[18:19], vcc
	s_and_saveexec_b64 s[18:19], s[22:23]
	s_cbranch_execz .LBB46_35
; %bb.34:
	v_ashrrev_i32_e32 v107, 31, v106
	v_lshl_add_u64 v[114:115], v[106:107], 2, v[104:105]
	global_load_dword v107, v[114:115], off
	global_load_dword v109, v[104:105], off offset:4
	s_waitcnt vmcnt(1)
	global_store_dword v[104:105], v107, off offset:4
	s_waitcnt vmcnt(1)
	global_store_dword v[114:115], v109, off
.LBB46_35:
	s_or_b64 exec, exec, s[18:19]
	v_mov_b32_e32 v109, v106
	v_mov_b32_e32 v110, v106
.LBB46_36:
	s_or_b64 exec, exec, s[16:17]
.LBB46_37:
	s_andn2_saveexec_b64 s[0:1], s[0:1]
	s_cbranch_execz .LBB46_39
; %bb.38:
	v_mov_b32_e32 v109, 1
	s_waitcnt vmcnt(21)
	ds_write2_b64 v108, v[88:89], v[90:91] offset0:4 offset1:5
	s_waitcnt vmcnt(20)
	ds_write2_b64 v108, v[84:85], v[86:87] offset0:6 offset1:7
	;; [unrolled: 2-line block ×22, first 2 shown]
.LBB46_39:
	s_or_b64 exec, exec, s[0:1]
	v_cmp_lt_i32_e32 vcc, 1, v109
	s_waitcnt lgkmcnt(0)
	s_barrier
	s_and_saveexec_b64 s[0:1], vcc
	s_cbranch_execz .LBB46_41
; %bb.40:
	ds_read2_b64 v[114:117], v108 offset0:4 offset1:5
	v_mul_f64 v[106:107], v[98:99], v[62:63]
	v_mul_f64 v[62:63], v[96:97], v[62:63]
	v_fma_f64 v[106:107], v[96:97], v[60:61], -v[106:107]
	v_fmac_f64_e32 v[62:63], v[98:99], v[60:61]
	ds_read2_b64 v[96:99], v108 offset0:6 offset1:7
	s_waitcnt lgkmcnt(1)
	v_mul_f64 v[60:61], v[116:117], v[62:63]
	v_fma_f64 v[60:61], v[114:115], v[106:107], -v[60:61]
	v_mul_f64 v[114:115], v[114:115], v[62:63]
	v_fmac_f64_e32 v[114:115], v[116:117], v[106:107]
	s_waitcnt vmcnt(21)
	v_add_f64 v[88:89], v[88:89], -v[60:61]
	s_waitcnt lgkmcnt(0)
	v_mul_f64 v[60:61], v[98:99], v[62:63]
	v_add_f64 v[90:91], v[90:91], -v[114:115]
	v_fma_f64 v[60:61], v[96:97], v[106:107], -v[60:61]
	v_mul_f64 v[96:97], v[96:97], v[62:63]
	ds_read2_b64 v[114:117], v108 offset0:8 offset1:9
	v_fmac_f64_e32 v[96:97], v[98:99], v[106:107]
	s_waitcnt vmcnt(20)
	v_add_f64 v[86:87], v[86:87], -v[96:97]
	ds_read2_b64 v[96:99], v108 offset0:10 offset1:11
	v_add_f64 v[84:85], v[84:85], -v[60:61]
	s_waitcnt lgkmcnt(1)
	v_mul_f64 v[60:61], v[116:117], v[62:63]
	v_fma_f64 v[60:61], v[114:115], v[106:107], -v[60:61]
	v_mul_f64 v[114:115], v[114:115], v[62:63]
	v_fmac_f64_e32 v[114:115], v[116:117], v[106:107]
	s_waitcnt vmcnt(19)
	v_add_f64 v[80:81], v[80:81], -v[60:61]
	s_waitcnt lgkmcnt(0)
	v_mul_f64 v[60:61], v[98:99], v[62:63]
	v_add_f64 v[82:83], v[82:83], -v[114:115]
	v_fma_f64 v[60:61], v[96:97], v[106:107], -v[60:61]
	v_mul_f64 v[96:97], v[96:97], v[62:63]
	ds_read2_b64 v[114:117], v108 offset0:12 offset1:13
	v_fmac_f64_e32 v[96:97], v[98:99], v[106:107]
	s_waitcnt vmcnt(18)
	v_add_f64 v[78:79], v[78:79], -v[96:97]
	ds_read2_b64 v[96:99], v108 offset0:14 offset1:15
	v_add_f64 v[76:77], v[76:77], -v[60:61]
	;; [unrolled: 18-line block ×10, first 2 shown]
	s_waitcnt lgkmcnt(1)
	v_mul_f64 v[60:61], v[116:117], v[62:63]
	v_fma_f64 v[60:61], v[114:115], v[106:107], -v[60:61]
	s_waitcnt vmcnt(1)
	v_add_f64 v[0:1], v[0:1], -v[60:61]
	s_waitcnt lgkmcnt(0)
	v_mul_f64 v[60:61], v[98:99], v[62:63]
	v_mul_f64 v[114:115], v[114:115], v[62:63]
	v_fma_f64 v[60:61], v[96:97], v[106:107], -v[60:61]
	v_mul_f64 v[96:97], v[96:97], v[62:63]
	v_fmac_f64_e32 v[114:115], v[116:117], v[106:107]
	v_fmac_f64_e32 v[96:97], v[98:99], v[106:107]
	v_add_f64 v[2:3], v[2:3], -v[114:115]
	s_waitcnt vmcnt(0)
	v_add_f64 v[92:93], v[92:93], -v[60:61]
	v_add_f64 v[94:95], v[94:95], -v[96:97]
	v_mov_b64_e32 v[60:61], v[106:107]
.LBB46_41:
	s_or_b64 exec, exec, s[0:1]
	v_lshl_add_u32 v96, v109, 4, v108
	s_barrier
	s_waitcnt vmcnt(21)
	ds_write2_b64 v96, v[88:89], v[90:91] offset1:1
	s_waitcnt lgkmcnt(0)
	s_barrier
	ds_read2_b64 v[96:99], v108 offset0:4 offset1:5
	s_cmp_lt_i32 s20, 4
	v_mov_b32_e32 v106, 2
	s_cbranch_scc1 .LBB46_44
; %bb.42:
	v_add3_u32 v107, v112, 0, 48
	s_mov_b32 s16, 3
	v_mov_b32_e32 v106, 2
.LBB46_43:                              ; =>This Inner Loop Header: Depth=1
	ds_read2_b64 v[114:117], v107 offset1:1
	s_waitcnt lgkmcnt(1)
	v_xor_b32_e32 v113, 0x80000000, v97
	v_xor_b32_e32 v121, 0x80000000, v99
	v_cmp_gt_f64_e32 vcc, 0, v[98:99]
	v_cmp_gt_f64_e64 s[0:1], 0, v[96:97]
	v_mov_b32_e32 v118, v96
	v_mov_b32_e32 v120, v98
	v_cndmask_b32_e64 v119, v97, v113, s[0:1]
	v_cndmask_b32_e32 v121, v99, v121, vcc
	s_waitcnt lgkmcnt(0)
	v_xor_b32_e32 v113, 0x80000000, v115
	v_xor_b32_e32 v123, 0x80000000, v117
	v_cmp_gt_f64_e32 vcc, 0, v[116:117]
	v_cmp_gt_f64_e64 s[0:1], 0, v[114:115]
	v_add_f64 v[118:119], v[118:119], v[120:121]
	v_mov_b32_e32 v120, v114
	v_mov_b32_e32 v122, v116
	v_cndmask_b32_e64 v121, v115, v113, s[0:1]
	v_cndmask_b32_e32 v123, v117, v123, vcc
	v_add_f64 v[120:121], v[120:121], v[122:123]
	v_mov_b32_e32 v124, s16
	s_add_i32 s16, s16, 1
	v_cmp_lt_f64_e32 vcc, v[118:119], v[120:121]
	v_add_u32_e32 v107, 16, v107
	s_cmp_lg_u32 s20, s16
	v_cndmask_b32_e32 v97, v97, v115, vcc
	v_cndmask_b32_e32 v96, v96, v114, vcc
	;; [unrolled: 1-line block ×5, first 2 shown]
	s_cbranch_scc1 .LBB46_43
.LBB46_44:
	s_waitcnt lgkmcnt(0)
	v_cmp_eq_f64_e32 vcc, 0, v[96:97]
	v_cmp_eq_f64_e64 s[0:1], 0, v[98:99]
	s_and_b64 s[0:1], vcc, s[0:1]
	s_and_saveexec_b64 s[16:17], s[0:1]
	s_xor_b64 s[0:1], exec, s[16:17]
; %bb.45:
	v_cmp_ne_u32_e32 vcc, 0, v111
	s_nop 1
	v_cndmask_b32_e32 v111, 3, v111, vcc
; %bb.46:
	s_andn2_saveexec_b64 s[0:1], s[0:1]
	s_cbranch_execz .LBB46_52
; %bb.47:
	v_cmp_ngt_f64_e64 s[16:17], |v[96:97]|, |v[98:99]|
	s_and_saveexec_b64 s[18:19], s[16:17]
	s_xor_b64 s[16:17], exec, s[18:19]
	s_cbranch_execz .LBB46_49
; %bb.48:
	v_div_scale_f64 v[114:115], s[18:19], v[98:99], v[98:99], v[96:97]
	v_rcp_f64_e32 v[116:117], v[114:115]
	v_div_scale_f64 v[118:119], vcc, v[96:97], v[98:99], v[96:97]
	v_fma_f64 v[120:121], -v[114:115], v[116:117], 1.0
	v_fmac_f64_e32 v[116:117], v[116:117], v[120:121]
	v_fma_f64 v[120:121], -v[114:115], v[116:117], 1.0
	v_fmac_f64_e32 v[116:117], v[116:117], v[120:121]
	v_mul_f64 v[120:121], v[118:119], v[116:117]
	v_fma_f64 v[114:115], -v[114:115], v[120:121], v[118:119]
	v_div_fmas_f64 v[114:115], v[114:115], v[116:117], v[120:121]
	v_div_fixup_f64 v[114:115], v[114:115], v[98:99], v[96:97]
	v_fmac_f64_e32 v[98:99], v[96:97], v[114:115]
	v_div_scale_f64 v[96:97], s[18:19], v[98:99], v[98:99], 1.0
	v_rcp_f64_e32 v[116:117], v[96:97]
	s_nop 0
	v_fma_f64 v[118:119], -v[96:97], v[116:117], 1.0
	v_fmac_f64_e32 v[116:117], v[116:117], v[118:119]
	v_fma_f64 v[118:119], -v[96:97], v[116:117], 1.0
	v_fmac_f64_e32 v[116:117], v[116:117], v[118:119]
	v_div_scale_f64 v[118:119], vcc, 1.0, v[98:99], 1.0
	v_mul_f64 v[120:121], v[118:119], v[116:117]
	v_fma_f64 v[96:97], -v[96:97], v[120:121], v[118:119]
	s_nop 1
	v_div_fmas_f64 v[96:97], v[96:97], v[116:117], v[120:121]
	v_div_fixup_f64 v[98:99], v[96:97], v[98:99], 1.0
	v_mul_f64 v[96:97], v[114:115], v[98:99]
	v_xor_b32_e32 v99, 0x80000000, v99
.LBB46_49:
	s_andn2_saveexec_b64 s[16:17], s[16:17]
	s_cbranch_execz .LBB46_51
; %bb.50:
	v_div_scale_f64 v[114:115], s[18:19], v[96:97], v[96:97], v[98:99]
	v_rcp_f64_e32 v[116:117], v[114:115]
	v_div_scale_f64 v[118:119], vcc, v[98:99], v[96:97], v[98:99]
	v_fma_f64 v[120:121], -v[114:115], v[116:117], 1.0
	v_fmac_f64_e32 v[116:117], v[116:117], v[120:121]
	v_fma_f64 v[120:121], -v[114:115], v[116:117], 1.0
	v_fmac_f64_e32 v[116:117], v[116:117], v[120:121]
	v_mul_f64 v[120:121], v[118:119], v[116:117]
	v_fma_f64 v[114:115], -v[114:115], v[120:121], v[118:119]
	v_div_fmas_f64 v[114:115], v[114:115], v[116:117], v[120:121]
	v_div_fixup_f64 v[114:115], v[114:115], v[96:97], v[98:99]
	v_fmac_f64_e32 v[96:97], v[98:99], v[114:115]
	v_div_scale_f64 v[98:99], s[18:19], v[96:97], v[96:97], 1.0
	v_rcp_f64_e32 v[116:117], v[98:99]
	s_nop 0
	v_fma_f64 v[118:119], -v[98:99], v[116:117], 1.0
	v_fmac_f64_e32 v[116:117], v[116:117], v[118:119]
	v_fma_f64 v[118:119], -v[98:99], v[116:117], 1.0
	v_fmac_f64_e32 v[116:117], v[116:117], v[118:119]
	v_div_scale_f64 v[118:119], vcc, 1.0, v[96:97], 1.0
	v_mul_f64 v[120:121], v[118:119], v[116:117]
	v_fma_f64 v[98:99], -v[98:99], v[120:121], v[118:119]
	s_nop 1
	v_div_fmas_f64 v[98:99], v[98:99], v[116:117], v[120:121]
	v_div_fixup_f64 v[96:97], v[98:99], v[96:97], 1.0
	v_mul_f64 v[98:99], v[114:115], -v[96:97]
.LBB46_51:
	s_or_b64 exec, exec, s[16:17]
.LBB46_52:
	s_or_b64 exec, exec, s[0:1]
	v_cmp_ne_u32_e32 vcc, v109, v106
	s_and_saveexec_b64 s[0:1], vcc
	s_xor_b64 s[0:1], exec, s[0:1]
	s_cbranch_execz .LBB46_58
; %bb.53:
	v_cmp_eq_u32_e32 vcc, 2, v109
	s_and_saveexec_b64 s[16:17], vcc
	s_cbranch_execz .LBB46_57
; %bb.54:
	v_cmp_ne_u32_e32 vcc, 2, v106
	s_xor_b64 s[18:19], s[14:15], -1
	s_and_b64 s[22:23], s[18:19], vcc
	s_and_saveexec_b64 s[18:19], s[22:23]
	s_cbranch_execz .LBB46_56
; %bb.55:
	v_ashrrev_i32_e32 v107, 31, v106
	v_lshl_add_u64 v[114:115], v[106:107], 2, v[104:105]
	global_load_dword v107, v[114:115], off
	global_load_dword v109, v[104:105], off offset:8
	s_waitcnt vmcnt(1)
	global_store_dword v[104:105], v107, off offset:8
	s_waitcnt vmcnt(1)
	global_store_dword v[114:115], v109, off
.LBB46_56:
	s_or_b64 exec, exec, s[18:19]
	v_mov_b32_e32 v109, v106
	v_mov_b32_e32 v110, v106
.LBB46_57:
	s_or_b64 exec, exec, s[16:17]
.LBB46_58:
	s_andn2_saveexec_b64 s[0:1], s[0:1]
	s_cbranch_execz .LBB46_60
; %bb.59:
	v_mov_b32_e32 v109, 2
	s_waitcnt vmcnt(20)
	ds_write2_b64 v108, v[84:85], v[86:87] offset0:6 offset1:7
	s_waitcnt vmcnt(19)
	ds_write2_b64 v108, v[80:81], v[82:83] offset0:8 offset1:9
	;; [unrolled: 2-line block ×21, first 2 shown]
.LBB46_60:
	s_or_b64 exec, exec, s[0:1]
	v_cmp_lt_i32_e32 vcc, 2, v109
	s_waitcnt lgkmcnt(0)
	s_barrier
	s_and_saveexec_b64 s[0:1], vcc
	s_cbranch_execz .LBB46_62
; %bb.61:
	ds_read2_b64 v[114:117], v108 offset0:6 offset1:7
	v_mul_f64 v[106:107], v[98:99], v[90:91]
	v_mul_f64 v[90:91], v[96:97], v[90:91]
	v_fmac_f64_e32 v[90:91], v[98:99], v[88:89]
	v_fma_f64 v[106:107], v[96:97], v[88:89], -v[106:107]
	ds_read2_b64 v[96:99], v108 offset0:8 offset1:9
	s_waitcnt lgkmcnt(1)
	v_mul_f64 v[88:89], v[116:117], v[90:91]
	v_fma_f64 v[88:89], v[114:115], v[106:107], -v[88:89]
	v_mul_f64 v[114:115], v[114:115], v[90:91]
	v_fmac_f64_e32 v[114:115], v[116:117], v[106:107]
	s_waitcnt vmcnt(20)
	v_add_f64 v[86:87], v[86:87], -v[114:115]
	ds_read2_b64 v[114:117], v108 offset0:10 offset1:11
	v_add_f64 v[84:85], v[84:85], -v[88:89]
	s_waitcnt lgkmcnt(1)
	v_mul_f64 v[88:89], v[98:99], v[90:91]
	v_fma_f64 v[88:89], v[96:97], v[106:107], -v[88:89]
	v_mul_f64 v[96:97], v[96:97], v[90:91]
	v_fmac_f64_e32 v[96:97], v[98:99], v[106:107]
	s_waitcnt vmcnt(19)
	v_add_f64 v[80:81], v[80:81], -v[88:89]
	v_add_f64 v[82:83], v[82:83], -v[96:97]
	ds_read2_b64 v[96:99], v108 offset0:12 offset1:13
	s_waitcnt lgkmcnt(1)
	v_mul_f64 v[88:89], v[116:117], v[90:91]
	v_fma_f64 v[88:89], v[114:115], v[106:107], -v[88:89]
	v_mul_f64 v[114:115], v[114:115], v[90:91]
	v_fmac_f64_e32 v[114:115], v[116:117], v[106:107]
	s_waitcnt vmcnt(18)
	v_add_f64 v[78:79], v[78:79], -v[114:115]
	ds_read2_b64 v[114:117], v108 offset0:14 offset1:15
	v_add_f64 v[76:77], v[76:77], -v[88:89]
	s_waitcnt lgkmcnt(1)
	v_mul_f64 v[88:89], v[98:99], v[90:91]
	v_fma_f64 v[88:89], v[96:97], v[106:107], -v[88:89]
	v_mul_f64 v[96:97], v[96:97], v[90:91]
	v_fmac_f64_e32 v[96:97], v[98:99], v[106:107]
	s_waitcnt vmcnt(17)
	v_add_f64 v[72:73], v[72:73], -v[88:89]
	v_add_f64 v[74:75], v[74:75], -v[96:97]
	;; [unrolled: 18-line block ×10, first 2 shown]
	s_waitcnt lgkmcnt(0)
	v_mul_f64 v[88:89], v[116:117], v[90:91]
	v_mul_f64 v[96:97], v[114:115], v[90:91]
	v_fma_f64 v[88:89], v[114:115], v[106:107], -v[88:89]
	v_fmac_f64_e32 v[96:97], v[116:117], v[106:107]
	s_waitcnt vmcnt(0)
	v_add_f64 v[92:93], v[92:93], -v[88:89]
	v_add_f64 v[94:95], v[94:95], -v[96:97]
	v_mov_b64_e32 v[88:89], v[106:107]
.LBB46_62:
	s_or_b64 exec, exec, s[0:1]
	v_lshl_add_u32 v96, v109, 4, v108
	s_barrier
	s_waitcnt vmcnt(20)
	ds_write2_b64 v96, v[84:85], v[86:87] offset1:1
	s_waitcnt lgkmcnt(0)
	s_barrier
	ds_read2_b64 v[96:99], v108 offset0:6 offset1:7
	s_mov_b32 s16, 4
	s_cmp_lt_i32 s20, 5
	v_mov_b32_e32 v106, 3
	s_cbranch_scc1 .LBB46_65
; %bb.63:
	v_add3_u32 v107, v112, 0, 64
	v_mov_b32_e32 v106, 3
.LBB46_64:                              ; =>This Inner Loop Header: Depth=1
	ds_read2_b64 v[112:115], v107 offset1:1
	s_waitcnt lgkmcnt(1)
	v_xor_b32_e32 v117, 0x80000000, v97
	v_xor_b32_e32 v119, 0x80000000, v99
	v_cmp_gt_f64_e32 vcc, 0, v[98:99]
	v_cmp_gt_f64_e64 s[0:1], 0, v[96:97]
	v_mov_b32_e32 v116, v96
	v_mov_b32_e32 v118, v98
	v_cndmask_b32_e64 v117, v97, v117, s[0:1]
	v_cndmask_b32_e32 v119, v99, v119, vcc
	v_add_f64 v[116:117], v[116:117], v[118:119]
	s_waitcnt lgkmcnt(0)
	v_xor_b32_e32 v119, 0x80000000, v113
	v_xor_b32_e32 v121, 0x80000000, v115
	v_cmp_gt_f64_e32 vcc, 0, v[114:115]
	v_cmp_gt_f64_e64 s[0:1], 0, v[112:113]
	v_mov_b32_e32 v118, v112
	v_mov_b32_e32 v120, v114
	v_cndmask_b32_e64 v119, v113, v119, s[0:1]
	v_cndmask_b32_e32 v121, v115, v121, vcc
	v_add_f64 v[118:119], v[118:119], v[120:121]
	v_mov_b32_e32 v122, s16
	s_add_i32 s16, s16, 1
	v_cmp_lt_f64_e32 vcc, v[116:117], v[118:119]
	v_add_u32_e32 v107, 16, v107
	s_cmp_lg_u32 s20, s16
	v_cndmask_b32_e32 v97, v97, v113, vcc
	v_cndmask_b32_e32 v96, v96, v112, vcc
	;; [unrolled: 1-line block ×5, first 2 shown]
	s_cbranch_scc1 .LBB46_64
.LBB46_65:
	s_waitcnt lgkmcnt(0)
	v_cmp_eq_f64_e32 vcc, 0, v[96:97]
	v_cmp_eq_f64_e64 s[0:1], 0, v[98:99]
	s_and_b64 s[0:1], vcc, s[0:1]
	s_and_saveexec_b64 s[16:17], s[0:1]
	s_xor_b64 s[0:1], exec, s[16:17]
; %bb.66:
	v_cmp_ne_u32_e32 vcc, 0, v111
	s_nop 1
	v_cndmask_b32_e32 v111, 4, v111, vcc
; %bb.67:
	s_andn2_saveexec_b64 s[0:1], s[0:1]
	s_cbranch_execz .LBB46_73
; %bb.68:
	v_cmp_ngt_f64_e64 s[16:17], |v[96:97]|, |v[98:99]|
	s_and_saveexec_b64 s[18:19], s[16:17]
	s_xor_b64 s[16:17], exec, s[18:19]
	s_cbranch_execz .LBB46_70
; %bb.69:
	v_div_scale_f64 v[112:113], s[18:19], v[98:99], v[98:99], v[96:97]
	v_rcp_f64_e32 v[114:115], v[112:113]
	v_div_scale_f64 v[116:117], vcc, v[96:97], v[98:99], v[96:97]
	v_fma_f64 v[118:119], -v[112:113], v[114:115], 1.0
	v_fmac_f64_e32 v[114:115], v[114:115], v[118:119]
	v_fma_f64 v[118:119], -v[112:113], v[114:115], 1.0
	v_fmac_f64_e32 v[114:115], v[114:115], v[118:119]
	v_mul_f64 v[118:119], v[116:117], v[114:115]
	v_fma_f64 v[112:113], -v[112:113], v[118:119], v[116:117]
	v_div_fmas_f64 v[112:113], v[112:113], v[114:115], v[118:119]
	v_div_fixup_f64 v[112:113], v[112:113], v[98:99], v[96:97]
	v_fmac_f64_e32 v[98:99], v[96:97], v[112:113]
	v_div_scale_f64 v[96:97], s[18:19], v[98:99], v[98:99], 1.0
	v_rcp_f64_e32 v[114:115], v[96:97]
	s_nop 0
	v_fma_f64 v[116:117], -v[96:97], v[114:115], 1.0
	v_fmac_f64_e32 v[114:115], v[114:115], v[116:117]
	v_fma_f64 v[116:117], -v[96:97], v[114:115], 1.0
	v_fmac_f64_e32 v[114:115], v[114:115], v[116:117]
	v_div_scale_f64 v[116:117], vcc, 1.0, v[98:99], 1.0
	v_mul_f64 v[118:119], v[116:117], v[114:115]
	v_fma_f64 v[96:97], -v[96:97], v[118:119], v[116:117]
	s_nop 1
	v_div_fmas_f64 v[96:97], v[96:97], v[114:115], v[118:119]
	v_div_fixup_f64 v[98:99], v[96:97], v[98:99], 1.0
	v_mul_f64 v[96:97], v[112:113], v[98:99]
	v_xor_b32_e32 v99, 0x80000000, v99
.LBB46_70:
	s_andn2_saveexec_b64 s[16:17], s[16:17]
	s_cbranch_execz .LBB46_72
; %bb.71:
	v_div_scale_f64 v[112:113], s[18:19], v[96:97], v[96:97], v[98:99]
	v_rcp_f64_e32 v[114:115], v[112:113]
	v_div_scale_f64 v[116:117], vcc, v[98:99], v[96:97], v[98:99]
	v_fma_f64 v[118:119], -v[112:113], v[114:115], 1.0
	v_fmac_f64_e32 v[114:115], v[114:115], v[118:119]
	v_fma_f64 v[118:119], -v[112:113], v[114:115], 1.0
	v_fmac_f64_e32 v[114:115], v[114:115], v[118:119]
	v_mul_f64 v[118:119], v[116:117], v[114:115]
	v_fma_f64 v[112:113], -v[112:113], v[118:119], v[116:117]
	v_div_fmas_f64 v[112:113], v[112:113], v[114:115], v[118:119]
	v_div_fixup_f64 v[112:113], v[112:113], v[96:97], v[98:99]
	v_fmac_f64_e32 v[96:97], v[98:99], v[112:113]
	v_div_scale_f64 v[98:99], s[18:19], v[96:97], v[96:97], 1.0
	v_rcp_f64_e32 v[114:115], v[98:99]
	s_nop 0
	v_fma_f64 v[116:117], -v[98:99], v[114:115], 1.0
	v_fmac_f64_e32 v[114:115], v[114:115], v[116:117]
	v_fma_f64 v[116:117], -v[98:99], v[114:115], 1.0
	v_fmac_f64_e32 v[114:115], v[114:115], v[116:117]
	v_div_scale_f64 v[116:117], vcc, 1.0, v[96:97], 1.0
	v_mul_f64 v[118:119], v[116:117], v[114:115]
	v_fma_f64 v[98:99], -v[98:99], v[118:119], v[116:117]
	s_nop 1
	v_div_fmas_f64 v[98:99], v[98:99], v[114:115], v[118:119]
	v_div_fixup_f64 v[96:97], v[98:99], v[96:97], 1.0
	v_mul_f64 v[98:99], v[112:113], -v[96:97]
.LBB46_72:
	s_or_b64 exec, exec, s[16:17]
.LBB46_73:
	s_or_b64 exec, exec, s[0:1]
	v_cmp_ne_u32_e32 vcc, v109, v106
	s_and_saveexec_b64 s[0:1], vcc
	s_xor_b64 s[0:1], exec, s[0:1]
	s_cbranch_execz .LBB46_79
; %bb.74:
	v_cmp_eq_u32_e32 vcc, 3, v109
	s_and_saveexec_b64 s[16:17], vcc
	s_cbranch_execz .LBB46_78
; %bb.75:
	v_cmp_ne_u32_e32 vcc, 3, v106
	s_xor_b64 s[18:19], s[14:15], -1
	s_and_b64 s[22:23], s[18:19], vcc
	s_and_saveexec_b64 s[18:19], s[22:23]
	s_cbranch_execz .LBB46_77
; %bb.76:
	v_ashrrev_i32_e32 v107, 31, v106
	v_lshl_add_u64 v[112:113], v[106:107], 2, v[104:105]
	global_load_dword v107, v[112:113], off
	global_load_dword v109, v[104:105], off offset:12
	s_waitcnt vmcnt(1)
	global_store_dword v[104:105], v107, off offset:12
	s_waitcnt vmcnt(1)
	global_store_dword v[112:113], v109, off
.LBB46_77:
	s_or_b64 exec, exec, s[18:19]
	v_mov_b32_e32 v109, v106
	v_mov_b32_e32 v110, v106
.LBB46_78:
	s_or_b64 exec, exec, s[16:17]
.LBB46_79:
	s_andn2_saveexec_b64 s[0:1], s[0:1]
	s_cbranch_execz .LBB46_81
; %bb.80:
	v_mov_b32_e32 v109, 3
	s_waitcnt vmcnt(19)
	ds_write2_b64 v108, v[80:81], v[82:83] offset0:8 offset1:9
	s_waitcnt vmcnt(18)
	ds_write2_b64 v108, v[76:77], v[78:79] offset0:10 offset1:11
	;; [unrolled: 2-line block ×20, first 2 shown]
.LBB46_81:
	s_or_b64 exec, exec, s[0:1]
	v_cmp_lt_i32_e32 vcc, 3, v109
	s_waitcnt lgkmcnt(0)
	s_barrier
	s_and_saveexec_b64 s[0:1], vcc
	s_cbranch_execz .LBB46_83
; %bb.82:
	ds_read2_b64 v[112:115], v108 offset0:8 offset1:9
	v_mul_f64 v[106:107], v[98:99], v[86:87]
	v_mul_f64 v[86:87], v[96:97], v[86:87]
	v_fma_f64 v[106:107], v[96:97], v[84:85], -v[106:107]
	v_fmac_f64_e32 v[86:87], v[98:99], v[84:85]
	ds_read2_b64 v[96:99], v108 offset0:10 offset1:11
	s_waitcnt lgkmcnt(1)
	v_mul_f64 v[84:85], v[114:115], v[86:87]
	v_fma_f64 v[84:85], v[112:113], v[106:107], -v[84:85]
	v_mul_f64 v[112:113], v[112:113], v[86:87]
	v_fmac_f64_e32 v[112:113], v[114:115], v[106:107]
	s_waitcnt vmcnt(19)
	v_add_f64 v[80:81], v[80:81], -v[84:85]
	s_waitcnt lgkmcnt(0)
	v_mul_f64 v[84:85], v[98:99], v[86:87]
	v_add_f64 v[82:83], v[82:83], -v[112:113]
	v_fma_f64 v[84:85], v[96:97], v[106:107], -v[84:85]
	v_mul_f64 v[96:97], v[96:97], v[86:87]
	ds_read2_b64 v[112:115], v108 offset0:12 offset1:13
	v_fmac_f64_e32 v[96:97], v[98:99], v[106:107]
	s_waitcnt vmcnt(18)
	v_add_f64 v[78:79], v[78:79], -v[96:97]
	ds_read2_b64 v[96:99], v108 offset0:14 offset1:15
	v_add_f64 v[76:77], v[76:77], -v[84:85]
	s_waitcnt lgkmcnt(1)
	v_mul_f64 v[84:85], v[114:115], v[86:87]
	v_fma_f64 v[84:85], v[112:113], v[106:107], -v[84:85]
	v_mul_f64 v[112:113], v[112:113], v[86:87]
	v_fmac_f64_e32 v[112:113], v[114:115], v[106:107]
	s_waitcnt vmcnt(17)
	v_add_f64 v[72:73], v[72:73], -v[84:85]
	s_waitcnt lgkmcnt(0)
	v_mul_f64 v[84:85], v[98:99], v[86:87]
	v_add_f64 v[74:75], v[74:75], -v[112:113]
	v_fma_f64 v[84:85], v[96:97], v[106:107], -v[84:85]
	v_mul_f64 v[96:97], v[96:97], v[86:87]
	ds_read2_b64 v[112:115], v108 offset0:16 offset1:17
	v_fmac_f64_e32 v[96:97], v[98:99], v[106:107]
	s_waitcnt vmcnt(16)
	v_add_f64 v[66:67], v[66:67], -v[96:97]
	ds_read2_b64 v[96:99], v108 offset0:18 offset1:19
	v_add_f64 v[64:65], v[64:65], -v[84:85]
	;; [unrolled: 18-line block ×9, first 2 shown]
	s_waitcnt lgkmcnt(1)
	v_mul_f64 v[84:85], v[114:115], v[86:87]
	v_fma_f64 v[84:85], v[112:113], v[106:107], -v[84:85]
	s_waitcnt vmcnt(1)
	v_add_f64 v[0:1], v[0:1], -v[84:85]
	s_waitcnt lgkmcnt(0)
	v_mul_f64 v[84:85], v[98:99], v[86:87]
	v_mul_f64 v[112:113], v[112:113], v[86:87]
	v_fma_f64 v[84:85], v[96:97], v[106:107], -v[84:85]
	v_mul_f64 v[96:97], v[96:97], v[86:87]
	v_fmac_f64_e32 v[112:113], v[114:115], v[106:107]
	v_fmac_f64_e32 v[96:97], v[98:99], v[106:107]
	v_add_f64 v[2:3], v[2:3], -v[112:113]
	s_waitcnt vmcnt(0)
	v_add_f64 v[92:93], v[92:93], -v[84:85]
	v_add_f64 v[94:95], v[94:95], -v[96:97]
	v_mov_b64_e32 v[84:85], v[106:107]
.LBB46_83:
	s_or_b64 exec, exec, s[0:1]
	v_lshl_add_u32 v96, v109, 4, v108
	s_barrier
	s_waitcnt vmcnt(19)
	ds_write2_b64 v96, v[80:81], v[82:83] offset1:1
	s_waitcnt lgkmcnt(0)
	s_barrier
	ds_read2_b64 v[96:99], v108 offset0:8 offset1:9
	s_cmp_lt_i32 s20, 6
	v_mov_b32_e32 v106, 4
	s_cbranch_scc1 .LBB46_86
; %bb.84:
	v_mov_b32_e32 v106, 4
	v_add_u32_e32 v107, 0x50, v108
	s_mov_b32 s16, 5
.LBB46_85:                              ; =>This Inner Loop Header: Depth=1
	ds_read2_b64 v[112:115], v107 offset1:1
	s_waitcnt lgkmcnt(1)
	v_xor_b32_e32 v117, 0x80000000, v97
	v_xor_b32_e32 v119, 0x80000000, v99
	v_cmp_gt_f64_e32 vcc, 0, v[98:99]
	v_cmp_gt_f64_e64 s[0:1], 0, v[96:97]
	v_mov_b32_e32 v116, v96
	v_mov_b32_e32 v118, v98
	v_cndmask_b32_e64 v117, v97, v117, s[0:1]
	v_cndmask_b32_e32 v119, v99, v119, vcc
	v_add_f64 v[116:117], v[116:117], v[118:119]
	s_waitcnt lgkmcnt(0)
	v_xor_b32_e32 v119, 0x80000000, v113
	v_xor_b32_e32 v121, 0x80000000, v115
	v_cmp_gt_f64_e32 vcc, 0, v[114:115]
	v_cmp_gt_f64_e64 s[0:1], 0, v[112:113]
	v_mov_b32_e32 v118, v112
	v_mov_b32_e32 v120, v114
	v_cndmask_b32_e64 v119, v113, v119, s[0:1]
	v_cndmask_b32_e32 v121, v115, v121, vcc
	v_add_f64 v[118:119], v[118:119], v[120:121]
	v_mov_b32_e32 v122, s16
	s_add_i32 s16, s16, 1
	v_cmp_lt_f64_e32 vcc, v[116:117], v[118:119]
	v_add_u32_e32 v107, 16, v107
	s_cmp_lg_u32 s20, s16
	v_cndmask_b32_e32 v97, v97, v113, vcc
	v_cndmask_b32_e32 v96, v96, v112, vcc
	v_cndmask_b32_e32 v99, v99, v115, vcc
	v_cndmask_b32_e32 v98, v98, v114, vcc
	v_cndmask_b32_e32 v106, v106, v122, vcc
	s_cbranch_scc1 .LBB46_85
.LBB46_86:
	s_waitcnt lgkmcnt(0)
	v_cmp_eq_f64_e32 vcc, 0, v[96:97]
	v_cmp_eq_f64_e64 s[0:1], 0, v[98:99]
	s_and_b64 s[0:1], vcc, s[0:1]
	s_and_saveexec_b64 s[16:17], s[0:1]
	s_xor_b64 s[0:1], exec, s[16:17]
; %bb.87:
	v_cmp_ne_u32_e32 vcc, 0, v111
	s_nop 1
	v_cndmask_b32_e32 v111, 5, v111, vcc
; %bb.88:
	s_andn2_saveexec_b64 s[0:1], s[0:1]
	s_cbranch_execz .LBB46_94
; %bb.89:
	v_cmp_ngt_f64_e64 s[16:17], |v[96:97]|, |v[98:99]|
	s_and_saveexec_b64 s[18:19], s[16:17]
	s_xor_b64 s[16:17], exec, s[18:19]
	s_cbranch_execz .LBB46_91
; %bb.90:
	v_div_scale_f64 v[112:113], s[18:19], v[98:99], v[98:99], v[96:97]
	v_rcp_f64_e32 v[114:115], v[112:113]
	v_div_scale_f64 v[116:117], vcc, v[96:97], v[98:99], v[96:97]
	v_fma_f64 v[118:119], -v[112:113], v[114:115], 1.0
	v_fmac_f64_e32 v[114:115], v[114:115], v[118:119]
	v_fma_f64 v[118:119], -v[112:113], v[114:115], 1.0
	v_fmac_f64_e32 v[114:115], v[114:115], v[118:119]
	v_mul_f64 v[118:119], v[116:117], v[114:115]
	v_fma_f64 v[112:113], -v[112:113], v[118:119], v[116:117]
	v_div_fmas_f64 v[112:113], v[112:113], v[114:115], v[118:119]
	v_div_fixup_f64 v[112:113], v[112:113], v[98:99], v[96:97]
	v_fmac_f64_e32 v[98:99], v[96:97], v[112:113]
	v_div_scale_f64 v[96:97], s[18:19], v[98:99], v[98:99], 1.0
	v_rcp_f64_e32 v[114:115], v[96:97]
	s_nop 0
	v_fma_f64 v[116:117], -v[96:97], v[114:115], 1.0
	v_fmac_f64_e32 v[114:115], v[114:115], v[116:117]
	v_fma_f64 v[116:117], -v[96:97], v[114:115], 1.0
	v_fmac_f64_e32 v[114:115], v[114:115], v[116:117]
	v_div_scale_f64 v[116:117], vcc, 1.0, v[98:99], 1.0
	v_mul_f64 v[118:119], v[116:117], v[114:115]
	v_fma_f64 v[96:97], -v[96:97], v[118:119], v[116:117]
	s_nop 1
	v_div_fmas_f64 v[96:97], v[96:97], v[114:115], v[118:119]
	v_div_fixup_f64 v[98:99], v[96:97], v[98:99], 1.0
	v_mul_f64 v[96:97], v[112:113], v[98:99]
	v_xor_b32_e32 v99, 0x80000000, v99
.LBB46_91:
	s_andn2_saveexec_b64 s[16:17], s[16:17]
	s_cbranch_execz .LBB46_93
; %bb.92:
	v_div_scale_f64 v[112:113], s[18:19], v[96:97], v[96:97], v[98:99]
	v_rcp_f64_e32 v[114:115], v[112:113]
	v_div_scale_f64 v[116:117], vcc, v[98:99], v[96:97], v[98:99]
	v_fma_f64 v[118:119], -v[112:113], v[114:115], 1.0
	v_fmac_f64_e32 v[114:115], v[114:115], v[118:119]
	v_fma_f64 v[118:119], -v[112:113], v[114:115], 1.0
	v_fmac_f64_e32 v[114:115], v[114:115], v[118:119]
	v_mul_f64 v[118:119], v[116:117], v[114:115]
	v_fma_f64 v[112:113], -v[112:113], v[118:119], v[116:117]
	v_div_fmas_f64 v[112:113], v[112:113], v[114:115], v[118:119]
	v_div_fixup_f64 v[112:113], v[112:113], v[96:97], v[98:99]
	v_fmac_f64_e32 v[96:97], v[98:99], v[112:113]
	v_div_scale_f64 v[98:99], s[18:19], v[96:97], v[96:97], 1.0
	v_rcp_f64_e32 v[114:115], v[98:99]
	s_nop 0
	v_fma_f64 v[116:117], -v[98:99], v[114:115], 1.0
	v_fmac_f64_e32 v[114:115], v[114:115], v[116:117]
	v_fma_f64 v[116:117], -v[98:99], v[114:115], 1.0
	v_fmac_f64_e32 v[114:115], v[114:115], v[116:117]
	v_div_scale_f64 v[116:117], vcc, 1.0, v[96:97], 1.0
	v_mul_f64 v[118:119], v[116:117], v[114:115]
	v_fma_f64 v[98:99], -v[98:99], v[118:119], v[116:117]
	s_nop 1
	v_div_fmas_f64 v[98:99], v[98:99], v[114:115], v[118:119]
	v_div_fixup_f64 v[96:97], v[98:99], v[96:97], 1.0
	v_mul_f64 v[98:99], v[112:113], -v[96:97]
.LBB46_93:
	s_or_b64 exec, exec, s[16:17]
.LBB46_94:
	s_or_b64 exec, exec, s[0:1]
	v_cmp_ne_u32_e32 vcc, v109, v106
	s_and_saveexec_b64 s[0:1], vcc
	s_xor_b64 s[0:1], exec, s[0:1]
	s_cbranch_execz .LBB46_100
; %bb.95:
	v_cmp_eq_u32_e32 vcc, 4, v109
	s_and_saveexec_b64 s[16:17], vcc
	s_cbranch_execz .LBB46_99
; %bb.96:
	v_cmp_ne_u32_e32 vcc, 4, v106
	s_xor_b64 s[18:19], s[14:15], -1
	s_and_b64 s[22:23], s[18:19], vcc
	s_and_saveexec_b64 s[18:19], s[22:23]
	s_cbranch_execz .LBB46_98
; %bb.97:
	v_ashrrev_i32_e32 v107, 31, v106
	v_lshl_add_u64 v[112:113], v[106:107], 2, v[104:105]
	global_load_dword v107, v[112:113], off
	global_load_dword v109, v[104:105], off offset:16
	s_waitcnt vmcnt(1)
	global_store_dword v[104:105], v107, off offset:16
	s_waitcnt vmcnt(1)
	global_store_dword v[112:113], v109, off
.LBB46_98:
	s_or_b64 exec, exec, s[18:19]
	v_mov_b32_e32 v109, v106
	v_mov_b32_e32 v110, v106
.LBB46_99:
	s_or_b64 exec, exec, s[16:17]
.LBB46_100:
	s_andn2_saveexec_b64 s[0:1], s[0:1]
	s_cbranch_execz .LBB46_102
; %bb.101:
	v_mov_b32_e32 v109, 4
	s_waitcnt vmcnt(18)
	ds_write2_b64 v108, v[76:77], v[78:79] offset0:10 offset1:11
	s_waitcnt vmcnt(17)
	ds_write2_b64 v108, v[72:73], v[74:75] offset0:12 offset1:13
	;; [unrolled: 2-line block ×19, first 2 shown]
.LBB46_102:
	s_or_b64 exec, exec, s[0:1]
	v_cmp_lt_i32_e32 vcc, 4, v109
	s_waitcnt lgkmcnt(0)
	s_barrier
	s_and_saveexec_b64 s[0:1], vcc
	s_cbranch_execz .LBB46_104
; %bb.103:
	ds_read2_b64 v[112:115], v108 offset0:10 offset1:11
	v_mul_f64 v[106:107], v[98:99], v[82:83]
	v_mul_f64 v[82:83], v[96:97], v[82:83]
	v_fmac_f64_e32 v[82:83], v[98:99], v[80:81]
	v_fma_f64 v[106:107], v[96:97], v[80:81], -v[106:107]
	ds_read2_b64 v[96:99], v108 offset0:12 offset1:13
	s_waitcnt lgkmcnt(1)
	v_mul_f64 v[80:81], v[114:115], v[82:83]
	v_fma_f64 v[80:81], v[112:113], v[106:107], -v[80:81]
	v_mul_f64 v[112:113], v[112:113], v[82:83]
	v_fmac_f64_e32 v[112:113], v[114:115], v[106:107]
	s_waitcnt vmcnt(18)
	v_add_f64 v[78:79], v[78:79], -v[112:113]
	ds_read2_b64 v[112:115], v108 offset0:14 offset1:15
	v_add_f64 v[76:77], v[76:77], -v[80:81]
	s_waitcnt lgkmcnt(1)
	v_mul_f64 v[80:81], v[98:99], v[82:83]
	v_fma_f64 v[80:81], v[96:97], v[106:107], -v[80:81]
	v_mul_f64 v[96:97], v[96:97], v[82:83]
	v_fmac_f64_e32 v[96:97], v[98:99], v[106:107]
	s_waitcnt vmcnt(17)
	v_add_f64 v[72:73], v[72:73], -v[80:81]
	v_add_f64 v[74:75], v[74:75], -v[96:97]
	ds_read2_b64 v[96:99], v108 offset0:16 offset1:17
	s_waitcnt lgkmcnt(1)
	v_mul_f64 v[80:81], v[114:115], v[82:83]
	v_fma_f64 v[80:81], v[112:113], v[106:107], -v[80:81]
	v_mul_f64 v[112:113], v[112:113], v[82:83]
	v_fmac_f64_e32 v[112:113], v[114:115], v[106:107]
	s_waitcnt vmcnt(16)
	v_add_f64 v[66:67], v[66:67], -v[112:113]
	ds_read2_b64 v[112:115], v108 offset0:18 offset1:19
	v_add_f64 v[64:65], v[64:65], -v[80:81]
	s_waitcnt lgkmcnt(1)
	v_mul_f64 v[80:81], v[98:99], v[82:83]
	v_fma_f64 v[80:81], v[96:97], v[106:107], -v[80:81]
	v_mul_f64 v[96:97], v[96:97], v[82:83]
	v_fmac_f64_e32 v[96:97], v[98:99], v[106:107]
	s_waitcnt vmcnt(15)
	v_add_f64 v[56:57], v[56:57], -v[80:81]
	v_add_f64 v[58:59], v[58:59], -v[96:97]
	;; [unrolled: 18-line block ×9, first 2 shown]
	s_waitcnt lgkmcnt(0)
	v_mul_f64 v[80:81], v[114:115], v[82:83]
	v_mul_f64 v[96:97], v[112:113], v[82:83]
	v_fma_f64 v[80:81], v[112:113], v[106:107], -v[80:81]
	v_fmac_f64_e32 v[96:97], v[114:115], v[106:107]
	s_waitcnt vmcnt(0)
	v_add_f64 v[92:93], v[92:93], -v[80:81]
	v_add_f64 v[94:95], v[94:95], -v[96:97]
	v_mov_b64_e32 v[80:81], v[106:107]
.LBB46_104:
	s_or_b64 exec, exec, s[0:1]
	v_lshl_add_u32 v96, v109, 4, v108
	s_barrier
	s_waitcnt vmcnt(18)
	ds_write2_b64 v96, v[76:77], v[78:79] offset1:1
	s_waitcnt lgkmcnt(0)
	s_barrier
	ds_read2_b64 v[96:99], v108 offset0:10 offset1:11
	s_cmp_lt_i32 s20, 7
	v_mov_b32_e32 v106, 5
	s_cbranch_scc1 .LBB46_107
; %bb.105:
	v_add_u32_e32 v107, 0x60, v108
	s_mov_b32 s16, 6
	v_mov_b32_e32 v106, 5
.LBB46_106:                             ; =>This Inner Loop Header: Depth=1
	ds_read2_b64 v[112:115], v107 offset1:1
	s_waitcnt lgkmcnt(1)
	v_xor_b32_e32 v117, 0x80000000, v97
	v_xor_b32_e32 v119, 0x80000000, v99
	v_cmp_gt_f64_e32 vcc, 0, v[98:99]
	v_cmp_gt_f64_e64 s[0:1], 0, v[96:97]
	v_mov_b32_e32 v116, v96
	v_mov_b32_e32 v118, v98
	v_cndmask_b32_e64 v117, v97, v117, s[0:1]
	v_cndmask_b32_e32 v119, v99, v119, vcc
	v_add_f64 v[116:117], v[116:117], v[118:119]
	s_waitcnt lgkmcnt(0)
	v_xor_b32_e32 v119, 0x80000000, v113
	v_xor_b32_e32 v121, 0x80000000, v115
	v_cmp_gt_f64_e32 vcc, 0, v[114:115]
	v_cmp_gt_f64_e64 s[0:1], 0, v[112:113]
	v_mov_b32_e32 v118, v112
	v_mov_b32_e32 v120, v114
	v_cndmask_b32_e64 v119, v113, v119, s[0:1]
	v_cndmask_b32_e32 v121, v115, v121, vcc
	v_add_f64 v[118:119], v[118:119], v[120:121]
	v_mov_b32_e32 v122, s16
	s_add_i32 s16, s16, 1
	v_cmp_lt_f64_e32 vcc, v[116:117], v[118:119]
	v_add_u32_e32 v107, 16, v107
	s_cmp_lg_u32 s20, s16
	v_cndmask_b32_e32 v97, v97, v113, vcc
	v_cndmask_b32_e32 v96, v96, v112, vcc
	;; [unrolled: 1-line block ×5, first 2 shown]
	s_cbranch_scc1 .LBB46_106
.LBB46_107:
	s_waitcnt lgkmcnt(0)
	v_cmp_eq_f64_e32 vcc, 0, v[96:97]
	v_cmp_eq_f64_e64 s[0:1], 0, v[98:99]
	s_and_b64 s[0:1], vcc, s[0:1]
	s_and_saveexec_b64 s[16:17], s[0:1]
	s_xor_b64 s[0:1], exec, s[16:17]
; %bb.108:
	v_cmp_ne_u32_e32 vcc, 0, v111
	s_nop 1
	v_cndmask_b32_e32 v111, 6, v111, vcc
; %bb.109:
	s_andn2_saveexec_b64 s[0:1], s[0:1]
	s_cbranch_execz .LBB46_115
; %bb.110:
	v_cmp_ngt_f64_e64 s[16:17], |v[96:97]|, |v[98:99]|
	s_and_saveexec_b64 s[18:19], s[16:17]
	s_xor_b64 s[16:17], exec, s[18:19]
	s_cbranch_execz .LBB46_112
; %bb.111:
	v_div_scale_f64 v[112:113], s[18:19], v[98:99], v[98:99], v[96:97]
	v_rcp_f64_e32 v[114:115], v[112:113]
	v_div_scale_f64 v[116:117], vcc, v[96:97], v[98:99], v[96:97]
	v_fma_f64 v[118:119], -v[112:113], v[114:115], 1.0
	v_fmac_f64_e32 v[114:115], v[114:115], v[118:119]
	v_fma_f64 v[118:119], -v[112:113], v[114:115], 1.0
	v_fmac_f64_e32 v[114:115], v[114:115], v[118:119]
	v_mul_f64 v[118:119], v[116:117], v[114:115]
	v_fma_f64 v[112:113], -v[112:113], v[118:119], v[116:117]
	v_div_fmas_f64 v[112:113], v[112:113], v[114:115], v[118:119]
	v_div_fixup_f64 v[112:113], v[112:113], v[98:99], v[96:97]
	v_fmac_f64_e32 v[98:99], v[96:97], v[112:113]
	v_div_scale_f64 v[96:97], s[18:19], v[98:99], v[98:99], 1.0
	v_rcp_f64_e32 v[114:115], v[96:97]
	s_nop 0
	v_fma_f64 v[116:117], -v[96:97], v[114:115], 1.0
	v_fmac_f64_e32 v[114:115], v[114:115], v[116:117]
	v_fma_f64 v[116:117], -v[96:97], v[114:115], 1.0
	v_fmac_f64_e32 v[114:115], v[114:115], v[116:117]
	v_div_scale_f64 v[116:117], vcc, 1.0, v[98:99], 1.0
	v_mul_f64 v[118:119], v[116:117], v[114:115]
	v_fma_f64 v[96:97], -v[96:97], v[118:119], v[116:117]
	s_nop 1
	v_div_fmas_f64 v[96:97], v[96:97], v[114:115], v[118:119]
	v_div_fixup_f64 v[98:99], v[96:97], v[98:99], 1.0
	v_mul_f64 v[96:97], v[112:113], v[98:99]
	v_xor_b32_e32 v99, 0x80000000, v99
.LBB46_112:
	s_andn2_saveexec_b64 s[16:17], s[16:17]
	s_cbranch_execz .LBB46_114
; %bb.113:
	v_div_scale_f64 v[112:113], s[18:19], v[96:97], v[96:97], v[98:99]
	v_rcp_f64_e32 v[114:115], v[112:113]
	v_div_scale_f64 v[116:117], vcc, v[98:99], v[96:97], v[98:99]
	v_fma_f64 v[118:119], -v[112:113], v[114:115], 1.0
	v_fmac_f64_e32 v[114:115], v[114:115], v[118:119]
	v_fma_f64 v[118:119], -v[112:113], v[114:115], 1.0
	v_fmac_f64_e32 v[114:115], v[114:115], v[118:119]
	v_mul_f64 v[118:119], v[116:117], v[114:115]
	v_fma_f64 v[112:113], -v[112:113], v[118:119], v[116:117]
	v_div_fmas_f64 v[112:113], v[112:113], v[114:115], v[118:119]
	v_div_fixup_f64 v[112:113], v[112:113], v[96:97], v[98:99]
	v_fmac_f64_e32 v[96:97], v[98:99], v[112:113]
	v_div_scale_f64 v[98:99], s[18:19], v[96:97], v[96:97], 1.0
	v_rcp_f64_e32 v[114:115], v[98:99]
	s_nop 0
	v_fma_f64 v[116:117], -v[98:99], v[114:115], 1.0
	v_fmac_f64_e32 v[114:115], v[114:115], v[116:117]
	v_fma_f64 v[116:117], -v[98:99], v[114:115], 1.0
	v_fmac_f64_e32 v[114:115], v[114:115], v[116:117]
	v_div_scale_f64 v[116:117], vcc, 1.0, v[96:97], 1.0
	v_mul_f64 v[118:119], v[116:117], v[114:115]
	v_fma_f64 v[98:99], -v[98:99], v[118:119], v[116:117]
	s_nop 1
	v_div_fmas_f64 v[98:99], v[98:99], v[114:115], v[118:119]
	v_div_fixup_f64 v[96:97], v[98:99], v[96:97], 1.0
	v_mul_f64 v[98:99], v[112:113], -v[96:97]
.LBB46_114:
	s_or_b64 exec, exec, s[16:17]
.LBB46_115:
	s_or_b64 exec, exec, s[0:1]
	v_cmp_ne_u32_e32 vcc, v109, v106
	s_and_saveexec_b64 s[0:1], vcc
	s_xor_b64 s[0:1], exec, s[0:1]
	s_cbranch_execz .LBB46_121
; %bb.116:
	v_cmp_eq_u32_e32 vcc, 5, v109
	s_and_saveexec_b64 s[16:17], vcc
	s_cbranch_execz .LBB46_120
; %bb.117:
	v_cmp_ne_u32_e32 vcc, 5, v106
	s_xor_b64 s[18:19], s[14:15], -1
	s_and_b64 s[22:23], s[18:19], vcc
	s_and_saveexec_b64 s[18:19], s[22:23]
	s_cbranch_execz .LBB46_119
; %bb.118:
	v_ashrrev_i32_e32 v107, 31, v106
	v_lshl_add_u64 v[112:113], v[106:107], 2, v[104:105]
	global_load_dword v107, v[112:113], off
	global_load_dword v109, v[104:105], off offset:20
	s_waitcnt vmcnt(1)
	global_store_dword v[104:105], v107, off offset:20
	s_waitcnt vmcnt(1)
	global_store_dword v[112:113], v109, off
.LBB46_119:
	s_or_b64 exec, exec, s[18:19]
	v_mov_b32_e32 v109, v106
	v_mov_b32_e32 v110, v106
.LBB46_120:
	s_or_b64 exec, exec, s[16:17]
.LBB46_121:
	s_andn2_saveexec_b64 s[0:1], s[0:1]
	s_cbranch_execz .LBB46_123
; %bb.122:
	v_mov_b32_e32 v109, 5
	s_waitcnt vmcnt(17)
	ds_write2_b64 v108, v[72:73], v[74:75] offset0:12 offset1:13
	s_waitcnt vmcnt(16)
	ds_write2_b64 v108, v[64:65], v[66:67] offset0:14 offset1:15
	;; [unrolled: 2-line block ×18, first 2 shown]
.LBB46_123:
	s_or_b64 exec, exec, s[0:1]
	v_cmp_lt_i32_e32 vcc, 5, v109
	s_waitcnt lgkmcnt(0)
	s_barrier
	s_and_saveexec_b64 s[0:1], vcc
	s_cbranch_execz .LBB46_125
; %bb.124:
	ds_read2_b64 v[112:115], v108 offset0:12 offset1:13
	v_mul_f64 v[106:107], v[98:99], v[78:79]
	v_mul_f64 v[78:79], v[96:97], v[78:79]
	v_fma_f64 v[106:107], v[96:97], v[76:77], -v[106:107]
	v_fmac_f64_e32 v[78:79], v[98:99], v[76:77]
	ds_read2_b64 v[96:99], v108 offset0:14 offset1:15
	s_waitcnt lgkmcnt(1)
	v_mul_f64 v[76:77], v[114:115], v[78:79]
	v_fma_f64 v[76:77], v[112:113], v[106:107], -v[76:77]
	v_mul_f64 v[112:113], v[112:113], v[78:79]
	v_fmac_f64_e32 v[112:113], v[114:115], v[106:107]
	s_waitcnt vmcnt(17)
	v_add_f64 v[72:73], v[72:73], -v[76:77]
	s_waitcnt lgkmcnt(0)
	v_mul_f64 v[76:77], v[98:99], v[78:79]
	v_add_f64 v[74:75], v[74:75], -v[112:113]
	v_fma_f64 v[76:77], v[96:97], v[106:107], -v[76:77]
	v_mul_f64 v[96:97], v[96:97], v[78:79]
	ds_read2_b64 v[112:115], v108 offset0:16 offset1:17
	v_fmac_f64_e32 v[96:97], v[98:99], v[106:107]
	s_waitcnt vmcnt(16)
	v_add_f64 v[66:67], v[66:67], -v[96:97]
	ds_read2_b64 v[96:99], v108 offset0:18 offset1:19
	v_add_f64 v[64:65], v[64:65], -v[76:77]
	s_waitcnt lgkmcnt(1)
	v_mul_f64 v[76:77], v[114:115], v[78:79]
	v_fma_f64 v[76:77], v[112:113], v[106:107], -v[76:77]
	v_mul_f64 v[112:113], v[112:113], v[78:79]
	v_fmac_f64_e32 v[112:113], v[114:115], v[106:107]
	s_waitcnt vmcnt(15)
	v_add_f64 v[56:57], v[56:57], -v[76:77]
	s_waitcnt lgkmcnt(0)
	v_mul_f64 v[76:77], v[98:99], v[78:79]
	v_add_f64 v[58:59], v[58:59], -v[112:113]
	v_fma_f64 v[76:77], v[96:97], v[106:107], -v[76:77]
	v_mul_f64 v[96:97], v[96:97], v[78:79]
	ds_read2_b64 v[112:115], v108 offset0:20 offset1:21
	v_fmac_f64_e32 v[96:97], v[98:99], v[106:107]
	s_waitcnt vmcnt(14)
	v_add_f64 v[54:55], v[54:55], -v[96:97]
	ds_read2_b64 v[96:99], v108 offset0:22 offset1:23
	v_add_f64 v[52:53], v[52:53], -v[76:77]
	;; [unrolled: 18-line block ×8, first 2 shown]
	s_waitcnt lgkmcnt(1)
	v_mul_f64 v[76:77], v[114:115], v[78:79]
	v_fma_f64 v[76:77], v[112:113], v[106:107], -v[76:77]
	s_waitcnt vmcnt(1)
	v_add_f64 v[0:1], v[0:1], -v[76:77]
	s_waitcnt lgkmcnt(0)
	v_mul_f64 v[76:77], v[98:99], v[78:79]
	v_mul_f64 v[112:113], v[112:113], v[78:79]
	v_fma_f64 v[76:77], v[96:97], v[106:107], -v[76:77]
	v_mul_f64 v[96:97], v[96:97], v[78:79]
	v_fmac_f64_e32 v[112:113], v[114:115], v[106:107]
	v_fmac_f64_e32 v[96:97], v[98:99], v[106:107]
	v_add_f64 v[2:3], v[2:3], -v[112:113]
	s_waitcnt vmcnt(0)
	v_add_f64 v[92:93], v[92:93], -v[76:77]
	v_add_f64 v[94:95], v[94:95], -v[96:97]
	v_mov_b64_e32 v[76:77], v[106:107]
.LBB46_125:
	s_or_b64 exec, exec, s[0:1]
	v_lshl_add_u32 v96, v109, 4, v108
	s_barrier
	s_waitcnt vmcnt(17)
	ds_write2_b64 v96, v[72:73], v[74:75] offset1:1
	s_waitcnt lgkmcnt(0)
	s_barrier
	ds_read2_b64 v[96:99], v108 offset0:12 offset1:13
	s_cmp_lt_i32 s20, 8
	v_mov_b32_e32 v106, 6
	s_cbranch_scc1 .LBB46_128
; %bb.126:
	v_add_u32_e32 v107, 0x70, v108
	s_mov_b32 s16, 7
	v_mov_b32_e32 v106, 6
.LBB46_127:                             ; =>This Inner Loop Header: Depth=1
	ds_read2_b64 v[112:115], v107 offset1:1
	s_waitcnt lgkmcnt(1)
	v_xor_b32_e32 v117, 0x80000000, v97
	v_xor_b32_e32 v119, 0x80000000, v99
	v_cmp_gt_f64_e32 vcc, 0, v[98:99]
	v_cmp_gt_f64_e64 s[0:1], 0, v[96:97]
	v_mov_b32_e32 v116, v96
	v_mov_b32_e32 v118, v98
	v_cndmask_b32_e64 v117, v97, v117, s[0:1]
	v_cndmask_b32_e32 v119, v99, v119, vcc
	v_add_f64 v[116:117], v[116:117], v[118:119]
	s_waitcnt lgkmcnt(0)
	v_xor_b32_e32 v119, 0x80000000, v113
	v_xor_b32_e32 v121, 0x80000000, v115
	v_cmp_gt_f64_e32 vcc, 0, v[114:115]
	v_cmp_gt_f64_e64 s[0:1], 0, v[112:113]
	v_mov_b32_e32 v118, v112
	v_mov_b32_e32 v120, v114
	v_cndmask_b32_e64 v119, v113, v119, s[0:1]
	v_cndmask_b32_e32 v121, v115, v121, vcc
	v_add_f64 v[118:119], v[118:119], v[120:121]
	v_mov_b32_e32 v122, s16
	s_add_i32 s16, s16, 1
	v_cmp_lt_f64_e32 vcc, v[116:117], v[118:119]
	v_add_u32_e32 v107, 16, v107
	s_cmp_lg_u32 s20, s16
	v_cndmask_b32_e32 v97, v97, v113, vcc
	v_cndmask_b32_e32 v96, v96, v112, vcc
	;; [unrolled: 1-line block ×5, first 2 shown]
	s_cbranch_scc1 .LBB46_127
.LBB46_128:
	s_waitcnt lgkmcnt(0)
	v_cmp_eq_f64_e32 vcc, 0, v[96:97]
	v_cmp_eq_f64_e64 s[0:1], 0, v[98:99]
	s_and_b64 s[0:1], vcc, s[0:1]
	s_and_saveexec_b64 s[16:17], s[0:1]
	s_xor_b64 s[0:1], exec, s[16:17]
; %bb.129:
	v_cmp_ne_u32_e32 vcc, 0, v111
	s_nop 1
	v_cndmask_b32_e32 v111, 7, v111, vcc
; %bb.130:
	s_andn2_saveexec_b64 s[0:1], s[0:1]
	s_cbranch_execz .LBB46_136
; %bb.131:
	v_cmp_ngt_f64_e64 s[16:17], |v[96:97]|, |v[98:99]|
	s_and_saveexec_b64 s[18:19], s[16:17]
	s_xor_b64 s[16:17], exec, s[18:19]
	s_cbranch_execz .LBB46_133
; %bb.132:
	v_div_scale_f64 v[112:113], s[18:19], v[98:99], v[98:99], v[96:97]
	v_rcp_f64_e32 v[114:115], v[112:113]
	v_div_scale_f64 v[116:117], vcc, v[96:97], v[98:99], v[96:97]
	v_fma_f64 v[118:119], -v[112:113], v[114:115], 1.0
	v_fmac_f64_e32 v[114:115], v[114:115], v[118:119]
	v_fma_f64 v[118:119], -v[112:113], v[114:115], 1.0
	v_fmac_f64_e32 v[114:115], v[114:115], v[118:119]
	v_mul_f64 v[118:119], v[116:117], v[114:115]
	v_fma_f64 v[112:113], -v[112:113], v[118:119], v[116:117]
	v_div_fmas_f64 v[112:113], v[112:113], v[114:115], v[118:119]
	v_div_fixup_f64 v[112:113], v[112:113], v[98:99], v[96:97]
	v_fmac_f64_e32 v[98:99], v[96:97], v[112:113]
	v_div_scale_f64 v[96:97], s[18:19], v[98:99], v[98:99], 1.0
	v_rcp_f64_e32 v[114:115], v[96:97]
	s_nop 0
	v_fma_f64 v[116:117], -v[96:97], v[114:115], 1.0
	v_fmac_f64_e32 v[114:115], v[114:115], v[116:117]
	v_fma_f64 v[116:117], -v[96:97], v[114:115], 1.0
	v_fmac_f64_e32 v[114:115], v[114:115], v[116:117]
	v_div_scale_f64 v[116:117], vcc, 1.0, v[98:99], 1.0
	v_mul_f64 v[118:119], v[116:117], v[114:115]
	v_fma_f64 v[96:97], -v[96:97], v[118:119], v[116:117]
	s_nop 1
	v_div_fmas_f64 v[96:97], v[96:97], v[114:115], v[118:119]
	v_div_fixup_f64 v[98:99], v[96:97], v[98:99], 1.0
	v_mul_f64 v[96:97], v[112:113], v[98:99]
	v_xor_b32_e32 v99, 0x80000000, v99
.LBB46_133:
	s_andn2_saveexec_b64 s[16:17], s[16:17]
	s_cbranch_execz .LBB46_135
; %bb.134:
	v_div_scale_f64 v[112:113], s[18:19], v[96:97], v[96:97], v[98:99]
	v_rcp_f64_e32 v[114:115], v[112:113]
	v_div_scale_f64 v[116:117], vcc, v[98:99], v[96:97], v[98:99]
	v_fma_f64 v[118:119], -v[112:113], v[114:115], 1.0
	v_fmac_f64_e32 v[114:115], v[114:115], v[118:119]
	v_fma_f64 v[118:119], -v[112:113], v[114:115], 1.0
	v_fmac_f64_e32 v[114:115], v[114:115], v[118:119]
	v_mul_f64 v[118:119], v[116:117], v[114:115]
	v_fma_f64 v[112:113], -v[112:113], v[118:119], v[116:117]
	v_div_fmas_f64 v[112:113], v[112:113], v[114:115], v[118:119]
	v_div_fixup_f64 v[112:113], v[112:113], v[96:97], v[98:99]
	v_fmac_f64_e32 v[96:97], v[98:99], v[112:113]
	v_div_scale_f64 v[98:99], s[18:19], v[96:97], v[96:97], 1.0
	v_rcp_f64_e32 v[114:115], v[98:99]
	s_nop 0
	v_fma_f64 v[116:117], -v[98:99], v[114:115], 1.0
	v_fmac_f64_e32 v[114:115], v[114:115], v[116:117]
	v_fma_f64 v[116:117], -v[98:99], v[114:115], 1.0
	v_fmac_f64_e32 v[114:115], v[114:115], v[116:117]
	v_div_scale_f64 v[116:117], vcc, 1.0, v[96:97], 1.0
	v_mul_f64 v[118:119], v[116:117], v[114:115]
	v_fma_f64 v[98:99], -v[98:99], v[118:119], v[116:117]
	s_nop 1
	v_div_fmas_f64 v[98:99], v[98:99], v[114:115], v[118:119]
	v_div_fixup_f64 v[96:97], v[98:99], v[96:97], 1.0
	v_mul_f64 v[98:99], v[112:113], -v[96:97]
.LBB46_135:
	s_or_b64 exec, exec, s[16:17]
.LBB46_136:
	s_or_b64 exec, exec, s[0:1]
	v_cmp_ne_u32_e32 vcc, v109, v106
	s_and_saveexec_b64 s[0:1], vcc
	s_xor_b64 s[0:1], exec, s[0:1]
	s_cbranch_execz .LBB46_142
; %bb.137:
	v_cmp_eq_u32_e32 vcc, 6, v109
	s_and_saveexec_b64 s[16:17], vcc
	s_cbranch_execz .LBB46_141
; %bb.138:
	v_cmp_ne_u32_e32 vcc, 6, v106
	s_xor_b64 s[18:19], s[14:15], -1
	s_and_b64 s[22:23], s[18:19], vcc
	s_and_saveexec_b64 s[18:19], s[22:23]
	s_cbranch_execz .LBB46_140
; %bb.139:
	v_ashrrev_i32_e32 v107, 31, v106
	v_lshl_add_u64 v[112:113], v[106:107], 2, v[104:105]
	global_load_dword v107, v[112:113], off
	global_load_dword v109, v[104:105], off offset:24
	s_waitcnt vmcnt(1)
	global_store_dword v[104:105], v107, off offset:24
	s_waitcnt vmcnt(1)
	global_store_dword v[112:113], v109, off
.LBB46_140:
	s_or_b64 exec, exec, s[18:19]
	v_mov_b32_e32 v109, v106
	v_mov_b32_e32 v110, v106
.LBB46_141:
	s_or_b64 exec, exec, s[16:17]
.LBB46_142:
	s_andn2_saveexec_b64 s[0:1], s[0:1]
	s_cbranch_execz .LBB46_144
; %bb.143:
	v_mov_b32_e32 v109, 6
	s_waitcnt vmcnt(16)
	ds_write2_b64 v108, v[64:65], v[66:67] offset0:14 offset1:15
	s_waitcnt vmcnt(15)
	ds_write2_b64 v108, v[56:57], v[58:59] offset0:16 offset1:17
	;; [unrolled: 2-line block ×17, first 2 shown]
.LBB46_144:
	s_or_b64 exec, exec, s[0:1]
	v_cmp_lt_i32_e32 vcc, 6, v109
	s_waitcnt lgkmcnt(0)
	s_barrier
	s_and_saveexec_b64 s[0:1], vcc
	s_cbranch_execz .LBB46_146
; %bb.145:
	ds_read2_b64 v[112:115], v108 offset0:14 offset1:15
	v_mul_f64 v[106:107], v[98:99], v[74:75]
	v_mul_f64 v[74:75], v[96:97], v[74:75]
	v_fmac_f64_e32 v[74:75], v[98:99], v[72:73]
	v_fma_f64 v[106:107], v[96:97], v[72:73], -v[106:107]
	ds_read2_b64 v[96:99], v108 offset0:16 offset1:17
	s_waitcnt lgkmcnt(1)
	v_mul_f64 v[72:73], v[114:115], v[74:75]
	v_fma_f64 v[72:73], v[112:113], v[106:107], -v[72:73]
	v_mul_f64 v[112:113], v[112:113], v[74:75]
	v_fmac_f64_e32 v[112:113], v[114:115], v[106:107]
	s_waitcnt vmcnt(16)
	v_add_f64 v[66:67], v[66:67], -v[112:113]
	ds_read2_b64 v[112:115], v108 offset0:18 offset1:19
	v_add_f64 v[64:65], v[64:65], -v[72:73]
	s_waitcnt lgkmcnt(1)
	v_mul_f64 v[72:73], v[98:99], v[74:75]
	v_fma_f64 v[72:73], v[96:97], v[106:107], -v[72:73]
	v_mul_f64 v[96:97], v[96:97], v[74:75]
	v_fmac_f64_e32 v[96:97], v[98:99], v[106:107]
	s_waitcnt vmcnt(15)
	v_add_f64 v[56:57], v[56:57], -v[72:73]
	v_add_f64 v[58:59], v[58:59], -v[96:97]
	ds_read2_b64 v[96:99], v108 offset0:20 offset1:21
	s_waitcnt lgkmcnt(1)
	v_mul_f64 v[72:73], v[114:115], v[74:75]
	v_fma_f64 v[72:73], v[112:113], v[106:107], -v[72:73]
	v_mul_f64 v[112:113], v[112:113], v[74:75]
	v_fmac_f64_e32 v[112:113], v[114:115], v[106:107]
	s_waitcnt vmcnt(14)
	v_add_f64 v[54:55], v[54:55], -v[112:113]
	ds_read2_b64 v[112:115], v108 offset0:22 offset1:23
	v_add_f64 v[52:53], v[52:53], -v[72:73]
	s_waitcnt lgkmcnt(1)
	v_mul_f64 v[72:73], v[98:99], v[74:75]
	v_fma_f64 v[72:73], v[96:97], v[106:107], -v[72:73]
	v_mul_f64 v[96:97], v[96:97], v[74:75]
	v_fmac_f64_e32 v[96:97], v[98:99], v[106:107]
	s_waitcnt vmcnt(13)
	v_add_f64 v[48:49], v[48:49], -v[72:73]
	v_add_f64 v[50:51], v[50:51], -v[96:97]
	;; [unrolled: 18-line block ×8, first 2 shown]
	s_waitcnt lgkmcnt(0)
	v_mul_f64 v[72:73], v[114:115], v[74:75]
	v_mul_f64 v[96:97], v[112:113], v[74:75]
	v_fma_f64 v[72:73], v[112:113], v[106:107], -v[72:73]
	v_fmac_f64_e32 v[96:97], v[114:115], v[106:107]
	s_waitcnt vmcnt(0)
	v_add_f64 v[92:93], v[92:93], -v[72:73]
	v_add_f64 v[94:95], v[94:95], -v[96:97]
	v_mov_b64_e32 v[72:73], v[106:107]
.LBB46_146:
	s_or_b64 exec, exec, s[0:1]
	v_lshl_add_u32 v96, v109, 4, v108
	s_barrier
	s_waitcnt vmcnt(16)
	ds_write2_b64 v96, v[64:65], v[66:67] offset1:1
	s_waitcnt lgkmcnt(0)
	s_barrier
	ds_read2_b64 v[96:99], v108 offset0:14 offset1:15
	s_cmp_lt_i32 s20, 9
	v_mov_b32_e32 v106, 7
	s_cbranch_scc1 .LBB46_149
; %bb.147:
	v_add_u32_e32 v107, 0x80, v108
	s_mov_b32 s16, 8
	v_mov_b32_e32 v106, 7
.LBB46_148:                             ; =>This Inner Loop Header: Depth=1
	ds_read2_b64 v[112:115], v107 offset1:1
	s_waitcnt lgkmcnt(1)
	v_xor_b32_e32 v117, 0x80000000, v97
	v_xor_b32_e32 v119, 0x80000000, v99
	v_cmp_gt_f64_e32 vcc, 0, v[98:99]
	v_cmp_gt_f64_e64 s[0:1], 0, v[96:97]
	v_mov_b32_e32 v116, v96
	v_mov_b32_e32 v118, v98
	v_cndmask_b32_e64 v117, v97, v117, s[0:1]
	v_cndmask_b32_e32 v119, v99, v119, vcc
	v_add_f64 v[116:117], v[116:117], v[118:119]
	s_waitcnt lgkmcnt(0)
	v_xor_b32_e32 v119, 0x80000000, v113
	v_xor_b32_e32 v121, 0x80000000, v115
	v_cmp_gt_f64_e32 vcc, 0, v[114:115]
	v_cmp_gt_f64_e64 s[0:1], 0, v[112:113]
	v_mov_b32_e32 v118, v112
	v_mov_b32_e32 v120, v114
	v_cndmask_b32_e64 v119, v113, v119, s[0:1]
	v_cndmask_b32_e32 v121, v115, v121, vcc
	v_add_f64 v[118:119], v[118:119], v[120:121]
	v_mov_b32_e32 v122, s16
	s_add_i32 s16, s16, 1
	v_cmp_lt_f64_e32 vcc, v[116:117], v[118:119]
	v_add_u32_e32 v107, 16, v107
	s_cmp_lg_u32 s20, s16
	v_cndmask_b32_e32 v97, v97, v113, vcc
	v_cndmask_b32_e32 v96, v96, v112, vcc
	v_cndmask_b32_e32 v99, v99, v115, vcc
	v_cndmask_b32_e32 v98, v98, v114, vcc
	v_cndmask_b32_e32 v106, v106, v122, vcc
	s_cbranch_scc1 .LBB46_148
.LBB46_149:
	s_waitcnt lgkmcnt(0)
	v_cmp_eq_f64_e32 vcc, 0, v[96:97]
	v_cmp_eq_f64_e64 s[0:1], 0, v[98:99]
	s_and_b64 s[0:1], vcc, s[0:1]
	s_and_saveexec_b64 s[16:17], s[0:1]
	s_xor_b64 s[0:1], exec, s[16:17]
; %bb.150:
	v_cmp_ne_u32_e32 vcc, 0, v111
	s_nop 1
	v_cndmask_b32_e32 v111, 8, v111, vcc
; %bb.151:
	s_andn2_saveexec_b64 s[0:1], s[0:1]
	s_cbranch_execz .LBB46_157
; %bb.152:
	v_cmp_ngt_f64_e64 s[16:17], |v[96:97]|, |v[98:99]|
	s_and_saveexec_b64 s[18:19], s[16:17]
	s_xor_b64 s[16:17], exec, s[18:19]
	s_cbranch_execz .LBB46_154
; %bb.153:
	v_div_scale_f64 v[112:113], s[18:19], v[98:99], v[98:99], v[96:97]
	v_rcp_f64_e32 v[114:115], v[112:113]
	v_div_scale_f64 v[116:117], vcc, v[96:97], v[98:99], v[96:97]
	v_fma_f64 v[118:119], -v[112:113], v[114:115], 1.0
	v_fmac_f64_e32 v[114:115], v[114:115], v[118:119]
	v_fma_f64 v[118:119], -v[112:113], v[114:115], 1.0
	v_fmac_f64_e32 v[114:115], v[114:115], v[118:119]
	v_mul_f64 v[118:119], v[116:117], v[114:115]
	v_fma_f64 v[112:113], -v[112:113], v[118:119], v[116:117]
	v_div_fmas_f64 v[112:113], v[112:113], v[114:115], v[118:119]
	v_div_fixup_f64 v[112:113], v[112:113], v[98:99], v[96:97]
	v_fmac_f64_e32 v[98:99], v[96:97], v[112:113]
	v_div_scale_f64 v[96:97], s[18:19], v[98:99], v[98:99], 1.0
	v_rcp_f64_e32 v[114:115], v[96:97]
	s_nop 0
	v_fma_f64 v[116:117], -v[96:97], v[114:115], 1.0
	v_fmac_f64_e32 v[114:115], v[114:115], v[116:117]
	v_fma_f64 v[116:117], -v[96:97], v[114:115], 1.0
	v_fmac_f64_e32 v[114:115], v[114:115], v[116:117]
	v_div_scale_f64 v[116:117], vcc, 1.0, v[98:99], 1.0
	v_mul_f64 v[118:119], v[116:117], v[114:115]
	v_fma_f64 v[96:97], -v[96:97], v[118:119], v[116:117]
	s_nop 1
	v_div_fmas_f64 v[96:97], v[96:97], v[114:115], v[118:119]
	v_div_fixup_f64 v[98:99], v[96:97], v[98:99], 1.0
	v_mul_f64 v[96:97], v[112:113], v[98:99]
	v_xor_b32_e32 v99, 0x80000000, v99
.LBB46_154:
	s_andn2_saveexec_b64 s[16:17], s[16:17]
	s_cbranch_execz .LBB46_156
; %bb.155:
	v_div_scale_f64 v[112:113], s[18:19], v[96:97], v[96:97], v[98:99]
	v_rcp_f64_e32 v[114:115], v[112:113]
	v_div_scale_f64 v[116:117], vcc, v[98:99], v[96:97], v[98:99]
	v_fma_f64 v[118:119], -v[112:113], v[114:115], 1.0
	v_fmac_f64_e32 v[114:115], v[114:115], v[118:119]
	v_fma_f64 v[118:119], -v[112:113], v[114:115], 1.0
	v_fmac_f64_e32 v[114:115], v[114:115], v[118:119]
	v_mul_f64 v[118:119], v[116:117], v[114:115]
	v_fma_f64 v[112:113], -v[112:113], v[118:119], v[116:117]
	v_div_fmas_f64 v[112:113], v[112:113], v[114:115], v[118:119]
	v_div_fixup_f64 v[112:113], v[112:113], v[96:97], v[98:99]
	v_fmac_f64_e32 v[96:97], v[98:99], v[112:113]
	v_div_scale_f64 v[98:99], s[18:19], v[96:97], v[96:97], 1.0
	v_rcp_f64_e32 v[114:115], v[98:99]
	s_nop 0
	v_fma_f64 v[116:117], -v[98:99], v[114:115], 1.0
	v_fmac_f64_e32 v[114:115], v[114:115], v[116:117]
	v_fma_f64 v[116:117], -v[98:99], v[114:115], 1.0
	v_fmac_f64_e32 v[114:115], v[114:115], v[116:117]
	v_div_scale_f64 v[116:117], vcc, 1.0, v[96:97], 1.0
	v_mul_f64 v[118:119], v[116:117], v[114:115]
	v_fma_f64 v[98:99], -v[98:99], v[118:119], v[116:117]
	s_nop 1
	v_div_fmas_f64 v[98:99], v[98:99], v[114:115], v[118:119]
	v_div_fixup_f64 v[96:97], v[98:99], v[96:97], 1.0
	v_mul_f64 v[98:99], v[112:113], -v[96:97]
.LBB46_156:
	s_or_b64 exec, exec, s[16:17]
.LBB46_157:
	s_or_b64 exec, exec, s[0:1]
	v_cmp_ne_u32_e32 vcc, v109, v106
	s_and_saveexec_b64 s[0:1], vcc
	s_xor_b64 s[0:1], exec, s[0:1]
	s_cbranch_execz .LBB46_163
; %bb.158:
	v_cmp_eq_u32_e32 vcc, 7, v109
	s_and_saveexec_b64 s[16:17], vcc
	s_cbranch_execz .LBB46_162
; %bb.159:
	v_cmp_ne_u32_e32 vcc, 7, v106
	s_xor_b64 s[18:19], s[14:15], -1
	s_and_b64 s[22:23], s[18:19], vcc
	s_and_saveexec_b64 s[18:19], s[22:23]
	s_cbranch_execz .LBB46_161
; %bb.160:
	v_ashrrev_i32_e32 v107, 31, v106
	v_lshl_add_u64 v[112:113], v[106:107], 2, v[104:105]
	global_load_dword v107, v[112:113], off
	global_load_dword v109, v[104:105], off offset:28
	s_waitcnt vmcnt(1)
	global_store_dword v[104:105], v107, off offset:28
	s_waitcnt vmcnt(1)
	global_store_dword v[112:113], v109, off
.LBB46_161:
	s_or_b64 exec, exec, s[18:19]
	v_mov_b32_e32 v109, v106
	v_mov_b32_e32 v110, v106
.LBB46_162:
	s_or_b64 exec, exec, s[16:17]
.LBB46_163:
	s_andn2_saveexec_b64 s[0:1], s[0:1]
	s_cbranch_execz .LBB46_165
; %bb.164:
	v_mov_b32_e32 v109, 7
	s_waitcnt vmcnt(15)
	ds_write2_b64 v108, v[56:57], v[58:59] offset0:16 offset1:17
	s_waitcnt vmcnt(14)
	ds_write2_b64 v108, v[52:53], v[54:55] offset0:18 offset1:19
	;; [unrolled: 2-line block ×16, first 2 shown]
.LBB46_165:
	s_or_b64 exec, exec, s[0:1]
	v_cmp_lt_i32_e32 vcc, 7, v109
	s_waitcnt lgkmcnt(0)
	s_barrier
	s_and_saveexec_b64 s[0:1], vcc
	s_cbranch_execz .LBB46_167
; %bb.166:
	ds_read2_b64 v[112:115], v108 offset0:16 offset1:17
	v_mul_f64 v[106:107], v[96:97], v[66:67]
	v_mul_f64 v[66:67], v[98:99], v[66:67]
	v_fmac_f64_e32 v[106:107], v[98:99], v[64:65]
	v_fma_f64 v[64:65], v[96:97], v[64:65], -v[66:67]
	ds_read2_b64 v[96:99], v108 offset0:18 offset1:19
	s_waitcnt lgkmcnt(1)
	v_mul_f64 v[66:67], v[114:115], v[106:107]
	v_fma_f64 v[66:67], v[112:113], v[64:65], -v[66:67]
	v_mul_f64 v[112:113], v[112:113], v[106:107]
	v_fmac_f64_e32 v[112:113], v[114:115], v[64:65]
	s_waitcnt vmcnt(15)
	v_add_f64 v[56:57], v[56:57], -v[66:67]
	s_waitcnt lgkmcnt(0)
	v_mul_f64 v[66:67], v[98:99], v[106:107]
	v_add_f64 v[58:59], v[58:59], -v[112:113]
	v_fma_f64 v[66:67], v[96:97], v[64:65], -v[66:67]
	v_mul_f64 v[96:97], v[96:97], v[106:107]
	ds_read2_b64 v[112:115], v108 offset0:20 offset1:21
	v_fmac_f64_e32 v[96:97], v[98:99], v[64:65]
	s_waitcnt vmcnt(14)
	v_add_f64 v[54:55], v[54:55], -v[96:97]
	ds_read2_b64 v[96:99], v108 offset0:22 offset1:23
	v_add_f64 v[52:53], v[52:53], -v[66:67]
	s_waitcnt lgkmcnt(1)
	v_mul_f64 v[66:67], v[114:115], v[106:107]
	v_fma_f64 v[66:67], v[112:113], v[64:65], -v[66:67]
	v_mul_f64 v[112:113], v[112:113], v[106:107]
	v_fmac_f64_e32 v[112:113], v[114:115], v[64:65]
	s_waitcnt vmcnt(13)
	v_add_f64 v[48:49], v[48:49], -v[66:67]
	s_waitcnt lgkmcnt(0)
	v_mul_f64 v[66:67], v[98:99], v[106:107]
	v_add_f64 v[50:51], v[50:51], -v[112:113]
	v_fma_f64 v[66:67], v[96:97], v[64:65], -v[66:67]
	v_mul_f64 v[96:97], v[96:97], v[106:107]
	ds_read2_b64 v[112:115], v108 offset0:24 offset1:25
	v_fmac_f64_e32 v[96:97], v[98:99], v[64:65]
	s_waitcnt vmcnt(12)
	v_add_f64 v[46:47], v[46:47], -v[96:97]
	ds_read2_b64 v[96:99], v108 offset0:26 offset1:27
	v_add_f64 v[44:45], v[44:45], -v[66:67]
	;; [unrolled: 18-line block ×7, first 2 shown]
	s_waitcnt lgkmcnt(1)
	v_mul_f64 v[66:67], v[114:115], v[106:107]
	v_fma_f64 v[66:67], v[112:113], v[64:65], -v[66:67]
	s_waitcnt vmcnt(1)
	v_add_f64 v[0:1], v[0:1], -v[66:67]
	s_waitcnt lgkmcnt(0)
	v_mul_f64 v[66:67], v[98:99], v[106:107]
	v_mul_f64 v[112:113], v[112:113], v[106:107]
	v_fma_f64 v[66:67], v[96:97], v[64:65], -v[66:67]
	v_mul_f64 v[96:97], v[96:97], v[106:107]
	v_fmac_f64_e32 v[112:113], v[114:115], v[64:65]
	v_fmac_f64_e32 v[96:97], v[98:99], v[64:65]
	v_add_f64 v[2:3], v[2:3], -v[112:113]
	s_waitcnt vmcnt(0)
	v_add_f64 v[92:93], v[92:93], -v[66:67]
	v_add_f64 v[94:95], v[94:95], -v[96:97]
	v_mov_b64_e32 v[66:67], v[106:107]
.LBB46_167:
	s_or_b64 exec, exec, s[0:1]
	v_lshl_add_u32 v96, v109, 4, v108
	s_barrier
	s_waitcnt vmcnt(15)
	ds_write2_b64 v96, v[56:57], v[58:59] offset1:1
	s_waitcnt lgkmcnt(0)
	s_barrier
	ds_read2_b64 v[96:99], v108 offset0:16 offset1:17
	s_cmp_lt_i32 s20, 10
	v_mov_b32_e32 v106, 8
	s_cbranch_scc1 .LBB46_170
; %bb.168:
	v_add_u32_e32 v107, 0x90, v108
	s_mov_b32 s16, 9
	v_mov_b32_e32 v106, 8
.LBB46_169:                             ; =>This Inner Loop Header: Depth=1
	ds_read2_b64 v[112:115], v107 offset1:1
	s_waitcnt lgkmcnt(1)
	v_xor_b32_e32 v117, 0x80000000, v97
	v_xor_b32_e32 v119, 0x80000000, v99
	v_cmp_gt_f64_e32 vcc, 0, v[98:99]
	v_cmp_gt_f64_e64 s[0:1], 0, v[96:97]
	v_mov_b32_e32 v116, v96
	v_mov_b32_e32 v118, v98
	v_cndmask_b32_e64 v117, v97, v117, s[0:1]
	v_cndmask_b32_e32 v119, v99, v119, vcc
	v_add_f64 v[116:117], v[116:117], v[118:119]
	s_waitcnt lgkmcnt(0)
	v_xor_b32_e32 v119, 0x80000000, v113
	v_xor_b32_e32 v121, 0x80000000, v115
	v_cmp_gt_f64_e32 vcc, 0, v[114:115]
	v_cmp_gt_f64_e64 s[0:1], 0, v[112:113]
	v_mov_b32_e32 v118, v112
	v_mov_b32_e32 v120, v114
	v_cndmask_b32_e64 v119, v113, v119, s[0:1]
	v_cndmask_b32_e32 v121, v115, v121, vcc
	v_add_f64 v[118:119], v[118:119], v[120:121]
	v_mov_b32_e32 v122, s16
	s_add_i32 s16, s16, 1
	v_cmp_lt_f64_e32 vcc, v[116:117], v[118:119]
	v_add_u32_e32 v107, 16, v107
	s_cmp_lg_u32 s20, s16
	v_cndmask_b32_e32 v97, v97, v113, vcc
	v_cndmask_b32_e32 v96, v96, v112, vcc
	;; [unrolled: 1-line block ×5, first 2 shown]
	s_cbranch_scc1 .LBB46_169
.LBB46_170:
	s_waitcnt lgkmcnt(0)
	v_cmp_eq_f64_e32 vcc, 0, v[96:97]
	v_cmp_eq_f64_e64 s[0:1], 0, v[98:99]
	s_and_b64 s[0:1], vcc, s[0:1]
	s_and_saveexec_b64 s[16:17], s[0:1]
	s_xor_b64 s[0:1], exec, s[16:17]
; %bb.171:
	v_cmp_ne_u32_e32 vcc, 0, v111
	s_nop 1
	v_cndmask_b32_e32 v111, 9, v111, vcc
; %bb.172:
	s_andn2_saveexec_b64 s[0:1], s[0:1]
	s_cbranch_execz .LBB46_178
; %bb.173:
	v_cmp_ngt_f64_e64 s[16:17], |v[96:97]|, |v[98:99]|
	s_and_saveexec_b64 s[18:19], s[16:17]
	s_xor_b64 s[16:17], exec, s[18:19]
	s_cbranch_execz .LBB46_175
; %bb.174:
	v_div_scale_f64 v[112:113], s[18:19], v[98:99], v[98:99], v[96:97]
	v_rcp_f64_e32 v[114:115], v[112:113]
	v_div_scale_f64 v[116:117], vcc, v[96:97], v[98:99], v[96:97]
	v_fma_f64 v[118:119], -v[112:113], v[114:115], 1.0
	v_fmac_f64_e32 v[114:115], v[114:115], v[118:119]
	v_fma_f64 v[118:119], -v[112:113], v[114:115], 1.0
	v_fmac_f64_e32 v[114:115], v[114:115], v[118:119]
	v_mul_f64 v[118:119], v[116:117], v[114:115]
	v_fma_f64 v[112:113], -v[112:113], v[118:119], v[116:117]
	v_div_fmas_f64 v[112:113], v[112:113], v[114:115], v[118:119]
	v_div_fixup_f64 v[112:113], v[112:113], v[98:99], v[96:97]
	v_fmac_f64_e32 v[98:99], v[96:97], v[112:113]
	v_div_scale_f64 v[96:97], s[18:19], v[98:99], v[98:99], 1.0
	v_rcp_f64_e32 v[114:115], v[96:97]
	s_nop 0
	v_fma_f64 v[116:117], -v[96:97], v[114:115], 1.0
	v_fmac_f64_e32 v[114:115], v[114:115], v[116:117]
	v_fma_f64 v[116:117], -v[96:97], v[114:115], 1.0
	v_fmac_f64_e32 v[114:115], v[114:115], v[116:117]
	v_div_scale_f64 v[116:117], vcc, 1.0, v[98:99], 1.0
	v_mul_f64 v[118:119], v[116:117], v[114:115]
	v_fma_f64 v[96:97], -v[96:97], v[118:119], v[116:117]
	s_nop 1
	v_div_fmas_f64 v[96:97], v[96:97], v[114:115], v[118:119]
	v_div_fixup_f64 v[98:99], v[96:97], v[98:99], 1.0
	v_mul_f64 v[96:97], v[112:113], v[98:99]
	v_xor_b32_e32 v99, 0x80000000, v99
.LBB46_175:
	s_andn2_saveexec_b64 s[16:17], s[16:17]
	s_cbranch_execz .LBB46_177
; %bb.176:
	v_div_scale_f64 v[112:113], s[18:19], v[96:97], v[96:97], v[98:99]
	v_rcp_f64_e32 v[114:115], v[112:113]
	v_div_scale_f64 v[116:117], vcc, v[98:99], v[96:97], v[98:99]
	v_fma_f64 v[118:119], -v[112:113], v[114:115], 1.0
	v_fmac_f64_e32 v[114:115], v[114:115], v[118:119]
	v_fma_f64 v[118:119], -v[112:113], v[114:115], 1.0
	v_fmac_f64_e32 v[114:115], v[114:115], v[118:119]
	v_mul_f64 v[118:119], v[116:117], v[114:115]
	v_fma_f64 v[112:113], -v[112:113], v[118:119], v[116:117]
	v_div_fmas_f64 v[112:113], v[112:113], v[114:115], v[118:119]
	v_div_fixup_f64 v[112:113], v[112:113], v[96:97], v[98:99]
	v_fmac_f64_e32 v[96:97], v[98:99], v[112:113]
	v_div_scale_f64 v[98:99], s[18:19], v[96:97], v[96:97], 1.0
	v_rcp_f64_e32 v[114:115], v[98:99]
	s_nop 0
	v_fma_f64 v[116:117], -v[98:99], v[114:115], 1.0
	v_fmac_f64_e32 v[114:115], v[114:115], v[116:117]
	v_fma_f64 v[116:117], -v[98:99], v[114:115], 1.0
	v_fmac_f64_e32 v[114:115], v[114:115], v[116:117]
	v_div_scale_f64 v[116:117], vcc, 1.0, v[96:97], 1.0
	v_mul_f64 v[118:119], v[116:117], v[114:115]
	v_fma_f64 v[98:99], -v[98:99], v[118:119], v[116:117]
	s_nop 1
	v_div_fmas_f64 v[98:99], v[98:99], v[114:115], v[118:119]
	v_div_fixup_f64 v[96:97], v[98:99], v[96:97], 1.0
	v_mul_f64 v[98:99], v[112:113], -v[96:97]
.LBB46_177:
	s_or_b64 exec, exec, s[16:17]
.LBB46_178:
	s_or_b64 exec, exec, s[0:1]
	v_cmp_ne_u32_e32 vcc, v109, v106
	s_and_saveexec_b64 s[0:1], vcc
	s_xor_b64 s[0:1], exec, s[0:1]
	s_cbranch_execz .LBB46_184
; %bb.179:
	v_cmp_eq_u32_e32 vcc, 8, v109
	s_and_saveexec_b64 s[16:17], vcc
	s_cbranch_execz .LBB46_183
; %bb.180:
	v_cmp_ne_u32_e32 vcc, 8, v106
	s_xor_b64 s[18:19], s[14:15], -1
	s_and_b64 s[22:23], s[18:19], vcc
	s_and_saveexec_b64 s[18:19], s[22:23]
	s_cbranch_execz .LBB46_182
; %bb.181:
	v_ashrrev_i32_e32 v107, 31, v106
	v_lshl_add_u64 v[112:113], v[106:107], 2, v[104:105]
	global_load_dword v107, v[112:113], off
	global_load_dword v109, v[104:105], off offset:32
	s_waitcnt vmcnt(1)
	global_store_dword v[104:105], v107, off offset:32
	s_waitcnt vmcnt(1)
	global_store_dword v[112:113], v109, off
.LBB46_182:
	s_or_b64 exec, exec, s[18:19]
	v_mov_b32_e32 v109, v106
	v_mov_b32_e32 v110, v106
.LBB46_183:
	s_or_b64 exec, exec, s[16:17]
.LBB46_184:
	s_andn2_saveexec_b64 s[0:1], s[0:1]
	s_cbranch_execz .LBB46_186
; %bb.185:
	v_mov_b32_e32 v109, 8
	s_waitcnt vmcnt(14)
	ds_write2_b64 v108, v[52:53], v[54:55] offset0:18 offset1:19
	s_waitcnt vmcnt(13)
	ds_write2_b64 v108, v[48:49], v[50:51] offset0:20 offset1:21
	;; [unrolled: 2-line block ×15, first 2 shown]
.LBB46_186:
	s_or_b64 exec, exec, s[0:1]
	v_cmp_lt_i32_e32 vcc, 8, v109
	s_waitcnt lgkmcnt(0)
	s_barrier
	s_and_saveexec_b64 s[0:1], vcc
	s_cbranch_execz .LBB46_188
; %bb.187:
	ds_read2_b64 v[112:115], v108 offset0:18 offset1:19
	v_mul_f64 v[106:107], v[96:97], v[58:59]
	v_fmac_f64_e32 v[106:107], v[98:99], v[56:57]
	v_mul_f64 v[58:59], v[98:99], v[58:59]
	v_fma_f64 v[56:57], v[96:97], v[56:57], -v[58:59]
	ds_read2_b64 v[96:99], v108 offset0:20 offset1:21
	s_waitcnt lgkmcnt(1)
	v_mul_f64 v[58:59], v[114:115], v[106:107]
	v_fma_f64 v[58:59], v[112:113], v[56:57], -v[58:59]
	v_mul_f64 v[112:113], v[112:113], v[106:107]
	v_fmac_f64_e32 v[112:113], v[114:115], v[56:57]
	s_waitcnt vmcnt(14)
	v_add_f64 v[54:55], v[54:55], -v[112:113]
	ds_read2_b64 v[112:115], v108 offset0:22 offset1:23
	v_add_f64 v[52:53], v[52:53], -v[58:59]
	s_waitcnt lgkmcnt(1)
	v_mul_f64 v[58:59], v[98:99], v[106:107]
	v_fma_f64 v[58:59], v[96:97], v[56:57], -v[58:59]
	v_mul_f64 v[96:97], v[96:97], v[106:107]
	v_fmac_f64_e32 v[96:97], v[98:99], v[56:57]
	s_waitcnt vmcnt(13)
	v_add_f64 v[48:49], v[48:49], -v[58:59]
	v_add_f64 v[50:51], v[50:51], -v[96:97]
	ds_read2_b64 v[96:99], v108 offset0:24 offset1:25
	s_waitcnt lgkmcnt(1)
	v_mul_f64 v[58:59], v[114:115], v[106:107]
	v_fma_f64 v[58:59], v[112:113], v[56:57], -v[58:59]
	v_mul_f64 v[112:113], v[112:113], v[106:107]
	v_fmac_f64_e32 v[112:113], v[114:115], v[56:57]
	s_waitcnt vmcnt(12)
	v_add_f64 v[46:47], v[46:47], -v[112:113]
	ds_read2_b64 v[112:115], v108 offset0:26 offset1:27
	v_add_f64 v[44:45], v[44:45], -v[58:59]
	s_waitcnt lgkmcnt(1)
	v_mul_f64 v[58:59], v[98:99], v[106:107]
	v_fma_f64 v[58:59], v[96:97], v[56:57], -v[58:59]
	v_mul_f64 v[96:97], v[96:97], v[106:107]
	v_fmac_f64_e32 v[96:97], v[98:99], v[56:57]
	s_waitcnt vmcnt(11)
	v_add_f64 v[40:41], v[40:41], -v[58:59]
	v_add_f64 v[42:43], v[42:43], -v[96:97]
	;; [unrolled: 18-line block ×7, first 2 shown]
	s_waitcnt lgkmcnt(0)
	v_mul_f64 v[58:59], v[114:115], v[106:107]
	v_mul_f64 v[96:97], v[112:113], v[106:107]
	v_fma_f64 v[58:59], v[112:113], v[56:57], -v[58:59]
	v_fmac_f64_e32 v[96:97], v[114:115], v[56:57]
	s_waitcnt vmcnt(0)
	v_add_f64 v[92:93], v[92:93], -v[58:59]
	v_add_f64 v[94:95], v[94:95], -v[96:97]
	v_mov_b64_e32 v[58:59], v[106:107]
.LBB46_188:
	s_or_b64 exec, exec, s[0:1]
	v_lshl_add_u32 v96, v109, 4, v108
	s_barrier
	s_waitcnt vmcnt(14)
	ds_write2_b64 v96, v[52:53], v[54:55] offset1:1
	s_waitcnt lgkmcnt(0)
	s_barrier
	ds_read2_b64 v[96:99], v108 offset0:18 offset1:19
	s_cmp_lt_i32 s20, 11
	v_mov_b32_e32 v106, 9
	s_cbranch_scc1 .LBB46_191
; %bb.189:
	v_add_u32_e32 v107, 0xa0, v108
	s_mov_b32 s16, 10
	v_mov_b32_e32 v106, 9
.LBB46_190:                             ; =>This Inner Loop Header: Depth=1
	ds_read2_b64 v[112:115], v107 offset1:1
	s_waitcnt lgkmcnt(1)
	v_xor_b32_e32 v117, 0x80000000, v97
	v_xor_b32_e32 v119, 0x80000000, v99
	v_cmp_gt_f64_e32 vcc, 0, v[98:99]
	v_cmp_gt_f64_e64 s[0:1], 0, v[96:97]
	v_mov_b32_e32 v116, v96
	v_mov_b32_e32 v118, v98
	v_cndmask_b32_e64 v117, v97, v117, s[0:1]
	v_cndmask_b32_e32 v119, v99, v119, vcc
	v_add_f64 v[116:117], v[116:117], v[118:119]
	s_waitcnt lgkmcnt(0)
	v_xor_b32_e32 v119, 0x80000000, v113
	v_xor_b32_e32 v121, 0x80000000, v115
	v_cmp_gt_f64_e32 vcc, 0, v[114:115]
	v_cmp_gt_f64_e64 s[0:1], 0, v[112:113]
	v_mov_b32_e32 v118, v112
	v_mov_b32_e32 v120, v114
	v_cndmask_b32_e64 v119, v113, v119, s[0:1]
	v_cndmask_b32_e32 v121, v115, v121, vcc
	v_add_f64 v[118:119], v[118:119], v[120:121]
	v_mov_b32_e32 v122, s16
	s_add_i32 s16, s16, 1
	v_cmp_lt_f64_e32 vcc, v[116:117], v[118:119]
	v_add_u32_e32 v107, 16, v107
	s_cmp_lg_u32 s20, s16
	v_cndmask_b32_e32 v97, v97, v113, vcc
	v_cndmask_b32_e32 v96, v96, v112, vcc
	;; [unrolled: 1-line block ×5, first 2 shown]
	s_cbranch_scc1 .LBB46_190
.LBB46_191:
	s_waitcnt lgkmcnt(0)
	v_cmp_eq_f64_e32 vcc, 0, v[96:97]
	v_cmp_eq_f64_e64 s[0:1], 0, v[98:99]
	s_and_b64 s[0:1], vcc, s[0:1]
	s_and_saveexec_b64 s[16:17], s[0:1]
	s_xor_b64 s[0:1], exec, s[16:17]
; %bb.192:
	v_cmp_ne_u32_e32 vcc, 0, v111
	s_nop 1
	v_cndmask_b32_e32 v111, 10, v111, vcc
; %bb.193:
	s_andn2_saveexec_b64 s[0:1], s[0:1]
	s_cbranch_execz .LBB46_199
; %bb.194:
	v_cmp_ngt_f64_e64 s[16:17], |v[96:97]|, |v[98:99]|
	s_and_saveexec_b64 s[18:19], s[16:17]
	s_xor_b64 s[16:17], exec, s[18:19]
	s_cbranch_execz .LBB46_196
; %bb.195:
	v_div_scale_f64 v[112:113], s[18:19], v[98:99], v[98:99], v[96:97]
	v_rcp_f64_e32 v[114:115], v[112:113]
	v_div_scale_f64 v[116:117], vcc, v[96:97], v[98:99], v[96:97]
	v_fma_f64 v[118:119], -v[112:113], v[114:115], 1.0
	v_fmac_f64_e32 v[114:115], v[114:115], v[118:119]
	v_fma_f64 v[118:119], -v[112:113], v[114:115], 1.0
	v_fmac_f64_e32 v[114:115], v[114:115], v[118:119]
	v_mul_f64 v[118:119], v[116:117], v[114:115]
	v_fma_f64 v[112:113], -v[112:113], v[118:119], v[116:117]
	v_div_fmas_f64 v[112:113], v[112:113], v[114:115], v[118:119]
	v_div_fixup_f64 v[112:113], v[112:113], v[98:99], v[96:97]
	v_fmac_f64_e32 v[98:99], v[96:97], v[112:113]
	v_div_scale_f64 v[96:97], s[18:19], v[98:99], v[98:99], 1.0
	v_rcp_f64_e32 v[114:115], v[96:97]
	s_nop 0
	v_fma_f64 v[116:117], -v[96:97], v[114:115], 1.0
	v_fmac_f64_e32 v[114:115], v[114:115], v[116:117]
	v_fma_f64 v[116:117], -v[96:97], v[114:115], 1.0
	v_fmac_f64_e32 v[114:115], v[114:115], v[116:117]
	v_div_scale_f64 v[116:117], vcc, 1.0, v[98:99], 1.0
	v_mul_f64 v[118:119], v[116:117], v[114:115]
	v_fma_f64 v[96:97], -v[96:97], v[118:119], v[116:117]
	s_nop 1
	v_div_fmas_f64 v[96:97], v[96:97], v[114:115], v[118:119]
	v_div_fixup_f64 v[98:99], v[96:97], v[98:99], 1.0
	v_mul_f64 v[96:97], v[112:113], v[98:99]
	v_xor_b32_e32 v99, 0x80000000, v99
.LBB46_196:
	s_andn2_saveexec_b64 s[16:17], s[16:17]
	s_cbranch_execz .LBB46_198
; %bb.197:
	v_div_scale_f64 v[112:113], s[18:19], v[96:97], v[96:97], v[98:99]
	v_rcp_f64_e32 v[114:115], v[112:113]
	v_div_scale_f64 v[116:117], vcc, v[98:99], v[96:97], v[98:99]
	v_fma_f64 v[118:119], -v[112:113], v[114:115], 1.0
	v_fmac_f64_e32 v[114:115], v[114:115], v[118:119]
	v_fma_f64 v[118:119], -v[112:113], v[114:115], 1.0
	v_fmac_f64_e32 v[114:115], v[114:115], v[118:119]
	v_mul_f64 v[118:119], v[116:117], v[114:115]
	v_fma_f64 v[112:113], -v[112:113], v[118:119], v[116:117]
	v_div_fmas_f64 v[112:113], v[112:113], v[114:115], v[118:119]
	v_div_fixup_f64 v[112:113], v[112:113], v[96:97], v[98:99]
	v_fmac_f64_e32 v[96:97], v[98:99], v[112:113]
	v_div_scale_f64 v[98:99], s[18:19], v[96:97], v[96:97], 1.0
	v_rcp_f64_e32 v[114:115], v[98:99]
	s_nop 0
	v_fma_f64 v[116:117], -v[98:99], v[114:115], 1.0
	v_fmac_f64_e32 v[114:115], v[114:115], v[116:117]
	v_fma_f64 v[116:117], -v[98:99], v[114:115], 1.0
	v_fmac_f64_e32 v[114:115], v[114:115], v[116:117]
	v_div_scale_f64 v[116:117], vcc, 1.0, v[96:97], 1.0
	v_mul_f64 v[118:119], v[116:117], v[114:115]
	v_fma_f64 v[98:99], -v[98:99], v[118:119], v[116:117]
	s_nop 1
	v_div_fmas_f64 v[98:99], v[98:99], v[114:115], v[118:119]
	v_div_fixup_f64 v[96:97], v[98:99], v[96:97], 1.0
	v_mul_f64 v[98:99], v[112:113], -v[96:97]
.LBB46_198:
	s_or_b64 exec, exec, s[16:17]
.LBB46_199:
	s_or_b64 exec, exec, s[0:1]
	v_cmp_ne_u32_e32 vcc, v109, v106
	s_and_saveexec_b64 s[0:1], vcc
	s_xor_b64 s[0:1], exec, s[0:1]
	s_cbranch_execz .LBB46_205
; %bb.200:
	v_cmp_eq_u32_e32 vcc, 9, v109
	s_and_saveexec_b64 s[16:17], vcc
	s_cbranch_execz .LBB46_204
; %bb.201:
	v_cmp_ne_u32_e32 vcc, 9, v106
	s_xor_b64 s[18:19], s[14:15], -1
	s_and_b64 s[22:23], s[18:19], vcc
	s_and_saveexec_b64 s[18:19], s[22:23]
	s_cbranch_execz .LBB46_203
; %bb.202:
	v_ashrrev_i32_e32 v107, 31, v106
	v_lshl_add_u64 v[112:113], v[106:107], 2, v[104:105]
	global_load_dword v107, v[112:113], off
	global_load_dword v109, v[104:105], off offset:36
	s_waitcnt vmcnt(1)
	global_store_dword v[104:105], v107, off offset:36
	s_waitcnt vmcnt(1)
	global_store_dword v[112:113], v109, off
.LBB46_203:
	s_or_b64 exec, exec, s[18:19]
	v_mov_b32_e32 v109, v106
	v_mov_b32_e32 v110, v106
.LBB46_204:
	s_or_b64 exec, exec, s[16:17]
.LBB46_205:
	s_andn2_saveexec_b64 s[0:1], s[0:1]
	s_cbranch_execz .LBB46_207
; %bb.206:
	v_mov_b32_e32 v109, 9
	s_waitcnt vmcnt(13)
	ds_write2_b64 v108, v[48:49], v[50:51] offset0:20 offset1:21
	s_waitcnt vmcnt(12)
	ds_write2_b64 v108, v[44:45], v[46:47] offset0:22 offset1:23
	;; [unrolled: 2-line block ×14, first 2 shown]
.LBB46_207:
	s_or_b64 exec, exec, s[0:1]
	v_cmp_lt_i32_e32 vcc, 9, v109
	s_waitcnt lgkmcnt(0)
	s_barrier
	s_and_saveexec_b64 s[0:1], vcc
	s_cbranch_execz .LBB46_209
; %bb.208:
	ds_read2_b64 v[112:115], v108 offset0:20 offset1:21
	v_mul_f64 v[106:107], v[96:97], v[54:55]
	v_mul_f64 v[54:55], v[98:99], v[54:55]
	v_fmac_f64_e32 v[106:107], v[98:99], v[52:53]
	v_fma_f64 v[52:53], v[96:97], v[52:53], -v[54:55]
	ds_read2_b64 v[96:99], v108 offset0:22 offset1:23
	s_waitcnt lgkmcnt(1)
	v_mul_f64 v[54:55], v[114:115], v[106:107]
	v_fma_f64 v[54:55], v[112:113], v[52:53], -v[54:55]
	v_mul_f64 v[112:113], v[112:113], v[106:107]
	v_fmac_f64_e32 v[112:113], v[114:115], v[52:53]
	s_waitcnt vmcnt(13)
	v_add_f64 v[48:49], v[48:49], -v[54:55]
	s_waitcnt lgkmcnt(0)
	v_mul_f64 v[54:55], v[98:99], v[106:107]
	v_add_f64 v[50:51], v[50:51], -v[112:113]
	v_fma_f64 v[54:55], v[96:97], v[52:53], -v[54:55]
	v_mul_f64 v[96:97], v[96:97], v[106:107]
	ds_read2_b64 v[112:115], v108 offset0:24 offset1:25
	v_fmac_f64_e32 v[96:97], v[98:99], v[52:53]
	s_waitcnt vmcnt(12)
	v_add_f64 v[46:47], v[46:47], -v[96:97]
	ds_read2_b64 v[96:99], v108 offset0:26 offset1:27
	v_add_f64 v[44:45], v[44:45], -v[54:55]
	s_waitcnt lgkmcnt(1)
	v_mul_f64 v[54:55], v[114:115], v[106:107]
	v_fma_f64 v[54:55], v[112:113], v[52:53], -v[54:55]
	v_mul_f64 v[112:113], v[112:113], v[106:107]
	v_fmac_f64_e32 v[112:113], v[114:115], v[52:53]
	s_waitcnt vmcnt(11)
	v_add_f64 v[40:41], v[40:41], -v[54:55]
	s_waitcnt lgkmcnt(0)
	v_mul_f64 v[54:55], v[98:99], v[106:107]
	v_add_f64 v[42:43], v[42:43], -v[112:113]
	v_fma_f64 v[54:55], v[96:97], v[52:53], -v[54:55]
	v_mul_f64 v[96:97], v[96:97], v[106:107]
	ds_read2_b64 v[112:115], v108 offset0:28 offset1:29
	v_fmac_f64_e32 v[96:97], v[98:99], v[52:53]
	s_waitcnt vmcnt(10)
	v_add_f64 v[38:39], v[38:39], -v[96:97]
	ds_read2_b64 v[96:99], v108 offset0:30 offset1:31
	v_add_f64 v[36:37], v[36:37], -v[54:55]
	;; [unrolled: 18-line block ×6, first 2 shown]
	s_waitcnt lgkmcnt(1)
	v_mul_f64 v[54:55], v[114:115], v[106:107]
	v_fma_f64 v[54:55], v[112:113], v[52:53], -v[54:55]
	s_waitcnt vmcnt(1)
	v_add_f64 v[0:1], v[0:1], -v[54:55]
	s_waitcnt lgkmcnt(0)
	v_mul_f64 v[54:55], v[98:99], v[106:107]
	v_mul_f64 v[112:113], v[112:113], v[106:107]
	v_fma_f64 v[54:55], v[96:97], v[52:53], -v[54:55]
	v_mul_f64 v[96:97], v[96:97], v[106:107]
	v_fmac_f64_e32 v[112:113], v[114:115], v[52:53]
	v_fmac_f64_e32 v[96:97], v[98:99], v[52:53]
	v_add_f64 v[2:3], v[2:3], -v[112:113]
	s_waitcnt vmcnt(0)
	v_add_f64 v[92:93], v[92:93], -v[54:55]
	v_add_f64 v[94:95], v[94:95], -v[96:97]
	v_mov_b64_e32 v[54:55], v[106:107]
.LBB46_209:
	s_or_b64 exec, exec, s[0:1]
	v_lshl_add_u32 v96, v109, 4, v108
	s_barrier
	s_waitcnt vmcnt(13)
	ds_write2_b64 v96, v[48:49], v[50:51] offset1:1
	s_waitcnt lgkmcnt(0)
	s_barrier
	ds_read2_b64 v[96:99], v108 offset0:20 offset1:21
	s_cmp_lt_i32 s20, 12
	v_mov_b32_e32 v106, 10
	s_cbranch_scc1 .LBB46_212
; %bb.210:
	v_add_u32_e32 v107, 0xb0, v108
	s_mov_b32 s16, 11
	v_mov_b32_e32 v106, 10
.LBB46_211:                             ; =>This Inner Loop Header: Depth=1
	ds_read2_b64 v[112:115], v107 offset1:1
	s_waitcnt lgkmcnt(1)
	v_xor_b32_e32 v117, 0x80000000, v97
	v_xor_b32_e32 v119, 0x80000000, v99
	v_cmp_gt_f64_e32 vcc, 0, v[98:99]
	v_cmp_gt_f64_e64 s[0:1], 0, v[96:97]
	v_mov_b32_e32 v116, v96
	v_mov_b32_e32 v118, v98
	v_cndmask_b32_e64 v117, v97, v117, s[0:1]
	v_cndmask_b32_e32 v119, v99, v119, vcc
	v_add_f64 v[116:117], v[116:117], v[118:119]
	s_waitcnt lgkmcnt(0)
	v_xor_b32_e32 v119, 0x80000000, v113
	v_xor_b32_e32 v121, 0x80000000, v115
	v_cmp_gt_f64_e32 vcc, 0, v[114:115]
	v_cmp_gt_f64_e64 s[0:1], 0, v[112:113]
	v_mov_b32_e32 v118, v112
	v_mov_b32_e32 v120, v114
	v_cndmask_b32_e64 v119, v113, v119, s[0:1]
	v_cndmask_b32_e32 v121, v115, v121, vcc
	v_add_f64 v[118:119], v[118:119], v[120:121]
	v_mov_b32_e32 v122, s16
	s_add_i32 s16, s16, 1
	v_cmp_lt_f64_e32 vcc, v[116:117], v[118:119]
	v_add_u32_e32 v107, 16, v107
	s_cmp_lg_u32 s20, s16
	v_cndmask_b32_e32 v97, v97, v113, vcc
	v_cndmask_b32_e32 v96, v96, v112, vcc
	;; [unrolled: 1-line block ×5, first 2 shown]
	s_cbranch_scc1 .LBB46_211
.LBB46_212:
	s_waitcnt lgkmcnt(0)
	v_cmp_eq_f64_e32 vcc, 0, v[96:97]
	v_cmp_eq_f64_e64 s[0:1], 0, v[98:99]
	s_and_b64 s[0:1], vcc, s[0:1]
	s_and_saveexec_b64 s[16:17], s[0:1]
	s_xor_b64 s[0:1], exec, s[16:17]
; %bb.213:
	v_cmp_ne_u32_e32 vcc, 0, v111
	s_nop 1
	v_cndmask_b32_e32 v111, 11, v111, vcc
; %bb.214:
	s_andn2_saveexec_b64 s[0:1], s[0:1]
	s_cbranch_execz .LBB46_220
; %bb.215:
	v_cmp_ngt_f64_e64 s[16:17], |v[96:97]|, |v[98:99]|
	s_and_saveexec_b64 s[18:19], s[16:17]
	s_xor_b64 s[16:17], exec, s[18:19]
	s_cbranch_execz .LBB46_217
; %bb.216:
	v_div_scale_f64 v[112:113], s[18:19], v[98:99], v[98:99], v[96:97]
	v_rcp_f64_e32 v[114:115], v[112:113]
	v_div_scale_f64 v[116:117], vcc, v[96:97], v[98:99], v[96:97]
	v_fma_f64 v[118:119], -v[112:113], v[114:115], 1.0
	v_fmac_f64_e32 v[114:115], v[114:115], v[118:119]
	v_fma_f64 v[118:119], -v[112:113], v[114:115], 1.0
	v_fmac_f64_e32 v[114:115], v[114:115], v[118:119]
	v_mul_f64 v[118:119], v[116:117], v[114:115]
	v_fma_f64 v[112:113], -v[112:113], v[118:119], v[116:117]
	v_div_fmas_f64 v[112:113], v[112:113], v[114:115], v[118:119]
	v_div_fixup_f64 v[112:113], v[112:113], v[98:99], v[96:97]
	v_fmac_f64_e32 v[98:99], v[96:97], v[112:113]
	v_div_scale_f64 v[96:97], s[18:19], v[98:99], v[98:99], 1.0
	v_rcp_f64_e32 v[114:115], v[96:97]
	s_nop 0
	v_fma_f64 v[116:117], -v[96:97], v[114:115], 1.0
	v_fmac_f64_e32 v[114:115], v[114:115], v[116:117]
	v_fma_f64 v[116:117], -v[96:97], v[114:115], 1.0
	v_fmac_f64_e32 v[114:115], v[114:115], v[116:117]
	v_div_scale_f64 v[116:117], vcc, 1.0, v[98:99], 1.0
	v_mul_f64 v[118:119], v[116:117], v[114:115]
	v_fma_f64 v[96:97], -v[96:97], v[118:119], v[116:117]
	s_nop 1
	v_div_fmas_f64 v[96:97], v[96:97], v[114:115], v[118:119]
	v_div_fixup_f64 v[98:99], v[96:97], v[98:99], 1.0
	v_mul_f64 v[96:97], v[112:113], v[98:99]
	v_xor_b32_e32 v99, 0x80000000, v99
.LBB46_217:
	s_andn2_saveexec_b64 s[16:17], s[16:17]
	s_cbranch_execz .LBB46_219
; %bb.218:
	v_div_scale_f64 v[112:113], s[18:19], v[96:97], v[96:97], v[98:99]
	v_rcp_f64_e32 v[114:115], v[112:113]
	v_div_scale_f64 v[116:117], vcc, v[98:99], v[96:97], v[98:99]
	v_fma_f64 v[118:119], -v[112:113], v[114:115], 1.0
	v_fmac_f64_e32 v[114:115], v[114:115], v[118:119]
	v_fma_f64 v[118:119], -v[112:113], v[114:115], 1.0
	v_fmac_f64_e32 v[114:115], v[114:115], v[118:119]
	v_mul_f64 v[118:119], v[116:117], v[114:115]
	v_fma_f64 v[112:113], -v[112:113], v[118:119], v[116:117]
	v_div_fmas_f64 v[112:113], v[112:113], v[114:115], v[118:119]
	v_div_fixup_f64 v[112:113], v[112:113], v[96:97], v[98:99]
	v_fmac_f64_e32 v[96:97], v[98:99], v[112:113]
	v_div_scale_f64 v[98:99], s[18:19], v[96:97], v[96:97], 1.0
	v_rcp_f64_e32 v[114:115], v[98:99]
	s_nop 0
	v_fma_f64 v[116:117], -v[98:99], v[114:115], 1.0
	v_fmac_f64_e32 v[114:115], v[114:115], v[116:117]
	v_fma_f64 v[116:117], -v[98:99], v[114:115], 1.0
	v_fmac_f64_e32 v[114:115], v[114:115], v[116:117]
	v_div_scale_f64 v[116:117], vcc, 1.0, v[96:97], 1.0
	v_mul_f64 v[118:119], v[116:117], v[114:115]
	v_fma_f64 v[98:99], -v[98:99], v[118:119], v[116:117]
	s_nop 1
	v_div_fmas_f64 v[98:99], v[98:99], v[114:115], v[118:119]
	v_div_fixup_f64 v[96:97], v[98:99], v[96:97], 1.0
	v_mul_f64 v[98:99], v[112:113], -v[96:97]
.LBB46_219:
	s_or_b64 exec, exec, s[16:17]
.LBB46_220:
	s_or_b64 exec, exec, s[0:1]
	v_cmp_ne_u32_e32 vcc, v109, v106
	s_and_saveexec_b64 s[0:1], vcc
	s_xor_b64 s[0:1], exec, s[0:1]
	s_cbranch_execz .LBB46_226
; %bb.221:
	v_cmp_eq_u32_e32 vcc, 10, v109
	s_and_saveexec_b64 s[16:17], vcc
	s_cbranch_execz .LBB46_225
; %bb.222:
	v_cmp_ne_u32_e32 vcc, 10, v106
	s_xor_b64 s[18:19], s[14:15], -1
	s_and_b64 s[22:23], s[18:19], vcc
	s_and_saveexec_b64 s[18:19], s[22:23]
	s_cbranch_execz .LBB46_224
; %bb.223:
	v_ashrrev_i32_e32 v107, 31, v106
	v_lshl_add_u64 v[112:113], v[106:107], 2, v[104:105]
	global_load_dword v107, v[112:113], off
	global_load_dword v109, v[104:105], off offset:40
	s_waitcnt vmcnt(1)
	global_store_dword v[104:105], v107, off offset:40
	s_waitcnt vmcnt(1)
	global_store_dword v[112:113], v109, off
.LBB46_224:
	s_or_b64 exec, exec, s[18:19]
	v_mov_b32_e32 v109, v106
	v_mov_b32_e32 v110, v106
.LBB46_225:
	s_or_b64 exec, exec, s[16:17]
.LBB46_226:
	s_andn2_saveexec_b64 s[0:1], s[0:1]
	s_cbranch_execz .LBB46_228
; %bb.227:
	v_mov_b32_e32 v109, 10
	s_waitcnt vmcnt(12)
	ds_write2_b64 v108, v[44:45], v[46:47] offset0:22 offset1:23
	s_waitcnt vmcnt(11)
	ds_write2_b64 v108, v[40:41], v[42:43] offset0:24 offset1:25
	;; [unrolled: 2-line block ×13, first 2 shown]
.LBB46_228:
	s_or_b64 exec, exec, s[0:1]
	v_cmp_lt_i32_e32 vcc, 10, v109
	s_waitcnt lgkmcnt(0)
	s_barrier
	s_and_saveexec_b64 s[0:1], vcc
	s_cbranch_execz .LBB46_230
; %bb.229:
	ds_read2_b64 v[112:115], v108 offset0:22 offset1:23
	v_mul_f64 v[106:107], v[96:97], v[50:51]
	v_fmac_f64_e32 v[106:107], v[98:99], v[48:49]
	v_mul_f64 v[50:51], v[98:99], v[50:51]
	v_fma_f64 v[48:49], v[96:97], v[48:49], -v[50:51]
	ds_read2_b64 v[96:99], v108 offset0:24 offset1:25
	s_waitcnt lgkmcnt(1)
	v_mul_f64 v[50:51], v[114:115], v[106:107]
	v_fma_f64 v[50:51], v[112:113], v[48:49], -v[50:51]
	v_mul_f64 v[112:113], v[112:113], v[106:107]
	v_fmac_f64_e32 v[112:113], v[114:115], v[48:49]
	s_waitcnt vmcnt(12)
	v_add_f64 v[46:47], v[46:47], -v[112:113]
	ds_read2_b64 v[112:115], v108 offset0:26 offset1:27
	v_add_f64 v[44:45], v[44:45], -v[50:51]
	s_waitcnt lgkmcnt(1)
	v_mul_f64 v[50:51], v[98:99], v[106:107]
	v_fma_f64 v[50:51], v[96:97], v[48:49], -v[50:51]
	v_mul_f64 v[96:97], v[96:97], v[106:107]
	v_fmac_f64_e32 v[96:97], v[98:99], v[48:49]
	s_waitcnt vmcnt(11)
	v_add_f64 v[40:41], v[40:41], -v[50:51]
	v_add_f64 v[42:43], v[42:43], -v[96:97]
	ds_read2_b64 v[96:99], v108 offset0:28 offset1:29
	s_waitcnt lgkmcnt(1)
	v_mul_f64 v[50:51], v[114:115], v[106:107]
	v_fma_f64 v[50:51], v[112:113], v[48:49], -v[50:51]
	v_mul_f64 v[112:113], v[112:113], v[106:107]
	v_fmac_f64_e32 v[112:113], v[114:115], v[48:49]
	s_waitcnt vmcnt(10)
	v_add_f64 v[38:39], v[38:39], -v[112:113]
	ds_read2_b64 v[112:115], v108 offset0:30 offset1:31
	v_add_f64 v[36:37], v[36:37], -v[50:51]
	s_waitcnt lgkmcnt(1)
	v_mul_f64 v[50:51], v[98:99], v[106:107]
	v_fma_f64 v[50:51], v[96:97], v[48:49], -v[50:51]
	v_mul_f64 v[96:97], v[96:97], v[106:107]
	v_fmac_f64_e32 v[96:97], v[98:99], v[48:49]
	s_waitcnt vmcnt(9)
	v_add_f64 v[32:33], v[32:33], -v[50:51]
	v_add_f64 v[34:35], v[34:35], -v[96:97]
	;; [unrolled: 18-line block ×6, first 2 shown]
	s_waitcnt lgkmcnt(0)
	v_mul_f64 v[50:51], v[114:115], v[106:107]
	v_mul_f64 v[96:97], v[112:113], v[106:107]
	v_fma_f64 v[50:51], v[112:113], v[48:49], -v[50:51]
	v_fmac_f64_e32 v[96:97], v[114:115], v[48:49]
	s_waitcnt vmcnt(0)
	v_add_f64 v[92:93], v[92:93], -v[50:51]
	v_add_f64 v[94:95], v[94:95], -v[96:97]
	v_mov_b64_e32 v[50:51], v[106:107]
.LBB46_230:
	s_or_b64 exec, exec, s[0:1]
	v_lshl_add_u32 v96, v109, 4, v108
	s_barrier
	s_waitcnt vmcnt(12)
	ds_write2_b64 v96, v[44:45], v[46:47] offset1:1
	s_waitcnt lgkmcnt(0)
	s_barrier
	ds_read2_b64 v[96:99], v108 offset0:22 offset1:23
	s_cmp_lt_i32 s20, 13
	v_mov_b32_e32 v106, 11
	s_cbranch_scc1 .LBB46_233
; %bb.231:
	v_add_u32_e32 v107, 0xc0, v108
	s_mov_b32 s16, 12
	v_mov_b32_e32 v106, 11
.LBB46_232:                             ; =>This Inner Loop Header: Depth=1
	ds_read2_b64 v[112:115], v107 offset1:1
	s_waitcnt lgkmcnt(1)
	v_xor_b32_e32 v117, 0x80000000, v97
	v_xor_b32_e32 v119, 0x80000000, v99
	v_cmp_gt_f64_e32 vcc, 0, v[98:99]
	v_cmp_gt_f64_e64 s[0:1], 0, v[96:97]
	v_mov_b32_e32 v116, v96
	v_mov_b32_e32 v118, v98
	v_cndmask_b32_e64 v117, v97, v117, s[0:1]
	v_cndmask_b32_e32 v119, v99, v119, vcc
	v_add_f64 v[116:117], v[116:117], v[118:119]
	s_waitcnt lgkmcnt(0)
	v_xor_b32_e32 v119, 0x80000000, v113
	v_xor_b32_e32 v121, 0x80000000, v115
	v_cmp_gt_f64_e32 vcc, 0, v[114:115]
	v_cmp_gt_f64_e64 s[0:1], 0, v[112:113]
	v_mov_b32_e32 v118, v112
	v_mov_b32_e32 v120, v114
	v_cndmask_b32_e64 v119, v113, v119, s[0:1]
	v_cndmask_b32_e32 v121, v115, v121, vcc
	v_add_f64 v[118:119], v[118:119], v[120:121]
	v_mov_b32_e32 v122, s16
	s_add_i32 s16, s16, 1
	v_cmp_lt_f64_e32 vcc, v[116:117], v[118:119]
	v_add_u32_e32 v107, 16, v107
	s_cmp_lg_u32 s20, s16
	v_cndmask_b32_e32 v97, v97, v113, vcc
	v_cndmask_b32_e32 v96, v96, v112, vcc
	;; [unrolled: 1-line block ×5, first 2 shown]
	s_cbranch_scc1 .LBB46_232
.LBB46_233:
	s_waitcnt lgkmcnt(0)
	v_cmp_eq_f64_e32 vcc, 0, v[96:97]
	v_cmp_eq_f64_e64 s[0:1], 0, v[98:99]
	s_and_b64 s[0:1], vcc, s[0:1]
	s_and_saveexec_b64 s[16:17], s[0:1]
	s_xor_b64 s[0:1], exec, s[16:17]
; %bb.234:
	v_cmp_ne_u32_e32 vcc, 0, v111
	s_nop 1
	v_cndmask_b32_e32 v111, 12, v111, vcc
; %bb.235:
	s_andn2_saveexec_b64 s[0:1], s[0:1]
	s_cbranch_execz .LBB46_241
; %bb.236:
	v_cmp_ngt_f64_e64 s[16:17], |v[96:97]|, |v[98:99]|
	s_and_saveexec_b64 s[18:19], s[16:17]
	s_xor_b64 s[16:17], exec, s[18:19]
	s_cbranch_execz .LBB46_238
; %bb.237:
	v_div_scale_f64 v[112:113], s[18:19], v[98:99], v[98:99], v[96:97]
	v_rcp_f64_e32 v[114:115], v[112:113]
	v_div_scale_f64 v[116:117], vcc, v[96:97], v[98:99], v[96:97]
	v_fma_f64 v[118:119], -v[112:113], v[114:115], 1.0
	v_fmac_f64_e32 v[114:115], v[114:115], v[118:119]
	v_fma_f64 v[118:119], -v[112:113], v[114:115], 1.0
	v_fmac_f64_e32 v[114:115], v[114:115], v[118:119]
	v_mul_f64 v[118:119], v[116:117], v[114:115]
	v_fma_f64 v[112:113], -v[112:113], v[118:119], v[116:117]
	v_div_fmas_f64 v[112:113], v[112:113], v[114:115], v[118:119]
	v_div_fixup_f64 v[112:113], v[112:113], v[98:99], v[96:97]
	v_fmac_f64_e32 v[98:99], v[96:97], v[112:113]
	v_div_scale_f64 v[96:97], s[18:19], v[98:99], v[98:99], 1.0
	v_rcp_f64_e32 v[114:115], v[96:97]
	s_nop 0
	v_fma_f64 v[116:117], -v[96:97], v[114:115], 1.0
	v_fmac_f64_e32 v[114:115], v[114:115], v[116:117]
	v_fma_f64 v[116:117], -v[96:97], v[114:115], 1.0
	v_fmac_f64_e32 v[114:115], v[114:115], v[116:117]
	v_div_scale_f64 v[116:117], vcc, 1.0, v[98:99], 1.0
	v_mul_f64 v[118:119], v[116:117], v[114:115]
	v_fma_f64 v[96:97], -v[96:97], v[118:119], v[116:117]
	s_nop 1
	v_div_fmas_f64 v[96:97], v[96:97], v[114:115], v[118:119]
	v_div_fixup_f64 v[98:99], v[96:97], v[98:99], 1.0
	v_mul_f64 v[96:97], v[112:113], v[98:99]
	v_xor_b32_e32 v99, 0x80000000, v99
.LBB46_238:
	s_andn2_saveexec_b64 s[16:17], s[16:17]
	s_cbranch_execz .LBB46_240
; %bb.239:
	v_div_scale_f64 v[112:113], s[18:19], v[96:97], v[96:97], v[98:99]
	v_rcp_f64_e32 v[114:115], v[112:113]
	v_div_scale_f64 v[116:117], vcc, v[98:99], v[96:97], v[98:99]
	v_fma_f64 v[118:119], -v[112:113], v[114:115], 1.0
	v_fmac_f64_e32 v[114:115], v[114:115], v[118:119]
	v_fma_f64 v[118:119], -v[112:113], v[114:115], 1.0
	v_fmac_f64_e32 v[114:115], v[114:115], v[118:119]
	v_mul_f64 v[118:119], v[116:117], v[114:115]
	v_fma_f64 v[112:113], -v[112:113], v[118:119], v[116:117]
	v_div_fmas_f64 v[112:113], v[112:113], v[114:115], v[118:119]
	v_div_fixup_f64 v[112:113], v[112:113], v[96:97], v[98:99]
	v_fmac_f64_e32 v[96:97], v[98:99], v[112:113]
	v_div_scale_f64 v[98:99], s[18:19], v[96:97], v[96:97], 1.0
	v_rcp_f64_e32 v[114:115], v[98:99]
	s_nop 0
	v_fma_f64 v[116:117], -v[98:99], v[114:115], 1.0
	v_fmac_f64_e32 v[114:115], v[114:115], v[116:117]
	v_fma_f64 v[116:117], -v[98:99], v[114:115], 1.0
	v_fmac_f64_e32 v[114:115], v[114:115], v[116:117]
	v_div_scale_f64 v[116:117], vcc, 1.0, v[96:97], 1.0
	v_mul_f64 v[118:119], v[116:117], v[114:115]
	v_fma_f64 v[98:99], -v[98:99], v[118:119], v[116:117]
	s_nop 1
	v_div_fmas_f64 v[98:99], v[98:99], v[114:115], v[118:119]
	v_div_fixup_f64 v[96:97], v[98:99], v[96:97], 1.0
	v_mul_f64 v[98:99], v[112:113], -v[96:97]
.LBB46_240:
	s_or_b64 exec, exec, s[16:17]
.LBB46_241:
	s_or_b64 exec, exec, s[0:1]
	v_cmp_ne_u32_e32 vcc, v109, v106
	s_and_saveexec_b64 s[0:1], vcc
	s_xor_b64 s[0:1], exec, s[0:1]
	s_cbranch_execz .LBB46_247
; %bb.242:
	v_cmp_eq_u32_e32 vcc, 11, v109
	s_and_saveexec_b64 s[16:17], vcc
	s_cbranch_execz .LBB46_246
; %bb.243:
	v_cmp_ne_u32_e32 vcc, 11, v106
	s_xor_b64 s[18:19], s[14:15], -1
	s_and_b64 s[22:23], s[18:19], vcc
	s_and_saveexec_b64 s[18:19], s[22:23]
	s_cbranch_execz .LBB46_245
; %bb.244:
	v_ashrrev_i32_e32 v107, 31, v106
	v_lshl_add_u64 v[112:113], v[106:107], 2, v[104:105]
	global_load_dword v107, v[112:113], off
	global_load_dword v109, v[104:105], off offset:44
	s_waitcnt vmcnt(1)
	global_store_dword v[104:105], v107, off offset:44
	s_waitcnt vmcnt(1)
	global_store_dword v[112:113], v109, off
.LBB46_245:
	s_or_b64 exec, exec, s[18:19]
	v_mov_b32_e32 v109, v106
	v_mov_b32_e32 v110, v106
.LBB46_246:
	s_or_b64 exec, exec, s[16:17]
.LBB46_247:
	s_andn2_saveexec_b64 s[0:1], s[0:1]
	s_cbranch_execz .LBB46_249
; %bb.248:
	v_mov_b32_e32 v109, 11
	s_waitcnt vmcnt(11)
	ds_write2_b64 v108, v[40:41], v[42:43] offset0:24 offset1:25
	s_waitcnt vmcnt(10)
	ds_write2_b64 v108, v[36:37], v[38:39] offset0:26 offset1:27
	;; [unrolled: 2-line block ×12, first 2 shown]
.LBB46_249:
	s_or_b64 exec, exec, s[0:1]
	v_cmp_lt_i32_e32 vcc, 11, v109
	s_waitcnt lgkmcnt(0)
	s_barrier
	s_and_saveexec_b64 s[0:1], vcc
	s_cbranch_execz .LBB46_251
; %bb.250:
	ds_read2_b64 v[112:115], v108 offset0:24 offset1:25
	v_mul_f64 v[106:107], v[96:97], v[46:47]
	v_mul_f64 v[46:47], v[98:99], v[46:47]
	v_fmac_f64_e32 v[106:107], v[98:99], v[44:45]
	v_fma_f64 v[44:45], v[96:97], v[44:45], -v[46:47]
	ds_read2_b64 v[96:99], v108 offset0:26 offset1:27
	s_waitcnt lgkmcnt(1)
	v_mul_f64 v[46:47], v[114:115], v[106:107]
	v_fma_f64 v[46:47], v[112:113], v[44:45], -v[46:47]
	v_mul_f64 v[112:113], v[112:113], v[106:107]
	v_fmac_f64_e32 v[112:113], v[114:115], v[44:45]
	s_waitcnt vmcnt(11)
	v_add_f64 v[40:41], v[40:41], -v[46:47]
	s_waitcnt lgkmcnt(0)
	v_mul_f64 v[46:47], v[98:99], v[106:107]
	v_add_f64 v[42:43], v[42:43], -v[112:113]
	v_fma_f64 v[46:47], v[96:97], v[44:45], -v[46:47]
	v_mul_f64 v[96:97], v[96:97], v[106:107]
	ds_read2_b64 v[112:115], v108 offset0:28 offset1:29
	v_fmac_f64_e32 v[96:97], v[98:99], v[44:45]
	s_waitcnt vmcnt(10)
	v_add_f64 v[38:39], v[38:39], -v[96:97]
	ds_read2_b64 v[96:99], v108 offset0:30 offset1:31
	v_add_f64 v[36:37], v[36:37], -v[46:47]
	s_waitcnt lgkmcnt(1)
	v_mul_f64 v[46:47], v[114:115], v[106:107]
	v_fma_f64 v[46:47], v[112:113], v[44:45], -v[46:47]
	v_mul_f64 v[112:113], v[112:113], v[106:107]
	v_fmac_f64_e32 v[112:113], v[114:115], v[44:45]
	s_waitcnt vmcnt(9)
	v_add_f64 v[32:33], v[32:33], -v[46:47]
	s_waitcnt lgkmcnt(0)
	v_mul_f64 v[46:47], v[98:99], v[106:107]
	v_add_f64 v[34:35], v[34:35], -v[112:113]
	v_fma_f64 v[46:47], v[96:97], v[44:45], -v[46:47]
	v_mul_f64 v[96:97], v[96:97], v[106:107]
	ds_read2_b64 v[112:115], v108 offset0:32 offset1:33
	v_fmac_f64_e32 v[96:97], v[98:99], v[44:45]
	s_waitcnt vmcnt(8)
	v_add_f64 v[30:31], v[30:31], -v[96:97]
	ds_read2_b64 v[96:99], v108 offset0:34 offset1:35
	v_add_f64 v[28:29], v[28:29], -v[46:47]
	;; [unrolled: 18-line block ×5, first 2 shown]
	s_waitcnt lgkmcnt(1)
	v_mul_f64 v[46:47], v[114:115], v[106:107]
	v_fma_f64 v[46:47], v[112:113], v[44:45], -v[46:47]
	s_waitcnt vmcnt(1)
	v_add_f64 v[0:1], v[0:1], -v[46:47]
	s_waitcnt lgkmcnt(0)
	v_mul_f64 v[46:47], v[98:99], v[106:107]
	v_mul_f64 v[112:113], v[112:113], v[106:107]
	v_fma_f64 v[46:47], v[96:97], v[44:45], -v[46:47]
	v_mul_f64 v[96:97], v[96:97], v[106:107]
	v_fmac_f64_e32 v[112:113], v[114:115], v[44:45]
	v_fmac_f64_e32 v[96:97], v[98:99], v[44:45]
	v_add_f64 v[2:3], v[2:3], -v[112:113]
	s_waitcnt vmcnt(0)
	v_add_f64 v[92:93], v[92:93], -v[46:47]
	v_add_f64 v[94:95], v[94:95], -v[96:97]
	v_mov_b64_e32 v[46:47], v[106:107]
.LBB46_251:
	s_or_b64 exec, exec, s[0:1]
	v_lshl_add_u32 v96, v109, 4, v108
	s_barrier
	s_waitcnt vmcnt(11)
	ds_write2_b64 v96, v[40:41], v[42:43] offset1:1
	s_waitcnt lgkmcnt(0)
	s_barrier
	ds_read2_b64 v[96:99], v108 offset0:24 offset1:25
	s_cmp_lt_i32 s20, 14
	v_mov_b32_e32 v106, 12
	s_cbranch_scc1 .LBB46_254
; %bb.252:
	v_add_u32_e32 v107, 0xd0, v108
	s_mov_b32 s16, 13
	v_mov_b32_e32 v106, 12
.LBB46_253:                             ; =>This Inner Loop Header: Depth=1
	ds_read2_b64 v[112:115], v107 offset1:1
	s_waitcnt lgkmcnt(1)
	v_xor_b32_e32 v117, 0x80000000, v97
	v_xor_b32_e32 v119, 0x80000000, v99
	v_cmp_gt_f64_e32 vcc, 0, v[98:99]
	v_cmp_gt_f64_e64 s[0:1], 0, v[96:97]
	v_mov_b32_e32 v116, v96
	v_mov_b32_e32 v118, v98
	v_cndmask_b32_e64 v117, v97, v117, s[0:1]
	v_cndmask_b32_e32 v119, v99, v119, vcc
	v_add_f64 v[116:117], v[116:117], v[118:119]
	s_waitcnt lgkmcnt(0)
	v_xor_b32_e32 v119, 0x80000000, v113
	v_xor_b32_e32 v121, 0x80000000, v115
	v_cmp_gt_f64_e32 vcc, 0, v[114:115]
	v_cmp_gt_f64_e64 s[0:1], 0, v[112:113]
	v_mov_b32_e32 v118, v112
	v_mov_b32_e32 v120, v114
	v_cndmask_b32_e64 v119, v113, v119, s[0:1]
	v_cndmask_b32_e32 v121, v115, v121, vcc
	v_add_f64 v[118:119], v[118:119], v[120:121]
	v_mov_b32_e32 v122, s16
	s_add_i32 s16, s16, 1
	v_cmp_lt_f64_e32 vcc, v[116:117], v[118:119]
	v_add_u32_e32 v107, 16, v107
	s_cmp_lg_u32 s20, s16
	v_cndmask_b32_e32 v97, v97, v113, vcc
	v_cndmask_b32_e32 v96, v96, v112, vcc
	;; [unrolled: 1-line block ×5, first 2 shown]
	s_cbranch_scc1 .LBB46_253
.LBB46_254:
	s_waitcnt lgkmcnt(0)
	v_cmp_eq_f64_e32 vcc, 0, v[96:97]
	v_cmp_eq_f64_e64 s[0:1], 0, v[98:99]
	s_and_b64 s[0:1], vcc, s[0:1]
	s_and_saveexec_b64 s[16:17], s[0:1]
	s_xor_b64 s[0:1], exec, s[16:17]
; %bb.255:
	v_cmp_ne_u32_e32 vcc, 0, v111
	s_nop 1
	v_cndmask_b32_e32 v111, 13, v111, vcc
; %bb.256:
	s_andn2_saveexec_b64 s[0:1], s[0:1]
	s_cbranch_execz .LBB46_262
; %bb.257:
	v_cmp_ngt_f64_e64 s[16:17], |v[96:97]|, |v[98:99]|
	s_and_saveexec_b64 s[18:19], s[16:17]
	s_xor_b64 s[16:17], exec, s[18:19]
	s_cbranch_execz .LBB46_259
; %bb.258:
	v_div_scale_f64 v[112:113], s[18:19], v[98:99], v[98:99], v[96:97]
	v_rcp_f64_e32 v[114:115], v[112:113]
	v_div_scale_f64 v[116:117], vcc, v[96:97], v[98:99], v[96:97]
	v_fma_f64 v[118:119], -v[112:113], v[114:115], 1.0
	v_fmac_f64_e32 v[114:115], v[114:115], v[118:119]
	v_fma_f64 v[118:119], -v[112:113], v[114:115], 1.0
	v_fmac_f64_e32 v[114:115], v[114:115], v[118:119]
	v_mul_f64 v[118:119], v[116:117], v[114:115]
	v_fma_f64 v[112:113], -v[112:113], v[118:119], v[116:117]
	v_div_fmas_f64 v[112:113], v[112:113], v[114:115], v[118:119]
	v_div_fixup_f64 v[112:113], v[112:113], v[98:99], v[96:97]
	v_fmac_f64_e32 v[98:99], v[96:97], v[112:113]
	v_div_scale_f64 v[96:97], s[18:19], v[98:99], v[98:99], 1.0
	v_rcp_f64_e32 v[114:115], v[96:97]
	s_nop 0
	v_fma_f64 v[116:117], -v[96:97], v[114:115], 1.0
	v_fmac_f64_e32 v[114:115], v[114:115], v[116:117]
	v_fma_f64 v[116:117], -v[96:97], v[114:115], 1.0
	v_fmac_f64_e32 v[114:115], v[114:115], v[116:117]
	v_div_scale_f64 v[116:117], vcc, 1.0, v[98:99], 1.0
	v_mul_f64 v[118:119], v[116:117], v[114:115]
	v_fma_f64 v[96:97], -v[96:97], v[118:119], v[116:117]
	s_nop 1
	v_div_fmas_f64 v[96:97], v[96:97], v[114:115], v[118:119]
	v_div_fixup_f64 v[98:99], v[96:97], v[98:99], 1.0
	v_mul_f64 v[96:97], v[112:113], v[98:99]
	v_xor_b32_e32 v99, 0x80000000, v99
.LBB46_259:
	s_andn2_saveexec_b64 s[16:17], s[16:17]
	s_cbranch_execz .LBB46_261
; %bb.260:
	v_div_scale_f64 v[112:113], s[18:19], v[96:97], v[96:97], v[98:99]
	v_rcp_f64_e32 v[114:115], v[112:113]
	v_div_scale_f64 v[116:117], vcc, v[98:99], v[96:97], v[98:99]
	v_fma_f64 v[118:119], -v[112:113], v[114:115], 1.0
	v_fmac_f64_e32 v[114:115], v[114:115], v[118:119]
	v_fma_f64 v[118:119], -v[112:113], v[114:115], 1.0
	v_fmac_f64_e32 v[114:115], v[114:115], v[118:119]
	v_mul_f64 v[118:119], v[116:117], v[114:115]
	v_fma_f64 v[112:113], -v[112:113], v[118:119], v[116:117]
	v_div_fmas_f64 v[112:113], v[112:113], v[114:115], v[118:119]
	v_div_fixup_f64 v[112:113], v[112:113], v[96:97], v[98:99]
	v_fmac_f64_e32 v[96:97], v[98:99], v[112:113]
	v_div_scale_f64 v[98:99], s[18:19], v[96:97], v[96:97], 1.0
	v_rcp_f64_e32 v[114:115], v[98:99]
	s_nop 0
	v_fma_f64 v[116:117], -v[98:99], v[114:115], 1.0
	v_fmac_f64_e32 v[114:115], v[114:115], v[116:117]
	v_fma_f64 v[116:117], -v[98:99], v[114:115], 1.0
	v_fmac_f64_e32 v[114:115], v[114:115], v[116:117]
	v_div_scale_f64 v[116:117], vcc, 1.0, v[96:97], 1.0
	v_mul_f64 v[118:119], v[116:117], v[114:115]
	v_fma_f64 v[98:99], -v[98:99], v[118:119], v[116:117]
	s_nop 1
	v_div_fmas_f64 v[98:99], v[98:99], v[114:115], v[118:119]
	v_div_fixup_f64 v[96:97], v[98:99], v[96:97], 1.0
	v_mul_f64 v[98:99], v[112:113], -v[96:97]
.LBB46_261:
	s_or_b64 exec, exec, s[16:17]
.LBB46_262:
	s_or_b64 exec, exec, s[0:1]
	v_cmp_ne_u32_e32 vcc, v109, v106
	s_and_saveexec_b64 s[0:1], vcc
	s_xor_b64 s[0:1], exec, s[0:1]
	s_cbranch_execz .LBB46_268
; %bb.263:
	v_cmp_eq_u32_e32 vcc, 12, v109
	s_and_saveexec_b64 s[16:17], vcc
	s_cbranch_execz .LBB46_267
; %bb.264:
	v_cmp_ne_u32_e32 vcc, 12, v106
	s_xor_b64 s[18:19], s[14:15], -1
	s_and_b64 s[22:23], s[18:19], vcc
	s_and_saveexec_b64 s[18:19], s[22:23]
	s_cbranch_execz .LBB46_266
; %bb.265:
	v_ashrrev_i32_e32 v107, 31, v106
	v_lshl_add_u64 v[112:113], v[106:107], 2, v[104:105]
	global_load_dword v107, v[112:113], off
	global_load_dword v109, v[104:105], off offset:48
	s_waitcnt vmcnt(1)
	global_store_dword v[104:105], v107, off offset:48
	s_waitcnt vmcnt(1)
	global_store_dword v[112:113], v109, off
.LBB46_266:
	s_or_b64 exec, exec, s[18:19]
	v_mov_b32_e32 v109, v106
	v_mov_b32_e32 v110, v106
.LBB46_267:
	s_or_b64 exec, exec, s[16:17]
.LBB46_268:
	s_andn2_saveexec_b64 s[0:1], s[0:1]
	s_cbranch_execz .LBB46_270
; %bb.269:
	v_mov_b32_e32 v109, 12
	s_waitcnt vmcnt(10)
	ds_write2_b64 v108, v[36:37], v[38:39] offset0:26 offset1:27
	s_waitcnt vmcnt(9)
	ds_write2_b64 v108, v[32:33], v[34:35] offset0:28 offset1:29
	;; [unrolled: 2-line block ×11, first 2 shown]
.LBB46_270:
	s_or_b64 exec, exec, s[0:1]
	v_cmp_lt_i32_e32 vcc, 12, v109
	s_waitcnt lgkmcnt(0)
	s_barrier
	s_and_saveexec_b64 s[0:1], vcc
	s_cbranch_execz .LBB46_272
; %bb.271:
	ds_read2_b64 v[112:115], v108 offset0:26 offset1:27
	v_mul_f64 v[106:107], v[96:97], v[42:43]
	v_fmac_f64_e32 v[106:107], v[98:99], v[40:41]
	v_mul_f64 v[42:43], v[98:99], v[42:43]
	v_fma_f64 v[40:41], v[96:97], v[40:41], -v[42:43]
	ds_read2_b64 v[96:99], v108 offset0:28 offset1:29
	s_waitcnt lgkmcnt(1)
	v_mul_f64 v[42:43], v[114:115], v[106:107]
	v_fma_f64 v[42:43], v[112:113], v[40:41], -v[42:43]
	v_mul_f64 v[112:113], v[112:113], v[106:107]
	v_fmac_f64_e32 v[112:113], v[114:115], v[40:41]
	s_waitcnt vmcnt(10)
	v_add_f64 v[38:39], v[38:39], -v[112:113]
	ds_read2_b64 v[112:115], v108 offset0:30 offset1:31
	v_add_f64 v[36:37], v[36:37], -v[42:43]
	s_waitcnt lgkmcnt(1)
	v_mul_f64 v[42:43], v[98:99], v[106:107]
	v_fma_f64 v[42:43], v[96:97], v[40:41], -v[42:43]
	v_mul_f64 v[96:97], v[96:97], v[106:107]
	v_fmac_f64_e32 v[96:97], v[98:99], v[40:41]
	s_waitcnt vmcnt(9)
	v_add_f64 v[32:33], v[32:33], -v[42:43]
	v_add_f64 v[34:35], v[34:35], -v[96:97]
	ds_read2_b64 v[96:99], v108 offset0:32 offset1:33
	s_waitcnt lgkmcnt(1)
	v_mul_f64 v[42:43], v[114:115], v[106:107]
	v_fma_f64 v[42:43], v[112:113], v[40:41], -v[42:43]
	v_mul_f64 v[112:113], v[112:113], v[106:107]
	v_fmac_f64_e32 v[112:113], v[114:115], v[40:41]
	s_waitcnt vmcnt(8)
	v_add_f64 v[30:31], v[30:31], -v[112:113]
	ds_read2_b64 v[112:115], v108 offset0:34 offset1:35
	v_add_f64 v[28:29], v[28:29], -v[42:43]
	s_waitcnt lgkmcnt(1)
	v_mul_f64 v[42:43], v[98:99], v[106:107]
	v_fma_f64 v[42:43], v[96:97], v[40:41], -v[42:43]
	v_mul_f64 v[96:97], v[96:97], v[106:107]
	v_fmac_f64_e32 v[96:97], v[98:99], v[40:41]
	s_waitcnt vmcnt(7)
	v_add_f64 v[20:21], v[20:21], -v[42:43]
	v_add_f64 v[22:23], v[22:23], -v[96:97]
	;; [unrolled: 18-line block ×5, first 2 shown]
	s_waitcnt lgkmcnt(0)
	v_mul_f64 v[42:43], v[114:115], v[106:107]
	v_mul_f64 v[96:97], v[112:113], v[106:107]
	v_fma_f64 v[42:43], v[112:113], v[40:41], -v[42:43]
	v_fmac_f64_e32 v[96:97], v[114:115], v[40:41]
	s_waitcnt vmcnt(0)
	v_add_f64 v[92:93], v[92:93], -v[42:43]
	v_add_f64 v[94:95], v[94:95], -v[96:97]
	v_mov_b64_e32 v[42:43], v[106:107]
.LBB46_272:
	s_or_b64 exec, exec, s[0:1]
	v_lshl_add_u32 v96, v109, 4, v108
	s_barrier
	s_waitcnt vmcnt(10)
	ds_write2_b64 v96, v[36:37], v[38:39] offset1:1
	s_waitcnt lgkmcnt(0)
	s_barrier
	ds_read2_b64 v[96:99], v108 offset0:26 offset1:27
	s_cmp_lt_i32 s20, 15
	v_mov_b32_e32 v106, 13
	s_cbranch_scc1 .LBB46_275
; %bb.273:
	v_add_u32_e32 v107, 0xe0, v108
	s_mov_b32 s16, 14
	v_mov_b32_e32 v106, 13
.LBB46_274:                             ; =>This Inner Loop Header: Depth=1
	ds_read2_b64 v[112:115], v107 offset1:1
	s_waitcnt lgkmcnt(1)
	v_xor_b32_e32 v117, 0x80000000, v97
	v_xor_b32_e32 v119, 0x80000000, v99
	v_cmp_gt_f64_e32 vcc, 0, v[98:99]
	v_cmp_gt_f64_e64 s[0:1], 0, v[96:97]
	v_mov_b32_e32 v116, v96
	v_mov_b32_e32 v118, v98
	v_cndmask_b32_e64 v117, v97, v117, s[0:1]
	v_cndmask_b32_e32 v119, v99, v119, vcc
	v_add_f64 v[116:117], v[116:117], v[118:119]
	s_waitcnt lgkmcnt(0)
	v_xor_b32_e32 v119, 0x80000000, v113
	v_xor_b32_e32 v121, 0x80000000, v115
	v_cmp_gt_f64_e32 vcc, 0, v[114:115]
	v_cmp_gt_f64_e64 s[0:1], 0, v[112:113]
	v_mov_b32_e32 v118, v112
	v_mov_b32_e32 v120, v114
	v_cndmask_b32_e64 v119, v113, v119, s[0:1]
	v_cndmask_b32_e32 v121, v115, v121, vcc
	v_add_f64 v[118:119], v[118:119], v[120:121]
	v_mov_b32_e32 v122, s16
	s_add_i32 s16, s16, 1
	v_cmp_lt_f64_e32 vcc, v[116:117], v[118:119]
	v_add_u32_e32 v107, 16, v107
	s_cmp_lg_u32 s20, s16
	v_cndmask_b32_e32 v97, v97, v113, vcc
	v_cndmask_b32_e32 v96, v96, v112, vcc
	v_cndmask_b32_e32 v99, v99, v115, vcc
	v_cndmask_b32_e32 v98, v98, v114, vcc
	v_cndmask_b32_e32 v106, v106, v122, vcc
	s_cbranch_scc1 .LBB46_274
.LBB46_275:
	s_waitcnt lgkmcnt(0)
	v_cmp_eq_f64_e32 vcc, 0, v[96:97]
	v_cmp_eq_f64_e64 s[0:1], 0, v[98:99]
	s_and_b64 s[0:1], vcc, s[0:1]
	s_and_saveexec_b64 s[16:17], s[0:1]
	s_xor_b64 s[0:1], exec, s[16:17]
; %bb.276:
	v_cmp_ne_u32_e32 vcc, 0, v111
	s_nop 1
	v_cndmask_b32_e32 v111, 14, v111, vcc
; %bb.277:
	s_andn2_saveexec_b64 s[0:1], s[0:1]
	s_cbranch_execz .LBB46_283
; %bb.278:
	v_cmp_ngt_f64_e64 s[16:17], |v[96:97]|, |v[98:99]|
	s_and_saveexec_b64 s[18:19], s[16:17]
	s_xor_b64 s[16:17], exec, s[18:19]
	s_cbranch_execz .LBB46_280
; %bb.279:
	v_div_scale_f64 v[112:113], s[18:19], v[98:99], v[98:99], v[96:97]
	v_rcp_f64_e32 v[114:115], v[112:113]
	v_div_scale_f64 v[116:117], vcc, v[96:97], v[98:99], v[96:97]
	v_fma_f64 v[118:119], -v[112:113], v[114:115], 1.0
	v_fmac_f64_e32 v[114:115], v[114:115], v[118:119]
	v_fma_f64 v[118:119], -v[112:113], v[114:115], 1.0
	v_fmac_f64_e32 v[114:115], v[114:115], v[118:119]
	v_mul_f64 v[118:119], v[116:117], v[114:115]
	v_fma_f64 v[112:113], -v[112:113], v[118:119], v[116:117]
	v_div_fmas_f64 v[112:113], v[112:113], v[114:115], v[118:119]
	v_div_fixup_f64 v[112:113], v[112:113], v[98:99], v[96:97]
	v_fmac_f64_e32 v[98:99], v[96:97], v[112:113]
	v_div_scale_f64 v[96:97], s[18:19], v[98:99], v[98:99], 1.0
	v_rcp_f64_e32 v[114:115], v[96:97]
	s_nop 0
	v_fma_f64 v[116:117], -v[96:97], v[114:115], 1.0
	v_fmac_f64_e32 v[114:115], v[114:115], v[116:117]
	v_fma_f64 v[116:117], -v[96:97], v[114:115], 1.0
	v_fmac_f64_e32 v[114:115], v[114:115], v[116:117]
	v_div_scale_f64 v[116:117], vcc, 1.0, v[98:99], 1.0
	v_mul_f64 v[118:119], v[116:117], v[114:115]
	v_fma_f64 v[96:97], -v[96:97], v[118:119], v[116:117]
	s_nop 1
	v_div_fmas_f64 v[96:97], v[96:97], v[114:115], v[118:119]
	v_div_fixup_f64 v[98:99], v[96:97], v[98:99], 1.0
	v_mul_f64 v[96:97], v[112:113], v[98:99]
	v_xor_b32_e32 v99, 0x80000000, v99
.LBB46_280:
	s_andn2_saveexec_b64 s[16:17], s[16:17]
	s_cbranch_execz .LBB46_282
; %bb.281:
	v_div_scale_f64 v[112:113], s[18:19], v[96:97], v[96:97], v[98:99]
	v_rcp_f64_e32 v[114:115], v[112:113]
	v_div_scale_f64 v[116:117], vcc, v[98:99], v[96:97], v[98:99]
	v_fma_f64 v[118:119], -v[112:113], v[114:115], 1.0
	v_fmac_f64_e32 v[114:115], v[114:115], v[118:119]
	v_fma_f64 v[118:119], -v[112:113], v[114:115], 1.0
	v_fmac_f64_e32 v[114:115], v[114:115], v[118:119]
	v_mul_f64 v[118:119], v[116:117], v[114:115]
	v_fma_f64 v[112:113], -v[112:113], v[118:119], v[116:117]
	v_div_fmas_f64 v[112:113], v[112:113], v[114:115], v[118:119]
	v_div_fixup_f64 v[112:113], v[112:113], v[96:97], v[98:99]
	v_fmac_f64_e32 v[96:97], v[98:99], v[112:113]
	v_div_scale_f64 v[98:99], s[18:19], v[96:97], v[96:97], 1.0
	v_rcp_f64_e32 v[114:115], v[98:99]
	s_nop 0
	v_fma_f64 v[116:117], -v[98:99], v[114:115], 1.0
	v_fmac_f64_e32 v[114:115], v[114:115], v[116:117]
	v_fma_f64 v[116:117], -v[98:99], v[114:115], 1.0
	v_fmac_f64_e32 v[114:115], v[114:115], v[116:117]
	v_div_scale_f64 v[116:117], vcc, 1.0, v[96:97], 1.0
	v_mul_f64 v[118:119], v[116:117], v[114:115]
	v_fma_f64 v[98:99], -v[98:99], v[118:119], v[116:117]
	s_nop 1
	v_div_fmas_f64 v[98:99], v[98:99], v[114:115], v[118:119]
	v_div_fixup_f64 v[96:97], v[98:99], v[96:97], 1.0
	v_mul_f64 v[98:99], v[112:113], -v[96:97]
.LBB46_282:
	s_or_b64 exec, exec, s[16:17]
.LBB46_283:
	s_or_b64 exec, exec, s[0:1]
	v_cmp_ne_u32_e32 vcc, v109, v106
	s_and_saveexec_b64 s[0:1], vcc
	s_xor_b64 s[0:1], exec, s[0:1]
	s_cbranch_execz .LBB46_289
; %bb.284:
	v_cmp_eq_u32_e32 vcc, 13, v109
	s_and_saveexec_b64 s[16:17], vcc
	s_cbranch_execz .LBB46_288
; %bb.285:
	v_cmp_ne_u32_e32 vcc, 13, v106
	s_xor_b64 s[18:19], s[14:15], -1
	s_and_b64 s[22:23], s[18:19], vcc
	s_and_saveexec_b64 s[18:19], s[22:23]
	s_cbranch_execz .LBB46_287
; %bb.286:
	v_ashrrev_i32_e32 v107, 31, v106
	v_lshl_add_u64 v[112:113], v[106:107], 2, v[104:105]
	global_load_dword v107, v[112:113], off
	global_load_dword v109, v[104:105], off offset:52
	s_waitcnt vmcnt(1)
	global_store_dword v[104:105], v107, off offset:52
	s_waitcnt vmcnt(1)
	global_store_dword v[112:113], v109, off
.LBB46_287:
	s_or_b64 exec, exec, s[18:19]
	v_mov_b32_e32 v109, v106
	v_mov_b32_e32 v110, v106
.LBB46_288:
	s_or_b64 exec, exec, s[16:17]
.LBB46_289:
	s_andn2_saveexec_b64 s[0:1], s[0:1]
	s_cbranch_execz .LBB46_291
; %bb.290:
	v_mov_b32_e32 v109, 13
	s_waitcnt vmcnt(9)
	ds_write2_b64 v108, v[32:33], v[34:35] offset0:28 offset1:29
	s_waitcnt vmcnt(8)
	ds_write2_b64 v108, v[28:29], v[30:31] offset0:30 offset1:31
	;; [unrolled: 2-line block ×10, first 2 shown]
.LBB46_291:
	s_or_b64 exec, exec, s[0:1]
	v_cmp_lt_i32_e32 vcc, 13, v109
	s_waitcnt lgkmcnt(0)
	s_barrier
	s_and_saveexec_b64 s[0:1], vcc
	s_cbranch_execz .LBB46_293
; %bb.292:
	ds_read2_b64 v[112:115], v108 offset0:28 offset1:29
	v_mul_f64 v[106:107], v[96:97], v[38:39]
	v_mul_f64 v[38:39], v[98:99], v[38:39]
	v_fmac_f64_e32 v[106:107], v[98:99], v[36:37]
	v_fma_f64 v[36:37], v[96:97], v[36:37], -v[38:39]
	ds_read2_b64 v[96:99], v108 offset0:30 offset1:31
	s_waitcnt lgkmcnt(1)
	v_mul_f64 v[38:39], v[114:115], v[106:107]
	v_fma_f64 v[38:39], v[112:113], v[36:37], -v[38:39]
	v_mul_f64 v[112:113], v[112:113], v[106:107]
	v_fmac_f64_e32 v[112:113], v[114:115], v[36:37]
	s_waitcnt vmcnt(9)
	v_add_f64 v[32:33], v[32:33], -v[38:39]
	s_waitcnt lgkmcnt(0)
	v_mul_f64 v[38:39], v[98:99], v[106:107]
	v_add_f64 v[34:35], v[34:35], -v[112:113]
	v_fma_f64 v[38:39], v[96:97], v[36:37], -v[38:39]
	v_mul_f64 v[96:97], v[96:97], v[106:107]
	ds_read2_b64 v[112:115], v108 offset0:32 offset1:33
	v_fmac_f64_e32 v[96:97], v[98:99], v[36:37]
	s_waitcnt vmcnt(8)
	v_add_f64 v[30:31], v[30:31], -v[96:97]
	ds_read2_b64 v[96:99], v108 offset0:34 offset1:35
	v_add_f64 v[28:29], v[28:29], -v[38:39]
	s_waitcnt lgkmcnt(1)
	v_mul_f64 v[38:39], v[114:115], v[106:107]
	v_fma_f64 v[38:39], v[112:113], v[36:37], -v[38:39]
	v_mul_f64 v[112:113], v[112:113], v[106:107]
	v_fmac_f64_e32 v[112:113], v[114:115], v[36:37]
	s_waitcnt vmcnt(7)
	v_add_f64 v[20:21], v[20:21], -v[38:39]
	s_waitcnt lgkmcnt(0)
	v_mul_f64 v[38:39], v[98:99], v[106:107]
	v_add_f64 v[22:23], v[22:23], -v[112:113]
	v_fma_f64 v[38:39], v[96:97], v[36:37], -v[38:39]
	v_mul_f64 v[96:97], v[96:97], v[106:107]
	ds_read2_b64 v[112:115], v108 offset0:36 offset1:37
	v_fmac_f64_e32 v[96:97], v[98:99], v[36:37]
	s_waitcnt vmcnt(6)
	v_add_f64 v[26:27], v[26:27], -v[96:97]
	ds_read2_b64 v[96:99], v108 offset0:38 offset1:39
	v_add_f64 v[24:25], v[24:25], -v[38:39]
	;; [unrolled: 18-line block ×4, first 2 shown]
	s_waitcnt lgkmcnt(1)
	v_mul_f64 v[38:39], v[114:115], v[106:107]
	v_fma_f64 v[38:39], v[112:113], v[36:37], -v[38:39]
	s_waitcnt vmcnt(1)
	v_add_f64 v[0:1], v[0:1], -v[38:39]
	s_waitcnt lgkmcnt(0)
	v_mul_f64 v[38:39], v[98:99], v[106:107]
	v_mul_f64 v[112:113], v[112:113], v[106:107]
	v_fma_f64 v[38:39], v[96:97], v[36:37], -v[38:39]
	v_mul_f64 v[96:97], v[96:97], v[106:107]
	v_fmac_f64_e32 v[112:113], v[114:115], v[36:37]
	v_fmac_f64_e32 v[96:97], v[98:99], v[36:37]
	v_add_f64 v[2:3], v[2:3], -v[112:113]
	s_waitcnt vmcnt(0)
	v_add_f64 v[92:93], v[92:93], -v[38:39]
	v_add_f64 v[94:95], v[94:95], -v[96:97]
	v_mov_b64_e32 v[38:39], v[106:107]
.LBB46_293:
	s_or_b64 exec, exec, s[0:1]
	v_lshl_add_u32 v96, v109, 4, v108
	s_barrier
	s_waitcnt vmcnt(9)
	ds_write2_b64 v96, v[32:33], v[34:35] offset1:1
	s_waitcnt lgkmcnt(0)
	s_barrier
	ds_read2_b64 v[96:99], v108 offset0:28 offset1:29
	s_cmp_lt_i32 s20, 16
	v_mov_b32_e32 v106, 14
	s_cbranch_scc1 .LBB46_296
; %bb.294:
	v_add_u32_e32 v107, 0xf0, v108
	s_mov_b32 s16, 15
	v_mov_b32_e32 v106, 14
.LBB46_295:                             ; =>This Inner Loop Header: Depth=1
	ds_read2_b64 v[112:115], v107 offset1:1
	s_waitcnt lgkmcnt(1)
	v_xor_b32_e32 v117, 0x80000000, v97
	v_xor_b32_e32 v119, 0x80000000, v99
	v_cmp_gt_f64_e32 vcc, 0, v[98:99]
	v_cmp_gt_f64_e64 s[0:1], 0, v[96:97]
	v_mov_b32_e32 v116, v96
	v_mov_b32_e32 v118, v98
	v_cndmask_b32_e64 v117, v97, v117, s[0:1]
	v_cndmask_b32_e32 v119, v99, v119, vcc
	v_add_f64 v[116:117], v[116:117], v[118:119]
	s_waitcnt lgkmcnt(0)
	v_xor_b32_e32 v119, 0x80000000, v113
	v_xor_b32_e32 v121, 0x80000000, v115
	v_cmp_gt_f64_e32 vcc, 0, v[114:115]
	v_cmp_gt_f64_e64 s[0:1], 0, v[112:113]
	v_mov_b32_e32 v118, v112
	v_mov_b32_e32 v120, v114
	v_cndmask_b32_e64 v119, v113, v119, s[0:1]
	v_cndmask_b32_e32 v121, v115, v121, vcc
	v_add_f64 v[118:119], v[118:119], v[120:121]
	v_mov_b32_e32 v122, s16
	s_add_i32 s16, s16, 1
	v_cmp_lt_f64_e32 vcc, v[116:117], v[118:119]
	v_add_u32_e32 v107, 16, v107
	s_cmp_lg_u32 s20, s16
	v_cndmask_b32_e32 v97, v97, v113, vcc
	v_cndmask_b32_e32 v96, v96, v112, vcc
	;; [unrolled: 1-line block ×5, first 2 shown]
	s_cbranch_scc1 .LBB46_295
.LBB46_296:
	s_waitcnt lgkmcnt(0)
	v_cmp_eq_f64_e32 vcc, 0, v[96:97]
	v_cmp_eq_f64_e64 s[0:1], 0, v[98:99]
	s_and_b64 s[0:1], vcc, s[0:1]
	s_and_saveexec_b64 s[16:17], s[0:1]
	s_xor_b64 s[0:1], exec, s[16:17]
; %bb.297:
	v_cmp_ne_u32_e32 vcc, 0, v111
	s_nop 1
	v_cndmask_b32_e32 v111, 15, v111, vcc
; %bb.298:
	s_andn2_saveexec_b64 s[0:1], s[0:1]
	s_cbranch_execz .LBB46_304
; %bb.299:
	v_cmp_ngt_f64_e64 s[16:17], |v[96:97]|, |v[98:99]|
	s_and_saveexec_b64 s[18:19], s[16:17]
	s_xor_b64 s[16:17], exec, s[18:19]
	s_cbranch_execz .LBB46_301
; %bb.300:
	v_div_scale_f64 v[112:113], s[18:19], v[98:99], v[98:99], v[96:97]
	v_rcp_f64_e32 v[114:115], v[112:113]
	v_div_scale_f64 v[116:117], vcc, v[96:97], v[98:99], v[96:97]
	v_fma_f64 v[118:119], -v[112:113], v[114:115], 1.0
	v_fmac_f64_e32 v[114:115], v[114:115], v[118:119]
	v_fma_f64 v[118:119], -v[112:113], v[114:115], 1.0
	v_fmac_f64_e32 v[114:115], v[114:115], v[118:119]
	v_mul_f64 v[118:119], v[116:117], v[114:115]
	v_fma_f64 v[112:113], -v[112:113], v[118:119], v[116:117]
	v_div_fmas_f64 v[112:113], v[112:113], v[114:115], v[118:119]
	v_div_fixup_f64 v[112:113], v[112:113], v[98:99], v[96:97]
	v_fmac_f64_e32 v[98:99], v[96:97], v[112:113]
	v_div_scale_f64 v[96:97], s[18:19], v[98:99], v[98:99], 1.0
	v_rcp_f64_e32 v[114:115], v[96:97]
	s_nop 0
	v_fma_f64 v[116:117], -v[96:97], v[114:115], 1.0
	v_fmac_f64_e32 v[114:115], v[114:115], v[116:117]
	v_fma_f64 v[116:117], -v[96:97], v[114:115], 1.0
	v_fmac_f64_e32 v[114:115], v[114:115], v[116:117]
	v_div_scale_f64 v[116:117], vcc, 1.0, v[98:99], 1.0
	v_mul_f64 v[118:119], v[116:117], v[114:115]
	v_fma_f64 v[96:97], -v[96:97], v[118:119], v[116:117]
	s_nop 1
	v_div_fmas_f64 v[96:97], v[96:97], v[114:115], v[118:119]
	v_div_fixup_f64 v[98:99], v[96:97], v[98:99], 1.0
	v_mul_f64 v[96:97], v[112:113], v[98:99]
	v_xor_b32_e32 v99, 0x80000000, v99
.LBB46_301:
	s_andn2_saveexec_b64 s[16:17], s[16:17]
	s_cbranch_execz .LBB46_303
; %bb.302:
	v_div_scale_f64 v[112:113], s[18:19], v[96:97], v[96:97], v[98:99]
	v_rcp_f64_e32 v[114:115], v[112:113]
	v_div_scale_f64 v[116:117], vcc, v[98:99], v[96:97], v[98:99]
	v_fma_f64 v[118:119], -v[112:113], v[114:115], 1.0
	v_fmac_f64_e32 v[114:115], v[114:115], v[118:119]
	v_fma_f64 v[118:119], -v[112:113], v[114:115], 1.0
	v_fmac_f64_e32 v[114:115], v[114:115], v[118:119]
	v_mul_f64 v[118:119], v[116:117], v[114:115]
	v_fma_f64 v[112:113], -v[112:113], v[118:119], v[116:117]
	v_div_fmas_f64 v[112:113], v[112:113], v[114:115], v[118:119]
	v_div_fixup_f64 v[112:113], v[112:113], v[96:97], v[98:99]
	v_fmac_f64_e32 v[96:97], v[98:99], v[112:113]
	v_div_scale_f64 v[98:99], s[18:19], v[96:97], v[96:97], 1.0
	v_rcp_f64_e32 v[114:115], v[98:99]
	s_nop 0
	v_fma_f64 v[116:117], -v[98:99], v[114:115], 1.0
	v_fmac_f64_e32 v[114:115], v[114:115], v[116:117]
	v_fma_f64 v[116:117], -v[98:99], v[114:115], 1.0
	v_fmac_f64_e32 v[114:115], v[114:115], v[116:117]
	v_div_scale_f64 v[116:117], vcc, 1.0, v[96:97], 1.0
	v_mul_f64 v[118:119], v[116:117], v[114:115]
	v_fma_f64 v[98:99], -v[98:99], v[118:119], v[116:117]
	s_nop 1
	v_div_fmas_f64 v[98:99], v[98:99], v[114:115], v[118:119]
	v_div_fixup_f64 v[96:97], v[98:99], v[96:97], 1.0
	v_mul_f64 v[98:99], v[112:113], -v[96:97]
.LBB46_303:
	s_or_b64 exec, exec, s[16:17]
.LBB46_304:
	s_or_b64 exec, exec, s[0:1]
	v_cmp_ne_u32_e32 vcc, v109, v106
	s_and_saveexec_b64 s[0:1], vcc
	s_xor_b64 s[0:1], exec, s[0:1]
	s_cbranch_execz .LBB46_310
; %bb.305:
	v_cmp_eq_u32_e32 vcc, 14, v109
	s_and_saveexec_b64 s[16:17], vcc
	s_cbranch_execz .LBB46_309
; %bb.306:
	v_cmp_ne_u32_e32 vcc, 14, v106
	s_xor_b64 s[18:19], s[14:15], -1
	s_and_b64 s[22:23], s[18:19], vcc
	s_and_saveexec_b64 s[18:19], s[22:23]
	s_cbranch_execz .LBB46_308
; %bb.307:
	v_ashrrev_i32_e32 v107, 31, v106
	v_lshl_add_u64 v[112:113], v[106:107], 2, v[104:105]
	global_load_dword v107, v[112:113], off
	global_load_dword v109, v[104:105], off offset:56
	s_waitcnt vmcnt(1)
	global_store_dword v[104:105], v107, off offset:56
	s_waitcnt vmcnt(1)
	global_store_dword v[112:113], v109, off
.LBB46_308:
	s_or_b64 exec, exec, s[18:19]
	v_mov_b32_e32 v109, v106
	v_mov_b32_e32 v110, v106
.LBB46_309:
	s_or_b64 exec, exec, s[16:17]
.LBB46_310:
	s_andn2_saveexec_b64 s[0:1], s[0:1]
	s_cbranch_execz .LBB46_312
; %bb.311:
	v_mov_b32_e32 v109, 14
	s_waitcnt vmcnt(8)
	ds_write2_b64 v108, v[28:29], v[30:31] offset0:30 offset1:31
	s_waitcnt vmcnt(7)
	ds_write2_b64 v108, v[20:21], v[22:23] offset0:32 offset1:33
	s_waitcnt vmcnt(6)
	ds_write2_b64 v108, v[24:25], v[26:27] offset0:34 offset1:35
	s_waitcnt vmcnt(5)
	ds_write2_b64 v108, v[16:17], v[18:19] offset0:36 offset1:37
	s_waitcnt vmcnt(4)
	ds_write2_b64 v108, v[12:13], v[14:15] offset0:38 offset1:39
	s_waitcnt vmcnt(3)
	ds_write2_b64 v108, v[8:9], v[10:11] offset0:40 offset1:41
	s_waitcnt vmcnt(2)
	ds_write2_b64 v108, v[4:5], v[6:7] offset0:42 offset1:43
	s_waitcnt vmcnt(1)
	ds_write2_b64 v108, v[0:1], v[2:3] offset0:44 offset1:45
	s_waitcnt vmcnt(0)
	ds_write2_b64 v108, v[92:93], v[94:95] offset0:46 offset1:47
.LBB46_312:
	s_or_b64 exec, exec, s[0:1]
	v_cmp_lt_i32_e32 vcc, 14, v109
	s_waitcnt lgkmcnt(0)
	s_barrier
	s_and_saveexec_b64 s[0:1], vcc
	s_cbranch_execz .LBB46_314
; %bb.313:
	ds_read2_b64 v[112:115], v108 offset0:30 offset1:31
	v_mul_f64 v[106:107], v[96:97], v[34:35]
	v_fmac_f64_e32 v[106:107], v[98:99], v[32:33]
	v_mul_f64 v[34:35], v[98:99], v[34:35]
	v_fma_f64 v[32:33], v[96:97], v[32:33], -v[34:35]
	ds_read2_b64 v[96:99], v108 offset0:32 offset1:33
	s_waitcnt lgkmcnt(1)
	v_mul_f64 v[34:35], v[114:115], v[106:107]
	v_fma_f64 v[34:35], v[112:113], v[32:33], -v[34:35]
	v_mul_f64 v[112:113], v[112:113], v[106:107]
	v_fmac_f64_e32 v[112:113], v[114:115], v[32:33]
	s_waitcnt vmcnt(8)
	v_add_f64 v[30:31], v[30:31], -v[112:113]
	ds_read2_b64 v[112:115], v108 offset0:34 offset1:35
	v_add_f64 v[28:29], v[28:29], -v[34:35]
	s_waitcnt lgkmcnt(1)
	v_mul_f64 v[34:35], v[98:99], v[106:107]
	v_fma_f64 v[34:35], v[96:97], v[32:33], -v[34:35]
	v_mul_f64 v[96:97], v[96:97], v[106:107]
	v_fmac_f64_e32 v[96:97], v[98:99], v[32:33]
	s_waitcnt vmcnt(7)
	v_add_f64 v[20:21], v[20:21], -v[34:35]
	v_add_f64 v[22:23], v[22:23], -v[96:97]
	ds_read2_b64 v[96:99], v108 offset0:36 offset1:37
	s_waitcnt lgkmcnt(1)
	v_mul_f64 v[34:35], v[114:115], v[106:107]
	v_fma_f64 v[34:35], v[112:113], v[32:33], -v[34:35]
	v_mul_f64 v[112:113], v[112:113], v[106:107]
	v_fmac_f64_e32 v[112:113], v[114:115], v[32:33]
	s_waitcnt vmcnt(6)
	v_add_f64 v[26:27], v[26:27], -v[112:113]
	ds_read2_b64 v[112:115], v108 offset0:38 offset1:39
	v_add_f64 v[24:25], v[24:25], -v[34:35]
	s_waitcnt lgkmcnt(1)
	v_mul_f64 v[34:35], v[98:99], v[106:107]
	v_fma_f64 v[34:35], v[96:97], v[32:33], -v[34:35]
	v_mul_f64 v[96:97], v[96:97], v[106:107]
	v_fmac_f64_e32 v[96:97], v[98:99], v[32:33]
	s_waitcnt vmcnt(5)
	v_add_f64 v[16:17], v[16:17], -v[34:35]
	v_add_f64 v[18:19], v[18:19], -v[96:97]
	;; [unrolled: 18-line block ×4, first 2 shown]
	s_waitcnt lgkmcnt(0)
	v_mul_f64 v[34:35], v[114:115], v[106:107]
	v_mul_f64 v[96:97], v[112:113], v[106:107]
	v_fma_f64 v[34:35], v[112:113], v[32:33], -v[34:35]
	v_fmac_f64_e32 v[96:97], v[114:115], v[32:33]
	s_waitcnt vmcnt(0)
	v_add_f64 v[92:93], v[92:93], -v[34:35]
	v_add_f64 v[94:95], v[94:95], -v[96:97]
	v_mov_b64_e32 v[34:35], v[106:107]
.LBB46_314:
	s_or_b64 exec, exec, s[0:1]
	v_lshl_add_u32 v96, v109, 4, v108
	s_barrier
	s_waitcnt vmcnt(8)
	ds_write2_b64 v96, v[28:29], v[30:31] offset1:1
	s_waitcnt lgkmcnt(0)
	s_barrier
	ds_read2_b64 v[96:99], v108 offset0:30 offset1:31
	s_cmp_lt_i32 s20, 17
	v_mov_b32_e32 v106, 15
	s_cbranch_scc1 .LBB46_317
; %bb.315:
	v_add_u32_e32 v107, 0x100, v108
	s_mov_b32 s16, 16
	v_mov_b32_e32 v106, 15
.LBB46_316:                             ; =>This Inner Loop Header: Depth=1
	ds_read2_b64 v[112:115], v107 offset1:1
	s_waitcnt lgkmcnt(1)
	v_xor_b32_e32 v117, 0x80000000, v97
	v_xor_b32_e32 v119, 0x80000000, v99
	v_cmp_gt_f64_e32 vcc, 0, v[98:99]
	v_cmp_gt_f64_e64 s[0:1], 0, v[96:97]
	v_mov_b32_e32 v116, v96
	v_mov_b32_e32 v118, v98
	v_cndmask_b32_e64 v117, v97, v117, s[0:1]
	v_cndmask_b32_e32 v119, v99, v119, vcc
	v_add_f64 v[116:117], v[116:117], v[118:119]
	s_waitcnt lgkmcnt(0)
	v_xor_b32_e32 v119, 0x80000000, v113
	v_xor_b32_e32 v121, 0x80000000, v115
	v_cmp_gt_f64_e32 vcc, 0, v[114:115]
	v_cmp_gt_f64_e64 s[0:1], 0, v[112:113]
	v_mov_b32_e32 v118, v112
	v_mov_b32_e32 v120, v114
	v_cndmask_b32_e64 v119, v113, v119, s[0:1]
	v_cndmask_b32_e32 v121, v115, v121, vcc
	v_add_f64 v[118:119], v[118:119], v[120:121]
	v_mov_b32_e32 v122, s16
	s_add_i32 s16, s16, 1
	v_cmp_lt_f64_e32 vcc, v[116:117], v[118:119]
	v_add_u32_e32 v107, 16, v107
	s_cmp_lg_u32 s20, s16
	v_cndmask_b32_e32 v97, v97, v113, vcc
	v_cndmask_b32_e32 v96, v96, v112, vcc
	;; [unrolled: 1-line block ×5, first 2 shown]
	s_cbranch_scc1 .LBB46_316
.LBB46_317:
	s_waitcnt lgkmcnt(0)
	v_cmp_eq_f64_e32 vcc, 0, v[96:97]
	v_cmp_eq_f64_e64 s[0:1], 0, v[98:99]
	s_and_b64 s[0:1], vcc, s[0:1]
	s_and_saveexec_b64 s[16:17], s[0:1]
	s_xor_b64 s[0:1], exec, s[16:17]
; %bb.318:
	v_cmp_ne_u32_e32 vcc, 0, v111
	s_nop 1
	v_cndmask_b32_e32 v111, 16, v111, vcc
; %bb.319:
	s_andn2_saveexec_b64 s[0:1], s[0:1]
	s_cbranch_execz .LBB46_325
; %bb.320:
	v_cmp_ngt_f64_e64 s[16:17], |v[96:97]|, |v[98:99]|
	s_and_saveexec_b64 s[18:19], s[16:17]
	s_xor_b64 s[16:17], exec, s[18:19]
	s_cbranch_execz .LBB46_322
; %bb.321:
	v_div_scale_f64 v[112:113], s[18:19], v[98:99], v[98:99], v[96:97]
	v_rcp_f64_e32 v[114:115], v[112:113]
	v_div_scale_f64 v[116:117], vcc, v[96:97], v[98:99], v[96:97]
	v_fma_f64 v[118:119], -v[112:113], v[114:115], 1.0
	v_fmac_f64_e32 v[114:115], v[114:115], v[118:119]
	v_fma_f64 v[118:119], -v[112:113], v[114:115], 1.0
	v_fmac_f64_e32 v[114:115], v[114:115], v[118:119]
	v_mul_f64 v[118:119], v[116:117], v[114:115]
	v_fma_f64 v[112:113], -v[112:113], v[118:119], v[116:117]
	v_div_fmas_f64 v[112:113], v[112:113], v[114:115], v[118:119]
	v_div_fixup_f64 v[112:113], v[112:113], v[98:99], v[96:97]
	v_fmac_f64_e32 v[98:99], v[96:97], v[112:113]
	v_div_scale_f64 v[96:97], s[18:19], v[98:99], v[98:99], 1.0
	v_rcp_f64_e32 v[114:115], v[96:97]
	s_nop 0
	v_fma_f64 v[116:117], -v[96:97], v[114:115], 1.0
	v_fmac_f64_e32 v[114:115], v[114:115], v[116:117]
	v_fma_f64 v[116:117], -v[96:97], v[114:115], 1.0
	v_fmac_f64_e32 v[114:115], v[114:115], v[116:117]
	v_div_scale_f64 v[116:117], vcc, 1.0, v[98:99], 1.0
	v_mul_f64 v[118:119], v[116:117], v[114:115]
	v_fma_f64 v[96:97], -v[96:97], v[118:119], v[116:117]
	s_nop 1
	v_div_fmas_f64 v[96:97], v[96:97], v[114:115], v[118:119]
	v_div_fixup_f64 v[98:99], v[96:97], v[98:99], 1.0
	v_mul_f64 v[96:97], v[112:113], v[98:99]
	v_xor_b32_e32 v99, 0x80000000, v99
.LBB46_322:
	s_andn2_saveexec_b64 s[16:17], s[16:17]
	s_cbranch_execz .LBB46_324
; %bb.323:
	v_div_scale_f64 v[112:113], s[18:19], v[96:97], v[96:97], v[98:99]
	v_rcp_f64_e32 v[114:115], v[112:113]
	v_div_scale_f64 v[116:117], vcc, v[98:99], v[96:97], v[98:99]
	v_fma_f64 v[118:119], -v[112:113], v[114:115], 1.0
	v_fmac_f64_e32 v[114:115], v[114:115], v[118:119]
	v_fma_f64 v[118:119], -v[112:113], v[114:115], 1.0
	v_fmac_f64_e32 v[114:115], v[114:115], v[118:119]
	v_mul_f64 v[118:119], v[116:117], v[114:115]
	v_fma_f64 v[112:113], -v[112:113], v[118:119], v[116:117]
	v_div_fmas_f64 v[112:113], v[112:113], v[114:115], v[118:119]
	v_div_fixup_f64 v[112:113], v[112:113], v[96:97], v[98:99]
	v_fmac_f64_e32 v[96:97], v[98:99], v[112:113]
	v_div_scale_f64 v[98:99], s[18:19], v[96:97], v[96:97], 1.0
	v_rcp_f64_e32 v[114:115], v[98:99]
	s_nop 0
	v_fma_f64 v[116:117], -v[98:99], v[114:115], 1.0
	v_fmac_f64_e32 v[114:115], v[114:115], v[116:117]
	v_fma_f64 v[116:117], -v[98:99], v[114:115], 1.0
	v_fmac_f64_e32 v[114:115], v[114:115], v[116:117]
	v_div_scale_f64 v[116:117], vcc, 1.0, v[96:97], 1.0
	v_mul_f64 v[118:119], v[116:117], v[114:115]
	v_fma_f64 v[98:99], -v[98:99], v[118:119], v[116:117]
	s_nop 1
	v_div_fmas_f64 v[98:99], v[98:99], v[114:115], v[118:119]
	v_div_fixup_f64 v[96:97], v[98:99], v[96:97], 1.0
	v_mul_f64 v[98:99], v[112:113], -v[96:97]
.LBB46_324:
	s_or_b64 exec, exec, s[16:17]
.LBB46_325:
	s_or_b64 exec, exec, s[0:1]
	v_cmp_ne_u32_e32 vcc, v109, v106
	s_and_saveexec_b64 s[0:1], vcc
	s_xor_b64 s[0:1], exec, s[0:1]
	s_cbranch_execz .LBB46_331
; %bb.326:
	v_cmp_eq_u32_e32 vcc, 15, v109
	s_and_saveexec_b64 s[16:17], vcc
	s_cbranch_execz .LBB46_330
; %bb.327:
	v_cmp_ne_u32_e32 vcc, 15, v106
	s_xor_b64 s[18:19], s[14:15], -1
	s_and_b64 s[22:23], s[18:19], vcc
	s_and_saveexec_b64 s[18:19], s[22:23]
	s_cbranch_execz .LBB46_329
; %bb.328:
	v_ashrrev_i32_e32 v107, 31, v106
	v_lshl_add_u64 v[112:113], v[106:107], 2, v[104:105]
	global_load_dword v107, v[112:113], off
	global_load_dword v109, v[104:105], off offset:60
	s_waitcnt vmcnt(1)
	global_store_dword v[104:105], v107, off offset:60
	s_waitcnt vmcnt(1)
	global_store_dword v[112:113], v109, off
.LBB46_329:
	s_or_b64 exec, exec, s[18:19]
	v_mov_b32_e32 v109, v106
	v_mov_b32_e32 v110, v106
.LBB46_330:
	s_or_b64 exec, exec, s[16:17]
.LBB46_331:
	s_andn2_saveexec_b64 s[0:1], s[0:1]
	s_cbranch_execz .LBB46_333
; %bb.332:
	v_mov_b32_e32 v109, 15
	s_waitcnt vmcnt(7)
	ds_write2_b64 v108, v[20:21], v[22:23] offset0:32 offset1:33
	s_waitcnt vmcnt(6)
	ds_write2_b64 v108, v[24:25], v[26:27] offset0:34 offset1:35
	;; [unrolled: 2-line block ×8, first 2 shown]
.LBB46_333:
	s_or_b64 exec, exec, s[0:1]
	v_cmp_lt_i32_e32 vcc, 15, v109
	s_waitcnt lgkmcnt(0)
	s_barrier
	s_and_saveexec_b64 s[0:1], vcc
	s_cbranch_execz .LBB46_335
; %bb.334:
	ds_read2_b64 v[112:115], v108 offset0:32 offset1:33
	v_mul_f64 v[106:107], v[96:97], v[30:31]
	v_mul_f64 v[30:31], v[98:99], v[30:31]
	v_fmac_f64_e32 v[106:107], v[98:99], v[28:29]
	v_fma_f64 v[28:29], v[96:97], v[28:29], -v[30:31]
	ds_read2_b64 v[96:99], v108 offset0:34 offset1:35
	s_waitcnt lgkmcnt(1)
	v_mul_f64 v[30:31], v[114:115], v[106:107]
	v_fma_f64 v[30:31], v[112:113], v[28:29], -v[30:31]
	v_mul_f64 v[112:113], v[112:113], v[106:107]
	v_fmac_f64_e32 v[112:113], v[114:115], v[28:29]
	s_waitcnt vmcnt(7)
	v_add_f64 v[20:21], v[20:21], -v[30:31]
	s_waitcnt lgkmcnt(0)
	v_mul_f64 v[30:31], v[98:99], v[106:107]
	v_add_f64 v[22:23], v[22:23], -v[112:113]
	v_fma_f64 v[30:31], v[96:97], v[28:29], -v[30:31]
	v_mul_f64 v[96:97], v[96:97], v[106:107]
	ds_read2_b64 v[112:115], v108 offset0:36 offset1:37
	v_fmac_f64_e32 v[96:97], v[98:99], v[28:29]
	s_waitcnt vmcnt(6)
	v_add_f64 v[26:27], v[26:27], -v[96:97]
	ds_read2_b64 v[96:99], v108 offset0:38 offset1:39
	v_add_f64 v[24:25], v[24:25], -v[30:31]
	s_waitcnt lgkmcnt(1)
	v_mul_f64 v[30:31], v[114:115], v[106:107]
	v_fma_f64 v[30:31], v[112:113], v[28:29], -v[30:31]
	v_mul_f64 v[112:113], v[112:113], v[106:107]
	v_fmac_f64_e32 v[112:113], v[114:115], v[28:29]
	s_waitcnt vmcnt(5)
	v_add_f64 v[16:17], v[16:17], -v[30:31]
	s_waitcnt lgkmcnt(0)
	v_mul_f64 v[30:31], v[98:99], v[106:107]
	v_add_f64 v[18:19], v[18:19], -v[112:113]
	v_fma_f64 v[30:31], v[96:97], v[28:29], -v[30:31]
	v_mul_f64 v[96:97], v[96:97], v[106:107]
	ds_read2_b64 v[112:115], v108 offset0:40 offset1:41
	v_fmac_f64_e32 v[96:97], v[98:99], v[28:29]
	s_waitcnt vmcnt(4)
	v_add_f64 v[14:15], v[14:15], -v[96:97]
	ds_read2_b64 v[96:99], v108 offset0:42 offset1:43
	v_add_f64 v[12:13], v[12:13], -v[30:31]
	;; [unrolled: 18-line block ×3, first 2 shown]
	s_waitcnt lgkmcnt(1)
	v_mul_f64 v[30:31], v[114:115], v[106:107]
	v_fma_f64 v[30:31], v[112:113], v[28:29], -v[30:31]
	s_waitcnt vmcnt(1)
	v_add_f64 v[0:1], v[0:1], -v[30:31]
	s_waitcnt lgkmcnt(0)
	v_mul_f64 v[30:31], v[98:99], v[106:107]
	v_mul_f64 v[112:113], v[112:113], v[106:107]
	v_fma_f64 v[30:31], v[96:97], v[28:29], -v[30:31]
	v_mul_f64 v[96:97], v[96:97], v[106:107]
	v_fmac_f64_e32 v[112:113], v[114:115], v[28:29]
	v_fmac_f64_e32 v[96:97], v[98:99], v[28:29]
	v_add_f64 v[2:3], v[2:3], -v[112:113]
	s_waitcnt vmcnt(0)
	v_add_f64 v[92:93], v[92:93], -v[30:31]
	v_add_f64 v[94:95], v[94:95], -v[96:97]
	v_mov_b64_e32 v[30:31], v[106:107]
.LBB46_335:
	s_or_b64 exec, exec, s[0:1]
	v_lshl_add_u32 v96, v109, 4, v108
	s_barrier
	s_waitcnt vmcnt(7)
	ds_write2_b64 v96, v[20:21], v[22:23] offset1:1
	s_waitcnt lgkmcnt(0)
	s_barrier
	ds_read2_b64 v[96:99], v108 offset0:32 offset1:33
	s_cmp_lt_i32 s20, 18
	v_mov_b32_e32 v106, 16
	s_cbranch_scc1 .LBB46_338
; %bb.336:
	v_add_u32_e32 v107, 0x110, v108
	s_mov_b32 s16, 17
	v_mov_b32_e32 v106, 16
.LBB46_337:                             ; =>This Inner Loop Header: Depth=1
	ds_read2_b64 v[112:115], v107 offset1:1
	s_waitcnt lgkmcnt(1)
	v_xor_b32_e32 v117, 0x80000000, v97
	v_xor_b32_e32 v119, 0x80000000, v99
	v_cmp_gt_f64_e32 vcc, 0, v[98:99]
	v_cmp_gt_f64_e64 s[0:1], 0, v[96:97]
	v_mov_b32_e32 v116, v96
	v_mov_b32_e32 v118, v98
	v_cndmask_b32_e64 v117, v97, v117, s[0:1]
	v_cndmask_b32_e32 v119, v99, v119, vcc
	v_add_f64 v[116:117], v[116:117], v[118:119]
	s_waitcnt lgkmcnt(0)
	v_xor_b32_e32 v119, 0x80000000, v113
	v_xor_b32_e32 v121, 0x80000000, v115
	v_cmp_gt_f64_e32 vcc, 0, v[114:115]
	v_cmp_gt_f64_e64 s[0:1], 0, v[112:113]
	v_mov_b32_e32 v118, v112
	v_mov_b32_e32 v120, v114
	v_cndmask_b32_e64 v119, v113, v119, s[0:1]
	v_cndmask_b32_e32 v121, v115, v121, vcc
	v_add_f64 v[118:119], v[118:119], v[120:121]
	v_mov_b32_e32 v122, s16
	s_add_i32 s16, s16, 1
	v_cmp_lt_f64_e32 vcc, v[116:117], v[118:119]
	v_add_u32_e32 v107, 16, v107
	s_cmp_lg_u32 s20, s16
	v_cndmask_b32_e32 v97, v97, v113, vcc
	v_cndmask_b32_e32 v96, v96, v112, vcc
	;; [unrolled: 1-line block ×5, first 2 shown]
	s_cbranch_scc1 .LBB46_337
.LBB46_338:
	s_waitcnt lgkmcnt(0)
	v_cmp_eq_f64_e32 vcc, 0, v[96:97]
	v_cmp_eq_f64_e64 s[0:1], 0, v[98:99]
	s_and_b64 s[0:1], vcc, s[0:1]
	s_and_saveexec_b64 s[16:17], s[0:1]
	s_xor_b64 s[0:1], exec, s[16:17]
; %bb.339:
	v_cmp_ne_u32_e32 vcc, 0, v111
	s_nop 1
	v_cndmask_b32_e32 v111, 17, v111, vcc
; %bb.340:
	s_andn2_saveexec_b64 s[0:1], s[0:1]
	s_cbranch_execz .LBB46_346
; %bb.341:
	v_cmp_ngt_f64_e64 s[16:17], |v[96:97]|, |v[98:99]|
	s_and_saveexec_b64 s[18:19], s[16:17]
	s_xor_b64 s[16:17], exec, s[18:19]
	s_cbranch_execz .LBB46_343
; %bb.342:
	v_div_scale_f64 v[112:113], s[18:19], v[98:99], v[98:99], v[96:97]
	v_rcp_f64_e32 v[114:115], v[112:113]
	v_div_scale_f64 v[116:117], vcc, v[96:97], v[98:99], v[96:97]
	v_fma_f64 v[118:119], -v[112:113], v[114:115], 1.0
	v_fmac_f64_e32 v[114:115], v[114:115], v[118:119]
	v_fma_f64 v[118:119], -v[112:113], v[114:115], 1.0
	v_fmac_f64_e32 v[114:115], v[114:115], v[118:119]
	v_mul_f64 v[118:119], v[116:117], v[114:115]
	v_fma_f64 v[112:113], -v[112:113], v[118:119], v[116:117]
	v_div_fmas_f64 v[112:113], v[112:113], v[114:115], v[118:119]
	v_div_fixup_f64 v[112:113], v[112:113], v[98:99], v[96:97]
	v_fmac_f64_e32 v[98:99], v[96:97], v[112:113]
	v_div_scale_f64 v[96:97], s[18:19], v[98:99], v[98:99], 1.0
	v_rcp_f64_e32 v[114:115], v[96:97]
	s_nop 0
	v_fma_f64 v[116:117], -v[96:97], v[114:115], 1.0
	v_fmac_f64_e32 v[114:115], v[114:115], v[116:117]
	v_fma_f64 v[116:117], -v[96:97], v[114:115], 1.0
	v_fmac_f64_e32 v[114:115], v[114:115], v[116:117]
	v_div_scale_f64 v[116:117], vcc, 1.0, v[98:99], 1.0
	v_mul_f64 v[118:119], v[116:117], v[114:115]
	v_fma_f64 v[96:97], -v[96:97], v[118:119], v[116:117]
	s_nop 1
	v_div_fmas_f64 v[96:97], v[96:97], v[114:115], v[118:119]
	v_div_fixup_f64 v[98:99], v[96:97], v[98:99], 1.0
	v_mul_f64 v[96:97], v[112:113], v[98:99]
	v_xor_b32_e32 v99, 0x80000000, v99
.LBB46_343:
	s_andn2_saveexec_b64 s[16:17], s[16:17]
	s_cbranch_execz .LBB46_345
; %bb.344:
	v_div_scale_f64 v[112:113], s[18:19], v[96:97], v[96:97], v[98:99]
	v_rcp_f64_e32 v[114:115], v[112:113]
	v_div_scale_f64 v[116:117], vcc, v[98:99], v[96:97], v[98:99]
	v_fma_f64 v[118:119], -v[112:113], v[114:115], 1.0
	v_fmac_f64_e32 v[114:115], v[114:115], v[118:119]
	v_fma_f64 v[118:119], -v[112:113], v[114:115], 1.0
	v_fmac_f64_e32 v[114:115], v[114:115], v[118:119]
	v_mul_f64 v[118:119], v[116:117], v[114:115]
	v_fma_f64 v[112:113], -v[112:113], v[118:119], v[116:117]
	v_div_fmas_f64 v[112:113], v[112:113], v[114:115], v[118:119]
	v_div_fixup_f64 v[112:113], v[112:113], v[96:97], v[98:99]
	v_fmac_f64_e32 v[96:97], v[98:99], v[112:113]
	v_div_scale_f64 v[98:99], s[18:19], v[96:97], v[96:97], 1.0
	v_rcp_f64_e32 v[114:115], v[98:99]
	s_nop 0
	v_fma_f64 v[116:117], -v[98:99], v[114:115], 1.0
	v_fmac_f64_e32 v[114:115], v[114:115], v[116:117]
	v_fma_f64 v[116:117], -v[98:99], v[114:115], 1.0
	v_fmac_f64_e32 v[114:115], v[114:115], v[116:117]
	v_div_scale_f64 v[116:117], vcc, 1.0, v[96:97], 1.0
	v_mul_f64 v[118:119], v[116:117], v[114:115]
	v_fma_f64 v[98:99], -v[98:99], v[118:119], v[116:117]
	s_nop 1
	v_div_fmas_f64 v[98:99], v[98:99], v[114:115], v[118:119]
	v_div_fixup_f64 v[96:97], v[98:99], v[96:97], 1.0
	v_mul_f64 v[98:99], v[112:113], -v[96:97]
.LBB46_345:
	s_or_b64 exec, exec, s[16:17]
.LBB46_346:
	s_or_b64 exec, exec, s[0:1]
	v_cmp_ne_u32_e32 vcc, v109, v106
	s_and_saveexec_b64 s[0:1], vcc
	s_xor_b64 s[0:1], exec, s[0:1]
	s_cbranch_execz .LBB46_352
; %bb.347:
	v_cmp_eq_u32_e32 vcc, 16, v109
	s_and_saveexec_b64 s[16:17], vcc
	s_cbranch_execz .LBB46_351
; %bb.348:
	v_cmp_ne_u32_e32 vcc, 16, v106
	s_xor_b64 s[18:19], s[14:15], -1
	s_and_b64 s[22:23], s[18:19], vcc
	s_and_saveexec_b64 s[18:19], s[22:23]
	s_cbranch_execz .LBB46_350
; %bb.349:
	v_ashrrev_i32_e32 v107, 31, v106
	v_lshl_add_u64 v[112:113], v[106:107], 2, v[104:105]
	global_load_dword v107, v[112:113], off
	global_load_dword v109, v[104:105], off offset:64
	s_waitcnt vmcnt(1)
	global_store_dword v[104:105], v107, off offset:64
	s_waitcnt vmcnt(1)
	global_store_dword v[112:113], v109, off
.LBB46_350:
	s_or_b64 exec, exec, s[18:19]
	v_mov_b32_e32 v109, v106
	v_mov_b32_e32 v110, v106
.LBB46_351:
	s_or_b64 exec, exec, s[16:17]
.LBB46_352:
	s_andn2_saveexec_b64 s[0:1], s[0:1]
	s_cbranch_execz .LBB46_354
; %bb.353:
	v_mov_b32_e32 v109, 16
	s_waitcnt vmcnt(6)
	ds_write2_b64 v108, v[24:25], v[26:27] offset0:34 offset1:35
	s_waitcnt vmcnt(5)
	ds_write2_b64 v108, v[16:17], v[18:19] offset0:36 offset1:37
	;; [unrolled: 2-line block ×7, first 2 shown]
.LBB46_354:
	s_or_b64 exec, exec, s[0:1]
	v_cmp_lt_i32_e32 vcc, 16, v109
	s_waitcnt lgkmcnt(0)
	s_barrier
	s_and_saveexec_b64 s[0:1], vcc
	s_cbranch_execz .LBB46_356
; %bb.355:
	ds_read2_b64 v[112:115], v108 offset0:34 offset1:35
	v_mul_f64 v[106:107], v[96:97], v[22:23]
	v_fmac_f64_e32 v[106:107], v[98:99], v[20:21]
	v_mul_f64 v[22:23], v[98:99], v[22:23]
	v_fma_f64 v[20:21], v[96:97], v[20:21], -v[22:23]
	ds_read2_b64 v[96:99], v108 offset0:36 offset1:37
	s_waitcnt lgkmcnt(1)
	v_mul_f64 v[22:23], v[114:115], v[106:107]
	v_fma_f64 v[22:23], v[112:113], v[20:21], -v[22:23]
	v_mul_f64 v[112:113], v[112:113], v[106:107]
	v_fmac_f64_e32 v[112:113], v[114:115], v[20:21]
	s_waitcnt vmcnt(6)
	v_add_f64 v[26:27], v[26:27], -v[112:113]
	ds_read2_b64 v[112:115], v108 offset0:38 offset1:39
	v_add_f64 v[24:25], v[24:25], -v[22:23]
	s_waitcnt lgkmcnt(1)
	v_mul_f64 v[22:23], v[98:99], v[106:107]
	v_fma_f64 v[22:23], v[96:97], v[20:21], -v[22:23]
	v_mul_f64 v[96:97], v[96:97], v[106:107]
	v_fmac_f64_e32 v[96:97], v[98:99], v[20:21]
	s_waitcnt vmcnt(5)
	v_add_f64 v[16:17], v[16:17], -v[22:23]
	v_add_f64 v[18:19], v[18:19], -v[96:97]
	ds_read2_b64 v[96:99], v108 offset0:40 offset1:41
	s_waitcnt lgkmcnt(1)
	v_mul_f64 v[22:23], v[114:115], v[106:107]
	v_fma_f64 v[22:23], v[112:113], v[20:21], -v[22:23]
	v_mul_f64 v[112:113], v[112:113], v[106:107]
	v_fmac_f64_e32 v[112:113], v[114:115], v[20:21]
	s_waitcnt vmcnt(4)
	v_add_f64 v[14:15], v[14:15], -v[112:113]
	ds_read2_b64 v[112:115], v108 offset0:42 offset1:43
	v_add_f64 v[12:13], v[12:13], -v[22:23]
	s_waitcnt lgkmcnt(1)
	v_mul_f64 v[22:23], v[98:99], v[106:107]
	v_fma_f64 v[22:23], v[96:97], v[20:21], -v[22:23]
	v_mul_f64 v[96:97], v[96:97], v[106:107]
	v_fmac_f64_e32 v[96:97], v[98:99], v[20:21]
	s_waitcnt vmcnt(3)
	v_add_f64 v[8:9], v[8:9], -v[22:23]
	v_add_f64 v[10:11], v[10:11], -v[96:97]
	;; [unrolled: 18-line block ×3, first 2 shown]
	s_waitcnt lgkmcnt(0)
	v_mul_f64 v[22:23], v[114:115], v[106:107]
	v_mul_f64 v[96:97], v[112:113], v[106:107]
	v_fma_f64 v[22:23], v[112:113], v[20:21], -v[22:23]
	v_fmac_f64_e32 v[96:97], v[114:115], v[20:21]
	s_waitcnt vmcnt(0)
	v_add_f64 v[92:93], v[92:93], -v[22:23]
	v_add_f64 v[94:95], v[94:95], -v[96:97]
	v_mov_b64_e32 v[22:23], v[106:107]
.LBB46_356:
	s_or_b64 exec, exec, s[0:1]
	v_lshl_add_u32 v96, v109, 4, v108
	s_barrier
	s_waitcnt vmcnt(6)
	ds_write2_b64 v96, v[24:25], v[26:27] offset1:1
	s_waitcnt lgkmcnt(0)
	s_barrier
	ds_read2_b64 v[96:99], v108 offset0:34 offset1:35
	s_cmp_lt_i32 s20, 19
	v_mov_b32_e32 v106, 17
	s_cbranch_scc1 .LBB46_359
; %bb.357:
	v_add_u32_e32 v107, 0x120, v108
	s_mov_b32 s16, 18
	v_mov_b32_e32 v106, 17
.LBB46_358:                             ; =>This Inner Loop Header: Depth=1
	ds_read2_b64 v[112:115], v107 offset1:1
	s_waitcnt lgkmcnt(1)
	v_xor_b32_e32 v117, 0x80000000, v97
	v_xor_b32_e32 v119, 0x80000000, v99
	v_cmp_gt_f64_e32 vcc, 0, v[98:99]
	v_cmp_gt_f64_e64 s[0:1], 0, v[96:97]
	v_mov_b32_e32 v116, v96
	v_mov_b32_e32 v118, v98
	v_cndmask_b32_e64 v117, v97, v117, s[0:1]
	v_cndmask_b32_e32 v119, v99, v119, vcc
	v_add_f64 v[116:117], v[116:117], v[118:119]
	s_waitcnt lgkmcnt(0)
	v_xor_b32_e32 v119, 0x80000000, v113
	v_xor_b32_e32 v121, 0x80000000, v115
	v_cmp_gt_f64_e32 vcc, 0, v[114:115]
	v_cmp_gt_f64_e64 s[0:1], 0, v[112:113]
	v_mov_b32_e32 v118, v112
	v_mov_b32_e32 v120, v114
	v_cndmask_b32_e64 v119, v113, v119, s[0:1]
	v_cndmask_b32_e32 v121, v115, v121, vcc
	v_add_f64 v[118:119], v[118:119], v[120:121]
	v_mov_b32_e32 v122, s16
	s_add_i32 s16, s16, 1
	v_cmp_lt_f64_e32 vcc, v[116:117], v[118:119]
	v_add_u32_e32 v107, 16, v107
	s_cmp_lg_u32 s20, s16
	v_cndmask_b32_e32 v97, v97, v113, vcc
	v_cndmask_b32_e32 v96, v96, v112, vcc
	;; [unrolled: 1-line block ×5, first 2 shown]
	s_cbranch_scc1 .LBB46_358
.LBB46_359:
	s_waitcnt lgkmcnt(0)
	v_cmp_eq_f64_e32 vcc, 0, v[96:97]
	v_cmp_eq_f64_e64 s[0:1], 0, v[98:99]
	s_and_b64 s[0:1], vcc, s[0:1]
	s_and_saveexec_b64 s[16:17], s[0:1]
	s_xor_b64 s[0:1], exec, s[16:17]
; %bb.360:
	v_cmp_ne_u32_e32 vcc, 0, v111
	s_nop 1
	v_cndmask_b32_e32 v111, 18, v111, vcc
; %bb.361:
	s_andn2_saveexec_b64 s[0:1], s[0:1]
	s_cbranch_execz .LBB46_367
; %bb.362:
	v_cmp_ngt_f64_e64 s[16:17], |v[96:97]|, |v[98:99]|
	s_and_saveexec_b64 s[18:19], s[16:17]
	s_xor_b64 s[16:17], exec, s[18:19]
	s_cbranch_execz .LBB46_364
; %bb.363:
	v_div_scale_f64 v[112:113], s[18:19], v[98:99], v[98:99], v[96:97]
	v_rcp_f64_e32 v[114:115], v[112:113]
	v_div_scale_f64 v[116:117], vcc, v[96:97], v[98:99], v[96:97]
	v_fma_f64 v[118:119], -v[112:113], v[114:115], 1.0
	v_fmac_f64_e32 v[114:115], v[114:115], v[118:119]
	v_fma_f64 v[118:119], -v[112:113], v[114:115], 1.0
	v_fmac_f64_e32 v[114:115], v[114:115], v[118:119]
	v_mul_f64 v[118:119], v[116:117], v[114:115]
	v_fma_f64 v[112:113], -v[112:113], v[118:119], v[116:117]
	v_div_fmas_f64 v[112:113], v[112:113], v[114:115], v[118:119]
	v_div_fixup_f64 v[112:113], v[112:113], v[98:99], v[96:97]
	v_fmac_f64_e32 v[98:99], v[96:97], v[112:113]
	v_div_scale_f64 v[96:97], s[18:19], v[98:99], v[98:99], 1.0
	v_rcp_f64_e32 v[114:115], v[96:97]
	s_nop 0
	v_fma_f64 v[116:117], -v[96:97], v[114:115], 1.0
	v_fmac_f64_e32 v[114:115], v[114:115], v[116:117]
	v_fma_f64 v[116:117], -v[96:97], v[114:115], 1.0
	v_fmac_f64_e32 v[114:115], v[114:115], v[116:117]
	v_div_scale_f64 v[116:117], vcc, 1.0, v[98:99], 1.0
	v_mul_f64 v[118:119], v[116:117], v[114:115]
	v_fma_f64 v[96:97], -v[96:97], v[118:119], v[116:117]
	s_nop 1
	v_div_fmas_f64 v[96:97], v[96:97], v[114:115], v[118:119]
	v_div_fixup_f64 v[98:99], v[96:97], v[98:99], 1.0
	v_mul_f64 v[96:97], v[112:113], v[98:99]
	v_xor_b32_e32 v99, 0x80000000, v99
.LBB46_364:
	s_andn2_saveexec_b64 s[16:17], s[16:17]
	s_cbranch_execz .LBB46_366
; %bb.365:
	v_div_scale_f64 v[112:113], s[18:19], v[96:97], v[96:97], v[98:99]
	v_rcp_f64_e32 v[114:115], v[112:113]
	v_div_scale_f64 v[116:117], vcc, v[98:99], v[96:97], v[98:99]
	v_fma_f64 v[118:119], -v[112:113], v[114:115], 1.0
	v_fmac_f64_e32 v[114:115], v[114:115], v[118:119]
	v_fma_f64 v[118:119], -v[112:113], v[114:115], 1.0
	v_fmac_f64_e32 v[114:115], v[114:115], v[118:119]
	v_mul_f64 v[118:119], v[116:117], v[114:115]
	v_fma_f64 v[112:113], -v[112:113], v[118:119], v[116:117]
	v_div_fmas_f64 v[112:113], v[112:113], v[114:115], v[118:119]
	v_div_fixup_f64 v[112:113], v[112:113], v[96:97], v[98:99]
	v_fmac_f64_e32 v[96:97], v[98:99], v[112:113]
	v_div_scale_f64 v[98:99], s[18:19], v[96:97], v[96:97], 1.0
	v_rcp_f64_e32 v[114:115], v[98:99]
	s_nop 0
	v_fma_f64 v[116:117], -v[98:99], v[114:115], 1.0
	v_fmac_f64_e32 v[114:115], v[114:115], v[116:117]
	v_fma_f64 v[116:117], -v[98:99], v[114:115], 1.0
	v_fmac_f64_e32 v[114:115], v[114:115], v[116:117]
	v_div_scale_f64 v[116:117], vcc, 1.0, v[96:97], 1.0
	v_mul_f64 v[118:119], v[116:117], v[114:115]
	v_fma_f64 v[98:99], -v[98:99], v[118:119], v[116:117]
	s_nop 1
	v_div_fmas_f64 v[98:99], v[98:99], v[114:115], v[118:119]
	v_div_fixup_f64 v[96:97], v[98:99], v[96:97], 1.0
	v_mul_f64 v[98:99], v[112:113], -v[96:97]
.LBB46_366:
	s_or_b64 exec, exec, s[16:17]
.LBB46_367:
	s_or_b64 exec, exec, s[0:1]
	v_cmp_ne_u32_e32 vcc, v109, v106
	s_and_saveexec_b64 s[0:1], vcc
	s_xor_b64 s[0:1], exec, s[0:1]
	s_cbranch_execz .LBB46_373
; %bb.368:
	v_cmp_eq_u32_e32 vcc, 17, v109
	s_and_saveexec_b64 s[16:17], vcc
	s_cbranch_execz .LBB46_372
; %bb.369:
	v_cmp_ne_u32_e32 vcc, 17, v106
	s_xor_b64 s[18:19], s[14:15], -1
	s_and_b64 s[22:23], s[18:19], vcc
	s_and_saveexec_b64 s[18:19], s[22:23]
	s_cbranch_execz .LBB46_371
; %bb.370:
	v_ashrrev_i32_e32 v107, 31, v106
	v_lshl_add_u64 v[112:113], v[106:107], 2, v[104:105]
	global_load_dword v107, v[112:113], off
	global_load_dword v109, v[104:105], off offset:68
	s_waitcnt vmcnt(1)
	global_store_dword v[104:105], v107, off offset:68
	s_waitcnt vmcnt(1)
	global_store_dword v[112:113], v109, off
.LBB46_371:
	s_or_b64 exec, exec, s[18:19]
	v_mov_b32_e32 v109, v106
	v_mov_b32_e32 v110, v106
.LBB46_372:
	s_or_b64 exec, exec, s[16:17]
.LBB46_373:
	s_andn2_saveexec_b64 s[0:1], s[0:1]
	s_cbranch_execz .LBB46_375
; %bb.374:
	v_mov_b32_e32 v109, 17
	s_waitcnt vmcnt(5)
	ds_write2_b64 v108, v[16:17], v[18:19] offset0:36 offset1:37
	s_waitcnt vmcnt(4)
	ds_write2_b64 v108, v[12:13], v[14:15] offset0:38 offset1:39
	;; [unrolled: 2-line block ×6, first 2 shown]
.LBB46_375:
	s_or_b64 exec, exec, s[0:1]
	v_cmp_lt_i32_e32 vcc, 17, v109
	s_waitcnt lgkmcnt(0)
	s_barrier
	s_and_saveexec_b64 s[0:1], vcc
	s_cbranch_execz .LBB46_377
; %bb.376:
	ds_read2_b64 v[112:115], v108 offset0:36 offset1:37
	v_mul_f64 v[106:107], v[96:97], v[26:27]
	v_mul_f64 v[26:27], v[98:99], v[26:27]
	v_fmac_f64_e32 v[106:107], v[98:99], v[24:25]
	v_fma_f64 v[24:25], v[96:97], v[24:25], -v[26:27]
	ds_read2_b64 v[96:99], v108 offset0:38 offset1:39
	s_waitcnt lgkmcnt(1)
	v_mul_f64 v[26:27], v[114:115], v[106:107]
	v_fma_f64 v[26:27], v[112:113], v[24:25], -v[26:27]
	v_mul_f64 v[112:113], v[112:113], v[106:107]
	v_fmac_f64_e32 v[112:113], v[114:115], v[24:25]
	s_waitcnt vmcnt(5)
	v_add_f64 v[16:17], v[16:17], -v[26:27]
	s_waitcnt lgkmcnt(0)
	v_mul_f64 v[26:27], v[98:99], v[106:107]
	v_add_f64 v[18:19], v[18:19], -v[112:113]
	v_fma_f64 v[26:27], v[96:97], v[24:25], -v[26:27]
	v_mul_f64 v[96:97], v[96:97], v[106:107]
	ds_read2_b64 v[112:115], v108 offset0:40 offset1:41
	v_fmac_f64_e32 v[96:97], v[98:99], v[24:25]
	s_waitcnt vmcnt(4)
	v_add_f64 v[14:15], v[14:15], -v[96:97]
	ds_read2_b64 v[96:99], v108 offset0:42 offset1:43
	v_add_f64 v[12:13], v[12:13], -v[26:27]
	s_waitcnt lgkmcnt(1)
	v_mul_f64 v[26:27], v[114:115], v[106:107]
	v_fma_f64 v[26:27], v[112:113], v[24:25], -v[26:27]
	v_mul_f64 v[112:113], v[112:113], v[106:107]
	v_fmac_f64_e32 v[112:113], v[114:115], v[24:25]
	s_waitcnt vmcnt(3)
	v_add_f64 v[8:9], v[8:9], -v[26:27]
	s_waitcnt lgkmcnt(0)
	v_mul_f64 v[26:27], v[98:99], v[106:107]
	v_add_f64 v[10:11], v[10:11], -v[112:113]
	v_fma_f64 v[26:27], v[96:97], v[24:25], -v[26:27]
	v_mul_f64 v[96:97], v[96:97], v[106:107]
	ds_read2_b64 v[112:115], v108 offset0:44 offset1:45
	v_fmac_f64_e32 v[96:97], v[98:99], v[24:25]
	s_waitcnt vmcnt(2)
	v_add_f64 v[6:7], v[6:7], -v[96:97]
	ds_read2_b64 v[96:99], v108 offset0:46 offset1:47
	v_add_f64 v[4:5], v[4:5], -v[26:27]
	s_waitcnt lgkmcnt(1)
	v_mul_f64 v[26:27], v[114:115], v[106:107]
	v_fma_f64 v[26:27], v[112:113], v[24:25], -v[26:27]
	s_waitcnt vmcnt(1)
	v_add_f64 v[0:1], v[0:1], -v[26:27]
	s_waitcnt lgkmcnt(0)
	v_mul_f64 v[26:27], v[98:99], v[106:107]
	v_mul_f64 v[112:113], v[112:113], v[106:107]
	v_fma_f64 v[26:27], v[96:97], v[24:25], -v[26:27]
	v_mul_f64 v[96:97], v[96:97], v[106:107]
	v_fmac_f64_e32 v[112:113], v[114:115], v[24:25]
	v_fmac_f64_e32 v[96:97], v[98:99], v[24:25]
	v_add_f64 v[2:3], v[2:3], -v[112:113]
	s_waitcnt vmcnt(0)
	v_add_f64 v[92:93], v[92:93], -v[26:27]
	v_add_f64 v[94:95], v[94:95], -v[96:97]
	v_mov_b64_e32 v[26:27], v[106:107]
.LBB46_377:
	s_or_b64 exec, exec, s[0:1]
	v_lshl_add_u32 v96, v109, 4, v108
	s_barrier
	s_waitcnt vmcnt(5)
	ds_write2_b64 v96, v[16:17], v[18:19] offset1:1
	s_waitcnt lgkmcnt(0)
	s_barrier
	ds_read2_b64 v[96:99], v108 offset0:36 offset1:37
	s_cmp_lt_i32 s20, 20
	v_mov_b32_e32 v106, 18
	s_cbranch_scc1 .LBB46_380
; %bb.378:
	v_add_u32_e32 v107, 0x130, v108
	s_mov_b32 s16, 19
	v_mov_b32_e32 v106, 18
.LBB46_379:                             ; =>This Inner Loop Header: Depth=1
	ds_read2_b64 v[112:115], v107 offset1:1
	s_waitcnt lgkmcnt(1)
	v_xor_b32_e32 v117, 0x80000000, v97
	v_xor_b32_e32 v119, 0x80000000, v99
	v_cmp_gt_f64_e32 vcc, 0, v[98:99]
	v_cmp_gt_f64_e64 s[0:1], 0, v[96:97]
	v_mov_b32_e32 v116, v96
	v_mov_b32_e32 v118, v98
	v_cndmask_b32_e64 v117, v97, v117, s[0:1]
	v_cndmask_b32_e32 v119, v99, v119, vcc
	v_add_f64 v[116:117], v[116:117], v[118:119]
	s_waitcnt lgkmcnt(0)
	v_xor_b32_e32 v119, 0x80000000, v113
	v_xor_b32_e32 v121, 0x80000000, v115
	v_cmp_gt_f64_e32 vcc, 0, v[114:115]
	v_cmp_gt_f64_e64 s[0:1], 0, v[112:113]
	v_mov_b32_e32 v118, v112
	v_mov_b32_e32 v120, v114
	v_cndmask_b32_e64 v119, v113, v119, s[0:1]
	v_cndmask_b32_e32 v121, v115, v121, vcc
	v_add_f64 v[118:119], v[118:119], v[120:121]
	v_mov_b32_e32 v122, s16
	s_add_i32 s16, s16, 1
	v_cmp_lt_f64_e32 vcc, v[116:117], v[118:119]
	v_add_u32_e32 v107, 16, v107
	s_cmp_lg_u32 s20, s16
	v_cndmask_b32_e32 v97, v97, v113, vcc
	v_cndmask_b32_e32 v96, v96, v112, vcc
	;; [unrolled: 1-line block ×5, first 2 shown]
	s_cbranch_scc1 .LBB46_379
.LBB46_380:
	s_waitcnt lgkmcnt(0)
	v_cmp_eq_f64_e32 vcc, 0, v[96:97]
	v_cmp_eq_f64_e64 s[0:1], 0, v[98:99]
	s_and_b64 s[0:1], vcc, s[0:1]
	s_and_saveexec_b64 s[16:17], s[0:1]
	s_xor_b64 s[0:1], exec, s[16:17]
; %bb.381:
	v_cmp_ne_u32_e32 vcc, 0, v111
	s_nop 1
	v_cndmask_b32_e32 v111, 19, v111, vcc
; %bb.382:
	s_andn2_saveexec_b64 s[0:1], s[0:1]
	s_cbranch_execz .LBB46_388
; %bb.383:
	v_cmp_ngt_f64_e64 s[16:17], |v[96:97]|, |v[98:99]|
	s_and_saveexec_b64 s[18:19], s[16:17]
	s_xor_b64 s[16:17], exec, s[18:19]
	s_cbranch_execz .LBB46_385
; %bb.384:
	v_div_scale_f64 v[112:113], s[18:19], v[98:99], v[98:99], v[96:97]
	v_rcp_f64_e32 v[114:115], v[112:113]
	v_div_scale_f64 v[116:117], vcc, v[96:97], v[98:99], v[96:97]
	v_fma_f64 v[118:119], -v[112:113], v[114:115], 1.0
	v_fmac_f64_e32 v[114:115], v[114:115], v[118:119]
	v_fma_f64 v[118:119], -v[112:113], v[114:115], 1.0
	v_fmac_f64_e32 v[114:115], v[114:115], v[118:119]
	v_mul_f64 v[118:119], v[116:117], v[114:115]
	v_fma_f64 v[112:113], -v[112:113], v[118:119], v[116:117]
	v_div_fmas_f64 v[112:113], v[112:113], v[114:115], v[118:119]
	v_div_fixup_f64 v[112:113], v[112:113], v[98:99], v[96:97]
	v_fmac_f64_e32 v[98:99], v[96:97], v[112:113]
	v_div_scale_f64 v[96:97], s[18:19], v[98:99], v[98:99], 1.0
	v_rcp_f64_e32 v[114:115], v[96:97]
	s_nop 0
	v_fma_f64 v[116:117], -v[96:97], v[114:115], 1.0
	v_fmac_f64_e32 v[114:115], v[114:115], v[116:117]
	v_fma_f64 v[116:117], -v[96:97], v[114:115], 1.0
	v_fmac_f64_e32 v[114:115], v[114:115], v[116:117]
	v_div_scale_f64 v[116:117], vcc, 1.0, v[98:99], 1.0
	v_mul_f64 v[118:119], v[116:117], v[114:115]
	v_fma_f64 v[96:97], -v[96:97], v[118:119], v[116:117]
	s_nop 1
	v_div_fmas_f64 v[96:97], v[96:97], v[114:115], v[118:119]
	v_div_fixup_f64 v[98:99], v[96:97], v[98:99], 1.0
	v_mul_f64 v[96:97], v[112:113], v[98:99]
	v_xor_b32_e32 v99, 0x80000000, v99
.LBB46_385:
	s_andn2_saveexec_b64 s[16:17], s[16:17]
	s_cbranch_execz .LBB46_387
; %bb.386:
	v_div_scale_f64 v[112:113], s[18:19], v[96:97], v[96:97], v[98:99]
	v_rcp_f64_e32 v[114:115], v[112:113]
	v_div_scale_f64 v[116:117], vcc, v[98:99], v[96:97], v[98:99]
	v_fma_f64 v[118:119], -v[112:113], v[114:115], 1.0
	v_fmac_f64_e32 v[114:115], v[114:115], v[118:119]
	v_fma_f64 v[118:119], -v[112:113], v[114:115], 1.0
	v_fmac_f64_e32 v[114:115], v[114:115], v[118:119]
	v_mul_f64 v[118:119], v[116:117], v[114:115]
	v_fma_f64 v[112:113], -v[112:113], v[118:119], v[116:117]
	v_div_fmas_f64 v[112:113], v[112:113], v[114:115], v[118:119]
	v_div_fixup_f64 v[112:113], v[112:113], v[96:97], v[98:99]
	v_fmac_f64_e32 v[96:97], v[98:99], v[112:113]
	v_div_scale_f64 v[98:99], s[18:19], v[96:97], v[96:97], 1.0
	v_rcp_f64_e32 v[114:115], v[98:99]
	s_nop 0
	v_fma_f64 v[116:117], -v[98:99], v[114:115], 1.0
	v_fmac_f64_e32 v[114:115], v[114:115], v[116:117]
	v_fma_f64 v[116:117], -v[98:99], v[114:115], 1.0
	v_fmac_f64_e32 v[114:115], v[114:115], v[116:117]
	v_div_scale_f64 v[116:117], vcc, 1.0, v[96:97], 1.0
	v_mul_f64 v[118:119], v[116:117], v[114:115]
	v_fma_f64 v[98:99], -v[98:99], v[118:119], v[116:117]
	s_nop 1
	v_div_fmas_f64 v[98:99], v[98:99], v[114:115], v[118:119]
	v_div_fixup_f64 v[96:97], v[98:99], v[96:97], 1.0
	v_mul_f64 v[98:99], v[112:113], -v[96:97]
.LBB46_387:
	s_or_b64 exec, exec, s[16:17]
.LBB46_388:
	s_or_b64 exec, exec, s[0:1]
	v_cmp_ne_u32_e32 vcc, v109, v106
	s_and_saveexec_b64 s[0:1], vcc
	s_xor_b64 s[0:1], exec, s[0:1]
	s_cbranch_execz .LBB46_394
; %bb.389:
	v_cmp_eq_u32_e32 vcc, 18, v109
	s_and_saveexec_b64 s[16:17], vcc
	s_cbranch_execz .LBB46_393
; %bb.390:
	v_cmp_ne_u32_e32 vcc, 18, v106
	s_xor_b64 s[18:19], s[14:15], -1
	s_and_b64 s[22:23], s[18:19], vcc
	s_and_saveexec_b64 s[18:19], s[22:23]
	s_cbranch_execz .LBB46_392
; %bb.391:
	v_ashrrev_i32_e32 v107, 31, v106
	v_lshl_add_u64 v[112:113], v[106:107], 2, v[104:105]
	global_load_dword v107, v[112:113], off
	global_load_dword v109, v[104:105], off offset:72
	s_waitcnt vmcnt(1)
	global_store_dword v[104:105], v107, off offset:72
	s_waitcnt vmcnt(1)
	global_store_dword v[112:113], v109, off
.LBB46_392:
	s_or_b64 exec, exec, s[18:19]
	v_mov_b32_e32 v109, v106
	v_mov_b32_e32 v110, v106
.LBB46_393:
	s_or_b64 exec, exec, s[16:17]
.LBB46_394:
	s_andn2_saveexec_b64 s[0:1], s[0:1]
	s_cbranch_execz .LBB46_396
; %bb.395:
	v_mov_b32_e32 v109, 18
	s_waitcnt vmcnt(4)
	ds_write2_b64 v108, v[12:13], v[14:15] offset0:38 offset1:39
	s_waitcnt vmcnt(3)
	ds_write2_b64 v108, v[8:9], v[10:11] offset0:40 offset1:41
	;; [unrolled: 2-line block ×5, first 2 shown]
.LBB46_396:
	s_or_b64 exec, exec, s[0:1]
	v_cmp_lt_i32_e32 vcc, 18, v109
	s_waitcnt lgkmcnt(0)
	s_barrier
	s_and_saveexec_b64 s[0:1], vcc
	s_cbranch_execz .LBB46_398
; %bb.397:
	ds_read2_b64 v[112:115], v108 offset0:38 offset1:39
	v_mul_f64 v[106:107], v[96:97], v[18:19]
	v_fmac_f64_e32 v[106:107], v[98:99], v[16:17]
	v_mul_f64 v[18:19], v[98:99], v[18:19]
	v_fma_f64 v[16:17], v[96:97], v[16:17], -v[18:19]
	ds_read2_b64 v[96:99], v108 offset0:40 offset1:41
	s_waitcnt lgkmcnt(1)
	v_mul_f64 v[18:19], v[114:115], v[106:107]
	v_fma_f64 v[18:19], v[112:113], v[16:17], -v[18:19]
	v_mul_f64 v[112:113], v[112:113], v[106:107]
	v_fmac_f64_e32 v[112:113], v[114:115], v[16:17]
	s_waitcnt vmcnt(4)
	v_add_f64 v[14:15], v[14:15], -v[112:113]
	ds_read2_b64 v[112:115], v108 offset0:42 offset1:43
	v_add_f64 v[12:13], v[12:13], -v[18:19]
	s_waitcnt lgkmcnt(1)
	v_mul_f64 v[18:19], v[98:99], v[106:107]
	v_fma_f64 v[18:19], v[96:97], v[16:17], -v[18:19]
	v_mul_f64 v[96:97], v[96:97], v[106:107]
	v_fmac_f64_e32 v[96:97], v[98:99], v[16:17]
	s_waitcnt vmcnt(3)
	v_add_f64 v[8:9], v[8:9], -v[18:19]
	v_add_f64 v[10:11], v[10:11], -v[96:97]
	ds_read2_b64 v[96:99], v108 offset0:44 offset1:45
	s_waitcnt lgkmcnt(1)
	v_mul_f64 v[18:19], v[114:115], v[106:107]
	v_fma_f64 v[18:19], v[112:113], v[16:17], -v[18:19]
	v_mul_f64 v[112:113], v[112:113], v[106:107]
	v_fmac_f64_e32 v[112:113], v[114:115], v[16:17]
	s_waitcnt vmcnt(2)
	v_add_f64 v[6:7], v[6:7], -v[112:113]
	ds_read2_b64 v[112:115], v108 offset0:46 offset1:47
	v_add_f64 v[4:5], v[4:5], -v[18:19]
	s_waitcnt lgkmcnt(1)
	v_mul_f64 v[18:19], v[98:99], v[106:107]
	v_fma_f64 v[18:19], v[96:97], v[16:17], -v[18:19]
	v_mul_f64 v[96:97], v[96:97], v[106:107]
	v_fmac_f64_e32 v[96:97], v[98:99], v[16:17]
	s_waitcnt vmcnt(1)
	v_add_f64 v[0:1], v[0:1], -v[18:19]
	v_add_f64 v[2:3], v[2:3], -v[96:97]
	s_waitcnt lgkmcnt(0)
	v_mul_f64 v[18:19], v[114:115], v[106:107]
	v_mul_f64 v[96:97], v[112:113], v[106:107]
	v_fma_f64 v[18:19], v[112:113], v[16:17], -v[18:19]
	v_fmac_f64_e32 v[96:97], v[114:115], v[16:17]
	s_waitcnt vmcnt(0)
	v_add_f64 v[92:93], v[92:93], -v[18:19]
	v_add_f64 v[94:95], v[94:95], -v[96:97]
	v_mov_b64_e32 v[18:19], v[106:107]
.LBB46_398:
	s_or_b64 exec, exec, s[0:1]
	v_lshl_add_u32 v96, v109, 4, v108
	s_barrier
	s_waitcnt vmcnt(4)
	ds_write2_b64 v96, v[12:13], v[14:15] offset1:1
	s_waitcnt lgkmcnt(0)
	s_barrier
	ds_read2_b64 v[96:99], v108 offset0:38 offset1:39
	s_cmp_lt_i32 s20, 21
	v_mov_b32_e32 v106, 19
	s_cbranch_scc1 .LBB46_401
; %bb.399:
	v_add_u32_e32 v107, 0x140, v108
	s_mov_b32 s16, 20
	v_mov_b32_e32 v106, 19
.LBB46_400:                             ; =>This Inner Loop Header: Depth=1
	ds_read2_b64 v[112:115], v107 offset1:1
	s_waitcnt lgkmcnt(1)
	v_xor_b32_e32 v117, 0x80000000, v97
	v_xor_b32_e32 v119, 0x80000000, v99
	v_cmp_gt_f64_e32 vcc, 0, v[98:99]
	v_cmp_gt_f64_e64 s[0:1], 0, v[96:97]
	v_mov_b32_e32 v116, v96
	v_mov_b32_e32 v118, v98
	v_cndmask_b32_e64 v117, v97, v117, s[0:1]
	v_cndmask_b32_e32 v119, v99, v119, vcc
	v_add_f64 v[116:117], v[116:117], v[118:119]
	s_waitcnt lgkmcnt(0)
	v_xor_b32_e32 v119, 0x80000000, v113
	v_xor_b32_e32 v121, 0x80000000, v115
	v_cmp_gt_f64_e32 vcc, 0, v[114:115]
	v_cmp_gt_f64_e64 s[0:1], 0, v[112:113]
	v_mov_b32_e32 v118, v112
	v_mov_b32_e32 v120, v114
	v_cndmask_b32_e64 v119, v113, v119, s[0:1]
	v_cndmask_b32_e32 v121, v115, v121, vcc
	v_add_f64 v[118:119], v[118:119], v[120:121]
	v_mov_b32_e32 v122, s16
	s_add_i32 s16, s16, 1
	v_cmp_lt_f64_e32 vcc, v[116:117], v[118:119]
	v_add_u32_e32 v107, 16, v107
	s_cmp_lg_u32 s20, s16
	v_cndmask_b32_e32 v97, v97, v113, vcc
	v_cndmask_b32_e32 v96, v96, v112, vcc
	;; [unrolled: 1-line block ×5, first 2 shown]
	s_cbranch_scc1 .LBB46_400
.LBB46_401:
	s_waitcnt lgkmcnt(0)
	v_cmp_eq_f64_e32 vcc, 0, v[96:97]
	v_cmp_eq_f64_e64 s[0:1], 0, v[98:99]
	s_and_b64 s[0:1], vcc, s[0:1]
	s_and_saveexec_b64 s[16:17], s[0:1]
	s_xor_b64 s[0:1], exec, s[16:17]
; %bb.402:
	v_cmp_ne_u32_e32 vcc, 0, v111
	s_nop 1
	v_cndmask_b32_e32 v111, 20, v111, vcc
; %bb.403:
	s_andn2_saveexec_b64 s[0:1], s[0:1]
	s_cbranch_execz .LBB46_409
; %bb.404:
	v_cmp_ngt_f64_e64 s[16:17], |v[96:97]|, |v[98:99]|
	s_and_saveexec_b64 s[18:19], s[16:17]
	s_xor_b64 s[16:17], exec, s[18:19]
	s_cbranch_execz .LBB46_406
; %bb.405:
	v_div_scale_f64 v[112:113], s[18:19], v[98:99], v[98:99], v[96:97]
	v_rcp_f64_e32 v[114:115], v[112:113]
	v_div_scale_f64 v[116:117], vcc, v[96:97], v[98:99], v[96:97]
	v_fma_f64 v[118:119], -v[112:113], v[114:115], 1.0
	v_fmac_f64_e32 v[114:115], v[114:115], v[118:119]
	v_fma_f64 v[118:119], -v[112:113], v[114:115], 1.0
	v_fmac_f64_e32 v[114:115], v[114:115], v[118:119]
	v_mul_f64 v[118:119], v[116:117], v[114:115]
	v_fma_f64 v[112:113], -v[112:113], v[118:119], v[116:117]
	v_div_fmas_f64 v[112:113], v[112:113], v[114:115], v[118:119]
	v_div_fixup_f64 v[112:113], v[112:113], v[98:99], v[96:97]
	v_fmac_f64_e32 v[98:99], v[96:97], v[112:113]
	v_div_scale_f64 v[96:97], s[18:19], v[98:99], v[98:99], 1.0
	v_rcp_f64_e32 v[114:115], v[96:97]
	s_nop 0
	v_fma_f64 v[116:117], -v[96:97], v[114:115], 1.0
	v_fmac_f64_e32 v[114:115], v[114:115], v[116:117]
	v_fma_f64 v[116:117], -v[96:97], v[114:115], 1.0
	v_fmac_f64_e32 v[114:115], v[114:115], v[116:117]
	v_div_scale_f64 v[116:117], vcc, 1.0, v[98:99], 1.0
	v_mul_f64 v[118:119], v[116:117], v[114:115]
	v_fma_f64 v[96:97], -v[96:97], v[118:119], v[116:117]
	s_nop 1
	v_div_fmas_f64 v[96:97], v[96:97], v[114:115], v[118:119]
	v_div_fixup_f64 v[98:99], v[96:97], v[98:99], 1.0
	v_mul_f64 v[96:97], v[112:113], v[98:99]
	v_xor_b32_e32 v99, 0x80000000, v99
.LBB46_406:
	s_andn2_saveexec_b64 s[16:17], s[16:17]
	s_cbranch_execz .LBB46_408
; %bb.407:
	v_div_scale_f64 v[112:113], s[18:19], v[96:97], v[96:97], v[98:99]
	v_rcp_f64_e32 v[114:115], v[112:113]
	v_div_scale_f64 v[116:117], vcc, v[98:99], v[96:97], v[98:99]
	v_fma_f64 v[118:119], -v[112:113], v[114:115], 1.0
	v_fmac_f64_e32 v[114:115], v[114:115], v[118:119]
	v_fma_f64 v[118:119], -v[112:113], v[114:115], 1.0
	v_fmac_f64_e32 v[114:115], v[114:115], v[118:119]
	v_mul_f64 v[118:119], v[116:117], v[114:115]
	v_fma_f64 v[112:113], -v[112:113], v[118:119], v[116:117]
	v_div_fmas_f64 v[112:113], v[112:113], v[114:115], v[118:119]
	v_div_fixup_f64 v[112:113], v[112:113], v[96:97], v[98:99]
	v_fmac_f64_e32 v[96:97], v[98:99], v[112:113]
	v_div_scale_f64 v[98:99], s[18:19], v[96:97], v[96:97], 1.0
	v_rcp_f64_e32 v[114:115], v[98:99]
	s_nop 0
	v_fma_f64 v[116:117], -v[98:99], v[114:115], 1.0
	v_fmac_f64_e32 v[114:115], v[114:115], v[116:117]
	v_fma_f64 v[116:117], -v[98:99], v[114:115], 1.0
	v_fmac_f64_e32 v[114:115], v[114:115], v[116:117]
	v_div_scale_f64 v[116:117], vcc, 1.0, v[96:97], 1.0
	v_mul_f64 v[118:119], v[116:117], v[114:115]
	v_fma_f64 v[98:99], -v[98:99], v[118:119], v[116:117]
	s_nop 1
	v_div_fmas_f64 v[98:99], v[98:99], v[114:115], v[118:119]
	v_div_fixup_f64 v[96:97], v[98:99], v[96:97], 1.0
	v_mul_f64 v[98:99], v[112:113], -v[96:97]
.LBB46_408:
	s_or_b64 exec, exec, s[16:17]
.LBB46_409:
	s_or_b64 exec, exec, s[0:1]
	v_cmp_ne_u32_e32 vcc, v109, v106
	s_and_saveexec_b64 s[0:1], vcc
	s_xor_b64 s[0:1], exec, s[0:1]
	s_cbranch_execz .LBB46_415
; %bb.410:
	v_cmp_eq_u32_e32 vcc, 19, v109
	s_and_saveexec_b64 s[16:17], vcc
	s_cbranch_execz .LBB46_414
; %bb.411:
	v_cmp_ne_u32_e32 vcc, 19, v106
	s_xor_b64 s[18:19], s[14:15], -1
	s_and_b64 s[22:23], s[18:19], vcc
	s_and_saveexec_b64 s[18:19], s[22:23]
	s_cbranch_execz .LBB46_413
; %bb.412:
	v_ashrrev_i32_e32 v107, 31, v106
	v_lshl_add_u64 v[112:113], v[106:107], 2, v[104:105]
	global_load_dword v107, v[112:113], off
	global_load_dword v109, v[104:105], off offset:76
	s_waitcnt vmcnt(1)
	global_store_dword v[104:105], v107, off offset:76
	s_waitcnt vmcnt(1)
	global_store_dword v[112:113], v109, off
.LBB46_413:
	s_or_b64 exec, exec, s[18:19]
	v_mov_b32_e32 v109, v106
	v_mov_b32_e32 v110, v106
.LBB46_414:
	s_or_b64 exec, exec, s[16:17]
.LBB46_415:
	s_andn2_saveexec_b64 s[0:1], s[0:1]
	s_cbranch_execz .LBB46_417
; %bb.416:
	v_mov_b32_e32 v109, 19
	s_waitcnt vmcnt(3)
	ds_write2_b64 v108, v[8:9], v[10:11] offset0:40 offset1:41
	s_waitcnt vmcnt(2)
	ds_write2_b64 v108, v[4:5], v[6:7] offset0:42 offset1:43
	;; [unrolled: 2-line block ×4, first 2 shown]
.LBB46_417:
	s_or_b64 exec, exec, s[0:1]
	v_cmp_lt_i32_e32 vcc, 19, v109
	s_waitcnt lgkmcnt(0)
	s_barrier
	s_and_saveexec_b64 s[0:1], vcc
	s_cbranch_execz .LBB46_419
; %bb.418:
	ds_read2_b64 v[112:115], v108 offset0:40 offset1:41
	v_mul_f64 v[106:107], v[96:97], v[14:15]
	v_mul_f64 v[14:15], v[98:99], v[14:15]
	v_fmac_f64_e32 v[106:107], v[98:99], v[12:13]
	v_fma_f64 v[12:13], v[96:97], v[12:13], -v[14:15]
	ds_read2_b64 v[96:99], v108 offset0:42 offset1:43
	s_waitcnt lgkmcnt(1)
	v_mul_f64 v[14:15], v[114:115], v[106:107]
	v_fma_f64 v[14:15], v[112:113], v[12:13], -v[14:15]
	v_mul_f64 v[112:113], v[112:113], v[106:107]
	v_fmac_f64_e32 v[112:113], v[114:115], v[12:13]
	s_waitcnt vmcnt(3)
	v_add_f64 v[8:9], v[8:9], -v[14:15]
	s_waitcnt lgkmcnt(0)
	v_mul_f64 v[14:15], v[98:99], v[106:107]
	v_add_f64 v[10:11], v[10:11], -v[112:113]
	v_fma_f64 v[14:15], v[96:97], v[12:13], -v[14:15]
	v_mul_f64 v[96:97], v[96:97], v[106:107]
	ds_read2_b64 v[112:115], v108 offset0:44 offset1:45
	v_fmac_f64_e32 v[96:97], v[98:99], v[12:13]
	s_waitcnt vmcnt(2)
	v_add_f64 v[6:7], v[6:7], -v[96:97]
	ds_read2_b64 v[96:99], v108 offset0:46 offset1:47
	v_add_f64 v[4:5], v[4:5], -v[14:15]
	s_waitcnt lgkmcnt(1)
	v_mul_f64 v[14:15], v[114:115], v[106:107]
	v_fma_f64 v[14:15], v[112:113], v[12:13], -v[14:15]
	s_waitcnt vmcnt(1)
	v_add_f64 v[0:1], v[0:1], -v[14:15]
	s_waitcnt lgkmcnt(0)
	v_mul_f64 v[14:15], v[98:99], v[106:107]
	v_mul_f64 v[112:113], v[112:113], v[106:107]
	v_fma_f64 v[14:15], v[96:97], v[12:13], -v[14:15]
	v_mul_f64 v[96:97], v[96:97], v[106:107]
	v_fmac_f64_e32 v[112:113], v[114:115], v[12:13]
	v_fmac_f64_e32 v[96:97], v[98:99], v[12:13]
	v_add_f64 v[2:3], v[2:3], -v[112:113]
	s_waitcnt vmcnt(0)
	v_add_f64 v[92:93], v[92:93], -v[14:15]
	v_add_f64 v[94:95], v[94:95], -v[96:97]
	v_mov_b64_e32 v[14:15], v[106:107]
.LBB46_419:
	s_or_b64 exec, exec, s[0:1]
	v_lshl_add_u32 v96, v109, 4, v108
	s_barrier
	s_waitcnt vmcnt(3)
	ds_write2_b64 v96, v[8:9], v[10:11] offset1:1
	s_waitcnt lgkmcnt(0)
	s_barrier
	ds_read2_b64 v[96:99], v108 offset0:40 offset1:41
	s_cmp_lt_i32 s20, 22
	v_mov_b32_e32 v106, 20
	s_cbranch_scc1 .LBB46_422
; %bb.420:
	v_add_u32_e32 v107, 0x150, v108
	s_mov_b32 s16, 21
	v_mov_b32_e32 v106, 20
.LBB46_421:                             ; =>This Inner Loop Header: Depth=1
	ds_read2_b64 v[112:115], v107 offset1:1
	s_waitcnt lgkmcnt(1)
	v_xor_b32_e32 v117, 0x80000000, v97
	v_xor_b32_e32 v119, 0x80000000, v99
	v_cmp_gt_f64_e32 vcc, 0, v[98:99]
	v_cmp_gt_f64_e64 s[0:1], 0, v[96:97]
	v_mov_b32_e32 v116, v96
	v_mov_b32_e32 v118, v98
	v_cndmask_b32_e64 v117, v97, v117, s[0:1]
	v_cndmask_b32_e32 v119, v99, v119, vcc
	v_add_f64 v[116:117], v[116:117], v[118:119]
	s_waitcnt lgkmcnt(0)
	v_xor_b32_e32 v119, 0x80000000, v113
	v_xor_b32_e32 v121, 0x80000000, v115
	v_cmp_gt_f64_e32 vcc, 0, v[114:115]
	v_cmp_gt_f64_e64 s[0:1], 0, v[112:113]
	v_mov_b32_e32 v118, v112
	v_mov_b32_e32 v120, v114
	v_cndmask_b32_e64 v119, v113, v119, s[0:1]
	v_cndmask_b32_e32 v121, v115, v121, vcc
	v_add_f64 v[118:119], v[118:119], v[120:121]
	v_mov_b32_e32 v122, s16
	s_add_i32 s16, s16, 1
	v_cmp_lt_f64_e32 vcc, v[116:117], v[118:119]
	v_add_u32_e32 v107, 16, v107
	s_cmp_lg_u32 s20, s16
	v_cndmask_b32_e32 v97, v97, v113, vcc
	v_cndmask_b32_e32 v96, v96, v112, vcc
	;; [unrolled: 1-line block ×5, first 2 shown]
	s_cbranch_scc1 .LBB46_421
.LBB46_422:
	s_waitcnt lgkmcnt(0)
	v_cmp_eq_f64_e32 vcc, 0, v[96:97]
	v_cmp_eq_f64_e64 s[0:1], 0, v[98:99]
	s_and_b64 s[0:1], vcc, s[0:1]
	s_and_saveexec_b64 s[16:17], s[0:1]
	s_xor_b64 s[0:1], exec, s[16:17]
; %bb.423:
	v_cmp_ne_u32_e32 vcc, 0, v111
	s_nop 1
	v_cndmask_b32_e32 v111, 21, v111, vcc
; %bb.424:
	s_andn2_saveexec_b64 s[0:1], s[0:1]
	s_cbranch_execz .LBB46_430
; %bb.425:
	v_cmp_ngt_f64_e64 s[16:17], |v[96:97]|, |v[98:99]|
	s_and_saveexec_b64 s[18:19], s[16:17]
	s_xor_b64 s[16:17], exec, s[18:19]
	s_cbranch_execz .LBB46_427
; %bb.426:
	v_div_scale_f64 v[112:113], s[18:19], v[98:99], v[98:99], v[96:97]
	v_rcp_f64_e32 v[114:115], v[112:113]
	v_div_scale_f64 v[116:117], vcc, v[96:97], v[98:99], v[96:97]
	v_fma_f64 v[118:119], -v[112:113], v[114:115], 1.0
	v_fmac_f64_e32 v[114:115], v[114:115], v[118:119]
	v_fma_f64 v[118:119], -v[112:113], v[114:115], 1.0
	v_fmac_f64_e32 v[114:115], v[114:115], v[118:119]
	v_mul_f64 v[118:119], v[116:117], v[114:115]
	v_fma_f64 v[112:113], -v[112:113], v[118:119], v[116:117]
	v_div_fmas_f64 v[112:113], v[112:113], v[114:115], v[118:119]
	v_div_fixup_f64 v[112:113], v[112:113], v[98:99], v[96:97]
	v_fmac_f64_e32 v[98:99], v[96:97], v[112:113]
	v_div_scale_f64 v[96:97], s[18:19], v[98:99], v[98:99], 1.0
	v_rcp_f64_e32 v[114:115], v[96:97]
	s_nop 0
	v_fma_f64 v[116:117], -v[96:97], v[114:115], 1.0
	v_fmac_f64_e32 v[114:115], v[114:115], v[116:117]
	v_fma_f64 v[116:117], -v[96:97], v[114:115], 1.0
	v_fmac_f64_e32 v[114:115], v[114:115], v[116:117]
	v_div_scale_f64 v[116:117], vcc, 1.0, v[98:99], 1.0
	v_mul_f64 v[118:119], v[116:117], v[114:115]
	v_fma_f64 v[96:97], -v[96:97], v[118:119], v[116:117]
	s_nop 1
	v_div_fmas_f64 v[96:97], v[96:97], v[114:115], v[118:119]
	v_div_fixup_f64 v[98:99], v[96:97], v[98:99], 1.0
	v_mul_f64 v[96:97], v[112:113], v[98:99]
	v_xor_b32_e32 v99, 0x80000000, v99
.LBB46_427:
	s_andn2_saveexec_b64 s[16:17], s[16:17]
	s_cbranch_execz .LBB46_429
; %bb.428:
	v_div_scale_f64 v[112:113], s[18:19], v[96:97], v[96:97], v[98:99]
	v_rcp_f64_e32 v[114:115], v[112:113]
	v_div_scale_f64 v[116:117], vcc, v[98:99], v[96:97], v[98:99]
	v_fma_f64 v[118:119], -v[112:113], v[114:115], 1.0
	v_fmac_f64_e32 v[114:115], v[114:115], v[118:119]
	v_fma_f64 v[118:119], -v[112:113], v[114:115], 1.0
	v_fmac_f64_e32 v[114:115], v[114:115], v[118:119]
	v_mul_f64 v[118:119], v[116:117], v[114:115]
	v_fma_f64 v[112:113], -v[112:113], v[118:119], v[116:117]
	v_div_fmas_f64 v[112:113], v[112:113], v[114:115], v[118:119]
	v_div_fixup_f64 v[112:113], v[112:113], v[96:97], v[98:99]
	v_fmac_f64_e32 v[96:97], v[98:99], v[112:113]
	v_div_scale_f64 v[98:99], s[18:19], v[96:97], v[96:97], 1.0
	v_rcp_f64_e32 v[114:115], v[98:99]
	s_nop 0
	v_fma_f64 v[116:117], -v[98:99], v[114:115], 1.0
	v_fmac_f64_e32 v[114:115], v[114:115], v[116:117]
	v_fma_f64 v[116:117], -v[98:99], v[114:115], 1.0
	v_fmac_f64_e32 v[114:115], v[114:115], v[116:117]
	v_div_scale_f64 v[116:117], vcc, 1.0, v[96:97], 1.0
	v_mul_f64 v[118:119], v[116:117], v[114:115]
	v_fma_f64 v[98:99], -v[98:99], v[118:119], v[116:117]
	s_nop 1
	v_div_fmas_f64 v[98:99], v[98:99], v[114:115], v[118:119]
	v_div_fixup_f64 v[96:97], v[98:99], v[96:97], 1.0
	v_mul_f64 v[98:99], v[112:113], -v[96:97]
.LBB46_429:
	s_or_b64 exec, exec, s[16:17]
.LBB46_430:
	s_or_b64 exec, exec, s[0:1]
	v_cmp_ne_u32_e32 vcc, v109, v106
	s_and_saveexec_b64 s[0:1], vcc
	s_xor_b64 s[0:1], exec, s[0:1]
	s_cbranch_execz .LBB46_436
; %bb.431:
	v_cmp_eq_u32_e32 vcc, 20, v109
	s_and_saveexec_b64 s[16:17], vcc
	s_cbranch_execz .LBB46_435
; %bb.432:
	v_cmp_ne_u32_e32 vcc, 20, v106
	s_xor_b64 s[18:19], s[14:15], -1
	s_and_b64 s[22:23], s[18:19], vcc
	s_and_saveexec_b64 s[18:19], s[22:23]
	s_cbranch_execz .LBB46_434
; %bb.433:
	v_ashrrev_i32_e32 v107, 31, v106
	v_lshl_add_u64 v[112:113], v[106:107], 2, v[104:105]
	global_load_dword v107, v[112:113], off
	global_load_dword v109, v[104:105], off offset:80
	s_waitcnt vmcnt(1)
	global_store_dword v[104:105], v107, off offset:80
	s_waitcnt vmcnt(1)
	global_store_dword v[112:113], v109, off
.LBB46_434:
	s_or_b64 exec, exec, s[18:19]
	v_mov_b32_e32 v109, v106
	v_mov_b32_e32 v110, v106
.LBB46_435:
	s_or_b64 exec, exec, s[16:17]
.LBB46_436:
	s_andn2_saveexec_b64 s[0:1], s[0:1]
	s_cbranch_execz .LBB46_438
; %bb.437:
	v_mov_b32_e32 v109, 20
	s_waitcnt vmcnt(2)
	ds_write2_b64 v108, v[4:5], v[6:7] offset0:42 offset1:43
	s_waitcnt vmcnt(1)
	ds_write2_b64 v108, v[0:1], v[2:3] offset0:44 offset1:45
	;; [unrolled: 2-line block ×3, first 2 shown]
.LBB46_438:
	s_or_b64 exec, exec, s[0:1]
	v_cmp_lt_i32_e32 vcc, 20, v109
	s_waitcnt lgkmcnt(0)
	s_barrier
	s_and_saveexec_b64 s[0:1], vcc
	s_cbranch_execz .LBB46_440
; %bb.439:
	ds_read2_b64 v[112:115], v108 offset0:42 offset1:43
	v_mul_f64 v[106:107], v[96:97], v[10:11]
	v_fmac_f64_e32 v[106:107], v[98:99], v[8:9]
	v_mul_f64 v[10:11], v[98:99], v[10:11]
	v_fma_f64 v[8:9], v[96:97], v[8:9], -v[10:11]
	ds_read2_b64 v[96:99], v108 offset0:44 offset1:45
	s_waitcnt lgkmcnt(1)
	v_mul_f64 v[10:11], v[114:115], v[106:107]
	v_fma_f64 v[10:11], v[112:113], v[8:9], -v[10:11]
	v_mul_f64 v[112:113], v[112:113], v[106:107]
	v_fmac_f64_e32 v[112:113], v[114:115], v[8:9]
	s_waitcnt vmcnt(2)
	v_add_f64 v[6:7], v[6:7], -v[112:113]
	ds_read2_b64 v[112:115], v108 offset0:46 offset1:47
	v_add_f64 v[4:5], v[4:5], -v[10:11]
	s_waitcnt lgkmcnt(1)
	v_mul_f64 v[10:11], v[98:99], v[106:107]
	v_fma_f64 v[10:11], v[96:97], v[8:9], -v[10:11]
	v_mul_f64 v[96:97], v[96:97], v[106:107]
	v_fmac_f64_e32 v[96:97], v[98:99], v[8:9]
	s_waitcnt vmcnt(1)
	v_add_f64 v[0:1], v[0:1], -v[10:11]
	v_add_f64 v[2:3], v[2:3], -v[96:97]
	s_waitcnt lgkmcnt(0)
	v_mul_f64 v[10:11], v[114:115], v[106:107]
	v_mul_f64 v[96:97], v[112:113], v[106:107]
	v_fma_f64 v[10:11], v[112:113], v[8:9], -v[10:11]
	v_fmac_f64_e32 v[96:97], v[114:115], v[8:9]
	s_waitcnt vmcnt(0)
	v_add_f64 v[92:93], v[92:93], -v[10:11]
	v_add_f64 v[94:95], v[94:95], -v[96:97]
	v_mov_b64_e32 v[10:11], v[106:107]
.LBB46_440:
	s_or_b64 exec, exec, s[0:1]
	v_lshl_add_u32 v96, v109, 4, v108
	s_barrier
	s_waitcnt vmcnt(2)
	ds_write2_b64 v96, v[4:5], v[6:7] offset1:1
	s_waitcnt lgkmcnt(0)
	s_barrier
	ds_read2_b64 v[96:99], v108 offset0:42 offset1:43
	s_cmp_lt_i32 s20, 23
	v_mov_b32_e32 v106, 21
	s_cbranch_scc1 .LBB46_443
; %bb.441:
	v_add_u32_e32 v107, 0x160, v108
	s_mov_b32 s16, 22
	v_mov_b32_e32 v106, 21
.LBB46_442:                             ; =>This Inner Loop Header: Depth=1
	ds_read2_b64 v[112:115], v107 offset1:1
	s_waitcnt lgkmcnt(1)
	v_xor_b32_e32 v117, 0x80000000, v97
	v_xor_b32_e32 v119, 0x80000000, v99
	v_cmp_gt_f64_e32 vcc, 0, v[98:99]
	v_cmp_gt_f64_e64 s[0:1], 0, v[96:97]
	v_mov_b32_e32 v116, v96
	v_mov_b32_e32 v118, v98
	v_cndmask_b32_e64 v117, v97, v117, s[0:1]
	v_cndmask_b32_e32 v119, v99, v119, vcc
	v_add_f64 v[116:117], v[116:117], v[118:119]
	s_waitcnt lgkmcnt(0)
	v_xor_b32_e32 v119, 0x80000000, v113
	v_xor_b32_e32 v121, 0x80000000, v115
	v_cmp_gt_f64_e32 vcc, 0, v[114:115]
	v_cmp_gt_f64_e64 s[0:1], 0, v[112:113]
	v_mov_b32_e32 v118, v112
	v_mov_b32_e32 v120, v114
	v_cndmask_b32_e64 v119, v113, v119, s[0:1]
	v_cndmask_b32_e32 v121, v115, v121, vcc
	v_add_f64 v[118:119], v[118:119], v[120:121]
	v_mov_b32_e32 v122, s16
	s_add_i32 s16, s16, 1
	v_cmp_lt_f64_e32 vcc, v[116:117], v[118:119]
	v_add_u32_e32 v107, 16, v107
	s_cmp_lg_u32 s20, s16
	v_cndmask_b32_e32 v97, v97, v113, vcc
	v_cndmask_b32_e32 v96, v96, v112, vcc
	;; [unrolled: 1-line block ×5, first 2 shown]
	s_cbranch_scc1 .LBB46_442
.LBB46_443:
	s_waitcnt lgkmcnt(0)
	v_cmp_eq_f64_e32 vcc, 0, v[96:97]
	v_cmp_eq_f64_e64 s[0:1], 0, v[98:99]
	s_and_b64 s[0:1], vcc, s[0:1]
	s_and_saveexec_b64 s[16:17], s[0:1]
	s_xor_b64 s[0:1], exec, s[16:17]
; %bb.444:
	v_cmp_ne_u32_e32 vcc, 0, v111
	s_nop 1
	v_cndmask_b32_e32 v111, 22, v111, vcc
; %bb.445:
	s_andn2_saveexec_b64 s[0:1], s[0:1]
	s_cbranch_execz .LBB46_451
; %bb.446:
	v_cmp_ngt_f64_e64 s[16:17], |v[96:97]|, |v[98:99]|
	s_and_saveexec_b64 s[18:19], s[16:17]
	s_xor_b64 s[16:17], exec, s[18:19]
	s_cbranch_execz .LBB46_448
; %bb.447:
	v_div_scale_f64 v[112:113], s[18:19], v[98:99], v[98:99], v[96:97]
	v_rcp_f64_e32 v[114:115], v[112:113]
	v_div_scale_f64 v[116:117], vcc, v[96:97], v[98:99], v[96:97]
	v_fma_f64 v[118:119], -v[112:113], v[114:115], 1.0
	v_fmac_f64_e32 v[114:115], v[114:115], v[118:119]
	v_fma_f64 v[118:119], -v[112:113], v[114:115], 1.0
	v_fmac_f64_e32 v[114:115], v[114:115], v[118:119]
	v_mul_f64 v[118:119], v[116:117], v[114:115]
	v_fma_f64 v[112:113], -v[112:113], v[118:119], v[116:117]
	v_div_fmas_f64 v[112:113], v[112:113], v[114:115], v[118:119]
	v_div_fixup_f64 v[112:113], v[112:113], v[98:99], v[96:97]
	v_fmac_f64_e32 v[98:99], v[96:97], v[112:113]
	v_div_scale_f64 v[96:97], s[18:19], v[98:99], v[98:99], 1.0
	v_rcp_f64_e32 v[114:115], v[96:97]
	s_nop 0
	v_fma_f64 v[116:117], -v[96:97], v[114:115], 1.0
	v_fmac_f64_e32 v[114:115], v[114:115], v[116:117]
	v_fma_f64 v[116:117], -v[96:97], v[114:115], 1.0
	v_fmac_f64_e32 v[114:115], v[114:115], v[116:117]
	v_div_scale_f64 v[116:117], vcc, 1.0, v[98:99], 1.0
	v_mul_f64 v[118:119], v[116:117], v[114:115]
	v_fma_f64 v[96:97], -v[96:97], v[118:119], v[116:117]
	s_nop 1
	v_div_fmas_f64 v[96:97], v[96:97], v[114:115], v[118:119]
	v_div_fixup_f64 v[98:99], v[96:97], v[98:99], 1.0
	v_mul_f64 v[96:97], v[112:113], v[98:99]
	v_xor_b32_e32 v99, 0x80000000, v99
.LBB46_448:
	s_andn2_saveexec_b64 s[16:17], s[16:17]
	s_cbranch_execz .LBB46_450
; %bb.449:
	v_div_scale_f64 v[112:113], s[18:19], v[96:97], v[96:97], v[98:99]
	v_rcp_f64_e32 v[114:115], v[112:113]
	v_div_scale_f64 v[116:117], vcc, v[98:99], v[96:97], v[98:99]
	v_fma_f64 v[118:119], -v[112:113], v[114:115], 1.0
	v_fmac_f64_e32 v[114:115], v[114:115], v[118:119]
	v_fma_f64 v[118:119], -v[112:113], v[114:115], 1.0
	v_fmac_f64_e32 v[114:115], v[114:115], v[118:119]
	v_mul_f64 v[118:119], v[116:117], v[114:115]
	v_fma_f64 v[112:113], -v[112:113], v[118:119], v[116:117]
	v_div_fmas_f64 v[112:113], v[112:113], v[114:115], v[118:119]
	v_div_fixup_f64 v[112:113], v[112:113], v[96:97], v[98:99]
	v_fmac_f64_e32 v[96:97], v[98:99], v[112:113]
	v_div_scale_f64 v[98:99], s[18:19], v[96:97], v[96:97], 1.0
	v_rcp_f64_e32 v[114:115], v[98:99]
	s_nop 0
	v_fma_f64 v[116:117], -v[98:99], v[114:115], 1.0
	v_fmac_f64_e32 v[114:115], v[114:115], v[116:117]
	v_fma_f64 v[116:117], -v[98:99], v[114:115], 1.0
	v_fmac_f64_e32 v[114:115], v[114:115], v[116:117]
	v_div_scale_f64 v[116:117], vcc, 1.0, v[96:97], 1.0
	v_mul_f64 v[118:119], v[116:117], v[114:115]
	v_fma_f64 v[98:99], -v[98:99], v[118:119], v[116:117]
	s_nop 1
	v_div_fmas_f64 v[98:99], v[98:99], v[114:115], v[118:119]
	v_div_fixup_f64 v[96:97], v[98:99], v[96:97], 1.0
	v_mul_f64 v[98:99], v[112:113], -v[96:97]
.LBB46_450:
	s_or_b64 exec, exec, s[16:17]
.LBB46_451:
	s_or_b64 exec, exec, s[0:1]
	v_cmp_ne_u32_e32 vcc, v109, v106
	s_and_saveexec_b64 s[0:1], vcc
	s_xor_b64 s[0:1], exec, s[0:1]
	s_cbranch_execz .LBB46_457
; %bb.452:
	v_cmp_eq_u32_e32 vcc, 21, v109
	s_and_saveexec_b64 s[16:17], vcc
	s_cbranch_execz .LBB46_456
; %bb.453:
	v_cmp_ne_u32_e32 vcc, 21, v106
	s_xor_b64 s[18:19], s[14:15], -1
	s_and_b64 s[22:23], s[18:19], vcc
	s_and_saveexec_b64 s[18:19], s[22:23]
	s_cbranch_execz .LBB46_455
; %bb.454:
	v_ashrrev_i32_e32 v107, 31, v106
	v_lshl_add_u64 v[112:113], v[106:107], 2, v[104:105]
	global_load_dword v107, v[112:113], off
	global_load_dword v109, v[104:105], off offset:84
	s_waitcnt vmcnt(1)
	global_store_dword v[104:105], v107, off offset:84
	s_waitcnt vmcnt(1)
	global_store_dword v[112:113], v109, off
.LBB46_455:
	s_or_b64 exec, exec, s[18:19]
	v_mov_b32_e32 v109, v106
	v_mov_b32_e32 v110, v106
.LBB46_456:
	s_or_b64 exec, exec, s[16:17]
.LBB46_457:
	s_andn2_saveexec_b64 s[0:1], s[0:1]
	s_cbranch_execz .LBB46_459
; %bb.458:
	v_mov_b32_e32 v109, 21
	s_waitcnt vmcnt(1)
	ds_write2_b64 v108, v[0:1], v[2:3] offset0:44 offset1:45
	s_waitcnt vmcnt(0)
	ds_write2_b64 v108, v[92:93], v[94:95] offset0:46 offset1:47
.LBB46_459:
	s_or_b64 exec, exec, s[0:1]
	v_cmp_lt_i32_e32 vcc, 21, v109
	s_waitcnt lgkmcnt(0)
	s_barrier
	s_and_saveexec_b64 s[0:1], vcc
	s_cbranch_execz .LBB46_461
; %bb.460:
	ds_read2_b64 v[112:115], v108 offset0:44 offset1:45
	v_mul_f64 v[106:107], v[96:97], v[6:7]
	v_mul_f64 v[6:7], v[98:99], v[6:7]
	v_fmac_f64_e32 v[106:107], v[98:99], v[4:5]
	v_fma_f64 v[4:5], v[96:97], v[4:5], -v[6:7]
	ds_read2_b64 v[96:99], v108 offset0:46 offset1:47
	s_waitcnt lgkmcnt(1)
	v_mul_f64 v[6:7], v[114:115], v[106:107]
	v_fma_f64 v[6:7], v[112:113], v[4:5], -v[6:7]
	s_waitcnt vmcnt(1)
	v_add_f64 v[0:1], v[0:1], -v[6:7]
	v_mul_f64 v[112:113], v[112:113], v[106:107]
	s_waitcnt lgkmcnt(0)
	v_mul_f64 v[6:7], v[98:99], v[106:107]
	v_fma_f64 v[6:7], v[96:97], v[4:5], -v[6:7]
	v_mul_f64 v[96:97], v[96:97], v[106:107]
	v_fmac_f64_e32 v[112:113], v[114:115], v[4:5]
	v_fmac_f64_e32 v[96:97], v[98:99], v[4:5]
	v_add_f64 v[2:3], v[2:3], -v[112:113]
	s_waitcnt vmcnt(0)
	v_add_f64 v[92:93], v[92:93], -v[6:7]
	v_add_f64 v[94:95], v[94:95], -v[96:97]
	v_mov_b64_e32 v[6:7], v[106:107]
.LBB46_461:
	s_or_b64 exec, exec, s[0:1]
	v_lshl_add_u32 v96, v109, 4, v108
	s_barrier
	s_waitcnt vmcnt(1)
	ds_write2_b64 v96, v[0:1], v[2:3] offset1:1
	s_waitcnt lgkmcnt(0)
	s_barrier
	ds_read2_b64 v[96:99], v108 offset0:44 offset1:45
	s_cmp_lt_i32 s20, 24
	v_mov_b32_e32 v106, 22
	s_cbranch_scc1 .LBB46_464
; %bb.462:
	v_add_u32_e32 v107, 0x170, v108
	s_mov_b32 s16, 23
	v_mov_b32_e32 v106, 22
.LBB46_463:                             ; =>This Inner Loop Header: Depth=1
	ds_read2_b64 v[112:115], v107 offset1:1
	s_waitcnt lgkmcnt(1)
	v_xor_b32_e32 v117, 0x80000000, v97
	v_xor_b32_e32 v119, 0x80000000, v99
	v_cmp_gt_f64_e32 vcc, 0, v[98:99]
	v_cmp_gt_f64_e64 s[0:1], 0, v[96:97]
	v_mov_b32_e32 v116, v96
	v_mov_b32_e32 v118, v98
	v_cndmask_b32_e64 v117, v97, v117, s[0:1]
	v_cndmask_b32_e32 v119, v99, v119, vcc
	v_add_f64 v[116:117], v[116:117], v[118:119]
	s_waitcnt lgkmcnt(0)
	v_xor_b32_e32 v119, 0x80000000, v113
	v_xor_b32_e32 v121, 0x80000000, v115
	v_cmp_gt_f64_e32 vcc, 0, v[114:115]
	v_cmp_gt_f64_e64 s[0:1], 0, v[112:113]
	v_mov_b32_e32 v118, v112
	v_mov_b32_e32 v120, v114
	v_cndmask_b32_e64 v119, v113, v119, s[0:1]
	v_cndmask_b32_e32 v121, v115, v121, vcc
	v_add_f64 v[118:119], v[118:119], v[120:121]
	v_mov_b32_e32 v122, s16
	s_add_i32 s16, s16, 1
	v_cmp_lt_f64_e32 vcc, v[116:117], v[118:119]
	v_add_u32_e32 v107, 16, v107
	s_cmp_lg_u32 s20, s16
	v_cndmask_b32_e32 v97, v97, v113, vcc
	v_cndmask_b32_e32 v96, v96, v112, vcc
	;; [unrolled: 1-line block ×5, first 2 shown]
	s_cbranch_scc1 .LBB46_463
.LBB46_464:
	s_waitcnt lgkmcnt(0)
	v_cmp_eq_f64_e32 vcc, 0, v[96:97]
	v_cmp_eq_f64_e64 s[0:1], 0, v[98:99]
	s_and_b64 s[0:1], vcc, s[0:1]
	s_and_saveexec_b64 s[16:17], s[0:1]
	s_xor_b64 s[0:1], exec, s[16:17]
; %bb.465:
	v_cmp_ne_u32_e32 vcc, 0, v111
	s_nop 1
	v_cndmask_b32_e32 v111, 23, v111, vcc
; %bb.466:
	s_andn2_saveexec_b64 s[0:1], s[0:1]
	s_cbranch_execz .LBB46_472
; %bb.467:
	v_cmp_ngt_f64_e64 s[16:17], |v[96:97]|, |v[98:99]|
	s_and_saveexec_b64 s[18:19], s[16:17]
	s_xor_b64 s[16:17], exec, s[18:19]
	s_cbranch_execz .LBB46_469
; %bb.468:
	v_div_scale_f64 v[112:113], s[18:19], v[98:99], v[98:99], v[96:97]
	v_rcp_f64_e32 v[114:115], v[112:113]
	v_div_scale_f64 v[116:117], vcc, v[96:97], v[98:99], v[96:97]
	v_fma_f64 v[118:119], -v[112:113], v[114:115], 1.0
	v_fmac_f64_e32 v[114:115], v[114:115], v[118:119]
	v_fma_f64 v[118:119], -v[112:113], v[114:115], 1.0
	v_fmac_f64_e32 v[114:115], v[114:115], v[118:119]
	v_mul_f64 v[118:119], v[116:117], v[114:115]
	v_fma_f64 v[112:113], -v[112:113], v[118:119], v[116:117]
	v_div_fmas_f64 v[112:113], v[112:113], v[114:115], v[118:119]
	v_div_fixup_f64 v[112:113], v[112:113], v[98:99], v[96:97]
	v_fmac_f64_e32 v[98:99], v[96:97], v[112:113]
	v_div_scale_f64 v[96:97], s[18:19], v[98:99], v[98:99], 1.0
	v_rcp_f64_e32 v[114:115], v[96:97]
	s_nop 0
	v_fma_f64 v[116:117], -v[96:97], v[114:115], 1.0
	v_fmac_f64_e32 v[114:115], v[114:115], v[116:117]
	v_fma_f64 v[116:117], -v[96:97], v[114:115], 1.0
	v_fmac_f64_e32 v[114:115], v[114:115], v[116:117]
	v_div_scale_f64 v[116:117], vcc, 1.0, v[98:99], 1.0
	v_mul_f64 v[118:119], v[116:117], v[114:115]
	v_fma_f64 v[96:97], -v[96:97], v[118:119], v[116:117]
	s_nop 1
	v_div_fmas_f64 v[96:97], v[96:97], v[114:115], v[118:119]
	v_div_fixup_f64 v[98:99], v[96:97], v[98:99], 1.0
	v_mul_f64 v[96:97], v[112:113], v[98:99]
	v_xor_b32_e32 v99, 0x80000000, v99
.LBB46_469:
	s_andn2_saveexec_b64 s[16:17], s[16:17]
	s_cbranch_execz .LBB46_471
; %bb.470:
	v_div_scale_f64 v[112:113], s[18:19], v[96:97], v[96:97], v[98:99]
	v_rcp_f64_e32 v[114:115], v[112:113]
	v_div_scale_f64 v[116:117], vcc, v[98:99], v[96:97], v[98:99]
	v_fma_f64 v[118:119], -v[112:113], v[114:115], 1.0
	v_fmac_f64_e32 v[114:115], v[114:115], v[118:119]
	v_fma_f64 v[118:119], -v[112:113], v[114:115], 1.0
	v_fmac_f64_e32 v[114:115], v[114:115], v[118:119]
	v_mul_f64 v[118:119], v[116:117], v[114:115]
	v_fma_f64 v[112:113], -v[112:113], v[118:119], v[116:117]
	v_div_fmas_f64 v[112:113], v[112:113], v[114:115], v[118:119]
	v_div_fixup_f64 v[112:113], v[112:113], v[96:97], v[98:99]
	v_fmac_f64_e32 v[96:97], v[98:99], v[112:113]
	v_div_scale_f64 v[98:99], s[18:19], v[96:97], v[96:97], 1.0
	v_rcp_f64_e32 v[114:115], v[98:99]
	s_nop 0
	v_fma_f64 v[116:117], -v[98:99], v[114:115], 1.0
	v_fmac_f64_e32 v[114:115], v[114:115], v[116:117]
	v_fma_f64 v[116:117], -v[98:99], v[114:115], 1.0
	v_fmac_f64_e32 v[114:115], v[114:115], v[116:117]
	v_div_scale_f64 v[116:117], vcc, 1.0, v[96:97], 1.0
	v_mul_f64 v[118:119], v[116:117], v[114:115]
	v_fma_f64 v[98:99], -v[98:99], v[118:119], v[116:117]
	s_nop 1
	v_div_fmas_f64 v[98:99], v[98:99], v[114:115], v[118:119]
	v_div_fixup_f64 v[96:97], v[98:99], v[96:97], 1.0
	v_mul_f64 v[98:99], v[112:113], -v[96:97]
.LBB46_471:
	s_or_b64 exec, exec, s[16:17]
.LBB46_472:
	s_or_b64 exec, exec, s[0:1]
	v_cmp_ne_u32_e32 vcc, v109, v106
	s_and_saveexec_b64 s[0:1], vcc
	s_xor_b64 s[0:1], exec, s[0:1]
	s_cbranch_execz .LBB46_478
; %bb.473:
	v_cmp_eq_u32_e32 vcc, 22, v109
	s_and_saveexec_b64 s[16:17], vcc
	s_cbranch_execz .LBB46_477
; %bb.474:
	v_cmp_ne_u32_e32 vcc, 22, v106
	s_xor_b64 s[18:19], s[14:15], -1
	s_and_b64 s[22:23], s[18:19], vcc
	s_and_saveexec_b64 s[18:19], s[22:23]
	s_cbranch_execz .LBB46_476
; %bb.475:
	v_ashrrev_i32_e32 v107, 31, v106
	v_lshl_add_u64 v[112:113], v[106:107], 2, v[104:105]
	global_load_dword v107, v[112:113], off
	global_load_dword v109, v[104:105], off offset:88
	s_waitcnt vmcnt(1)
	global_store_dword v[104:105], v107, off offset:88
	s_waitcnt vmcnt(1)
	global_store_dword v[112:113], v109, off
.LBB46_476:
	s_or_b64 exec, exec, s[18:19]
	v_mov_b32_e32 v109, v106
	v_mov_b32_e32 v110, v106
.LBB46_477:
	s_or_b64 exec, exec, s[16:17]
.LBB46_478:
	s_andn2_saveexec_b64 s[0:1], s[0:1]
	s_cbranch_execz .LBB46_480
; %bb.479:
	v_mov_b32_e32 v109, 22
	s_waitcnt vmcnt(0)
	ds_write2_b64 v108, v[92:93], v[94:95] offset0:46 offset1:47
.LBB46_480:
	s_or_b64 exec, exec, s[0:1]
	v_cmp_lt_i32_e32 vcc, 22, v109
	s_waitcnt lgkmcnt(0)
	s_barrier
	s_and_saveexec_b64 s[0:1], vcc
	s_cbranch_execz .LBB46_482
; %bb.481:
	ds_read2_b64 v[112:115], v108 offset0:46 offset1:47
	v_mul_f64 v[106:107], v[96:97], v[2:3]
	v_mul_f64 v[2:3], v[98:99], v[2:3]
	v_fmac_f64_e32 v[106:107], v[98:99], v[0:1]
	v_fma_f64 v[0:1], v[96:97], v[0:1], -v[2:3]
	s_waitcnt lgkmcnt(0)
	v_mul_f64 v[2:3], v[114:115], v[106:107]
	v_mul_f64 v[96:97], v[112:113], v[106:107]
	v_fma_f64 v[2:3], v[112:113], v[0:1], -v[2:3]
	v_fmac_f64_e32 v[96:97], v[114:115], v[0:1]
	s_waitcnt vmcnt(0)
	v_add_f64 v[92:93], v[92:93], -v[2:3]
	v_add_f64 v[94:95], v[94:95], -v[96:97]
	v_mov_b64_e32 v[2:3], v[106:107]
.LBB46_482:
	s_or_b64 exec, exec, s[0:1]
	v_lshl_add_u32 v96, v109, 4, v108
	s_barrier
	s_waitcnt vmcnt(0)
	ds_write2_b64 v96, v[92:93], v[94:95] offset1:1
	s_waitcnt lgkmcnt(0)
	s_barrier
	ds_read2_b64 v[96:99], v108 offset0:46 offset1:47
	s_cmp_lt_i32 s20, 25
	v_mov_b32_e32 v106, 23
	s_cbranch_scc1 .LBB46_485
; %bb.483:
	v_add_u32_e32 v107, 0x180, v108
	s_mov_b32 s16, 24
	v_mov_b32_e32 v106, 23
.LBB46_484:                             ; =>This Inner Loop Header: Depth=1
	ds_read2_b64 v[112:115], v107 offset1:1
	s_waitcnt lgkmcnt(1)
	v_xor_b32_e32 v108, 0x80000000, v97
	v_xor_b32_e32 v119, 0x80000000, v99
	v_cmp_gt_f64_e32 vcc, 0, v[98:99]
	v_cmp_gt_f64_e64 s[0:1], 0, v[96:97]
	v_mov_b32_e32 v116, v96
	v_mov_b32_e32 v118, v98
	v_cndmask_b32_e64 v117, v97, v108, s[0:1]
	v_cndmask_b32_e32 v119, v99, v119, vcc
	s_waitcnt lgkmcnt(0)
	v_xor_b32_e32 v108, 0x80000000, v113
	v_xor_b32_e32 v121, 0x80000000, v115
	v_cmp_gt_f64_e32 vcc, 0, v[114:115]
	v_cmp_gt_f64_e64 s[0:1], 0, v[112:113]
	v_add_f64 v[116:117], v[116:117], v[118:119]
	v_mov_b32_e32 v118, v112
	v_mov_b32_e32 v120, v114
	v_cndmask_b32_e64 v119, v113, v108, s[0:1]
	v_cndmask_b32_e32 v121, v115, v121, vcc
	v_add_f64 v[118:119], v[118:119], v[120:121]
	v_mov_b32_e32 v122, s16
	s_add_i32 s16, s16, 1
	v_cmp_lt_f64_e32 vcc, v[116:117], v[118:119]
	v_add_u32_e32 v107, 16, v107
	s_cmp_lg_u32 s20, s16
	v_cndmask_b32_e32 v97, v97, v113, vcc
	v_cndmask_b32_e32 v96, v96, v112, vcc
	;; [unrolled: 1-line block ×5, first 2 shown]
	s_cbranch_scc1 .LBB46_484
.LBB46_485:
	s_waitcnt lgkmcnt(0)
	v_cmp_eq_f64_e32 vcc, 0, v[96:97]
	v_cmp_eq_f64_e64 s[0:1], 0, v[98:99]
	s_and_b64 s[0:1], vcc, s[0:1]
	s_and_saveexec_b64 s[16:17], s[0:1]
	s_xor_b64 s[0:1], exec, s[16:17]
; %bb.486:
	v_cmp_ne_u32_e32 vcc, 0, v111
	s_nop 1
	v_cndmask_b32_e32 v111, 24, v111, vcc
; %bb.487:
	s_andn2_saveexec_b64 s[0:1], s[0:1]
	s_cbranch_execz .LBB46_493
; %bb.488:
	v_cmp_ngt_f64_e64 s[16:17], |v[96:97]|, |v[98:99]|
	s_and_saveexec_b64 s[18:19], s[16:17]
	s_xor_b64 s[16:17], exec, s[18:19]
	s_cbranch_execz .LBB46_490
; %bb.489:
	v_div_scale_f64 v[112:113], s[18:19], v[98:99], v[98:99], v[96:97]
	v_rcp_f64_e32 v[114:115], v[112:113]
	v_div_scale_f64 v[116:117], vcc, v[96:97], v[98:99], v[96:97]
	v_fma_f64 v[118:119], -v[112:113], v[114:115], 1.0
	v_fmac_f64_e32 v[114:115], v[114:115], v[118:119]
	v_fma_f64 v[118:119], -v[112:113], v[114:115], 1.0
	v_fmac_f64_e32 v[114:115], v[114:115], v[118:119]
	v_mul_f64 v[118:119], v[116:117], v[114:115]
	v_fma_f64 v[112:113], -v[112:113], v[118:119], v[116:117]
	v_div_fmas_f64 v[112:113], v[112:113], v[114:115], v[118:119]
	v_div_fixup_f64 v[112:113], v[112:113], v[98:99], v[96:97]
	v_fmac_f64_e32 v[98:99], v[96:97], v[112:113]
	v_div_scale_f64 v[96:97], s[18:19], v[98:99], v[98:99], 1.0
	v_rcp_f64_e32 v[114:115], v[96:97]
	s_nop 0
	v_fma_f64 v[116:117], -v[96:97], v[114:115], 1.0
	v_fmac_f64_e32 v[114:115], v[114:115], v[116:117]
	v_fma_f64 v[116:117], -v[96:97], v[114:115], 1.0
	v_fmac_f64_e32 v[114:115], v[114:115], v[116:117]
	v_div_scale_f64 v[116:117], vcc, 1.0, v[98:99], 1.0
	v_mul_f64 v[118:119], v[116:117], v[114:115]
	v_fma_f64 v[96:97], -v[96:97], v[118:119], v[116:117]
	s_nop 1
	v_div_fmas_f64 v[96:97], v[96:97], v[114:115], v[118:119]
	v_div_fixup_f64 v[98:99], v[96:97], v[98:99], 1.0
	v_mul_f64 v[96:97], v[112:113], v[98:99]
	v_xor_b32_e32 v99, 0x80000000, v99
.LBB46_490:
	s_andn2_saveexec_b64 s[16:17], s[16:17]
	s_cbranch_execz .LBB46_492
; %bb.491:
	v_div_scale_f64 v[112:113], s[18:19], v[96:97], v[96:97], v[98:99]
	v_rcp_f64_e32 v[114:115], v[112:113]
	v_div_scale_f64 v[116:117], vcc, v[98:99], v[96:97], v[98:99]
	v_fma_f64 v[118:119], -v[112:113], v[114:115], 1.0
	v_fmac_f64_e32 v[114:115], v[114:115], v[118:119]
	v_fma_f64 v[118:119], -v[112:113], v[114:115], 1.0
	v_fmac_f64_e32 v[114:115], v[114:115], v[118:119]
	v_mul_f64 v[118:119], v[116:117], v[114:115]
	v_fma_f64 v[112:113], -v[112:113], v[118:119], v[116:117]
	v_div_fmas_f64 v[112:113], v[112:113], v[114:115], v[118:119]
	v_div_fixup_f64 v[112:113], v[112:113], v[96:97], v[98:99]
	v_fmac_f64_e32 v[96:97], v[98:99], v[112:113]
	v_div_scale_f64 v[98:99], s[18:19], v[96:97], v[96:97], 1.0
	v_rcp_f64_e32 v[114:115], v[98:99]
	s_nop 0
	v_fma_f64 v[116:117], -v[98:99], v[114:115], 1.0
	v_fmac_f64_e32 v[114:115], v[114:115], v[116:117]
	v_fma_f64 v[116:117], -v[98:99], v[114:115], 1.0
	v_fmac_f64_e32 v[114:115], v[114:115], v[116:117]
	v_div_scale_f64 v[116:117], vcc, 1.0, v[96:97], 1.0
	v_mul_f64 v[118:119], v[116:117], v[114:115]
	v_fma_f64 v[98:99], -v[98:99], v[118:119], v[116:117]
	s_nop 1
	v_div_fmas_f64 v[98:99], v[98:99], v[114:115], v[118:119]
	v_div_fixup_f64 v[96:97], v[98:99], v[96:97], 1.0
	v_mul_f64 v[98:99], v[112:113], -v[96:97]
.LBB46_492:
	s_or_b64 exec, exec, s[16:17]
.LBB46_493:
	s_or_b64 exec, exec, s[0:1]
	v_cmp_ne_u32_e32 vcc, v109, v106
	v_mov_b32_e32 v108, 23
	s_and_saveexec_b64 s[0:1], vcc
	s_cbranch_execz .LBB46_499
; %bb.494:
	v_cmp_eq_u32_e32 vcc, 23, v109
	s_and_saveexec_b64 s[16:17], vcc
	s_cbranch_execz .LBB46_498
; %bb.495:
	v_cmp_ne_u32_e32 vcc, 23, v106
	s_xor_b64 s[14:15], s[14:15], -1
	s_and_b64 s[18:19], s[14:15], vcc
	s_and_saveexec_b64 s[14:15], s[18:19]
	s_cbranch_execz .LBB46_497
; %bb.496:
	v_ashrrev_i32_e32 v107, 31, v106
	v_lshl_add_u64 v[108:109], v[106:107], 2, v[104:105]
	global_load_dword v107, v[108:109], off
	global_load_dword v110, v[104:105], off offset:92
	s_waitcnt vmcnt(1)
	global_store_dword v[104:105], v107, off offset:92
	s_waitcnt vmcnt(1)
	global_store_dword v[108:109], v110, off
.LBB46_497:
	s_or_b64 exec, exec, s[14:15]
	v_mov_b32_e32 v109, v106
	v_mov_b32_e32 v110, v106
.LBB46_498:
	s_or_b64 exec, exec, s[16:17]
	v_mov_b32_e32 v108, v109
.LBB46_499:
	s_or_b64 exec, exec, s[0:1]
	v_cmp_gt_i32_e32 vcc, 24, v108
	v_ashrrev_i32_e32 v109, 31, v108
	s_barrier
	s_barrier
	s_and_saveexec_b64 s[0:1], vcc
	s_cbranch_execz .LBB46_501
; %bb.500:
	v_mov_b32_e32 v104, s6
	v_mov_b32_e32 v105, s7
	v_mul_lo_u32 v112, s11, v102
	v_mul_lo_u32 v113, s10, v103
	v_mad_u64_u32 v[106:107], s[6:7], s10, v102, 0
	v_add3_u32 v107, v107, v113, v112
	v_lshl_add_u64 v[104:105], v[106:107], 2, v[104:105]
	v_lshl_add_u64 v[104:105], s[8:9], 2, v[104:105]
	;; [unrolled: 1-line block ×3, first 2 shown]
	v_add3_u32 v106, v110, s13, 1
	global_store_dword v[104:105], v106, off
.LBB46_501:
	s_or_b64 exec, exec, s[0:1]
	v_cmp_eq_u32_e32 vcc, 0, v108
	s_and_saveexec_b64 s[6:7], vcc
	s_cbranch_execz .LBB46_504
; %bb.502:
	v_mov_b32_e32 v104, s4
	v_mov_b32_e32 v105, s5
	v_lshl_add_u64 v[102:103], v[102:103], 2, v[104:105]
	global_load_dword v104, v[102:103], off
	v_cmp_ne_u32_e64 s[0:1], 0, v111
	s_waitcnt vmcnt(0)
	v_cmp_eq_u32_e32 vcc, 0, v104
	s_and_b64 s[0:1], vcc, s[0:1]
	s_and_b64 exec, exec, s[0:1]
	s_cbranch_execz .LBB46_504
; %bb.503:
	v_add_u32_e32 v104, s13, v111
	global_store_dword v[102:103], v104, off
.LBB46_504:
	s_or_b64 exec, exec, s[6:7]
	v_mul_f64 v[102:103], v[98:99], v[94:95]
	v_fma_f64 v[102:103], v[96:97], v[92:93], -v[102:103]
	v_mul_f64 v[96:97], v[96:97], v[94:95]
	v_fmac_f64_e32 v[96:97], v[98:99], v[92:93]
	v_cmp_lt_i32_e32 vcc, 23, v108
	s_nop 1
	v_cndmask_b32_e32 v95, v95, v97, vcc
	v_cndmask_b32_e32 v94, v94, v96, vcc
	v_lshl_add_u64 v[96:97], v[108:109], 4, v[100:101]
	global_store_dwordx4 v[96:97], v[68:71], off
	v_cndmask_b32_e32 v93, v93, v103, vcc
	v_cndmask_b32_e32 v92, v92, v102, vcc
	v_lshl_add_u64 v[68:69], s[2:3], 4, v[96:97]
	global_store_dwordx4 v[68:69], v[60:63], off
	s_nop 1
	v_add_u32_e32 v60, s12, v108
	v_ashrrev_i32_e32 v61, 31, v60
	v_lshl_add_u64 v[62:63], v[60:61], 4, v[100:101]
	v_add_u32_e32 v60, s2, v60
	v_ashrrev_i32_e32 v61, 31, v60
	global_store_dwordx4 v[62:63], v[88:91], off
	v_lshl_add_u64 v[62:63], v[60:61], 4, v[100:101]
	v_add_u32_e32 v60, s2, v60
	v_ashrrev_i32_e32 v61, 31, v60
	global_store_dwordx4 v[62:63], v[84:87], off
	;; [unrolled: 4-line block ×6, first 2 shown]
	v_lshl_add_u64 v[62:63], v[60:61], 4, v[100:101]
	global_store_dwordx4 v[62:63], v[56:59], off
	s_nop 1
	v_add_u32_e32 v56, s2, v60
	v_ashrrev_i32_e32 v57, 31, v56
	v_lshl_add_u64 v[58:59], v[56:57], 4, v[100:101]
	global_store_dwordx4 v[58:59], v[52:55], off
	s_nop 1
	v_add_u32_e32 v52, s2, v56
	v_ashrrev_i32_e32 v53, 31, v52
	v_lshl_add_u64 v[54:55], v[52:53], 4, v[100:101]
	global_store_dwordx4 v[54:55], v[48:51], off
	s_nop 1
	v_add_u32_e32 v48, s2, v52
	v_ashrrev_i32_e32 v49, 31, v48
	v_lshl_add_u64 v[50:51], v[48:49], 4, v[100:101]
	global_store_dwordx4 v[50:51], v[44:47], off
	s_nop 1
	v_add_u32_e32 v44, s2, v48
	v_ashrrev_i32_e32 v45, 31, v44
	v_lshl_add_u64 v[46:47], v[44:45], 4, v[100:101]
	global_store_dwordx4 v[46:47], v[40:43], off
	s_nop 1
	v_add_u32_e32 v40, s2, v44
	v_ashrrev_i32_e32 v41, 31, v40
	v_lshl_add_u64 v[42:43], v[40:41], 4, v[100:101]
	global_store_dwordx4 v[42:43], v[36:39], off
	s_nop 1
	v_add_u32_e32 v36, s2, v40
	v_ashrrev_i32_e32 v37, 31, v36
	v_lshl_add_u64 v[38:39], v[36:37], 4, v[100:101]
	global_store_dwordx4 v[38:39], v[32:35], off
	s_nop 1
	v_add_u32_e32 v32, s2, v36
	v_ashrrev_i32_e32 v33, 31, v32
	v_lshl_add_u64 v[34:35], v[32:33], 4, v[100:101]
	global_store_dwordx4 v[34:35], v[28:31], off
	s_nop 1
	v_add_u32_e32 v28, s2, v32
	v_ashrrev_i32_e32 v29, 31, v28
	v_lshl_add_u64 v[30:31], v[28:29], 4, v[100:101]
	global_store_dwordx4 v[30:31], v[20:23], off
	s_nop 1
	v_add_u32_e32 v20, s2, v28
	v_ashrrev_i32_e32 v21, 31, v20
	v_lshl_add_u64 v[22:23], v[20:21], 4, v[100:101]
	v_add_u32_e32 v20, s2, v20
	v_ashrrev_i32_e32 v21, 31, v20
	global_store_dwordx4 v[22:23], v[24:27], off
	v_lshl_add_u64 v[22:23], v[20:21], 4, v[100:101]
	global_store_dwordx4 v[22:23], v[16:19], off
	s_nop 1
	v_add_u32_e32 v16, s2, v20
	v_ashrrev_i32_e32 v17, 31, v16
	v_lshl_add_u64 v[18:19], v[16:17], 4, v[100:101]
	global_store_dwordx4 v[18:19], v[12:15], off
	s_nop 1
	v_add_u32_e32 v12, s2, v16
	v_ashrrev_i32_e32 v13, 31, v12
	;; [unrolled: 5-line block ×5, first 2 shown]
	v_lshl_add_u64 v[0:1], v[0:1], 4, v[100:101]
	global_store_dwordx4 v[0:1], v[92:95], off
.LBB46_505:
	s_endpgm
	.section	.rodata,"a",@progbits
	.p2align	6, 0x0
	.amdhsa_kernel _ZN9rocsolver6v33100L18getf2_small_kernelILi24E19rocblas_complex_numIdEiiPS3_EEvT1_T3_lS5_lPS5_llPT2_S5_S5_S7_l
		.amdhsa_group_segment_fixed_size 0
		.amdhsa_private_segment_fixed_size 0
		.amdhsa_kernarg_size 352
		.amdhsa_user_sgpr_count 2
		.amdhsa_user_sgpr_dispatch_ptr 0
		.amdhsa_user_sgpr_queue_ptr 0
		.amdhsa_user_sgpr_kernarg_segment_ptr 1
		.amdhsa_user_sgpr_dispatch_id 0
		.amdhsa_user_sgpr_kernarg_preload_length 0
		.amdhsa_user_sgpr_kernarg_preload_offset 0
		.amdhsa_user_sgpr_private_segment_size 0
		.amdhsa_uses_dynamic_stack 0
		.amdhsa_enable_private_segment 0
		.amdhsa_system_sgpr_workgroup_id_x 1
		.amdhsa_system_sgpr_workgroup_id_y 1
		.amdhsa_system_sgpr_workgroup_id_z 0
		.amdhsa_system_sgpr_workgroup_info 0
		.amdhsa_system_vgpr_workitem_id 1
		.amdhsa_next_free_vgpr 125
		.amdhsa_next_free_sgpr 24
		.amdhsa_accum_offset 128
		.amdhsa_reserve_vcc 1
		.amdhsa_float_round_mode_32 0
		.amdhsa_float_round_mode_16_64 0
		.amdhsa_float_denorm_mode_32 3
		.amdhsa_float_denorm_mode_16_64 3
		.amdhsa_dx10_clamp 1
		.amdhsa_ieee_mode 1
		.amdhsa_fp16_overflow 0
		.amdhsa_tg_split 0
		.amdhsa_exception_fp_ieee_invalid_op 0
		.amdhsa_exception_fp_denorm_src 0
		.amdhsa_exception_fp_ieee_div_zero 0
		.amdhsa_exception_fp_ieee_overflow 0
		.amdhsa_exception_fp_ieee_underflow 0
		.amdhsa_exception_fp_ieee_inexact 0
		.amdhsa_exception_int_div_zero 0
	.end_amdhsa_kernel
	.section	.text._ZN9rocsolver6v33100L18getf2_small_kernelILi24E19rocblas_complex_numIdEiiPS3_EEvT1_T3_lS5_lPS5_llPT2_S5_S5_S7_l,"axG",@progbits,_ZN9rocsolver6v33100L18getf2_small_kernelILi24E19rocblas_complex_numIdEiiPS3_EEvT1_T3_lS5_lPS5_llPT2_S5_S5_S7_l,comdat
.Lfunc_end46:
	.size	_ZN9rocsolver6v33100L18getf2_small_kernelILi24E19rocblas_complex_numIdEiiPS3_EEvT1_T3_lS5_lPS5_llPT2_S5_S5_S7_l, .Lfunc_end46-_ZN9rocsolver6v33100L18getf2_small_kernelILi24E19rocblas_complex_numIdEiiPS3_EEvT1_T3_lS5_lPS5_llPT2_S5_S5_S7_l
                                        ; -- End function
	.set _ZN9rocsolver6v33100L18getf2_small_kernelILi24E19rocblas_complex_numIdEiiPS3_EEvT1_T3_lS5_lPS5_llPT2_S5_S5_S7_l.num_vgpr, 125
	.set _ZN9rocsolver6v33100L18getf2_small_kernelILi24E19rocblas_complex_numIdEiiPS3_EEvT1_T3_lS5_lPS5_llPT2_S5_S5_S7_l.num_agpr, 0
	.set _ZN9rocsolver6v33100L18getf2_small_kernelILi24E19rocblas_complex_numIdEiiPS3_EEvT1_T3_lS5_lPS5_llPT2_S5_S5_S7_l.numbered_sgpr, 24
	.set _ZN9rocsolver6v33100L18getf2_small_kernelILi24E19rocblas_complex_numIdEiiPS3_EEvT1_T3_lS5_lPS5_llPT2_S5_S5_S7_l.num_named_barrier, 0
	.set _ZN9rocsolver6v33100L18getf2_small_kernelILi24E19rocblas_complex_numIdEiiPS3_EEvT1_T3_lS5_lPS5_llPT2_S5_S5_S7_l.private_seg_size, 0
	.set _ZN9rocsolver6v33100L18getf2_small_kernelILi24E19rocblas_complex_numIdEiiPS3_EEvT1_T3_lS5_lPS5_llPT2_S5_S5_S7_l.uses_vcc, 1
	.set _ZN9rocsolver6v33100L18getf2_small_kernelILi24E19rocblas_complex_numIdEiiPS3_EEvT1_T3_lS5_lPS5_llPT2_S5_S5_S7_l.uses_flat_scratch, 0
	.set _ZN9rocsolver6v33100L18getf2_small_kernelILi24E19rocblas_complex_numIdEiiPS3_EEvT1_T3_lS5_lPS5_llPT2_S5_S5_S7_l.has_dyn_sized_stack, 0
	.set _ZN9rocsolver6v33100L18getf2_small_kernelILi24E19rocblas_complex_numIdEiiPS3_EEvT1_T3_lS5_lPS5_llPT2_S5_S5_S7_l.has_recursion, 0
	.set _ZN9rocsolver6v33100L18getf2_small_kernelILi24E19rocblas_complex_numIdEiiPS3_EEvT1_T3_lS5_lPS5_llPT2_S5_S5_S7_l.has_indirect_call, 0
	.section	.AMDGPU.csdata,"",@progbits
; Kernel info:
; codeLenInByte = 42224
; TotalNumSgprs: 30
; NumVgprs: 125
; NumAgprs: 0
; TotalNumVgprs: 125
; ScratchSize: 0
; MemoryBound: 0
; FloatMode: 240
; IeeeMode: 1
; LDSByteSize: 0 bytes/workgroup (compile time only)
; SGPRBlocks: 3
; VGPRBlocks: 15
; NumSGPRsForWavesPerEU: 30
; NumVGPRsForWavesPerEU: 125
; AccumOffset: 128
; Occupancy: 4
; WaveLimiterHint : 0
; COMPUTE_PGM_RSRC2:SCRATCH_EN: 0
; COMPUTE_PGM_RSRC2:USER_SGPR: 2
; COMPUTE_PGM_RSRC2:TRAP_HANDLER: 0
; COMPUTE_PGM_RSRC2:TGID_X_EN: 1
; COMPUTE_PGM_RSRC2:TGID_Y_EN: 1
; COMPUTE_PGM_RSRC2:TGID_Z_EN: 0
; COMPUTE_PGM_RSRC2:TIDIG_COMP_CNT: 1
; COMPUTE_PGM_RSRC3_GFX90A:ACCUM_OFFSET: 31
; COMPUTE_PGM_RSRC3_GFX90A:TG_SPLIT: 0
	.section	.text._ZN9rocsolver6v33100L23getf2_npvt_small_kernelILi24E19rocblas_complex_numIdEiiPS3_EEvT1_T3_lS5_lPT2_S5_S5_,"axG",@progbits,_ZN9rocsolver6v33100L23getf2_npvt_small_kernelILi24E19rocblas_complex_numIdEiiPS3_EEvT1_T3_lS5_lPT2_S5_S5_,comdat
	.globl	_ZN9rocsolver6v33100L23getf2_npvt_small_kernelILi24E19rocblas_complex_numIdEiiPS3_EEvT1_T3_lS5_lPT2_S5_S5_ ; -- Begin function _ZN9rocsolver6v33100L23getf2_npvt_small_kernelILi24E19rocblas_complex_numIdEiiPS3_EEvT1_T3_lS5_lPT2_S5_S5_
	.p2align	8
	.type	_ZN9rocsolver6v33100L23getf2_npvt_small_kernelILi24E19rocblas_complex_numIdEiiPS3_EEvT1_T3_lS5_lPT2_S5_S5_,@function
_ZN9rocsolver6v33100L23getf2_npvt_small_kernelILi24E19rocblas_complex_numIdEiiPS3_EEvT1_T3_lS5_lPT2_S5_S5_: ; @_ZN9rocsolver6v33100L23getf2_npvt_small_kernelILi24E19rocblas_complex_numIdEiiPS3_EEvT1_T3_lS5_lPT2_S5_S5_
; %bb.0:
	s_load_dword s2, s[0:1], 0x44
	s_load_dwordx2 s[8:9], s[0:1], 0x30
	v_bfe_u32 v96, v0, 10, 10
	s_waitcnt lgkmcnt(0)
	s_lshr_b32 s10, s2, 16
	s_mul_i32 s3, s3, s10
	v_add_u32_e32 v214, s3, v96
	v_cmp_gt_i32_e32 vcc, s8, v214
	s_and_saveexec_b64 s[2:3], vcc
	s_cbranch_execz .LBB47_219
; %bb.1:
	s_load_dwordx4 s[12:15], s[0:1], 0x8
	s_load_dword s2, s[0:1], 0x18
	s_load_dwordx4 s[4:7], s[0:1], 0x20
	v_ashrrev_i32_e32 v215, 31, v214
	v_and_b32_e32 v242, 0x3ff, v0
	s_waitcnt lgkmcnt(0)
	v_mov_b32_e32 v2, s12
	v_mov_b32_e32 v3, s13
	v_mul_lo_u32 v4, s5, v214
	v_mul_lo_u32 v5, s4, v215
	v_mad_u64_u32 v[0:1], s[0:1], s4, v214, 0
	v_add3_u32 v1, v1, v5, v4
	v_lshl_add_u64 v[0:1], v[0:1], 4, v[2:3]
	v_lshl_add_u64 v[0:1], s[14:15], 4, v[0:1]
	v_lshlrev_b32_e32 v2, 4, v242
	v_mov_b32_e32 v3, 0
	s_add_i32 s0, s2, s2
	v_lshl_add_u64 v[192:193], v[0:1], 0, v[2:3]
	v_add_u32_e32 v2, s0, v242
	v_ashrrev_i32_e32 v3, 31, v2
	v_lshl_add_u64 v[196:197], v[2:3], 4, v[0:1]
	v_add_u32_e32 v2, s2, v2
	v_ashrrev_i32_e32 v3, 31, v2
	;; [unrolled: 3-line block ×21, first 2 shown]
	v_lshl_add_u64 v[238:239], v[2:3], 4, v[0:1]
	v_add_u32_e32 v2, s2, v2
	s_ashr_i32 s3, s2, 31
	v_ashrrev_i32_e32 v3, 31, v2
	v_lshl_add_u64 v[194:195], s[2:3], 4, v[192:193]
	v_lshl_add_u64 v[240:241], v[2:3], 4, v[0:1]
	global_load_dwordx4 v[88:91], v[192:193], off
	global_load_dwordx4 v[84:87], v[194:195], off
	;; [unrolled: 1-line block ×24, first 2 shown]
	s_mulk_i32 s10, 0x180
	s_movk_i32 s0, 0x180
	s_add_i32 s1, s10, 0
	v_mad_u32_u24 v244, v96, s0, 0
	v_lshl_add_u32 v243, v96, 4, s1
	v_cmp_ne_u32_e64 s[2:3], 0, v242
	v_cmp_eq_u32_e64 s[0:1], 0, v242
	s_and_saveexec_b64 s[10:11], s[0:1]
	s_cbranch_execz .LBB47_8
; %bb.2:
	s_waitcnt vmcnt(23)
	ds_write2_b64 v243, v[88:89], v[90:91] offset1:1
	s_waitcnt vmcnt(22)
	ds_write2_b64 v244, v[84:85], v[86:87] offset0:2 offset1:3
	s_waitcnt vmcnt(21)
	ds_write2_b64 v244, v[80:81], v[82:83] offset0:4 offset1:5
	s_waitcnt vmcnt(20)
	ds_write2_b64 v244, v[76:77], v[78:79] offset0:6 offset1:7
	s_waitcnt vmcnt(19)
	ds_write2_b64 v244, v[72:73], v[74:75] offset0:8 offset1:9
	s_waitcnt vmcnt(18)
	ds_write2_b64 v244, v[68:69], v[70:71] offset0:10 offset1:11
	s_waitcnt vmcnt(17)
	ds_write2_b64 v244, v[64:65], v[66:67] offset0:12 offset1:13
	s_waitcnt vmcnt(16)
	ds_write2_b64 v244, v[60:61], v[62:63] offset0:14 offset1:15
	s_waitcnt vmcnt(15)
	ds_write2_b64 v244, v[56:57], v[58:59] offset0:16 offset1:17
	s_waitcnt vmcnt(14)
	ds_write2_b64 v244, v[52:53], v[54:55] offset0:18 offset1:19
	s_waitcnt vmcnt(13)
	ds_write2_b64 v244, v[48:49], v[50:51] offset0:20 offset1:21
	s_waitcnt vmcnt(12)
	ds_write2_b64 v244, v[44:45], v[46:47] offset0:22 offset1:23
	s_waitcnt vmcnt(11)
	ds_write2_b64 v244, v[40:41], v[42:43] offset0:24 offset1:25
	s_waitcnt vmcnt(10)
	ds_write2_b64 v244, v[36:37], v[38:39] offset0:26 offset1:27
	s_waitcnt vmcnt(9)
	ds_write2_b64 v244, v[32:33], v[34:35] offset0:28 offset1:29
	s_waitcnt vmcnt(8)
	ds_write2_b64 v244, v[28:29], v[30:31] offset0:30 offset1:31
	s_waitcnt vmcnt(7)
	ds_write2_b64 v244, v[24:25], v[26:27] offset0:32 offset1:33
	s_waitcnt vmcnt(6)
	ds_write2_b64 v244, v[20:21], v[22:23] offset0:34 offset1:35
	s_waitcnt vmcnt(5)
	ds_write2_b64 v244, v[16:17], v[18:19] offset0:36 offset1:37
	s_waitcnt vmcnt(4)
	ds_write2_b64 v244, v[12:13], v[14:15] offset0:38 offset1:39
	s_waitcnt vmcnt(3)
	ds_write2_b64 v244, v[8:9], v[10:11] offset0:40 offset1:41
	s_waitcnt vmcnt(2)
	ds_write2_b64 v244, v[4:5], v[6:7] offset0:42 offset1:43
	s_waitcnt vmcnt(1)
	ds_write2_b64 v244, v[0:1], v[2:3] offset0:44 offset1:45
	s_waitcnt vmcnt(0)
	ds_write2_b64 v244, v[92:93], v[94:95] offset0:46 offset1:47
	ds_read2_b64 v[96:99], v243 offset1:1
	s_waitcnt lgkmcnt(0)
	v_cmp_neq_f64_e32 vcc, 0, v[96:97]
	v_cmp_neq_f64_e64 s[4:5], 0, v[98:99]
	s_or_b64 s[4:5], vcc, s[4:5]
	s_and_b64 exec, exec, s[4:5]
	s_cbranch_execz .LBB47_8
; %bb.3:
	v_cmp_ngt_f64_e64 s[4:5], |v[96:97]|, |v[98:99]|
                                        ; implicit-def: $vgpr100_vgpr101
	s_and_saveexec_b64 s[12:13], s[4:5]
	s_xor_b64 s[4:5], exec, s[12:13]
                                        ; implicit-def: $vgpr102_vgpr103
	s_cbranch_execz .LBB47_5
; %bb.4:
	v_div_scale_f64 v[100:101], s[12:13], v[98:99], v[98:99], v[96:97]
	v_rcp_f64_e32 v[102:103], v[100:101]
	v_div_scale_f64 v[104:105], vcc, v[96:97], v[98:99], v[96:97]
	v_fma_f64 v[106:107], -v[100:101], v[102:103], 1.0
	v_fmac_f64_e32 v[102:103], v[102:103], v[106:107]
	v_fma_f64 v[106:107], -v[100:101], v[102:103], 1.0
	v_fmac_f64_e32 v[102:103], v[102:103], v[106:107]
	v_mul_f64 v[106:107], v[104:105], v[102:103]
	v_fma_f64 v[100:101], -v[100:101], v[106:107], v[104:105]
	v_div_fmas_f64 v[100:101], v[100:101], v[102:103], v[106:107]
	v_div_fixup_f64 v[100:101], v[100:101], v[98:99], v[96:97]
	v_fmac_f64_e32 v[98:99], v[96:97], v[100:101]
	v_div_scale_f64 v[96:97], s[12:13], v[98:99], v[98:99], 1.0
	v_rcp_f64_e32 v[102:103], v[96:97]
	s_nop 0
	v_fma_f64 v[104:105], -v[96:97], v[102:103], 1.0
	v_fmac_f64_e32 v[102:103], v[102:103], v[104:105]
	v_fma_f64 v[104:105], -v[96:97], v[102:103], 1.0
	v_fmac_f64_e32 v[102:103], v[102:103], v[104:105]
	v_div_scale_f64 v[104:105], vcc, 1.0, v[98:99], 1.0
	v_mul_f64 v[106:107], v[104:105], v[102:103]
	v_fma_f64 v[96:97], -v[96:97], v[106:107], v[104:105]
	s_nop 1
	v_div_fmas_f64 v[96:97], v[96:97], v[102:103], v[106:107]
	v_div_fixup_f64 v[102:103], v[96:97], v[98:99], 1.0
	v_mul_f64 v[100:101], v[100:101], v[102:103]
	v_xor_b32_e32 v103, 0x80000000, v103
                                        ; implicit-def: $vgpr96_vgpr97
.LBB47_5:
	s_andn2_saveexec_b64 s[4:5], s[4:5]
	s_cbranch_execz .LBB47_7
; %bb.6:
	v_div_scale_f64 v[100:101], s[12:13], v[96:97], v[96:97], v[98:99]
	v_rcp_f64_e32 v[102:103], v[100:101]
	v_div_scale_f64 v[104:105], vcc, v[98:99], v[96:97], v[98:99]
	v_fma_f64 v[106:107], -v[100:101], v[102:103], 1.0
	v_fmac_f64_e32 v[102:103], v[102:103], v[106:107]
	v_fma_f64 v[106:107], -v[100:101], v[102:103], 1.0
	v_fmac_f64_e32 v[102:103], v[102:103], v[106:107]
	v_mul_f64 v[106:107], v[104:105], v[102:103]
	v_fma_f64 v[100:101], -v[100:101], v[106:107], v[104:105]
	v_div_fmas_f64 v[100:101], v[100:101], v[102:103], v[106:107]
	v_div_fixup_f64 v[102:103], v[100:101], v[96:97], v[98:99]
	v_fmac_f64_e32 v[96:97], v[98:99], v[102:103]
	v_div_scale_f64 v[98:99], s[12:13], v[96:97], v[96:97], 1.0
	v_rcp_f64_e32 v[100:101], v[98:99]
	s_nop 0
	v_fma_f64 v[104:105], -v[98:99], v[100:101], 1.0
	v_fmac_f64_e32 v[100:101], v[100:101], v[104:105]
	v_fma_f64 v[104:105], -v[98:99], v[100:101], 1.0
	v_fmac_f64_e32 v[100:101], v[100:101], v[104:105]
	v_div_scale_f64 v[104:105], vcc, 1.0, v[96:97], 1.0
	v_mul_f64 v[106:107], v[104:105], v[100:101]
	v_fma_f64 v[98:99], -v[98:99], v[106:107], v[104:105]
	s_nop 1
	v_div_fmas_f64 v[98:99], v[98:99], v[100:101], v[106:107]
	v_div_fixup_f64 v[100:101], v[98:99], v[96:97], 1.0
	v_mul_f64 v[102:103], v[102:103], -v[100:101]
.LBB47_7:
	s_or_b64 exec, exec, s[4:5]
	ds_write2_b64 v243, v[100:101], v[102:103] offset1:1
.LBB47_8:
	s_or_b64 exec, exec, s[10:11]
	s_waitcnt lgkmcnt(0)
	s_barrier
	ds_read2_b64 v[96:99], v243 offset1:1
	s_and_saveexec_b64 s[4:5], s[2:3]
	s_cbranch_execz .LBB47_10
; %bb.9:
	ds_read2_b64 v[102:105], v244 offset0:2 offset1:3
	ds_read2_b64 v[106:109], v244 offset0:4 offset1:5
	s_waitcnt vmcnt(23) lgkmcnt(2)
	v_mul_f64 v[100:101], v[98:99], v[90:91]
	v_mul_f64 v[90:91], v[96:97], v[90:91]
	v_fmac_f64_e32 v[90:91], v[98:99], v[88:89]
	v_fma_f64 v[100:101], v[96:97], v[88:89], -v[100:101]
	s_waitcnt lgkmcnt(1)
	v_mul_f64 v[88:89], v[104:105], v[90:91]
	v_fma_f64 v[88:89], v[102:103], v[100:101], -v[88:89]
	v_mul_f64 v[102:103], v[102:103], v[90:91]
	v_fmac_f64_e32 v[102:103], v[104:105], v[100:101]
	s_waitcnt vmcnt(22)
	v_add_f64 v[86:87], v[86:87], -v[102:103]
	ds_read2_b64 v[102:105], v244 offset0:6 offset1:7
	v_add_f64 v[84:85], v[84:85], -v[88:89]
	s_waitcnt lgkmcnt(1)
	v_mul_f64 v[88:89], v[108:109], v[90:91]
	v_fma_f64 v[88:89], v[106:107], v[100:101], -v[88:89]
	v_mul_f64 v[106:107], v[106:107], v[90:91]
	v_fmac_f64_e32 v[106:107], v[108:109], v[100:101]
	s_waitcnt vmcnt(21)
	v_add_f64 v[80:81], v[80:81], -v[88:89]
	v_add_f64 v[82:83], v[82:83], -v[106:107]
	ds_read2_b64 v[106:109], v244 offset0:8 offset1:9
	s_waitcnt lgkmcnt(1)
	v_mul_f64 v[88:89], v[104:105], v[90:91]
	v_fma_f64 v[88:89], v[102:103], v[100:101], -v[88:89]
	v_mul_f64 v[102:103], v[102:103], v[90:91]
	v_fmac_f64_e32 v[102:103], v[104:105], v[100:101]
	s_waitcnt vmcnt(20)
	v_add_f64 v[78:79], v[78:79], -v[102:103]
	ds_read2_b64 v[102:105], v244 offset0:10 offset1:11
	v_add_f64 v[76:77], v[76:77], -v[88:89]
	s_waitcnt lgkmcnt(1)
	v_mul_f64 v[88:89], v[108:109], v[90:91]
	v_fma_f64 v[88:89], v[106:107], v[100:101], -v[88:89]
	v_mul_f64 v[106:107], v[106:107], v[90:91]
	v_fmac_f64_e32 v[106:107], v[108:109], v[100:101]
	s_waitcnt vmcnt(19)
	v_add_f64 v[72:73], v[72:73], -v[88:89]
	v_add_f64 v[74:75], v[74:75], -v[106:107]
	ds_read2_b64 v[106:109], v244 offset0:12 offset1:13
	;; [unrolled: 18-line block ×10, first 2 shown]
	s_waitcnt lgkmcnt(1)
	v_mul_f64 v[88:89], v[104:105], v[90:91]
	v_fma_f64 v[88:89], v[102:103], v[100:101], -v[88:89]
	v_mul_f64 v[102:103], v[102:103], v[90:91]
	v_fmac_f64_e32 v[102:103], v[104:105], v[100:101]
	s_waitcnt vmcnt(2)
	v_add_f64 v[6:7], v[6:7], -v[102:103]
	ds_read2_b64 v[102:105], v244 offset0:46 offset1:47
	v_add_f64 v[4:5], v[4:5], -v[88:89]
	s_waitcnt lgkmcnt(1)
	v_mul_f64 v[88:89], v[108:109], v[90:91]
	v_fma_f64 v[88:89], v[106:107], v[100:101], -v[88:89]
	s_waitcnt vmcnt(1)
	v_add_f64 v[0:1], v[0:1], -v[88:89]
	s_waitcnt lgkmcnt(0)
	v_mul_f64 v[88:89], v[104:105], v[90:91]
	v_mul_f64 v[106:107], v[106:107], v[90:91]
	v_fma_f64 v[88:89], v[102:103], v[100:101], -v[88:89]
	v_mul_f64 v[102:103], v[102:103], v[90:91]
	v_fmac_f64_e32 v[106:107], v[108:109], v[100:101]
	v_fmac_f64_e32 v[102:103], v[104:105], v[100:101]
	v_add_f64 v[2:3], v[2:3], -v[106:107]
	s_waitcnt vmcnt(0)
	v_add_f64 v[92:93], v[92:93], -v[88:89]
	v_add_f64 v[94:95], v[94:95], -v[102:103]
	v_mov_b64_e32 v[88:89], v[100:101]
.LBB47_10:
	s_or_b64 exec, exec, s[4:5]
	v_cmp_eq_u32_e32 vcc, 1, v242
	s_waitcnt lgkmcnt(0)
	s_barrier
	s_and_saveexec_b64 s[4:5], vcc
	s_cbranch_execz .LBB47_17
; %bb.11:
	s_waitcnt vmcnt(22)
	ds_write2_b64 v243, v[84:85], v[86:87] offset1:1
	s_waitcnt vmcnt(21)
	ds_write2_b64 v244, v[80:81], v[82:83] offset0:4 offset1:5
	s_waitcnt vmcnt(20)
	ds_write2_b64 v244, v[76:77], v[78:79] offset0:6 offset1:7
	;; [unrolled: 2-line block ×22, first 2 shown]
	ds_read2_b64 v[100:103], v243 offset1:1
	s_waitcnt lgkmcnt(0)
	v_cmp_neq_f64_e32 vcc, 0, v[100:101]
	v_cmp_neq_f64_e64 s[2:3], 0, v[102:103]
	s_or_b64 s[2:3], vcc, s[2:3]
	s_and_b64 exec, exec, s[2:3]
	s_cbranch_execz .LBB47_17
; %bb.12:
	v_cmp_ngt_f64_e64 s[2:3], |v[100:101]|, |v[102:103]|
                                        ; implicit-def: $vgpr104_vgpr105
	s_and_saveexec_b64 s[10:11], s[2:3]
	s_xor_b64 s[2:3], exec, s[10:11]
                                        ; implicit-def: $vgpr106_vgpr107
	s_cbranch_execz .LBB47_14
; %bb.13:
	v_div_scale_f64 v[104:105], s[10:11], v[102:103], v[102:103], v[100:101]
	v_rcp_f64_e32 v[106:107], v[104:105]
	v_div_scale_f64 v[108:109], vcc, v[100:101], v[102:103], v[100:101]
	v_fma_f64 v[110:111], -v[104:105], v[106:107], 1.0
	v_fmac_f64_e32 v[106:107], v[106:107], v[110:111]
	v_fma_f64 v[110:111], -v[104:105], v[106:107], 1.0
	v_fmac_f64_e32 v[106:107], v[106:107], v[110:111]
	v_mul_f64 v[110:111], v[108:109], v[106:107]
	v_fma_f64 v[104:105], -v[104:105], v[110:111], v[108:109]
	v_div_fmas_f64 v[104:105], v[104:105], v[106:107], v[110:111]
	v_div_fixup_f64 v[104:105], v[104:105], v[102:103], v[100:101]
	v_fmac_f64_e32 v[102:103], v[100:101], v[104:105]
	v_div_scale_f64 v[100:101], s[10:11], v[102:103], v[102:103], 1.0
	v_rcp_f64_e32 v[106:107], v[100:101]
	s_nop 0
	v_fma_f64 v[108:109], -v[100:101], v[106:107], 1.0
	v_fmac_f64_e32 v[106:107], v[106:107], v[108:109]
	v_fma_f64 v[108:109], -v[100:101], v[106:107], 1.0
	v_fmac_f64_e32 v[106:107], v[106:107], v[108:109]
	v_div_scale_f64 v[108:109], vcc, 1.0, v[102:103], 1.0
	v_mul_f64 v[110:111], v[108:109], v[106:107]
	v_fma_f64 v[100:101], -v[100:101], v[110:111], v[108:109]
	s_nop 1
	v_div_fmas_f64 v[100:101], v[100:101], v[106:107], v[110:111]
	v_div_fixup_f64 v[106:107], v[100:101], v[102:103], 1.0
	v_mul_f64 v[104:105], v[104:105], v[106:107]
	v_xor_b32_e32 v107, 0x80000000, v107
                                        ; implicit-def: $vgpr100_vgpr101
.LBB47_14:
	s_andn2_saveexec_b64 s[2:3], s[2:3]
	s_cbranch_execz .LBB47_16
; %bb.15:
	v_div_scale_f64 v[104:105], s[10:11], v[100:101], v[100:101], v[102:103]
	v_rcp_f64_e32 v[106:107], v[104:105]
	v_div_scale_f64 v[108:109], vcc, v[102:103], v[100:101], v[102:103]
	v_fma_f64 v[110:111], -v[104:105], v[106:107], 1.0
	v_fmac_f64_e32 v[106:107], v[106:107], v[110:111]
	v_fma_f64 v[110:111], -v[104:105], v[106:107], 1.0
	v_fmac_f64_e32 v[106:107], v[106:107], v[110:111]
	v_mul_f64 v[110:111], v[108:109], v[106:107]
	v_fma_f64 v[104:105], -v[104:105], v[110:111], v[108:109]
	v_div_fmas_f64 v[104:105], v[104:105], v[106:107], v[110:111]
	v_div_fixup_f64 v[106:107], v[104:105], v[100:101], v[102:103]
	v_fmac_f64_e32 v[100:101], v[102:103], v[106:107]
	v_div_scale_f64 v[102:103], s[10:11], v[100:101], v[100:101], 1.0
	v_rcp_f64_e32 v[104:105], v[102:103]
	s_nop 0
	v_fma_f64 v[108:109], -v[102:103], v[104:105], 1.0
	v_fmac_f64_e32 v[104:105], v[104:105], v[108:109]
	v_fma_f64 v[108:109], -v[102:103], v[104:105], 1.0
	v_fmac_f64_e32 v[104:105], v[104:105], v[108:109]
	v_div_scale_f64 v[108:109], vcc, 1.0, v[100:101], 1.0
	v_mul_f64 v[110:111], v[108:109], v[104:105]
	v_fma_f64 v[102:103], -v[102:103], v[110:111], v[108:109]
	s_nop 1
	v_div_fmas_f64 v[102:103], v[102:103], v[104:105], v[110:111]
	v_div_fixup_f64 v[104:105], v[102:103], v[100:101], 1.0
	v_mul_f64 v[106:107], v[106:107], -v[104:105]
.LBB47_16:
	s_or_b64 exec, exec, s[2:3]
	ds_write2_b64 v243, v[104:105], v[106:107] offset1:1
.LBB47_17:
	s_or_b64 exec, exec, s[4:5]
	s_waitcnt lgkmcnt(0)
	s_barrier
	ds_read2_b64 v[100:103], v243 offset1:1
	v_cmp_lt_u32_e32 vcc, 1, v242
	s_and_saveexec_b64 s[2:3], vcc
	s_cbranch_execz .LBB47_19
; %bb.18:
	ds_read2_b64 v[106:109], v244 offset0:4 offset1:5
	s_waitcnt vmcnt(22) lgkmcnt(1)
	v_mul_f64 v[104:105], v[102:103], v[86:87]
	v_mul_f64 v[86:87], v[100:101], v[86:87]
	v_fmac_f64_e32 v[86:87], v[102:103], v[84:85]
	v_fma_f64 v[104:105], v[100:101], v[84:85], -v[104:105]
	s_waitcnt lgkmcnt(0)
	v_mul_f64 v[84:85], v[108:109], v[86:87]
	v_fma_f64 v[84:85], v[106:107], v[104:105], -v[84:85]
	v_mul_f64 v[106:107], v[106:107], v[86:87]
	v_fmac_f64_e32 v[106:107], v[108:109], v[104:105]
	s_waitcnt vmcnt(21)
	v_add_f64 v[82:83], v[82:83], -v[106:107]
	ds_read2_b64 v[106:109], v244 offset0:6 offset1:7
	v_add_f64 v[80:81], v[80:81], -v[84:85]
	s_waitcnt lgkmcnt(0)
	v_mul_f64 v[84:85], v[108:109], v[86:87]
	v_fma_f64 v[84:85], v[106:107], v[104:105], -v[84:85]
	v_mul_f64 v[106:107], v[106:107], v[86:87]
	v_fmac_f64_e32 v[106:107], v[108:109], v[104:105]
	s_waitcnt vmcnt(20)
	v_add_f64 v[78:79], v[78:79], -v[106:107]
	ds_read2_b64 v[106:109], v244 offset0:8 offset1:9
	v_add_f64 v[76:77], v[76:77], -v[84:85]
	;; [unrolled: 9-line block ×21, first 2 shown]
	s_waitcnt lgkmcnt(0)
	v_mul_f64 v[84:85], v[108:109], v[86:87]
	v_fma_f64 v[84:85], v[106:107], v[104:105], -v[84:85]
	v_mul_f64 v[106:107], v[106:107], v[86:87]
	v_fmac_f64_e32 v[106:107], v[108:109], v[104:105]
	s_waitcnt vmcnt(0)
	v_add_f64 v[92:93], v[92:93], -v[84:85]
	v_add_f64 v[94:95], v[94:95], -v[106:107]
	v_mov_b64_e32 v[84:85], v[104:105]
.LBB47_19:
	s_or_b64 exec, exec, s[2:3]
	v_cmp_eq_u32_e32 vcc, 2, v242
	s_waitcnt lgkmcnt(0)
	s_barrier
	s_and_saveexec_b64 s[4:5], vcc
	s_cbranch_execz .LBB47_26
; %bb.20:
	s_waitcnt vmcnt(21)
	ds_write2_b64 v243, v[80:81], v[82:83] offset1:1
	s_waitcnt vmcnt(20)
	ds_write2_b64 v244, v[76:77], v[78:79] offset0:6 offset1:7
	s_waitcnt vmcnt(19)
	ds_write2_b64 v244, v[72:73], v[74:75] offset0:8 offset1:9
	;; [unrolled: 2-line block ×21, first 2 shown]
	ds_read2_b64 v[104:107], v243 offset1:1
	s_waitcnt lgkmcnt(0)
	v_cmp_neq_f64_e32 vcc, 0, v[104:105]
	v_cmp_neq_f64_e64 s[2:3], 0, v[106:107]
	s_or_b64 s[2:3], vcc, s[2:3]
	s_and_b64 exec, exec, s[2:3]
	s_cbranch_execz .LBB47_26
; %bb.21:
	v_cmp_ngt_f64_e64 s[2:3], |v[104:105]|, |v[106:107]|
                                        ; implicit-def: $vgpr108_vgpr109
	s_and_saveexec_b64 s[10:11], s[2:3]
	s_xor_b64 s[2:3], exec, s[10:11]
                                        ; implicit-def: $vgpr110_vgpr111
	s_cbranch_execz .LBB47_23
; %bb.22:
	v_div_scale_f64 v[108:109], s[10:11], v[106:107], v[106:107], v[104:105]
	v_rcp_f64_e32 v[110:111], v[108:109]
	v_div_scale_f64 v[112:113], vcc, v[104:105], v[106:107], v[104:105]
	v_fma_f64 v[114:115], -v[108:109], v[110:111], 1.0
	v_fmac_f64_e32 v[110:111], v[110:111], v[114:115]
	v_fma_f64 v[114:115], -v[108:109], v[110:111], 1.0
	v_fmac_f64_e32 v[110:111], v[110:111], v[114:115]
	v_mul_f64 v[114:115], v[112:113], v[110:111]
	v_fma_f64 v[108:109], -v[108:109], v[114:115], v[112:113]
	v_div_fmas_f64 v[108:109], v[108:109], v[110:111], v[114:115]
	v_div_fixup_f64 v[108:109], v[108:109], v[106:107], v[104:105]
	v_fmac_f64_e32 v[106:107], v[104:105], v[108:109]
	v_div_scale_f64 v[104:105], s[10:11], v[106:107], v[106:107], 1.0
	v_rcp_f64_e32 v[110:111], v[104:105]
	s_nop 0
	v_fma_f64 v[112:113], -v[104:105], v[110:111], 1.0
	v_fmac_f64_e32 v[110:111], v[110:111], v[112:113]
	v_fma_f64 v[112:113], -v[104:105], v[110:111], 1.0
	v_fmac_f64_e32 v[110:111], v[110:111], v[112:113]
	v_div_scale_f64 v[112:113], vcc, 1.0, v[106:107], 1.0
	v_mul_f64 v[114:115], v[112:113], v[110:111]
	v_fma_f64 v[104:105], -v[104:105], v[114:115], v[112:113]
	s_nop 1
	v_div_fmas_f64 v[104:105], v[104:105], v[110:111], v[114:115]
	v_div_fixup_f64 v[110:111], v[104:105], v[106:107], 1.0
	v_mul_f64 v[108:109], v[108:109], v[110:111]
	v_xor_b32_e32 v111, 0x80000000, v111
                                        ; implicit-def: $vgpr104_vgpr105
.LBB47_23:
	s_andn2_saveexec_b64 s[2:3], s[2:3]
	s_cbranch_execz .LBB47_25
; %bb.24:
	v_div_scale_f64 v[108:109], s[10:11], v[104:105], v[104:105], v[106:107]
	v_rcp_f64_e32 v[110:111], v[108:109]
	v_div_scale_f64 v[112:113], vcc, v[106:107], v[104:105], v[106:107]
	v_fma_f64 v[114:115], -v[108:109], v[110:111], 1.0
	v_fmac_f64_e32 v[110:111], v[110:111], v[114:115]
	v_fma_f64 v[114:115], -v[108:109], v[110:111], 1.0
	v_fmac_f64_e32 v[110:111], v[110:111], v[114:115]
	v_mul_f64 v[114:115], v[112:113], v[110:111]
	v_fma_f64 v[108:109], -v[108:109], v[114:115], v[112:113]
	v_div_fmas_f64 v[108:109], v[108:109], v[110:111], v[114:115]
	v_div_fixup_f64 v[110:111], v[108:109], v[104:105], v[106:107]
	v_fmac_f64_e32 v[104:105], v[106:107], v[110:111]
	v_div_scale_f64 v[106:107], s[10:11], v[104:105], v[104:105], 1.0
	v_rcp_f64_e32 v[108:109], v[106:107]
	s_nop 0
	v_fma_f64 v[112:113], -v[106:107], v[108:109], 1.0
	v_fmac_f64_e32 v[108:109], v[108:109], v[112:113]
	v_fma_f64 v[112:113], -v[106:107], v[108:109], 1.0
	v_fmac_f64_e32 v[108:109], v[108:109], v[112:113]
	v_div_scale_f64 v[112:113], vcc, 1.0, v[104:105], 1.0
	v_mul_f64 v[114:115], v[112:113], v[108:109]
	v_fma_f64 v[106:107], -v[106:107], v[114:115], v[112:113]
	s_nop 1
	v_div_fmas_f64 v[106:107], v[106:107], v[108:109], v[114:115]
	v_div_fixup_f64 v[108:109], v[106:107], v[104:105], 1.0
	v_mul_f64 v[110:111], v[110:111], -v[108:109]
.LBB47_25:
	s_or_b64 exec, exec, s[2:3]
	ds_write2_b64 v243, v[108:109], v[110:111] offset1:1
.LBB47_26:
	s_or_b64 exec, exec, s[4:5]
	s_waitcnt lgkmcnt(0)
	s_barrier
	ds_read2_b64 v[104:107], v243 offset1:1
	v_cmp_lt_u32_e32 vcc, 2, v242
	s_and_saveexec_b64 s[2:3], vcc
	s_cbranch_execz .LBB47_28
; %bb.27:
	ds_read2_b64 v[110:113], v244 offset0:6 offset1:7
	ds_read2_b64 v[114:117], v244 offset0:8 offset1:9
	s_waitcnt vmcnt(21) lgkmcnt(2)
	v_mul_f64 v[108:109], v[106:107], v[82:83]
	v_mul_f64 v[82:83], v[104:105], v[82:83]
	v_fmac_f64_e32 v[82:83], v[106:107], v[80:81]
	v_fma_f64 v[108:109], v[104:105], v[80:81], -v[108:109]
	s_waitcnt lgkmcnt(1)
	v_mul_f64 v[80:81], v[112:113], v[82:83]
	v_fma_f64 v[80:81], v[110:111], v[108:109], -v[80:81]
	v_mul_f64 v[110:111], v[110:111], v[82:83]
	v_fmac_f64_e32 v[110:111], v[112:113], v[108:109]
	s_waitcnt vmcnt(20)
	v_add_f64 v[78:79], v[78:79], -v[110:111]
	ds_read2_b64 v[110:113], v244 offset0:10 offset1:11
	v_add_f64 v[76:77], v[76:77], -v[80:81]
	s_waitcnt lgkmcnt(1)
	v_mul_f64 v[80:81], v[116:117], v[82:83]
	v_fma_f64 v[80:81], v[114:115], v[108:109], -v[80:81]
	v_mul_f64 v[114:115], v[114:115], v[82:83]
	v_fmac_f64_e32 v[114:115], v[116:117], v[108:109]
	s_waitcnt vmcnt(19)
	v_add_f64 v[72:73], v[72:73], -v[80:81]
	v_add_f64 v[74:75], v[74:75], -v[114:115]
	ds_read2_b64 v[114:117], v244 offset0:12 offset1:13
	s_waitcnt lgkmcnt(1)
	v_mul_f64 v[80:81], v[112:113], v[82:83]
	v_fma_f64 v[80:81], v[110:111], v[108:109], -v[80:81]
	v_mul_f64 v[110:111], v[110:111], v[82:83]
	v_fmac_f64_e32 v[110:111], v[112:113], v[108:109]
	s_waitcnt vmcnt(18)
	v_add_f64 v[70:71], v[70:71], -v[110:111]
	ds_read2_b64 v[110:113], v244 offset0:14 offset1:15
	v_add_f64 v[68:69], v[68:69], -v[80:81]
	s_waitcnt lgkmcnt(1)
	v_mul_f64 v[80:81], v[116:117], v[82:83]
	v_fma_f64 v[80:81], v[114:115], v[108:109], -v[80:81]
	v_mul_f64 v[114:115], v[114:115], v[82:83]
	v_fmac_f64_e32 v[114:115], v[116:117], v[108:109]
	s_waitcnt vmcnt(17)
	v_add_f64 v[64:65], v[64:65], -v[80:81]
	v_add_f64 v[66:67], v[66:67], -v[114:115]
	ds_read2_b64 v[114:117], v244 offset0:16 offset1:17
	;; [unrolled: 18-line block ×9, first 2 shown]
	s_waitcnt lgkmcnt(1)
	v_mul_f64 v[80:81], v[112:113], v[82:83]
	v_fma_f64 v[80:81], v[110:111], v[108:109], -v[80:81]
	v_mul_f64 v[110:111], v[110:111], v[82:83]
	v_fmac_f64_e32 v[110:111], v[112:113], v[108:109]
	s_waitcnt vmcnt(2)
	v_add_f64 v[6:7], v[6:7], -v[110:111]
	ds_read2_b64 v[110:113], v244 offset0:46 offset1:47
	v_add_f64 v[4:5], v[4:5], -v[80:81]
	s_waitcnt lgkmcnt(1)
	v_mul_f64 v[80:81], v[116:117], v[82:83]
	v_fma_f64 v[80:81], v[114:115], v[108:109], -v[80:81]
	s_waitcnt vmcnt(1)
	v_add_f64 v[0:1], v[0:1], -v[80:81]
	s_waitcnt lgkmcnt(0)
	v_mul_f64 v[80:81], v[112:113], v[82:83]
	v_mul_f64 v[114:115], v[114:115], v[82:83]
	v_fma_f64 v[80:81], v[110:111], v[108:109], -v[80:81]
	v_mul_f64 v[110:111], v[110:111], v[82:83]
	v_fmac_f64_e32 v[114:115], v[116:117], v[108:109]
	v_fmac_f64_e32 v[110:111], v[112:113], v[108:109]
	v_add_f64 v[2:3], v[2:3], -v[114:115]
	s_waitcnt vmcnt(0)
	v_add_f64 v[92:93], v[92:93], -v[80:81]
	v_add_f64 v[94:95], v[94:95], -v[110:111]
	v_mov_b64_e32 v[80:81], v[108:109]
.LBB47_28:
	s_or_b64 exec, exec, s[2:3]
	v_cmp_eq_u32_e32 vcc, 3, v242
	s_waitcnt lgkmcnt(0)
	s_barrier
	s_and_saveexec_b64 s[4:5], vcc
	s_cbranch_execz .LBB47_35
; %bb.29:
	s_waitcnt vmcnt(20)
	ds_write2_b64 v243, v[76:77], v[78:79] offset1:1
	s_waitcnt vmcnt(19)
	ds_write2_b64 v244, v[72:73], v[74:75] offset0:8 offset1:9
	s_waitcnt vmcnt(18)
	ds_write2_b64 v244, v[68:69], v[70:71] offset0:10 offset1:11
	;; [unrolled: 2-line block ×20, first 2 shown]
	ds_read2_b64 v[108:111], v243 offset1:1
	s_waitcnt lgkmcnt(0)
	v_cmp_neq_f64_e32 vcc, 0, v[108:109]
	v_cmp_neq_f64_e64 s[2:3], 0, v[110:111]
	s_or_b64 s[2:3], vcc, s[2:3]
	s_and_b64 exec, exec, s[2:3]
	s_cbranch_execz .LBB47_35
; %bb.30:
	v_cmp_ngt_f64_e64 s[2:3], |v[108:109]|, |v[110:111]|
                                        ; implicit-def: $vgpr112_vgpr113
	s_and_saveexec_b64 s[10:11], s[2:3]
	s_xor_b64 s[2:3], exec, s[10:11]
                                        ; implicit-def: $vgpr114_vgpr115
	s_cbranch_execz .LBB47_32
; %bb.31:
	v_div_scale_f64 v[112:113], s[10:11], v[110:111], v[110:111], v[108:109]
	v_rcp_f64_e32 v[114:115], v[112:113]
	v_div_scale_f64 v[116:117], vcc, v[108:109], v[110:111], v[108:109]
	v_fma_f64 v[118:119], -v[112:113], v[114:115], 1.0
	v_fmac_f64_e32 v[114:115], v[114:115], v[118:119]
	v_fma_f64 v[118:119], -v[112:113], v[114:115], 1.0
	v_fmac_f64_e32 v[114:115], v[114:115], v[118:119]
	v_mul_f64 v[118:119], v[116:117], v[114:115]
	v_fma_f64 v[112:113], -v[112:113], v[118:119], v[116:117]
	v_div_fmas_f64 v[112:113], v[112:113], v[114:115], v[118:119]
	v_div_fixup_f64 v[112:113], v[112:113], v[110:111], v[108:109]
	v_fmac_f64_e32 v[110:111], v[108:109], v[112:113]
	v_div_scale_f64 v[108:109], s[10:11], v[110:111], v[110:111], 1.0
	v_rcp_f64_e32 v[114:115], v[108:109]
	s_nop 0
	v_fma_f64 v[116:117], -v[108:109], v[114:115], 1.0
	v_fmac_f64_e32 v[114:115], v[114:115], v[116:117]
	v_fma_f64 v[116:117], -v[108:109], v[114:115], 1.0
	v_fmac_f64_e32 v[114:115], v[114:115], v[116:117]
	v_div_scale_f64 v[116:117], vcc, 1.0, v[110:111], 1.0
	v_mul_f64 v[118:119], v[116:117], v[114:115]
	v_fma_f64 v[108:109], -v[108:109], v[118:119], v[116:117]
	s_nop 1
	v_div_fmas_f64 v[108:109], v[108:109], v[114:115], v[118:119]
	v_div_fixup_f64 v[114:115], v[108:109], v[110:111], 1.0
	v_mul_f64 v[112:113], v[112:113], v[114:115]
	v_xor_b32_e32 v115, 0x80000000, v115
                                        ; implicit-def: $vgpr108_vgpr109
.LBB47_32:
	s_andn2_saveexec_b64 s[2:3], s[2:3]
	s_cbranch_execz .LBB47_34
; %bb.33:
	v_div_scale_f64 v[112:113], s[10:11], v[108:109], v[108:109], v[110:111]
	v_rcp_f64_e32 v[114:115], v[112:113]
	v_div_scale_f64 v[116:117], vcc, v[110:111], v[108:109], v[110:111]
	v_fma_f64 v[118:119], -v[112:113], v[114:115], 1.0
	v_fmac_f64_e32 v[114:115], v[114:115], v[118:119]
	v_fma_f64 v[118:119], -v[112:113], v[114:115], 1.0
	v_fmac_f64_e32 v[114:115], v[114:115], v[118:119]
	v_mul_f64 v[118:119], v[116:117], v[114:115]
	v_fma_f64 v[112:113], -v[112:113], v[118:119], v[116:117]
	v_div_fmas_f64 v[112:113], v[112:113], v[114:115], v[118:119]
	v_div_fixup_f64 v[114:115], v[112:113], v[108:109], v[110:111]
	v_fmac_f64_e32 v[108:109], v[110:111], v[114:115]
	v_div_scale_f64 v[110:111], s[10:11], v[108:109], v[108:109], 1.0
	v_rcp_f64_e32 v[112:113], v[110:111]
	s_nop 0
	v_fma_f64 v[116:117], -v[110:111], v[112:113], 1.0
	v_fmac_f64_e32 v[112:113], v[112:113], v[116:117]
	v_fma_f64 v[116:117], -v[110:111], v[112:113], 1.0
	v_fmac_f64_e32 v[112:113], v[112:113], v[116:117]
	v_div_scale_f64 v[116:117], vcc, 1.0, v[108:109], 1.0
	v_mul_f64 v[118:119], v[116:117], v[112:113]
	v_fma_f64 v[110:111], -v[110:111], v[118:119], v[116:117]
	s_nop 1
	v_div_fmas_f64 v[110:111], v[110:111], v[112:113], v[118:119]
	v_div_fixup_f64 v[112:113], v[110:111], v[108:109], 1.0
	v_mul_f64 v[114:115], v[114:115], -v[112:113]
.LBB47_34:
	s_or_b64 exec, exec, s[2:3]
	ds_write2_b64 v243, v[112:113], v[114:115] offset1:1
.LBB47_35:
	s_or_b64 exec, exec, s[4:5]
	s_waitcnt lgkmcnt(0)
	s_barrier
	ds_read2_b64 v[108:111], v243 offset1:1
	v_cmp_lt_u32_e32 vcc, 3, v242
	s_and_saveexec_b64 s[2:3], vcc
	s_cbranch_execz .LBB47_37
; %bb.36:
	ds_read2_b64 v[114:117], v244 offset0:8 offset1:9
	ds_read2_b64 v[118:121], v244 offset0:10 offset1:11
	s_waitcnt vmcnt(20) lgkmcnt(2)
	v_mul_f64 v[112:113], v[110:111], v[78:79]
	v_mul_f64 v[78:79], v[108:109], v[78:79]
	v_fmac_f64_e32 v[78:79], v[110:111], v[76:77]
	v_fma_f64 v[112:113], v[108:109], v[76:77], -v[112:113]
	s_waitcnt lgkmcnt(1)
	v_mul_f64 v[76:77], v[116:117], v[78:79]
	v_fma_f64 v[76:77], v[114:115], v[112:113], -v[76:77]
	v_mul_f64 v[114:115], v[114:115], v[78:79]
	v_fmac_f64_e32 v[114:115], v[116:117], v[112:113]
	s_waitcnt vmcnt(19)
	v_add_f64 v[72:73], v[72:73], -v[76:77]
	v_add_f64 v[74:75], v[74:75], -v[114:115]
	s_waitcnt lgkmcnt(0)
	v_mul_f64 v[76:77], v[120:121], v[78:79]
	ds_read2_b64 v[114:117], v244 offset0:12 offset1:13
	v_fma_f64 v[76:77], v[118:119], v[112:113], -v[76:77]
	v_mul_f64 v[118:119], v[118:119], v[78:79]
	v_fmac_f64_e32 v[118:119], v[120:121], v[112:113]
	s_waitcnt vmcnt(18)
	v_add_f64 v[70:71], v[70:71], -v[118:119]
	ds_read2_b64 v[118:121], v244 offset0:14 offset1:15
	v_add_f64 v[68:69], v[68:69], -v[76:77]
	s_waitcnt lgkmcnt(1)
	v_mul_f64 v[76:77], v[116:117], v[78:79]
	v_fma_f64 v[76:77], v[114:115], v[112:113], -v[76:77]
	v_mul_f64 v[114:115], v[114:115], v[78:79]
	v_fmac_f64_e32 v[114:115], v[116:117], v[112:113]
	s_waitcnt vmcnt(17)
	v_add_f64 v[64:65], v[64:65], -v[76:77]
	v_add_f64 v[66:67], v[66:67], -v[114:115]
	s_waitcnt lgkmcnt(0)
	v_mul_f64 v[76:77], v[120:121], v[78:79]
	ds_read2_b64 v[114:117], v244 offset0:16 offset1:17
	v_fma_f64 v[76:77], v[118:119], v[112:113], -v[76:77]
	v_mul_f64 v[118:119], v[118:119], v[78:79]
	v_fmac_f64_e32 v[118:119], v[120:121], v[112:113]
	s_waitcnt vmcnt(16)
	v_add_f64 v[62:63], v[62:63], -v[118:119]
	ds_read2_b64 v[118:121], v244 offset0:18 offset1:19
	v_add_f64 v[60:61], v[60:61], -v[76:77]
	;; [unrolled: 18-line block ×9, first 2 shown]
	s_waitcnt lgkmcnt(1)
	v_mul_f64 v[76:77], v[116:117], v[78:79]
	v_fma_f64 v[76:77], v[114:115], v[112:113], -v[76:77]
	v_mul_f64 v[114:115], v[114:115], v[78:79]
	v_fmac_f64_e32 v[114:115], v[116:117], v[112:113]
	s_waitcnt vmcnt(1)
	v_add_f64 v[0:1], v[0:1], -v[76:77]
	v_add_f64 v[2:3], v[2:3], -v[114:115]
	s_waitcnt lgkmcnt(0)
	v_mul_f64 v[76:77], v[120:121], v[78:79]
	v_mul_f64 v[114:115], v[118:119], v[78:79]
	v_fma_f64 v[76:77], v[118:119], v[112:113], -v[76:77]
	v_fmac_f64_e32 v[114:115], v[120:121], v[112:113]
	s_waitcnt vmcnt(0)
	v_add_f64 v[92:93], v[92:93], -v[76:77]
	v_add_f64 v[94:95], v[94:95], -v[114:115]
	v_mov_b64_e32 v[76:77], v[112:113]
.LBB47_37:
	s_or_b64 exec, exec, s[2:3]
	v_cmp_eq_u32_e32 vcc, 4, v242
	s_waitcnt lgkmcnt(0)
	s_barrier
	s_and_saveexec_b64 s[4:5], vcc
	s_cbranch_execz .LBB47_44
; %bb.38:
	s_waitcnt vmcnt(19)
	ds_write2_b64 v243, v[72:73], v[74:75] offset1:1
	s_waitcnt vmcnt(18)
	ds_write2_b64 v244, v[68:69], v[70:71] offset0:10 offset1:11
	s_waitcnt vmcnt(17)
	ds_write2_b64 v244, v[64:65], v[66:67] offset0:12 offset1:13
	;; [unrolled: 2-line block ×19, first 2 shown]
	ds_read2_b64 v[112:115], v243 offset1:1
	s_waitcnt lgkmcnt(0)
	v_cmp_neq_f64_e32 vcc, 0, v[112:113]
	v_cmp_neq_f64_e64 s[2:3], 0, v[114:115]
	s_or_b64 s[2:3], vcc, s[2:3]
	s_and_b64 exec, exec, s[2:3]
	s_cbranch_execz .LBB47_44
; %bb.39:
	v_cmp_ngt_f64_e64 s[2:3], |v[112:113]|, |v[114:115]|
                                        ; implicit-def: $vgpr116_vgpr117
	s_and_saveexec_b64 s[10:11], s[2:3]
	s_xor_b64 s[2:3], exec, s[10:11]
                                        ; implicit-def: $vgpr118_vgpr119
	s_cbranch_execz .LBB47_41
; %bb.40:
	v_div_scale_f64 v[116:117], s[10:11], v[114:115], v[114:115], v[112:113]
	v_rcp_f64_e32 v[118:119], v[116:117]
	v_div_scale_f64 v[120:121], vcc, v[112:113], v[114:115], v[112:113]
	v_fma_f64 v[122:123], -v[116:117], v[118:119], 1.0
	v_fmac_f64_e32 v[118:119], v[118:119], v[122:123]
	v_fma_f64 v[122:123], -v[116:117], v[118:119], 1.0
	v_fmac_f64_e32 v[118:119], v[118:119], v[122:123]
	v_mul_f64 v[122:123], v[120:121], v[118:119]
	v_fma_f64 v[116:117], -v[116:117], v[122:123], v[120:121]
	v_div_fmas_f64 v[116:117], v[116:117], v[118:119], v[122:123]
	v_div_fixup_f64 v[116:117], v[116:117], v[114:115], v[112:113]
	v_fmac_f64_e32 v[114:115], v[112:113], v[116:117]
	v_div_scale_f64 v[112:113], s[10:11], v[114:115], v[114:115], 1.0
	v_rcp_f64_e32 v[118:119], v[112:113]
	s_nop 0
	v_fma_f64 v[120:121], -v[112:113], v[118:119], 1.0
	v_fmac_f64_e32 v[118:119], v[118:119], v[120:121]
	v_fma_f64 v[120:121], -v[112:113], v[118:119], 1.0
	v_fmac_f64_e32 v[118:119], v[118:119], v[120:121]
	v_div_scale_f64 v[120:121], vcc, 1.0, v[114:115], 1.0
	v_mul_f64 v[122:123], v[120:121], v[118:119]
	v_fma_f64 v[112:113], -v[112:113], v[122:123], v[120:121]
	s_nop 1
	v_div_fmas_f64 v[112:113], v[112:113], v[118:119], v[122:123]
	v_div_fixup_f64 v[118:119], v[112:113], v[114:115], 1.0
	v_mul_f64 v[116:117], v[116:117], v[118:119]
	v_xor_b32_e32 v119, 0x80000000, v119
                                        ; implicit-def: $vgpr112_vgpr113
.LBB47_41:
	s_andn2_saveexec_b64 s[2:3], s[2:3]
	s_cbranch_execz .LBB47_43
; %bb.42:
	v_div_scale_f64 v[116:117], s[10:11], v[112:113], v[112:113], v[114:115]
	v_rcp_f64_e32 v[118:119], v[116:117]
	v_div_scale_f64 v[120:121], vcc, v[114:115], v[112:113], v[114:115]
	v_fma_f64 v[122:123], -v[116:117], v[118:119], 1.0
	v_fmac_f64_e32 v[118:119], v[118:119], v[122:123]
	v_fma_f64 v[122:123], -v[116:117], v[118:119], 1.0
	v_fmac_f64_e32 v[118:119], v[118:119], v[122:123]
	v_mul_f64 v[122:123], v[120:121], v[118:119]
	v_fma_f64 v[116:117], -v[116:117], v[122:123], v[120:121]
	v_div_fmas_f64 v[116:117], v[116:117], v[118:119], v[122:123]
	v_div_fixup_f64 v[118:119], v[116:117], v[112:113], v[114:115]
	v_fmac_f64_e32 v[112:113], v[114:115], v[118:119]
	v_div_scale_f64 v[114:115], s[10:11], v[112:113], v[112:113], 1.0
	v_rcp_f64_e32 v[116:117], v[114:115]
	s_nop 0
	v_fma_f64 v[120:121], -v[114:115], v[116:117], 1.0
	v_fmac_f64_e32 v[116:117], v[116:117], v[120:121]
	v_fma_f64 v[120:121], -v[114:115], v[116:117], 1.0
	v_fmac_f64_e32 v[116:117], v[116:117], v[120:121]
	v_div_scale_f64 v[120:121], vcc, 1.0, v[112:113], 1.0
	v_mul_f64 v[122:123], v[120:121], v[116:117]
	v_fma_f64 v[114:115], -v[114:115], v[122:123], v[120:121]
	s_nop 1
	v_div_fmas_f64 v[114:115], v[114:115], v[116:117], v[122:123]
	v_div_fixup_f64 v[116:117], v[114:115], v[112:113], 1.0
	v_mul_f64 v[118:119], v[118:119], -v[116:117]
.LBB47_43:
	s_or_b64 exec, exec, s[2:3]
	ds_write2_b64 v243, v[116:117], v[118:119] offset1:1
.LBB47_44:
	s_or_b64 exec, exec, s[4:5]
	s_waitcnt lgkmcnt(0)
	s_barrier
	ds_read2_b64 v[112:115], v243 offset1:1
	v_cmp_lt_u32_e32 vcc, 4, v242
	s_and_saveexec_b64 s[2:3], vcc
	s_cbranch_execz .LBB47_46
; %bb.45:
	ds_read2_b64 v[118:121], v244 offset0:10 offset1:11
	ds_read2_b64 v[122:125], v244 offset0:12 offset1:13
	s_waitcnt vmcnt(19) lgkmcnt(2)
	v_mul_f64 v[116:117], v[114:115], v[74:75]
	v_mul_f64 v[74:75], v[112:113], v[74:75]
	v_fmac_f64_e32 v[74:75], v[114:115], v[72:73]
	v_fma_f64 v[116:117], v[112:113], v[72:73], -v[116:117]
	s_waitcnt lgkmcnt(1)
	v_mul_f64 v[72:73], v[120:121], v[74:75]
	v_fma_f64 v[72:73], v[118:119], v[116:117], -v[72:73]
	v_mul_f64 v[118:119], v[118:119], v[74:75]
	v_fmac_f64_e32 v[118:119], v[120:121], v[116:117]
	s_waitcnt vmcnt(18)
	v_add_f64 v[70:71], v[70:71], -v[118:119]
	ds_read2_b64 v[118:121], v244 offset0:14 offset1:15
	v_add_f64 v[68:69], v[68:69], -v[72:73]
	s_waitcnt lgkmcnt(1)
	v_mul_f64 v[72:73], v[124:125], v[74:75]
	v_fma_f64 v[72:73], v[122:123], v[116:117], -v[72:73]
	v_mul_f64 v[122:123], v[122:123], v[74:75]
	v_fmac_f64_e32 v[122:123], v[124:125], v[116:117]
	s_waitcnt vmcnt(17)
	v_add_f64 v[64:65], v[64:65], -v[72:73]
	v_add_f64 v[66:67], v[66:67], -v[122:123]
	ds_read2_b64 v[122:125], v244 offset0:16 offset1:17
	s_waitcnt lgkmcnt(1)
	v_mul_f64 v[72:73], v[120:121], v[74:75]
	v_fma_f64 v[72:73], v[118:119], v[116:117], -v[72:73]
	v_mul_f64 v[118:119], v[118:119], v[74:75]
	v_fmac_f64_e32 v[118:119], v[120:121], v[116:117]
	s_waitcnt vmcnt(16)
	v_add_f64 v[62:63], v[62:63], -v[118:119]
	ds_read2_b64 v[118:121], v244 offset0:18 offset1:19
	v_add_f64 v[60:61], v[60:61], -v[72:73]
	s_waitcnt lgkmcnt(1)
	v_mul_f64 v[72:73], v[124:125], v[74:75]
	v_fma_f64 v[72:73], v[122:123], v[116:117], -v[72:73]
	v_mul_f64 v[122:123], v[122:123], v[74:75]
	v_fmac_f64_e32 v[122:123], v[124:125], v[116:117]
	s_waitcnt vmcnt(15)
	v_add_f64 v[56:57], v[56:57], -v[72:73]
	v_add_f64 v[58:59], v[58:59], -v[122:123]
	ds_read2_b64 v[122:125], v244 offset0:20 offset1:21
	;; [unrolled: 18-line block ×8, first 2 shown]
	s_waitcnt lgkmcnt(1)
	v_mul_f64 v[72:73], v[120:121], v[74:75]
	v_fma_f64 v[72:73], v[118:119], v[116:117], -v[72:73]
	v_mul_f64 v[118:119], v[118:119], v[74:75]
	v_fmac_f64_e32 v[118:119], v[120:121], v[116:117]
	s_waitcnt vmcnt(2)
	v_add_f64 v[6:7], v[6:7], -v[118:119]
	ds_read2_b64 v[118:121], v244 offset0:46 offset1:47
	v_add_f64 v[4:5], v[4:5], -v[72:73]
	s_waitcnt lgkmcnt(1)
	v_mul_f64 v[72:73], v[124:125], v[74:75]
	v_fma_f64 v[72:73], v[122:123], v[116:117], -v[72:73]
	s_waitcnt vmcnt(1)
	v_add_f64 v[0:1], v[0:1], -v[72:73]
	s_waitcnt lgkmcnt(0)
	v_mul_f64 v[72:73], v[120:121], v[74:75]
	v_mul_f64 v[122:123], v[122:123], v[74:75]
	v_fma_f64 v[72:73], v[118:119], v[116:117], -v[72:73]
	v_mul_f64 v[118:119], v[118:119], v[74:75]
	v_fmac_f64_e32 v[122:123], v[124:125], v[116:117]
	v_fmac_f64_e32 v[118:119], v[120:121], v[116:117]
	v_add_f64 v[2:3], v[2:3], -v[122:123]
	s_waitcnt vmcnt(0)
	v_add_f64 v[92:93], v[92:93], -v[72:73]
	v_add_f64 v[94:95], v[94:95], -v[118:119]
	v_mov_b64_e32 v[72:73], v[116:117]
.LBB47_46:
	s_or_b64 exec, exec, s[2:3]
	v_cmp_eq_u32_e32 vcc, 5, v242
	s_waitcnt lgkmcnt(0)
	s_barrier
	s_and_saveexec_b64 s[4:5], vcc
	s_cbranch_execz .LBB47_53
; %bb.47:
	s_waitcnt vmcnt(18)
	ds_write2_b64 v243, v[68:69], v[70:71] offset1:1
	s_waitcnt vmcnt(17)
	ds_write2_b64 v244, v[64:65], v[66:67] offset0:12 offset1:13
	s_waitcnt vmcnt(16)
	ds_write2_b64 v244, v[60:61], v[62:63] offset0:14 offset1:15
	;; [unrolled: 2-line block ×18, first 2 shown]
	ds_read2_b64 v[116:119], v243 offset1:1
	s_waitcnt lgkmcnt(0)
	v_cmp_neq_f64_e32 vcc, 0, v[116:117]
	v_cmp_neq_f64_e64 s[2:3], 0, v[118:119]
	s_or_b64 s[2:3], vcc, s[2:3]
	s_and_b64 exec, exec, s[2:3]
	s_cbranch_execz .LBB47_53
; %bb.48:
	v_cmp_ngt_f64_e64 s[2:3], |v[116:117]|, |v[118:119]|
                                        ; implicit-def: $vgpr120_vgpr121
	s_and_saveexec_b64 s[10:11], s[2:3]
	s_xor_b64 s[2:3], exec, s[10:11]
                                        ; implicit-def: $vgpr122_vgpr123
	s_cbranch_execz .LBB47_50
; %bb.49:
	v_div_scale_f64 v[120:121], s[10:11], v[118:119], v[118:119], v[116:117]
	v_rcp_f64_e32 v[122:123], v[120:121]
	v_div_scale_f64 v[124:125], vcc, v[116:117], v[118:119], v[116:117]
	v_fma_f64 v[126:127], -v[120:121], v[122:123], 1.0
	v_fmac_f64_e32 v[122:123], v[122:123], v[126:127]
	v_fma_f64 v[126:127], -v[120:121], v[122:123], 1.0
	v_fmac_f64_e32 v[122:123], v[122:123], v[126:127]
	v_mul_f64 v[126:127], v[124:125], v[122:123]
	v_fma_f64 v[120:121], -v[120:121], v[126:127], v[124:125]
	v_div_fmas_f64 v[120:121], v[120:121], v[122:123], v[126:127]
	v_div_fixup_f64 v[120:121], v[120:121], v[118:119], v[116:117]
	v_fmac_f64_e32 v[118:119], v[116:117], v[120:121]
	v_div_scale_f64 v[116:117], s[10:11], v[118:119], v[118:119], 1.0
	v_rcp_f64_e32 v[122:123], v[116:117]
	s_nop 0
	v_fma_f64 v[124:125], -v[116:117], v[122:123], 1.0
	v_fmac_f64_e32 v[122:123], v[122:123], v[124:125]
	v_fma_f64 v[124:125], -v[116:117], v[122:123], 1.0
	v_fmac_f64_e32 v[122:123], v[122:123], v[124:125]
	v_div_scale_f64 v[124:125], vcc, 1.0, v[118:119], 1.0
	v_mul_f64 v[126:127], v[124:125], v[122:123]
	v_fma_f64 v[116:117], -v[116:117], v[126:127], v[124:125]
	s_nop 1
	v_div_fmas_f64 v[116:117], v[116:117], v[122:123], v[126:127]
	v_div_fixup_f64 v[122:123], v[116:117], v[118:119], 1.0
	v_mul_f64 v[120:121], v[120:121], v[122:123]
	v_xor_b32_e32 v123, 0x80000000, v123
                                        ; implicit-def: $vgpr116_vgpr117
.LBB47_50:
	s_andn2_saveexec_b64 s[2:3], s[2:3]
	s_cbranch_execz .LBB47_52
; %bb.51:
	v_div_scale_f64 v[120:121], s[10:11], v[116:117], v[116:117], v[118:119]
	v_rcp_f64_e32 v[122:123], v[120:121]
	v_div_scale_f64 v[124:125], vcc, v[118:119], v[116:117], v[118:119]
	v_fma_f64 v[126:127], -v[120:121], v[122:123], 1.0
	v_fmac_f64_e32 v[122:123], v[122:123], v[126:127]
	v_fma_f64 v[126:127], -v[120:121], v[122:123], 1.0
	v_fmac_f64_e32 v[122:123], v[122:123], v[126:127]
	v_mul_f64 v[126:127], v[124:125], v[122:123]
	v_fma_f64 v[120:121], -v[120:121], v[126:127], v[124:125]
	v_div_fmas_f64 v[120:121], v[120:121], v[122:123], v[126:127]
	v_div_fixup_f64 v[122:123], v[120:121], v[116:117], v[118:119]
	v_fmac_f64_e32 v[116:117], v[118:119], v[122:123]
	v_div_scale_f64 v[118:119], s[10:11], v[116:117], v[116:117], 1.0
	v_rcp_f64_e32 v[120:121], v[118:119]
	s_nop 0
	v_fma_f64 v[124:125], -v[118:119], v[120:121], 1.0
	v_fmac_f64_e32 v[120:121], v[120:121], v[124:125]
	v_fma_f64 v[124:125], -v[118:119], v[120:121], 1.0
	v_fmac_f64_e32 v[120:121], v[120:121], v[124:125]
	v_div_scale_f64 v[124:125], vcc, 1.0, v[116:117], 1.0
	v_mul_f64 v[126:127], v[124:125], v[120:121]
	v_fma_f64 v[118:119], -v[118:119], v[126:127], v[124:125]
	s_nop 1
	v_div_fmas_f64 v[118:119], v[118:119], v[120:121], v[126:127]
	v_div_fixup_f64 v[120:121], v[118:119], v[116:117], 1.0
	v_mul_f64 v[122:123], v[122:123], -v[120:121]
.LBB47_52:
	s_or_b64 exec, exec, s[2:3]
	ds_write2_b64 v243, v[120:121], v[122:123] offset1:1
.LBB47_53:
	s_or_b64 exec, exec, s[4:5]
	s_waitcnt lgkmcnt(0)
	s_barrier
	ds_read2_b64 v[116:119], v243 offset1:1
	v_cmp_lt_u32_e32 vcc, 5, v242
	s_and_saveexec_b64 s[2:3], vcc
	s_cbranch_execz .LBB47_55
; %bb.54:
	ds_read2_b64 v[122:125], v244 offset0:12 offset1:13
	ds_read2_b64 v[126:129], v244 offset0:14 offset1:15
	s_waitcnt vmcnt(18) lgkmcnt(2)
	v_mul_f64 v[120:121], v[118:119], v[70:71]
	v_mul_f64 v[70:71], v[116:117], v[70:71]
	v_fmac_f64_e32 v[70:71], v[118:119], v[68:69]
	v_fma_f64 v[120:121], v[116:117], v[68:69], -v[120:121]
	s_waitcnt lgkmcnt(1)
	v_mul_f64 v[68:69], v[124:125], v[70:71]
	v_fma_f64 v[68:69], v[122:123], v[120:121], -v[68:69]
	v_mul_f64 v[122:123], v[122:123], v[70:71]
	v_fmac_f64_e32 v[122:123], v[124:125], v[120:121]
	s_waitcnt vmcnt(17)
	v_add_f64 v[64:65], v[64:65], -v[68:69]
	v_add_f64 v[66:67], v[66:67], -v[122:123]
	s_waitcnt lgkmcnt(0)
	v_mul_f64 v[68:69], v[128:129], v[70:71]
	ds_read2_b64 v[122:125], v244 offset0:16 offset1:17
	v_fma_f64 v[68:69], v[126:127], v[120:121], -v[68:69]
	v_mul_f64 v[126:127], v[126:127], v[70:71]
	v_fmac_f64_e32 v[126:127], v[128:129], v[120:121]
	s_waitcnt vmcnt(16)
	v_add_f64 v[62:63], v[62:63], -v[126:127]
	ds_read2_b64 v[126:129], v244 offset0:18 offset1:19
	v_add_f64 v[60:61], v[60:61], -v[68:69]
	s_waitcnt lgkmcnt(1)
	v_mul_f64 v[68:69], v[124:125], v[70:71]
	v_fma_f64 v[68:69], v[122:123], v[120:121], -v[68:69]
	v_mul_f64 v[122:123], v[122:123], v[70:71]
	v_fmac_f64_e32 v[122:123], v[124:125], v[120:121]
	s_waitcnt vmcnt(15)
	v_add_f64 v[56:57], v[56:57], -v[68:69]
	v_add_f64 v[58:59], v[58:59], -v[122:123]
	s_waitcnt lgkmcnt(0)
	v_mul_f64 v[68:69], v[128:129], v[70:71]
	ds_read2_b64 v[122:125], v244 offset0:20 offset1:21
	v_fma_f64 v[68:69], v[126:127], v[120:121], -v[68:69]
	v_mul_f64 v[126:127], v[126:127], v[70:71]
	v_fmac_f64_e32 v[126:127], v[128:129], v[120:121]
	s_waitcnt vmcnt(14)
	v_add_f64 v[54:55], v[54:55], -v[126:127]
	ds_read2_b64 v[126:129], v244 offset0:22 offset1:23
	v_add_f64 v[52:53], v[52:53], -v[68:69]
	;; [unrolled: 18-line block ×8, first 2 shown]
	s_waitcnt lgkmcnt(1)
	v_mul_f64 v[68:69], v[124:125], v[70:71]
	v_fma_f64 v[68:69], v[122:123], v[120:121], -v[68:69]
	v_mul_f64 v[122:123], v[122:123], v[70:71]
	v_fmac_f64_e32 v[122:123], v[124:125], v[120:121]
	s_waitcnt vmcnt(1)
	v_add_f64 v[0:1], v[0:1], -v[68:69]
	v_add_f64 v[2:3], v[2:3], -v[122:123]
	s_waitcnt lgkmcnt(0)
	v_mul_f64 v[68:69], v[128:129], v[70:71]
	v_mul_f64 v[122:123], v[126:127], v[70:71]
	v_fma_f64 v[68:69], v[126:127], v[120:121], -v[68:69]
	v_fmac_f64_e32 v[122:123], v[128:129], v[120:121]
	s_waitcnt vmcnt(0)
	v_add_f64 v[92:93], v[92:93], -v[68:69]
	v_add_f64 v[94:95], v[94:95], -v[122:123]
	v_mov_b64_e32 v[68:69], v[120:121]
.LBB47_55:
	s_or_b64 exec, exec, s[2:3]
	v_cmp_eq_u32_e32 vcc, 6, v242
	s_waitcnt lgkmcnt(0)
	s_barrier
	s_and_saveexec_b64 s[4:5], vcc
	s_cbranch_execz .LBB47_62
; %bb.56:
	s_waitcnt vmcnt(17)
	ds_write2_b64 v243, v[64:65], v[66:67] offset1:1
	s_waitcnt vmcnt(16)
	ds_write2_b64 v244, v[60:61], v[62:63] offset0:14 offset1:15
	s_waitcnt vmcnt(15)
	ds_write2_b64 v244, v[56:57], v[58:59] offset0:16 offset1:17
	;; [unrolled: 2-line block ×17, first 2 shown]
	ds_read2_b64 v[120:123], v243 offset1:1
	s_waitcnt lgkmcnt(0)
	v_cmp_neq_f64_e32 vcc, 0, v[120:121]
	v_cmp_neq_f64_e64 s[2:3], 0, v[122:123]
	s_or_b64 s[2:3], vcc, s[2:3]
	s_and_b64 exec, exec, s[2:3]
	s_cbranch_execz .LBB47_62
; %bb.57:
	v_cmp_ngt_f64_e64 s[2:3], |v[120:121]|, |v[122:123]|
                                        ; implicit-def: $vgpr124_vgpr125
	s_and_saveexec_b64 s[10:11], s[2:3]
	s_xor_b64 s[2:3], exec, s[10:11]
                                        ; implicit-def: $vgpr126_vgpr127
	s_cbranch_execz .LBB47_59
; %bb.58:
	v_div_scale_f64 v[124:125], s[10:11], v[122:123], v[122:123], v[120:121]
	v_rcp_f64_e32 v[126:127], v[124:125]
	v_div_scale_f64 v[128:129], vcc, v[120:121], v[122:123], v[120:121]
	v_fma_f64 v[130:131], -v[124:125], v[126:127], 1.0
	v_fmac_f64_e32 v[126:127], v[126:127], v[130:131]
	v_fma_f64 v[130:131], -v[124:125], v[126:127], 1.0
	v_fmac_f64_e32 v[126:127], v[126:127], v[130:131]
	v_mul_f64 v[130:131], v[128:129], v[126:127]
	v_fma_f64 v[124:125], -v[124:125], v[130:131], v[128:129]
	v_div_fmas_f64 v[124:125], v[124:125], v[126:127], v[130:131]
	v_div_fixup_f64 v[124:125], v[124:125], v[122:123], v[120:121]
	v_fmac_f64_e32 v[122:123], v[120:121], v[124:125]
	v_div_scale_f64 v[120:121], s[10:11], v[122:123], v[122:123], 1.0
	v_rcp_f64_e32 v[126:127], v[120:121]
	s_nop 0
	v_fma_f64 v[128:129], -v[120:121], v[126:127], 1.0
	v_fmac_f64_e32 v[126:127], v[126:127], v[128:129]
	v_fma_f64 v[128:129], -v[120:121], v[126:127], 1.0
	v_fmac_f64_e32 v[126:127], v[126:127], v[128:129]
	v_div_scale_f64 v[128:129], vcc, 1.0, v[122:123], 1.0
	v_mul_f64 v[130:131], v[128:129], v[126:127]
	v_fma_f64 v[120:121], -v[120:121], v[130:131], v[128:129]
	s_nop 1
	v_div_fmas_f64 v[120:121], v[120:121], v[126:127], v[130:131]
	v_div_fixup_f64 v[126:127], v[120:121], v[122:123], 1.0
	v_mul_f64 v[124:125], v[124:125], v[126:127]
	v_xor_b32_e32 v127, 0x80000000, v127
                                        ; implicit-def: $vgpr120_vgpr121
.LBB47_59:
	s_andn2_saveexec_b64 s[2:3], s[2:3]
	s_cbranch_execz .LBB47_61
; %bb.60:
	v_div_scale_f64 v[124:125], s[10:11], v[120:121], v[120:121], v[122:123]
	v_rcp_f64_e32 v[126:127], v[124:125]
	v_div_scale_f64 v[128:129], vcc, v[122:123], v[120:121], v[122:123]
	v_fma_f64 v[130:131], -v[124:125], v[126:127], 1.0
	v_fmac_f64_e32 v[126:127], v[126:127], v[130:131]
	v_fma_f64 v[130:131], -v[124:125], v[126:127], 1.0
	v_fmac_f64_e32 v[126:127], v[126:127], v[130:131]
	v_mul_f64 v[130:131], v[128:129], v[126:127]
	v_fma_f64 v[124:125], -v[124:125], v[130:131], v[128:129]
	v_div_fmas_f64 v[124:125], v[124:125], v[126:127], v[130:131]
	v_div_fixup_f64 v[126:127], v[124:125], v[120:121], v[122:123]
	v_fmac_f64_e32 v[120:121], v[122:123], v[126:127]
	v_div_scale_f64 v[122:123], s[10:11], v[120:121], v[120:121], 1.0
	v_rcp_f64_e32 v[124:125], v[122:123]
	s_nop 0
	v_fma_f64 v[128:129], -v[122:123], v[124:125], 1.0
	v_fmac_f64_e32 v[124:125], v[124:125], v[128:129]
	v_fma_f64 v[128:129], -v[122:123], v[124:125], 1.0
	v_fmac_f64_e32 v[124:125], v[124:125], v[128:129]
	v_div_scale_f64 v[128:129], vcc, 1.0, v[120:121], 1.0
	v_mul_f64 v[130:131], v[128:129], v[124:125]
	v_fma_f64 v[122:123], -v[122:123], v[130:131], v[128:129]
	s_nop 1
	v_div_fmas_f64 v[122:123], v[122:123], v[124:125], v[130:131]
	v_div_fixup_f64 v[124:125], v[122:123], v[120:121], 1.0
	v_mul_f64 v[126:127], v[126:127], -v[124:125]
.LBB47_61:
	s_or_b64 exec, exec, s[2:3]
	ds_write2_b64 v243, v[124:125], v[126:127] offset1:1
.LBB47_62:
	s_or_b64 exec, exec, s[4:5]
	s_waitcnt lgkmcnt(0)
	s_barrier
	ds_read2_b64 v[120:123], v243 offset1:1
	v_cmp_lt_u32_e32 vcc, 6, v242
	s_and_saveexec_b64 s[2:3], vcc
	s_cbranch_execz .LBB47_64
; %bb.63:
	ds_read2_b64 v[126:129], v244 offset0:14 offset1:15
	ds_read2_b64 v[130:133], v244 offset0:16 offset1:17
	s_waitcnt vmcnt(17) lgkmcnt(2)
	v_mul_f64 v[124:125], v[122:123], v[66:67]
	v_mul_f64 v[66:67], v[120:121], v[66:67]
	v_fmac_f64_e32 v[66:67], v[122:123], v[64:65]
	v_fma_f64 v[124:125], v[120:121], v[64:65], -v[124:125]
	s_waitcnt lgkmcnt(1)
	v_mul_f64 v[64:65], v[128:129], v[66:67]
	v_fma_f64 v[64:65], v[126:127], v[124:125], -v[64:65]
	v_mul_f64 v[126:127], v[126:127], v[66:67]
	v_fmac_f64_e32 v[126:127], v[128:129], v[124:125]
	s_waitcnt vmcnt(16)
	v_add_f64 v[62:63], v[62:63], -v[126:127]
	ds_read2_b64 v[126:129], v244 offset0:18 offset1:19
	v_add_f64 v[60:61], v[60:61], -v[64:65]
	s_waitcnt lgkmcnt(1)
	v_mul_f64 v[64:65], v[132:133], v[66:67]
	v_fma_f64 v[64:65], v[130:131], v[124:125], -v[64:65]
	v_mul_f64 v[130:131], v[130:131], v[66:67]
	v_fmac_f64_e32 v[130:131], v[132:133], v[124:125]
	s_waitcnt vmcnt(15)
	v_add_f64 v[56:57], v[56:57], -v[64:65]
	v_add_f64 v[58:59], v[58:59], -v[130:131]
	ds_read2_b64 v[130:133], v244 offset0:20 offset1:21
	s_waitcnt lgkmcnt(1)
	v_mul_f64 v[64:65], v[128:129], v[66:67]
	v_fma_f64 v[64:65], v[126:127], v[124:125], -v[64:65]
	v_mul_f64 v[126:127], v[126:127], v[66:67]
	v_fmac_f64_e32 v[126:127], v[128:129], v[124:125]
	s_waitcnt vmcnt(14)
	v_add_f64 v[54:55], v[54:55], -v[126:127]
	ds_read2_b64 v[126:129], v244 offset0:22 offset1:23
	v_add_f64 v[52:53], v[52:53], -v[64:65]
	s_waitcnt lgkmcnt(1)
	v_mul_f64 v[64:65], v[132:133], v[66:67]
	v_fma_f64 v[64:65], v[130:131], v[124:125], -v[64:65]
	v_mul_f64 v[130:131], v[130:131], v[66:67]
	v_fmac_f64_e32 v[130:131], v[132:133], v[124:125]
	s_waitcnt vmcnt(13)
	v_add_f64 v[48:49], v[48:49], -v[64:65]
	v_add_f64 v[50:51], v[50:51], -v[130:131]
	ds_read2_b64 v[130:133], v244 offset0:24 offset1:25
	;; [unrolled: 18-line block ×7, first 2 shown]
	s_waitcnt lgkmcnt(1)
	v_mul_f64 v[64:65], v[128:129], v[66:67]
	v_fma_f64 v[64:65], v[126:127], v[124:125], -v[64:65]
	v_mul_f64 v[126:127], v[126:127], v[66:67]
	v_fmac_f64_e32 v[126:127], v[128:129], v[124:125]
	s_waitcnt vmcnt(2)
	v_add_f64 v[6:7], v[6:7], -v[126:127]
	ds_read2_b64 v[126:129], v244 offset0:46 offset1:47
	v_add_f64 v[4:5], v[4:5], -v[64:65]
	s_waitcnt lgkmcnt(1)
	v_mul_f64 v[64:65], v[132:133], v[66:67]
	v_fma_f64 v[64:65], v[130:131], v[124:125], -v[64:65]
	s_waitcnt vmcnt(1)
	v_add_f64 v[0:1], v[0:1], -v[64:65]
	s_waitcnt lgkmcnt(0)
	v_mul_f64 v[64:65], v[128:129], v[66:67]
	v_mul_f64 v[130:131], v[130:131], v[66:67]
	v_fma_f64 v[64:65], v[126:127], v[124:125], -v[64:65]
	v_mul_f64 v[126:127], v[126:127], v[66:67]
	v_fmac_f64_e32 v[130:131], v[132:133], v[124:125]
	v_fmac_f64_e32 v[126:127], v[128:129], v[124:125]
	v_add_f64 v[2:3], v[2:3], -v[130:131]
	s_waitcnt vmcnt(0)
	v_add_f64 v[92:93], v[92:93], -v[64:65]
	v_add_f64 v[94:95], v[94:95], -v[126:127]
	v_mov_b64_e32 v[64:65], v[124:125]
.LBB47_64:
	s_or_b64 exec, exec, s[2:3]
	v_cmp_eq_u32_e32 vcc, 7, v242
	s_waitcnt lgkmcnt(0)
	s_barrier
	s_and_saveexec_b64 s[4:5], vcc
	s_cbranch_execz .LBB47_71
; %bb.65:
	s_waitcnt vmcnt(16)
	ds_write2_b64 v243, v[60:61], v[62:63] offset1:1
	s_waitcnt vmcnt(15)
	ds_write2_b64 v244, v[56:57], v[58:59] offset0:16 offset1:17
	s_waitcnt vmcnt(14)
	ds_write2_b64 v244, v[52:53], v[54:55] offset0:18 offset1:19
	;; [unrolled: 2-line block ×16, first 2 shown]
	ds_read2_b64 v[124:127], v243 offset1:1
	s_waitcnt lgkmcnt(0)
	v_cmp_neq_f64_e32 vcc, 0, v[124:125]
	v_cmp_neq_f64_e64 s[2:3], 0, v[126:127]
	s_or_b64 s[2:3], vcc, s[2:3]
	s_and_b64 exec, exec, s[2:3]
	s_cbranch_execz .LBB47_71
; %bb.66:
	v_cmp_ngt_f64_e64 s[2:3], |v[124:125]|, |v[126:127]|
                                        ; implicit-def: $vgpr128_vgpr129
	s_and_saveexec_b64 s[10:11], s[2:3]
	s_xor_b64 s[2:3], exec, s[10:11]
                                        ; implicit-def: $vgpr130_vgpr131
	s_cbranch_execz .LBB47_68
; %bb.67:
	v_div_scale_f64 v[128:129], s[10:11], v[126:127], v[126:127], v[124:125]
	v_rcp_f64_e32 v[130:131], v[128:129]
	v_div_scale_f64 v[132:133], vcc, v[124:125], v[126:127], v[124:125]
	v_fma_f64 v[134:135], -v[128:129], v[130:131], 1.0
	v_fmac_f64_e32 v[130:131], v[130:131], v[134:135]
	v_fma_f64 v[134:135], -v[128:129], v[130:131], 1.0
	v_fmac_f64_e32 v[130:131], v[130:131], v[134:135]
	v_mul_f64 v[134:135], v[132:133], v[130:131]
	v_fma_f64 v[128:129], -v[128:129], v[134:135], v[132:133]
	v_div_fmas_f64 v[128:129], v[128:129], v[130:131], v[134:135]
	v_div_fixup_f64 v[128:129], v[128:129], v[126:127], v[124:125]
	v_fmac_f64_e32 v[126:127], v[124:125], v[128:129]
	v_div_scale_f64 v[124:125], s[10:11], v[126:127], v[126:127], 1.0
	v_rcp_f64_e32 v[130:131], v[124:125]
	s_nop 0
	v_fma_f64 v[132:133], -v[124:125], v[130:131], 1.0
	v_fmac_f64_e32 v[130:131], v[130:131], v[132:133]
	v_fma_f64 v[132:133], -v[124:125], v[130:131], 1.0
	v_fmac_f64_e32 v[130:131], v[130:131], v[132:133]
	v_div_scale_f64 v[132:133], vcc, 1.0, v[126:127], 1.0
	v_mul_f64 v[134:135], v[132:133], v[130:131]
	v_fma_f64 v[124:125], -v[124:125], v[134:135], v[132:133]
	s_nop 1
	v_div_fmas_f64 v[124:125], v[124:125], v[130:131], v[134:135]
	v_div_fixup_f64 v[130:131], v[124:125], v[126:127], 1.0
	v_mul_f64 v[128:129], v[128:129], v[130:131]
	v_xor_b32_e32 v131, 0x80000000, v131
                                        ; implicit-def: $vgpr124_vgpr125
.LBB47_68:
	s_andn2_saveexec_b64 s[2:3], s[2:3]
	s_cbranch_execz .LBB47_70
; %bb.69:
	v_div_scale_f64 v[128:129], s[10:11], v[124:125], v[124:125], v[126:127]
	v_rcp_f64_e32 v[130:131], v[128:129]
	v_div_scale_f64 v[132:133], vcc, v[126:127], v[124:125], v[126:127]
	v_fma_f64 v[134:135], -v[128:129], v[130:131], 1.0
	v_fmac_f64_e32 v[130:131], v[130:131], v[134:135]
	v_fma_f64 v[134:135], -v[128:129], v[130:131], 1.0
	v_fmac_f64_e32 v[130:131], v[130:131], v[134:135]
	v_mul_f64 v[134:135], v[132:133], v[130:131]
	v_fma_f64 v[128:129], -v[128:129], v[134:135], v[132:133]
	v_div_fmas_f64 v[128:129], v[128:129], v[130:131], v[134:135]
	v_div_fixup_f64 v[130:131], v[128:129], v[124:125], v[126:127]
	v_fmac_f64_e32 v[124:125], v[126:127], v[130:131]
	v_div_scale_f64 v[126:127], s[10:11], v[124:125], v[124:125], 1.0
	v_rcp_f64_e32 v[128:129], v[126:127]
	s_nop 0
	v_fma_f64 v[132:133], -v[126:127], v[128:129], 1.0
	v_fmac_f64_e32 v[128:129], v[128:129], v[132:133]
	v_fma_f64 v[132:133], -v[126:127], v[128:129], 1.0
	v_fmac_f64_e32 v[128:129], v[128:129], v[132:133]
	v_div_scale_f64 v[132:133], vcc, 1.0, v[124:125], 1.0
	v_mul_f64 v[134:135], v[132:133], v[128:129]
	v_fma_f64 v[126:127], -v[126:127], v[134:135], v[132:133]
	s_nop 1
	v_div_fmas_f64 v[126:127], v[126:127], v[128:129], v[134:135]
	v_div_fixup_f64 v[128:129], v[126:127], v[124:125], 1.0
	v_mul_f64 v[130:131], v[130:131], -v[128:129]
.LBB47_70:
	s_or_b64 exec, exec, s[2:3]
	ds_write2_b64 v243, v[128:129], v[130:131] offset1:1
.LBB47_71:
	s_or_b64 exec, exec, s[4:5]
	s_waitcnt lgkmcnt(0)
	s_barrier
	ds_read2_b64 v[124:127], v243 offset1:1
	v_cmp_lt_u32_e32 vcc, 7, v242
	s_and_saveexec_b64 s[2:3], vcc
	s_cbranch_execz .LBB47_73
; %bb.72:
	ds_read2_b64 v[130:133], v244 offset0:16 offset1:17
	ds_read2_b64 v[134:137], v244 offset0:18 offset1:19
	s_waitcnt vmcnt(16) lgkmcnt(2)
	v_mul_f64 v[128:129], v[124:125], v[62:63]
	v_fmac_f64_e32 v[128:129], v[126:127], v[60:61]
	v_mul_f64 v[62:63], v[126:127], v[62:63]
	v_fma_f64 v[60:61], v[124:125], v[60:61], -v[62:63]
	s_waitcnt lgkmcnt(1)
	v_mul_f64 v[62:63], v[132:133], v[128:129]
	v_fma_f64 v[62:63], v[130:131], v[60:61], -v[62:63]
	v_mul_f64 v[130:131], v[130:131], v[128:129]
	v_fmac_f64_e32 v[130:131], v[132:133], v[60:61]
	s_waitcnt vmcnt(15)
	v_add_f64 v[56:57], v[56:57], -v[62:63]
	v_add_f64 v[58:59], v[58:59], -v[130:131]
	s_waitcnt lgkmcnt(0)
	v_mul_f64 v[62:63], v[136:137], v[128:129]
	ds_read2_b64 v[130:133], v244 offset0:20 offset1:21
	v_fma_f64 v[62:63], v[134:135], v[60:61], -v[62:63]
	v_mul_f64 v[134:135], v[134:135], v[128:129]
	v_fmac_f64_e32 v[134:135], v[136:137], v[60:61]
	s_waitcnt vmcnt(14)
	v_add_f64 v[54:55], v[54:55], -v[134:135]
	ds_read2_b64 v[134:137], v244 offset0:22 offset1:23
	v_add_f64 v[52:53], v[52:53], -v[62:63]
	s_waitcnt lgkmcnt(1)
	v_mul_f64 v[62:63], v[132:133], v[128:129]
	v_fma_f64 v[62:63], v[130:131], v[60:61], -v[62:63]
	v_mul_f64 v[130:131], v[130:131], v[128:129]
	v_fmac_f64_e32 v[130:131], v[132:133], v[60:61]
	s_waitcnt vmcnt(13)
	v_add_f64 v[48:49], v[48:49], -v[62:63]
	v_add_f64 v[50:51], v[50:51], -v[130:131]
	s_waitcnt lgkmcnt(0)
	v_mul_f64 v[62:63], v[136:137], v[128:129]
	ds_read2_b64 v[130:133], v244 offset0:24 offset1:25
	v_fma_f64 v[62:63], v[134:135], v[60:61], -v[62:63]
	v_mul_f64 v[134:135], v[134:135], v[128:129]
	v_fmac_f64_e32 v[134:135], v[136:137], v[60:61]
	s_waitcnt vmcnt(12)
	v_add_f64 v[46:47], v[46:47], -v[134:135]
	ds_read2_b64 v[134:137], v244 offset0:26 offset1:27
	v_add_f64 v[44:45], v[44:45], -v[62:63]
	;; [unrolled: 18-line block ×7, first 2 shown]
	s_waitcnt lgkmcnt(1)
	v_mul_f64 v[62:63], v[132:133], v[128:129]
	v_fma_f64 v[62:63], v[130:131], v[60:61], -v[62:63]
	v_mul_f64 v[130:131], v[130:131], v[128:129]
	v_fmac_f64_e32 v[130:131], v[132:133], v[60:61]
	s_waitcnt vmcnt(1)
	v_add_f64 v[0:1], v[0:1], -v[62:63]
	v_add_f64 v[2:3], v[2:3], -v[130:131]
	s_waitcnt lgkmcnt(0)
	v_mul_f64 v[62:63], v[136:137], v[128:129]
	v_mul_f64 v[130:131], v[134:135], v[128:129]
	v_fma_f64 v[62:63], v[134:135], v[60:61], -v[62:63]
	v_fmac_f64_e32 v[130:131], v[136:137], v[60:61]
	s_waitcnt vmcnt(0)
	v_add_f64 v[92:93], v[92:93], -v[62:63]
	v_add_f64 v[94:95], v[94:95], -v[130:131]
	v_mov_b64_e32 v[62:63], v[128:129]
.LBB47_73:
	s_or_b64 exec, exec, s[2:3]
	v_cmp_eq_u32_e32 vcc, 8, v242
	s_waitcnt lgkmcnt(0)
	s_barrier
	s_and_saveexec_b64 s[4:5], vcc
	s_cbranch_execz .LBB47_80
; %bb.74:
	s_waitcnt vmcnt(15)
	ds_write2_b64 v243, v[56:57], v[58:59] offset1:1
	s_waitcnt vmcnt(14)
	ds_write2_b64 v244, v[52:53], v[54:55] offset0:18 offset1:19
	s_waitcnt vmcnt(13)
	ds_write2_b64 v244, v[48:49], v[50:51] offset0:20 offset1:21
	;; [unrolled: 2-line block ×15, first 2 shown]
	ds_read2_b64 v[128:131], v243 offset1:1
	s_waitcnt lgkmcnt(0)
	v_cmp_neq_f64_e32 vcc, 0, v[128:129]
	v_cmp_neq_f64_e64 s[2:3], 0, v[130:131]
	s_or_b64 s[2:3], vcc, s[2:3]
	s_and_b64 exec, exec, s[2:3]
	s_cbranch_execz .LBB47_80
; %bb.75:
	v_cmp_ngt_f64_e64 s[2:3], |v[128:129]|, |v[130:131]|
                                        ; implicit-def: $vgpr132_vgpr133
	s_and_saveexec_b64 s[10:11], s[2:3]
	s_xor_b64 s[2:3], exec, s[10:11]
                                        ; implicit-def: $vgpr134_vgpr135
	s_cbranch_execz .LBB47_77
; %bb.76:
	v_div_scale_f64 v[132:133], s[10:11], v[130:131], v[130:131], v[128:129]
	v_rcp_f64_e32 v[134:135], v[132:133]
	v_div_scale_f64 v[136:137], vcc, v[128:129], v[130:131], v[128:129]
	v_fma_f64 v[138:139], -v[132:133], v[134:135], 1.0
	v_fmac_f64_e32 v[134:135], v[134:135], v[138:139]
	v_fma_f64 v[138:139], -v[132:133], v[134:135], 1.0
	v_fmac_f64_e32 v[134:135], v[134:135], v[138:139]
	v_mul_f64 v[138:139], v[136:137], v[134:135]
	v_fma_f64 v[132:133], -v[132:133], v[138:139], v[136:137]
	v_div_fmas_f64 v[132:133], v[132:133], v[134:135], v[138:139]
	v_div_fixup_f64 v[132:133], v[132:133], v[130:131], v[128:129]
	v_fmac_f64_e32 v[130:131], v[128:129], v[132:133]
	v_div_scale_f64 v[128:129], s[10:11], v[130:131], v[130:131], 1.0
	v_rcp_f64_e32 v[134:135], v[128:129]
	s_nop 0
	v_fma_f64 v[136:137], -v[128:129], v[134:135], 1.0
	v_fmac_f64_e32 v[134:135], v[134:135], v[136:137]
	v_fma_f64 v[136:137], -v[128:129], v[134:135], 1.0
	v_fmac_f64_e32 v[134:135], v[134:135], v[136:137]
	v_div_scale_f64 v[136:137], vcc, 1.0, v[130:131], 1.0
	v_mul_f64 v[138:139], v[136:137], v[134:135]
	v_fma_f64 v[128:129], -v[128:129], v[138:139], v[136:137]
	s_nop 1
	v_div_fmas_f64 v[128:129], v[128:129], v[134:135], v[138:139]
	v_div_fixup_f64 v[134:135], v[128:129], v[130:131], 1.0
	v_mul_f64 v[132:133], v[132:133], v[134:135]
	v_xor_b32_e32 v135, 0x80000000, v135
                                        ; implicit-def: $vgpr128_vgpr129
.LBB47_77:
	s_andn2_saveexec_b64 s[2:3], s[2:3]
	s_cbranch_execz .LBB47_79
; %bb.78:
	v_div_scale_f64 v[132:133], s[10:11], v[128:129], v[128:129], v[130:131]
	v_rcp_f64_e32 v[134:135], v[132:133]
	v_div_scale_f64 v[136:137], vcc, v[130:131], v[128:129], v[130:131]
	v_fma_f64 v[138:139], -v[132:133], v[134:135], 1.0
	v_fmac_f64_e32 v[134:135], v[134:135], v[138:139]
	v_fma_f64 v[138:139], -v[132:133], v[134:135], 1.0
	v_fmac_f64_e32 v[134:135], v[134:135], v[138:139]
	v_mul_f64 v[138:139], v[136:137], v[134:135]
	v_fma_f64 v[132:133], -v[132:133], v[138:139], v[136:137]
	v_div_fmas_f64 v[132:133], v[132:133], v[134:135], v[138:139]
	v_div_fixup_f64 v[134:135], v[132:133], v[128:129], v[130:131]
	v_fmac_f64_e32 v[128:129], v[130:131], v[134:135]
	v_div_scale_f64 v[130:131], s[10:11], v[128:129], v[128:129], 1.0
	v_rcp_f64_e32 v[132:133], v[130:131]
	s_nop 0
	v_fma_f64 v[136:137], -v[130:131], v[132:133], 1.0
	v_fmac_f64_e32 v[132:133], v[132:133], v[136:137]
	v_fma_f64 v[136:137], -v[130:131], v[132:133], 1.0
	v_fmac_f64_e32 v[132:133], v[132:133], v[136:137]
	v_div_scale_f64 v[136:137], vcc, 1.0, v[128:129], 1.0
	v_mul_f64 v[138:139], v[136:137], v[132:133]
	v_fma_f64 v[130:131], -v[130:131], v[138:139], v[136:137]
	s_nop 1
	v_div_fmas_f64 v[130:131], v[130:131], v[132:133], v[138:139]
	v_div_fixup_f64 v[132:133], v[130:131], v[128:129], 1.0
	v_mul_f64 v[134:135], v[134:135], -v[132:133]
.LBB47_79:
	s_or_b64 exec, exec, s[2:3]
	ds_write2_b64 v243, v[132:133], v[134:135] offset1:1
.LBB47_80:
	s_or_b64 exec, exec, s[4:5]
	s_waitcnt lgkmcnt(0)
	s_barrier
	ds_read2_b64 v[128:131], v243 offset1:1
	v_cmp_lt_u32_e32 vcc, 8, v242
	s_and_saveexec_b64 s[2:3], vcc
	s_cbranch_execz .LBB47_82
; %bb.81:
	ds_read2_b64 v[134:137], v244 offset0:18 offset1:19
	ds_read2_b64 v[138:141], v244 offset0:20 offset1:21
	s_waitcnt vmcnt(15) lgkmcnt(2)
	v_mul_f64 v[132:133], v[128:129], v[58:59]
	v_fmac_f64_e32 v[132:133], v[130:131], v[56:57]
	v_mul_f64 v[58:59], v[130:131], v[58:59]
	v_fma_f64 v[56:57], v[128:129], v[56:57], -v[58:59]
	s_waitcnt lgkmcnt(1)
	v_mul_f64 v[58:59], v[136:137], v[132:133]
	v_fma_f64 v[58:59], v[134:135], v[56:57], -v[58:59]
	v_mul_f64 v[134:135], v[134:135], v[132:133]
	v_fmac_f64_e32 v[134:135], v[136:137], v[56:57]
	s_waitcnt vmcnt(14)
	v_add_f64 v[54:55], v[54:55], -v[134:135]
	ds_read2_b64 v[134:137], v244 offset0:22 offset1:23
	v_add_f64 v[52:53], v[52:53], -v[58:59]
	s_waitcnt lgkmcnt(1)
	v_mul_f64 v[58:59], v[140:141], v[132:133]
	v_fma_f64 v[58:59], v[138:139], v[56:57], -v[58:59]
	v_mul_f64 v[138:139], v[138:139], v[132:133]
	v_fmac_f64_e32 v[138:139], v[140:141], v[56:57]
	s_waitcnt vmcnt(13)
	v_add_f64 v[48:49], v[48:49], -v[58:59]
	v_add_f64 v[50:51], v[50:51], -v[138:139]
	ds_read2_b64 v[138:141], v244 offset0:24 offset1:25
	s_waitcnt lgkmcnt(1)
	v_mul_f64 v[58:59], v[136:137], v[132:133]
	v_fma_f64 v[58:59], v[134:135], v[56:57], -v[58:59]
	v_mul_f64 v[134:135], v[134:135], v[132:133]
	v_fmac_f64_e32 v[134:135], v[136:137], v[56:57]
	s_waitcnt vmcnt(12)
	v_add_f64 v[46:47], v[46:47], -v[134:135]
	ds_read2_b64 v[134:137], v244 offset0:26 offset1:27
	v_add_f64 v[44:45], v[44:45], -v[58:59]
	s_waitcnt lgkmcnt(1)
	v_mul_f64 v[58:59], v[140:141], v[132:133]
	v_fma_f64 v[58:59], v[138:139], v[56:57], -v[58:59]
	v_mul_f64 v[138:139], v[138:139], v[132:133]
	v_fmac_f64_e32 v[138:139], v[140:141], v[56:57]
	s_waitcnt vmcnt(11)
	v_add_f64 v[40:41], v[40:41], -v[58:59]
	v_add_f64 v[42:43], v[42:43], -v[138:139]
	ds_read2_b64 v[138:141], v244 offset0:28 offset1:29
	s_waitcnt lgkmcnt(1)
	v_mul_f64 v[58:59], v[136:137], v[132:133]
	v_fma_f64 v[58:59], v[134:135], v[56:57], -v[58:59]
	v_mul_f64 v[134:135], v[134:135], v[132:133]
	v_fmac_f64_e32 v[134:135], v[136:137], v[56:57]
	s_waitcnt vmcnt(10)
	v_add_f64 v[38:39], v[38:39], -v[134:135]
	ds_read2_b64 v[134:137], v244 offset0:30 offset1:31
	v_add_f64 v[36:37], v[36:37], -v[58:59]
	s_waitcnt lgkmcnt(1)
	v_mul_f64 v[58:59], v[140:141], v[132:133]
	v_fma_f64 v[58:59], v[138:139], v[56:57], -v[58:59]
	v_mul_f64 v[138:139], v[138:139], v[132:133]
	v_fmac_f64_e32 v[138:139], v[140:141], v[56:57]
	s_waitcnt vmcnt(9)
	v_add_f64 v[32:33], v[32:33], -v[58:59]
	v_add_f64 v[34:35], v[34:35], -v[138:139]
	ds_read2_b64 v[138:141], v244 offset0:32 offset1:33
	s_waitcnt lgkmcnt(1)
	v_mul_f64 v[58:59], v[136:137], v[132:133]
	v_fma_f64 v[58:59], v[134:135], v[56:57], -v[58:59]
	v_mul_f64 v[134:135], v[134:135], v[132:133]
	v_fmac_f64_e32 v[134:135], v[136:137], v[56:57]
	s_waitcnt vmcnt(8)
	v_add_f64 v[30:31], v[30:31], -v[134:135]
	ds_read2_b64 v[134:137], v244 offset0:34 offset1:35
	v_add_f64 v[28:29], v[28:29], -v[58:59]
	s_waitcnt lgkmcnt(1)
	v_mul_f64 v[58:59], v[140:141], v[132:133]
	v_fma_f64 v[58:59], v[138:139], v[56:57], -v[58:59]
	v_mul_f64 v[138:139], v[138:139], v[132:133]
	v_fmac_f64_e32 v[138:139], v[140:141], v[56:57]
	s_waitcnt vmcnt(7)
	v_add_f64 v[24:25], v[24:25], -v[58:59]
	v_add_f64 v[26:27], v[26:27], -v[138:139]
	ds_read2_b64 v[138:141], v244 offset0:36 offset1:37
	s_waitcnt lgkmcnt(1)
	v_mul_f64 v[58:59], v[136:137], v[132:133]
	v_fma_f64 v[58:59], v[134:135], v[56:57], -v[58:59]
	v_mul_f64 v[134:135], v[134:135], v[132:133]
	v_fmac_f64_e32 v[134:135], v[136:137], v[56:57]
	s_waitcnt vmcnt(6)
	v_add_f64 v[22:23], v[22:23], -v[134:135]
	ds_read2_b64 v[134:137], v244 offset0:38 offset1:39
	v_add_f64 v[20:21], v[20:21], -v[58:59]
	s_waitcnt lgkmcnt(1)
	v_mul_f64 v[58:59], v[140:141], v[132:133]
	v_fma_f64 v[58:59], v[138:139], v[56:57], -v[58:59]
	v_mul_f64 v[138:139], v[138:139], v[132:133]
	v_fmac_f64_e32 v[138:139], v[140:141], v[56:57]
	s_waitcnt vmcnt(5)
	v_add_f64 v[16:17], v[16:17], -v[58:59]
	v_add_f64 v[18:19], v[18:19], -v[138:139]
	ds_read2_b64 v[138:141], v244 offset0:40 offset1:41
	s_waitcnt lgkmcnt(1)
	v_mul_f64 v[58:59], v[136:137], v[132:133]
	v_fma_f64 v[58:59], v[134:135], v[56:57], -v[58:59]
	v_mul_f64 v[134:135], v[134:135], v[132:133]
	v_fmac_f64_e32 v[134:135], v[136:137], v[56:57]
	s_waitcnt vmcnt(4)
	v_add_f64 v[14:15], v[14:15], -v[134:135]
	ds_read2_b64 v[134:137], v244 offset0:42 offset1:43
	v_add_f64 v[12:13], v[12:13], -v[58:59]
	s_waitcnt lgkmcnt(1)
	v_mul_f64 v[58:59], v[140:141], v[132:133]
	v_fma_f64 v[58:59], v[138:139], v[56:57], -v[58:59]
	v_mul_f64 v[138:139], v[138:139], v[132:133]
	v_fmac_f64_e32 v[138:139], v[140:141], v[56:57]
	s_waitcnt vmcnt(3)
	v_add_f64 v[8:9], v[8:9], -v[58:59]
	v_add_f64 v[10:11], v[10:11], -v[138:139]
	ds_read2_b64 v[138:141], v244 offset0:44 offset1:45
	s_waitcnt lgkmcnt(1)
	v_mul_f64 v[58:59], v[136:137], v[132:133]
	v_fma_f64 v[58:59], v[134:135], v[56:57], -v[58:59]
	v_mul_f64 v[134:135], v[134:135], v[132:133]
	v_fmac_f64_e32 v[134:135], v[136:137], v[56:57]
	s_waitcnt vmcnt(2)
	v_add_f64 v[6:7], v[6:7], -v[134:135]
	ds_read2_b64 v[134:137], v244 offset0:46 offset1:47
	v_add_f64 v[4:5], v[4:5], -v[58:59]
	s_waitcnt lgkmcnt(1)
	v_mul_f64 v[58:59], v[140:141], v[132:133]
	v_fma_f64 v[58:59], v[138:139], v[56:57], -v[58:59]
	s_waitcnt vmcnt(1)
	v_add_f64 v[0:1], v[0:1], -v[58:59]
	s_waitcnt lgkmcnt(0)
	v_mul_f64 v[58:59], v[136:137], v[132:133]
	v_mul_f64 v[138:139], v[138:139], v[132:133]
	v_fma_f64 v[58:59], v[134:135], v[56:57], -v[58:59]
	v_mul_f64 v[134:135], v[134:135], v[132:133]
	v_fmac_f64_e32 v[138:139], v[140:141], v[56:57]
	v_fmac_f64_e32 v[134:135], v[136:137], v[56:57]
	v_add_f64 v[2:3], v[2:3], -v[138:139]
	s_waitcnt vmcnt(0)
	v_add_f64 v[92:93], v[92:93], -v[58:59]
	v_add_f64 v[94:95], v[94:95], -v[134:135]
	v_mov_b64_e32 v[58:59], v[132:133]
.LBB47_82:
	s_or_b64 exec, exec, s[2:3]
	v_cmp_eq_u32_e32 vcc, 9, v242
	s_waitcnt lgkmcnt(0)
	s_barrier
	s_and_saveexec_b64 s[4:5], vcc
	s_cbranch_execz .LBB47_89
; %bb.83:
	s_waitcnt vmcnt(14)
	ds_write2_b64 v243, v[52:53], v[54:55] offset1:1
	s_waitcnt vmcnt(13)
	ds_write2_b64 v244, v[48:49], v[50:51] offset0:20 offset1:21
	s_waitcnt vmcnt(12)
	ds_write2_b64 v244, v[44:45], v[46:47] offset0:22 offset1:23
	;; [unrolled: 2-line block ×14, first 2 shown]
	ds_read2_b64 v[132:135], v243 offset1:1
	s_waitcnt lgkmcnt(0)
	v_cmp_neq_f64_e32 vcc, 0, v[132:133]
	v_cmp_neq_f64_e64 s[2:3], 0, v[134:135]
	s_or_b64 s[2:3], vcc, s[2:3]
	s_and_b64 exec, exec, s[2:3]
	s_cbranch_execz .LBB47_89
; %bb.84:
	v_cmp_ngt_f64_e64 s[2:3], |v[132:133]|, |v[134:135]|
                                        ; implicit-def: $vgpr136_vgpr137
	s_and_saveexec_b64 s[10:11], s[2:3]
	s_xor_b64 s[2:3], exec, s[10:11]
                                        ; implicit-def: $vgpr138_vgpr139
	s_cbranch_execz .LBB47_86
; %bb.85:
	v_div_scale_f64 v[136:137], s[10:11], v[134:135], v[134:135], v[132:133]
	v_rcp_f64_e32 v[138:139], v[136:137]
	v_div_scale_f64 v[140:141], vcc, v[132:133], v[134:135], v[132:133]
	v_fma_f64 v[142:143], -v[136:137], v[138:139], 1.0
	v_fmac_f64_e32 v[138:139], v[138:139], v[142:143]
	v_fma_f64 v[142:143], -v[136:137], v[138:139], 1.0
	v_fmac_f64_e32 v[138:139], v[138:139], v[142:143]
	v_mul_f64 v[142:143], v[140:141], v[138:139]
	v_fma_f64 v[136:137], -v[136:137], v[142:143], v[140:141]
	v_div_fmas_f64 v[136:137], v[136:137], v[138:139], v[142:143]
	v_div_fixup_f64 v[136:137], v[136:137], v[134:135], v[132:133]
	v_fmac_f64_e32 v[134:135], v[132:133], v[136:137]
	v_div_scale_f64 v[132:133], s[10:11], v[134:135], v[134:135], 1.0
	v_rcp_f64_e32 v[138:139], v[132:133]
	s_nop 0
	v_fma_f64 v[140:141], -v[132:133], v[138:139], 1.0
	v_fmac_f64_e32 v[138:139], v[138:139], v[140:141]
	v_fma_f64 v[140:141], -v[132:133], v[138:139], 1.0
	v_fmac_f64_e32 v[138:139], v[138:139], v[140:141]
	v_div_scale_f64 v[140:141], vcc, 1.0, v[134:135], 1.0
	v_mul_f64 v[142:143], v[140:141], v[138:139]
	v_fma_f64 v[132:133], -v[132:133], v[142:143], v[140:141]
	s_nop 1
	v_div_fmas_f64 v[132:133], v[132:133], v[138:139], v[142:143]
	v_div_fixup_f64 v[138:139], v[132:133], v[134:135], 1.0
	v_mul_f64 v[136:137], v[136:137], v[138:139]
	v_xor_b32_e32 v139, 0x80000000, v139
                                        ; implicit-def: $vgpr132_vgpr133
.LBB47_86:
	s_andn2_saveexec_b64 s[2:3], s[2:3]
	s_cbranch_execz .LBB47_88
; %bb.87:
	v_div_scale_f64 v[136:137], s[10:11], v[132:133], v[132:133], v[134:135]
	v_rcp_f64_e32 v[138:139], v[136:137]
	v_div_scale_f64 v[140:141], vcc, v[134:135], v[132:133], v[134:135]
	v_fma_f64 v[142:143], -v[136:137], v[138:139], 1.0
	v_fmac_f64_e32 v[138:139], v[138:139], v[142:143]
	v_fma_f64 v[142:143], -v[136:137], v[138:139], 1.0
	v_fmac_f64_e32 v[138:139], v[138:139], v[142:143]
	v_mul_f64 v[142:143], v[140:141], v[138:139]
	v_fma_f64 v[136:137], -v[136:137], v[142:143], v[140:141]
	v_div_fmas_f64 v[136:137], v[136:137], v[138:139], v[142:143]
	v_div_fixup_f64 v[138:139], v[136:137], v[132:133], v[134:135]
	v_fmac_f64_e32 v[132:133], v[134:135], v[138:139]
	v_div_scale_f64 v[134:135], s[10:11], v[132:133], v[132:133], 1.0
	v_rcp_f64_e32 v[136:137], v[134:135]
	s_nop 0
	v_fma_f64 v[140:141], -v[134:135], v[136:137], 1.0
	v_fmac_f64_e32 v[136:137], v[136:137], v[140:141]
	v_fma_f64 v[140:141], -v[134:135], v[136:137], 1.0
	v_fmac_f64_e32 v[136:137], v[136:137], v[140:141]
	v_div_scale_f64 v[140:141], vcc, 1.0, v[132:133], 1.0
	v_mul_f64 v[142:143], v[140:141], v[136:137]
	v_fma_f64 v[134:135], -v[134:135], v[142:143], v[140:141]
	s_nop 1
	v_div_fmas_f64 v[134:135], v[134:135], v[136:137], v[142:143]
	v_div_fixup_f64 v[136:137], v[134:135], v[132:133], 1.0
	v_mul_f64 v[138:139], v[138:139], -v[136:137]
.LBB47_88:
	s_or_b64 exec, exec, s[2:3]
	ds_write2_b64 v243, v[136:137], v[138:139] offset1:1
.LBB47_89:
	s_or_b64 exec, exec, s[4:5]
	s_waitcnt lgkmcnt(0)
	s_barrier
	ds_read2_b64 v[132:135], v243 offset1:1
	v_cmp_lt_u32_e32 vcc, 9, v242
	s_and_saveexec_b64 s[2:3], vcc
	s_cbranch_execz .LBB47_91
; %bb.90:
	ds_read2_b64 v[138:141], v244 offset0:20 offset1:21
	ds_read2_b64 v[142:145], v244 offset0:22 offset1:23
	s_waitcnt vmcnt(14) lgkmcnt(2)
	v_mul_f64 v[136:137], v[132:133], v[54:55]
	v_fmac_f64_e32 v[136:137], v[134:135], v[52:53]
	v_mul_f64 v[54:55], v[134:135], v[54:55]
	v_fma_f64 v[52:53], v[132:133], v[52:53], -v[54:55]
	s_waitcnt lgkmcnt(1)
	v_mul_f64 v[54:55], v[140:141], v[136:137]
	v_fma_f64 v[54:55], v[138:139], v[52:53], -v[54:55]
	v_mul_f64 v[138:139], v[138:139], v[136:137]
	v_fmac_f64_e32 v[138:139], v[140:141], v[52:53]
	s_waitcnt vmcnt(13)
	v_add_f64 v[48:49], v[48:49], -v[54:55]
	v_add_f64 v[50:51], v[50:51], -v[138:139]
	s_waitcnt lgkmcnt(0)
	v_mul_f64 v[54:55], v[144:145], v[136:137]
	ds_read2_b64 v[138:141], v244 offset0:24 offset1:25
	v_fma_f64 v[54:55], v[142:143], v[52:53], -v[54:55]
	v_mul_f64 v[142:143], v[142:143], v[136:137]
	v_fmac_f64_e32 v[142:143], v[144:145], v[52:53]
	s_waitcnt vmcnt(12)
	v_add_f64 v[46:47], v[46:47], -v[142:143]
	ds_read2_b64 v[142:145], v244 offset0:26 offset1:27
	v_add_f64 v[44:45], v[44:45], -v[54:55]
	s_waitcnt lgkmcnt(1)
	v_mul_f64 v[54:55], v[140:141], v[136:137]
	v_fma_f64 v[54:55], v[138:139], v[52:53], -v[54:55]
	v_mul_f64 v[138:139], v[138:139], v[136:137]
	v_fmac_f64_e32 v[138:139], v[140:141], v[52:53]
	s_waitcnt vmcnt(11)
	v_add_f64 v[40:41], v[40:41], -v[54:55]
	v_add_f64 v[42:43], v[42:43], -v[138:139]
	s_waitcnt lgkmcnt(0)
	v_mul_f64 v[54:55], v[144:145], v[136:137]
	ds_read2_b64 v[138:141], v244 offset0:28 offset1:29
	v_fma_f64 v[54:55], v[142:143], v[52:53], -v[54:55]
	v_mul_f64 v[142:143], v[142:143], v[136:137]
	v_fmac_f64_e32 v[142:143], v[144:145], v[52:53]
	s_waitcnt vmcnt(10)
	v_add_f64 v[38:39], v[38:39], -v[142:143]
	ds_read2_b64 v[142:145], v244 offset0:30 offset1:31
	v_add_f64 v[36:37], v[36:37], -v[54:55]
	s_waitcnt lgkmcnt(1)
	v_mul_f64 v[54:55], v[140:141], v[136:137]
	v_fma_f64 v[54:55], v[138:139], v[52:53], -v[54:55]
	v_mul_f64 v[138:139], v[138:139], v[136:137]
	v_fmac_f64_e32 v[138:139], v[140:141], v[52:53]
	s_waitcnt vmcnt(9)
	v_add_f64 v[32:33], v[32:33], -v[54:55]
	v_add_f64 v[34:35], v[34:35], -v[138:139]
	s_waitcnt lgkmcnt(0)
	v_mul_f64 v[54:55], v[144:145], v[136:137]
	ds_read2_b64 v[138:141], v244 offset0:32 offset1:33
	v_fma_f64 v[54:55], v[142:143], v[52:53], -v[54:55]
	v_mul_f64 v[142:143], v[142:143], v[136:137]
	v_fmac_f64_e32 v[142:143], v[144:145], v[52:53]
	s_waitcnt vmcnt(8)
	v_add_f64 v[30:31], v[30:31], -v[142:143]
	ds_read2_b64 v[142:145], v244 offset0:34 offset1:35
	v_add_f64 v[28:29], v[28:29], -v[54:55]
	s_waitcnt lgkmcnt(1)
	v_mul_f64 v[54:55], v[140:141], v[136:137]
	v_fma_f64 v[54:55], v[138:139], v[52:53], -v[54:55]
	v_mul_f64 v[138:139], v[138:139], v[136:137]
	v_fmac_f64_e32 v[138:139], v[140:141], v[52:53]
	s_waitcnt vmcnt(7)
	v_add_f64 v[24:25], v[24:25], -v[54:55]
	v_add_f64 v[26:27], v[26:27], -v[138:139]
	s_waitcnt lgkmcnt(0)
	v_mul_f64 v[54:55], v[144:145], v[136:137]
	ds_read2_b64 v[138:141], v244 offset0:36 offset1:37
	v_fma_f64 v[54:55], v[142:143], v[52:53], -v[54:55]
	v_mul_f64 v[142:143], v[142:143], v[136:137]
	v_fmac_f64_e32 v[142:143], v[144:145], v[52:53]
	s_waitcnt vmcnt(6)
	v_add_f64 v[22:23], v[22:23], -v[142:143]
	ds_read2_b64 v[142:145], v244 offset0:38 offset1:39
	v_add_f64 v[20:21], v[20:21], -v[54:55]
	s_waitcnt lgkmcnt(1)
	v_mul_f64 v[54:55], v[140:141], v[136:137]
	v_fma_f64 v[54:55], v[138:139], v[52:53], -v[54:55]
	v_mul_f64 v[138:139], v[138:139], v[136:137]
	v_fmac_f64_e32 v[138:139], v[140:141], v[52:53]
	s_waitcnt vmcnt(5)
	v_add_f64 v[16:17], v[16:17], -v[54:55]
	v_add_f64 v[18:19], v[18:19], -v[138:139]
	s_waitcnt lgkmcnt(0)
	v_mul_f64 v[54:55], v[144:145], v[136:137]
	ds_read2_b64 v[138:141], v244 offset0:40 offset1:41
	v_fma_f64 v[54:55], v[142:143], v[52:53], -v[54:55]
	v_mul_f64 v[142:143], v[142:143], v[136:137]
	v_fmac_f64_e32 v[142:143], v[144:145], v[52:53]
	s_waitcnt vmcnt(4)
	v_add_f64 v[14:15], v[14:15], -v[142:143]
	ds_read2_b64 v[142:145], v244 offset0:42 offset1:43
	v_add_f64 v[12:13], v[12:13], -v[54:55]
	s_waitcnt lgkmcnt(1)
	v_mul_f64 v[54:55], v[140:141], v[136:137]
	v_fma_f64 v[54:55], v[138:139], v[52:53], -v[54:55]
	v_mul_f64 v[138:139], v[138:139], v[136:137]
	v_fmac_f64_e32 v[138:139], v[140:141], v[52:53]
	s_waitcnt vmcnt(3)
	v_add_f64 v[8:9], v[8:9], -v[54:55]
	v_add_f64 v[10:11], v[10:11], -v[138:139]
	s_waitcnt lgkmcnt(0)
	v_mul_f64 v[54:55], v[144:145], v[136:137]
	ds_read2_b64 v[138:141], v244 offset0:44 offset1:45
	v_fma_f64 v[54:55], v[142:143], v[52:53], -v[54:55]
	v_mul_f64 v[142:143], v[142:143], v[136:137]
	v_fmac_f64_e32 v[142:143], v[144:145], v[52:53]
	s_waitcnt vmcnt(2)
	v_add_f64 v[6:7], v[6:7], -v[142:143]
	ds_read2_b64 v[142:145], v244 offset0:46 offset1:47
	v_add_f64 v[4:5], v[4:5], -v[54:55]
	s_waitcnt lgkmcnt(1)
	v_mul_f64 v[54:55], v[140:141], v[136:137]
	v_fma_f64 v[54:55], v[138:139], v[52:53], -v[54:55]
	v_mul_f64 v[138:139], v[138:139], v[136:137]
	v_fmac_f64_e32 v[138:139], v[140:141], v[52:53]
	s_waitcnt vmcnt(1)
	v_add_f64 v[0:1], v[0:1], -v[54:55]
	v_add_f64 v[2:3], v[2:3], -v[138:139]
	s_waitcnt lgkmcnt(0)
	v_mul_f64 v[54:55], v[144:145], v[136:137]
	v_mul_f64 v[138:139], v[142:143], v[136:137]
	v_fma_f64 v[54:55], v[142:143], v[52:53], -v[54:55]
	v_fmac_f64_e32 v[138:139], v[144:145], v[52:53]
	s_waitcnt vmcnt(0)
	v_add_f64 v[92:93], v[92:93], -v[54:55]
	v_add_f64 v[94:95], v[94:95], -v[138:139]
	v_mov_b64_e32 v[54:55], v[136:137]
.LBB47_91:
	s_or_b64 exec, exec, s[2:3]
	v_cmp_eq_u32_e32 vcc, 10, v242
	s_waitcnt lgkmcnt(0)
	s_barrier
	s_and_saveexec_b64 s[4:5], vcc
	s_cbranch_execz .LBB47_98
; %bb.92:
	s_waitcnt vmcnt(13)
	ds_write2_b64 v243, v[48:49], v[50:51] offset1:1
	s_waitcnt vmcnt(12)
	ds_write2_b64 v244, v[44:45], v[46:47] offset0:22 offset1:23
	s_waitcnt vmcnt(11)
	ds_write2_b64 v244, v[40:41], v[42:43] offset0:24 offset1:25
	;; [unrolled: 2-line block ×13, first 2 shown]
	ds_read2_b64 v[136:139], v243 offset1:1
	s_waitcnt lgkmcnt(0)
	v_cmp_neq_f64_e32 vcc, 0, v[136:137]
	v_cmp_neq_f64_e64 s[2:3], 0, v[138:139]
	s_or_b64 s[2:3], vcc, s[2:3]
	s_and_b64 exec, exec, s[2:3]
	s_cbranch_execz .LBB47_98
; %bb.93:
	v_cmp_ngt_f64_e64 s[2:3], |v[136:137]|, |v[138:139]|
                                        ; implicit-def: $vgpr140_vgpr141
	s_and_saveexec_b64 s[10:11], s[2:3]
	s_xor_b64 s[2:3], exec, s[10:11]
                                        ; implicit-def: $vgpr142_vgpr143
	s_cbranch_execz .LBB47_95
; %bb.94:
	v_div_scale_f64 v[140:141], s[10:11], v[138:139], v[138:139], v[136:137]
	v_rcp_f64_e32 v[142:143], v[140:141]
	v_div_scale_f64 v[144:145], vcc, v[136:137], v[138:139], v[136:137]
	v_fma_f64 v[146:147], -v[140:141], v[142:143], 1.0
	v_fmac_f64_e32 v[142:143], v[142:143], v[146:147]
	v_fma_f64 v[146:147], -v[140:141], v[142:143], 1.0
	v_fmac_f64_e32 v[142:143], v[142:143], v[146:147]
	v_mul_f64 v[146:147], v[144:145], v[142:143]
	v_fma_f64 v[140:141], -v[140:141], v[146:147], v[144:145]
	v_div_fmas_f64 v[140:141], v[140:141], v[142:143], v[146:147]
	v_div_fixup_f64 v[140:141], v[140:141], v[138:139], v[136:137]
	v_fmac_f64_e32 v[138:139], v[136:137], v[140:141]
	v_div_scale_f64 v[136:137], s[10:11], v[138:139], v[138:139], 1.0
	v_rcp_f64_e32 v[142:143], v[136:137]
	s_nop 0
	v_fma_f64 v[144:145], -v[136:137], v[142:143], 1.0
	v_fmac_f64_e32 v[142:143], v[142:143], v[144:145]
	v_fma_f64 v[144:145], -v[136:137], v[142:143], 1.0
	v_fmac_f64_e32 v[142:143], v[142:143], v[144:145]
	v_div_scale_f64 v[144:145], vcc, 1.0, v[138:139], 1.0
	v_mul_f64 v[146:147], v[144:145], v[142:143]
	v_fma_f64 v[136:137], -v[136:137], v[146:147], v[144:145]
	s_nop 1
	v_div_fmas_f64 v[136:137], v[136:137], v[142:143], v[146:147]
	v_div_fixup_f64 v[142:143], v[136:137], v[138:139], 1.0
	v_mul_f64 v[140:141], v[140:141], v[142:143]
	v_xor_b32_e32 v143, 0x80000000, v143
                                        ; implicit-def: $vgpr136_vgpr137
.LBB47_95:
	s_andn2_saveexec_b64 s[2:3], s[2:3]
	s_cbranch_execz .LBB47_97
; %bb.96:
	v_div_scale_f64 v[140:141], s[10:11], v[136:137], v[136:137], v[138:139]
	v_rcp_f64_e32 v[142:143], v[140:141]
	v_div_scale_f64 v[144:145], vcc, v[138:139], v[136:137], v[138:139]
	v_fma_f64 v[146:147], -v[140:141], v[142:143], 1.0
	v_fmac_f64_e32 v[142:143], v[142:143], v[146:147]
	v_fma_f64 v[146:147], -v[140:141], v[142:143], 1.0
	v_fmac_f64_e32 v[142:143], v[142:143], v[146:147]
	v_mul_f64 v[146:147], v[144:145], v[142:143]
	v_fma_f64 v[140:141], -v[140:141], v[146:147], v[144:145]
	v_div_fmas_f64 v[140:141], v[140:141], v[142:143], v[146:147]
	v_div_fixup_f64 v[142:143], v[140:141], v[136:137], v[138:139]
	v_fmac_f64_e32 v[136:137], v[138:139], v[142:143]
	v_div_scale_f64 v[138:139], s[10:11], v[136:137], v[136:137], 1.0
	v_rcp_f64_e32 v[140:141], v[138:139]
	s_nop 0
	v_fma_f64 v[144:145], -v[138:139], v[140:141], 1.0
	v_fmac_f64_e32 v[140:141], v[140:141], v[144:145]
	v_fma_f64 v[144:145], -v[138:139], v[140:141], 1.0
	v_fmac_f64_e32 v[140:141], v[140:141], v[144:145]
	v_div_scale_f64 v[144:145], vcc, 1.0, v[136:137], 1.0
	v_mul_f64 v[146:147], v[144:145], v[140:141]
	v_fma_f64 v[138:139], -v[138:139], v[146:147], v[144:145]
	s_nop 1
	v_div_fmas_f64 v[138:139], v[138:139], v[140:141], v[146:147]
	v_div_fixup_f64 v[140:141], v[138:139], v[136:137], 1.0
	v_mul_f64 v[142:143], v[142:143], -v[140:141]
.LBB47_97:
	s_or_b64 exec, exec, s[2:3]
	ds_write2_b64 v243, v[140:141], v[142:143] offset1:1
.LBB47_98:
	s_or_b64 exec, exec, s[4:5]
	s_waitcnt lgkmcnt(0)
	s_barrier
	ds_read2_b64 v[136:139], v243 offset1:1
	v_cmp_lt_u32_e32 vcc, 10, v242
	s_and_saveexec_b64 s[2:3], vcc
	s_cbranch_execz .LBB47_100
; %bb.99:
	ds_read2_b64 v[140:143], v244 offset0:22 offset1:23
	ds_read2_b64 v[144:147], v244 offset0:24 offset1:25
	s_waitcnt vmcnt(13) lgkmcnt(2)
	v_mul_f64 v[148:149], v[136:137], v[50:51]
	v_fmac_f64_e32 v[148:149], v[138:139], v[48:49]
	v_mul_f64 v[50:51], v[138:139], v[50:51]
	v_fma_f64 v[48:49], v[136:137], v[48:49], -v[50:51]
	s_waitcnt lgkmcnt(1)
	v_mul_f64 v[50:51], v[142:143], v[148:149]
	v_fma_f64 v[50:51], v[140:141], v[48:49], -v[50:51]
	v_mul_f64 v[140:141], v[140:141], v[148:149]
	v_fmac_f64_e32 v[140:141], v[142:143], v[48:49]
	s_waitcnt vmcnt(12)
	v_add_f64 v[46:47], v[46:47], -v[140:141]
	ds_read2_b64 v[140:143], v244 offset0:26 offset1:27
	v_add_f64 v[44:45], v[44:45], -v[50:51]
	s_waitcnt lgkmcnt(1)
	v_mul_f64 v[50:51], v[146:147], v[148:149]
	v_fma_f64 v[50:51], v[144:145], v[48:49], -v[50:51]
	v_mul_f64 v[144:145], v[144:145], v[148:149]
	v_fmac_f64_e32 v[144:145], v[146:147], v[48:49]
	s_waitcnt vmcnt(11)
	v_add_f64 v[40:41], v[40:41], -v[50:51]
	v_add_f64 v[42:43], v[42:43], -v[144:145]
	ds_read2_b64 v[144:147], v244 offset0:28 offset1:29
	s_waitcnt lgkmcnt(1)
	v_mul_f64 v[50:51], v[142:143], v[148:149]
	v_fma_f64 v[50:51], v[140:141], v[48:49], -v[50:51]
	v_mul_f64 v[140:141], v[140:141], v[148:149]
	v_fmac_f64_e32 v[140:141], v[142:143], v[48:49]
	s_waitcnt vmcnt(10)
	v_add_f64 v[38:39], v[38:39], -v[140:141]
	ds_read2_b64 v[140:143], v244 offset0:30 offset1:31
	v_add_f64 v[36:37], v[36:37], -v[50:51]
	s_waitcnt lgkmcnt(1)
	v_mul_f64 v[50:51], v[146:147], v[148:149]
	v_fma_f64 v[50:51], v[144:145], v[48:49], -v[50:51]
	v_mul_f64 v[144:145], v[144:145], v[148:149]
	v_fmac_f64_e32 v[144:145], v[146:147], v[48:49]
	s_waitcnt vmcnt(9)
	v_add_f64 v[32:33], v[32:33], -v[50:51]
	v_add_f64 v[34:35], v[34:35], -v[144:145]
	ds_read2_b64 v[144:147], v244 offset0:32 offset1:33
	;; [unrolled: 18-line block ×5, first 2 shown]
	s_waitcnt lgkmcnt(1)
	v_mul_f64 v[50:51], v[142:143], v[148:149]
	v_fma_f64 v[50:51], v[140:141], v[48:49], -v[50:51]
	v_mul_f64 v[140:141], v[140:141], v[148:149]
	v_fmac_f64_e32 v[140:141], v[142:143], v[48:49]
	s_waitcnt vmcnt(2)
	v_add_f64 v[6:7], v[6:7], -v[140:141]
	ds_read2_b64 v[140:143], v244 offset0:46 offset1:47
	v_add_f64 v[4:5], v[4:5], -v[50:51]
	s_waitcnt lgkmcnt(1)
	v_mul_f64 v[50:51], v[146:147], v[148:149]
	v_fma_f64 v[50:51], v[144:145], v[48:49], -v[50:51]
	s_waitcnt vmcnt(1)
	v_add_f64 v[0:1], v[0:1], -v[50:51]
	s_waitcnt lgkmcnt(0)
	v_mul_f64 v[50:51], v[142:143], v[148:149]
	v_mul_f64 v[144:145], v[144:145], v[148:149]
	v_fma_f64 v[50:51], v[140:141], v[48:49], -v[50:51]
	v_mul_f64 v[140:141], v[140:141], v[148:149]
	v_fmac_f64_e32 v[144:145], v[146:147], v[48:49]
	v_fmac_f64_e32 v[140:141], v[142:143], v[48:49]
	v_add_f64 v[2:3], v[2:3], -v[144:145]
	s_waitcnt vmcnt(0)
	v_add_f64 v[92:93], v[92:93], -v[50:51]
	v_add_f64 v[94:95], v[94:95], -v[140:141]
	v_mov_b64_e32 v[50:51], v[148:149]
.LBB47_100:
	s_or_b64 exec, exec, s[2:3]
	v_cmp_eq_u32_e32 vcc, 11, v242
	s_waitcnt lgkmcnt(0)
	s_barrier
	s_and_saveexec_b64 s[4:5], vcc
	s_cbranch_execz .LBB47_107
; %bb.101:
	s_waitcnt vmcnt(12)
	ds_write2_b64 v243, v[44:45], v[46:47] offset1:1
	s_waitcnt vmcnt(11)
	ds_write2_b64 v244, v[40:41], v[42:43] offset0:24 offset1:25
	s_waitcnt vmcnt(10)
	ds_write2_b64 v244, v[36:37], v[38:39] offset0:26 offset1:27
	;; [unrolled: 2-line block ×12, first 2 shown]
	ds_read2_b64 v[140:143], v243 offset1:1
	s_waitcnt lgkmcnt(0)
	v_cmp_neq_f64_e32 vcc, 0, v[140:141]
	v_cmp_neq_f64_e64 s[2:3], 0, v[142:143]
	s_or_b64 s[2:3], vcc, s[2:3]
	s_and_b64 exec, exec, s[2:3]
	s_cbranch_execz .LBB47_107
; %bb.102:
	v_cmp_ngt_f64_e64 s[2:3], |v[140:141]|, |v[142:143]|
                                        ; implicit-def: $vgpr144_vgpr145
	s_and_saveexec_b64 s[10:11], s[2:3]
	s_xor_b64 s[2:3], exec, s[10:11]
                                        ; implicit-def: $vgpr146_vgpr147
	s_cbranch_execz .LBB47_104
; %bb.103:
	v_div_scale_f64 v[144:145], s[10:11], v[142:143], v[142:143], v[140:141]
	v_rcp_f64_e32 v[146:147], v[144:145]
	v_div_scale_f64 v[148:149], vcc, v[140:141], v[142:143], v[140:141]
	v_fma_f64 v[150:151], -v[144:145], v[146:147], 1.0
	v_fmac_f64_e32 v[146:147], v[146:147], v[150:151]
	v_fma_f64 v[150:151], -v[144:145], v[146:147], 1.0
	v_fmac_f64_e32 v[146:147], v[146:147], v[150:151]
	v_mul_f64 v[150:151], v[148:149], v[146:147]
	v_fma_f64 v[144:145], -v[144:145], v[150:151], v[148:149]
	v_div_fmas_f64 v[144:145], v[144:145], v[146:147], v[150:151]
	v_div_fixup_f64 v[144:145], v[144:145], v[142:143], v[140:141]
	v_fmac_f64_e32 v[142:143], v[140:141], v[144:145]
	v_div_scale_f64 v[140:141], s[10:11], v[142:143], v[142:143], 1.0
	v_rcp_f64_e32 v[146:147], v[140:141]
	s_nop 0
	v_fma_f64 v[148:149], -v[140:141], v[146:147], 1.0
	v_fmac_f64_e32 v[146:147], v[146:147], v[148:149]
	v_fma_f64 v[148:149], -v[140:141], v[146:147], 1.0
	v_fmac_f64_e32 v[146:147], v[146:147], v[148:149]
	v_div_scale_f64 v[148:149], vcc, 1.0, v[142:143], 1.0
	v_mul_f64 v[150:151], v[148:149], v[146:147]
	v_fma_f64 v[140:141], -v[140:141], v[150:151], v[148:149]
	s_nop 1
	v_div_fmas_f64 v[140:141], v[140:141], v[146:147], v[150:151]
	v_div_fixup_f64 v[146:147], v[140:141], v[142:143], 1.0
	v_mul_f64 v[144:145], v[144:145], v[146:147]
	v_xor_b32_e32 v147, 0x80000000, v147
                                        ; implicit-def: $vgpr140_vgpr141
.LBB47_104:
	s_andn2_saveexec_b64 s[2:3], s[2:3]
	s_cbranch_execz .LBB47_106
; %bb.105:
	v_div_scale_f64 v[144:145], s[10:11], v[140:141], v[140:141], v[142:143]
	v_rcp_f64_e32 v[146:147], v[144:145]
	v_div_scale_f64 v[148:149], vcc, v[142:143], v[140:141], v[142:143]
	v_fma_f64 v[150:151], -v[144:145], v[146:147], 1.0
	v_fmac_f64_e32 v[146:147], v[146:147], v[150:151]
	v_fma_f64 v[150:151], -v[144:145], v[146:147], 1.0
	v_fmac_f64_e32 v[146:147], v[146:147], v[150:151]
	v_mul_f64 v[150:151], v[148:149], v[146:147]
	v_fma_f64 v[144:145], -v[144:145], v[150:151], v[148:149]
	v_div_fmas_f64 v[144:145], v[144:145], v[146:147], v[150:151]
	v_div_fixup_f64 v[146:147], v[144:145], v[140:141], v[142:143]
	v_fmac_f64_e32 v[140:141], v[142:143], v[146:147]
	v_div_scale_f64 v[142:143], s[10:11], v[140:141], v[140:141], 1.0
	v_rcp_f64_e32 v[144:145], v[142:143]
	s_nop 0
	v_fma_f64 v[148:149], -v[142:143], v[144:145], 1.0
	v_fmac_f64_e32 v[144:145], v[144:145], v[148:149]
	v_fma_f64 v[148:149], -v[142:143], v[144:145], 1.0
	v_fmac_f64_e32 v[144:145], v[144:145], v[148:149]
	v_div_scale_f64 v[148:149], vcc, 1.0, v[140:141], 1.0
	v_mul_f64 v[150:151], v[148:149], v[144:145]
	v_fma_f64 v[142:143], -v[142:143], v[150:151], v[148:149]
	s_nop 1
	v_div_fmas_f64 v[142:143], v[142:143], v[144:145], v[150:151]
	v_div_fixup_f64 v[144:145], v[142:143], v[140:141], 1.0
	v_mul_f64 v[146:147], v[146:147], -v[144:145]
.LBB47_106:
	s_or_b64 exec, exec, s[2:3]
	ds_write2_b64 v243, v[144:145], v[146:147] offset1:1
.LBB47_107:
	s_or_b64 exec, exec, s[4:5]
	s_waitcnt lgkmcnt(0)
	s_barrier
	ds_read2_b64 v[140:143], v243 offset1:1
	v_cmp_lt_u32_e32 vcc, 11, v242
	s_and_saveexec_b64 s[2:3], vcc
	s_cbranch_execz .LBB47_109
; %bb.108:
	ds_read2_b64 v[144:147], v244 offset0:24 offset1:25
	ds_read2_b64 v[148:151], v244 offset0:26 offset1:27
	s_waitcnt vmcnt(12) lgkmcnt(2)
	v_mul_f64 v[152:153], v[140:141], v[46:47]
	v_fmac_f64_e32 v[152:153], v[142:143], v[44:45]
	v_mul_f64 v[46:47], v[142:143], v[46:47]
	v_fma_f64 v[44:45], v[140:141], v[44:45], -v[46:47]
	s_waitcnt lgkmcnt(1)
	v_mul_f64 v[46:47], v[146:147], v[152:153]
	v_fma_f64 v[46:47], v[144:145], v[44:45], -v[46:47]
	v_mul_f64 v[144:145], v[144:145], v[152:153]
	v_fmac_f64_e32 v[144:145], v[146:147], v[44:45]
	s_waitcnt vmcnt(11)
	v_add_f64 v[40:41], v[40:41], -v[46:47]
	v_add_f64 v[42:43], v[42:43], -v[144:145]
	s_waitcnt lgkmcnt(0)
	v_mul_f64 v[46:47], v[150:151], v[152:153]
	ds_read2_b64 v[144:147], v244 offset0:28 offset1:29
	v_fma_f64 v[46:47], v[148:149], v[44:45], -v[46:47]
	v_mul_f64 v[148:149], v[148:149], v[152:153]
	v_fmac_f64_e32 v[148:149], v[150:151], v[44:45]
	s_waitcnt vmcnt(10)
	v_add_f64 v[38:39], v[38:39], -v[148:149]
	ds_read2_b64 v[148:151], v244 offset0:30 offset1:31
	v_add_f64 v[36:37], v[36:37], -v[46:47]
	s_waitcnt lgkmcnt(1)
	v_mul_f64 v[46:47], v[146:147], v[152:153]
	v_fma_f64 v[46:47], v[144:145], v[44:45], -v[46:47]
	v_mul_f64 v[144:145], v[144:145], v[152:153]
	v_fmac_f64_e32 v[144:145], v[146:147], v[44:45]
	s_waitcnt vmcnt(9)
	v_add_f64 v[32:33], v[32:33], -v[46:47]
	v_add_f64 v[34:35], v[34:35], -v[144:145]
	s_waitcnt lgkmcnt(0)
	v_mul_f64 v[46:47], v[150:151], v[152:153]
	ds_read2_b64 v[144:147], v244 offset0:32 offset1:33
	v_fma_f64 v[46:47], v[148:149], v[44:45], -v[46:47]
	v_mul_f64 v[148:149], v[148:149], v[152:153]
	v_fmac_f64_e32 v[148:149], v[150:151], v[44:45]
	s_waitcnt vmcnt(8)
	v_add_f64 v[30:31], v[30:31], -v[148:149]
	ds_read2_b64 v[148:151], v244 offset0:34 offset1:35
	v_add_f64 v[28:29], v[28:29], -v[46:47]
	;; [unrolled: 18-line block ×5, first 2 shown]
	s_waitcnt lgkmcnt(1)
	v_mul_f64 v[46:47], v[146:147], v[152:153]
	v_fma_f64 v[46:47], v[144:145], v[44:45], -v[46:47]
	v_mul_f64 v[144:145], v[144:145], v[152:153]
	v_fmac_f64_e32 v[144:145], v[146:147], v[44:45]
	s_waitcnt vmcnt(1)
	v_add_f64 v[0:1], v[0:1], -v[46:47]
	v_add_f64 v[2:3], v[2:3], -v[144:145]
	s_waitcnt lgkmcnt(0)
	v_mul_f64 v[46:47], v[150:151], v[152:153]
	v_mul_f64 v[144:145], v[148:149], v[152:153]
	v_fma_f64 v[46:47], v[148:149], v[44:45], -v[46:47]
	v_fmac_f64_e32 v[144:145], v[150:151], v[44:45]
	s_waitcnt vmcnt(0)
	v_add_f64 v[92:93], v[92:93], -v[46:47]
	v_add_f64 v[94:95], v[94:95], -v[144:145]
	v_mov_b64_e32 v[46:47], v[152:153]
.LBB47_109:
	s_or_b64 exec, exec, s[2:3]
	v_cmp_eq_u32_e32 vcc, 12, v242
	s_waitcnt lgkmcnt(0)
	s_barrier
	s_and_saveexec_b64 s[4:5], vcc
	s_cbranch_execz .LBB47_116
; %bb.110:
	s_waitcnt vmcnt(11)
	ds_write2_b64 v243, v[40:41], v[42:43] offset1:1
	s_waitcnt vmcnt(10)
	ds_write2_b64 v244, v[36:37], v[38:39] offset0:26 offset1:27
	s_waitcnt vmcnt(9)
	ds_write2_b64 v244, v[32:33], v[34:35] offset0:28 offset1:29
	;; [unrolled: 2-line block ×11, first 2 shown]
	ds_read2_b64 v[144:147], v243 offset1:1
	s_waitcnt lgkmcnt(0)
	v_cmp_neq_f64_e32 vcc, 0, v[144:145]
	v_cmp_neq_f64_e64 s[2:3], 0, v[146:147]
	s_or_b64 s[2:3], vcc, s[2:3]
	s_and_b64 exec, exec, s[2:3]
	s_cbranch_execz .LBB47_116
; %bb.111:
	v_cmp_ngt_f64_e64 s[2:3], |v[144:145]|, |v[146:147]|
                                        ; implicit-def: $vgpr148_vgpr149
	s_and_saveexec_b64 s[10:11], s[2:3]
	s_xor_b64 s[2:3], exec, s[10:11]
                                        ; implicit-def: $vgpr150_vgpr151
	s_cbranch_execz .LBB47_113
; %bb.112:
	v_div_scale_f64 v[148:149], s[10:11], v[146:147], v[146:147], v[144:145]
	v_rcp_f64_e32 v[150:151], v[148:149]
	v_div_scale_f64 v[152:153], vcc, v[144:145], v[146:147], v[144:145]
	v_fma_f64 v[154:155], -v[148:149], v[150:151], 1.0
	v_fmac_f64_e32 v[150:151], v[150:151], v[154:155]
	v_fma_f64 v[154:155], -v[148:149], v[150:151], 1.0
	v_fmac_f64_e32 v[150:151], v[150:151], v[154:155]
	v_mul_f64 v[154:155], v[152:153], v[150:151]
	v_fma_f64 v[148:149], -v[148:149], v[154:155], v[152:153]
	v_div_fmas_f64 v[148:149], v[148:149], v[150:151], v[154:155]
	v_div_fixup_f64 v[148:149], v[148:149], v[146:147], v[144:145]
	v_fmac_f64_e32 v[146:147], v[144:145], v[148:149]
	v_div_scale_f64 v[144:145], s[10:11], v[146:147], v[146:147], 1.0
	v_rcp_f64_e32 v[150:151], v[144:145]
	s_nop 0
	v_fma_f64 v[152:153], -v[144:145], v[150:151], 1.0
	v_fmac_f64_e32 v[150:151], v[150:151], v[152:153]
	v_fma_f64 v[152:153], -v[144:145], v[150:151], 1.0
	v_fmac_f64_e32 v[150:151], v[150:151], v[152:153]
	v_div_scale_f64 v[152:153], vcc, 1.0, v[146:147], 1.0
	v_mul_f64 v[154:155], v[152:153], v[150:151]
	v_fma_f64 v[144:145], -v[144:145], v[154:155], v[152:153]
	s_nop 1
	v_div_fmas_f64 v[144:145], v[144:145], v[150:151], v[154:155]
	v_div_fixup_f64 v[150:151], v[144:145], v[146:147], 1.0
	v_mul_f64 v[148:149], v[148:149], v[150:151]
	v_xor_b32_e32 v151, 0x80000000, v151
                                        ; implicit-def: $vgpr144_vgpr145
.LBB47_113:
	s_andn2_saveexec_b64 s[2:3], s[2:3]
	s_cbranch_execz .LBB47_115
; %bb.114:
	v_div_scale_f64 v[148:149], s[10:11], v[144:145], v[144:145], v[146:147]
	v_rcp_f64_e32 v[150:151], v[148:149]
	v_div_scale_f64 v[152:153], vcc, v[146:147], v[144:145], v[146:147]
	v_fma_f64 v[154:155], -v[148:149], v[150:151], 1.0
	v_fmac_f64_e32 v[150:151], v[150:151], v[154:155]
	v_fma_f64 v[154:155], -v[148:149], v[150:151], 1.0
	v_fmac_f64_e32 v[150:151], v[150:151], v[154:155]
	v_mul_f64 v[154:155], v[152:153], v[150:151]
	v_fma_f64 v[148:149], -v[148:149], v[154:155], v[152:153]
	v_div_fmas_f64 v[148:149], v[148:149], v[150:151], v[154:155]
	v_div_fixup_f64 v[150:151], v[148:149], v[144:145], v[146:147]
	v_fmac_f64_e32 v[144:145], v[146:147], v[150:151]
	v_div_scale_f64 v[146:147], s[10:11], v[144:145], v[144:145], 1.0
	v_rcp_f64_e32 v[148:149], v[146:147]
	s_nop 0
	v_fma_f64 v[152:153], -v[146:147], v[148:149], 1.0
	v_fmac_f64_e32 v[148:149], v[148:149], v[152:153]
	v_fma_f64 v[152:153], -v[146:147], v[148:149], 1.0
	v_fmac_f64_e32 v[148:149], v[148:149], v[152:153]
	v_div_scale_f64 v[152:153], vcc, 1.0, v[144:145], 1.0
	v_mul_f64 v[154:155], v[152:153], v[148:149]
	v_fma_f64 v[146:147], -v[146:147], v[154:155], v[152:153]
	s_nop 1
	v_div_fmas_f64 v[146:147], v[146:147], v[148:149], v[154:155]
	v_div_fixup_f64 v[148:149], v[146:147], v[144:145], 1.0
	v_mul_f64 v[150:151], v[150:151], -v[148:149]
.LBB47_115:
	s_or_b64 exec, exec, s[2:3]
	ds_write2_b64 v243, v[148:149], v[150:151] offset1:1
.LBB47_116:
	s_or_b64 exec, exec, s[4:5]
	s_waitcnt lgkmcnt(0)
	s_barrier
	ds_read2_b64 v[144:147], v243 offset1:1
	v_cmp_lt_u32_e32 vcc, 12, v242
	s_and_saveexec_b64 s[2:3], vcc
	s_cbranch_execz .LBB47_118
; %bb.117:
	ds_read2_b64 v[148:151], v244 offset0:26 offset1:27
	ds_read2_b64 v[152:155], v244 offset0:28 offset1:29
	s_waitcnt vmcnt(11) lgkmcnt(2)
	v_mul_f64 v[156:157], v[144:145], v[42:43]
	v_fmac_f64_e32 v[156:157], v[146:147], v[40:41]
	v_mul_f64 v[42:43], v[146:147], v[42:43]
	v_fma_f64 v[40:41], v[144:145], v[40:41], -v[42:43]
	s_waitcnt lgkmcnt(1)
	v_mul_f64 v[42:43], v[150:151], v[156:157]
	v_fma_f64 v[42:43], v[148:149], v[40:41], -v[42:43]
	v_mul_f64 v[148:149], v[148:149], v[156:157]
	v_fmac_f64_e32 v[148:149], v[150:151], v[40:41]
	s_waitcnt vmcnt(10)
	v_add_f64 v[38:39], v[38:39], -v[148:149]
	ds_read2_b64 v[148:151], v244 offset0:30 offset1:31
	v_add_f64 v[36:37], v[36:37], -v[42:43]
	s_waitcnt lgkmcnt(1)
	v_mul_f64 v[42:43], v[154:155], v[156:157]
	v_fma_f64 v[42:43], v[152:153], v[40:41], -v[42:43]
	v_mul_f64 v[152:153], v[152:153], v[156:157]
	v_fmac_f64_e32 v[152:153], v[154:155], v[40:41]
	s_waitcnt vmcnt(9)
	v_add_f64 v[32:33], v[32:33], -v[42:43]
	v_add_f64 v[34:35], v[34:35], -v[152:153]
	ds_read2_b64 v[152:155], v244 offset0:32 offset1:33
	s_waitcnt lgkmcnt(1)
	v_mul_f64 v[42:43], v[150:151], v[156:157]
	v_fma_f64 v[42:43], v[148:149], v[40:41], -v[42:43]
	v_mul_f64 v[148:149], v[148:149], v[156:157]
	v_fmac_f64_e32 v[148:149], v[150:151], v[40:41]
	s_waitcnt vmcnt(8)
	v_add_f64 v[30:31], v[30:31], -v[148:149]
	ds_read2_b64 v[148:151], v244 offset0:34 offset1:35
	v_add_f64 v[28:29], v[28:29], -v[42:43]
	s_waitcnt lgkmcnt(1)
	v_mul_f64 v[42:43], v[154:155], v[156:157]
	v_fma_f64 v[42:43], v[152:153], v[40:41], -v[42:43]
	v_mul_f64 v[152:153], v[152:153], v[156:157]
	v_fmac_f64_e32 v[152:153], v[154:155], v[40:41]
	s_waitcnt vmcnt(7)
	v_add_f64 v[24:25], v[24:25], -v[42:43]
	v_add_f64 v[26:27], v[26:27], -v[152:153]
	ds_read2_b64 v[152:155], v244 offset0:36 offset1:37
	;; [unrolled: 18-line block ×4, first 2 shown]
	s_waitcnt lgkmcnt(1)
	v_mul_f64 v[42:43], v[150:151], v[156:157]
	v_fma_f64 v[42:43], v[148:149], v[40:41], -v[42:43]
	v_mul_f64 v[148:149], v[148:149], v[156:157]
	v_fmac_f64_e32 v[148:149], v[150:151], v[40:41]
	s_waitcnt vmcnt(2)
	v_add_f64 v[6:7], v[6:7], -v[148:149]
	ds_read2_b64 v[148:151], v244 offset0:46 offset1:47
	v_add_f64 v[4:5], v[4:5], -v[42:43]
	s_waitcnt lgkmcnt(1)
	v_mul_f64 v[42:43], v[154:155], v[156:157]
	v_fma_f64 v[42:43], v[152:153], v[40:41], -v[42:43]
	s_waitcnt vmcnt(1)
	v_add_f64 v[0:1], v[0:1], -v[42:43]
	s_waitcnt lgkmcnt(0)
	v_mul_f64 v[42:43], v[150:151], v[156:157]
	v_mul_f64 v[152:153], v[152:153], v[156:157]
	v_fma_f64 v[42:43], v[148:149], v[40:41], -v[42:43]
	v_mul_f64 v[148:149], v[148:149], v[156:157]
	v_fmac_f64_e32 v[152:153], v[154:155], v[40:41]
	v_fmac_f64_e32 v[148:149], v[150:151], v[40:41]
	v_add_f64 v[2:3], v[2:3], -v[152:153]
	s_waitcnt vmcnt(0)
	v_add_f64 v[92:93], v[92:93], -v[42:43]
	v_add_f64 v[94:95], v[94:95], -v[148:149]
	v_mov_b64_e32 v[42:43], v[156:157]
.LBB47_118:
	s_or_b64 exec, exec, s[2:3]
	v_cmp_eq_u32_e32 vcc, 13, v242
	s_waitcnt lgkmcnt(0)
	s_barrier
	s_and_saveexec_b64 s[4:5], vcc
	s_cbranch_execz .LBB47_125
; %bb.119:
	s_waitcnt vmcnt(10)
	ds_write2_b64 v243, v[36:37], v[38:39] offset1:1
	s_waitcnt vmcnt(9)
	ds_write2_b64 v244, v[32:33], v[34:35] offset0:28 offset1:29
	s_waitcnt vmcnt(8)
	ds_write2_b64 v244, v[28:29], v[30:31] offset0:30 offset1:31
	s_waitcnt vmcnt(7)
	ds_write2_b64 v244, v[24:25], v[26:27] offset0:32 offset1:33
	s_waitcnt vmcnt(6)
	ds_write2_b64 v244, v[20:21], v[22:23] offset0:34 offset1:35
	s_waitcnt vmcnt(5)
	ds_write2_b64 v244, v[16:17], v[18:19] offset0:36 offset1:37
	s_waitcnt vmcnt(4)
	ds_write2_b64 v244, v[12:13], v[14:15] offset0:38 offset1:39
	s_waitcnt vmcnt(3)
	ds_write2_b64 v244, v[8:9], v[10:11] offset0:40 offset1:41
	s_waitcnt vmcnt(2)
	ds_write2_b64 v244, v[4:5], v[6:7] offset0:42 offset1:43
	s_waitcnt vmcnt(1)
	ds_write2_b64 v244, v[0:1], v[2:3] offset0:44 offset1:45
	s_waitcnt vmcnt(0)
	ds_write2_b64 v244, v[92:93], v[94:95] offset0:46 offset1:47
	ds_read2_b64 v[148:151], v243 offset1:1
	s_waitcnt lgkmcnt(0)
	v_cmp_neq_f64_e32 vcc, 0, v[148:149]
	v_cmp_neq_f64_e64 s[2:3], 0, v[150:151]
	s_or_b64 s[2:3], vcc, s[2:3]
	s_and_b64 exec, exec, s[2:3]
	s_cbranch_execz .LBB47_125
; %bb.120:
	v_cmp_ngt_f64_e64 s[2:3], |v[148:149]|, |v[150:151]|
                                        ; implicit-def: $vgpr152_vgpr153
	s_and_saveexec_b64 s[10:11], s[2:3]
	s_xor_b64 s[2:3], exec, s[10:11]
                                        ; implicit-def: $vgpr154_vgpr155
	s_cbranch_execz .LBB47_122
; %bb.121:
	v_div_scale_f64 v[152:153], s[10:11], v[150:151], v[150:151], v[148:149]
	v_rcp_f64_e32 v[154:155], v[152:153]
	v_div_scale_f64 v[156:157], vcc, v[148:149], v[150:151], v[148:149]
	v_fma_f64 v[158:159], -v[152:153], v[154:155], 1.0
	v_fmac_f64_e32 v[154:155], v[154:155], v[158:159]
	v_fma_f64 v[158:159], -v[152:153], v[154:155], 1.0
	v_fmac_f64_e32 v[154:155], v[154:155], v[158:159]
	v_mul_f64 v[158:159], v[156:157], v[154:155]
	v_fma_f64 v[152:153], -v[152:153], v[158:159], v[156:157]
	v_div_fmas_f64 v[152:153], v[152:153], v[154:155], v[158:159]
	v_div_fixup_f64 v[152:153], v[152:153], v[150:151], v[148:149]
	v_fmac_f64_e32 v[150:151], v[148:149], v[152:153]
	v_div_scale_f64 v[148:149], s[10:11], v[150:151], v[150:151], 1.0
	v_rcp_f64_e32 v[154:155], v[148:149]
	s_nop 0
	v_fma_f64 v[156:157], -v[148:149], v[154:155], 1.0
	v_fmac_f64_e32 v[154:155], v[154:155], v[156:157]
	v_fma_f64 v[156:157], -v[148:149], v[154:155], 1.0
	v_fmac_f64_e32 v[154:155], v[154:155], v[156:157]
	v_div_scale_f64 v[156:157], vcc, 1.0, v[150:151], 1.0
	v_mul_f64 v[158:159], v[156:157], v[154:155]
	v_fma_f64 v[148:149], -v[148:149], v[158:159], v[156:157]
	s_nop 1
	v_div_fmas_f64 v[148:149], v[148:149], v[154:155], v[158:159]
	v_div_fixup_f64 v[154:155], v[148:149], v[150:151], 1.0
	v_mul_f64 v[152:153], v[152:153], v[154:155]
	v_xor_b32_e32 v155, 0x80000000, v155
                                        ; implicit-def: $vgpr148_vgpr149
.LBB47_122:
	s_andn2_saveexec_b64 s[2:3], s[2:3]
	s_cbranch_execz .LBB47_124
; %bb.123:
	v_div_scale_f64 v[152:153], s[10:11], v[148:149], v[148:149], v[150:151]
	v_rcp_f64_e32 v[154:155], v[152:153]
	v_div_scale_f64 v[156:157], vcc, v[150:151], v[148:149], v[150:151]
	v_fma_f64 v[158:159], -v[152:153], v[154:155], 1.0
	v_fmac_f64_e32 v[154:155], v[154:155], v[158:159]
	v_fma_f64 v[158:159], -v[152:153], v[154:155], 1.0
	v_fmac_f64_e32 v[154:155], v[154:155], v[158:159]
	v_mul_f64 v[158:159], v[156:157], v[154:155]
	v_fma_f64 v[152:153], -v[152:153], v[158:159], v[156:157]
	v_div_fmas_f64 v[152:153], v[152:153], v[154:155], v[158:159]
	v_div_fixup_f64 v[154:155], v[152:153], v[148:149], v[150:151]
	v_fmac_f64_e32 v[148:149], v[150:151], v[154:155]
	v_div_scale_f64 v[150:151], s[10:11], v[148:149], v[148:149], 1.0
	v_rcp_f64_e32 v[152:153], v[150:151]
	s_nop 0
	v_fma_f64 v[156:157], -v[150:151], v[152:153], 1.0
	v_fmac_f64_e32 v[152:153], v[152:153], v[156:157]
	v_fma_f64 v[156:157], -v[150:151], v[152:153], 1.0
	v_fmac_f64_e32 v[152:153], v[152:153], v[156:157]
	v_div_scale_f64 v[156:157], vcc, 1.0, v[148:149], 1.0
	v_mul_f64 v[158:159], v[156:157], v[152:153]
	v_fma_f64 v[150:151], -v[150:151], v[158:159], v[156:157]
	s_nop 1
	v_div_fmas_f64 v[150:151], v[150:151], v[152:153], v[158:159]
	v_div_fixup_f64 v[152:153], v[150:151], v[148:149], 1.0
	v_mul_f64 v[154:155], v[154:155], -v[152:153]
.LBB47_124:
	s_or_b64 exec, exec, s[2:3]
	ds_write2_b64 v243, v[152:153], v[154:155] offset1:1
.LBB47_125:
	s_or_b64 exec, exec, s[4:5]
	s_waitcnt lgkmcnt(0)
	s_barrier
	ds_read2_b64 v[148:151], v243 offset1:1
	v_cmp_lt_u32_e32 vcc, 13, v242
	s_and_saveexec_b64 s[2:3], vcc
	s_cbranch_execz .LBB47_127
; %bb.126:
	ds_read2_b64 v[152:155], v244 offset0:28 offset1:29
	ds_read2_b64 v[156:159], v244 offset0:30 offset1:31
	s_waitcnt vmcnt(10) lgkmcnt(2)
	v_mul_f64 v[160:161], v[148:149], v[38:39]
	v_fmac_f64_e32 v[160:161], v[150:151], v[36:37]
	v_mul_f64 v[38:39], v[150:151], v[38:39]
	v_fma_f64 v[36:37], v[148:149], v[36:37], -v[38:39]
	s_waitcnt lgkmcnt(1)
	v_mul_f64 v[38:39], v[154:155], v[160:161]
	v_fma_f64 v[38:39], v[152:153], v[36:37], -v[38:39]
	v_mul_f64 v[152:153], v[152:153], v[160:161]
	v_fmac_f64_e32 v[152:153], v[154:155], v[36:37]
	s_waitcnt vmcnt(9)
	v_add_f64 v[32:33], v[32:33], -v[38:39]
	v_add_f64 v[34:35], v[34:35], -v[152:153]
	s_waitcnt lgkmcnt(0)
	v_mul_f64 v[38:39], v[158:159], v[160:161]
	ds_read2_b64 v[152:155], v244 offset0:32 offset1:33
	v_fma_f64 v[38:39], v[156:157], v[36:37], -v[38:39]
	v_mul_f64 v[156:157], v[156:157], v[160:161]
	v_fmac_f64_e32 v[156:157], v[158:159], v[36:37]
	s_waitcnt vmcnt(8)
	v_add_f64 v[30:31], v[30:31], -v[156:157]
	ds_read2_b64 v[156:159], v244 offset0:34 offset1:35
	v_add_f64 v[28:29], v[28:29], -v[38:39]
	s_waitcnt lgkmcnt(1)
	v_mul_f64 v[38:39], v[154:155], v[160:161]
	v_fma_f64 v[38:39], v[152:153], v[36:37], -v[38:39]
	v_mul_f64 v[152:153], v[152:153], v[160:161]
	v_fmac_f64_e32 v[152:153], v[154:155], v[36:37]
	s_waitcnt vmcnt(7)
	v_add_f64 v[24:25], v[24:25], -v[38:39]
	v_add_f64 v[26:27], v[26:27], -v[152:153]
	s_waitcnt lgkmcnt(0)
	v_mul_f64 v[38:39], v[158:159], v[160:161]
	ds_read2_b64 v[152:155], v244 offset0:36 offset1:37
	v_fma_f64 v[38:39], v[156:157], v[36:37], -v[38:39]
	v_mul_f64 v[156:157], v[156:157], v[160:161]
	v_fmac_f64_e32 v[156:157], v[158:159], v[36:37]
	s_waitcnt vmcnt(6)
	v_add_f64 v[22:23], v[22:23], -v[156:157]
	ds_read2_b64 v[156:159], v244 offset0:38 offset1:39
	v_add_f64 v[20:21], v[20:21], -v[38:39]
	;; [unrolled: 18-line block ×4, first 2 shown]
	s_waitcnt lgkmcnt(1)
	v_mul_f64 v[38:39], v[154:155], v[160:161]
	v_fma_f64 v[38:39], v[152:153], v[36:37], -v[38:39]
	v_mul_f64 v[152:153], v[152:153], v[160:161]
	v_fmac_f64_e32 v[152:153], v[154:155], v[36:37]
	s_waitcnt vmcnt(1)
	v_add_f64 v[0:1], v[0:1], -v[38:39]
	v_add_f64 v[2:3], v[2:3], -v[152:153]
	s_waitcnt lgkmcnt(0)
	v_mul_f64 v[38:39], v[158:159], v[160:161]
	v_mul_f64 v[152:153], v[156:157], v[160:161]
	v_fma_f64 v[38:39], v[156:157], v[36:37], -v[38:39]
	v_fmac_f64_e32 v[152:153], v[158:159], v[36:37]
	s_waitcnt vmcnt(0)
	v_add_f64 v[92:93], v[92:93], -v[38:39]
	v_add_f64 v[94:95], v[94:95], -v[152:153]
	v_mov_b64_e32 v[38:39], v[160:161]
.LBB47_127:
	s_or_b64 exec, exec, s[2:3]
	v_cmp_eq_u32_e32 vcc, 14, v242
	s_waitcnt lgkmcnt(0)
	s_barrier
	s_and_saveexec_b64 s[4:5], vcc
	s_cbranch_execz .LBB47_134
; %bb.128:
	s_waitcnt vmcnt(9)
	ds_write2_b64 v243, v[32:33], v[34:35] offset1:1
	s_waitcnt vmcnt(8)
	ds_write2_b64 v244, v[28:29], v[30:31] offset0:30 offset1:31
	s_waitcnt vmcnt(7)
	ds_write2_b64 v244, v[24:25], v[26:27] offset0:32 offset1:33
	;; [unrolled: 2-line block ×9, first 2 shown]
	ds_read2_b64 v[152:155], v243 offset1:1
	s_waitcnt lgkmcnt(0)
	v_cmp_neq_f64_e32 vcc, 0, v[152:153]
	v_cmp_neq_f64_e64 s[2:3], 0, v[154:155]
	s_or_b64 s[2:3], vcc, s[2:3]
	s_and_b64 exec, exec, s[2:3]
	s_cbranch_execz .LBB47_134
; %bb.129:
	v_cmp_ngt_f64_e64 s[2:3], |v[152:153]|, |v[154:155]|
                                        ; implicit-def: $vgpr156_vgpr157
	s_and_saveexec_b64 s[10:11], s[2:3]
	s_xor_b64 s[2:3], exec, s[10:11]
                                        ; implicit-def: $vgpr158_vgpr159
	s_cbranch_execz .LBB47_131
; %bb.130:
	v_div_scale_f64 v[156:157], s[10:11], v[154:155], v[154:155], v[152:153]
	v_rcp_f64_e32 v[158:159], v[156:157]
	v_div_scale_f64 v[160:161], vcc, v[152:153], v[154:155], v[152:153]
	v_fma_f64 v[162:163], -v[156:157], v[158:159], 1.0
	v_fmac_f64_e32 v[158:159], v[158:159], v[162:163]
	v_fma_f64 v[162:163], -v[156:157], v[158:159], 1.0
	v_fmac_f64_e32 v[158:159], v[158:159], v[162:163]
	v_mul_f64 v[162:163], v[160:161], v[158:159]
	v_fma_f64 v[156:157], -v[156:157], v[162:163], v[160:161]
	v_div_fmas_f64 v[156:157], v[156:157], v[158:159], v[162:163]
	v_div_fixup_f64 v[156:157], v[156:157], v[154:155], v[152:153]
	v_fmac_f64_e32 v[154:155], v[152:153], v[156:157]
	v_div_scale_f64 v[152:153], s[10:11], v[154:155], v[154:155], 1.0
	v_rcp_f64_e32 v[158:159], v[152:153]
	s_nop 0
	v_fma_f64 v[160:161], -v[152:153], v[158:159], 1.0
	v_fmac_f64_e32 v[158:159], v[158:159], v[160:161]
	v_fma_f64 v[160:161], -v[152:153], v[158:159], 1.0
	v_fmac_f64_e32 v[158:159], v[158:159], v[160:161]
	v_div_scale_f64 v[160:161], vcc, 1.0, v[154:155], 1.0
	v_mul_f64 v[162:163], v[160:161], v[158:159]
	v_fma_f64 v[152:153], -v[152:153], v[162:163], v[160:161]
	s_nop 1
	v_div_fmas_f64 v[152:153], v[152:153], v[158:159], v[162:163]
	v_div_fixup_f64 v[158:159], v[152:153], v[154:155], 1.0
	v_mul_f64 v[156:157], v[156:157], v[158:159]
	v_xor_b32_e32 v159, 0x80000000, v159
                                        ; implicit-def: $vgpr152_vgpr153
.LBB47_131:
	s_andn2_saveexec_b64 s[2:3], s[2:3]
	s_cbranch_execz .LBB47_133
; %bb.132:
	v_div_scale_f64 v[156:157], s[10:11], v[152:153], v[152:153], v[154:155]
	v_rcp_f64_e32 v[158:159], v[156:157]
	v_div_scale_f64 v[160:161], vcc, v[154:155], v[152:153], v[154:155]
	v_fma_f64 v[162:163], -v[156:157], v[158:159], 1.0
	v_fmac_f64_e32 v[158:159], v[158:159], v[162:163]
	v_fma_f64 v[162:163], -v[156:157], v[158:159], 1.0
	v_fmac_f64_e32 v[158:159], v[158:159], v[162:163]
	v_mul_f64 v[162:163], v[160:161], v[158:159]
	v_fma_f64 v[156:157], -v[156:157], v[162:163], v[160:161]
	v_div_fmas_f64 v[156:157], v[156:157], v[158:159], v[162:163]
	v_div_fixup_f64 v[158:159], v[156:157], v[152:153], v[154:155]
	v_fmac_f64_e32 v[152:153], v[154:155], v[158:159]
	v_div_scale_f64 v[154:155], s[10:11], v[152:153], v[152:153], 1.0
	v_rcp_f64_e32 v[156:157], v[154:155]
	s_nop 0
	v_fma_f64 v[160:161], -v[154:155], v[156:157], 1.0
	v_fmac_f64_e32 v[156:157], v[156:157], v[160:161]
	v_fma_f64 v[160:161], -v[154:155], v[156:157], 1.0
	v_fmac_f64_e32 v[156:157], v[156:157], v[160:161]
	v_div_scale_f64 v[160:161], vcc, 1.0, v[152:153], 1.0
	v_mul_f64 v[162:163], v[160:161], v[156:157]
	v_fma_f64 v[154:155], -v[154:155], v[162:163], v[160:161]
	s_nop 1
	v_div_fmas_f64 v[154:155], v[154:155], v[156:157], v[162:163]
	v_div_fixup_f64 v[156:157], v[154:155], v[152:153], 1.0
	v_mul_f64 v[158:159], v[158:159], -v[156:157]
.LBB47_133:
	s_or_b64 exec, exec, s[2:3]
	ds_write2_b64 v243, v[156:157], v[158:159] offset1:1
.LBB47_134:
	s_or_b64 exec, exec, s[4:5]
	s_waitcnt lgkmcnt(0)
	s_barrier
	ds_read2_b64 v[152:155], v243 offset1:1
	v_cmp_lt_u32_e32 vcc, 14, v242
	s_and_saveexec_b64 s[2:3], vcc
	s_cbranch_execz .LBB47_136
; %bb.135:
	ds_read2_b64 v[156:159], v244 offset0:30 offset1:31
	ds_read2_b64 v[160:163], v244 offset0:32 offset1:33
	s_waitcnt vmcnt(9) lgkmcnt(2)
	v_mul_f64 v[164:165], v[152:153], v[34:35]
	v_fmac_f64_e32 v[164:165], v[154:155], v[32:33]
	v_mul_f64 v[34:35], v[154:155], v[34:35]
	v_fma_f64 v[32:33], v[152:153], v[32:33], -v[34:35]
	s_waitcnt lgkmcnt(1)
	v_mul_f64 v[34:35], v[158:159], v[164:165]
	v_fma_f64 v[34:35], v[156:157], v[32:33], -v[34:35]
	v_mul_f64 v[156:157], v[156:157], v[164:165]
	v_fmac_f64_e32 v[156:157], v[158:159], v[32:33]
	s_waitcnt vmcnt(8)
	v_add_f64 v[30:31], v[30:31], -v[156:157]
	ds_read2_b64 v[156:159], v244 offset0:34 offset1:35
	v_add_f64 v[28:29], v[28:29], -v[34:35]
	s_waitcnt lgkmcnt(1)
	v_mul_f64 v[34:35], v[162:163], v[164:165]
	v_fma_f64 v[34:35], v[160:161], v[32:33], -v[34:35]
	v_mul_f64 v[160:161], v[160:161], v[164:165]
	v_fmac_f64_e32 v[160:161], v[162:163], v[32:33]
	s_waitcnt vmcnt(7)
	v_add_f64 v[24:25], v[24:25], -v[34:35]
	v_add_f64 v[26:27], v[26:27], -v[160:161]
	ds_read2_b64 v[160:163], v244 offset0:36 offset1:37
	s_waitcnt lgkmcnt(1)
	v_mul_f64 v[34:35], v[158:159], v[164:165]
	v_fma_f64 v[34:35], v[156:157], v[32:33], -v[34:35]
	v_mul_f64 v[156:157], v[156:157], v[164:165]
	v_fmac_f64_e32 v[156:157], v[158:159], v[32:33]
	s_waitcnt vmcnt(6)
	v_add_f64 v[22:23], v[22:23], -v[156:157]
	ds_read2_b64 v[156:159], v244 offset0:38 offset1:39
	v_add_f64 v[20:21], v[20:21], -v[34:35]
	s_waitcnt lgkmcnt(1)
	v_mul_f64 v[34:35], v[162:163], v[164:165]
	v_fma_f64 v[34:35], v[160:161], v[32:33], -v[34:35]
	v_mul_f64 v[160:161], v[160:161], v[164:165]
	v_fmac_f64_e32 v[160:161], v[162:163], v[32:33]
	s_waitcnt vmcnt(5)
	v_add_f64 v[16:17], v[16:17], -v[34:35]
	v_add_f64 v[18:19], v[18:19], -v[160:161]
	ds_read2_b64 v[160:163], v244 offset0:40 offset1:41
	;; [unrolled: 18-line block ×3, first 2 shown]
	s_waitcnt lgkmcnt(1)
	v_mul_f64 v[34:35], v[158:159], v[164:165]
	v_fma_f64 v[34:35], v[156:157], v[32:33], -v[34:35]
	v_mul_f64 v[156:157], v[156:157], v[164:165]
	v_fmac_f64_e32 v[156:157], v[158:159], v[32:33]
	s_waitcnt vmcnt(2)
	v_add_f64 v[6:7], v[6:7], -v[156:157]
	ds_read2_b64 v[156:159], v244 offset0:46 offset1:47
	v_add_f64 v[4:5], v[4:5], -v[34:35]
	s_waitcnt lgkmcnt(1)
	v_mul_f64 v[34:35], v[162:163], v[164:165]
	v_fma_f64 v[34:35], v[160:161], v[32:33], -v[34:35]
	s_waitcnt vmcnt(1)
	v_add_f64 v[0:1], v[0:1], -v[34:35]
	s_waitcnt lgkmcnt(0)
	v_mul_f64 v[34:35], v[158:159], v[164:165]
	v_mul_f64 v[160:161], v[160:161], v[164:165]
	v_fma_f64 v[34:35], v[156:157], v[32:33], -v[34:35]
	v_mul_f64 v[156:157], v[156:157], v[164:165]
	v_fmac_f64_e32 v[160:161], v[162:163], v[32:33]
	v_fmac_f64_e32 v[156:157], v[158:159], v[32:33]
	v_add_f64 v[2:3], v[2:3], -v[160:161]
	s_waitcnt vmcnt(0)
	v_add_f64 v[92:93], v[92:93], -v[34:35]
	v_add_f64 v[94:95], v[94:95], -v[156:157]
	v_mov_b64_e32 v[34:35], v[164:165]
.LBB47_136:
	s_or_b64 exec, exec, s[2:3]
	v_cmp_eq_u32_e32 vcc, 15, v242
	s_waitcnt lgkmcnt(0)
	s_barrier
	s_and_saveexec_b64 s[4:5], vcc
	s_cbranch_execz .LBB47_143
; %bb.137:
	s_waitcnt vmcnt(8)
	ds_write2_b64 v243, v[28:29], v[30:31] offset1:1
	s_waitcnt vmcnt(7)
	ds_write2_b64 v244, v[24:25], v[26:27] offset0:32 offset1:33
	s_waitcnt vmcnt(6)
	ds_write2_b64 v244, v[20:21], v[22:23] offset0:34 offset1:35
	;; [unrolled: 2-line block ×8, first 2 shown]
	ds_read2_b64 v[156:159], v243 offset1:1
	s_waitcnt lgkmcnt(0)
	v_cmp_neq_f64_e32 vcc, 0, v[156:157]
	v_cmp_neq_f64_e64 s[2:3], 0, v[158:159]
	s_or_b64 s[2:3], vcc, s[2:3]
	s_and_b64 exec, exec, s[2:3]
	s_cbranch_execz .LBB47_143
; %bb.138:
	v_cmp_ngt_f64_e64 s[2:3], |v[156:157]|, |v[158:159]|
                                        ; implicit-def: $vgpr160_vgpr161
	s_and_saveexec_b64 s[10:11], s[2:3]
	s_xor_b64 s[2:3], exec, s[10:11]
                                        ; implicit-def: $vgpr162_vgpr163
	s_cbranch_execz .LBB47_140
; %bb.139:
	v_div_scale_f64 v[160:161], s[10:11], v[158:159], v[158:159], v[156:157]
	v_rcp_f64_e32 v[162:163], v[160:161]
	v_div_scale_f64 v[164:165], vcc, v[156:157], v[158:159], v[156:157]
	v_fma_f64 v[166:167], -v[160:161], v[162:163], 1.0
	v_fmac_f64_e32 v[162:163], v[162:163], v[166:167]
	v_fma_f64 v[166:167], -v[160:161], v[162:163], 1.0
	v_fmac_f64_e32 v[162:163], v[162:163], v[166:167]
	v_mul_f64 v[166:167], v[164:165], v[162:163]
	v_fma_f64 v[160:161], -v[160:161], v[166:167], v[164:165]
	v_div_fmas_f64 v[160:161], v[160:161], v[162:163], v[166:167]
	v_div_fixup_f64 v[160:161], v[160:161], v[158:159], v[156:157]
	v_fmac_f64_e32 v[158:159], v[156:157], v[160:161]
	v_div_scale_f64 v[156:157], s[10:11], v[158:159], v[158:159], 1.0
	v_rcp_f64_e32 v[162:163], v[156:157]
	s_nop 0
	v_fma_f64 v[164:165], -v[156:157], v[162:163], 1.0
	v_fmac_f64_e32 v[162:163], v[162:163], v[164:165]
	v_fma_f64 v[164:165], -v[156:157], v[162:163], 1.0
	v_fmac_f64_e32 v[162:163], v[162:163], v[164:165]
	v_div_scale_f64 v[164:165], vcc, 1.0, v[158:159], 1.0
	v_mul_f64 v[166:167], v[164:165], v[162:163]
	v_fma_f64 v[156:157], -v[156:157], v[166:167], v[164:165]
	s_nop 1
	v_div_fmas_f64 v[156:157], v[156:157], v[162:163], v[166:167]
	v_div_fixup_f64 v[162:163], v[156:157], v[158:159], 1.0
	v_mul_f64 v[160:161], v[160:161], v[162:163]
	v_xor_b32_e32 v163, 0x80000000, v163
                                        ; implicit-def: $vgpr156_vgpr157
.LBB47_140:
	s_andn2_saveexec_b64 s[2:3], s[2:3]
	s_cbranch_execz .LBB47_142
; %bb.141:
	v_div_scale_f64 v[160:161], s[10:11], v[156:157], v[156:157], v[158:159]
	v_rcp_f64_e32 v[162:163], v[160:161]
	v_div_scale_f64 v[164:165], vcc, v[158:159], v[156:157], v[158:159]
	v_fma_f64 v[166:167], -v[160:161], v[162:163], 1.0
	v_fmac_f64_e32 v[162:163], v[162:163], v[166:167]
	v_fma_f64 v[166:167], -v[160:161], v[162:163], 1.0
	v_fmac_f64_e32 v[162:163], v[162:163], v[166:167]
	v_mul_f64 v[166:167], v[164:165], v[162:163]
	v_fma_f64 v[160:161], -v[160:161], v[166:167], v[164:165]
	v_div_fmas_f64 v[160:161], v[160:161], v[162:163], v[166:167]
	v_div_fixup_f64 v[162:163], v[160:161], v[156:157], v[158:159]
	v_fmac_f64_e32 v[156:157], v[158:159], v[162:163]
	v_div_scale_f64 v[158:159], s[10:11], v[156:157], v[156:157], 1.0
	v_rcp_f64_e32 v[160:161], v[158:159]
	s_nop 0
	v_fma_f64 v[164:165], -v[158:159], v[160:161], 1.0
	v_fmac_f64_e32 v[160:161], v[160:161], v[164:165]
	v_fma_f64 v[164:165], -v[158:159], v[160:161], 1.0
	v_fmac_f64_e32 v[160:161], v[160:161], v[164:165]
	v_div_scale_f64 v[164:165], vcc, 1.0, v[156:157], 1.0
	v_mul_f64 v[166:167], v[164:165], v[160:161]
	v_fma_f64 v[158:159], -v[158:159], v[166:167], v[164:165]
	s_nop 1
	v_div_fmas_f64 v[158:159], v[158:159], v[160:161], v[166:167]
	v_div_fixup_f64 v[160:161], v[158:159], v[156:157], 1.0
	v_mul_f64 v[162:163], v[162:163], -v[160:161]
.LBB47_142:
	s_or_b64 exec, exec, s[2:3]
	ds_write2_b64 v243, v[160:161], v[162:163] offset1:1
.LBB47_143:
	s_or_b64 exec, exec, s[4:5]
	s_waitcnt lgkmcnt(0)
	s_barrier
	ds_read2_b64 v[156:159], v243 offset1:1
	v_cmp_lt_u32_e32 vcc, 15, v242
	s_and_saveexec_b64 s[2:3], vcc
	s_cbranch_execz .LBB47_145
; %bb.144:
	ds_read2_b64 v[160:163], v244 offset0:32 offset1:33
	ds_read2_b64 v[164:167], v244 offset0:34 offset1:35
	s_waitcnt vmcnt(8) lgkmcnt(2)
	v_mul_f64 v[168:169], v[156:157], v[30:31]
	v_fmac_f64_e32 v[168:169], v[158:159], v[28:29]
	v_mul_f64 v[30:31], v[158:159], v[30:31]
	v_fma_f64 v[28:29], v[156:157], v[28:29], -v[30:31]
	s_waitcnt lgkmcnt(1)
	v_mul_f64 v[30:31], v[162:163], v[168:169]
	v_fma_f64 v[30:31], v[160:161], v[28:29], -v[30:31]
	v_mul_f64 v[160:161], v[160:161], v[168:169]
	v_fmac_f64_e32 v[160:161], v[162:163], v[28:29]
	s_waitcnt vmcnt(7)
	v_add_f64 v[24:25], v[24:25], -v[30:31]
	v_add_f64 v[26:27], v[26:27], -v[160:161]
	s_waitcnt lgkmcnt(0)
	v_mul_f64 v[30:31], v[166:167], v[168:169]
	ds_read2_b64 v[160:163], v244 offset0:36 offset1:37
	v_fma_f64 v[30:31], v[164:165], v[28:29], -v[30:31]
	v_mul_f64 v[164:165], v[164:165], v[168:169]
	v_fmac_f64_e32 v[164:165], v[166:167], v[28:29]
	s_waitcnt vmcnt(6)
	v_add_f64 v[22:23], v[22:23], -v[164:165]
	ds_read2_b64 v[164:167], v244 offset0:38 offset1:39
	v_add_f64 v[20:21], v[20:21], -v[30:31]
	s_waitcnt lgkmcnt(1)
	v_mul_f64 v[30:31], v[162:163], v[168:169]
	v_fma_f64 v[30:31], v[160:161], v[28:29], -v[30:31]
	v_mul_f64 v[160:161], v[160:161], v[168:169]
	v_fmac_f64_e32 v[160:161], v[162:163], v[28:29]
	s_waitcnt vmcnt(5)
	v_add_f64 v[16:17], v[16:17], -v[30:31]
	v_add_f64 v[18:19], v[18:19], -v[160:161]
	s_waitcnt lgkmcnt(0)
	v_mul_f64 v[30:31], v[166:167], v[168:169]
	ds_read2_b64 v[160:163], v244 offset0:40 offset1:41
	v_fma_f64 v[30:31], v[164:165], v[28:29], -v[30:31]
	v_mul_f64 v[164:165], v[164:165], v[168:169]
	v_fmac_f64_e32 v[164:165], v[166:167], v[28:29]
	s_waitcnt vmcnt(4)
	v_add_f64 v[14:15], v[14:15], -v[164:165]
	ds_read2_b64 v[164:167], v244 offset0:42 offset1:43
	v_add_f64 v[12:13], v[12:13], -v[30:31]
	;; [unrolled: 18-line block ×3, first 2 shown]
	s_waitcnt lgkmcnt(1)
	v_mul_f64 v[30:31], v[162:163], v[168:169]
	v_fma_f64 v[30:31], v[160:161], v[28:29], -v[30:31]
	v_mul_f64 v[160:161], v[160:161], v[168:169]
	v_fmac_f64_e32 v[160:161], v[162:163], v[28:29]
	s_waitcnt vmcnt(1)
	v_add_f64 v[0:1], v[0:1], -v[30:31]
	v_add_f64 v[2:3], v[2:3], -v[160:161]
	s_waitcnt lgkmcnt(0)
	v_mul_f64 v[30:31], v[166:167], v[168:169]
	v_mul_f64 v[160:161], v[164:165], v[168:169]
	v_fma_f64 v[30:31], v[164:165], v[28:29], -v[30:31]
	v_fmac_f64_e32 v[160:161], v[166:167], v[28:29]
	s_waitcnt vmcnt(0)
	v_add_f64 v[92:93], v[92:93], -v[30:31]
	v_add_f64 v[94:95], v[94:95], -v[160:161]
	v_mov_b64_e32 v[30:31], v[168:169]
.LBB47_145:
	s_or_b64 exec, exec, s[2:3]
	v_cmp_eq_u32_e32 vcc, 16, v242
	s_waitcnt lgkmcnt(0)
	s_barrier
	s_and_saveexec_b64 s[4:5], vcc
	s_cbranch_execz .LBB47_152
; %bb.146:
	s_waitcnt vmcnt(7)
	ds_write2_b64 v243, v[24:25], v[26:27] offset1:1
	s_waitcnt vmcnt(6)
	ds_write2_b64 v244, v[20:21], v[22:23] offset0:34 offset1:35
	s_waitcnt vmcnt(5)
	ds_write2_b64 v244, v[16:17], v[18:19] offset0:36 offset1:37
	;; [unrolled: 2-line block ×7, first 2 shown]
	ds_read2_b64 v[160:163], v243 offset1:1
	s_waitcnt lgkmcnt(0)
	v_cmp_neq_f64_e32 vcc, 0, v[160:161]
	v_cmp_neq_f64_e64 s[2:3], 0, v[162:163]
	s_or_b64 s[2:3], vcc, s[2:3]
	s_and_b64 exec, exec, s[2:3]
	s_cbranch_execz .LBB47_152
; %bb.147:
	v_cmp_ngt_f64_e64 s[2:3], |v[160:161]|, |v[162:163]|
                                        ; implicit-def: $vgpr164_vgpr165
	s_and_saveexec_b64 s[10:11], s[2:3]
	s_xor_b64 s[2:3], exec, s[10:11]
                                        ; implicit-def: $vgpr166_vgpr167
	s_cbranch_execz .LBB47_149
; %bb.148:
	v_div_scale_f64 v[164:165], s[10:11], v[162:163], v[162:163], v[160:161]
	v_rcp_f64_e32 v[166:167], v[164:165]
	v_div_scale_f64 v[168:169], vcc, v[160:161], v[162:163], v[160:161]
	v_fma_f64 v[170:171], -v[164:165], v[166:167], 1.0
	v_fmac_f64_e32 v[166:167], v[166:167], v[170:171]
	v_fma_f64 v[170:171], -v[164:165], v[166:167], 1.0
	v_fmac_f64_e32 v[166:167], v[166:167], v[170:171]
	v_mul_f64 v[170:171], v[168:169], v[166:167]
	v_fma_f64 v[164:165], -v[164:165], v[170:171], v[168:169]
	v_div_fmas_f64 v[164:165], v[164:165], v[166:167], v[170:171]
	v_div_fixup_f64 v[164:165], v[164:165], v[162:163], v[160:161]
	v_fmac_f64_e32 v[162:163], v[160:161], v[164:165]
	v_div_scale_f64 v[160:161], s[10:11], v[162:163], v[162:163], 1.0
	v_rcp_f64_e32 v[166:167], v[160:161]
	s_nop 0
	v_fma_f64 v[168:169], -v[160:161], v[166:167], 1.0
	v_fmac_f64_e32 v[166:167], v[166:167], v[168:169]
	v_fma_f64 v[168:169], -v[160:161], v[166:167], 1.0
	v_fmac_f64_e32 v[166:167], v[166:167], v[168:169]
	v_div_scale_f64 v[168:169], vcc, 1.0, v[162:163], 1.0
	v_mul_f64 v[170:171], v[168:169], v[166:167]
	v_fma_f64 v[160:161], -v[160:161], v[170:171], v[168:169]
	s_nop 1
	v_div_fmas_f64 v[160:161], v[160:161], v[166:167], v[170:171]
	v_div_fixup_f64 v[166:167], v[160:161], v[162:163], 1.0
	v_mul_f64 v[164:165], v[164:165], v[166:167]
	v_xor_b32_e32 v167, 0x80000000, v167
                                        ; implicit-def: $vgpr160_vgpr161
.LBB47_149:
	s_andn2_saveexec_b64 s[2:3], s[2:3]
	s_cbranch_execz .LBB47_151
; %bb.150:
	v_div_scale_f64 v[164:165], s[10:11], v[160:161], v[160:161], v[162:163]
	v_rcp_f64_e32 v[166:167], v[164:165]
	v_div_scale_f64 v[168:169], vcc, v[162:163], v[160:161], v[162:163]
	v_fma_f64 v[170:171], -v[164:165], v[166:167], 1.0
	v_fmac_f64_e32 v[166:167], v[166:167], v[170:171]
	v_fma_f64 v[170:171], -v[164:165], v[166:167], 1.0
	v_fmac_f64_e32 v[166:167], v[166:167], v[170:171]
	v_mul_f64 v[170:171], v[168:169], v[166:167]
	v_fma_f64 v[164:165], -v[164:165], v[170:171], v[168:169]
	v_div_fmas_f64 v[164:165], v[164:165], v[166:167], v[170:171]
	v_div_fixup_f64 v[166:167], v[164:165], v[160:161], v[162:163]
	v_fmac_f64_e32 v[160:161], v[162:163], v[166:167]
	v_div_scale_f64 v[162:163], s[10:11], v[160:161], v[160:161], 1.0
	v_rcp_f64_e32 v[164:165], v[162:163]
	s_nop 0
	v_fma_f64 v[168:169], -v[162:163], v[164:165], 1.0
	v_fmac_f64_e32 v[164:165], v[164:165], v[168:169]
	v_fma_f64 v[168:169], -v[162:163], v[164:165], 1.0
	v_fmac_f64_e32 v[164:165], v[164:165], v[168:169]
	v_div_scale_f64 v[168:169], vcc, 1.0, v[160:161], 1.0
	v_mul_f64 v[170:171], v[168:169], v[164:165]
	v_fma_f64 v[162:163], -v[162:163], v[170:171], v[168:169]
	s_nop 1
	v_div_fmas_f64 v[162:163], v[162:163], v[164:165], v[170:171]
	v_div_fixup_f64 v[164:165], v[162:163], v[160:161], 1.0
	v_mul_f64 v[166:167], v[166:167], -v[164:165]
.LBB47_151:
	s_or_b64 exec, exec, s[2:3]
	ds_write2_b64 v243, v[164:165], v[166:167] offset1:1
.LBB47_152:
	s_or_b64 exec, exec, s[4:5]
	s_waitcnt lgkmcnt(0)
	s_barrier
	ds_read2_b64 v[160:163], v243 offset1:1
	v_cmp_lt_u32_e32 vcc, 16, v242
	s_and_saveexec_b64 s[2:3], vcc
	s_cbranch_execz .LBB47_154
; %bb.153:
	ds_read2_b64 v[164:167], v244 offset0:34 offset1:35
	ds_read2_b64 v[168:171], v244 offset0:36 offset1:37
	s_waitcnt vmcnt(7) lgkmcnt(2)
	v_mul_f64 v[172:173], v[160:161], v[26:27]
	v_fmac_f64_e32 v[172:173], v[162:163], v[24:25]
	v_mul_f64 v[26:27], v[162:163], v[26:27]
	v_fma_f64 v[24:25], v[160:161], v[24:25], -v[26:27]
	s_waitcnt lgkmcnt(1)
	v_mul_f64 v[26:27], v[166:167], v[172:173]
	v_fma_f64 v[26:27], v[164:165], v[24:25], -v[26:27]
	v_mul_f64 v[164:165], v[164:165], v[172:173]
	v_fmac_f64_e32 v[164:165], v[166:167], v[24:25]
	s_waitcnt vmcnt(6)
	v_add_f64 v[22:23], v[22:23], -v[164:165]
	ds_read2_b64 v[164:167], v244 offset0:38 offset1:39
	v_add_f64 v[20:21], v[20:21], -v[26:27]
	s_waitcnt lgkmcnt(1)
	v_mul_f64 v[26:27], v[170:171], v[172:173]
	v_fma_f64 v[26:27], v[168:169], v[24:25], -v[26:27]
	v_mul_f64 v[168:169], v[168:169], v[172:173]
	v_fmac_f64_e32 v[168:169], v[170:171], v[24:25]
	s_waitcnt vmcnt(5)
	v_add_f64 v[16:17], v[16:17], -v[26:27]
	v_add_f64 v[18:19], v[18:19], -v[168:169]
	ds_read2_b64 v[168:171], v244 offset0:40 offset1:41
	s_waitcnt lgkmcnt(1)
	v_mul_f64 v[26:27], v[166:167], v[172:173]
	v_fma_f64 v[26:27], v[164:165], v[24:25], -v[26:27]
	v_mul_f64 v[164:165], v[164:165], v[172:173]
	v_fmac_f64_e32 v[164:165], v[166:167], v[24:25]
	s_waitcnt vmcnt(4)
	v_add_f64 v[14:15], v[14:15], -v[164:165]
	ds_read2_b64 v[164:167], v244 offset0:42 offset1:43
	v_add_f64 v[12:13], v[12:13], -v[26:27]
	s_waitcnt lgkmcnt(1)
	v_mul_f64 v[26:27], v[170:171], v[172:173]
	v_fma_f64 v[26:27], v[168:169], v[24:25], -v[26:27]
	v_mul_f64 v[168:169], v[168:169], v[172:173]
	v_fmac_f64_e32 v[168:169], v[170:171], v[24:25]
	s_waitcnt vmcnt(3)
	v_add_f64 v[8:9], v[8:9], -v[26:27]
	v_add_f64 v[10:11], v[10:11], -v[168:169]
	ds_read2_b64 v[168:171], v244 offset0:44 offset1:45
	s_waitcnt lgkmcnt(1)
	v_mul_f64 v[26:27], v[166:167], v[172:173]
	v_fma_f64 v[26:27], v[164:165], v[24:25], -v[26:27]
	v_mul_f64 v[164:165], v[164:165], v[172:173]
	v_fmac_f64_e32 v[164:165], v[166:167], v[24:25]
	s_waitcnt vmcnt(2)
	v_add_f64 v[6:7], v[6:7], -v[164:165]
	ds_read2_b64 v[164:167], v244 offset0:46 offset1:47
	v_add_f64 v[4:5], v[4:5], -v[26:27]
	s_waitcnt lgkmcnt(1)
	v_mul_f64 v[26:27], v[170:171], v[172:173]
	v_fma_f64 v[26:27], v[168:169], v[24:25], -v[26:27]
	s_waitcnt vmcnt(1)
	v_add_f64 v[0:1], v[0:1], -v[26:27]
	s_waitcnt lgkmcnt(0)
	v_mul_f64 v[26:27], v[166:167], v[172:173]
	v_mul_f64 v[168:169], v[168:169], v[172:173]
	v_fma_f64 v[26:27], v[164:165], v[24:25], -v[26:27]
	v_mul_f64 v[164:165], v[164:165], v[172:173]
	v_fmac_f64_e32 v[168:169], v[170:171], v[24:25]
	v_fmac_f64_e32 v[164:165], v[166:167], v[24:25]
	v_add_f64 v[2:3], v[2:3], -v[168:169]
	s_waitcnt vmcnt(0)
	v_add_f64 v[92:93], v[92:93], -v[26:27]
	v_add_f64 v[94:95], v[94:95], -v[164:165]
	v_mov_b64_e32 v[26:27], v[172:173]
.LBB47_154:
	s_or_b64 exec, exec, s[2:3]
	v_cmp_eq_u32_e32 vcc, 17, v242
	s_waitcnt lgkmcnt(0)
	s_barrier
	s_and_saveexec_b64 s[4:5], vcc
	s_cbranch_execz .LBB47_161
; %bb.155:
	s_waitcnt vmcnt(6)
	ds_write2_b64 v243, v[20:21], v[22:23] offset1:1
	s_waitcnt vmcnt(5)
	ds_write2_b64 v244, v[16:17], v[18:19] offset0:36 offset1:37
	s_waitcnt vmcnt(4)
	ds_write2_b64 v244, v[12:13], v[14:15] offset0:38 offset1:39
	s_waitcnt vmcnt(3)
	ds_write2_b64 v244, v[8:9], v[10:11] offset0:40 offset1:41
	s_waitcnt vmcnt(2)
	ds_write2_b64 v244, v[4:5], v[6:7] offset0:42 offset1:43
	s_waitcnt vmcnt(1)
	ds_write2_b64 v244, v[0:1], v[2:3] offset0:44 offset1:45
	s_waitcnt vmcnt(0)
	ds_write2_b64 v244, v[92:93], v[94:95] offset0:46 offset1:47
	ds_read2_b64 v[164:167], v243 offset1:1
	s_waitcnt lgkmcnt(0)
	v_cmp_neq_f64_e32 vcc, 0, v[164:165]
	v_cmp_neq_f64_e64 s[2:3], 0, v[166:167]
	s_or_b64 s[2:3], vcc, s[2:3]
	s_and_b64 exec, exec, s[2:3]
	s_cbranch_execz .LBB47_161
; %bb.156:
	v_cmp_ngt_f64_e64 s[2:3], |v[164:165]|, |v[166:167]|
                                        ; implicit-def: $vgpr168_vgpr169
	s_and_saveexec_b64 s[10:11], s[2:3]
	s_xor_b64 s[2:3], exec, s[10:11]
                                        ; implicit-def: $vgpr170_vgpr171
	s_cbranch_execz .LBB47_158
; %bb.157:
	v_div_scale_f64 v[168:169], s[10:11], v[166:167], v[166:167], v[164:165]
	v_rcp_f64_e32 v[170:171], v[168:169]
	v_div_scale_f64 v[172:173], vcc, v[164:165], v[166:167], v[164:165]
	v_fma_f64 v[174:175], -v[168:169], v[170:171], 1.0
	v_fmac_f64_e32 v[170:171], v[170:171], v[174:175]
	v_fma_f64 v[174:175], -v[168:169], v[170:171], 1.0
	v_fmac_f64_e32 v[170:171], v[170:171], v[174:175]
	v_mul_f64 v[174:175], v[172:173], v[170:171]
	v_fma_f64 v[168:169], -v[168:169], v[174:175], v[172:173]
	v_div_fmas_f64 v[168:169], v[168:169], v[170:171], v[174:175]
	v_div_fixup_f64 v[168:169], v[168:169], v[166:167], v[164:165]
	v_fmac_f64_e32 v[166:167], v[164:165], v[168:169]
	v_div_scale_f64 v[164:165], s[10:11], v[166:167], v[166:167], 1.0
	v_rcp_f64_e32 v[170:171], v[164:165]
	s_nop 0
	v_fma_f64 v[172:173], -v[164:165], v[170:171], 1.0
	v_fmac_f64_e32 v[170:171], v[170:171], v[172:173]
	v_fma_f64 v[172:173], -v[164:165], v[170:171], 1.0
	v_fmac_f64_e32 v[170:171], v[170:171], v[172:173]
	v_div_scale_f64 v[172:173], vcc, 1.0, v[166:167], 1.0
	v_mul_f64 v[174:175], v[172:173], v[170:171]
	v_fma_f64 v[164:165], -v[164:165], v[174:175], v[172:173]
	s_nop 1
	v_div_fmas_f64 v[164:165], v[164:165], v[170:171], v[174:175]
	v_div_fixup_f64 v[170:171], v[164:165], v[166:167], 1.0
	v_mul_f64 v[168:169], v[168:169], v[170:171]
	v_xor_b32_e32 v171, 0x80000000, v171
                                        ; implicit-def: $vgpr164_vgpr165
.LBB47_158:
	s_andn2_saveexec_b64 s[2:3], s[2:3]
	s_cbranch_execz .LBB47_160
; %bb.159:
	v_div_scale_f64 v[168:169], s[10:11], v[164:165], v[164:165], v[166:167]
	v_rcp_f64_e32 v[170:171], v[168:169]
	v_div_scale_f64 v[172:173], vcc, v[166:167], v[164:165], v[166:167]
	v_fma_f64 v[174:175], -v[168:169], v[170:171], 1.0
	v_fmac_f64_e32 v[170:171], v[170:171], v[174:175]
	v_fma_f64 v[174:175], -v[168:169], v[170:171], 1.0
	v_fmac_f64_e32 v[170:171], v[170:171], v[174:175]
	v_mul_f64 v[174:175], v[172:173], v[170:171]
	v_fma_f64 v[168:169], -v[168:169], v[174:175], v[172:173]
	v_div_fmas_f64 v[168:169], v[168:169], v[170:171], v[174:175]
	v_div_fixup_f64 v[170:171], v[168:169], v[164:165], v[166:167]
	v_fmac_f64_e32 v[164:165], v[166:167], v[170:171]
	v_div_scale_f64 v[166:167], s[10:11], v[164:165], v[164:165], 1.0
	v_rcp_f64_e32 v[168:169], v[166:167]
	s_nop 0
	v_fma_f64 v[172:173], -v[166:167], v[168:169], 1.0
	v_fmac_f64_e32 v[168:169], v[168:169], v[172:173]
	v_fma_f64 v[172:173], -v[166:167], v[168:169], 1.0
	v_fmac_f64_e32 v[168:169], v[168:169], v[172:173]
	v_div_scale_f64 v[172:173], vcc, 1.0, v[164:165], 1.0
	v_mul_f64 v[174:175], v[172:173], v[168:169]
	v_fma_f64 v[166:167], -v[166:167], v[174:175], v[172:173]
	s_nop 1
	v_div_fmas_f64 v[166:167], v[166:167], v[168:169], v[174:175]
	v_div_fixup_f64 v[168:169], v[166:167], v[164:165], 1.0
	v_mul_f64 v[170:171], v[170:171], -v[168:169]
.LBB47_160:
	s_or_b64 exec, exec, s[2:3]
	ds_write2_b64 v243, v[168:169], v[170:171] offset1:1
.LBB47_161:
	s_or_b64 exec, exec, s[4:5]
	s_waitcnt lgkmcnt(0)
	s_barrier
	ds_read2_b64 v[164:167], v243 offset1:1
	v_cmp_lt_u32_e32 vcc, 17, v242
	s_and_saveexec_b64 s[2:3], vcc
	s_cbranch_execz .LBB47_163
; %bb.162:
	ds_read2_b64 v[168:171], v244 offset0:36 offset1:37
	ds_read2_b64 v[172:175], v244 offset0:38 offset1:39
	s_waitcnt vmcnt(6) lgkmcnt(2)
	v_mul_f64 v[176:177], v[164:165], v[22:23]
	v_fmac_f64_e32 v[176:177], v[166:167], v[20:21]
	v_mul_f64 v[22:23], v[166:167], v[22:23]
	v_fma_f64 v[20:21], v[164:165], v[20:21], -v[22:23]
	s_waitcnt lgkmcnt(1)
	v_mul_f64 v[22:23], v[170:171], v[176:177]
	v_fma_f64 v[22:23], v[168:169], v[20:21], -v[22:23]
	v_mul_f64 v[168:169], v[168:169], v[176:177]
	v_fmac_f64_e32 v[168:169], v[170:171], v[20:21]
	s_waitcnt vmcnt(5)
	v_add_f64 v[16:17], v[16:17], -v[22:23]
	v_add_f64 v[18:19], v[18:19], -v[168:169]
	s_waitcnt lgkmcnt(0)
	v_mul_f64 v[22:23], v[174:175], v[176:177]
	ds_read2_b64 v[168:171], v244 offset0:40 offset1:41
	v_fma_f64 v[22:23], v[172:173], v[20:21], -v[22:23]
	v_mul_f64 v[172:173], v[172:173], v[176:177]
	v_fmac_f64_e32 v[172:173], v[174:175], v[20:21]
	s_waitcnt vmcnt(4)
	v_add_f64 v[14:15], v[14:15], -v[172:173]
	ds_read2_b64 v[172:175], v244 offset0:42 offset1:43
	v_add_f64 v[12:13], v[12:13], -v[22:23]
	s_waitcnt lgkmcnt(1)
	v_mul_f64 v[22:23], v[170:171], v[176:177]
	v_fma_f64 v[22:23], v[168:169], v[20:21], -v[22:23]
	v_mul_f64 v[168:169], v[168:169], v[176:177]
	v_fmac_f64_e32 v[168:169], v[170:171], v[20:21]
	s_waitcnt vmcnt(3)
	v_add_f64 v[8:9], v[8:9], -v[22:23]
	v_add_f64 v[10:11], v[10:11], -v[168:169]
	s_waitcnt lgkmcnt(0)
	v_mul_f64 v[22:23], v[174:175], v[176:177]
	ds_read2_b64 v[168:171], v244 offset0:44 offset1:45
	v_fma_f64 v[22:23], v[172:173], v[20:21], -v[22:23]
	v_mul_f64 v[172:173], v[172:173], v[176:177]
	v_fmac_f64_e32 v[172:173], v[174:175], v[20:21]
	s_waitcnt vmcnt(2)
	v_add_f64 v[6:7], v[6:7], -v[172:173]
	ds_read2_b64 v[172:175], v244 offset0:46 offset1:47
	v_add_f64 v[4:5], v[4:5], -v[22:23]
	s_waitcnt lgkmcnt(1)
	v_mul_f64 v[22:23], v[170:171], v[176:177]
	v_fma_f64 v[22:23], v[168:169], v[20:21], -v[22:23]
	v_mul_f64 v[168:169], v[168:169], v[176:177]
	v_fmac_f64_e32 v[168:169], v[170:171], v[20:21]
	s_waitcnt vmcnt(1)
	v_add_f64 v[0:1], v[0:1], -v[22:23]
	v_add_f64 v[2:3], v[2:3], -v[168:169]
	s_waitcnt lgkmcnt(0)
	v_mul_f64 v[22:23], v[174:175], v[176:177]
	v_mul_f64 v[168:169], v[172:173], v[176:177]
	v_fma_f64 v[22:23], v[172:173], v[20:21], -v[22:23]
	v_fmac_f64_e32 v[168:169], v[174:175], v[20:21]
	s_waitcnt vmcnt(0)
	v_add_f64 v[92:93], v[92:93], -v[22:23]
	v_add_f64 v[94:95], v[94:95], -v[168:169]
	v_mov_b64_e32 v[22:23], v[176:177]
.LBB47_163:
	s_or_b64 exec, exec, s[2:3]
	v_cmp_eq_u32_e32 vcc, 18, v242
	s_waitcnt lgkmcnt(0)
	s_barrier
	s_and_saveexec_b64 s[4:5], vcc
	s_cbranch_execz .LBB47_170
; %bb.164:
	s_waitcnt vmcnt(5)
	ds_write2_b64 v243, v[16:17], v[18:19] offset1:1
	s_waitcnt vmcnt(4)
	ds_write2_b64 v244, v[12:13], v[14:15] offset0:38 offset1:39
	s_waitcnt vmcnt(3)
	ds_write2_b64 v244, v[8:9], v[10:11] offset0:40 offset1:41
	;; [unrolled: 2-line block ×5, first 2 shown]
	ds_read2_b64 v[168:171], v243 offset1:1
	s_waitcnt lgkmcnt(0)
	v_cmp_neq_f64_e32 vcc, 0, v[168:169]
	v_cmp_neq_f64_e64 s[2:3], 0, v[170:171]
	s_or_b64 s[2:3], vcc, s[2:3]
	s_and_b64 exec, exec, s[2:3]
	s_cbranch_execz .LBB47_170
; %bb.165:
	v_cmp_ngt_f64_e64 s[2:3], |v[168:169]|, |v[170:171]|
                                        ; implicit-def: $vgpr172_vgpr173
	s_and_saveexec_b64 s[10:11], s[2:3]
	s_xor_b64 s[2:3], exec, s[10:11]
                                        ; implicit-def: $vgpr174_vgpr175
	s_cbranch_execz .LBB47_167
; %bb.166:
	v_div_scale_f64 v[172:173], s[10:11], v[170:171], v[170:171], v[168:169]
	v_rcp_f64_e32 v[174:175], v[172:173]
	v_div_scale_f64 v[176:177], vcc, v[168:169], v[170:171], v[168:169]
	v_fma_f64 v[178:179], -v[172:173], v[174:175], 1.0
	v_fmac_f64_e32 v[174:175], v[174:175], v[178:179]
	v_fma_f64 v[178:179], -v[172:173], v[174:175], 1.0
	v_fmac_f64_e32 v[174:175], v[174:175], v[178:179]
	v_mul_f64 v[178:179], v[176:177], v[174:175]
	v_fma_f64 v[172:173], -v[172:173], v[178:179], v[176:177]
	v_div_fmas_f64 v[172:173], v[172:173], v[174:175], v[178:179]
	v_div_fixup_f64 v[172:173], v[172:173], v[170:171], v[168:169]
	v_fmac_f64_e32 v[170:171], v[168:169], v[172:173]
	v_div_scale_f64 v[168:169], s[10:11], v[170:171], v[170:171], 1.0
	v_rcp_f64_e32 v[174:175], v[168:169]
	s_nop 0
	v_fma_f64 v[176:177], -v[168:169], v[174:175], 1.0
	v_fmac_f64_e32 v[174:175], v[174:175], v[176:177]
	v_fma_f64 v[176:177], -v[168:169], v[174:175], 1.0
	v_fmac_f64_e32 v[174:175], v[174:175], v[176:177]
	v_div_scale_f64 v[176:177], vcc, 1.0, v[170:171], 1.0
	v_mul_f64 v[178:179], v[176:177], v[174:175]
	v_fma_f64 v[168:169], -v[168:169], v[178:179], v[176:177]
	s_nop 1
	v_div_fmas_f64 v[168:169], v[168:169], v[174:175], v[178:179]
	v_div_fixup_f64 v[174:175], v[168:169], v[170:171], 1.0
	v_mul_f64 v[172:173], v[172:173], v[174:175]
	v_xor_b32_e32 v175, 0x80000000, v175
                                        ; implicit-def: $vgpr168_vgpr169
.LBB47_167:
	s_andn2_saveexec_b64 s[2:3], s[2:3]
	s_cbranch_execz .LBB47_169
; %bb.168:
	v_div_scale_f64 v[172:173], s[10:11], v[168:169], v[168:169], v[170:171]
	v_rcp_f64_e32 v[174:175], v[172:173]
	v_div_scale_f64 v[176:177], vcc, v[170:171], v[168:169], v[170:171]
	v_fma_f64 v[178:179], -v[172:173], v[174:175], 1.0
	v_fmac_f64_e32 v[174:175], v[174:175], v[178:179]
	v_fma_f64 v[178:179], -v[172:173], v[174:175], 1.0
	v_fmac_f64_e32 v[174:175], v[174:175], v[178:179]
	v_mul_f64 v[178:179], v[176:177], v[174:175]
	v_fma_f64 v[172:173], -v[172:173], v[178:179], v[176:177]
	v_div_fmas_f64 v[172:173], v[172:173], v[174:175], v[178:179]
	v_div_fixup_f64 v[174:175], v[172:173], v[168:169], v[170:171]
	v_fmac_f64_e32 v[168:169], v[170:171], v[174:175]
	v_div_scale_f64 v[170:171], s[10:11], v[168:169], v[168:169], 1.0
	v_rcp_f64_e32 v[172:173], v[170:171]
	s_nop 0
	v_fma_f64 v[176:177], -v[170:171], v[172:173], 1.0
	v_fmac_f64_e32 v[172:173], v[172:173], v[176:177]
	v_fma_f64 v[176:177], -v[170:171], v[172:173], 1.0
	v_fmac_f64_e32 v[172:173], v[172:173], v[176:177]
	v_div_scale_f64 v[176:177], vcc, 1.0, v[168:169], 1.0
	v_mul_f64 v[178:179], v[176:177], v[172:173]
	v_fma_f64 v[170:171], -v[170:171], v[178:179], v[176:177]
	s_nop 1
	v_div_fmas_f64 v[170:171], v[170:171], v[172:173], v[178:179]
	v_div_fixup_f64 v[172:173], v[170:171], v[168:169], 1.0
	v_mul_f64 v[174:175], v[174:175], -v[172:173]
.LBB47_169:
	s_or_b64 exec, exec, s[2:3]
	ds_write2_b64 v243, v[172:173], v[174:175] offset1:1
.LBB47_170:
	s_or_b64 exec, exec, s[4:5]
	s_waitcnt lgkmcnt(0)
	s_barrier
	ds_read2_b64 v[168:171], v243 offset1:1
	v_cmp_lt_u32_e32 vcc, 18, v242
	s_and_saveexec_b64 s[2:3], vcc
	s_cbranch_execz .LBB47_172
; %bb.171:
	ds_read2_b64 v[172:175], v244 offset0:38 offset1:39
	ds_read2_b64 v[176:179], v244 offset0:40 offset1:41
	s_waitcnt vmcnt(5) lgkmcnt(2)
	v_mul_f64 v[180:181], v[168:169], v[18:19]
	v_fmac_f64_e32 v[180:181], v[170:171], v[16:17]
	v_mul_f64 v[18:19], v[170:171], v[18:19]
	v_fma_f64 v[16:17], v[168:169], v[16:17], -v[18:19]
	s_waitcnt lgkmcnt(1)
	v_mul_f64 v[18:19], v[174:175], v[180:181]
	v_fma_f64 v[18:19], v[172:173], v[16:17], -v[18:19]
	v_mul_f64 v[172:173], v[172:173], v[180:181]
	v_fmac_f64_e32 v[172:173], v[174:175], v[16:17]
	s_waitcnt vmcnt(4)
	v_add_f64 v[14:15], v[14:15], -v[172:173]
	ds_read2_b64 v[172:175], v244 offset0:42 offset1:43
	v_add_f64 v[12:13], v[12:13], -v[18:19]
	s_waitcnt lgkmcnt(1)
	v_mul_f64 v[18:19], v[178:179], v[180:181]
	v_fma_f64 v[18:19], v[176:177], v[16:17], -v[18:19]
	v_mul_f64 v[176:177], v[176:177], v[180:181]
	v_fmac_f64_e32 v[176:177], v[178:179], v[16:17]
	s_waitcnt vmcnt(3)
	v_add_f64 v[8:9], v[8:9], -v[18:19]
	v_add_f64 v[10:11], v[10:11], -v[176:177]
	ds_read2_b64 v[176:179], v244 offset0:44 offset1:45
	s_waitcnt lgkmcnt(1)
	v_mul_f64 v[18:19], v[174:175], v[180:181]
	v_fma_f64 v[18:19], v[172:173], v[16:17], -v[18:19]
	v_mul_f64 v[172:173], v[172:173], v[180:181]
	v_fmac_f64_e32 v[172:173], v[174:175], v[16:17]
	s_waitcnt vmcnt(2)
	v_add_f64 v[6:7], v[6:7], -v[172:173]
	ds_read2_b64 v[172:175], v244 offset0:46 offset1:47
	v_add_f64 v[4:5], v[4:5], -v[18:19]
	s_waitcnt lgkmcnt(1)
	v_mul_f64 v[18:19], v[178:179], v[180:181]
	v_fma_f64 v[18:19], v[176:177], v[16:17], -v[18:19]
	s_waitcnt vmcnt(1)
	v_add_f64 v[0:1], v[0:1], -v[18:19]
	s_waitcnt lgkmcnt(0)
	v_mul_f64 v[18:19], v[174:175], v[180:181]
	v_mul_f64 v[176:177], v[176:177], v[180:181]
	v_fma_f64 v[18:19], v[172:173], v[16:17], -v[18:19]
	v_mul_f64 v[172:173], v[172:173], v[180:181]
	v_fmac_f64_e32 v[176:177], v[178:179], v[16:17]
	v_fmac_f64_e32 v[172:173], v[174:175], v[16:17]
	v_add_f64 v[2:3], v[2:3], -v[176:177]
	s_waitcnt vmcnt(0)
	v_add_f64 v[92:93], v[92:93], -v[18:19]
	v_add_f64 v[94:95], v[94:95], -v[172:173]
	v_mov_b64_e32 v[18:19], v[180:181]
.LBB47_172:
	s_or_b64 exec, exec, s[2:3]
	v_cmp_eq_u32_e32 vcc, 19, v242
	s_waitcnt lgkmcnt(0)
	s_barrier
	s_and_saveexec_b64 s[4:5], vcc
	s_cbranch_execz .LBB47_179
; %bb.173:
	s_waitcnt vmcnt(4)
	ds_write2_b64 v243, v[12:13], v[14:15] offset1:1
	s_waitcnt vmcnt(3)
	ds_write2_b64 v244, v[8:9], v[10:11] offset0:40 offset1:41
	s_waitcnt vmcnt(2)
	ds_write2_b64 v244, v[4:5], v[6:7] offset0:42 offset1:43
	;; [unrolled: 2-line block ×4, first 2 shown]
	ds_read2_b64 v[172:175], v243 offset1:1
	s_waitcnt lgkmcnt(0)
	v_cmp_neq_f64_e32 vcc, 0, v[172:173]
	v_cmp_neq_f64_e64 s[2:3], 0, v[174:175]
	s_or_b64 s[2:3], vcc, s[2:3]
	s_and_b64 exec, exec, s[2:3]
	s_cbranch_execz .LBB47_179
; %bb.174:
	v_cmp_ngt_f64_e64 s[2:3], |v[172:173]|, |v[174:175]|
                                        ; implicit-def: $vgpr176_vgpr177
	s_and_saveexec_b64 s[10:11], s[2:3]
	s_xor_b64 s[2:3], exec, s[10:11]
                                        ; implicit-def: $vgpr178_vgpr179
	s_cbranch_execz .LBB47_176
; %bb.175:
	v_div_scale_f64 v[176:177], s[10:11], v[174:175], v[174:175], v[172:173]
	v_rcp_f64_e32 v[178:179], v[176:177]
	v_div_scale_f64 v[180:181], vcc, v[172:173], v[174:175], v[172:173]
	v_fma_f64 v[182:183], -v[176:177], v[178:179], 1.0
	v_fmac_f64_e32 v[178:179], v[178:179], v[182:183]
	v_fma_f64 v[182:183], -v[176:177], v[178:179], 1.0
	v_fmac_f64_e32 v[178:179], v[178:179], v[182:183]
	v_mul_f64 v[182:183], v[180:181], v[178:179]
	v_fma_f64 v[176:177], -v[176:177], v[182:183], v[180:181]
	v_div_fmas_f64 v[176:177], v[176:177], v[178:179], v[182:183]
	v_div_fixup_f64 v[176:177], v[176:177], v[174:175], v[172:173]
	v_fmac_f64_e32 v[174:175], v[172:173], v[176:177]
	v_div_scale_f64 v[172:173], s[10:11], v[174:175], v[174:175], 1.0
	v_rcp_f64_e32 v[178:179], v[172:173]
	s_nop 0
	v_fma_f64 v[180:181], -v[172:173], v[178:179], 1.0
	v_fmac_f64_e32 v[178:179], v[178:179], v[180:181]
	v_fma_f64 v[180:181], -v[172:173], v[178:179], 1.0
	v_fmac_f64_e32 v[178:179], v[178:179], v[180:181]
	v_div_scale_f64 v[180:181], vcc, 1.0, v[174:175], 1.0
	v_mul_f64 v[182:183], v[180:181], v[178:179]
	v_fma_f64 v[172:173], -v[172:173], v[182:183], v[180:181]
	s_nop 1
	v_div_fmas_f64 v[172:173], v[172:173], v[178:179], v[182:183]
	v_div_fixup_f64 v[178:179], v[172:173], v[174:175], 1.0
	v_mul_f64 v[176:177], v[176:177], v[178:179]
	v_xor_b32_e32 v179, 0x80000000, v179
                                        ; implicit-def: $vgpr172_vgpr173
.LBB47_176:
	s_andn2_saveexec_b64 s[2:3], s[2:3]
	s_cbranch_execz .LBB47_178
; %bb.177:
	v_div_scale_f64 v[176:177], s[10:11], v[172:173], v[172:173], v[174:175]
	v_rcp_f64_e32 v[178:179], v[176:177]
	v_div_scale_f64 v[180:181], vcc, v[174:175], v[172:173], v[174:175]
	v_fma_f64 v[182:183], -v[176:177], v[178:179], 1.0
	v_fmac_f64_e32 v[178:179], v[178:179], v[182:183]
	v_fma_f64 v[182:183], -v[176:177], v[178:179], 1.0
	v_fmac_f64_e32 v[178:179], v[178:179], v[182:183]
	v_mul_f64 v[182:183], v[180:181], v[178:179]
	v_fma_f64 v[176:177], -v[176:177], v[182:183], v[180:181]
	v_div_fmas_f64 v[176:177], v[176:177], v[178:179], v[182:183]
	v_div_fixup_f64 v[178:179], v[176:177], v[172:173], v[174:175]
	v_fmac_f64_e32 v[172:173], v[174:175], v[178:179]
	v_div_scale_f64 v[174:175], s[10:11], v[172:173], v[172:173], 1.0
	v_rcp_f64_e32 v[176:177], v[174:175]
	s_nop 0
	v_fma_f64 v[180:181], -v[174:175], v[176:177], 1.0
	v_fmac_f64_e32 v[176:177], v[176:177], v[180:181]
	v_fma_f64 v[180:181], -v[174:175], v[176:177], 1.0
	v_fmac_f64_e32 v[176:177], v[176:177], v[180:181]
	v_div_scale_f64 v[180:181], vcc, 1.0, v[172:173], 1.0
	v_mul_f64 v[182:183], v[180:181], v[176:177]
	v_fma_f64 v[174:175], -v[174:175], v[182:183], v[180:181]
	s_nop 1
	v_div_fmas_f64 v[174:175], v[174:175], v[176:177], v[182:183]
	v_div_fixup_f64 v[176:177], v[174:175], v[172:173], 1.0
	v_mul_f64 v[178:179], v[178:179], -v[176:177]
.LBB47_178:
	s_or_b64 exec, exec, s[2:3]
	ds_write2_b64 v243, v[176:177], v[178:179] offset1:1
.LBB47_179:
	s_or_b64 exec, exec, s[4:5]
	s_waitcnt lgkmcnt(0)
	s_barrier
	ds_read2_b64 v[172:175], v243 offset1:1
	v_cmp_lt_u32_e32 vcc, 19, v242
	s_and_saveexec_b64 s[2:3], vcc
	s_cbranch_execz .LBB47_181
; %bb.180:
	ds_read2_b64 v[176:179], v244 offset0:40 offset1:41
	ds_read2_b64 v[180:183], v244 offset0:42 offset1:43
	s_waitcnt vmcnt(4) lgkmcnt(2)
	v_mul_f64 v[184:185], v[172:173], v[14:15]
	v_fmac_f64_e32 v[184:185], v[174:175], v[12:13]
	v_mul_f64 v[14:15], v[174:175], v[14:15]
	v_fma_f64 v[12:13], v[172:173], v[12:13], -v[14:15]
	s_waitcnt lgkmcnt(1)
	v_mul_f64 v[14:15], v[178:179], v[184:185]
	v_fma_f64 v[14:15], v[176:177], v[12:13], -v[14:15]
	v_mul_f64 v[176:177], v[176:177], v[184:185]
	v_fmac_f64_e32 v[176:177], v[178:179], v[12:13]
	s_waitcnt vmcnt(3)
	v_add_f64 v[8:9], v[8:9], -v[14:15]
	v_add_f64 v[10:11], v[10:11], -v[176:177]
	s_waitcnt lgkmcnt(0)
	v_mul_f64 v[14:15], v[182:183], v[184:185]
	ds_read2_b64 v[176:179], v244 offset0:44 offset1:45
	v_fma_f64 v[14:15], v[180:181], v[12:13], -v[14:15]
	v_mul_f64 v[180:181], v[180:181], v[184:185]
	v_fmac_f64_e32 v[180:181], v[182:183], v[12:13]
	s_waitcnt vmcnt(2)
	v_add_f64 v[6:7], v[6:7], -v[180:181]
	ds_read2_b64 v[180:183], v244 offset0:46 offset1:47
	v_add_f64 v[4:5], v[4:5], -v[14:15]
	s_waitcnt lgkmcnt(1)
	v_mul_f64 v[14:15], v[178:179], v[184:185]
	v_fma_f64 v[14:15], v[176:177], v[12:13], -v[14:15]
	v_mul_f64 v[176:177], v[176:177], v[184:185]
	v_fmac_f64_e32 v[176:177], v[178:179], v[12:13]
	s_waitcnt vmcnt(1)
	v_add_f64 v[0:1], v[0:1], -v[14:15]
	v_add_f64 v[2:3], v[2:3], -v[176:177]
	s_waitcnt lgkmcnt(0)
	v_mul_f64 v[14:15], v[182:183], v[184:185]
	v_mul_f64 v[176:177], v[180:181], v[184:185]
	v_fma_f64 v[14:15], v[180:181], v[12:13], -v[14:15]
	v_fmac_f64_e32 v[176:177], v[182:183], v[12:13]
	s_waitcnt vmcnt(0)
	v_add_f64 v[92:93], v[92:93], -v[14:15]
	v_add_f64 v[94:95], v[94:95], -v[176:177]
	v_mov_b64_e32 v[14:15], v[184:185]
.LBB47_181:
	s_or_b64 exec, exec, s[2:3]
	v_cmp_eq_u32_e32 vcc, 20, v242
	s_waitcnt lgkmcnt(0)
	s_barrier
	s_and_saveexec_b64 s[4:5], vcc
	s_cbranch_execz .LBB47_188
; %bb.182:
	s_waitcnt vmcnt(3)
	ds_write2_b64 v243, v[8:9], v[10:11] offset1:1
	s_waitcnt vmcnt(2)
	ds_write2_b64 v244, v[4:5], v[6:7] offset0:42 offset1:43
	s_waitcnt vmcnt(1)
	ds_write2_b64 v244, v[0:1], v[2:3] offset0:44 offset1:45
	;; [unrolled: 2-line block ×3, first 2 shown]
	ds_read2_b64 v[176:179], v243 offset1:1
	s_waitcnt lgkmcnt(0)
	v_cmp_neq_f64_e32 vcc, 0, v[176:177]
	v_cmp_neq_f64_e64 s[2:3], 0, v[178:179]
	s_or_b64 s[2:3], vcc, s[2:3]
	s_and_b64 exec, exec, s[2:3]
	s_cbranch_execz .LBB47_188
; %bb.183:
	v_cmp_ngt_f64_e64 s[2:3], |v[176:177]|, |v[178:179]|
                                        ; implicit-def: $vgpr180_vgpr181
	s_and_saveexec_b64 s[10:11], s[2:3]
	s_xor_b64 s[2:3], exec, s[10:11]
                                        ; implicit-def: $vgpr182_vgpr183
	s_cbranch_execz .LBB47_185
; %bb.184:
	v_div_scale_f64 v[180:181], s[10:11], v[178:179], v[178:179], v[176:177]
	v_rcp_f64_e32 v[182:183], v[180:181]
	v_div_scale_f64 v[184:185], vcc, v[176:177], v[178:179], v[176:177]
	v_fma_f64 v[186:187], -v[180:181], v[182:183], 1.0
	v_fmac_f64_e32 v[182:183], v[182:183], v[186:187]
	v_fma_f64 v[186:187], -v[180:181], v[182:183], 1.0
	v_fmac_f64_e32 v[182:183], v[182:183], v[186:187]
	v_mul_f64 v[186:187], v[184:185], v[182:183]
	v_fma_f64 v[180:181], -v[180:181], v[186:187], v[184:185]
	v_div_fmas_f64 v[180:181], v[180:181], v[182:183], v[186:187]
	v_div_fixup_f64 v[180:181], v[180:181], v[178:179], v[176:177]
	v_fmac_f64_e32 v[178:179], v[176:177], v[180:181]
	v_div_scale_f64 v[176:177], s[10:11], v[178:179], v[178:179], 1.0
	v_rcp_f64_e32 v[182:183], v[176:177]
	s_nop 0
	v_fma_f64 v[184:185], -v[176:177], v[182:183], 1.0
	v_fmac_f64_e32 v[182:183], v[182:183], v[184:185]
	v_fma_f64 v[184:185], -v[176:177], v[182:183], 1.0
	v_fmac_f64_e32 v[182:183], v[182:183], v[184:185]
	v_div_scale_f64 v[184:185], vcc, 1.0, v[178:179], 1.0
	v_mul_f64 v[186:187], v[184:185], v[182:183]
	v_fma_f64 v[176:177], -v[176:177], v[186:187], v[184:185]
	s_nop 1
	v_div_fmas_f64 v[176:177], v[176:177], v[182:183], v[186:187]
	v_div_fixup_f64 v[182:183], v[176:177], v[178:179], 1.0
	v_mul_f64 v[180:181], v[180:181], v[182:183]
	v_xor_b32_e32 v183, 0x80000000, v183
                                        ; implicit-def: $vgpr176_vgpr177
.LBB47_185:
	s_andn2_saveexec_b64 s[2:3], s[2:3]
	s_cbranch_execz .LBB47_187
; %bb.186:
	v_div_scale_f64 v[180:181], s[10:11], v[176:177], v[176:177], v[178:179]
	v_rcp_f64_e32 v[182:183], v[180:181]
	v_div_scale_f64 v[184:185], vcc, v[178:179], v[176:177], v[178:179]
	v_fma_f64 v[186:187], -v[180:181], v[182:183], 1.0
	v_fmac_f64_e32 v[182:183], v[182:183], v[186:187]
	v_fma_f64 v[186:187], -v[180:181], v[182:183], 1.0
	v_fmac_f64_e32 v[182:183], v[182:183], v[186:187]
	v_mul_f64 v[186:187], v[184:185], v[182:183]
	v_fma_f64 v[180:181], -v[180:181], v[186:187], v[184:185]
	v_div_fmas_f64 v[180:181], v[180:181], v[182:183], v[186:187]
	v_div_fixup_f64 v[182:183], v[180:181], v[176:177], v[178:179]
	v_fmac_f64_e32 v[176:177], v[178:179], v[182:183]
	v_div_scale_f64 v[178:179], s[10:11], v[176:177], v[176:177], 1.0
	v_rcp_f64_e32 v[180:181], v[178:179]
	s_nop 0
	v_fma_f64 v[184:185], -v[178:179], v[180:181], 1.0
	v_fmac_f64_e32 v[180:181], v[180:181], v[184:185]
	v_fma_f64 v[184:185], -v[178:179], v[180:181], 1.0
	v_fmac_f64_e32 v[180:181], v[180:181], v[184:185]
	v_div_scale_f64 v[184:185], vcc, 1.0, v[176:177], 1.0
	v_mul_f64 v[186:187], v[184:185], v[180:181]
	v_fma_f64 v[178:179], -v[178:179], v[186:187], v[184:185]
	s_nop 1
	v_div_fmas_f64 v[178:179], v[178:179], v[180:181], v[186:187]
	v_div_fixup_f64 v[180:181], v[178:179], v[176:177], 1.0
	v_mul_f64 v[182:183], v[182:183], -v[180:181]
.LBB47_187:
	s_or_b64 exec, exec, s[2:3]
	ds_write2_b64 v243, v[180:181], v[182:183] offset1:1
.LBB47_188:
	s_or_b64 exec, exec, s[4:5]
	s_waitcnt lgkmcnt(0)
	s_barrier
	ds_read2_b64 v[176:179], v243 offset1:1
	v_cmp_lt_u32_e32 vcc, 20, v242
	s_and_saveexec_b64 s[2:3], vcc
	s_cbranch_execz .LBB47_190
; %bb.189:
	ds_read2_b64 v[180:183], v244 offset0:42 offset1:43
	ds_read2_b64 v[184:187], v244 offset0:44 offset1:45
	s_waitcnt vmcnt(3) lgkmcnt(2)
	v_mul_f64 v[188:189], v[176:177], v[10:11]
	v_fmac_f64_e32 v[188:189], v[178:179], v[8:9]
	v_mul_f64 v[10:11], v[178:179], v[10:11]
	v_fma_f64 v[8:9], v[176:177], v[8:9], -v[10:11]
	s_waitcnt lgkmcnt(1)
	v_mul_f64 v[10:11], v[182:183], v[188:189]
	v_fma_f64 v[10:11], v[180:181], v[8:9], -v[10:11]
	v_mul_f64 v[180:181], v[180:181], v[188:189]
	v_fmac_f64_e32 v[180:181], v[182:183], v[8:9]
	s_waitcnt vmcnt(2)
	v_add_f64 v[6:7], v[6:7], -v[180:181]
	ds_read2_b64 v[180:183], v244 offset0:46 offset1:47
	v_add_f64 v[4:5], v[4:5], -v[10:11]
	s_waitcnt lgkmcnt(1)
	v_mul_f64 v[10:11], v[186:187], v[188:189]
	v_fma_f64 v[10:11], v[184:185], v[8:9], -v[10:11]
	s_waitcnt vmcnt(1)
	v_add_f64 v[0:1], v[0:1], -v[10:11]
	s_waitcnt lgkmcnt(0)
	v_mul_f64 v[10:11], v[182:183], v[188:189]
	v_mul_f64 v[184:185], v[184:185], v[188:189]
	v_fma_f64 v[10:11], v[180:181], v[8:9], -v[10:11]
	v_mul_f64 v[180:181], v[180:181], v[188:189]
	v_fmac_f64_e32 v[184:185], v[186:187], v[8:9]
	v_fmac_f64_e32 v[180:181], v[182:183], v[8:9]
	v_add_f64 v[2:3], v[2:3], -v[184:185]
	s_waitcnt vmcnt(0)
	v_add_f64 v[92:93], v[92:93], -v[10:11]
	v_add_f64 v[94:95], v[94:95], -v[180:181]
	v_mov_b64_e32 v[10:11], v[188:189]
.LBB47_190:
	s_or_b64 exec, exec, s[2:3]
	v_cmp_eq_u32_e32 vcc, 21, v242
	s_waitcnt lgkmcnt(0)
	s_barrier
	s_and_saveexec_b64 s[4:5], vcc
	s_cbranch_execz .LBB47_197
; %bb.191:
	s_waitcnt vmcnt(2)
	ds_write2_b64 v243, v[4:5], v[6:7] offset1:1
	s_waitcnt vmcnt(1)
	ds_write2_b64 v244, v[0:1], v[2:3] offset0:44 offset1:45
	s_waitcnt vmcnt(0)
	ds_write2_b64 v244, v[92:93], v[94:95] offset0:46 offset1:47
	ds_read2_b64 v[180:183], v243 offset1:1
	s_waitcnt lgkmcnt(0)
	v_cmp_neq_f64_e32 vcc, 0, v[180:181]
	v_cmp_neq_f64_e64 s[2:3], 0, v[182:183]
	s_or_b64 s[2:3], vcc, s[2:3]
	s_and_b64 exec, exec, s[2:3]
	s_cbranch_execz .LBB47_197
; %bb.192:
	v_cmp_ngt_f64_e64 s[2:3], |v[180:181]|, |v[182:183]|
                                        ; implicit-def: $vgpr184_vgpr185
	s_and_saveexec_b64 s[10:11], s[2:3]
	s_xor_b64 s[2:3], exec, s[10:11]
                                        ; implicit-def: $vgpr186_vgpr187
	s_cbranch_execz .LBB47_194
; %bb.193:
	v_div_scale_f64 v[184:185], s[10:11], v[182:183], v[182:183], v[180:181]
	v_rcp_f64_e32 v[186:187], v[184:185]
	v_div_scale_f64 v[188:189], vcc, v[180:181], v[182:183], v[180:181]
	v_fma_f64 v[190:191], -v[184:185], v[186:187], 1.0
	v_fmac_f64_e32 v[186:187], v[186:187], v[190:191]
	v_fma_f64 v[190:191], -v[184:185], v[186:187], 1.0
	v_fmac_f64_e32 v[186:187], v[186:187], v[190:191]
	v_mul_f64 v[190:191], v[188:189], v[186:187]
	v_fma_f64 v[184:185], -v[184:185], v[190:191], v[188:189]
	v_div_fmas_f64 v[184:185], v[184:185], v[186:187], v[190:191]
	v_div_fixup_f64 v[184:185], v[184:185], v[182:183], v[180:181]
	v_fmac_f64_e32 v[182:183], v[180:181], v[184:185]
	v_div_scale_f64 v[180:181], s[10:11], v[182:183], v[182:183], 1.0
	v_rcp_f64_e32 v[186:187], v[180:181]
	s_nop 0
	v_fma_f64 v[188:189], -v[180:181], v[186:187], 1.0
	v_fmac_f64_e32 v[186:187], v[186:187], v[188:189]
	v_fma_f64 v[188:189], -v[180:181], v[186:187], 1.0
	v_fmac_f64_e32 v[186:187], v[186:187], v[188:189]
	v_div_scale_f64 v[188:189], vcc, 1.0, v[182:183], 1.0
	v_mul_f64 v[190:191], v[188:189], v[186:187]
	v_fma_f64 v[180:181], -v[180:181], v[190:191], v[188:189]
	s_nop 1
	v_div_fmas_f64 v[180:181], v[180:181], v[186:187], v[190:191]
	v_div_fixup_f64 v[186:187], v[180:181], v[182:183], 1.0
	v_mul_f64 v[184:185], v[184:185], v[186:187]
	v_xor_b32_e32 v187, 0x80000000, v187
                                        ; implicit-def: $vgpr180_vgpr181
.LBB47_194:
	s_andn2_saveexec_b64 s[2:3], s[2:3]
	s_cbranch_execz .LBB47_196
; %bb.195:
	v_div_scale_f64 v[184:185], s[10:11], v[180:181], v[180:181], v[182:183]
	v_rcp_f64_e32 v[186:187], v[184:185]
	v_div_scale_f64 v[188:189], vcc, v[182:183], v[180:181], v[182:183]
	v_fma_f64 v[190:191], -v[184:185], v[186:187], 1.0
	v_fmac_f64_e32 v[186:187], v[186:187], v[190:191]
	v_fma_f64 v[190:191], -v[184:185], v[186:187], 1.0
	v_fmac_f64_e32 v[186:187], v[186:187], v[190:191]
	v_mul_f64 v[190:191], v[188:189], v[186:187]
	v_fma_f64 v[184:185], -v[184:185], v[190:191], v[188:189]
	v_div_fmas_f64 v[184:185], v[184:185], v[186:187], v[190:191]
	v_div_fixup_f64 v[186:187], v[184:185], v[180:181], v[182:183]
	v_fmac_f64_e32 v[180:181], v[182:183], v[186:187]
	v_div_scale_f64 v[182:183], s[10:11], v[180:181], v[180:181], 1.0
	v_rcp_f64_e32 v[184:185], v[182:183]
	s_nop 0
	v_fma_f64 v[188:189], -v[182:183], v[184:185], 1.0
	v_fmac_f64_e32 v[184:185], v[184:185], v[188:189]
	v_fma_f64 v[188:189], -v[182:183], v[184:185], 1.0
	v_fmac_f64_e32 v[184:185], v[184:185], v[188:189]
	v_div_scale_f64 v[188:189], vcc, 1.0, v[180:181], 1.0
	v_mul_f64 v[190:191], v[188:189], v[184:185]
	v_fma_f64 v[182:183], -v[182:183], v[190:191], v[188:189]
	s_nop 1
	v_div_fmas_f64 v[182:183], v[182:183], v[184:185], v[190:191]
	v_div_fixup_f64 v[184:185], v[182:183], v[180:181], 1.0
	v_mul_f64 v[186:187], v[186:187], -v[184:185]
.LBB47_196:
	s_or_b64 exec, exec, s[2:3]
	ds_write2_b64 v243, v[184:185], v[186:187] offset1:1
.LBB47_197:
	s_or_b64 exec, exec, s[4:5]
	s_waitcnt lgkmcnt(0)
	s_barrier
	ds_read2_b64 v[180:183], v243 offset1:1
	v_cmp_lt_u32_e32 vcc, 21, v242
	s_and_saveexec_b64 s[2:3], vcc
	s_cbranch_execz .LBB47_199
; %bb.198:
	ds_read2_b64 v[184:187], v244 offset0:44 offset1:45
	ds_read2_b64 v[188:191], v244 offset0:46 offset1:47
	s_waitcnt vmcnt(2) lgkmcnt(2)
	v_mul_f64 v[246:247], v[180:181], v[6:7]
	v_fmac_f64_e32 v[246:247], v[182:183], v[4:5]
	v_mul_f64 v[6:7], v[182:183], v[6:7]
	v_fma_f64 v[4:5], v[180:181], v[4:5], -v[6:7]
	s_waitcnt lgkmcnt(1)
	v_mul_f64 v[6:7], v[186:187], v[246:247]
	v_fma_f64 v[6:7], v[184:185], v[4:5], -v[6:7]
	v_mul_f64 v[184:185], v[184:185], v[246:247]
	v_fmac_f64_e32 v[184:185], v[186:187], v[4:5]
	s_waitcnt vmcnt(1)
	v_add_f64 v[0:1], v[0:1], -v[6:7]
	v_add_f64 v[2:3], v[2:3], -v[184:185]
	s_waitcnt lgkmcnt(0)
	v_mul_f64 v[6:7], v[190:191], v[246:247]
	v_mul_f64 v[184:185], v[188:189], v[246:247]
	v_fma_f64 v[6:7], v[188:189], v[4:5], -v[6:7]
	v_fmac_f64_e32 v[184:185], v[190:191], v[4:5]
	s_waitcnt vmcnt(0)
	v_add_f64 v[92:93], v[92:93], -v[6:7]
	v_add_f64 v[94:95], v[94:95], -v[184:185]
	v_mov_b64_e32 v[6:7], v[246:247]
.LBB47_199:
	s_or_b64 exec, exec, s[2:3]
	v_cmp_eq_u32_e32 vcc, 22, v242
	s_waitcnt lgkmcnt(0)
	s_barrier
	s_and_saveexec_b64 s[4:5], vcc
	s_cbranch_execz .LBB47_206
; %bb.200:
	s_waitcnt vmcnt(1)
	ds_write2_b64 v243, v[0:1], v[2:3] offset1:1
	s_waitcnt vmcnt(0)
	ds_write2_b64 v244, v[92:93], v[94:95] offset0:46 offset1:47
	ds_read2_b64 v[184:187], v243 offset1:1
	s_waitcnt lgkmcnt(0)
	v_cmp_neq_f64_e32 vcc, 0, v[184:185]
	v_cmp_neq_f64_e64 s[2:3], 0, v[186:187]
	s_or_b64 s[2:3], vcc, s[2:3]
	s_and_b64 exec, exec, s[2:3]
	s_cbranch_execz .LBB47_206
; %bb.201:
	v_cmp_ngt_f64_e64 s[2:3], |v[184:185]|, |v[186:187]|
                                        ; implicit-def: $vgpr188_vgpr189
	s_and_saveexec_b64 s[10:11], s[2:3]
	s_xor_b64 s[2:3], exec, s[10:11]
                                        ; implicit-def: $vgpr190_vgpr191
	s_cbranch_execz .LBB47_203
; %bb.202:
	v_div_scale_f64 v[188:189], s[10:11], v[186:187], v[186:187], v[184:185]
	v_rcp_f64_e32 v[190:191], v[188:189]
	v_div_scale_f64 v[246:247], vcc, v[184:185], v[186:187], v[184:185]
	v_fma_f64 v[248:249], -v[188:189], v[190:191], 1.0
	v_fmac_f64_e32 v[190:191], v[190:191], v[248:249]
	v_fma_f64 v[248:249], -v[188:189], v[190:191], 1.0
	v_fmac_f64_e32 v[190:191], v[190:191], v[248:249]
	v_mul_f64 v[248:249], v[246:247], v[190:191]
	v_fma_f64 v[188:189], -v[188:189], v[248:249], v[246:247]
	v_div_fmas_f64 v[188:189], v[188:189], v[190:191], v[248:249]
	v_div_fixup_f64 v[188:189], v[188:189], v[186:187], v[184:185]
	v_fmac_f64_e32 v[186:187], v[184:185], v[188:189]
	v_div_scale_f64 v[184:185], s[10:11], v[186:187], v[186:187], 1.0
	v_rcp_f64_e32 v[190:191], v[184:185]
	s_nop 0
	v_fma_f64 v[246:247], -v[184:185], v[190:191], 1.0
	v_fmac_f64_e32 v[190:191], v[190:191], v[246:247]
	v_fma_f64 v[246:247], -v[184:185], v[190:191], 1.0
	v_fmac_f64_e32 v[190:191], v[190:191], v[246:247]
	v_div_scale_f64 v[246:247], vcc, 1.0, v[186:187], 1.0
	v_mul_f64 v[248:249], v[246:247], v[190:191]
	v_fma_f64 v[184:185], -v[184:185], v[248:249], v[246:247]
	s_nop 1
	v_div_fmas_f64 v[184:185], v[184:185], v[190:191], v[248:249]
	v_div_fixup_f64 v[190:191], v[184:185], v[186:187], 1.0
	v_mul_f64 v[188:189], v[188:189], v[190:191]
	v_xor_b32_e32 v191, 0x80000000, v191
                                        ; implicit-def: $vgpr184_vgpr185
.LBB47_203:
	s_andn2_saveexec_b64 s[2:3], s[2:3]
	s_cbranch_execz .LBB47_205
; %bb.204:
	v_div_scale_f64 v[188:189], s[10:11], v[184:185], v[184:185], v[186:187]
	v_rcp_f64_e32 v[190:191], v[188:189]
	v_div_scale_f64 v[246:247], vcc, v[186:187], v[184:185], v[186:187]
	v_fma_f64 v[248:249], -v[188:189], v[190:191], 1.0
	v_fmac_f64_e32 v[190:191], v[190:191], v[248:249]
	v_fma_f64 v[248:249], -v[188:189], v[190:191], 1.0
	v_fmac_f64_e32 v[190:191], v[190:191], v[248:249]
	v_mul_f64 v[248:249], v[246:247], v[190:191]
	v_fma_f64 v[188:189], -v[188:189], v[248:249], v[246:247]
	v_div_fmas_f64 v[188:189], v[188:189], v[190:191], v[248:249]
	v_div_fixup_f64 v[190:191], v[188:189], v[184:185], v[186:187]
	v_fmac_f64_e32 v[184:185], v[186:187], v[190:191]
	v_div_scale_f64 v[186:187], s[10:11], v[184:185], v[184:185], 1.0
	v_rcp_f64_e32 v[188:189], v[186:187]
	s_nop 0
	v_fma_f64 v[246:247], -v[186:187], v[188:189], 1.0
	v_fmac_f64_e32 v[188:189], v[188:189], v[246:247]
	v_fma_f64 v[246:247], -v[186:187], v[188:189], 1.0
	v_fmac_f64_e32 v[188:189], v[188:189], v[246:247]
	v_div_scale_f64 v[246:247], vcc, 1.0, v[184:185], 1.0
	v_mul_f64 v[248:249], v[246:247], v[188:189]
	v_fma_f64 v[186:187], -v[186:187], v[248:249], v[246:247]
	s_nop 1
	v_div_fmas_f64 v[186:187], v[186:187], v[188:189], v[248:249]
	v_div_fixup_f64 v[188:189], v[186:187], v[184:185], 1.0
	v_mul_f64 v[190:191], v[190:191], -v[188:189]
.LBB47_205:
	s_or_b64 exec, exec, s[2:3]
	ds_write2_b64 v243, v[188:189], v[190:191] offset1:1
.LBB47_206:
	s_or_b64 exec, exec, s[4:5]
	s_waitcnt lgkmcnt(0)
	s_barrier
	ds_read2_b64 v[184:187], v243 offset1:1
	v_cmp_lt_u32_e32 vcc, 22, v242
	s_and_saveexec_b64 s[2:3], vcc
	s_cbranch_execz .LBB47_208
; %bb.207:
	ds_read2_b64 v[188:191], v244 offset0:46 offset1:47
	s_waitcnt vmcnt(1) lgkmcnt(1)
	v_mul_f64 v[244:245], v[184:185], v[2:3]
	v_mul_f64 v[2:3], v[186:187], v[2:3]
	v_fmac_f64_e32 v[244:245], v[186:187], v[0:1]
	v_fma_f64 v[0:1], v[184:185], v[0:1], -v[2:3]
	s_waitcnt lgkmcnt(0)
	v_mul_f64 v[2:3], v[190:191], v[244:245]
	v_fma_f64 v[2:3], v[188:189], v[0:1], -v[2:3]
	v_mul_f64 v[188:189], v[188:189], v[244:245]
	v_fmac_f64_e32 v[188:189], v[190:191], v[0:1]
	s_waitcnt vmcnt(0)
	v_add_f64 v[92:93], v[92:93], -v[2:3]
	v_add_f64 v[94:95], v[94:95], -v[188:189]
	v_mov_b64_e32 v[2:3], v[244:245]
.LBB47_208:
	s_or_b64 exec, exec, s[2:3]
	v_cmp_eq_u32_e32 vcc, 23, v242
	s_waitcnt lgkmcnt(0)
	s_barrier
	s_and_saveexec_b64 s[4:5], vcc
	s_cbranch_execz .LBB47_215
; %bb.209:
	s_waitcnt vmcnt(0)
	v_cmp_neq_f64_e32 vcc, 0, v[92:93]
	v_cmp_neq_f64_e64 s[2:3], 0, v[94:95]
	s_or_b64 s[2:3], vcc, s[2:3]
	ds_write2_b64 v243, v[92:93], v[94:95] offset1:1
	s_and_b64 exec, exec, s[2:3]
	s_cbranch_execz .LBB47_215
; %bb.210:
	v_cmp_ngt_f64_e64 s[2:3], |v[92:93]|, |v[94:95]|
                                        ; implicit-def: $vgpr188_vgpr189
	s_and_saveexec_b64 s[10:11], s[2:3]
	s_xor_b64 s[2:3], exec, s[10:11]
                                        ; implicit-def: $vgpr190_vgpr191
	s_cbranch_execz .LBB47_212
; %bb.211:
	v_div_scale_f64 v[188:189], s[10:11], v[94:95], v[94:95], v[92:93]
	v_rcp_f64_e32 v[190:191], v[188:189]
	v_div_scale_f64 v[244:245], vcc, v[92:93], v[94:95], v[92:93]
	v_fma_f64 v[246:247], -v[188:189], v[190:191], 1.0
	v_fmac_f64_e32 v[190:191], v[190:191], v[246:247]
	v_fma_f64 v[246:247], -v[188:189], v[190:191], 1.0
	v_fmac_f64_e32 v[190:191], v[190:191], v[246:247]
	v_mul_f64 v[246:247], v[244:245], v[190:191]
	v_fma_f64 v[188:189], -v[188:189], v[246:247], v[244:245]
	v_div_fmas_f64 v[188:189], v[188:189], v[190:191], v[246:247]
	v_div_fixup_f64 v[188:189], v[188:189], v[94:95], v[92:93]
	v_fma_f64 v[190:191], v[92:93], v[188:189], v[94:95]
	v_div_scale_f64 v[244:245], s[10:11], v[190:191], v[190:191], 1.0
	v_rcp_f64_e32 v[246:247], v[244:245]
	s_nop 0
	v_fma_f64 v[248:249], -v[244:245], v[246:247], 1.0
	v_fmac_f64_e32 v[246:247], v[246:247], v[248:249]
	v_fma_f64 v[248:249], -v[244:245], v[246:247], 1.0
	v_fmac_f64_e32 v[246:247], v[246:247], v[248:249]
	v_div_scale_f64 v[248:249], vcc, 1.0, v[190:191], 1.0
	v_mul_f64 v[250:251], v[248:249], v[246:247]
	v_fma_f64 v[244:245], -v[244:245], v[250:251], v[248:249]
	s_nop 1
	v_div_fmas_f64 v[244:245], v[244:245], v[246:247], v[250:251]
	v_div_fixup_f64 v[190:191], v[244:245], v[190:191], 1.0
	v_mul_f64 v[188:189], v[188:189], v[190:191]
	v_xor_b32_e32 v191, 0x80000000, v191
.LBB47_212:
	s_andn2_saveexec_b64 s[2:3], s[2:3]
	s_cbranch_execz .LBB47_214
; %bb.213:
	v_div_scale_f64 v[188:189], s[10:11], v[92:93], v[92:93], v[94:95]
	v_rcp_f64_e32 v[190:191], v[188:189]
	v_div_scale_f64 v[244:245], vcc, v[94:95], v[92:93], v[94:95]
	v_fma_f64 v[246:247], -v[188:189], v[190:191], 1.0
	v_fmac_f64_e32 v[190:191], v[190:191], v[246:247]
	v_fma_f64 v[246:247], -v[188:189], v[190:191], 1.0
	v_fmac_f64_e32 v[190:191], v[190:191], v[246:247]
	v_mul_f64 v[246:247], v[244:245], v[190:191]
	v_fma_f64 v[188:189], -v[188:189], v[246:247], v[244:245]
	v_div_fmas_f64 v[188:189], v[188:189], v[190:191], v[246:247]
	v_div_fixup_f64 v[190:191], v[188:189], v[92:93], v[94:95]
	v_fma_f64 v[188:189], v[94:95], v[190:191], v[92:93]
	v_div_scale_f64 v[244:245], s[10:11], v[188:189], v[188:189], 1.0
	v_rcp_f64_e32 v[246:247], v[244:245]
	s_nop 0
	v_fma_f64 v[248:249], -v[244:245], v[246:247], 1.0
	v_fmac_f64_e32 v[246:247], v[246:247], v[248:249]
	v_fma_f64 v[248:249], -v[244:245], v[246:247], 1.0
	v_fmac_f64_e32 v[246:247], v[246:247], v[248:249]
	v_div_scale_f64 v[248:249], vcc, 1.0, v[188:189], 1.0
	v_mul_f64 v[250:251], v[248:249], v[246:247]
	v_fma_f64 v[244:245], -v[244:245], v[250:251], v[248:249]
	s_nop 1
	v_div_fmas_f64 v[244:245], v[244:245], v[246:247], v[250:251]
	v_div_fixup_f64 v[188:189], v[244:245], v[188:189], 1.0
	v_mul_f64 v[190:191], v[190:191], -v[188:189]
.LBB47_214:
	s_or_b64 exec, exec, s[2:3]
	ds_write2_b64 v243, v[188:189], v[190:191] offset1:1
.LBB47_215:
	s_or_b64 exec, exec, s[4:5]
	s_waitcnt lgkmcnt(0)
	s_barrier
	ds_read2_b64 v[188:191], v243 offset1:1
	s_waitcnt lgkmcnt(0)
	s_barrier
	s_and_saveexec_b64 s[2:3], s[0:1]
	s_cbranch_execz .LBB47_218
; %bb.216:
	v_cmp_eq_f64_e32 vcc, 0, v[96:97]
	v_cmp_eq_f64_e64 s[0:1], 0, v[98:99]
	s_and_b64 s[4:5], vcc, s[0:1]
	v_cmp_neq_f64_e32 vcc, 0, v[100:101]
	v_cmp_neq_f64_e64 s[0:1], 0, v[102:103]
	s_or_b64 s[0:1], vcc, s[0:1]
	v_cndmask_b32_e64 v96, 0, 1, s[4:5]
	s_or_b64 vcc, s[0:1], s[4:5]
	v_cndmask_b32_e32 v96, 2, v96, vcc
	v_cmp_eq_f64_e32 vcc, 0, v[104:105]
	v_cmp_eq_f64_e64 s[0:1], 0, v[106:107]
	s_and_b64 s[0:1], vcc, s[0:1]
	v_cmp_eq_u32_e32 vcc, 0, v96
	s_and_b64 s[0:1], s[0:1], vcc
	v_cndmask_b32_e64 v96, v96, 3, s[0:1]
	v_cmp_eq_f64_e32 vcc, 0, v[108:109]
	v_cmp_eq_f64_e64 s[0:1], 0, v[110:111]
	s_and_b64 s[0:1], vcc, s[0:1]
	v_cmp_eq_u32_e32 vcc, 0, v96
	s_and_b64 s[0:1], s[0:1], vcc
	v_cndmask_b32_e64 v96, v96, 4, s[0:1]
	;; [unrolled: 6-line block ×8, first 2 shown]
	v_mov_b32_e32 v96, s6
	v_mov_b32_e32 v97, s7
	v_lshl_add_u64 v[96:97], v[214:215], 2, v[96:97]
	global_load_dword v99, v[96:97], off
	v_cmp_eq_f64_e32 vcc, 0, v[136:137]
	v_cmp_eq_f64_e64 s[0:1], 0, v[138:139]
	s_and_b64 s[0:1], vcc, s[0:1]
	v_cmp_eq_u32_e32 vcc, 0, v98
	s_and_b64 s[0:1], s[0:1], vcc
	v_cndmask_b32_e64 v98, v98, 11, s[0:1]
	v_cmp_eq_f64_e32 vcc, 0, v[140:141]
	v_cmp_eq_f64_e64 s[0:1], 0, v[142:143]
	s_and_b64 s[0:1], vcc, s[0:1]
	v_cmp_eq_u32_e32 vcc, 0, v98
	s_and_b64 s[0:1], s[0:1], vcc
	v_cndmask_b32_e64 v98, v98, 12, s[0:1]
	;; [unrolled: 6-line block ×14, first 2 shown]
	s_waitcnt vmcnt(0)
	v_cmp_eq_u32_e32 vcc, 0, v99
	v_cmp_ne_u32_e64 s[0:1], 0, v98
	s_and_b64 s[0:1], vcc, s[0:1]
	s_and_b64 exec, exec, s[0:1]
	s_cbranch_execz .LBB47_218
; %bb.217:
	v_add_u32_e32 v98, s9, v98
	global_store_dword v[96:97], v98, off
.LBB47_218:
	s_or_b64 exec, exec, s[2:3]
	s_waitcnt vmcnt(0)
	v_mul_f64 v[96:97], v[190:191], v[94:95]
	v_mul_f64 v[98:99], v[188:189], v[94:95]
	v_fma_f64 v[96:97], v[188:189], v[92:93], -v[96:97]
	v_fmac_f64_e32 v[98:99], v[190:191], v[92:93]
	v_cmp_lt_u32_e32 vcc, 23, v242
	s_nop 1
	v_cndmask_b32_e32 v95, v95, v99, vcc
	v_cndmask_b32_e32 v94, v94, v98, vcc
	;; [unrolled: 1-line block ×4, first 2 shown]
	global_store_dwordx4 v[192:193], v[88:91], off
	global_store_dwordx4 v[194:195], v[84:87], off
	global_store_dwordx4 v[196:197], v[80:83], off
	global_store_dwordx4 v[198:199], v[76:79], off
	global_store_dwordx4 v[200:201], v[72:75], off
	global_store_dwordx4 v[202:203], v[68:71], off
	global_store_dwordx4 v[204:205], v[64:67], off
	global_store_dwordx4 v[206:207], v[60:63], off
	global_store_dwordx4 v[208:209], v[56:59], off
	global_store_dwordx4 v[210:211], v[52:55], off
	global_store_dwordx4 v[212:213], v[48:51], off
	global_store_dwordx4 v[216:217], v[44:47], off
	global_store_dwordx4 v[218:219], v[40:43], off
	global_store_dwordx4 v[220:221], v[36:39], off
	global_store_dwordx4 v[222:223], v[32:35], off
	global_store_dwordx4 v[224:225], v[28:31], off
	global_store_dwordx4 v[226:227], v[24:27], off
	global_store_dwordx4 v[228:229], v[20:23], off
	global_store_dwordx4 v[230:231], v[16:19], off
	global_store_dwordx4 v[232:233], v[12:15], off
	global_store_dwordx4 v[234:235], v[8:11], off
	global_store_dwordx4 v[236:237], v[4:7], off
	global_store_dwordx4 v[238:239], v[0:3], off
	global_store_dwordx4 v[240:241], v[92:95], off
.LBB47_219:
	s_endpgm
	.section	.rodata,"a",@progbits
	.p2align	6, 0x0
	.amdhsa_kernel _ZN9rocsolver6v33100L23getf2_npvt_small_kernelILi24E19rocblas_complex_numIdEiiPS3_EEvT1_T3_lS5_lPT2_S5_S5_
		.amdhsa_group_segment_fixed_size 0
		.amdhsa_private_segment_fixed_size 0
		.amdhsa_kernarg_size 312
		.amdhsa_user_sgpr_count 2
		.amdhsa_user_sgpr_dispatch_ptr 0
		.amdhsa_user_sgpr_queue_ptr 0
		.amdhsa_user_sgpr_kernarg_segment_ptr 1
		.amdhsa_user_sgpr_dispatch_id 0
		.amdhsa_user_sgpr_kernarg_preload_length 0
		.amdhsa_user_sgpr_kernarg_preload_offset 0
		.amdhsa_user_sgpr_private_segment_size 0
		.amdhsa_uses_dynamic_stack 0
		.amdhsa_enable_private_segment 0
		.amdhsa_system_sgpr_workgroup_id_x 1
		.amdhsa_system_sgpr_workgroup_id_y 1
		.amdhsa_system_sgpr_workgroup_id_z 0
		.amdhsa_system_sgpr_workgroup_info 0
		.amdhsa_system_vgpr_workitem_id 1
		.amdhsa_next_free_vgpr 252
		.amdhsa_next_free_sgpr 16
		.amdhsa_accum_offset 252
		.amdhsa_reserve_vcc 1
		.amdhsa_float_round_mode_32 0
		.amdhsa_float_round_mode_16_64 0
		.amdhsa_float_denorm_mode_32 3
		.amdhsa_float_denorm_mode_16_64 3
		.amdhsa_dx10_clamp 1
		.amdhsa_ieee_mode 1
		.amdhsa_fp16_overflow 0
		.amdhsa_tg_split 0
		.amdhsa_exception_fp_ieee_invalid_op 0
		.amdhsa_exception_fp_denorm_src 0
		.amdhsa_exception_fp_ieee_div_zero 0
		.amdhsa_exception_fp_ieee_overflow 0
		.amdhsa_exception_fp_ieee_underflow 0
		.amdhsa_exception_fp_ieee_inexact 0
		.amdhsa_exception_int_div_zero 0
	.end_amdhsa_kernel
	.section	.text._ZN9rocsolver6v33100L23getf2_npvt_small_kernelILi24E19rocblas_complex_numIdEiiPS3_EEvT1_T3_lS5_lPT2_S5_S5_,"axG",@progbits,_ZN9rocsolver6v33100L23getf2_npvt_small_kernelILi24E19rocblas_complex_numIdEiiPS3_EEvT1_T3_lS5_lPT2_S5_S5_,comdat
.Lfunc_end47:
	.size	_ZN9rocsolver6v33100L23getf2_npvt_small_kernelILi24E19rocblas_complex_numIdEiiPS3_EEvT1_T3_lS5_lPT2_S5_S5_, .Lfunc_end47-_ZN9rocsolver6v33100L23getf2_npvt_small_kernelILi24E19rocblas_complex_numIdEiiPS3_EEvT1_T3_lS5_lPT2_S5_S5_
                                        ; -- End function
	.set _ZN9rocsolver6v33100L23getf2_npvt_small_kernelILi24E19rocblas_complex_numIdEiiPS3_EEvT1_T3_lS5_lPT2_S5_S5_.num_vgpr, 252
	.set _ZN9rocsolver6v33100L23getf2_npvt_small_kernelILi24E19rocblas_complex_numIdEiiPS3_EEvT1_T3_lS5_lPT2_S5_S5_.num_agpr, 0
	.set _ZN9rocsolver6v33100L23getf2_npvt_small_kernelILi24E19rocblas_complex_numIdEiiPS3_EEvT1_T3_lS5_lPT2_S5_S5_.numbered_sgpr, 16
	.set _ZN9rocsolver6v33100L23getf2_npvt_small_kernelILi24E19rocblas_complex_numIdEiiPS3_EEvT1_T3_lS5_lPT2_S5_S5_.num_named_barrier, 0
	.set _ZN9rocsolver6v33100L23getf2_npvt_small_kernelILi24E19rocblas_complex_numIdEiiPS3_EEvT1_T3_lS5_lPT2_S5_S5_.private_seg_size, 0
	.set _ZN9rocsolver6v33100L23getf2_npvt_small_kernelILi24E19rocblas_complex_numIdEiiPS3_EEvT1_T3_lS5_lPT2_S5_S5_.uses_vcc, 1
	.set _ZN9rocsolver6v33100L23getf2_npvt_small_kernelILi24E19rocblas_complex_numIdEiiPS3_EEvT1_T3_lS5_lPT2_S5_S5_.uses_flat_scratch, 0
	.set _ZN9rocsolver6v33100L23getf2_npvt_small_kernelILi24E19rocblas_complex_numIdEiiPS3_EEvT1_T3_lS5_lPT2_S5_S5_.has_dyn_sized_stack, 0
	.set _ZN9rocsolver6v33100L23getf2_npvt_small_kernelILi24E19rocblas_complex_numIdEiiPS3_EEvT1_T3_lS5_lPT2_S5_S5_.has_recursion, 0
	.set _ZN9rocsolver6v33100L23getf2_npvt_small_kernelILi24E19rocblas_complex_numIdEiiPS3_EEvT1_T3_lS5_lPT2_S5_S5_.has_indirect_call, 0
	.section	.AMDGPU.csdata,"",@progbits
; Kernel info:
; codeLenInByte = 34424
; TotalNumSgprs: 22
; NumVgprs: 252
; NumAgprs: 0
; TotalNumVgprs: 252
; ScratchSize: 0
; MemoryBound: 1
; FloatMode: 240
; IeeeMode: 1
; LDSByteSize: 0 bytes/workgroup (compile time only)
; SGPRBlocks: 2
; VGPRBlocks: 31
; NumSGPRsForWavesPerEU: 22
; NumVGPRsForWavesPerEU: 252
; AccumOffset: 252
; Occupancy: 2
; WaveLimiterHint : 0
; COMPUTE_PGM_RSRC2:SCRATCH_EN: 0
; COMPUTE_PGM_RSRC2:USER_SGPR: 2
; COMPUTE_PGM_RSRC2:TRAP_HANDLER: 0
; COMPUTE_PGM_RSRC2:TGID_X_EN: 1
; COMPUTE_PGM_RSRC2:TGID_Y_EN: 1
; COMPUTE_PGM_RSRC2:TGID_Z_EN: 0
; COMPUTE_PGM_RSRC2:TIDIG_COMP_CNT: 1
; COMPUTE_PGM_RSRC3_GFX90A:ACCUM_OFFSET: 62
; COMPUTE_PGM_RSRC3_GFX90A:TG_SPLIT: 0
	.section	.text._ZN9rocsolver6v33100L18getf2_small_kernelILi25E19rocblas_complex_numIdEiiPS3_EEvT1_T3_lS5_lPS5_llPT2_S5_S5_S7_l,"axG",@progbits,_ZN9rocsolver6v33100L18getf2_small_kernelILi25E19rocblas_complex_numIdEiiPS3_EEvT1_T3_lS5_lPS5_llPT2_S5_S5_S7_l,comdat
	.globl	_ZN9rocsolver6v33100L18getf2_small_kernelILi25E19rocblas_complex_numIdEiiPS3_EEvT1_T3_lS5_lPS5_llPT2_S5_S5_S7_l ; -- Begin function _ZN9rocsolver6v33100L18getf2_small_kernelILi25E19rocblas_complex_numIdEiiPS3_EEvT1_T3_lS5_lPS5_llPT2_S5_S5_S7_l
	.p2align	8
	.type	_ZN9rocsolver6v33100L18getf2_small_kernelILi25E19rocblas_complex_numIdEiiPS3_EEvT1_T3_lS5_lPS5_llPT2_S5_S5_S7_l,@function
_ZN9rocsolver6v33100L18getf2_small_kernelILi25E19rocblas_complex_numIdEiiPS3_EEvT1_T3_lS5_lPS5_llPT2_S5_S5_S7_l: ; @_ZN9rocsolver6v33100L18getf2_small_kernelILi25E19rocblas_complex_numIdEiiPS3_EEvT1_T3_lS5_lPS5_llPT2_S5_S5_S7_l
; %bb.0:
	s_load_dword s2, s[0:1], 0x6c
	s_load_dwordx2 s[12:13], s[0:1], 0x48
	v_bfe_u32 v100, v0, 10, 10
	s_waitcnt lgkmcnt(0)
	s_lshr_b32 s2, s2, 16
	s_mul_i32 s3, s3, s2
	v_add_u32_e32 v106, s3, v100
	v_cmp_gt_i32_e32 vcc, s12, v106
	s_and_saveexec_b64 s[2:3], vcc
	s_cbranch_execz .LBB48_526
; %bb.1:
	s_load_dwordx4 s[4:7], s[0:1], 0x50
	v_ashrrev_i32_e32 v107, 31, v106
	v_mov_b64_e32 v[108:109], 0
	s_waitcnt lgkmcnt(0)
	s_cmp_eq_u64 s[4:5], 0
	s_cselect_b64 s[14:15], -1, 0
	s_and_b64 vcc, exec, s[14:15]
	s_cbranch_vccnz .LBB48_3
; %bb.2:
	v_mul_lo_u32 v1, s7, v106
	v_mul_lo_u32 v4, s6, v107
	v_mad_u64_u32 v[2:3], s[2:3], s6, v106, 0
	v_add3_u32 v3, v3, v4, v1
	v_lshl_add_u64 v[108:109], v[2:3], 2, s[4:5]
.LBB48_3:
	s_load_dwordx4 s[16:19], s[0:1], 0x8
	s_load_dwordx8 s[4:11], s[0:1], 0x20
	s_load_dword s2, s[0:1], 0x18
	s_load_dword s20, s[0:1], 0x0
	v_and_b32_e32 v114, 0x3ff, v0
	s_waitcnt lgkmcnt(0)
	v_mov_b32_e32 v2, s16
	v_mul_lo_u32 v1, s5, v106
	v_mul_lo_u32 v6, s4, v107
	v_mad_u64_u32 v[4:5], s[4:5], s4, v106, 0
	v_mov_b32_e32 v3, s17
	v_add3_u32 v5, v5, v6, v1
	v_lshl_add_u64 v[2:3], v[4:5], 4, v[2:3]
	s_add_i32 s12, s2, s2
	v_lshl_add_u64 v[104:105], s[18:19], 4, v[2:3]
	v_add_u32_e32 v2, s12, v114
	v_add_u32_e32 v4, s2, v2
	;; [unrolled: 1-line block ×3, first 2 shown]
	v_lshlrev_b32_e32 v110, 4, v114
	v_mov_b32_e32 v111, 0
	v_add_u32_e32 v8, s2, v6
	v_lshl_add_u64 v[0:1], v[104:105], 0, v[110:111]
	s_ashr_i32 s3, s2, 31
	v_ashrrev_i32_e32 v9, 31, v8
	v_add_u32_e32 v12, s2, v8
	v_lshl_add_u64 v[10:11], s[2:3], 4, v[0:1]
	global_load_dwordx4 v[68:71], v[0:1], off
	global_load_dwordx4 v[64:67], v[10:11], off
	v_lshl_add_u64 v[0:1], v[8:9], 4, v[104:105]
	v_ashrrev_i32_e32 v13, 31, v12
	v_add_u32_e32 v8, s2, v12
	v_lshl_add_u64 v[10:11], v[12:13], 4, v[104:105]
	v_add_u32_e32 v12, s2, v8
	v_add_u32_e32 v14, s2, v12
	;; [unrolled: 1-line block ×7, first 2 shown]
	v_ashrrev_i32_e32 v25, 31, v24
	v_add_u32_e32 v26, s2, v24
	v_lshl_add_u64 v[28:29], v[24:25], 4, v[104:105]
	v_ashrrev_i32_e32 v27, 31, v26
	v_add_u32_e32 v24, s2, v26
	v_lshl_add_u64 v[30:31], v[26:27], 4, v[104:105]
	;; [unrolled: 3-line block ×7, first 2 shown]
	v_add_u32_e32 v24, s2, v26
	v_ashrrev_i32_e32 v25, 31, v24
	v_lshl_add_u64 v[122:123], v[24:25], 4, v[104:105]
	v_add_u32_e32 v24, s2, v24
	v_ashrrev_i32_e32 v25, 31, v24
	v_ashrrev_i32_e32 v3, 31, v2
	;; [unrolled: 1-line block ×11, first 2 shown]
	v_lshl_add_u64 v[124:125], v[24:25], 4, v[104:105]
	v_add_u32_e32 v24, s2, v24
	v_lshl_add_u64 v[2:3], v[2:3], 4, v[104:105]
	v_lshl_add_u64 v[4:5], v[4:5], 4, v[104:105]
	;; [unrolled: 1-line block ×10, first 2 shown]
	v_ashrrev_i32_e32 v27, 31, v26
	v_ashrrev_i32_e32 v25, 31, v24
	v_lshl_add_u64 v[120:121], v[26:27], 4, v[104:105]
	v_lshl_add_u64 v[126:127], v[24:25], 4, v[104:105]
	global_load_dwordx4 v[92:95], v[2:3], off
	global_load_dwordx4 v[88:91], v[4:5], off
	;; [unrolled: 1-line block ×15, first 2 shown]
                                        ; kill: killed $vgpr12_vgpr13
                                        ; kill: killed $vgpr14_vgpr15
                                        ; kill: killed $vgpr16_vgpr17
                                        ; kill: killed $vgpr18_vgpr19
                                        ; kill: killed $vgpr2_vgpr3
                                        ; kill: killed $vgpr20_vgpr21
                                        ; kill: killed $vgpr4_vgpr5
                                        ; kill: killed $vgpr22_vgpr23
                                        ; kill: killed $vgpr6_vgpr7
                                        ; kill: killed $vgpr28_vgpr29
                                        ; kill: killed $vgpr0_vgpr1
                                        ; kill: killed $vgpr30_vgpr31
                                        ; kill: killed $vgpr10_vgpr11
                                        ; kill: killed $vgpr96_vgpr97
                                        ; kill: killed $vgpr8_vgpr9
	s_nop 0
	global_load_dwordx4 v[28:31], v[102:103], off
	global_load_dwordx4 v[20:23], v[112:113], off
	;; [unrolled: 1-line block ×8, first 2 shown]
	s_load_dwordx2 s[4:5], s[0:1], 0x40
	s_max_i32 s0, s20, 25
	v_mul_lo_u32 v113, s0, v100
	v_lshl_add_u32 v112, v113, 4, 0
	v_add_u32_e32 v100, v112, v110
	s_cmp_lt_i32 s20, 2
	v_lshlrev_b32_e32 v116, 4, v113
	s_waitcnt vmcnt(24)
	ds_write2_b64 v100, v[68:69], v[70:71] offset1:1
	s_waitcnt lgkmcnt(0)
	s_barrier
	ds_read2_b64 v[100:103], v112 offset1:1
	s_cbranch_scc1 .LBB48_6
; %bb.4:
	v_add3_u32 v110, v116, 0, 16
	s_mov_b32 s16, 1
	v_mov_b32_e32 v111, 0
.LBB48_5:                               ; =>This Inner Loop Header: Depth=1
	ds_read2_b64 v[118:121], v110 offset1:1
	s_waitcnt lgkmcnt(1)
	v_xor_b32_e32 v113, 0x80000000, v101
	v_xor_b32_e32 v115, 0x80000000, v103
	v_cmp_gt_f64_e32 vcc, 0, v[102:103]
	v_cmp_gt_f64_e64 s[0:1], 0, v[100:101]
	v_mov_b32_e32 v122, v100
	v_mov_b32_e32 v124, v102
	v_cndmask_b32_e64 v123, v101, v113, s[0:1]
	v_cndmask_b32_e32 v125, v103, v115, vcc
	s_waitcnt lgkmcnt(0)
	v_xor_b32_e32 v113, 0x80000000, v119
	v_xor_b32_e32 v115, 0x80000000, v121
	v_cmp_gt_f64_e32 vcc, 0, v[120:121]
	v_cmp_gt_f64_e64 s[0:1], 0, v[118:119]
	v_add_f64 v[122:123], v[122:123], v[124:125]
	v_mov_b32_e32 v124, v118
	v_mov_b32_e32 v126, v120
	v_cndmask_b32_e64 v125, v119, v113, s[0:1]
	v_cndmask_b32_e32 v127, v121, v115, vcc
	v_add_f64 v[124:125], v[124:125], v[126:127]
	v_mov_b32_e32 v117, s16
	s_add_i32 s16, s16, 1
	v_cmp_lt_f64_e32 vcc, v[122:123], v[124:125]
	v_add_u32_e32 v110, 16, v110
	s_cmp_eq_u32 s20, s16
	v_cndmask_b32_e32 v101, v101, v119, vcc
	v_cndmask_b32_e32 v100, v100, v118, vcc
	;; [unrolled: 1-line block ×5, first 2 shown]
	s_cbranch_scc0 .LBB48_5
.LBB48_6:
	s_waitcnt lgkmcnt(0)
	v_cmp_neq_f64_e32 vcc, 0, v[100:101]
	v_cmp_neq_f64_e64 s[0:1], 0, v[102:103]
	s_or_b64 s[16:17], vcc, s[0:1]
	v_mov_b32_e32 v115, 1
	v_mov_b32_e32 v117, 1
	s_and_saveexec_b64 s[0:1], s[16:17]
	s_cbranch_execz .LBB48_12
; %bb.7:
	v_cmp_ngt_f64_e64 s[16:17], |v[100:101]|, |v[102:103]|
	s_and_saveexec_b64 s[18:19], s[16:17]
	s_xor_b64 s[16:17], exec, s[18:19]
	s_cbranch_execz .LBB48_9
; %bb.8:
	v_div_scale_f64 v[118:119], s[18:19], v[102:103], v[102:103], v[100:101]
	v_rcp_f64_e32 v[120:121], v[118:119]
	v_div_scale_f64 v[122:123], vcc, v[100:101], v[102:103], v[100:101]
	v_fma_f64 v[124:125], -v[118:119], v[120:121], 1.0
	v_fmac_f64_e32 v[120:121], v[120:121], v[124:125]
	v_fma_f64 v[124:125], -v[118:119], v[120:121], 1.0
	v_fmac_f64_e32 v[120:121], v[120:121], v[124:125]
	v_mul_f64 v[124:125], v[122:123], v[120:121]
	v_fma_f64 v[118:119], -v[118:119], v[124:125], v[122:123]
	v_div_fmas_f64 v[118:119], v[118:119], v[120:121], v[124:125]
	v_div_fixup_f64 v[118:119], v[118:119], v[102:103], v[100:101]
	v_fmac_f64_e32 v[102:103], v[100:101], v[118:119]
	v_div_scale_f64 v[100:101], s[18:19], v[102:103], v[102:103], 1.0
	v_rcp_f64_e32 v[120:121], v[100:101]
	s_nop 0
	v_fma_f64 v[122:123], -v[100:101], v[120:121], 1.0
	v_fmac_f64_e32 v[120:121], v[120:121], v[122:123]
	v_fma_f64 v[122:123], -v[100:101], v[120:121], 1.0
	v_fmac_f64_e32 v[120:121], v[120:121], v[122:123]
	v_div_scale_f64 v[122:123], vcc, 1.0, v[102:103], 1.0
	v_mul_f64 v[124:125], v[122:123], v[120:121]
	v_fma_f64 v[100:101], -v[100:101], v[124:125], v[122:123]
	s_nop 1
	v_div_fmas_f64 v[100:101], v[100:101], v[120:121], v[124:125]
	v_div_fixup_f64 v[102:103], v[100:101], v[102:103], 1.0
	v_mul_f64 v[100:101], v[118:119], v[102:103]
	v_xor_b32_e32 v103, 0x80000000, v103
.LBB48_9:
	s_andn2_saveexec_b64 s[16:17], s[16:17]
	s_cbranch_execz .LBB48_11
; %bb.10:
	v_div_scale_f64 v[118:119], s[18:19], v[100:101], v[100:101], v[102:103]
	v_rcp_f64_e32 v[120:121], v[118:119]
	v_div_scale_f64 v[122:123], vcc, v[102:103], v[100:101], v[102:103]
	v_fma_f64 v[124:125], -v[118:119], v[120:121], 1.0
	v_fmac_f64_e32 v[120:121], v[120:121], v[124:125]
	v_fma_f64 v[124:125], -v[118:119], v[120:121], 1.0
	v_fmac_f64_e32 v[120:121], v[120:121], v[124:125]
	v_mul_f64 v[124:125], v[122:123], v[120:121]
	v_fma_f64 v[118:119], -v[118:119], v[124:125], v[122:123]
	v_div_fmas_f64 v[118:119], v[118:119], v[120:121], v[124:125]
	v_div_fixup_f64 v[118:119], v[118:119], v[100:101], v[102:103]
	v_fmac_f64_e32 v[100:101], v[102:103], v[118:119]
	v_div_scale_f64 v[102:103], s[18:19], v[100:101], v[100:101], 1.0
	v_rcp_f64_e32 v[120:121], v[102:103]
	s_nop 0
	v_fma_f64 v[122:123], -v[102:103], v[120:121], 1.0
	v_fmac_f64_e32 v[120:121], v[120:121], v[122:123]
	v_fma_f64 v[122:123], -v[102:103], v[120:121], 1.0
	v_fmac_f64_e32 v[120:121], v[120:121], v[122:123]
	v_div_scale_f64 v[122:123], vcc, 1.0, v[100:101], 1.0
	v_mul_f64 v[124:125], v[122:123], v[120:121]
	v_fma_f64 v[102:103], -v[102:103], v[124:125], v[122:123]
	s_nop 1
	v_div_fmas_f64 v[102:103], v[102:103], v[120:121], v[124:125]
	v_div_fixup_f64 v[100:101], v[102:103], v[100:101], 1.0
	v_mul_f64 v[102:103], v[118:119], -v[100:101]
.LBB48_11:
	s_or_b64 exec, exec, s[16:17]
	v_mov_b32_e32 v117, 0
	v_mov_b32_e32 v115, 2
.LBB48_12:
	s_or_b64 exec, exec, s[0:1]
	v_cmp_ne_u32_e32 vcc, v114, v111
	s_and_saveexec_b64 s[0:1], vcc
	s_xor_b64 s[0:1], exec, s[0:1]
	s_cbranch_execz .LBB48_18
; %bb.13:
	v_cmp_eq_u32_e32 vcc, 0, v114
	s_and_saveexec_b64 s[16:17], vcc
	s_cbranch_execz .LBB48_17
; %bb.14:
	v_cmp_ne_u32_e32 vcc, 0, v111
	s_xor_b64 s[18:19], s[14:15], -1
	s_and_b64 s[22:23], s[18:19], vcc
	s_and_saveexec_b64 s[18:19], s[22:23]
	s_cbranch_execz .LBB48_16
; %bb.15:
	v_ashrrev_i32_e32 v119, 31, v111
	v_mov_b32_e32 v118, v111
	v_lshl_add_u64 v[118:119], v[118:119], 2, v[108:109]
	global_load_dword v110, v[118:119], off
	global_load_dword v113, v[108:109], off
	s_waitcnt vmcnt(1)
	global_store_dword v[108:109], v110, off
	s_waitcnt vmcnt(1)
	global_store_dword v[118:119], v113, off
.LBB48_16:
	s_or_b64 exec, exec, s[18:19]
	v_mov_b32_e32 v114, v111
.LBB48_17:
	s_or_b64 exec, exec, s[16:17]
.LBB48_18:
	s_or_saveexec_b64 s[0:1], s[0:1]
	v_mov_b32_e32 v113, v114
	s_xor_b64 exec, exec, s[0:1]
	s_cbranch_execz .LBB48_20
; %bb.19:
	v_mov_b32_e32 v113, 0
	s_waitcnt vmcnt(23)
	ds_write2_b64 v112, v[64:65], v[66:67] offset0:2 offset1:3
	s_waitcnt vmcnt(22)
	ds_write2_b64 v112, v[92:93], v[94:95] offset0:4 offset1:5
	;; [unrolled: 2-line block ×24, first 2 shown]
.LBB48_20:
	s_or_b64 exec, exec, s[0:1]
	v_cmp_lt_i32_e32 vcc, 0, v113
	s_waitcnt lgkmcnt(0)
	s_barrier
	s_and_saveexec_b64 s[0:1], vcc
	s_cbranch_execz .LBB48_22
; %bb.21:
	ds_read2_b64 v[118:121], v112 offset0:2 offset1:3
	v_mul_f64 v[110:111], v[102:103], v[70:71]
	v_mul_f64 v[70:71], v[100:101], v[70:71]
	v_fma_f64 v[110:111], v[100:101], v[68:69], -v[110:111]
	v_fmac_f64_e32 v[70:71], v[102:103], v[68:69]
	ds_read2_b64 v[100:103], v112 offset0:4 offset1:5
	s_waitcnt lgkmcnt(1)
	v_mul_f64 v[68:69], v[120:121], v[70:71]
	v_fma_f64 v[68:69], v[118:119], v[110:111], -v[68:69]
	v_mul_f64 v[118:119], v[118:119], v[70:71]
	v_fmac_f64_e32 v[118:119], v[120:121], v[110:111]
	s_waitcnt vmcnt(23)
	v_add_f64 v[64:65], v[64:65], -v[68:69]
	s_waitcnt lgkmcnt(0)
	v_mul_f64 v[68:69], v[102:103], v[70:71]
	v_add_f64 v[66:67], v[66:67], -v[118:119]
	v_fma_f64 v[68:69], v[100:101], v[110:111], -v[68:69]
	v_mul_f64 v[100:101], v[100:101], v[70:71]
	ds_read2_b64 v[118:121], v112 offset0:6 offset1:7
	v_fmac_f64_e32 v[100:101], v[102:103], v[110:111]
	s_waitcnt vmcnt(22)
	v_add_f64 v[94:95], v[94:95], -v[100:101]
	ds_read2_b64 v[100:103], v112 offset0:8 offset1:9
	v_add_f64 v[92:93], v[92:93], -v[68:69]
	s_waitcnt lgkmcnt(1)
	v_mul_f64 v[68:69], v[120:121], v[70:71]
	v_fma_f64 v[68:69], v[118:119], v[110:111], -v[68:69]
	v_mul_f64 v[118:119], v[118:119], v[70:71]
	v_fmac_f64_e32 v[118:119], v[120:121], v[110:111]
	s_waitcnt vmcnt(21)
	v_add_f64 v[88:89], v[88:89], -v[68:69]
	s_waitcnt lgkmcnt(0)
	v_mul_f64 v[68:69], v[102:103], v[70:71]
	v_add_f64 v[90:91], v[90:91], -v[118:119]
	v_fma_f64 v[68:69], v[100:101], v[110:111], -v[68:69]
	v_mul_f64 v[100:101], v[100:101], v[70:71]
	ds_read2_b64 v[118:121], v112 offset0:10 offset1:11
	v_fmac_f64_e32 v[100:101], v[102:103], v[110:111]
	s_waitcnt vmcnt(20)
	v_add_f64 v[86:87], v[86:87], -v[100:101]
	ds_read2_b64 v[100:103], v112 offset0:12 offset1:13
	v_add_f64 v[84:85], v[84:85], -v[68:69]
	;; [unrolled: 18-line block ×11, first 2 shown]
	s_waitcnt lgkmcnt(1)
	v_mul_f64 v[68:69], v[120:121], v[70:71]
	v_fma_f64 v[68:69], v[118:119], v[110:111], -v[68:69]
	s_waitcnt vmcnt(1)
	v_add_f64 v[0:1], v[0:1], -v[68:69]
	s_waitcnt lgkmcnt(0)
	v_mul_f64 v[68:69], v[102:103], v[70:71]
	v_mul_f64 v[118:119], v[118:119], v[70:71]
	v_fma_f64 v[68:69], v[100:101], v[110:111], -v[68:69]
	v_mul_f64 v[100:101], v[100:101], v[70:71]
	v_fmac_f64_e32 v[118:119], v[120:121], v[110:111]
	v_fmac_f64_e32 v[100:101], v[102:103], v[110:111]
	v_add_f64 v[2:3], v[2:3], -v[118:119]
	s_waitcnt vmcnt(0)
	v_add_f64 v[96:97], v[96:97], -v[68:69]
	v_add_f64 v[98:99], v[98:99], -v[100:101]
	v_mov_b64_e32 v[68:69], v[110:111]
.LBB48_22:
	s_or_b64 exec, exec, s[0:1]
	v_lshl_add_u32 v100, v113, 4, v112
	s_barrier
	s_waitcnt vmcnt(23)
	ds_write2_b64 v100, v[64:65], v[66:67] offset1:1
	s_waitcnt lgkmcnt(0)
	s_barrier
	ds_read2_b64 v[100:103], v112 offset0:2 offset1:3
	s_cmp_lt_i32 s20, 3
	v_mov_b32_e32 v110, 1
	s_cbranch_scc1 .LBB48_25
; %bb.23:
	v_add3_u32 v111, v116, 0, 32
	s_mov_b32 s16, 2
	v_mov_b32_e32 v110, 1
.LBB48_24:                              ; =>This Inner Loop Header: Depth=1
	ds_read2_b64 v[118:121], v111 offset1:1
	s_waitcnt lgkmcnt(1)
	v_xor_b32_e32 v123, 0x80000000, v101
	v_xor_b32_e32 v125, 0x80000000, v103
	v_cmp_gt_f64_e32 vcc, 0, v[102:103]
	v_cmp_gt_f64_e64 s[0:1], 0, v[100:101]
	v_mov_b32_e32 v122, v100
	v_mov_b32_e32 v124, v102
	v_cndmask_b32_e64 v123, v101, v123, s[0:1]
	v_cndmask_b32_e32 v125, v103, v125, vcc
	v_add_f64 v[122:123], v[122:123], v[124:125]
	s_waitcnt lgkmcnt(0)
	v_xor_b32_e32 v125, 0x80000000, v119
	v_xor_b32_e32 v127, 0x80000000, v121
	v_cmp_gt_f64_e32 vcc, 0, v[120:121]
	v_cmp_gt_f64_e64 s[0:1], 0, v[118:119]
	v_mov_b32_e32 v124, v118
	v_mov_b32_e32 v126, v120
	v_cndmask_b32_e64 v125, v119, v125, s[0:1]
	v_cndmask_b32_e32 v127, v121, v127, vcc
	v_add_f64 v[124:125], v[124:125], v[126:127]
	v_mov_b32_e32 v128, s16
	s_add_i32 s16, s16, 1
	v_cmp_lt_f64_e32 vcc, v[122:123], v[124:125]
	v_add_u32_e32 v111, 16, v111
	s_cmp_lg_u32 s20, s16
	v_cndmask_b32_e32 v101, v101, v119, vcc
	v_cndmask_b32_e32 v100, v100, v118, vcc
	;; [unrolled: 1-line block ×5, first 2 shown]
	s_cbranch_scc1 .LBB48_24
.LBB48_25:
	s_waitcnt lgkmcnt(0)
	v_cmp_neq_f64_e32 vcc, 0, v[100:101]
	v_cmp_neq_f64_e64 s[0:1], 0, v[102:103]
	s_or_b64 s[16:17], vcc, s[0:1]
	s_and_saveexec_b64 s[0:1], s[16:17]
	s_cbranch_execz .LBB48_31
; %bb.26:
	v_cmp_ngt_f64_e64 s[16:17], |v[100:101]|, |v[102:103]|
	s_and_saveexec_b64 s[18:19], s[16:17]
	s_xor_b64 s[16:17], exec, s[18:19]
	s_cbranch_execz .LBB48_28
; %bb.27:
	v_div_scale_f64 v[118:119], s[18:19], v[102:103], v[102:103], v[100:101]
	v_rcp_f64_e32 v[120:121], v[118:119]
	v_div_scale_f64 v[122:123], vcc, v[100:101], v[102:103], v[100:101]
	v_fma_f64 v[124:125], -v[118:119], v[120:121], 1.0
	v_fmac_f64_e32 v[120:121], v[120:121], v[124:125]
	v_fma_f64 v[124:125], -v[118:119], v[120:121], 1.0
	v_fmac_f64_e32 v[120:121], v[120:121], v[124:125]
	v_mul_f64 v[124:125], v[122:123], v[120:121]
	v_fma_f64 v[118:119], -v[118:119], v[124:125], v[122:123]
	v_div_fmas_f64 v[118:119], v[118:119], v[120:121], v[124:125]
	v_div_fixup_f64 v[118:119], v[118:119], v[102:103], v[100:101]
	v_fmac_f64_e32 v[102:103], v[100:101], v[118:119]
	v_div_scale_f64 v[100:101], s[18:19], v[102:103], v[102:103], 1.0
	v_rcp_f64_e32 v[120:121], v[100:101]
	s_nop 0
	v_fma_f64 v[122:123], -v[100:101], v[120:121], 1.0
	v_fmac_f64_e32 v[120:121], v[120:121], v[122:123]
	v_fma_f64 v[122:123], -v[100:101], v[120:121], 1.0
	v_fmac_f64_e32 v[120:121], v[120:121], v[122:123]
	v_div_scale_f64 v[122:123], vcc, 1.0, v[102:103], 1.0
	v_mul_f64 v[124:125], v[122:123], v[120:121]
	v_fma_f64 v[100:101], -v[100:101], v[124:125], v[122:123]
	s_nop 1
	v_div_fmas_f64 v[100:101], v[100:101], v[120:121], v[124:125]
	v_div_fixup_f64 v[102:103], v[100:101], v[102:103], 1.0
	v_mul_f64 v[100:101], v[118:119], v[102:103]
	v_xor_b32_e32 v103, 0x80000000, v103
.LBB48_28:
	s_andn2_saveexec_b64 s[16:17], s[16:17]
	s_cbranch_execz .LBB48_30
; %bb.29:
	v_div_scale_f64 v[118:119], s[18:19], v[100:101], v[100:101], v[102:103]
	v_rcp_f64_e32 v[120:121], v[118:119]
	v_div_scale_f64 v[122:123], vcc, v[102:103], v[100:101], v[102:103]
	v_fma_f64 v[124:125], -v[118:119], v[120:121], 1.0
	v_fmac_f64_e32 v[120:121], v[120:121], v[124:125]
	v_fma_f64 v[124:125], -v[118:119], v[120:121], 1.0
	v_fmac_f64_e32 v[120:121], v[120:121], v[124:125]
	v_mul_f64 v[124:125], v[122:123], v[120:121]
	v_fma_f64 v[118:119], -v[118:119], v[124:125], v[122:123]
	v_div_fmas_f64 v[118:119], v[118:119], v[120:121], v[124:125]
	v_div_fixup_f64 v[118:119], v[118:119], v[100:101], v[102:103]
	v_fmac_f64_e32 v[100:101], v[102:103], v[118:119]
	v_div_scale_f64 v[102:103], s[18:19], v[100:101], v[100:101], 1.0
	v_rcp_f64_e32 v[120:121], v[102:103]
	s_nop 0
	v_fma_f64 v[122:123], -v[102:103], v[120:121], 1.0
	v_fmac_f64_e32 v[120:121], v[120:121], v[122:123]
	v_fma_f64 v[122:123], -v[102:103], v[120:121], 1.0
	v_fmac_f64_e32 v[120:121], v[120:121], v[122:123]
	v_div_scale_f64 v[122:123], vcc, 1.0, v[100:101], 1.0
	v_mul_f64 v[124:125], v[122:123], v[120:121]
	v_fma_f64 v[102:103], -v[102:103], v[124:125], v[122:123]
	s_nop 1
	v_div_fmas_f64 v[102:103], v[102:103], v[120:121], v[124:125]
	v_div_fixup_f64 v[100:101], v[102:103], v[100:101], 1.0
	v_mul_f64 v[102:103], v[118:119], -v[100:101]
.LBB48_30:
	s_or_b64 exec, exec, s[16:17]
	v_mov_b32_e32 v115, v117
.LBB48_31:
	s_or_b64 exec, exec, s[0:1]
	v_cmp_ne_u32_e32 vcc, v113, v110
	s_and_saveexec_b64 s[0:1], vcc
	s_xor_b64 s[0:1], exec, s[0:1]
	s_cbranch_execz .LBB48_37
; %bb.32:
	v_cmp_eq_u32_e32 vcc, 1, v113
	s_and_saveexec_b64 s[16:17], vcc
	s_cbranch_execz .LBB48_36
; %bb.33:
	v_cmp_ne_u32_e32 vcc, 1, v110
	s_xor_b64 s[18:19], s[14:15], -1
	s_and_b64 s[22:23], s[18:19], vcc
	s_and_saveexec_b64 s[18:19], s[22:23]
	s_cbranch_execz .LBB48_35
; %bb.34:
	v_ashrrev_i32_e32 v111, 31, v110
	v_lshl_add_u64 v[118:119], v[110:111], 2, v[108:109]
	global_load_dword v111, v[118:119], off
	global_load_dword v113, v[108:109], off offset:4
	s_waitcnt vmcnt(1)
	global_store_dword v[108:109], v111, off offset:4
	s_waitcnt vmcnt(1)
	global_store_dword v[118:119], v113, off
.LBB48_35:
	s_or_b64 exec, exec, s[18:19]
	v_mov_b32_e32 v113, v110
	v_mov_b32_e32 v114, v110
.LBB48_36:
	s_or_b64 exec, exec, s[16:17]
.LBB48_37:
	s_andn2_saveexec_b64 s[0:1], s[0:1]
	s_cbranch_execz .LBB48_39
; %bb.38:
	v_mov_b32_e32 v113, 1
	s_waitcnt vmcnt(22)
	ds_write2_b64 v112, v[92:93], v[94:95] offset0:4 offset1:5
	s_waitcnt vmcnt(21)
	ds_write2_b64 v112, v[88:89], v[90:91] offset0:6 offset1:7
	;; [unrolled: 2-line block ×23, first 2 shown]
.LBB48_39:
	s_or_b64 exec, exec, s[0:1]
	v_cmp_lt_i32_e32 vcc, 1, v113
	s_waitcnt lgkmcnt(0)
	s_barrier
	s_and_saveexec_b64 s[0:1], vcc
	s_cbranch_execz .LBB48_41
; %bb.40:
	ds_read2_b64 v[118:121], v112 offset0:4 offset1:5
	v_mul_f64 v[110:111], v[102:103], v[66:67]
	v_mul_f64 v[66:67], v[100:101], v[66:67]
	v_fmac_f64_e32 v[66:67], v[102:103], v[64:65]
	v_fma_f64 v[110:111], v[100:101], v[64:65], -v[110:111]
	ds_read2_b64 v[100:103], v112 offset0:6 offset1:7
	s_waitcnt lgkmcnt(1)
	v_mul_f64 v[64:65], v[120:121], v[66:67]
	v_fma_f64 v[64:65], v[118:119], v[110:111], -v[64:65]
	v_mul_f64 v[118:119], v[118:119], v[66:67]
	v_fmac_f64_e32 v[118:119], v[120:121], v[110:111]
	s_waitcnt vmcnt(22)
	v_add_f64 v[94:95], v[94:95], -v[118:119]
	ds_read2_b64 v[118:121], v112 offset0:8 offset1:9
	v_add_f64 v[92:93], v[92:93], -v[64:65]
	s_waitcnt lgkmcnt(1)
	v_mul_f64 v[64:65], v[102:103], v[66:67]
	v_fma_f64 v[64:65], v[100:101], v[110:111], -v[64:65]
	v_mul_f64 v[100:101], v[100:101], v[66:67]
	v_fmac_f64_e32 v[100:101], v[102:103], v[110:111]
	s_waitcnt vmcnt(21)
	v_add_f64 v[88:89], v[88:89], -v[64:65]
	v_add_f64 v[90:91], v[90:91], -v[100:101]
	ds_read2_b64 v[100:103], v112 offset0:10 offset1:11
	s_waitcnt lgkmcnt(1)
	v_mul_f64 v[64:65], v[120:121], v[66:67]
	v_fma_f64 v[64:65], v[118:119], v[110:111], -v[64:65]
	v_mul_f64 v[118:119], v[118:119], v[66:67]
	v_fmac_f64_e32 v[118:119], v[120:121], v[110:111]
	s_waitcnt vmcnt(20)
	v_add_f64 v[86:87], v[86:87], -v[118:119]
	ds_read2_b64 v[118:121], v112 offset0:12 offset1:13
	v_add_f64 v[84:85], v[84:85], -v[64:65]
	s_waitcnt lgkmcnt(1)
	v_mul_f64 v[64:65], v[102:103], v[66:67]
	v_fma_f64 v[64:65], v[100:101], v[110:111], -v[64:65]
	v_mul_f64 v[100:101], v[100:101], v[66:67]
	v_fmac_f64_e32 v[100:101], v[102:103], v[110:111]
	s_waitcnt vmcnt(19)
	v_add_f64 v[80:81], v[80:81], -v[64:65]
	v_add_f64 v[82:83], v[82:83], -v[100:101]
	;; [unrolled: 18-line block ×11, first 2 shown]
	s_waitcnt lgkmcnt(0)
	v_mul_f64 v[64:65], v[120:121], v[66:67]
	v_mul_f64 v[100:101], v[118:119], v[66:67]
	v_fma_f64 v[64:65], v[118:119], v[110:111], -v[64:65]
	v_fmac_f64_e32 v[100:101], v[120:121], v[110:111]
	s_waitcnt vmcnt(0)
	v_add_f64 v[96:97], v[96:97], -v[64:65]
	v_add_f64 v[98:99], v[98:99], -v[100:101]
	v_mov_b64_e32 v[64:65], v[110:111]
.LBB48_41:
	s_or_b64 exec, exec, s[0:1]
	v_lshl_add_u32 v100, v113, 4, v112
	s_barrier
	s_waitcnt vmcnt(22)
	ds_write2_b64 v100, v[92:93], v[94:95] offset1:1
	s_waitcnt lgkmcnt(0)
	s_barrier
	ds_read2_b64 v[100:103], v112 offset0:4 offset1:5
	s_cmp_lt_i32 s20, 4
	v_mov_b32_e32 v110, 2
	s_cbranch_scc1 .LBB48_44
; %bb.42:
	v_add3_u32 v111, v116, 0, 48
	s_mov_b32 s16, 3
	v_mov_b32_e32 v110, 2
.LBB48_43:                              ; =>This Inner Loop Header: Depth=1
	ds_read2_b64 v[118:121], v111 offset1:1
	s_waitcnt lgkmcnt(1)
	v_xor_b32_e32 v117, 0x80000000, v101
	v_xor_b32_e32 v125, 0x80000000, v103
	v_cmp_gt_f64_e32 vcc, 0, v[102:103]
	v_cmp_gt_f64_e64 s[0:1], 0, v[100:101]
	v_mov_b32_e32 v122, v100
	v_mov_b32_e32 v124, v102
	v_cndmask_b32_e64 v123, v101, v117, s[0:1]
	v_cndmask_b32_e32 v125, v103, v125, vcc
	s_waitcnt lgkmcnt(0)
	v_xor_b32_e32 v117, 0x80000000, v119
	v_xor_b32_e32 v127, 0x80000000, v121
	v_cmp_gt_f64_e32 vcc, 0, v[120:121]
	v_cmp_gt_f64_e64 s[0:1], 0, v[118:119]
	v_add_f64 v[122:123], v[122:123], v[124:125]
	v_mov_b32_e32 v124, v118
	v_mov_b32_e32 v126, v120
	v_cndmask_b32_e64 v125, v119, v117, s[0:1]
	v_cndmask_b32_e32 v127, v121, v127, vcc
	v_add_f64 v[124:125], v[124:125], v[126:127]
	v_mov_b32_e32 v128, s16
	s_add_i32 s16, s16, 1
	v_cmp_lt_f64_e32 vcc, v[122:123], v[124:125]
	v_add_u32_e32 v111, 16, v111
	s_cmp_lg_u32 s20, s16
	v_cndmask_b32_e32 v101, v101, v119, vcc
	v_cndmask_b32_e32 v100, v100, v118, vcc
	;; [unrolled: 1-line block ×5, first 2 shown]
	s_cbranch_scc1 .LBB48_43
.LBB48_44:
	s_waitcnt lgkmcnt(0)
	v_cmp_eq_f64_e32 vcc, 0, v[100:101]
	v_cmp_eq_f64_e64 s[0:1], 0, v[102:103]
	s_and_b64 s[0:1], vcc, s[0:1]
	s_and_saveexec_b64 s[16:17], s[0:1]
	s_xor_b64 s[0:1], exec, s[16:17]
; %bb.45:
	v_cmp_ne_u32_e32 vcc, 0, v115
	s_nop 1
	v_cndmask_b32_e32 v115, 3, v115, vcc
; %bb.46:
	s_andn2_saveexec_b64 s[0:1], s[0:1]
	s_cbranch_execz .LBB48_52
; %bb.47:
	v_cmp_ngt_f64_e64 s[16:17], |v[100:101]|, |v[102:103]|
	s_and_saveexec_b64 s[18:19], s[16:17]
	s_xor_b64 s[16:17], exec, s[18:19]
	s_cbranch_execz .LBB48_49
; %bb.48:
	v_div_scale_f64 v[118:119], s[18:19], v[102:103], v[102:103], v[100:101]
	v_rcp_f64_e32 v[120:121], v[118:119]
	v_div_scale_f64 v[122:123], vcc, v[100:101], v[102:103], v[100:101]
	v_fma_f64 v[124:125], -v[118:119], v[120:121], 1.0
	v_fmac_f64_e32 v[120:121], v[120:121], v[124:125]
	v_fma_f64 v[124:125], -v[118:119], v[120:121], 1.0
	v_fmac_f64_e32 v[120:121], v[120:121], v[124:125]
	v_mul_f64 v[124:125], v[122:123], v[120:121]
	v_fma_f64 v[118:119], -v[118:119], v[124:125], v[122:123]
	v_div_fmas_f64 v[118:119], v[118:119], v[120:121], v[124:125]
	v_div_fixup_f64 v[118:119], v[118:119], v[102:103], v[100:101]
	v_fmac_f64_e32 v[102:103], v[100:101], v[118:119]
	v_div_scale_f64 v[100:101], s[18:19], v[102:103], v[102:103], 1.0
	v_rcp_f64_e32 v[120:121], v[100:101]
	s_nop 0
	v_fma_f64 v[122:123], -v[100:101], v[120:121], 1.0
	v_fmac_f64_e32 v[120:121], v[120:121], v[122:123]
	v_fma_f64 v[122:123], -v[100:101], v[120:121], 1.0
	v_fmac_f64_e32 v[120:121], v[120:121], v[122:123]
	v_div_scale_f64 v[122:123], vcc, 1.0, v[102:103], 1.0
	v_mul_f64 v[124:125], v[122:123], v[120:121]
	v_fma_f64 v[100:101], -v[100:101], v[124:125], v[122:123]
	s_nop 1
	v_div_fmas_f64 v[100:101], v[100:101], v[120:121], v[124:125]
	v_div_fixup_f64 v[102:103], v[100:101], v[102:103], 1.0
	v_mul_f64 v[100:101], v[118:119], v[102:103]
	v_xor_b32_e32 v103, 0x80000000, v103
.LBB48_49:
	s_andn2_saveexec_b64 s[16:17], s[16:17]
	s_cbranch_execz .LBB48_51
; %bb.50:
	v_div_scale_f64 v[118:119], s[18:19], v[100:101], v[100:101], v[102:103]
	v_rcp_f64_e32 v[120:121], v[118:119]
	v_div_scale_f64 v[122:123], vcc, v[102:103], v[100:101], v[102:103]
	v_fma_f64 v[124:125], -v[118:119], v[120:121], 1.0
	v_fmac_f64_e32 v[120:121], v[120:121], v[124:125]
	v_fma_f64 v[124:125], -v[118:119], v[120:121], 1.0
	v_fmac_f64_e32 v[120:121], v[120:121], v[124:125]
	v_mul_f64 v[124:125], v[122:123], v[120:121]
	v_fma_f64 v[118:119], -v[118:119], v[124:125], v[122:123]
	v_div_fmas_f64 v[118:119], v[118:119], v[120:121], v[124:125]
	v_div_fixup_f64 v[118:119], v[118:119], v[100:101], v[102:103]
	v_fmac_f64_e32 v[100:101], v[102:103], v[118:119]
	v_div_scale_f64 v[102:103], s[18:19], v[100:101], v[100:101], 1.0
	v_rcp_f64_e32 v[120:121], v[102:103]
	s_nop 0
	v_fma_f64 v[122:123], -v[102:103], v[120:121], 1.0
	v_fmac_f64_e32 v[120:121], v[120:121], v[122:123]
	v_fma_f64 v[122:123], -v[102:103], v[120:121], 1.0
	v_fmac_f64_e32 v[120:121], v[120:121], v[122:123]
	v_div_scale_f64 v[122:123], vcc, 1.0, v[100:101], 1.0
	v_mul_f64 v[124:125], v[122:123], v[120:121]
	v_fma_f64 v[102:103], -v[102:103], v[124:125], v[122:123]
	s_nop 1
	v_div_fmas_f64 v[102:103], v[102:103], v[120:121], v[124:125]
	v_div_fixup_f64 v[100:101], v[102:103], v[100:101], 1.0
	v_mul_f64 v[102:103], v[118:119], -v[100:101]
.LBB48_51:
	s_or_b64 exec, exec, s[16:17]
.LBB48_52:
	s_or_b64 exec, exec, s[0:1]
	v_cmp_ne_u32_e32 vcc, v113, v110
	s_and_saveexec_b64 s[0:1], vcc
	s_xor_b64 s[0:1], exec, s[0:1]
	s_cbranch_execz .LBB48_58
; %bb.53:
	v_cmp_eq_u32_e32 vcc, 2, v113
	s_and_saveexec_b64 s[16:17], vcc
	s_cbranch_execz .LBB48_57
; %bb.54:
	v_cmp_ne_u32_e32 vcc, 2, v110
	s_xor_b64 s[18:19], s[14:15], -1
	s_and_b64 s[22:23], s[18:19], vcc
	s_and_saveexec_b64 s[18:19], s[22:23]
	s_cbranch_execz .LBB48_56
; %bb.55:
	v_ashrrev_i32_e32 v111, 31, v110
	v_lshl_add_u64 v[118:119], v[110:111], 2, v[108:109]
	global_load_dword v111, v[118:119], off
	global_load_dword v113, v[108:109], off offset:8
	s_waitcnt vmcnt(1)
	global_store_dword v[108:109], v111, off offset:8
	s_waitcnt vmcnt(1)
	global_store_dword v[118:119], v113, off
.LBB48_56:
	s_or_b64 exec, exec, s[18:19]
	v_mov_b32_e32 v113, v110
	v_mov_b32_e32 v114, v110
.LBB48_57:
	s_or_b64 exec, exec, s[16:17]
.LBB48_58:
	s_andn2_saveexec_b64 s[0:1], s[0:1]
	s_cbranch_execz .LBB48_60
; %bb.59:
	v_mov_b32_e32 v113, 2
	s_waitcnt vmcnt(21)
	ds_write2_b64 v112, v[88:89], v[90:91] offset0:6 offset1:7
	s_waitcnt vmcnt(20)
	ds_write2_b64 v112, v[84:85], v[86:87] offset0:8 offset1:9
	;; [unrolled: 2-line block ×22, first 2 shown]
.LBB48_60:
	s_or_b64 exec, exec, s[0:1]
	v_cmp_lt_i32_e32 vcc, 2, v113
	s_waitcnt lgkmcnt(0)
	s_barrier
	s_and_saveexec_b64 s[0:1], vcc
	s_cbranch_execz .LBB48_62
; %bb.61:
	ds_read2_b64 v[118:121], v112 offset0:6 offset1:7
	v_mul_f64 v[110:111], v[102:103], v[94:95]
	v_mul_f64 v[94:95], v[100:101], v[94:95]
	v_fma_f64 v[110:111], v[100:101], v[92:93], -v[110:111]
	v_fmac_f64_e32 v[94:95], v[102:103], v[92:93]
	ds_read2_b64 v[100:103], v112 offset0:8 offset1:9
	s_waitcnt lgkmcnt(1)
	v_mul_f64 v[92:93], v[120:121], v[94:95]
	v_fma_f64 v[92:93], v[118:119], v[110:111], -v[92:93]
	v_mul_f64 v[118:119], v[118:119], v[94:95]
	v_fmac_f64_e32 v[118:119], v[120:121], v[110:111]
	s_waitcnt vmcnt(21)
	v_add_f64 v[88:89], v[88:89], -v[92:93]
	s_waitcnt lgkmcnt(0)
	v_mul_f64 v[92:93], v[102:103], v[94:95]
	v_add_f64 v[90:91], v[90:91], -v[118:119]
	v_fma_f64 v[92:93], v[100:101], v[110:111], -v[92:93]
	v_mul_f64 v[100:101], v[100:101], v[94:95]
	ds_read2_b64 v[118:121], v112 offset0:10 offset1:11
	v_fmac_f64_e32 v[100:101], v[102:103], v[110:111]
	s_waitcnt vmcnt(20)
	v_add_f64 v[86:87], v[86:87], -v[100:101]
	ds_read2_b64 v[100:103], v112 offset0:12 offset1:13
	v_add_f64 v[84:85], v[84:85], -v[92:93]
	s_waitcnt lgkmcnt(1)
	v_mul_f64 v[92:93], v[120:121], v[94:95]
	v_fma_f64 v[92:93], v[118:119], v[110:111], -v[92:93]
	v_mul_f64 v[118:119], v[118:119], v[94:95]
	v_fmac_f64_e32 v[118:119], v[120:121], v[110:111]
	s_waitcnt vmcnt(19)
	v_add_f64 v[80:81], v[80:81], -v[92:93]
	s_waitcnt lgkmcnt(0)
	v_mul_f64 v[92:93], v[102:103], v[94:95]
	v_add_f64 v[82:83], v[82:83], -v[118:119]
	v_fma_f64 v[92:93], v[100:101], v[110:111], -v[92:93]
	v_mul_f64 v[100:101], v[100:101], v[94:95]
	ds_read2_b64 v[118:121], v112 offset0:14 offset1:15
	v_fmac_f64_e32 v[100:101], v[102:103], v[110:111]
	s_waitcnt vmcnt(18)
	v_add_f64 v[78:79], v[78:79], -v[100:101]
	ds_read2_b64 v[100:103], v112 offset0:16 offset1:17
	v_add_f64 v[76:77], v[76:77], -v[92:93]
	;; [unrolled: 18-line block ×10, first 2 shown]
	s_waitcnt lgkmcnt(1)
	v_mul_f64 v[92:93], v[120:121], v[94:95]
	v_fma_f64 v[92:93], v[118:119], v[110:111], -v[92:93]
	s_waitcnt vmcnt(1)
	v_add_f64 v[0:1], v[0:1], -v[92:93]
	s_waitcnt lgkmcnt(0)
	v_mul_f64 v[92:93], v[102:103], v[94:95]
	v_mul_f64 v[118:119], v[118:119], v[94:95]
	v_fma_f64 v[92:93], v[100:101], v[110:111], -v[92:93]
	v_mul_f64 v[100:101], v[100:101], v[94:95]
	v_fmac_f64_e32 v[118:119], v[120:121], v[110:111]
	v_fmac_f64_e32 v[100:101], v[102:103], v[110:111]
	v_add_f64 v[2:3], v[2:3], -v[118:119]
	s_waitcnt vmcnt(0)
	v_add_f64 v[96:97], v[96:97], -v[92:93]
	v_add_f64 v[98:99], v[98:99], -v[100:101]
	v_mov_b64_e32 v[92:93], v[110:111]
.LBB48_62:
	s_or_b64 exec, exec, s[0:1]
	v_lshl_add_u32 v100, v113, 4, v112
	s_barrier
	s_waitcnt vmcnt(21)
	ds_write2_b64 v100, v[88:89], v[90:91] offset1:1
	s_waitcnt lgkmcnt(0)
	s_barrier
	ds_read2_b64 v[100:103], v112 offset0:6 offset1:7
	s_mov_b32 s16, 4
	s_cmp_lt_i32 s20, 5
	v_mov_b32_e32 v110, 3
	s_cbranch_scc1 .LBB48_65
; %bb.63:
	v_add3_u32 v111, v116, 0, 64
	v_mov_b32_e32 v110, 3
.LBB48_64:                              ; =>This Inner Loop Header: Depth=1
	ds_read2_b64 v[116:119], v111 offset1:1
	s_waitcnt lgkmcnt(1)
	v_xor_b32_e32 v121, 0x80000000, v101
	v_xor_b32_e32 v123, 0x80000000, v103
	v_cmp_gt_f64_e32 vcc, 0, v[102:103]
	v_cmp_gt_f64_e64 s[0:1], 0, v[100:101]
	v_mov_b32_e32 v120, v100
	v_mov_b32_e32 v122, v102
	v_cndmask_b32_e64 v121, v101, v121, s[0:1]
	v_cndmask_b32_e32 v123, v103, v123, vcc
	v_add_f64 v[120:121], v[120:121], v[122:123]
	s_waitcnt lgkmcnt(0)
	v_xor_b32_e32 v123, 0x80000000, v117
	v_xor_b32_e32 v125, 0x80000000, v119
	v_cmp_gt_f64_e32 vcc, 0, v[118:119]
	v_cmp_gt_f64_e64 s[0:1], 0, v[116:117]
	v_mov_b32_e32 v122, v116
	v_mov_b32_e32 v124, v118
	v_cndmask_b32_e64 v123, v117, v123, s[0:1]
	v_cndmask_b32_e32 v125, v119, v125, vcc
	v_add_f64 v[122:123], v[122:123], v[124:125]
	v_mov_b32_e32 v126, s16
	s_add_i32 s16, s16, 1
	v_cmp_lt_f64_e32 vcc, v[120:121], v[122:123]
	v_add_u32_e32 v111, 16, v111
	s_cmp_lg_u32 s20, s16
	v_cndmask_b32_e32 v101, v101, v117, vcc
	v_cndmask_b32_e32 v100, v100, v116, vcc
	v_cndmask_b32_e32 v103, v103, v119, vcc
	v_cndmask_b32_e32 v102, v102, v118, vcc
	v_cndmask_b32_e32 v110, v110, v126, vcc
	s_cbranch_scc1 .LBB48_64
.LBB48_65:
	s_waitcnt lgkmcnt(0)
	v_cmp_eq_f64_e32 vcc, 0, v[100:101]
	v_cmp_eq_f64_e64 s[0:1], 0, v[102:103]
	s_and_b64 s[0:1], vcc, s[0:1]
	s_and_saveexec_b64 s[16:17], s[0:1]
	s_xor_b64 s[0:1], exec, s[16:17]
; %bb.66:
	v_cmp_ne_u32_e32 vcc, 0, v115
	s_nop 1
	v_cndmask_b32_e32 v115, 4, v115, vcc
; %bb.67:
	s_andn2_saveexec_b64 s[0:1], s[0:1]
	s_cbranch_execz .LBB48_73
; %bb.68:
	v_cmp_ngt_f64_e64 s[16:17], |v[100:101]|, |v[102:103]|
	s_and_saveexec_b64 s[18:19], s[16:17]
	s_xor_b64 s[16:17], exec, s[18:19]
	s_cbranch_execz .LBB48_70
; %bb.69:
	v_div_scale_f64 v[116:117], s[18:19], v[102:103], v[102:103], v[100:101]
	v_rcp_f64_e32 v[118:119], v[116:117]
	v_div_scale_f64 v[120:121], vcc, v[100:101], v[102:103], v[100:101]
	v_fma_f64 v[122:123], -v[116:117], v[118:119], 1.0
	v_fmac_f64_e32 v[118:119], v[118:119], v[122:123]
	v_fma_f64 v[122:123], -v[116:117], v[118:119], 1.0
	v_fmac_f64_e32 v[118:119], v[118:119], v[122:123]
	v_mul_f64 v[122:123], v[120:121], v[118:119]
	v_fma_f64 v[116:117], -v[116:117], v[122:123], v[120:121]
	v_div_fmas_f64 v[116:117], v[116:117], v[118:119], v[122:123]
	v_div_fixup_f64 v[116:117], v[116:117], v[102:103], v[100:101]
	v_fmac_f64_e32 v[102:103], v[100:101], v[116:117]
	v_div_scale_f64 v[100:101], s[18:19], v[102:103], v[102:103], 1.0
	v_rcp_f64_e32 v[118:119], v[100:101]
	s_nop 0
	v_fma_f64 v[120:121], -v[100:101], v[118:119], 1.0
	v_fmac_f64_e32 v[118:119], v[118:119], v[120:121]
	v_fma_f64 v[120:121], -v[100:101], v[118:119], 1.0
	v_fmac_f64_e32 v[118:119], v[118:119], v[120:121]
	v_div_scale_f64 v[120:121], vcc, 1.0, v[102:103], 1.0
	v_mul_f64 v[122:123], v[120:121], v[118:119]
	v_fma_f64 v[100:101], -v[100:101], v[122:123], v[120:121]
	s_nop 1
	v_div_fmas_f64 v[100:101], v[100:101], v[118:119], v[122:123]
	v_div_fixup_f64 v[102:103], v[100:101], v[102:103], 1.0
	v_mul_f64 v[100:101], v[116:117], v[102:103]
	v_xor_b32_e32 v103, 0x80000000, v103
.LBB48_70:
	s_andn2_saveexec_b64 s[16:17], s[16:17]
	s_cbranch_execz .LBB48_72
; %bb.71:
	v_div_scale_f64 v[116:117], s[18:19], v[100:101], v[100:101], v[102:103]
	v_rcp_f64_e32 v[118:119], v[116:117]
	v_div_scale_f64 v[120:121], vcc, v[102:103], v[100:101], v[102:103]
	v_fma_f64 v[122:123], -v[116:117], v[118:119], 1.0
	v_fmac_f64_e32 v[118:119], v[118:119], v[122:123]
	v_fma_f64 v[122:123], -v[116:117], v[118:119], 1.0
	v_fmac_f64_e32 v[118:119], v[118:119], v[122:123]
	v_mul_f64 v[122:123], v[120:121], v[118:119]
	v_fma_f64 v[116:117], -v[116:117], v[122:123], v[120:121]
	v_div_fmas_f64 v[116:117], v[116:117], v[118:119], v[122:123]
	v_div_fixup_f64 v[116:117], v[116:117], v[100:101], v[102:103]
	v_fmac_f64_e32 v[100:101], v[102:103], v[116:117]
	v_div_scale_f64 v[102:103], s[18:19], v[100:101], v[100:101], 1.0
	v_rcp_f64_e32 v[118:119], v[102:103]
	s_nop 0
	v_fma_f64 v[120:121], -v[102:103], v[118:119], 1.0
	v_fmac_f64_e32 v[118:119], v[118:119], v[120:121]
	v_fma_f64 v[120:121], -v[102:103], v[118:119], 1.0
	v_fmac_f64_e32 v[118:119], v[118:119], v[120:121]
	v_div_scale_f64 v[120:121], vcc, 1.0, v[100:101], 1.0
	v_mul_f64 v[122:123], v[120:121], v[118:119]
	v_fma_f64 v[102:103], -v[102:103], v[122:123], v[120:121]
	s_nop 1
	v_div_fmas_f64 v[102:103], v[102:103], v[118:119], v[122:123]
	v_div_fixup_f64 v[100:101], v[102:103], v[100:101], 1.0
	v_mul_f64 v[102:103], v[116:117], -v[100:101]
.LBB48_72:
	s_or_b64 exec, exec, s[16:17]
.LBB48_73:
	s_or_b64 exec, exec, s[0:1]
	v_cmp_ne_u32_e32 vcc, v113, v110
	s_and_saveexec_b64 s[0:1], vcc
	s_xor_b64 s[0:1], exec, s[0:1]
	s_cbranch_execz .LBB48_79
; %bb.74:
	v_cmp_eq_u32_e32 vcc, 3, v113
	s_and_saveexec_b64 s[16:17], vcc
	s_cbranch_execz .LBB48_78
; %bb.75:
	v_cmp_ne_u32_e32 vcc, 3, v110
	s_xor_b64 s[18:19], s[14:15], -1
	s_and_b64 s[22:23], s[18:19], vcc
	s_and_saveexec_b64 s[18:19], s[22:23]
	s_cbranch_execz .LBB48_77
; %bb.76:
	v_ashrrev_i32_e32 v111, 31, v110
	v_lshl_add_u64 v[116:117], v[110:111], 2, v[108:109]
	global_load_dword v111, v[116:117], off
	global_load_dword v113, v[108:109], off offset:12
	s_waitcnt vmcnt(1)
	global_store_dword v[108:109], v111, off offset:12
	s_waitcnt vmcnt(1)
	global_store_dword v[116:117], v113, off
.LBB48_77:
	s_or_b64 exec, exec, s[18:19]
	v_mov_b32_e32 v113, v110
	v_mov_b32_e32 v114, v110
.LBB48_78:
	s_or_b64 exec, exec, s[16:17]
.LBB48_79:
	s_andn2_saveexec_b64 s[0:1], s[0:1]
	s_cbranch_execz .LBB48_81
; %bb.80:
	v_mov_b32_e32 v113, 3
	s_waitcnt vmcnt(20)
	ds_write2_b64 v112, v[84:85], v[86:87] offset0:8 offset1:9
	s_waitcnt vmcnt(19)
	ds_write2_b64 v112, v[80:81], v[82:83] offset0:10 offset1:11
	;; [unrolled: 2-line block ×21, first 2 shown]
.LBB48_81:
	s_or_b64 exec, exec, s[0:1]
	v_cmp_lt_i32_e32 vcc, 3, v113
	s_waitcnt lgkmcnt(0)
	s_barrier
	s_and_saveexec_b64 s[0:1], vcc
	s_cbranch_execz .LBB48_83
; %bb.82:
	ds_read2_b64 v[116:119], v112 offset0:8 offset1:9
	v_mul_f64 v[110:111], v[102:103], v[90:91]
	v_mul_f64 v[90:91], v[100:101], v[90:91]
	v_fmac_f64_e32 v[90:91], v[102:103], v[88:89]
	v_fma_f64 v[110:111], v[100:101], v[88:89], -v[110:111]
	ds_read2_b64 v[100:103], v112 offset0:10 offset1:11
	s_waitcnt lgkmcnt(1)
	v_mul_f64 v[88:89], v[118:119], v[90:91]
	v_fma_f64 v[88:89], v[116:117], v[110:111], -v[88:89]
	v_mul_f64 v[116:117], v[116:117], v[90:91]
	v_fmac_f64_e32 v[116:117], v[118:119], v[110:111]
	s_waitcnt vmcnt(20)
	v_add_f64 v[86:87], v[86:87], -v[116:117]
	ds_read2_b64 v[116:119], v112 offset0:12 offset1:13
	v_add_f64 v[84:85], v[84:85], -v[88:89]
	s_waitcnt lgkmcnt(1)
	v_mul_f64 v[88:89], v[102:103], v[90:91]
	v_fma_f64 v[88:89], v[100:101], v[110:111], -v[88:89]
	v_mul_f64 v[100:101], v[100:101], v[90:91]
	v_fmac_f64_e32 v[100:101], v[102:103], v[110:111]
	s_waitcnt vmcnt(19)
	v_add_f64 v[80:81], v[80:81], -v[88:89]
	v_add_f64 v[82:83], v[82:83], -v[100:101]
	ds_read2_b64 v[100:103], v112 offset0:14 offset1:15
	s_waitcnt lgkmcnt(1)
	v_mul_f64 v[88:89], v[118:119], v[90:91]
	v_fma_f64 v[88:89], v[116:117], v[110:111], -v[88:89]
	v_mul_f64 v[116:117], v[116:117], v[90:91]
	v_fmac_f64_e32 v[116:117], v[118:119], v[110:111]
	s_waitcnt vmcnt(18)
	v_add_f64 v[78:79], v[78:79], -v[116:117]
	ds_read2_b64 v[116:119], v112 offset0:16 offset1:17
	v_add_f64 v[76:77], v[76:77], -v[88:89]
	s_waitcnt lgkmcnt(1)
	v_mul_f64 v[88:89], v[102:103], v[90:91]
	v_fma_f64 v[88:89], v[100:101], v[110:111], -v[88:89]
	v_mul_f64 v[100:101], v[100:101], v[90:91]
	v_fmac_f64_e32 v[100:101], v[102:103], v[110:111]
	s_waitcnt vmcnt(17)
	v_add_f64 v[72:73], v[72:73], -v[88:89]
	v_add_f64 v[74:75], v[74:75], -v[100:101]
	ds_read2_b64 v[100:103], v112 offset0:18 offset1:19
	s_waitcnt lgkmcnt(1)
	v_mul_f64 v[88:89], v[118:119], v[90:91]
	v_fma_f64 v[88:89], v[116:117], v[110:111], -v[88:89]
	v_mul_f64 v[116:117], v[116:117], v[90:91]
	v_fmac_f64_e32 v[116:117], v[118:119], v[110:111]
	s_waitcnt vmcnt(16)
	v_add_f64 v[62:63], v[62:63], -v[116:117]
	ds_read2_b64 v[116:119], v112 offset0:20 offset1:21
	v_add_f64 v[60:61], v[60:61], -v[88:89]
	s_waitcnt lgkmcnt(1)
	v_mul_f64 v[88:89], v[102:103], v[90:91]
	v_fma_f64 v[88:89], v[100:101], v[110:111], -v[88:89]
	v_mul_f64 v[100:101], v[100:101], v[90:91]
	v_fmac_f64_e32 v[100:101], v[102:103], v[110:111]
	s_waitcnt vmcnt(15)
	v_add_f64 v[56:57], v[56:57], -v[88:89]
	v_add_f64 v[58:59], v[58:59], -v[100:101]
	ds_read2_b64 v[100:103], v112 offset0:22 offset1:23
	s_waitcnt lgkmcnt(1)
	v_mul_f64 v[88:89], v[118:119], v[90:91]
	v_fma_f64 v[88:89], v[116:117], v[110:111], -v[88:89]
	v_mul_f64 v[116:117], v[116:117], v[90:91]
	v_fmac_f64_e32 v[116:117], v[118:119], v[110:111]
	s_waitcnt vmcnt(14)
	v_add_f64 v[54:55], v[54:55], -v[116:117]
	ds_read2_b64 v[116:119], v112 offset0:24 offset1:25
	v_add_f64 v[52:53], v[52:53], -v[88:89]
	s_waitcnt lgkmcnt(1)
	v_mul_f64 v[88:89], v[102:103], v[90:91]
	v_fma_f64 v[88:89], v[100:101], v[110:111], -v[88:89]
	v_mul_f64 v[100:101], v[100:101], v[90:91]
	v_fmac_f64_e32 v[100:101], v[102:103], v[110:111]
	s_waitcnt vmcnt(13)
	v_add_f64 v[48:49], v[48:49], -v[88:89]
	v_add_f64 v[50:51], v[50:51], -v[100:101]
	ds_read2_b64 v[100:103], v112 offset0:26 offset1:27
	s_waitcnt lgkmcnt(1)
	v_mul_f64 v[88:89], v[118:119], v[90:91]
	v_fma_f64 v[88:89], v[116:117], v[110:111], -v[88:89]
	v_mul_f64 v[116:117], v[116:117], v[90:91]
	v_fmac_f64_e32 v[116:117], v[118:119], v[110:111]
	s_waitcnt vmcnt(12)
	v_add_f64 v[46:47], v[46:47], -v[116:117]
	ds_read2_b64 v[116:119], v112 offset0:28 offset1:29
	v_add_f64 v[44:45], v[44:45], -v[88:89]
	s_waitcnt lgkmcnt(1)
	v_mul_f64 v[88:89], v[102:103], v[90:91]
	v_fma_f64 v[88:89], v[100:101], v[110:111], -v[88:89]
	v_mul_f64 v[100:101], v[100:101], v[90:91]
	v_fmac_f64_e32 v[100:101], v[102:103], v[110:111]
	s_waitcnt vmcnt(11)
	v_add_f64 v[40:41], v[40:41], -v[88:89]
	v_add_f64 v[42:43], v[42:43], -v[100:101]
	ds_read2_b64 v[100:103], v112 offset0:30 offset1:31
	s_waitcnt lgkmcnt(1)
	v_mul_f64 v[88:89], v[118:119], v[90:91]
	v_fma_f64 v[88:89], v[116:117], v[110:111], -v[88:89]
	v_mul_f64 v[116:117], v[116:117], v[90:91]
	v_fmac_f64_e32 v[116:117], v[118:119], v[110:111]
	s_waitcnt vmcnt(10)
	v_add_f64 v[38:39], v[38:39], -v[116:117]
	ds_read2_b64 v[116:119], v112 offset0:32 offset1:33
	v_add_f64 v[36:37], v[36:37], -v[88:89]
	s_waitcnt lgkmcnt(1)
	v_mul_f64 v[88:89], v[102:103], v[90:91]
	v_fma_f64 v[88:89], v[100:101], v[110:111], -v[88:89]
	v_mul_f64 v[100:101], v[100:101], v[90:91]
	v_fmac_f64_e32 v[100:101], v[102:103], v[110:111]
	s_waitcnt vmcnt(9)
	v_add_f64 v[32:33], v[32:33], -v[88:89]
	v_add_f64 v[34:35], v[34:35], -v[100:101]
	ds_read2_b64 v[100:103], v112 offset0:34 offset1:35
	s_waitcnt lgkmcnt(1)
	v_mul_f64 v[88:89], v[118:119], v[90:91]
	v_fma_f64 v[88:89], v[116:117], v[110:111], -v[88:89]
	v_mul_f64 v[116:117], v[116:117], v[90:91]
	v_fmac_f64_e32 v[116:117], v[118:119], v[110:111]
	s_waitcnt vmcnt(8)
	v_add_f64 v[26:27], v[26:27], -v[116:117]
	ds_read2_b64 v[116:119], v112 offset0:36 offset1:37
	v_add_f64 v[24:25], v[24:25], -v[88:89]
	s_waitcnt lgkmcnt(1)
	v_mul_f64 v[88:89], v[102:103], v[90:91]
	v_fma_f64 v[88:89], v[100:101], v[110:111], -v[88:89]
	v_mul_f64 v[100:101], v[100:101], v[90:91]
	v_fmac_f64_e32 v[100:101], v[102:103], v[110:111]
	s_waitcnt vmcnt(7)
	v_add_f64 v[28:29], v[28:29], -v[88:89]
	v_add_f64 v[30:31], v[30:31], -v[100:101]
	ds_read2_b64 v[100:103], v112 offset0:38 offset1:39
	s_waitcnt lgkmcnt(1)
	v_mul_f64 v[88:89], v[118:119], v[90:91]
	v_fma_f64 v[88:89], v[116:117], v[110:111], -v[88:89]
	v_mul_f64 v[116:117], v[116:117], v[90:91]
	v_fmac_f64_e32 v[116:117], v[118:119], v[110:111]
	s_waitcnt vmcnt(6)
	v_add_f64 v[22:23], v[22:23], -v[116:117]
	ds_read2_b64 v[116:119], v112 offset0:40 offset1:41
	v_add_f64 v[20:21], v[20:21], -v[88:89]
	s_waitcnt lgkmcnt(1)
	v_mul_f64 v[88:89], v[102:103], v[90:91]
	v_fma_f64 v[88:89], v[100:101], v[110:111], -v[88:89]
	v_mul_f64 v[100:101], v[100:101], v[90:91]
	v_fmac_f64_e32 v[100:101], v[102:103], v[110:111]
	s_waitcnt vmcnt(5)
	v_add_f64 v[16:17], v[16:17], -v[88:89]
	v_add_f64 v[18:19], v[18:19], -v[100:101]
	ds_read2_b64 v[100:103], v112 offset0:42 offset1:43
	s_waitcnt lgkmcnt(1)
	v_mul_f64 v[88:89], v[118:119], v[90:91]
	v_fma_f64 v[88:89], v[116:117], v[110:111], -v[88:89]
	v_mul_f64 v[116:117], v[116:117], v[90:91]
	v_fmac_f64_e32 v[116:117], v[118:119], v[110:111]
	s_waitcnt vmcnt(4)
	v_add_f64 v[14:15], v[14:15], -v[116:117]
	ds_read2_b64 v[116:119], v112 offset0:44 offset1:45
	v_add_f64 v[12:13], v[12:13], -v[88:89]
	s_waitcnt lgkmcnt(1)
	v_mul_f64 v[88:89], v[102:103], v[90:91]
	v_fma_f64 v[88:89], v[100:101], v[110:111], -v[88:89]
	v_mul_f64 v[100:101], v[100:101], v[90:91]
	v_fmac_f64_e32 v[100:101], v[102:103], v[110:111]
	s_waitcnt vmcnt(3)
	v_add_f64 v[8:9], v[8:9], -v[88:89]
	v_add_f64 v[10:11], v[10:11], -v[100:101]
	ds_read2_b64 v[100:103], v112 offset0:46 offset1:47
	s_waitcnt lgkmcnt(1)
	v_mul_f64 v[88:89], v[118:119], v[90:91]
	v_fma_f64 v[88:89], v[116:117], v[110:111], -v[88:89]
	v_mul_f64 v[116:117], v[116:117], v[90:91]
	v_fmac_f64_e32 v[116:117], v[118:119], v[110:111]
	s_waitcnt vmcnt(2)
	v_add_f64 v[6:7], v[6:7], -v[116:117]
	ds_read2_b64 v[116:119], v112 offset0:48 offset1:49
	v_add_f64 v[4:5], v[4:5], -v[88:89]
	s_waitcnt lgkmcnt(1)
	v_mul_f64 v[88:89], v[102:103], v[90:91]
	v_fma_f64 v[88:89], v[100:101], v[110:111], -v[88:89]
	v_mul_f64 v[100:101], v[100:101], v[90:91]
	v_fmac_f64_e32 v[100:101], v[102:103], v[110:111]
	s_waitcnt vmcnt(1)
	v_add_f64 v[0:1], v[0:1], -v[88:89]
	v_add_f64 v[2:3], v[2:3], -v[100:101]
	s_waitcnt lgkmcnt(0)
	v_mul_f64 v[88:89], v[118:119], v[90:91]
	v_mul_f64 v[100:101], v[116:117], v[90:91]
	v_fma_f64 v[88:89], v[116:117], v[110:111], -v[88:89]
	v_fmac_f64_e32 v[100:101], v[118:119], v[110:111]
	s_waitcnt vmcnt(0)
	v_add_f64 v[96:97], v[96:97], -v[88:89]
	v_add_f64 v[98:99], v[98:99], -v[100:101]
	v_mov_b64_e32 v[88:89], v[110:111]
.LBB48_83:
	s_or_b64 exec, exec, s[0:1]
	v_lshl_add_u32 v100, v113, 4, v112
	s_barrier
	s_waitcnt vmcnt(20)
	ds_write2_b64 v100, v[84:85], v[86:87] offset1:1
	s_waitcnt lgkmcnt(0)
	s_barrier
	ds_read2_b64 v[100:103], v112 offset0:8 offset1:9
	s_cmp_lt_i32 s20, 6
	v_mov_b32_e32 v110, 4
	s_cbranch_scc1 .LBB48_86
; %bb.84:
	v_mov_b32_e32 v110, 4
	v_add_u32_e32 v111, 0x50, v112
	s_mov_b32 s16, 5
.LBB48_85:                              ; =>This Inner Loop Header: Depth=1
	ds_read2_b64 v[116:119], v111 offset1:1
	s_waitcnt lgkmcnt(1)
	v_xor_b32_e32 v121, 0x80000000, v101
	v_xor_b32_e32 v123, 0x80000000, v103
	v_cmp_gt_f64_e32 vcc, 0, v[102:103]
	v_cmp_gt_f64_e64 s[0:1], 0, v[100:101]
	v_mov_b32_e32 v120, v100
	v_mov_b32_e32 v122, v102
	v_cndmask_b32_e64 v121, v101, v121, s[0:1]
	v_cndmask_b32_e32 v123, v103, v123, vcc
	v_add_f64 v[120:121], v[120:121], v[122:123]
	s_waitcnt lgkmcnt(0)
	v_xor_b32_e32 v123, 0x80000000, v117
	v_xor_b32_e32 v125, 0x80000000, v119
	v_cmp_gt_f64_e32 vcc, 0, v[118:119]
	v_cmp_gt_f64_e64 s[0:1], 0, v[116:117]
	v_mov_b32_e32 v122, v116
	v_mov_b32_e32 v124, v118
	v_cndmask_b32_e64 v123, v117, v123, s[0:1]
	v_cndmask_b32_e32 v125, v119, v125, vcc
	v_add_f64 v[122:123], v[122:123], v[124:125]
	v_mov_b32_e32 v126, s16
	s_add_i32 s16, s16, 1
	v_cmp_lt_f64_e32 vcc, v[120:121], v[122:123]
	v_add_u32_e32 v111, 16, v111
	s_cmp_lg_u32 s20, s16
	v_cndmask_b32_e32 v101, v101, v117, vcc
	v_cndmask_b32_e32 v100, v100, v116, vcc
	;; [unrolled: 1-line block ×5, first 2 shown]
	s_cbranch_scc1 .LBB48_85
.LBB48_86:
	s_waitcnt lgkmcnt(0)
	v_cmp_eq_f64_e32 vcc, 0, v[100:101]
	v_cmp_eq_f64_e64 s[0:1], 0, v[102:103]
	s_and_b64 s[0:1], vcc, s[0:1]
	s_and_saveexec_b64 s[16:17], s[0:1]
	s_xor_b64 s[0:1], exec, s[16:17]
; %bb.87:
	v_cmp_ne_u32_e32 vcc, 0, v115
	s_nop 1
	v_cndmask_b32_e32 v115, 5, v115, vcc
; %bb.88:
	s_andn2_saveexec_b64 s[0:1], s[0:1]
	s_cbranch_execz .LBB48_94
; %bb.89:
	v_cmp_ngt_f64_e64 s[16:17], |v[100:101]|, |v[102:103]|
	s_and_saveexec_b64 s[18:19], s[16:17]
	s_xor_b64 s[16:17], exec, s[18:19]
	s_cbranch_execz .LBB48_91
; %bb.90:
	v_div_scale_f64 v[116:117], s[18:19], v[102:103], v[102:103], v[100:101]
	v_rcp_f64_e32 v[118:119], v[116:117]
	v_div_scale_f64 v[120:121], vcc, v[100:101], v[102:103], v[100:101]
	v_fma_f64 v[122:123], -v[116:117], v[118:119], 1.0
	v_fmac_f64_e32 v[118:119], v[118:119], v[122:123]
	v_fma_f64 v[122:123], -v[116:117], v[118:119], 1.0
	v_fmac_f64_e32 v[118:119], v[118:119], v[122:123]
	v_mul_f64 v[122:123], v[120:121], v[118:119]
	v_fma_f64 v[116:117], -v[116:117], v[122:123], v[120:121]
	v_div_fmas_f64 v[116:117], v[116:117], v[118:119], v[122:123]
	v_div_fixup_f64 v[116:117], v[116:117], v[102:103], v[100:101]
	v_fmac_f64_e32 v[102:103], v[100:101], v[116:117]
	v_div_scale_f64 v[100:101], s[18:19], v[102:103], v[102:103], 1.0
	v_rcp_f64_e32 v[118:119], v[100:101]
	s_nop 0
	v_fma_f64 v[120:121], -v[100:101], v[118:119], 1.0
	v_fmac_f64_e32 v[118:119], v[118:119], v[120:121]
	v_fma_f64 v[120:121], -v[100:101], v[118:119], 1.0
	v_fmac_f64_e32 v[118:119], v[118:119], v[120:121]
	v_div_scale_f64 v[120:121], vcc, 1.0, v[102:103], 1.0
	v_mul_f64 v[122:123], v[120:121], v[118:119]
	v_fma_f64 v[100:101], -v[100:101], v[122:123], v[120:121]
	s_nop 1
	v_div_fmas_f64 v[100:101], v[100:101], v[118:119], v[122:123]
	v_div_fixup_f64 v[102:103], v[100:101], v[102:103], 1.0
	v_mul_f64 v[100:101], v[116:117], v[102:103]
	v_xor_b32_e32 v103, 0x80000000, v103
.LBB48_91:
	s_andn2_saveexec_b64 s[16:17], s[16:17]
	s_cbranch_execz .LBB48_93
; %bb.92:
	v_div_scale_f64 v[116:117], s[18:19], v[100:101], v[100:101], v[102:103]
	v_rcp_f64_e32 v[118:119], v[116:117]
	v_div_scale_f64 v[120:121], vcc, v[102:103], v[100:101], v[102:103]
	v_fma_f64 v[122:123], -v[116:117], v[118:119], 1.0
	v_fmac_f64_e32 v[118:119], v[118:119], v[122:123]
	v_fma_f64 v[122:123], -v[116:117], v[118:119], 1.0
	v_fmac_f64_e32 v[118:119], v[118:119], v[122:123]
	v_mul_f64 v[122:123], v[120:121], v[118:119]
	v_fma_f64 v[116:117], -v[116:117], v[122:123], v[120:121]
	v_div_fmas_f64 v[116:117], v[116:117], v[118:119], v[122:123]
	v_div_fixup_f64 v[116:117], v[116:117], v[100:101], v[102:103]
	v_fmac_f64_e32 v[100:101], v[102:103], v[116:117]
	v_div_scale_f64 v[102:103], s[18:19], v[100:101], v[100:101], 1.0
	v_rcp_f64_e32 v[118:119], v[102:103]
	s_nop 0
	v_fma_f64 v[120:121], -v[102:103], v[118:119], 1.0
	v_fmac_f64_e32 v[118:119], v[118:119], v[120:121]
	v_fma_f64 v[120:121], -v[102:103], v[118:119], 1.0
	v_fmac_f64_e32 v[118:119], v[118:119], v[120:121]
	v_div_scale_f64 v[120:121], vcc, 1.0, v[100:101], 1.0
	v_mul_f64 v[122:123], v[120:121], v[118:119]
	v_fma_f64 v[102:103], -v[102:103], v[122:123], v[120:121]
	s_nop 1
	v_div_fmas_f64 v[102:103], v[102:103], v[118:119], v[122:123]
	v_div_fixup_f64 v[100:101], v[102:103], v[100:101], 1.0
	v_mul_f64 v[102:103], v[116:117], -v[100:101]
.LBB48_93:
	s_or_b64 exec, exec, s[16:17]
.LBB48_94:
	s_or_b64 exec, exec, s[0:1]
	v_cmp_ne_u32_e32 vcc, v113, v110
	s_and_saveexec_b64 s[0:1], vcc
	s_xor_b64 s[0:1], exec, s[0:1]
	s_cbranch_execz .LBB48_100
; %bb.95:
	v_cmp_eq_u32_e32 vcc, 4, v113
	s_and_saveexec_b64 s[16:17], vcc
	s_cbranch_execz .LBB48_99
; %bb.96:
	v_cmp_ne_u32_e32 vcc, 4, v110
	s_xor_b64 s[18:19], s[14:15], -1
	s_and_b64 s[22:23], s[18:19], vcc
	s_and_saveexec_b64 s[18:19], s[22:23]
	s_cbranch_execz .LBB48_98
; %bb.97:
	v_ashrrev_i32_e32 v111, 31, v110
	v_lshl_add_u64 v[116:117], v[110:111], 2, v[108:109]
	global_load_dword v111, v[116:117], off
	global_load_dword v113, v[108:109], off offset:16
	s_waitcnt vmcnt(1)
	global_store_dword v[108:109], v111, off offset:16
	s_waitcnt vmcnt(1)
	global_store_dword v[116:117], v113, off
.LBB48_98:
	s_or_b64 exec, exec, s[18:19]
	v_mov_b32_e32 v113, v110
	v_mov_b32_e32 v114, v110
.LBB48_99:
	s_or_b64 exec, exec, s[16:17]
.LBB48_100:
	s_andn2_saveexec_b64 s[0:1], s[0:1]
	s_cbranch_execz .LBB48_102
; %bb.101:
	v_mov_b32_e32 v113, 4
	s_waitcnt vmcnt(19)
	ds_write2_b64 v112, v[80:81], v[82:83] offset0:10 offset1:11
	s_waitcnt vmcnt(18)
	ds_write2_b64 v112, v[76:77], v[78:79] offset0:12 offset1:13
	;; [unrolled: 2-line block ×20, first 2 shown]
.LBB48_102:
	s_or_b64 exec, exec, s[0:1]
	v_cmp_lt_i32_e32 vcc, 4, v113
	s_waitcnt lgkmcnt(0)
	s_barrier
	s_and_saveexec_b64 s[0:1], vcc
	s_cbranch_execz .LBB48_104
; %bb.103:
	ds_read2_b64 v[116:119], v112 offset0:10 offset1:11
	v_mul_f64 v[110:111], v[102:103], v[86:87]
	v_mul_f64 v[86:87], v[100:101], v[86:87]
	v_fma_f64 v[110:111], v[100:101], v[84:85], -v[110:111]
	v_fmac_f64_e32 v[86:87], v[102:103], v[84:85]
	ds_read2_b64 v[100:103], v112 offset0:12 offset1:13
	s_waitcnt lgkmcnt(1)
	v_mul_f64 v[84:85], v[118:119], v[86:87]
	v_fma_f64 v[84:85], v[116:117], v[110:111], -v[84:85]
	v_mul_f64 v[116:117], v[116:117], v[86:87]
	v_fmac_f64_e32 v[116:117], v[118:119], v[110:111]
	s_waitcnt vmcnt(19)
	v_add_f64 v[80:81], v[80:81], -v[84:85]
	s_waitcnt lgkmcnt(0)
	v_mul_f64 v[84:85], v[102:103], v[86:87]
	v_add_f64 v[82:83], v[82:83], -v[116:117]
	v_fma_f64 v[84:85], v[100:101], v[110:111], -v[84:85]
	v_mul_f64 v[100:101], v[100:101], v[86:87]
	ds_read2_b64 v[116:119], v112 offset0:14 offset1:15
	v_fmac_f64_e32 v[100:101], v[102:103], v[110:111]
	s_waitcnt vmcnt(18)
	v_add_f64 v[78:79], v[78:79], -v[100:101]
	ds_read2_b64 v[100:103], v112 offset0:16 offset1:17
	v_add_f64 v[76:77], v[76:77], -v[84:85]
	s_waitcnt lgkmcnt(1)
	v_mul_f64 v[84:85], v[118:119], v[86:87]
	v_fma_f64 v[84:85], v[116:117], v[110:111], -v[84:85]
	v_mul_f64 v[116:117], v[116:117], v[86:87]
	v_fmac_f64_e32 v[116:117], v[118:119], v[110:111]
	s_waitcnt vmcnt(17)
	v_add_f64 v[72:73], v[72:73], -v[84:85]
	s_waitcnt lgkmcnt(0)
	v_mul_f64 v[84:85], v[102:103], v[86:87]
	v_add_f64 v[74:75], v[74:75], -v[116:117]
	v_fma_f64 v[84:85], v[100:101], v[110:111], -v[84:85]
	v_mul_f64 v[100:101], v[100:101], v[86:87]
	ds_read2_b64 v[116:119], v112 offset0:18 offset1:19
	v_fmac_f64_e32 v[100:101], v[102:103], v[110:111]
	s_waitcnt vmcnt(16)
	v_add_f64 v[62:63], v[62:63], -v[100:101]
	ds_read2_b64 v[100:103], v112 offset0:20 offset1:21
	v_add_f64 v[60:61], v[60:61], -v[84:85]
	s_waitcnt lgkmcnt(1)
	v_mul_f64 v[84:85], v[118:119], v[86:87]
	v_fma_f64 v[84:85], v[116:117], v[110:111], -v[84:85]
	v_mul_f64 v[116:117], v[116:117], v[86:87]
	v_fmac_f64_e32 v[116:117], v[118:119], v[110:111]
	s_waitcnt vmcnt(15)
	v_add_f64 v[56:57], v[56:57], -v[84:85]
	s_waitcnt lgkmcnt(0)
	v_mul_f64 v[84:85], v[102:103], v[86:87]
	v_add_f64 v[58:59], v[58:59], -v[116:117]
	v_fma_f64 v[84:85], v[100:101], v[110:111], -v[84:85]
	v_mul_f64 v[100:101], v[100:101], v[86:87]
	ds_read2_b64 v[116:119], v112 offset0:22 offset1:23
	v_fmac_f64_e32 v[100:101], v[102:103], v[110:111]
	s_waitcnt vmcnt(14)
	v_add_f64 v[54:55], v[54:55], -v[100:101]
	ds_read2_b64 v[100:103], v112 offset0:24 offset1:25
	v_add_f64 v[52:53], v[52:53], -v[84:85]
	s_waitcnt lgkmcnt(1)
	v_mul_f64 v[84:85], v[118:119], v[86:87]
	v_fma_f64 v[84:85], v[116:117], v[110:111], -v[84:85]
	v_mul_f64 v[116:117], v[116:117], v[86:87]
	v_fmac_f64_e32 v[116:117], v[118:119], v[110:111]
	s_waitcnt vmcnt(13)
	v_add_f64 v[48:49], v[48:49], -v[84:85]
	s_waitcnt lgkmcnt(0)
	v_mul_f64 v[84:85], v[102:103], v[86:87]
	v_add_f64 v[50:51], v[50:51], -v[116:117]
	v_fma_f64 v[84:85], v[100:101], v[110:111], -v[84:85]
	v_mul_f64 v[100:101], v[100:101], v[86:87]
	ds_read2_b64 v[116:119], v112 offset0:26 offset1:27
	v_fmac_f64_e32 v[100:101], v[102:103], v[110:111]
	s_waitcnt vmcnt(12)
	v_add_f64 v[46:47], v[46:47], -v[100:101]
	ds_read2_b64 v[100:103], v112 offset0:28 offset1:29
	v_add_f64 v[44:45], v[44:45], -v[84:85]
	s_waitcnt lgkmcnt(1)
	v_mul_f64 v[84:85], v[118:119], v[86:87]
	v_fma_f64 v[84:85], v[116:117], v[110:111], -v[84:85]
	v_mul_f64 v[116:117], v[116:117], v[86:87]
	v_fmac_f64_e32 v[116:117], v[118:119], v[110:111]
	s_waitcnt vmcnt(11)
	v_add_f64 v[40:41], v[40:41], -v[84:85]
	s_waitcnt lgkmcnt(0)
	v_mul_f64 v[84:85], v[102:103], v[86:87]
	v_add_f64 v[42:43], v[42:43], -v[116:117]
	v_fma_f64 v[84:85], v[100:101], v[110:111], -v[84:85]
	v_mul_f64 v[100:101], v[100:101], v[86:87]
	ds_read2_b64 v[116:119], v112 offset0:30 offset1:31
	v_fmac_f64_e32 v[100:101], v[102:103], v[110:111]
	s_waitcnt vmcnt(10)
	v_add_f64 v[38:39], v[38:39], -v[100:101]
	ds_read2_b64 v[100:103], v112 offset0:32 offset1:33
	v_add_f64 v[36:37], v[36:37], -v[84:85]
	s_waitcnt lgkmcnt(1)
	v_mul_f64 v[84:85], v[118:119], v[86:87]
	v_fma_f64 v[84:85], v[116:117], v[110:111], -v[84:85]
	v_mul_f64 v[116:117], v[116:117], v[86:87]
	v_fmac_f64_e32 v[116:117], v[118:119], v[110:111]
	s_waitcnt vmcnt(9)
	v_add_f64 v[32:33], v[32:33], -v[84:85]
	s_waitcnt lgkmcnt(0)
	v_mul_f64 v[84:85], v[102:103], v[86:87]
	v_add_f64 v[34:35], v[34:35], -v[116:117]
	v_fma_f64 v[84:85], v[100:101], v[110:111], -v[84:85]
	v_mul_f64 v[100:101], v[100:101], v[86:87]
	ds_read2_b64 v[116:119], v112 offset0:34 offset1:35
	v_fmac_f64_e32 v[100:101], v[102:103], v[110:111]
	s_waitcnt vmcnt(8)
	v_add_f64 v[26:27], v[26:27], -v[100:101]
	ds_read2_b64 v[100:103], v112 offset0:36 offset1:37
	v_add_f64 v[24:25], v[24:25], -v[84:85]
	s_waitcnt lgkmcnt(1)
	v_mul_f64 v[84:85], v[118:119], v[86:87]
	v_fma_f64 v[84:85], v[116:117], v[110:111], -v[84:85]
	v_mul_f64 v[116:117], v[116:117], v[86:87]
	v_fmac_f64_e32 v[116:117], v[118:119], v[110:111]
	s_waitcnt vmcnt(7)
	v_add_f64 v[28:29], v[28:29], -v[84:85]
	s_waitcnt lgkmcnt(0)
	v_mul_f64 v[84:85], v[102:103], v[86:87]
	v_add_f64 v[30:31], v[30:31], -v[116:117]
	v_fma_f64 v[84:85], v[100:101], v[110:111], -v[84:85]
	v_mul_f64 v[100:101], v[100:101], v[86:87]
	ds_read2_b64 v[116:119], v112 offset0:38 offset1:39
	v_fmac_f64_e32 v[100:101], v[102:103], v[110:111]
	s_waitcnt vmcnt(6)
	v_add_f64 v[22:23], v[22:23], -v[100:101]
	ds_read2_b64 v[100:103], v112 offset0:40 offset1:41
	v_add_f64 v[20:21], v[20:21], -v[84:85]
	s_waitcnt lgkmcnt(1)
	v_mul_f64 v[84:85], v[118:119], v[86:87]
	v_fma_f64 v[84:85], v[116:117], v[110:111], -v[84:85]
	v_mul_f64 v[116:117], v[116:117], v[86:87]
	v_fmac_f64_e32 v[116:117], v[118:119], v[110:111]
	s_waitcnt vmcnt(5)
	v_add_f64 v[16:17], v[16:17], -v[84:85]
	s_waitcnt lgkmcnt(0)
	v_mul_f64 v[84:85], v[102:103], v[86:87]
	v_add_f64 v[18:19], v[18:19], -v[116:117]
	v_fma_f64 v[84:85], v[100:101], v[110:111], -v[84:85]
	v_mul_f64 v[100:101], v[100:101], v[86:87]
	ds_read2_b64 v[116:119], v112 offset0:42 offset1:43
	v_fmac_f64_e32 v[100:101], v[102:103], v[110:111]
	s_waitcnt vmcnt(4)
	v_add_f64 v[14:15], v[14:15], -v[100:101]
	ds_read2_b64 v[100:103], v112 offset0:44 offset1:45
	v_add_f64 v[12:13], v[12:13], -v[84:85]
	s_waitcnt lgkmcnt(1)
	v_mul_f64 v[84:85], v[118:119], v[86:87]
	v_fma_f64 v[84:85], v[116:117], v[110:111], -v[84:85]
	v_mul_f64 v[116:117], v[116:117], v[86:87]
	v_fmac_f64_e32 v[116:117], v[118:119], v[110:111]
	s_waitcnt vmcnt(3)
	v_add_f64 v[8:9], v[8:9], -v[84:85]
	s_waitcnt lgkmcnt(0)
	v_mul_f64 v[84:85], v[102:103], v[86:87]
	v_add_f64 v[10:11], v[10:11], -v[116:117]
	v_fma_f64 v[84:85], v[100:101], v[110:111], -v[84:85]
	v_mul_f64 v[100:101], v[100:101], v[86:87]
	ds_read2_b64 v[116:119], v112 offset0:46 offset1:47
	v_fmac_f64_e32 v[100:101], v[102:103], v[110:111]
	s_waitcnt vmcnt(2)
	v_add_f64 v[6:7], v[6:7], -v[100:101]
	ds_read2_b64 v[100:103], v112 offset0:48 offset1:49
	v_add_f64 v[4:5], v[4:5], -v[84:85]
	s_waitcnt lgkmcnt(1)
	v_mul_f64 v[84:85], v[118:119], v[86:87]
	v_fma_f64 v[84:85], v[116:117], v[110:111], -v[84:85]
	s_waitcnt vmcnt(1)
	v_add_f64 v[0:1], v[0:1], -v[84:85]
	s_waitcnt lgkmcnt(0)
	v_mul_f64 v[84:85], v[102:103], v[86:87]
	v_mul_f64 v[116:117], v[116:117], v[86:87]
	v_fma_f64 v[84:85], v[100:101], v[110:111], -v[84:85]
	v_mul_f64 v[100:101], v[100:101], v[86:87]
	v_fmac_f64_e32 v[116:117], v[118:119], v[110:111]
	v_fmac_f64_e32 v[100:101], v[102:103], v[110:111]
	v_add_f64 v[2:3], v[2:3], -v[116:117]
	s_waitcnt vmcnt(0)
	v_add_f64 v[96:97], v[96:97], -v[84:85]
	v_add_f64 v[98:99], v[98:99], -v[100:101]
	v_mov_b64_e32 v[84:85], v[110:111]
.LBB48_104:
	s_or_b64 exec, exec, s[0:1]
	v_lshl_add_u32 v100, v113, 4, v112
	s_barrier
	s_waitcnt vmcnt(19)
	ds_write2_b64 v100, v[80:81], v[82:83] offset1:1
	s_waitcnt lgkmcnt(0)
	s_barrier
	ds_read2_b64 v[100:103], v112 offset0:10 offset1:11
	s_cmp_lt_i32 s20, 7
	v_mov_b32_e32 v110, 5
	s_cbranch_scc1 .LBB48_107
; %bb.105:
	v_add_u32_e32 v111, 0x60, v112
	s_mov_b32 s16, 6
	v_mov_b32_e32 v110, 5
.LBB48_106:                             ; =>This Inner Loop Header: Depth=1
	ds_read2_b64 v[116:119], v111 offset1:1
	s_waitcnt lgkmcnt(1)
	v_xor_b32_e32 v121, 0x80000000, v101
	v_xor_b32_e32 v123, 0x80000000, v103
	v_cmp_gt_f64_e32 vcc, 0, v[102:103]
	v_cmp_gt_f64_e64 s[0:1], 0, v[100:101]
	v_mov_b32_e32 v120, v100
	v_mov_b32_e32 v122, v102
	v_cndmask_b32_e64 v121, v101, v121, s[0:1]
	v_cndmask_b32_e32 v123, v103, v123, vcc
	v_add_f64 v[120:121], v[120:121], v[122:123]
	s_waitcnt lgkmcnt(0)
	v_xor_b32_e32 v123, 0x80000000, v117
	v_xor_b32_e32 v125, 0x80000000, v119
	v_cmp_gt_f64_e32 vcc, 0, v[118:119]
	v_cmp_gt_f64_e64 s[0:1], 0, v[116:117]
	v_mov_b32_e32 v122, v116
	v_mov_b32_e32 v124, v118
	v_cndmask_b32_e64 v123, v117, v123, s[0:1]
	v_cndmask_b32_e32 v125, v119, v125, vcc
	v_add_f64 v[122:123], v[122:123], v[124:125]
	v_mov_b32_e32 v126, s16
	s_add_i32 s16, s16, 1
	v_cmp_lt_f64_e32 vcc, v[120:121], v[122:123]
	v_add_u32_e32 v111, 16, v111
	s_cmp_lg_u32 s20, s16
	v_cndmask_b32_e32 v101, v101, v117, vcc
	v_cndmask_b32_e32 v100, v100, v116, vcc
	;; [unrolled: 1-line block ×5, first 2 shown]
	s_cbranch_scc1 .LBB48_106
.LBB48_107:
	s_waitcnt lgkmcnt(0)
	v_cmp_eq_f64_e32 vcc, 0, v[100:101]
	v_cmp_eq_f64_e64 s[0:1], 0, v[102:103]
	s_and_b64 s[0:1], vcc, s[0:1]
	s_and_saveexec_b64 s[16:17], s[0:1]
	s_xor_b64 s[0:1], exec, s[16:17]
; %bb.108:
	v_cmp_ne_u32_e32 vcc, 0, v115
	s_nop 1
	v_cndmask_b32_e32 v115, 6, v115, vcc
; %bb.109:
	s_andn2_saveexec_b64 s[0:1], s[0:1]
	s_cbranch_execz .LBB48_115
; %bb.110:
	v_cmp_ngt_f64_e64 s[16:17], |v[100:101]|, |v[102:103]|
	s_and_saveexec_b64 s[18:19], s[16:17]
	s_xor_b64 s[16:17], exec, s[18:19]
	s_cbranch_execz .LBB48_112
; %bb.111:
	v_div_scale_f64 v[116:117], s[18:19], v[102:103], v[102:103], v[100:101]
	v_rcp_f64_e32 v[118:119], v[116:117]
	v_div_scale_f64 v[120:121], vcc, v[100:101], v[102:103], v[100:101]
	v_fma_f64 v[122:123], -v[116:117], v[118:119], 1.0
	v_fmac_f64_e32 v[118:119], v[118:119], v[122:123]
	v_fma_f64 v[122:123], -v[116:117], v[118:119], 1.0
	v_fmac_f64_e32 v[118:119], v[118:119], v[122:123]
	v_mul_f64 v[122:123], v[120:121], v[118:119]
	v_fma_f64 v[116:117], -v[116:117], v[122:123], v[120:121]
	v_div_fmas_f64 v[116:117], v[116:117], v[118:119], v[122:123]
	v_div_fixup_f64 v[116:117], v[116:117], v[102:103], v[100:101]
	v_fmac_f64_e32 v[102:103], v[100:101], v[116:117]
	v_div_scale_f64 v[100:101], s[18:19], v[102:103], v[102:103], 1.0
	v_rcp_f64_e32 v[118:119], v[100:101]
	s_nop 0
	v_fma_f64 v[120:121], -v[100:101], v[118:119], 1.0
	v_fmac_f64_e32 v[118:119], v[118:119], v[120:121]
	v_fma_f64 v[120:121], -v[100:101], v[118:119], 1.0
	v_fmac_f64_e32 v[118:119], v[118:119], v[120:121]
	v_div_scale_f64 v[120:121], vcc, 1.0, v[102:103], 1.0
	v_mul_f64 v[122:123], v[120:121], v[118:119]
	v_fma_f64 v[100:101], -v[100:101], v[122:123], v[120:121]
	s_nop 1
	v_div_fmas_f64 v[100:101], v[100:101], v[118:119], v[122:123]
	v_div_fixup_f64 v[102:103], v[100:101], v[102:103], 1.0
	v_mul_f64 v[100:101], v[116:117], v[102:103]
	v_xor_b32_e32 v103, 0x80000000, v103
.LBB48_112:
	s_andn2_saveexec_b64 s[16:17], s[16:17]
	s_cbranch_execz .LBB48_114
; %bb.113:
	v_div_scale_f64 v[116:117], s[18:19], v[100:101], v[100:101], v[102:103]
	v_rcp_f64_e32 v[118:119], v[116:117]
	v_div_scale_f64 v[120:121], vcc, v[102:103], v[100:101], v[102:103]
	v_fma_f64 v[122:123], -v[116:117], v[118:119], 1.0
	v_fmac_f64_e32 v[118:119], v[118:119], v[122:123]
	v_fma_f64 v[122:123], -v[116:117], v[118:119], 1.0
	v_fmac_f64_e32 v[118:119], v[118:119], v[122:123]
	v_mul_f64 v[122:123], v[120:121], v[118:119]
	v_fma_f64 v[116:117], -v[116:117], v[122:123], v[120:121]
	v_div_fmas_f64 v[116:117], v[116:117], v[118:119], v[122:123]
	v_div_fixup_f64 v[116:117], v[116:117], v[100:101], v[102:103]
	v_fmac_f64_e32 v[100:101], v[102:103], v[116:117]
	v_div_scale_f64 v[102:103], s[18:19], v[100:101], v[100:101], 1.0
	v_rcp_f64_e32 v[118:119], v[102:103]
	s_nop 0
	v_fma_f64 v[120:121], -v[102:103], v[118:119], 1.0
	v_fmac_f64_e32 v[118:119], v[118:119], v[120:121]
	v_fma_f64 v[120:121], -v[102:103], v[118:119], 1.0
	v_fmac_f64_e32 v[118:119], v[118:119], v[120:121]
	v_div_scale_f64 v[120:121], vcc, 1.0, v[100:101], 1.0
	v_mul_f64 v[122:123], v[120:121], v[118:119]
	v_fma_f64 v[102:103], -v[102:103], v[122:123], v[120:121]
	s_nop 1
	v_div_fmas_f64 v[102:103], v[102:103], v[118:119], v[122:123]
	v_div_fixup_f64 v[100:101], v[102:103], v[100:101], 1.0
	v_mul_f64 v[102:103], v[116:117], -v[100:101]
.LBB48_114:
	s_or_b64 exec, exec, s[16:17]
.LBB48_115:
	s_or_b64 exec, exec, s[0:1]
	v_cmp_ne_u32_e32 vcc, v113, v110
	s_and_saveexec_b64 s[0:1], vcc
	s_xor_b64 s[0:1], exec, s[0:1]
	s_cbranch_execz .LBB48_121
; %bb.116:
	v_cmp_eq_u32_e32 vcc, 5, v113
	s_and_saveexec_b64 s[16:17], vcc
	s_cbranch_execz .LBB48_120
; %bb.117:
	v_cmp_ne_u32_e32 vcc, 5, v110
	s_xor_b64 s[18:19], s[14:15], -1
	s_and_b64 s[22:23], s[18:19], vcc
	s_and_saveexec_b64 s[18:19], s[22:23]
	s_cbranch_execz .LBB48_119
; %bb.118:
	v_ashrrev_i32_e32 v111, 31, v110
	v_lshl_add_u64 v[116:117], v[110:111], 2, v[108:109]
	global_load_dword v111, v[116:117], off
	global_load_dword v113, v[108:109], off offset:20
	s_waitcnt vmcnt(1)
	global_store_dword v[108:109], v111, off offset:20
	s_waitcnt vmcnt(1)
	global_store_dword v[116:117], v113, off
.LBB48_119:
	s_or_b64 exec, exec, s[18:19]
	v_mov_b32_e32 v113, v110
	v_mov_b32_e32 v114, v110
.LBB48_120:
	s_or_b64 exec, exec, s[16:17]
.LBB48_121:
	s_andn2_saveexec_b64 s[0:1], s[0:1]
	s_cbranch_execz .LBB48_123
; %bb.122:
	v_mov_b32_e32 v113, 5
	s_waitcnt vmcnt(18)
	ds_write2_b64 v112, v[76:77], v[78:79] offset0:12 offset1:13
	s_waitcnt vmcnt(17)
	ds_write2_b64 v112, v[72:73], v[74:75] offset0:14 offset1:15
	;; [unrolled: 2-line block ×19, first 2 shown]
.LBB48_123:
	s_or_b64 exec, exec, s[0:1]
	v_cmp_lt_i32_e32 vcc, 5, v113
	s_waitcnt lgkmcnt(0)
	s_barrier
	s_and_saveexec_b64 s[0:1], vcc
	s_cbranch_execz .LBB48_125
; %bb.124:
	ds_read2_b64 v[116:119], v112 offset0:12 offset1:13
	v_mul_f64 v[110:111], v[102:103], v[82:83]
	v_mul_f64 v[82:83], v[100:101], v[82:83]
	v_fmac_f64_e32 v[82:83], v[102:103], v[80:81]
	v_fma_f64 v[110:111], v[100:101], v[80:81], -v[110:111]
	ds_read2_b64 v[100:103], v112 offset0:14 offset1:15
	s_waitcnt lgkmcnt(1)
	v_mul_f64 v[80:81], v[118:119], v[82:83]
	v_fma_f64 v[80:81], v[116:117], v[110:111], -v[80:81]
	v_mul_f64 v[116:117], v[116:117], v[82:83]
	v_fmac_f64_e32 v[116:117], v[118:119], v[110:111]
	s_waitcnt vmcnt(18)
	v_add_f64 v[78:79], v[78:79], -v[116:117]
	ds_read2_b64 v[116:119], v112 offset0:16 offset1:17
	v_add_f64 v[76:77], v[76:77], -v[80:81]
	s_waitcnt lgkmcnt(1)
	v_mul_f64 v[80:81], v[102:103], v[82:83]
	v_fma_f64 v[80:81], v[100:101], v[110:111], -v[80:81]
	v_mul_f64 v[100:101], v[100:101], v[82:83]
	v_fmac_f64_e32 v[100:101], v[102:103], v[110:111]
	s_waitcnt vmcnt(17)
	v_add_f64 v[72:73], v[72:73], -v[80:81]
	v_add_f64 v[74:75], v[74:75], -v[100:101]
	ds_read2_b64 v[100:103], v112 offset0:18 offset1:19
	s_waitcnt lgkmcnt(1)
	v_mul_f64 v[80:81], v[118:119], v[82:83]
	v_fma_f64 v[80:81], v[116:117], v[110:111], -v[80:81]
	v_mul_f64 v[116:117], v[116:117], v[82:83]
	v_fmac_f64_e32 v[116:117], v[118:119], v[110:111]
	s_waitcnt vmcnt(16)
	v_add_f64 v[62:63], v[62:63], -v[116:117]
	ds_read2_b64 v[116:119], v112 offset0:20 offset1:21
	v_add_f64 v[60:61], v[60:61], -v[80:81]
	s_waitcnt lgkmcnt(1)
	v_mul_f64 v[80:81], v[102:103], v[82:83]
	v_fma_f64 v[80:81], v[100:101], v[110:111], -v[80:81]
	v_mul_f64 v[100:101], v[100:101], v[82:83]
	v_fmac_f64_e32 v[100:101], v[102:103], v[110:111]
	s_waitcnt vmcnt(15)
	v_add_f64 v[56:57], v[56:57], -v[80:81]
	v_add_f64 v[58:59], v[58:59], -v[100:101]
	;; [unrolled: 18-line block ×9, first 2 shown]
	s_waitcnt lgkmcnt(0)
	v_mul_f64 v[80:81], v[118:119], v[82:83]
	v_mul_f64 v[100:101], v[116:117], v[82:83]
	v_fma_f64 v[80:81], v[116:117], v[110:111], -v[80:81]
	v_fmac_f64_e32 v[100:101], v[118:119], v[110:111]
	s_waitcnt vmcnt(0)
	v_add_f64 v[96:97], v[96:97], -v[80:81]
	v_add_f64 v[98:99], v[98:99], -v[100:101]
	v_mov_b64_e32 v[80:81], v[110:111]
.LBB48_125:
	s_or_b64 exec, exec, s[0:1]
	v_lshl_add_u32 v100, v113, 4, v112
	s_barrier
	s_waitcnt vmcnt(18)
	ds_write2_b64 v100, v[76:77], v[78:79] offset1:1
	s_waitcnt lgkmcnt(0)
	s_barrier
	ds_read2_b64 v[100:103], v112 offset0:12 offset1:13
	s_cmp_lt_i32 s20, 8
	v_mov_b32_e32 v110, 6
	s_cbranch_scc1 .LBB48_128
; %bb.126:
	v_add_u32_e32 v111, 0x70, v112
	s_mov_b32 s16, 7
	v_mov_b32_e32 v110, 6
.LBB48_127:                             ; =>This Inner Loop Header: Depth=1
	ds_read2_b64 v[116:119], v111 offset1:1
	s_waitcnt lgkmcnt(1)
	v_xor_b32_e32 v121, 0x80000000, v101
	v_xor_b32_e32 v123, 0x80000000, v103
	v_cmp_gt_f64_e32 vcc, 0, v[102:103]
	v_cmp_gt_f64_e64 s[0:1], 0, v[100:101]
	v_mov_b32_e32 v120, v100
	v_mov_b32_e32 v122, v102
	v_cndmask_b32_e64 v121, v101, v121, s[0:1]
	v_cndmask_b32_e32 v123, v103, v123, vcc
	v_add_f64 v[120:121], v[120:121], v[122:123]
	s_waitcnt lgkmcnt(0)
	v_xor_b32_e32 v123, 0x80000000, v117
	v_xor_b32_e32 v125, 0x80000000, v119
	v_cmp_gt_f64_e32 vcc, 0, v[118:119]
	v_cmp_gt_f64_e64 s[0:1], 0, v[116:117]
	v_mov_b32_e32 v122, v116
	v_mov_b32_e32 v124, v118
	v_cndmask_b32_e64 v123, v117, v123, s[0:1]
	v_cndmask_b32_e32 v125, v119, v125, vcc
	v_add_f64 v[122:123], v[122:123], v[124:125]
	v_mov_b32_e32 v126, s16
	s_add_i32 s16, s16, 1
	v_cmp_lt_f64_e32 vcc, v[120:121], v[122:123]
	v_add_u32_e32 v111, 16, v111
	s_cmp_lg_u32 s20, s16
	v_cndmask_b32_e32 v101, v101, v117, vcc
	v_cndmask_b32_e32 v100, v100, v116, vcc
	;; [unrolled: 1-line block ×5, first 2 shown]
	s_cbranch_scc1 .LBB48_127
.LBB48_128:
	s_waitcnt lgkmcnt(0)
	v_cmp_eq_f64_e32 vcc, 0, v[100:101]
	v_cmp_eq_f64_e64 s[0:1], 0, v[102:103]
	s_and_b64 s[0:1], vcc, s[0:1]
	s_and_saveexec_b64 s[16:17], s[0:1]
	s_xor_b64 s[0:1], exec, s[16:17]
; %bb.129:
	v_cmp_ne_u32_e32 vcc, 0, v115
	s_nop 1
	v_cndmask_b32_e32 v115, 7, v115, vcc
; %bb.130:
	s_andn2_saveexec_b64 s[0:1], s[0:1]
	s_cbranch_execz .LBB48_136
; %bb.131:
	v_cmp_ngt_f64_e64 s[16:17], |v[100:101]|, |v[102:103]|
	s_and_saveexec_b64 s[18:19], s[16:17]
	s_xor_b64 s[16:17], exec, s[18:19]
	s_cbranch_execz .LBB48_133
; %bb.132:
	v_div_scale_f64 v[116:117], s[18:19], v[102:103], v[102:103], v[100:101]
	v_rcp_f64_e32 v[118:119], v[116:117]
	v_div_scale_f64 v[120:121], vcc, v[100:101], v[102:103], v[100:101]
	v_fma_f64 v[122:123], -v[116:117], v[118:119], 1.0
	v_fmac_f64_e32 v[118:119], v[118:119], v[122:123]
	v_fma_f64 v[122:123], -v[116:117], v[118:119], 1.0
	v_fmac_f64_e32 v[118:119], v[118:119], v[122:123]
	v_mul_f64 v[122:123], v[120:121], v[118:119]
	v_fma_f64 v[116:117], -v[116:117], v[122:123], v[120:121]
	v_div_fmas_f64 v[116:117], v[116:117], v[118:119], v[122:123]
	v_div_fixup_f64 v[116:117], v[116:117], v[102:103], v[100:101]
	v_fmac_f64_e32 v[102:103], v[100:101], v[116:117]
	v_div_scale_f64 v[100:101], s[18:19], v[102:103], v[102:103], 1.0
	v_rcp_f64_e32 v[118:119], v[100:101]
	s_nop 0
	v_fma_f64 v[120:121], -v[100:101], v[118:119], 1.0
	v_fmac_f64_e32 v[118:119], v[118:119], v[120:121]
	v_fma_f64 v[120:121], -v[100:101], v[118:119], 1.0
	v_fmac_f64_e32 v[118:119], v[118:119], v[120:121]
	v_div_scale_f64 v[120:121], vcc, 1.0, v[102:103], 1.0
	v_mul_f64 v[122:123], v[120:121], v[118:119]
	v_fma_f64 v[100:101], -v[100:101], v[122:123], v[120:121]
	s_nop 1
	v_div_fmas_f64 v[100:101], v[100:101], v[118:119], v[122:123]
	v_div_fixup_f64 v[102:103], v[100:101], v[102:103], 1.0
	v_mul_f64 v[100:101], v[116:117], v[102:103]
	v_xor_b32_e32 v103, 0x80000000, v103
.LBB48_133:
	s_andn2_saveexec_b64 s[16:17], s[16:17]
	s_cbranch_execz .LBB48_135
; %bb.134:
	v_div_scale_f64 v[116:117], s[18:19], v[100:101], v[100:101], v[102:103]
	v_rcp_f64_e32 v[118:119], v[116:117]
	v_div_scale_f64 v[120:121], vcc, v[102:103], v[100:101], v[102:103]
	v_fma_f64 v[122:123], -v[116:117], v[118:119], 1.0
	v_fmac_f64_e32 v[118:119], v[118:119], v[122:123]
	v_fma_f64 v[122:123], -v[116:117], v[118:119], 1.0
	v_fmac_f64_e32 v[118:119], v[118:119], v[122:123]
	v_mul_f64 v[122:123], v[120:121], v[118:119]
	v_fma_f64 v[116:117], -v[116:117], v[122:123], v[120:121]
	v_div_fmas_f64 v[116:117], v[116:117], v[118:119], v[122:123]
	v_div_fixup_f64 v[116:117], v[116:117], v[100:101], v[102:103]
	v_fmac_f64_e32 v[100:101], v[102:103], v[116:117]
	v_div_scale_f64 v[102:103], s[18:19], v[100:101], v[100:101], 1.0
	v_rcp_f64_e32 v[118:119], v[102:103]
	s_nop 0
	v_fma_f64 v[120:121], -v[102:103], v[118:119], 1.0
	v_fmac_f64_e32 v[118:119], v[118:119], v[120:121]
	v_fma_f64 v[120:121], -v[102:103], v[118:119], 1.0
	v_fmac_f64_e32 v[118:119], v[118:119], v[120:121]
	v_div_scale_f64 v[120:121], vcc, 1.0, v[100:101], 1.0
	v_mul_f64 v[122:123], v[120:121], v[118:119]
	v_fma_f64 v[102:103], -v[102:103], v[122:123], v[120:121]
	s_nop 1
	v_div_fmas_f64 v[102:103], v[102:103], v[118:119], v[122:123]
	v_div_fixup_f64 v[100:101], v[102:103], v[100:101], 1.0
	v_mul_f64 v[102:103], v[116:117], -v[100:101]
.LBB48_135:
	s_or_b64 exec, exec, s[16:17]
.LBB48_136:
	s_or_b64 exec, exec, s[0:1]
	v_cmp_ne_u32_e32 vcc, v113, v110
	s_and_saveexec_b64 s[0:1], vcc
	s_xor_b64 s[0:1], exec, s[0:1]
	s_cbranch_execz .LBB48_142
; %bb.137:
	v_cmp_eq_u32_e32 vcc, 6, v113
	s_and_saveexec_b64 s[16:17], vcc
	s_cbranch_execz .LBB48_141
; %bb.138:
	v_cmp_ne_u32_e32 vcc, 6, v110
	s_xor_b64 s[18:19], s[14:15], -1
	s_and_b64 s[22:23], s[18:19], vcc
	s_and_saveexec_b64 s[18:19], s[22:23]
	s_cbranch_execz .LBB48_140
; %bb.139:
	v_ashrrev_i32_e32 v111, 31, v110
	v_lshl_add_u64 v[116:117], v[110:111], 2, v[108:109]
	global_load_dword v111, v[116:117], off
	global_load_dword v113, v[108:109], off offset:24
	s_waitcnt vmcnt(1)
	global_store_dword v[108:109], v111, off offset:24
	s_waitcnt vmcnt(1)
	global_store_dword v[116:117], v113, off
.LBB48_140:
	s_or_b64 exec, exec, s[18:19]
	v_mov_b32_e32 v113, v110
	v_mov_b32_e32 v114, v110
.LBB48_141:
	s_or_b64 exec, exec, s[16:17]
.LBB48_142:
	s_andn2_saveexec_b64 s[0:1], s[0:1]
	s_cbranch_execz .LBB48_144
; %bb.143:
	v_mov_b32_e32 v113, 6
	s_waitcnt vmcnt(17)
	ds_write2_b64 v112, v[72:73], v[74:75] offset0:14 offset1:15
	s_waitcnt vmcnt(16)
	ds_write2_b64 v112, v[60:61], v[62:63] offset0:16 offset1:17
	;; [unrolled: 2-line block ×18, first 2 shown]
.LBB48_144:
	s_or_b64 exec, exec, s[0:1]
	v_cmp_lt_i32_e32 vcc, 6, v113
	s_waitcnt lgkmcnt(0)
	s_barrier
	s_and_saveexec_b64 s[0:1], vcc
	s_cbranch_execz .LBB48_146
; %bb.145:
	ds_read2_b64 v[116:119], v112 offset0:14 offset1:15
	v_mul_f64 v[110:111], v[102:103], v[78:79]
	v_mul_f64 v[78:79], v[100:101], v[78:79]
	v_fma_f64 v[110:111], v[100:101], v[76:77], -v[110:111]
	v_fmac_f64_e32 v[78:79], v[102:103], v[76:77]
	ds_read2_b64 v[100:103], v112 offset0:16 offset1:17
	s_waitcnt lgkmcnt(1)
	v_mul_f64 v[76:77], v[118:119], v[78:79]
	v_fma_f64 v[76:77], v[116:117], v[110:111], -v[76:77]
	v_mul_f64 v[116:117], v[116:117], v[78:79]
	v_fmac_f64_e32 v[116:117], v[118:119], v[110:111]
	s_waitcnt vmcnt(17)
	v_add_f64 v[72:73], v[72:73], -v[76:77]
	s_waitcnt lgkmcnt(0)
	v_mul_f64 v[76:77], v[102:103], v[78:79]
	v_add_f64 v[74:75], v[74:75], -v[116:117]
	v_fma_f64 v[76:77], v[100:101], v[110:111], -v[76:77]
	v_mul_f64 v[100:101], v[100:101], v[78:79]
	ds_read2_b64 v[116:119], v112 offset0:18 offset1:19
	v_fmac_f64_e32 v[100:101], v[102:103], v[110:111]
	s_waitcnt vmcnt(16)
	v_add_f64 v[62:63], v[62:63], -v[100:101]
	ds_read2_b64 v[100:103], v112 offset0:20 offset1:21
	v_add_f64 v[60:61], v[60:61], -v[76:77]
	s_waitcnt lgkmcnt(1)
	v_mul_f64 v[76:77], v[118:119], v[78:79]
	v_fma_f64 v[76:77], v[116:117], v[110:111], -v[76:77]
	v_mul_f64 v[116:117], v[116:117], v[78:79]
	v_fmac_f64_e32 v[116:117], v[118:119], v[110:111]
	s_waitcnt vmcnt(15)
	v_add_f64 v[56:57], v[56:57], -v[76:77]
	s_waitcnt lgkmcnt(0)
	v_mul_f64 v[76:77], v[102:103], v[78:79]
	v_add_f64 v[58:59], v[58:59], -v[116:117]
	v_fma_f64 v[76:77], v[100:101], v[110:111], -v[76:77]
	v_mul_f64 v[100:101], v[100:101], v[78:79]
	ds_read2_b64 v[116:119], v112 offset0:22 offset1:23
	v_fmac_f64_e32 v[100:101], v[102:103], v[110:111]
	s_waitcnt vmcnt(14)
	v_add_f64 v[54:55], v[54:55], -v[100:101]
	ds_read2_b64 v[100:103], v112 offset0:24 offset1:25
	v_add_f64 v[52:53], v[52:53], -v[76:77]
	s_waitcnt lgkmcnt(1)
	v_mul_f64 v[76:77], v[118:119], v[78:79]
	v_fma_f64 v[76:77], v[116:117], v[110:111], -v[76:77]
	v_mul_f64 v[116:117], v[116:117], v[78:79]
	v_fmac_f64_e32 v[116:117], v[118:119], v[110:111]
	s_waitcnt vmcnt(13)
	v_add_f64 v[48:49], v[48:49], -v[76:77]
	s_waitcnt lgkmcnt(0)
	v_mul_f64 v[76:77], v[102:103], v[78:79]
	v_add_f64 v[50:51], v[50:51], -v[116:117]
	v_fma_f64 v[76:77], v[100:101], v[110:111], -v[76:77]
	v_mul_f64 v[100:101], v[100:101], v[78:79]
	ds_read2_b64 v[116:119], v112 offset0:26 offset1:27
	v_fmac_f64_e32 v[100:101], v[102:103], v[110:111]
	s_waitcnt vmcnt(12)
	v_add_f64 v[46:47], v[46:47], -v[100:101]
	ds_read2_b64 v[100:103], v112 offset0:28 offset1:29
	v_add_f64 v[44:45], v[44:45], -v[76:77]
	s_waitcnt lgkmcnt(1)
	v_mul_f64 v[76:77], v[118:119], v[78:79]
	v_fma_f64 v[76:77], v[116:117], v[110:111], -v[76:77]
	v_mul_f64 v[116:117], v[116:117], v[78:79]
	v_fmac_f64_e32 v[116:117], v[118:119], v[110:111]
	s_waitcnt vmcnt(11)
	v_add_f64 v[40:41], v[40:41], -v[76:77]
	s_waitcnt lgkmcnt(0)
	v_mul_f64 v[76:77], v[102:103], v[78:79]
	v_add_f64 v[42:43], v[42:43], -v[116:117]
	v_fma_f64 v[76:77], v[100:101], v[110:111], -v[76:77]
	v_mul_f64 v[100:101], v[100:101], v[78:79]
	ds_read2_b64 v[116:119], v112 offset0:30 offset1:31
	v_fmac_f64_e32 v[100:101], v[102:103], v[110:111]
	s_waitcnt vmcnt(10)
	v_add_f64 v[38:39], v[38:39], -v[100:101]
	ds_read2_b64 v[100:103], v112 offset0:32 offset1:33
	v_add_f64 v[36:37], v[36:37], -v[76:77]
	s_waitcnt lgkmcnt(1)
	v_mul_f64 v[76:77], v[118:119], v[78:79]
	v_fma_f64 v[76:77], v[116:117], v[110:111], -v[76:77]
	v_mul_f64 v[116:117], v[116:117], v[78:79]
	v_fmac_f64_e32 v[116:117], v[118:119], v[110:111]
	s_waitcnt vmcnt(9)
	v_add_f64 v[32:33], v[32:33], -v[76:77]
	s_waitcnt lgkmcnt(0)
	v_mul_f64 v[76:77], v[102:103], v[78:79]
	v_add_f64 v[34:35], v[34:35], -v[116:117]
	v_fma_f64 v[76:77], v[100:101], v[110:111], -v[76:77]
	v_mul_f64 v[100:101], v[100:101], v[78:79]
	ds_read2_b64 v[116:119], v112 offset0:34 offset1:35
	v_fmac_f64_e32 v[100:101], v[102:103], v[110:111]
	s_waitcnt vmcnt(8)
	v_add_f64 v[26:27], v[26:27], -v[100:101]
	ds_read2_b64 v[100:103], v112 offset0:36 offset1:37
	v_add_f64 v[24:25], v[24:25], -v[76:77]
	s_waitcnt lgkmcnt(1)
	v_mul_f64 v[76:77], v[118:119], v[78:79]
	v_fma_f64 v[76:77], v[116:117], v[110:111], -v[76:77]
	v_mul_f64 v[116:117], v[116:117], v[78:79]
	v_fmac_f64_e32 v[116:117], v[118:119], v[110:111]
	s_waitcnt vmcnt(7)
	v_add_f64 v[28:29], v[28:29], -v[76:77]
	s_waitcnt lgkmcnt(0)
	v_mul_f64 v[76:77], v[102:103], v[78:79]
	v_add_f64 v[30:31], v[30:31], -v[116:117]
	v_fma_f64 v[76:77], v[100:101], v[110:111], -v[76:77]
	v_mul_f64 v[100:101], v[100:101], v[78:79]
	ds_read2_b64 v[116:119], v112 offset0:38 offset1:39
	v_fmac_f64_e32 v[100:101], v[102:103], v[110:111]
	s_waitcnt vmcnt(6)
	v_add_f64 v[22:23], v[22:23], -v[100:101]
	ds_read2_b64 v[100:103], v112 offset0:40 offset1:41
	v_add_f64 v[20:21], v[20:21], -v[76:77]
	s_waitcnt lgkmcnt(1)
	v_mul_f64 v[76:77], v[118:119], v[78:79]
	v_fma_f64 v[76:77], v[116:117], v[110:111], -v[76:77]
	v_mul_f64 v[116:117], v[116:117], v[78:79]
	v_fmac_f64_e32 v[116:117], v[118:119], v[110:111]
	s_waitcnt vmcnt(5)
	v_add_f64 v[16:17], v[16:17], -v[76:77]
	s_waitcnt lgkmcnt(0)
	v_mul_f64 v[76:77], v[102:103], v[78:79]
	v_add_f64 v[18:19], v[18:19], -v[116:117]
	v_fma_f64 v[76:77], v[100:101], v[110:111], -v[76:77]
	v_mul_f64 v[100:101], v[100:101], v[78:79]
	ds_read2_b64 v[116:119], v112 offset0:42 offset1:43
	v_fmac_f64_e32 v[100:101], v[102:103], v[110:111]
	s_waitcnt vmcnt(4)
	v_add_f64 v[14:15], v[14:15], -v[100:101]
	ds_read2_b64 v[100:103], v112 offset0:44 offset1:45
	v_add_f64 v[12:13], v[12:13], -v[76:77]
	s_waitcnt lgkmcnt(1)
	v_mul_f64 v[76:77], v[118:119], v[78:79]
	v_fma_f64 v[76:77], v[116:117], v[110:111], -v[76:77]
	v_mul_f64 v[116:117], v[116:117], v[78:79]
	v_fmac_f64_e32 v[116:117], v[118:119], v[110:111]
	s_waitcnt vmcnt(3)
	v_add_f64 v[8:9], v[8:9], -v[76:77]
	s_waitcnt lgkmcnt(0)
	v_mul_f64 v[76:77], v[102:103], v[78:79]
	v_add_f64 v[10:11], v[10:11], -v[116:117]
	v_fma_f64 v[76:77], v[100:101], v[110:111], -v[76:77]
	v_mul_f64 v[100:101], v[100:101], v[78:79]
	ds_read2_b64 v[116:119], v112 offset0:46 offset1:47
	v_fmac_f64_e32 v[100:101], v[102:103], v[110:111]
	s_waitcnt vmcnt(2)
	v_add_f64 v[6:7], v[6:7], -v[100:101]
	ds_read2_b64 v[100:103], v112 offset0:48 offset1:49
	v_add_f64 v[4:5], v[4:5], -v[76:77]
	s_waitcnt lgkmcnt(1)
	v_mul_f64 v[76:77], v[118:119], v[78:79]
	v_fma_f64 v[76:77], v[116:117], v[110:111], -v[76:77]
	s_waitcnt vmcnt(1)
	v_add_f64 v[0:1], v[0:1], -v[76:77]
	s_waitcnt lgkmcnt(0)
	v_mul_f64 v[76:77], v[102:103], v[78:79]
	v_mul_f64 v[116:117], v[116:117], v[78:79]
	v_fma_f64 v[76:77], v[100:101], v[110:111], -v[76:77]
	v_mul_f64 v[100:101], v[100:101], v[78:79]
	v_fmac_f64_e32 v[116:117], v[118:119], v[110:111]
	v_fmac_f64_e32 v[100:101], v[102:103], v[110:111]
	v_add_f64 v[2:3], v[2:3], -v[116:117]
	s_waitcnt vmcnt(0)
	v_add_f64 v[96:97], v[96:97], -v[76:77]
	v_add_f64 v[98:99], v[98:99], -v[100:101]
	v_mov_b64_e32 v[76:77], v[110:111]
.LBB48_146:
	s_or_b64 exec, exec, s[0:1]
	v_lshl_add_u32 v100, v113, 4, v112
	s_barrier
	s_waitcnt vmcnt(17)
	ds_write2_b64 v100, v[72:73], v[74:75] offset1:1
	s_waitcnt lgkmcnt(0)
	s_barrier
	ds_read2_b64 v[100:103], v112 offset0:14 offset1:15
	s_cmp_lt_i32 s20, 9
	v_mov_b32_e32 v110, 7
	s_cbranch_scc1 .LBB48_149
; %bb.147:
	v_add_u32_e32 v111, 0x80, v112
	s_mov_b32 s16, 8
	v_mov_b32_e32 v110, 7
.LBB48_148:                             ; =>This Inner Loop Header: Depth=1
	ds_read2_b64 v[116:119], v111 offset1:1
	s_waitcnt lgkmcnt(1)
	v_xor_b32_e32 v121, 0x80000000, v101
	v_xor_b32_e32 v123, 0x80000000, v103
	v_cmp_gt_f64_e32 vcc, 0, v[102:103]
	v_cmp_gt_f64_e64 s[0:1], 0, v[100:101]
	v_mov_b32_e32 v120, v100
	v_mov_b32_e32 v122, v102
	v_cndmask_b32_e64 v121, v101, v121, s[0:1]
	v_cndmask_b32_e32 v123, v103, v123, vcc
	v_add_f64 v[120:121], v[120:121], v[122:123]
	s_waitcnt lgkmcnt(0)
	v_xor_b32_e32 v123, 0x80000000, v117
	v_xor_b32_e32 v125, 0x80000000, v119
	v_cmp_gt_f64_e32 vcc, 0, v[118:119]
	v_cmp_gt_f64_e64 s[0:1], 0, v[116:117]
	v_mov_b32_e32 v122, v116
	v_mov_b32_e32 v124, v118
	v_cndmask_b32_e64 v123, v117, v123, s[0:1]
	v_cndmask_b32_e32 v125, v119, v125, vcc
	v_add_f64 v[122:123], v[122:123], v[124:125]
	v_mov_b32_e32 v126, s16
	s_add_i32 s16, s16, 1
	v_cmp_lt_f64_e32 vcc, v[120:121], v[122:123]
	v_add_u32_e32 v111, 16, v111
	s_cmp_lg_u32 s20, s16
	v_cndmask_b32_e32 v101, v101, v117, vcc
	v_cndmask_b32_e32 v100, v100, v116, vcc
	;; [unrolled: 1-line block ×5, first 2 shown]
	s_cbranch_scc1 .LBB48_148
.LBB48_149:
	s_waitcnt lgkmcnt(0)
	v_cmp_eq_f64_e32 vcc, 0, v[100:101]
	v_cmp_eq_f64_e64 s[0:1], 0, v[102:103]
	s_and_b64 s[0:1], vcc, s[0:1]
	s_and_saveexec_b64 s[16:17], s[0:1]
	s_xor_b64 s[0:1], exec, s[16:17]
; %bb.150:
	v_cmp_ne_u32_e32 vcc, 0, v115
	s_nop 1
	v_cndmask_b32_e32 v115, 8, v115, vcc
; %bb.151:
	s_andn2_saveexec_b64 s[0:1], s[0:1]
	s_cbranch_execz .LBB48_157
; %bb.152:
	v_cmp_ngt_f64_e64 s[16:17], |v[100:101]|, |v[102:103]|
	s_and_saveexec_b64 s[18:19], s[16:17]
	s_xor_b64 s[16:17], exec, s[18:19]
	s_cbranch_execz .LBB48_154
; %bb.153:
	v_div_scale_f64 v[116:117], s[18:19], v[102:103], v[102:103], v[100:101]
	v_rcp_f64_e32 v[118:119], v[116:117]
	v_div_scale_f64 v[120:121], vcc, v[100:101], v[102:103], v[100:101]
	v_fma_f64 v[122:123], -v[116:117], v[118:119], 1.0
	v_fmac_f64_e32 v[118:119], v[118:119], v[122:123]
	v_fma_f64 v[122:123], -v[116:117], v[118:119], 1.0
	v_fmac_f64_e32 v[118:119], v[118:119], v[122:123]
	v_mul_f64 v[122:123], v[120:121], v[118:119]
	v_fma_f64 v[116:117], -v[116:117], v[122:123], v[120:121]
	v_div_fmas_f64 v[116:117], v[116:117], v[118:119], v[122:123]
	v_div_fixup_f64 v[116:117], v[116:117], v[102:103], v[100:101]
	v_fmac_f64_e32 v[102:103], v[100:101], v[116:117]
	v_div_scale_f64 v[100:101], s[18:19], v[102:103], v[102:103], 1.0
	v_rcp_f64_e32 v[118:119], v[100:101]
	s_nop 0
	v_fma_f64 v[120:121], -v[100:101], v[118:119], 1.0
	v_fmac_f64_e32 v[118:119], v[118:119], v[120:121]
	v_fma_f64 v[120:121], -v[100:101], v[118:119], 1.0
	v_fmac_f64_e32 v[118:119], v[118:119], v[120:121]
	v_div_scale_f64 v[120:121], vcc, 1.0, v[102:103], 1.0
	v_mul_f64 v[122:123], v[120:121], v[118:119]
	v_fma_f64 v[100:101], -v[100:101], v[122:123], v[120:121]
	s_nop 1
	v_div_fmas_f64 v[100:101], v[100:101], v[118:119], v[122:123]
	v_div_fixup_f64 v[102:103], v[100:101], v[102:103], 1.0
	v_mul_f64 v[100:101], v[116:117], v[102:103]
	v_xor_b32_e32 v103, 0x80000000, v103
.LBB48_154:
	s_andn2_saveexec_b64 s[16:17], s[16:17]
	s_cbranch_execz .LBB48_156
; %bb.155:
	v_div_scale_f64 v[116:117], s[18:19], v[100:101], v[100:101], v[102:103]
	v_rcp_f64_e32 v[118:119], v[116:117]
	v_div_scale_f64 v[120:121], vcc, v[102:103], v[100:101], v[102:103]
	v_fma_f64 v[122:123], -v[116:117], v[118:119], 1.0
	v_fmac_f64_e32 v[118:119], v[118:119], v[122:123]
	v_fma_f64 v[122:123], -v[116:117], v[118:119], 1.0
	v_fmac_f64_e32 v[118:119], v[118:119], v[122:123]
	v_mul_f64 v[122:123], v[120:121], v[118:119]
	v_fma_f64 v[116:117], -v[116:117], v[122:123], v[120:121]
	v_div_fmas_f64 v[116:117], v[116:117], v[118:119], v[122:123]
	v_div_fixup_f64 v[116:117], v[116:117], v[100:101], v[102:103]
	v_fmac_f64_e32 v[100:101], v[102:103], v[116:117]
	v_div_scale_f64 v[102:103], s[18:19], v[100:101], v[100:101], 1.0
	v_rcp_f64_e32 v[118:119], v[102:103]
	s_nop 0
	v_fma_f64 v[120:121], -v[102:103], v[118:119], 1.0
	v_fmac_f64_e32 v[118:119], v[118:119], v[120:121]
	v_fma_f64 v[120:121], -v[102:103], v[118:119], 1.0
	v_fmac_f64_e32 v[118:119], v[118:119], v[120:121]
	v_div_scale_f64 v[120:121], vcc, 1.0, v[100:101], 1.0
	v_mul_f64 v[122:123], v[120:121], v[118:119]
	v_fma_f64 v[102:103], -v[102:103], v[122:123], v[120:121]
	s_nop 1
	v_div_fmas_f64 v[102:103], v[102:103], v[118:119], v[122:123]
	v_div_fixup_f64 v[100:101], v[102:103], v[100:101], 1.0
	v_mul_f64 v[102:103], v[116:117], -v[100:101]
.LBB48_156:
	s_or_b64 exec, exec, s[16:17]
.LBB48_157:
	s_or_b64 exec, exec, s[0:1]
	v_cmp_ne_u32_e32 vcc, v113, v110
	s_and_saveexec_b64 s[0:1], vcc
	s_xor_b64 s[0:1], exec, s[0:1]
	s_cbranch_execz .LBB48_163
; %bb.158:
	v_cmp_eq_u32_e32 vcc, 7, v113
	s_and_saveexec_b64 s[16:17], vcc
	s_cbranch_execz .LBB48_162
; %bb.159:
	v_cmp_ne_u32_e32 vcc, 7, v110
	s_xor_b64 s[18:19], s[14:15], -1
	s_and_b64 s[22:23], s[18:19], vcc
	s_and_saveexec_b64 s[18:19], s[22:23]
	s_cbranch_execz .LBB48_161
; %bb.160:
	v_ashrrev_i32_e32 v111, 31, v110
	v_lshl_add_u64 v[116:117], v[110:111], 2, v[108:109]
	global_load_dword v111, v[116:117], off
	global_load_dword v113, v[108:109], off offset:28
	s_waitcnt vmcnt(1)
	global_store_dword v[108:109], v111, off offset:28
	s_waitcnt vmcnt(1)
	global_store_dword v[116:117], v113, off
.LBB48_161:
	s_or_b64 exec, exec, s[18:19]
	v_mov_b32_e32 v113, v110
	v_mov_b32_e32 v114, v110
.LBB48_162:
	s_or_b64 exec, exec, s[16:17]
.LBB48_163:
	s_andn2_saveexec_b64 s[0:1], s[0:1]
	s_cbranch_execz .LBB48_165
; %bb.164:
	v_mov_b32_e32 v113, 7
	s_waitcnt vmcnt(16)
	ds_write2_b64 v112, v[60:61], v[62:63] offset0:16 offset1:17
	s_waitcnt vmcnt(15)
	ds_write2_b64 v112, v[56:57], v[58:59] offset0:18 offset1:19
	;; [unrolled: 2-line block ×17, first 2 shown]
.LBB48_165:
	s_or_b64 exec, exec, s[0:1]
	v_cmp_lt_i32_e32 vcc, 7, v113
	s_waitcnt lgkmcnt(0)
	s_barrier
	s_and_saveexec_b64 s[0:1], vcc
	s_cbranch_execz .LBB48_167
; %bb.166:
	ds_read2_b64 v[116:119], v112 offset0:16 offset1:17
	v_mul_f64 v[110:111], v[102:103], v[74:75]
	v_mul_f64 v[74:75], v[100:101], v[74:75]
	v_fmac_f64_e32 v[74:75], v[102:103], v[72:73]
	v_fma_f64 v[110:111], v[100:101], v[72:73], -v[110:111]
	ds_read2_b64 v[100:103], v112 offset0:18 offset1:19
	s_waitcnt lgkmcnt(1)
	v_mul_f64 v[72:73], v[118:119], v[74:75]
	v_fma_f64 v[72:73], v[116:117], v[110:111], -v[72:73]
	v_mul_f64 v[116:117], v[116:117], v[74:75]
	v_fmac_f64_e32 v[116:117], v[118:119], v[110:111]
	s_waitcnt vmcnt(16)
	v_add_f64 v[62:63], v[62:63], -v[116:117]
	ds_read2_b64 v[116:119], v112 offset0:20 offset1:21
	v_add_f64 v[60:61], v[60:61], -v[72:73]
	s_waitcnt lgkmcnt(1)
	v_mul_f64 v[72:73], v[102:103], v[74:75]
	v_fma_f64 v[72:73], v[100:101], v[110:111], -v[72:73]
	v_mul_f64 v[100:101], v[100:101], v[74:75]
	v_fmac_f64_e32 v[100:101], v[102:103], v[110:111]
	s_waitcnt vmcnt(15)
	v_add_f64 v[56:57], v[56:57], -v[72:73]
	v_add_f64 v[58:59], v[58:59], -v[100:101]
	ds_read2_b64 v[100:103], v112 offset0:22 offset1:23
	s_waitcnt lgkmcnt(1)
	v_mul_f64 v[72:73], v[118:119], v[74:75]
	v_fma_f64 v[72:73], v[116:117], v[110:111], -v[72:73]
	v_mul_f64 v[116:117], v[116:117], v[74:75]
	v_fmac_f64_e32 v[116:117], v[118:119], v[110:111]
	s_waitcnt vmcnt(14)
	v_add_f64 v[54:55], v[54:55], -v[116:117]
	ds_read2_b64 v[116:119], v112 offset0:24 offset1:25
	v_add_f64 v[52:53], v[52:53], -v[72:73]
	s_waitcnt lgkmcnt(1)
	v_mul_f64 v[72:73], v[102:103], v[74:75]
	v_fma_f64 v[72:73], v[100:101], v[110:111], -v[72:73]
	v_mul_f64 v[100:101], v[100:101], v[74:75]
	v_fmac_f64_e32 v[100:101], v[102:103], v[110:111]
	s_waitcnt vmcnt(13)
	v_add_f64 v[48:49], v[48:49], -v[72:73]
	v_add_f64 v[50:51], v[50:51], -v[100:101]
	ds_read2_b64 v[100:103], v112 offset0:26 offset1:27
	s_waitcnt lgkmcnt(1)
	v_mul_f64 v[72:73], v[118:119], v[74:75]
	v_fma_f64 v[72:73], v[116:117], v[110:111], -v[72:73]
	v_mul_f64 v[116:117], v[116:117], v[74:75]
	v_fmac_f64_e32 v[116:117], v[118:119], v[110:111]
	s_waitcnt vmcnt(12)
	v_add_f64 v[46:47], v[46:47], -v[116:117]
	ds_read2_b64 v[116:119], v112 offset0:28 offset1:29
	v_add_f64 v[44:45], v[44:45], -v[72:73]
	s_waitcnt lgkmcnt(1)
	v_mul_f64 v[72:73], v[102:103], v[74:75]
	v_fma_f64 v[72:73], v[100:101], v[110:111], -v[72:73]
	v_mul_f64 v[100:101], v[100:101], v[74:75]
	v_fmac_f64_e32 v[100:101], v[102:103], v[110:111]
	s_waitcnt vmcnt(11)
	v_add_f64 v[40:41], v[40:41], -v[72:73]
	v_add_f64 v[42:43], v[42:43], -v[100:101]
	ds_read2_b64 v[100:103], v112 offset0:30 offset1:31
	s_waitcnt lgkmcnt(1)
	v_mul_f64 v[72:73], v[118:119], v[74:75]
	v_fma_f64 v[72:73], v[116:117], v[110:111], -v[72:73]
	v_mul_f64 v[116:117], v[116:117], v[74:75]
	v_fmac_f64_e32 v[116:117], v[118:119], v[110:111]
	s_waitcnt vmcnt(10)
	v_add_f64 v[38:39], v[38:39], -v[116:117]
	ds_read2_b64 v[116:119], v112 offset0:32 offset1:33
	v_add_f64 v[36:37], v[36:37], -v[72:73]
	s_waitcnt lgkmcnt(1)
	v_mul_f64 v[72:73], v[102:103], v[74:75]
	v_fma_f64 v[72:73], v[100:101], v[110:111], -v[72:73]
	v_mul_f64 v[100:101], v[100:101], v[74:75]
	v_fmac_f64_e32 v[100:101], v[102:103], v[110:111]
	s_waitcnt vmcnt(9)
	v_add_f64 v[32:33], v[32:33], -v[72:73]
	v_add_f64 v[34:35], v[34:35], -v[100:101]
	ds_read2_b64 v[100:103], v112 offset0:34 offset1:35
	s_waitcnt lgkmcnt(1)
	v_mul_f64 v[72:73], v[118:119], v[74:75]
	v_fma_f64 v[72:73], v[116:117], v[110:111], -v[72:73]
	v_mul_f64 v[116:117], v[116:117], v[74:75]
	v_fmac_f64_e32 v[116:117], v[118:119], v[110:111]
	s_waitcnt vmcnt(8)
	v_add_f64 v[26:27], v[26:27], -v[116:117]
	ds_read2_b64 v[116:119], v112 offset0:36 offset1:37
	v_add_f64 v[24:25], v[24:25], -v[72:73]
	s_waitcnt lgkmcnt(1)
	v_mul_f64 v[72:73], v[102:103], v[74:75]
	v_fma_f64 v[72:73], v[100:101], v[110:111], -v[72:73]
	v_mul_f64 v[100:101], v[100:101], v[74:75]
	v_fmac_f64_e32 v[100:101], v[102:103], v[110:111]
	s_waitcnt vmcnt(7)
	v_add_f64 v[28:29], v[28:29], -v[72:73]
	v_add_f64 v[30:31], v[30:31], -v[100:101]
	ds_read2_b64 v[100:103], v112 offset0:38 offset1:39
	s_waitcnt lgkmcnt(1)
	v_mul_f64 v[72:73], v[118:119], v[74:75]
	v_fma_f64 v[72:73], v[116:117], v[110:111], -v[72:73]
	v_mul_f64 v[116:117], v[116:117], v[74:75]
	v_fmac_f64_e32 v[116:117], v[118:119], v[110:111]
	s_waitcnt vmcnt(6)
	v_add_f64 v[22:23], v[22:23], -v[116:117]
	ds_read2_b64 v[116:119], v112 offset0:40 offset1:41
	v_add_f64 v[20:21], v[20:21], -v[72:73]
	s_waitcnt lgkmcnt(1)
	v_mul_f64 v[72:73], v[102:103], v[74:75]
	v_fma_f64 v[72:73], v[100:101], v[110:111], -v[72:73]
	v_mul_f64 v[100:101], v[100:101], v[74:75]
	v_fmac_f64_e32 v[100:101], v[102:103], v[110:111]
	s_waitcnt vmcnt(5)
	v_add_f64 v[16:17], v[16:17], -v[72:73]
	v_add_f64 v[18:19], v[18:19], -v[100:101]
	ds_read2_b64 v[100:103], v112 offset0:42 offset1:43
	s_waitcnt lgkmcnt(1)
	v_mul_f64 v[72:73], v[118:119], v[74:75]
	v_fma_f64 v[72:73], v[116:117], v[110:111], -v[72:73]
	v_mul_f64 v[116:117], v[116:117], v[74:75]
	v_fmac_f64_e32 v[116:117], v[118:119], v[110:111]
	s_waitcnt vmcnt(4)
	v_add_f64 v[14:15], v[14:15], -v[116:117]
	ds_read2_b64 v[116:119], v112 offset0:44 offset1:45
	v_add_f64 v[12:13], v[12:13], -v[72:73]
	s_waitcnt lgkmcnt(1)
	v_mul_f64 v[72:73], v[102:103], v[74:75]
	v_fma_f64 v[72:73], v[100:101], v[110:111], -v[72:73]
	v_mul_f64 v[100:101], v[100:101], v[74:75]
	v_fmac_f64_e32 v[100:101], v[102:103], v[110:111]
	s_waitcnt vmcnt(3)
	v_add_f64 v[8:9], v[8:9], -v[72:73]
	v_add_f64 v[10:11], v[10:11], -v[100:101]
	ds_read2_b64 v[100:103], v112 offset0:46 offset1:47
	s_waitcnt lgkmcnt(1)
	v_mul_f64 v[72:73], v[118:119], v[74:75]
	v_fma_f64 v[72:73], v[116:117], v[110:111], -v[72:73]
	v_mul_f64 v[116:117], v[116:117], v[74:75]
	v_fmac_f64_e32 v[116:117], v[118:119], v[110:111]
	s_waitcnt vmcnt(2)
	v_add_f64 v[6:7], v[6:7], -v[116:117]
	ds_read2_b64 v[116:119], v112 offset0:48 offset1:49
	v_add_f64 v[4:5], v[4:5], -v[72:73]
	s_waitcnt lgkmcnt(1)
	v_mul_f64 v[72:73], v[102:103], v[74:75]
	v_fma_f64 v[72:73], v[100:101], v[110:111], -v[72:73]
	v_mul_f64 v[100:101], v[100:101], v[74:75]
	v_fmac_f64_e32 v[100:101], v[102:103], v[110:111]
	s_waitcnt vmcnt(1)
	v_add_f64 v[0:1], v[0:1], -v[72:73]
	v_add_f64 v[2:3], v[2:3], -v[100:101]
	s_waitcnt lgkmcnt(0)
	v_mul_f64 v[72:73], v[118:119], v[74:75]
	v_mul_f64 v[100:101], v[116:117], v[74:75]
	v_fma_f64 v[72:73], v[116:117], v[110:111], -v[72:73]
	v_fmac_f64_e32 v[100:101], v[118:119], v[110:111]
	s_waitcnt vmcnt(0)
	v_add_f64 v[96:97], v[96:97], -v[72:73]
	v_add_f64 v[98:99], v[98:99], -v[100:101]
	v_mov_b64_e32 v[72:73], v[110:111]
.LBB48_167:
	s_or_b64 exec, exec, s[0:1]
	v_lshl_add_u32 v100, v113, 4, v112
	s_barrier
	s_waitcnt vmcnt(16)
	ds_write2_b64 v100, v[60:61], v[62:63] offset1:1
	s_waitcnt lgkmcnt(0)
	s_barrier
	ds_read2_b64 v[100:103], v112 offset0:16 offset1:17
	s_cmp_lt_i32 s20, 10
	v_mov_b32_e32 v110, 8
	s_cbranch_scc1 .LBB48_170
; %bb.168:
	v_add_u32_e32 v111, 0x90, v112
	s_mov_b32 s16, 9
	v_mov_b32_e32 v110, 8
.LBB48_169:                             ; =>This Inner Loop Header: Depth=1
	ds_read2_b64 v[116:119], v111 offset1:1
	s_waitcnt lgkmcnt(1)
	v_xor_b32_e32 v121, 0x80000000, v101
	v_xor_b32_e32 v123, 0x80000000, v103
	v_cmp_gt_f64_e32 vcc, 0, v[102:103]
	v_cmp_gt_f64_e64 s[0:1], 0, v[100:101]
	v_mov_b32_e32 v120, v100
	v_mov_b32_e32 v122, v102
	v_cndmask_b32_e64 v121, v101, v121, s[0:1]
	v_cndmask_b32_e32 v123, v103, v123, vcc
	v_add_f64 v[120:121], v[120:121], v[122:123]
	s_waitcnt lgkmcnt(0)
	v_xor_b32_e32 v123, 0x80000000, v117
	v_xor_b32_e32 v125, 0x80000000, v119
	v_cmp_gt_f64_e32 vcc, 0, v[118:119]
	v_cmp_gt_f64_e64 s[0:1], 0, v[116:117]
	v_mov_b32_e32 v122, v116
	v_mov_b32_e32 v124, v118
	v_cndmask_b32_e64 v123, v117, v123, s[0:1]
	v_cndmask_b32_e32 v125, v119, v125, vcc
	v_add_f64 v[122:123], v[122:123], v[124:125]
	v_mov_b32_e32 v126, s16
	s_add_i32 s16, s16, 1
	v_cmp_lt_f64_e32 vcc, v[120:121], v[122:123]
	v_add_u32_e32 v111, 16, v111
	s_cmp_lg_u32 s20, s16
	v_cndmask_b32_e32 v101, v101, v117, vcc
	v_cndmask_b32_e32 v100, v100, v116, vcc
	;; [unrolled: 1-line block ×5, first 2 shown]
	s_cbranch_scc1 .LBB48_169
.LBB48_170:
	s_waitcnt lgkmcnt(0)
	v_cmp_eq_f64_e32 vcc, 0, v[100:101]
	v_cmp_eq_f64_e64 s[0:1], 0, v[102:103]
	s_and_b64 s[0:1], vcc, s[0:1]
	s_and_saveexec_b64 s[16:17], s[0:1]
	s_xor_b64 s[0:1], exec, s[16:17]
; %bb.171:
	v_cmp_ne_u32_e32 vcc, 0, v115
	s_nop 1
	v_cndmask_b32_e32 v115, 9, v115, vcc
; %bb.172:
	s_andn2_saveexec_b64 s[0:1], s[0:1]
	s_cbranch_execz .LBB48_178
; %bb.173:
	v_cmp_ngt_f64_e64 s[16:17], |v[100:101]|, |v[102:103]|
	s_and_saveexec_b64 s[18:19], s[16:17]
	s_xor_b64 s[16:17], exec, s[18:19]
	s_cbranch_execz .LBB48_175
; %bb.174:
	v_div_scale_f64 v[116:117], s[18:19], v[102:103], v[102:103], v[100:101]
	v_rcp_f64_e32 v[118:119], v[116:117]
	v_div_scale_f64 v[120:121], vcc, v[100:101], v[102:103], v[100:101]
	v_fma_f64 v[122:123], -v[116:117], v[118:119], 1.0
	v_fmac_f64_e32 v[118:119], v[118:119], v[122:123]
	v_fma_f64 v[122:123], -v[116:117], v[118:119], 1.0
	v_fmac_f64_e32 v[118:119], v[118:119], v[122:123]
	v_mul_f64 v[122:123], v[120:121], v[118:119]
	v_fma_f64 v[116:117], -v[116:117], v[122:123], v[120:121]
	v_div_fmas_f64 v[116:117], v[116:117], v[118:119], v[122:123]
	v_div_fixup_f64 v[116:117], v[116:117], v[102:103], v[100:101]
	v_fmac_f64_e32 v[102:103], v[100:101], v[116:117]
	v_div_scale_f64 v[100:101], s[18:19], v[102:103], v[102:103], 1.0
	v_rcp_f64_e32 v[118:119], v[100:101]
	s_nop 0
	v_fma_f64 v[120:121], -v[100:101], v[118:119], 1.0
	v_fmac_f64_e32 v[118:119], v[118:119], v[120:121]
	v_fma_f64 v[120:121], -v[100:101], v[118:119], 1.0
	v_fmac_f64_e32 v[118:119], v[118:119], v[120:121]
	v_div_scale_f64 v[120:121], vcc, 1.0, v[102:103], 1.0
	v_mul_f64 v[122:123], v[120:121], v[118:119]
	v_fma_f64 v[100:101], -v[100:101], v[122:123], v[120:121]
	s_nop 1
	v_div_fmas_f64 v[100:101], v[100:101], v[118:119], v[122:123]
	v_div_fixup_f64 v[102:103], v[100:101], v[102:103], 1.0
	v_mul_f64 v[100:101], v[116:117], v[102:103]
	v_xor_b32_e32 v103, 0x80000000, v103
.LBB48_175:
	s_andn2_saveexec_b64 s[16:17], s[16:17]
	s_cbranch_execz .LBB48_177
; %bb.176:
	v_div_scale_f64 v[116:117], s[18:19], v[100:101], v[100:101], v[102:103]
	v_rcp_f64_e32 v[118:119], v[116:117]
	v_div_scale_f64 v[120:121], vcc, v[102:103], v[100:101], v[102:103]
	v_fma_f64 v[122:123], -v[116:117], v[118:119], 1.0
	v_fmac_f64_e32 v[118:119], v[118:119], v[122:123]
	v_fma_f64 v[122:123], -v[116:117], v[118:119], 1.0
	v_fmac_f64_e32 v[118:119], v[118:119], v[122:123]
	v_mul_f64 v[122:123], v[120:121], v[118:119]
	v_fma_f64 v[116:117], -v[116:117], v[122:123], v[120:121]
	v_div_fmas_f64 v[116:117], v[116:117], v[118:119], v[122:123]
	v_div_fixup_f64 v[116:117], v[116:117], v[100:101], v[102:103]
	v_fmac_f64_e32 v[100:101], v[102:103], v[116:117]
	v_div_scale_f64 v[102:103], s[18:19], v[100:101], v[100:101], 1.0
	v_rcp_f64_e32 v[118:119], v[102:103]
	s_nop 0
	v_fma_f64 v[120:121], -v[102:103], v[118:119], 1.0
	v_fmac_f64_e32 v[118:119], v[118:119], v[120:121]
	v_fma_f64 v[120:121], -v[102:103], v[118:119], 1.0
	v_fmac_f64_e32 v[118:119], v[118:119], v[120:121]
	v_div_scale_f64 v[120:121], vcc, 1.0, v[100:101], 1.0
	v_mul_f64 v[122:123], v[120:121], v[118:119]
	v_fma_f64 v[102:103], -v[102:103], v[122:123], v[120:121]
	s_nop 1
	v_div_fmas_f64 v[102:103], v[102:103], v[118:119], v[122:123]
	v_div_fixup_f64 v[100:101], v[102:103], v[100:101], 1.0
	v_mul_f64 v[102:103], v[116:117], -v[100:101]
.LBB48_177:
	s_or_b64 exec, exec, s[16:17]
.LBB48_178:
	s_or_b64 exec, exec, s[0:1]
	v_cmp_ne_u32_e32 vcc, v113, v110
	s_and_saveexec_b64 s[0:1], vcc
	s_xor_b64 s[0:1], exec, s[0:1]
	s_cbranch_execz .LBB48_184
; %bb.179:
	v_cmp_eq_u32_e32 vcc, 8, v113
	s_and_saveexec_b64 s[16:17], vcc
	s_cbranch_execz .LBB48_183
; %bb.180:
	v_cmp_ne_u32_e32 vcc, 8, v110
	s_xor_b64 s[18:19], s[14:15], -1
	s_and_b64 s[22:23], s[18:19], vcc
	s_and_saveexec_b64 s[18:19], s[22:23]
	s_cbranch_execz .LBB48_182
; %bb.181:
	v_ashrrev_i32_e32 v111, 31, v110
	v_lshl_add_u64 v[116:117], v[110:111], 2, v[108:109]
	global_load_dword v111, v[116:117], off
	global_load_dword v113, v[108:109], off offset:32
	s_waitcnt vmcnt(1)
	global_store_dword v[108:109], v111, off offset:32
	s_waitcnt vmcnt(1)
	global_store_dword v[116:117], v113, off
.LBB48_182:
	s_or_b64 exec, exec, s[18:19]
	v_mov_b32_e32 v113, v110
	v_mov_b32_e32 v114, v110
.LBB48_183:
	s_or_b64 exec, exec, s[16:17]
.LBB48_184:
	s_andn2_saveexec_b64 s[0:1], s[0:1]
	s_cbranch_execz .LBB48_186
; %bb.185:
	v_mov_b32_e32 v113, 8
	s_waitcnt vmcnt(15)
	ds_write2_b64 v112, v[56:57], v[58:59] offset0:18 offset1:19
	s_waitcnt vmcnt(14)
	ds_write2_b64 v112, v[52:53], v[54:55] offset0:20 offset1:21
	;; [unrolled: 2-line block ×16, first 2 shown]
.LBB48_186:
	s_or_b64 exec, exec, s[0:1]
	v_cmp_lt_i32_e32 vcc, 8, v113
	s_waitcnt lgkmcnt(0)
	s_barrier
	s_and_saveexec_b64 s[0:1], vcc
	s_cbranch_execz .LBB48_188
; %bb.187:
	ds_read2_b64 v[116:119], v112 offset0:18 offset1:19
	v_mul_f64 v[110:111], v[100:101], v[62:63]
	v_mul_f64 v[62:63], v[102:103], v[62:63]
	v_fmac_f64_e32 v[110:111], v[102:103], v[60:61]
	v_fma_f64 v[60:61], v[100:101], v[60:61], -v[62:63]
	ds_read2_b64 v[100:103], v112 offset0:20 offset1:21
	s_waitcnt lgkmcnt(1)
	v_mul_f64 v[62:63], v[118:119], v[110:111]
	v_fma_f64 v[62:63], v[116:117], v[60:61], -v[62:63]
	v_mul_f64 v[116:117], v[116:117], v[110:111]
	v_fmac_f64_e32 v[116:117], v[118:119], v[60:61]
	s_waitcnt vmcnt(15)
	v_add_f64 v[56:57], v[56:57], -v[62:63]
	s_waitcnt lgkmcnt(0)
	v_mul_f64 v[62:63], v[102:103], v[110:111]
	v_add_f64 v[58:59], v[58:59], -v[116:117]
	v_fma_f64 v[62:63], v[100:101], v[60:61], -v[62:63]
	v_mul_f64 v[100:101], v[100:101], v[110:111]
	ds_read2_b64 v[116:119], v112 offset0:22 offset1:23
	v_fmac_f64_e32 v[100:101], v[102:103], v[60:61]
	s_waitcnt vmcnt(14)
	v_add_f64 v[54:55], v[54:55], -v[100:101]
	ds_read2_b64 v[100:103], v112 offset0:24 offset1:25
	v_add_f64 v[52:53], v[52:53], -v[62:63]
	s_waitcnt lgkmcnt(1)
	v_mul_f64 v[62:63], v[118:119], v[110:111]
	v_fma_f64 v[62:63], v[116:117], v[60:61], -v[62:63]
	v_mul_f64 v[116:117], v[116:117], v[110:111]
	v_fmac_f64_e32 v[116:117], v[118:119], v[60:61]
	s_waitcnt vmcnt(13)
	v_add_f64 v[48:49], v[48:49], -v[62:63]
	s_waitcnt lgkmcnt(0)
	v_mul_f64 v[62:63], v[102:103], v[110:111]
	v_add_f64 v[50:51], v[50:51], -v[116:117]
	v_fma_f64 v[62:63], v[100:101], v[60:61], -v[62:63]
	v_mul_f64 v[100:101], v[100:101], v[110:111]
	ds_read2_b64 v[116:119], v112 offset0:26 offset1:27
	v_fmac_f64_e32 v[100:101], v[102:103], v[60:61]
	s_waitcnt vmcnt(12)
	v_add_f64 v[46:47], v[46:47], -v[100:101]
	ds_read2_b64 v[100:103], v112 offset0:28 offset1:29
	v_add_f64 v[44:45], v[44:45], -v[62:63]
	;; [unrolled: 18-line block ×7, first 2 shown]
	s_waitcnt lgkmcnt(1)
	v_mul_f64 v[62:63], v[118:119], v[110:111]
	v_fma_f64 v[62:63], v[116:117], v[60:61], -v[62:63]
	s_waitcnt vmcnt(1)
	v_add_f64 v[0:1], v[0:1], -v[62:63]
	s_waitcnt lgkmcnt(0)
	v_mul_f64 v[62:63], v[102:103], v[110:111]
	v_mul_f64 v[116:117], v[116:117], v[110:111]
	v_fma_f64 v[62:63], v[100:101], v[60:61], -v[62:63]
	v_mul_f64 v[100:101], v[100:101], v[110:111]
	v_fmac_f64_e32 v[116:117], v[118:119], v[60:61]
	v_fmac_f64_e32 v[100:101], v[102:103], v[60:61]
	v_add_f64 v[2:3], v[2:3], -v[116:117]
	s_waitcnt vmcnt(0)
	v_add_f64 v[96:97], v[96:97], -v[62:63]
	v_add_f64 v[98:99], v[98:99], -v[100:101]
	v_mov_b64_e32 v[62:63], v[110:111]
.LBB48_188:
	s_or_b64 exec, exec, s[0:1]
	v_lshl_add_u32 v100, v113, 4, v112
	s_barrier
	s_waitcnt vmcnt(15)
	ds_write2_b64 v100, v[56:57], v[58:59] offset1:1
	s_waitcnt lgkmcnt(0)
	s_barrier
	ds_read2_b64 v[100:103], v112 offset0:18 offset1:19
	s_cmp_lt_i32 s20, 11
	v_mov_b32_e32 v110, 9
	s_cbranch_scc1 .LBB48_191
; %bb.189:
	v_add_u32_e32 v111, 0xa0, v112
	s_mov_b32 s16, 10
	v_mov_b32_e32 v110, 9
.LBB48_190:                             ; =>This Inner Loop Header: Depth=1
	ds_read2_b64 v[116:119], v111 offset1:1
	s_waitcnt lgkmcnt(1)
	v_xor_b32_e32 v121, 0x80000000, v101
	v_xor_b32_e32 v123, 0x80000000, v103
	v_cmp_gt_f64_e32 vcc, 0, v[102:103]
	v_cmp_gt_f64_e64 s[0:1], 0, v[100:101]
	v_mov_b32_e32 v120, v100
	v_mov_b32_e32 v122, v102
	v_cndmask_b32_e64 v121, v101, v121, s[0:1]
	v_cndmask_b32_e32 v123, v103, v123, vcc
	v_add_f64 v[120:121], v[120:121], v[122:123]
	s_waitcnt lgkmcnt(0)
	v_xor_b32_e32 v123, 0x80000000, v117
	v_xor_b32_e32 v125, 0x80000000, v119
	v_cmp_gt_f64_e32 vcc, 0, v[118:119]
	v_cmp_gt_f64_e64 s[0:1], 0, v[116:117]
	v_mov_b32_e32 v122, v116
	v_mov_b32_e32 v124, v118
	v_cndmask_b32_e64 v123, v117, v123, s[0:1]
	v_cndmask_b32_e32 v125, v119, v125, vcc
	v_add_f64 v[122:123], v[122:123], v[124:125]
	v_mov_b32_e32 v126, s16
	s_add_i32 s16, s16, 1
	v_cmp_lt_f64_e32 vcc, v[120:121], v[122:123]
	v_add_u32_e32 v111, 16, v111
	s_cmp_lg_u32 s20, s16
	v_cndmask_b32_e32 v101, v101, v117, vcc
	v_cndmask_b32_e32 v100, v100, v116, vcc
	;; [unrolled: 1-line block ×5, first 2 shown]
	s_cbranch_scc1 .LBB48_190
.LBB48_191:
	s_waitcnt lgkmcnt(0)
	v_cmp_eq_f64_e32 vcc, 0, v[100:101]
	v_cmp_eq_f64_e64 s[0:1], 0, v[102:103]
	s_and_b64 s[0:1], vcc, s[0:1]
	s_and_saveexec_b64 s[16:17], s[0:1]
	s_xor_b64 s[0:1], exec, s[16:17]
; %bb.192:
	v_cmp_ne_u32_e32 vcc, 0, v115
	s_nop 1
	v_cndmask_b32_e32 v115, 10, v115, vcc
; %bb.193:
	s_andn2_saveexec_b64 s[0:1], s[0:1]
	s_cbranch_execz .LBB48_199
; %bb.194:
	v_cmp_ngt_f64_e64 s[16:17], |v[100:101]|, |v[102:103]|
	s_and_saveexec_b64 s[18:19], s[16:17]
	s_xor_b64 s[16:17], exec, s[18:19]
	s_cbranch_execz .LBB48_196
; %bb.195:
	v_div_scale_f64 v[116:117], s[18:19], v[102:103], v[102:103], v[100:101]
	v_rcp_f64_e32 v[118:119], v[116:117]
	v_div_scale_f64 v[120:121], vcc, v[100:101], v[102:103], v[100:101]
	v_fma_f64 v[122:123], -v[116:117], v[118:119], 1.0
	v_fmac_f64_e32 v[118:119], v[118:119], v[122:123]
	v_fma_f64 v[122:123], -v[116:117], v[118:119], 1.0
	v_fmac_f64_e32 v[118:119], v[118:119], v[122:123]
	v_mul_f64 v[122:123], v[120:121], v[118:119]
	v_fma_f64 v[116:117], -v[116:117], v[122:123], v[120:121]
	v_div_fmas_f64 v[116:117], v[116:117], v[118:119], v[122:123]
	v_div_fixup_f64 v[116:117], v[116:117], v[102:103], v[100:101]
	v_fmac_f64_e32 v[102:103], v[100:101], v[116:117]
	v_div_scale_f64 v[100:101], s[18:19], v[102:103], v[102:103], 1.0
	v_rcp_f64_e32 v[118:119], v[100:101]
	s_nop 0
	v_fma_f64 v[120:121], -v[100:101], v[118:119], 1.0
	v_fmac_f64_e32 v[118:119], v[118:119], v[120:121]
	v_fma_f64 v[120:121], -v[100:101], v[118:119], 1.0
	v_fmac_f64_e32 v[118:119], v[118:119], v[120:121]
	v_div_scale_f64 v[120:121], vcc, 1.0, v[102:103], 1.0
	v_mul_f64 v[122:123], v[120:121], v[118:119]
	v_fma_f64 v[100:101], -v[100:101], v[122:123], v[120:121]
	s_nop 1
	v_div_fmas_f64 v[100:101], v[100:101], v[118:119], v[122:123]
	v_div_fixup_f64 v[102:103], v[100:101], v[102:103], 1.0
	v_mul_f64 v[100:101], v[116:117], v[102:103]
	v_xor_b32_e32 v103, 0x80000000, v103
.LBB48_196:
	s_andn2_saveexec_b64 s[16:17], s[16:17]
	s_cbranch_execz .LBB48_198
; %bb.197:
	v_div_scale_f64 v[116:117], s[18:19], v[100:101], v[100:101], v[102:103]
	v_rcp_f64_e32 v[118:119], v[116:117]
	v_div_scale_f64 v[120:121], vcc, v[102:103], v[100:101], v[102:103]
	v_fma_f64 v[122:123], -v[116:117], v[118:119], 1.0
	v_fmac_f64_e32 v[118:119], v[118:119], v[122:123]
	v_fma_f64 v[122:123], -v[116:117], v[118:119], 1.0
	v_fmac_f64_e32 v[118:119], v[118:119], v[122:123]
	v_mul_f64 v[122:123], v[120:121], v[118:119]
	v_fma_f64 v[116:117], -v[116:117], v[122:123], v[120:121]
	v_div_fmas_f64 v[116:117], v[116:117], v[118:119], v[122:123]
	v_div_fixup_f64 v[116:117], v[116:117], v[100:101], v[102:103]
	v_fmac_f64_e32 v[100:101], v[102:103], v[116:117]
	v_div_scale_f64 v[102:103], s[18:19], v[100:101], v[100:101], 1.0
	v_rcp_f64_e32 v[118:119], v[102:103]
	s_nop 0
	v_fma_f64 v[120:121], -v[102:103], v[118:119], 1.0
	v_fmac_f64_e32 v[118:119], v[118:119], v[120:121]
	v_fma_f64 v[120:121], -v[102:103], v[118:119], 1.0
	v_fmac_f64_e32 v[118:119], v[118:119], v[120:121]
	v_div_scale_f64 v[120:121], vcc, 1.0, v[100:101], 1.0
	v_mul_f64 v[122:123], v[120:121], v[118:119]
	v_fma_f64 v[102:103], -v[102:103], v[122:123], v[120:121]
	s_nop 1
	v_div_fmas_f64 v[102:103], v[102:103], v[118:119], v[122:123]
	v_div_fixup_f64 v[100:101], v[102:103], v[100:101], 1.0
	v_mul_f64 v[102:103], v[116:117], -v[100:101]
.LBB48_198:
	s_or_b64 exec, exec, s[16:17]
.LBB48_199:
	s_or_b64 exec, exec, s[0:1]
	v_cmp_ne_u32_e32 vcc, v113, v110
	s_and_saveexec_b64 s[0:1], vcc
	s_xor_b64 s[0:1], exec, s[0:1]
	s_cbranch_execz .LBB48_205
; %bb.200:
	v_cmp_eq_u32_e32 vcc, 9, v113
	s_and_saveexec_b64 s[16:17], vcc
	s_cbranch_execz .LBB48_204
; %bb.201:
	v_cmp_ne_u32_e32 vcc, 9, v110
	s_xor_b64 s[18:19], s[14:15], -1
	s_and_b64 s[22:23], s[18:19], vcc
	s_and_saveexec_b64 s[18:19], s[22:23]
	s_cbranch_execz .LBB48_203
; %bb.202:
	v_ashrrev_i32_e32 v111, 31, v110
	v_lshl_add_u64 v[116:117], v[110:111], 2, v[108:109]
	global_load_dword v111, v[116:117], off
	global_load_dword v113, v[108:109], off offset:36
	s_waitcnt vmcnt(1)
	global_store_dword v[108:109], v111, off offset:36
	s_waitcnt vmcnt(1)
	global_store_dword v[116:117], v113, off
.LBB48_203:
	s_or_b64 exec, exec, s[18:19]
	v_mov_b32_e32 v113, v110
	v_mov_b32_e32 v114, v110
.LBB48_204:
	s_or_b64 exec, exec, s[16:17]
.LBB48_205:
	s_andn2_saveexec_b64 s[0:1], s[0:1]
	s_cbranch_execz .LBB48_207
; %bb.206:
	v_mov_b32_e32 v113, 9
	s_waitcnt vmcnt(14)
	ds_write2_b64 v112, v[52:53], v[54:55] offset0:20 offset1:21
	s_waitcnt vmcnt(13)
	ds_write2_b64 v112, v[48:49], v[50:51] offset0:22 offset1:23
	;; [unrolled: 2-line block ×15, first 2 shown]
.LBB48_207:
	s_or_b64 exec, exec, s[0:1]
	v_cmp_lt_i32_e32 vcc, 9, v113
	s_waitcnt lgkmcnt(0)
	s_barrier
	s_and_saveexec_b64 s[0:1], vcc
	s_cbranch_execz .LBB48_209
; %bb.208:
	ds_read2_b64 v[116:119], v112 offset0:20 offset1:21
	v_mul_f64 v[110:111], v[100:101], v[58:59]
	v_fmac_f64_e32 v[110:111], v[102:103], v[56:57]
	v_mul_f64 v[58:59], v[102:103], v[58:59]
	v_fma_f64 v[56:57], v[100:101], v[56:57], -v[58:59]
	ds_read2_b64 v[100:103], v112 offset0:22 offset1:23
	s_waitcnt lgkmcnt(1)
	v_mul_f64 v[58:59], v[118:119], v[110:111]
	v_fma_f64 v[58:59], v[116:117], v[56:57], -v[58:59]
	v_mul_f64 v[116:117], v[116:117], v[110:111]
	v_fmac_f64_e32 v[116:117], v[118:119], v[56:57]
	s_waitcnt vmcnt(14)
	v_add_f64 v[54:55], v[54:55], -v[116:117]
	ds_read2_b64 v[116:119], v112 offset0:24 offset1:25
	v_add_f64 v[52:53], v[52:53], -v[58:59]
	s_waitcnt lgkmcnt(1)
	v_mul_f64 v[58:59], v[102:103], v[110:111]
	v_fma_f64 v[58:59], v[100:101], v[56:57], -v[58:59]
	v_mul_f64 v[100:101], v[100:101], v[110:111]
	v_fmac_f64_e32 v[100:101], v[102:103], v[56:57]
	s_waitcnt vmcnt(13)
	v_add_f64 v[48:49], v[48:49], -v[58:59]
	v_add_f64 v[50:51], v[50:51], -v[100:101]
	ds_read2_b64 v[100:103], v112 offset0:26 offset1:27
	s_waitcnt lgkmcnt(1)
	v_mul_f64 v[58:59], v[118:119], v[110:111]
	v_fma_f64 v[58:59], v[116:117], v[56:57], -v[58:59]
	v_mul_f64 v[116:117], v[116:117], v[110:111]
	v_fmac_f64_e32 v[116:117], v[118:119], v[56:57]
	s_waitcnt vmcnt(12)
	v_add_f64 v[46:47], v[46:47], -v[116:117]
	ds_read2_b64 v[116:119], v112 offset0:28 offset1:29
	v_add_f64 v[44:45], v[44:45], -v[58:59]
	s_waitcnt lgkmcnt(1)
	v_mul_f64 v[58:59], v[102:103], v[110:111]
	v_fma_f64 v[58:59], v[100:101], v[56:57], -v[58:59]
	v_mul_f64 v[100:101], v[100:101], v[110:111]
	v_fmac_f64_e32 v[100:101], v[102:103], v[56:57]
	s_waitcnt vmcnt(11)
	v_add_f64 v[40:41], v[40:41], -v[58:59]
	v_add_f64 v[42:43], v[42:43], -v[100:101]
	;; [unrolled: 18-line block ×7, first 2 shown]
	s_waitcnt lgkmcnt(0)
	v_mul_f64 v[58:59], v[118:119], v[110:111]
	v_mul_f64 v[100:101], v[116:117], v[110:111]
	v_fma_f64 v[58:59], v[116:117], v[56:57], -v[58:59]
	v_fmac_f64_e32 v[100:101], v[118:119], v[56:57]
	s_waitcnt vmcnt(0)
	v_add_f64 v[96:97], v[96:97], -v[58:59]
	v_add_f64 v[98:99], v[98:99], -v[100:101]
	v_mov_b64_e32 v[58:59], v[110:111]
.LBB48_209:
	s_or_b64 exec, exec, s[0:1]
	v_lshl_add_u32 v100, v113, 4, v112
	s_barrier
	s_waitcnt vmcnt(14)
	ds_write2_b64 v100, v[52:53], v[54:55] offset1:1
	s_waitcnt lgkmcnt(0)
	s_barrier
	ds_read2_b64 v[100:103], v112 offset0:20 offset1:21
	s_cmp_lt_i32 s20, 12
	v_mov_b32_e32 v110, 10
	s_cbranch_scc1 .LBB48_212
; %bb.210:
	v_add_u32_e32 v111, 0xb0, v112
	s_mov_b32 s16, 11
	v_mov_b32_e32 v110, 10
.LBB48_211:                             ; =>This Inner Loop Header: Depth=1
	ds_read2_b64 v[116:119], v111 offset1:1
	s_waitcnt lgkmcnt(1)
	v_xor_b32_e32 v121, 0x80000000, v101
	v_xor_b32_e32 v123, 0x80000000, v103
	v_cmp_gt_f64_e32 vcc, 0, v[102:103]
	v_cmp_gt_f64_e64 s[0:1], 0, v[100:101]
	v_mov_b32_e32 v120, v100
	v_mov_b32_e32 v122, v102
	v_cndmask_b32_e64 v121, v101, v121, s[0:1]
	v_cndmask_b32_e32 v123, v103, v123, vcc
	v_add_f64 v[120:121], v[120:121], v[122:123]
	s_waitcnt lgkmcnt(0)
	v_xor_b32_e32 v123, 0x80000000, v117
	v_xor_b32_e32 v125, 0x80000000, v119
	v_cmp_gt_f64_e32 vcc, 0, v[118:119]
	v_cmp_gt_f64_e64 s[0:1], 0, v[116:117]
	v_mov_b32_e32 v122, v116
	v_mov_b32_e32 v124, v118
	v_cndmask_b32_e64 v123, v117, v123, s[0:1]
	v_cndmask_b32_e32 v125, v119, v125, vcc
	v_add_f64 v[122:123], v[122:123], v[124:125]
	v_mov_b32_e32 v126, s16
	s_add_i32 s16, s16, 1
	v_cmp_lt_f64_e32 vcc, v[120:121], v[122:123]
	v_add_u32_e32 v111, 16, v111
	s_cmp_lg_u32 s20, s16
	v_cndmask_b32_e32 v101, v101, v117, vcc
	v_cndmask_b32_e32 v100, v100, v116, vcc
	;; [unrolled: 1-line block ×5, first 2 shown]
	s_cbranch_scc1 .LBB48_211
.LBB48_212:
	s_waitcnt lgkmcnt(0)
	v_cmp_eq_f64_e32 vcc, 0, v[100:101]
	v_cmp_eq_f64_e64 s[0:1], 0, v[102:103]
	s_and_b64 s[0:1], vcc, s[0:1]
	s_and_saveexec_b64 s[16:17], s[0:1]
	s_xor_b64 s[0:1], exec, s[16:17]
; %bb.213:
	v_cmp_ne_u32_e32 vcc, 0, v115
	s_nop 1
	v_cndmask_b32_e32 v115, 11, v115, vcc
; %bb.214:
	s_andn2_saveexec_b64 s[0:1], s[0:1]
	s_cbranch_execz .LBB48_220
; %bb.215:
	v_cmp_ngt_f64_e64 s[16:17], |v[100:101]|, |v[102:103]|
	s_and_saveexec_b64 s[18:19], s[16:17]
	s_xor_b64 s[16:17], exec, s[18:19]
	s_cbranch_execz .LBB48_217
; %bb.216:
	v_div_scale_f64 v[116:117], s[18:19], v[102:103], v[102:103], v[100:101]
	v_rcp_f64_e32 v[118:119], v[116:117]
	v_div_scale_f64 v[120:121], vcc, v[100:101], v[102:103], v[100:101]
	v_fma_f64 v[122:123], -v[116:117], v[118:119], 1.0
	v_fmac_f64_e32 v[118:119], v[118:119], v[122:123]
	v_fma_f64 v[122:123], -v[116:117], v[118:119], 1.0
	v_fmac_f64_e32 v[118:119], v[118:119], v[122:123]
	v_mul_f64 v[122:123], v[120:121], v[118:119]
	v_fma_f64 v[116:117], -v[116:117], v[122:123], v[120:121]
	v_div_fmas_f64 v[116:117], v[116:117], v[118:119], v[122:123]
	v_div_fixup_f64 v[116:117], v[116:117], v[102:103], v[100:101]
	v_fmac_f64_e32 v[102:103], v[100:101], v[116:117]
	v_div_scale_f64 v[100:101], s[18:19], v[102:103], v[102:103], 1.0
	v_rcp_f64_e32 v[118:119], v[100:101]
	s_nop 0
	v_fma_f64 v[120:121], -v[100:101], v[118:119], 1.0
	v_fmac_f64_e32 v[118:119], v[118:119], v[120:121]
	v_fma_f64 v[120:121], -v[100:101], v[118:119], 1.0
	v_fmac_f64_e32 v[118:119], v[118:119], v[120:121]
	v_div_scale_f64 v[120:121], vcc, 1.0, v[102:103], 1.0
	v_mul_f64 v[122:123], v[120:121], v[118:119]
	v_fma_f64 v[100:101], -v[100:101], v[122:123], v[120:121]
	s_nop 1
	v_div_fmas_f64 v[100:101], v[100:101], v[118:119], v[122:123]
	v_div_fixup_f64 v[102:103], v[100:101], v[102:103], 1.0
	v_mul_f64 v[100:101], v[116:117], v[102:103]
	v_xor_b32_e32 v103, 0x80000000, v103
.LBB48_217:
	s_andn2_saveexec_b64 s[16:17], s[16:17]
	s_cbranch_execz .LBB48_219
; %bb.218:
	v_div_scale_f64 v[116:117], s[18:19], v[100:101], v[100:101], v[102:103]
	v_rcp_f64_e32 v[118:119], v[116:117]
	v_div_scale_f64 v[120:121], vcc, v[102:103], v[100:101], v[102:103]
	v_fma_f64 v[122:123], -v[116:117], v[118:119], 1.0
	v_fmac_f64_e32 v[118:119], v[118:119], v[122:123]
	v_fma_f64 v[122:123], -v[116:117], v[118:119], 1.0
	v_fmac_f64_e32 v[118:119], v[118:119], v[122:123]
	v_mul_f64 v[122:123], v[120:121], v[118:119]
	v_fma_f64 v[116:117], -v[116:117], v[122:123], v[120:121]
	v_div_fmas_f64 v[116:117], v[116:117], v[118:119], v[122:123]
	v_div_fixup_f64 v[116:117], v[116:117], v[100:101], v[102:103]
	v_fmac_f64_e32 v[100:101], v[102:103], v[116:117]
	v_div_scale_f64 v[102:103], s[18:19], v[100:101], v[100:101], 1.0
	v_rcp_f64_e32 v[118:119], v[102:103]
	s_nop 0
	v_fma_f64 v[120:121], -v[102:103], v[118:119], 1.0
	v_fmac_f64_e32 v[118:119], v[118:119], v[120:121]
	v_fma_f64 v[120:121], -v[102:103], v[118:119], 1.0
	v_fmac_f64_e32 v[118:119], v[118:119], v[120:121]
	v_div_scale_f64 v[120:121], vcc, 1.0, v[100:101], 1.0
	v_mul_f64 v[122:123], v[120:121], v[118:119]
	v_fma_f64 v[102:103], -v[102:103], v[122:123], v[120:121]
	s_nop 1
	v_div_fmas_f64 v[102:103], v[102:103], v[118:119], v[122:123]
	v_div_fixup_f64 v[100:101], v[102:103], v[100:101], 1.0
	v_mul_f64 v[102:103], v[116:117], -v[100:101]
.LBB48_219:
	s_or_b64 exec, exec, s[16:17]
.LBB48_220:
	s_or_b64 exec, exec, s[0:1]
	v_cmp_ne_u32_e32 vcc, v113, v110
	s_and_saveexec_b64 s[0:1], vcc
	s_xor_b64 s[0:1], exec, s[0:1]
	s_cbranch_execz .LBB48_226
; %bb.221:
	v_cmp_eq_u32_e32 vcc, 10, v113
	s_and_saveexec_b64 s[16:17], vcc
	s_cbranch_execz .LBB48_225
; %bb.222:
	v_cmp_ne_u32_e32 vcc, 10, v110
	s_xor_b64 s[18:19], s[14:15], -1
	s_and_b64 s[22:23], s[18:19], vcc
	s_and_saveexec_b64 s[18:19], s[22:23]
	s_cbranch_execz .LBB48_224
; %bb.223:
	v_ashrrev_i32_e32 v111, 31, v110
	v_lshl_add_u64 v[116:117], v[110:111], 2, v[108:109]
	global_load_dword v111, v[116:117], off
	global_load_dword v113, v[108:109], off offset:40
	s_waitcnt vmcnt(1)
	global_store_dword v[108:109], v111, off offset:40
	s_waitcnt vmcnt(1)
	global_store_dword v[116:117], v113, off
.LBB48_224:
	s_or_b64 exec, exec, s[18:19]
	v_mov_b32_e32 v113, v110
	v_mov_b32_e32 v114, v110
.LBB48_225:
	s_or_b64 exec, exec, s[16:17]
.LBB48_226:
	s_andn2_saveexec_b64 s[0:1], s[0:1]
	s_cbranch_execz .LBB48_228
; %bb.227:
	v_mov_b32_e32 v113, 10
	s_waitcnt vmcnt(13)
	ds_write2_b64 v112, v[48:49], v[50:51] offset0:22 offset1:23
	s_waitcnt vmcnt(12)
	ds_write2_b64 v112, v[44:45], v[46:47] offset0:24 offset1:25
	;; [unrolled: 2-line block ×14, first 2 shown]
.LBB48_228:
	s_or_b64 exec, exec, s[0:1]
	v_cmp_lt_i32_e32 vcc, 10, v113
	s_waitcnt lgkmcnt(0)
	s_barrier
	s_and_saveexec_b64 s[0:1], vcc
	s_cbranch_execz .LBB48_230
; %bb.229:
	ds_read2_b64 v[116:119], v112 offset0:22 offset1:23
	v_mul_f64 v[110:111], v[100:101], v[54:55]
	v_mul_f64 v[54:55], v[102:103], v[54:55]
	v_fmac_f64_e32 v[110:111], v[102:103], v[52:53]
	v_fma_f64 v[52:53], v[100:101], v[52:53], -v[54:55]
	ds_read2_b64 v[100:103], v112 offset0:24 offset1:25
	s_waitcnt lgkmcnt(1)
	v_mul_f64 v[54:55], v[118:119], v[110:111]
	v_fma_f64 v[54:55], v[116:117], v[52:53], -v[54:55]
	v_mul_f64 v[116:117], v[116:117], v[110:111]
	v_fmac_f64_e32 v[116:117], v[118:119], v[52:53]
	s_waitcnt vmcnt(13)
	v_add_f64 v[48:49], v[48:49], -v[54:55]
	s_waitcnt lgkmcnt(0)
	v_mul_f64 v[54:55], v[102:103], v[110:111]
	v_add_f64 v[50:51], v[50:51], -v[116:117]
	v_fma_f64 v[54:55], v[100:101], v[52:53], -v[54:55]
	v_mul_f64 v[100:101], v[100:101], v[110:111]
	ds_read2_b64 v[116:119], v112 offset0:26 offset1:27
	v_fmac_f64_e32 v[100:101], v[102:103], v[52:53]
	s_waitcnt vmcnt(12)
	v_add_f64 v[46:47], v[46:47], -v[100:101]
	ds_read2_b64 v[100:103], v112 offset0:28 offset1:29
	v_add_f64 v[44:45], v[44:45], -v[54:55]
	s_waitcnt lgkmcnt(1)
	v_mul_f64 v[54:55], v[118:119], v[110:111]
	v_fma_f64 v[54:55], v[116:117], v[52:53], -v[54:55]
	v_mul_f64 v[116:117], v[116:117], v[110:111]
	v_fmac_f64_e32 v[116:117], v[118:119], v[52:53]
	s_waitcnt vmcnt(11)
	v_add_f64 v[40:41], v[40:41], -v[54:55]
	s_waitcnt lgkmcnt(0)
	v_mul_f64 v[54:55], v[102:103], v[110:111]
	v_add_f64 v[42:43], v[42:43], -v[116:117]
	v_fma_f64 v[54:55], v[100:101], v[52:53], -v[54:55]
	v_mul_f64 v[100:101], v[100:101], v[110:111]
	ds_read2_b64 v[116:119], v112 offset0:30 offset1:31
	v_fmac_f64_e32 v[100:101], v[102:103], v[52:53]
	s_waitcnt vmcnt(10)
	v_add_f64 v[38:39], v[38:39], -v[100:101]
	ds_read2_b64 v[100:103], v112 offset0:32 offset1:33
	v_add_f64 v[36:37], v[36:37], -v[54:55]
	;; [unrolled: 18-line block ×6, first 2 shown]
	s_waitcnt lgkmcnt(1)
	v_mul_f64 v[54:55], v[118:119], v[110:111]
	v_fma_f64 v[54:55], v[116:117], v[52:53], -v[54:55]
	s_waitcnt vmcnt(1)
	v_add_f64 v[0:1], v[0:1], -v[54:55]
	s_waitcnt lgkmcnt(0)
	v_mul_f64 v[54:55], v[102:103], v[110:111]
	v_mul_f64 v[116:117], v[116:117], v[110:111]
	v_fma_f64 v[54:55], v[100:101], v[52:53], -v[54:55]
	v_mul_f64 v[100:101], v[100:101], v[110:111]
	v_fmac_f64_e32 v[116:117], v[118:119], v[52:53]
	v_fmac_f64_e32 v[100:101], v[102:103], v[52:53]
	v_add_f64 v[2:3], v[2:3], -v[116:117]
	s_waitcnt vmcnt(0)
	v_add_f64 v[96:97], v[96:97], -v[54:55]
	v_add_f64 v[98:99], v[98:99], -v[100:101]
	v_mov_b64_e32 v[54:55], v[110:111]
.LBB48_230:
	s_or_b64 exec, exec, s[0:1]
	v_lshl_add_u32 v100, v113, 4, v112
	s_barrier
	s_waitcnt vmcnt(13)
	ds_write2_b64 v100, v[48:49], v[50:51] offset1:1
	s_waitcnt lgkmcnt(0)
	s_barrier
	ds_read2_b64 v[100:103], v112 offset0:22 offset1:23
	s_cmp_lt_i32 s20, 13
	v_mov_b32_e32 v110, 11
	s_cbranch_scc1 .LBB48_233
; %bb.231:
	v_add_u32_e32 v111, 0xc0, v112
	s_mov_b32 s16, 12
	v_mov_b32_e32 v110, 11
.LBB48_232:                             ; =>This Inner Loop Header: Depth=1
	ds_read2_b64 v[116:119], v111 offset1:1
	s_waitcnt lgkmcnt(1)
	v_xor_b32_e32 v121, 0x80000000, v101
	v_xor_b32_e32 v123, 0x80000000, v103
	v_cmp_gt_f64_e32 vcc, 0, v[102:103]
	v_cmp_gt_f64_e64 s[0:1], 0, v[100:101]
	v_mov_b32_e32 v120, v100
	v_mov_b32_e32 v122, v102
	v_cndmask_b32_e64 v121, v101, v121, s[0:1]
	v_cndmask_b32_e32 v123, v103, v123, vcc
	v_add_f64 v[120:121], v[120:121], v[122:123]
	s_waitcnt lgkmcnt(0)
	v_xor_b32_e32 v123, 0x80000000, v117
	v_xor_b32_e32 v125, 0x80000000, v119
	v_cmp_gt_f64_e32 vcc, 0, v[118:119]
	v_cmp_gt_f64_e64 s[0:1], 0, v[116:117]
	v_mov_b32_e32 v122, v116
	v_mov_b32_e32 v124, v118
	v_cndmask_b32_e64 v123, v117, v123, s[0:1]
	v_cndmask_b32_e32 v125, v119, v125, vcc
	v_add_f64 v[122:123], v[122:123], v[124:125]
	v_mov_b32_e32 v126, s16
	s_add_i32 s16, s16, 1
	v_cmp_lt_f64_e32 vcc, v[120:121], v[122:123]
	v_add_u32_e32 v111, 16, v111
	s_cmp_lg_u32 s20, s16
	v_cndmask_b32_e32 v101, v101, v117, vcc
	v_cndmask_b32_e32 v100, v100, v116, vcc
	;; [unrolled: 1-line block ×5, first 2 shown]
	s_cbranch_scc1 .LBB48_232
.LBB48_233:
	s_waitcnt lgkmcnt(0)
	v_cmp_eq_f64_e32 vcc, 0, v[100:101]
	v_cmp_eq_f64_e64 s[0:1], 0, v[102:103]
	s_and_b64 s[0:1], vcc, s[0:1]
	s_and_saveexec_b64 s[16:17], s[0:1]
	s_xor_b64 s[0:1], exec, s[16:17]
; %bb.234:
	v_cmp_ne_u32_e32 vcc, 0, v115
	s_nop 1
	v_cndmask_b32_e32 v115, 12, v115, vcc
; %bb.235:
	s_andn2_saveexec_b64 s[0:1], s[0:1]
	s_cbranch_execz .LBB48_241
; %bb.236:
	v_cmp_ngt_f64_e64 s[16:17], |v[100:101]|, |v[102:103]|
	s_and_saveexec_b64 s[18:19], s[16:17]
	s_xor_b64 s[16:17], exec, s[18:19]
	s_cbranch_execz .LBB48_238
; %bb.237:
	v_div_scale_f64 v[116:117], s[18:19], v[102:103], v[102:103], v[100:101]
	v_rcp_f64_e32 v[118:119], v[116:117]
	v_div_scale_f64 v[120:121], vcc, v[100:101], v[102:103], v[100:101]
	v_fma_f64 v[122:123], -v[116:117], v[118:119], 1.0
	v_fmac_f64_e32 v[118:119], v[118:119], v[122:123]
	v_fma_f64 v[122:123], -v[116:117], v[118:119], 1.0
	v_fmac_f64_e32 v[118:119], v[118:119], v[122:123]
	v_mul_f64 v[122:123], v[120:121], v[118:119]
	v_fma_f64 v[116:117], -v[116:117], v[122:123], v[120:121]
	v_div_fmas_f64 v[116:117], v[116:117], v[118:119], v[122:123]
	v_div_fixup_f64 v[116:117], v[116:117], v[102:103], v[100:101]
	v_fmac_f64_e32 v[102:103], v[100:101], v[116:117]
	v_div_scale_f64 v[100:101], s[18:19], v[102:103], v[102:103], 1.0
	v_rcp_f64_e32 v[118:119], v[100:101]
	s_nop 0
	v_fma_f64 v[120:121], -v[100:101], v[118:119], 1.0
	v_fmac_f64_e32 v[118:119], v[118:119], v[120:121]
	v_fma_f64 v[120:121], -v[100:101], v[118:119], 1.0
	v_fmac_f64_e32 v[118:119], v[118:119], v[120:121]
	v_div_scale_f64 v[120:121], vcc, 1.0, v[102:103], 1.0
	v_mul_f64 v[122:123], v[120:121], v[118:119]
	v_fma_f64 v[100:101], -v[100:101], v[122:123], v[120:121]
	s_nop 1
	v_div_fmas_f64 v[100:101], v[100:101], v[118:119], v[122:123]
	v_div_fixup_f64 v[102:103], v[100:101], v[102:103], 1.0
	v_mul_f64 v[100:101], v[116:117], v[102:103]
	v_xor_b32_e32 v103, 0x80000000, v103
.LBB48_238:
	s_andn2_saveexec_b64 s[16:17], s[16:17]
	s_cbranch_execz .LBB48_240
; %bb.239:
	v_div_scale_f64 v[116:117], s[18:19], v[100:101], v[100:101], v[102:103]
	v_rcp_f64_e32 v[118:119], v[116:117]
	v_div_scale_f64 v[120:121], vcc, v[102:103], v[100:101], v[102:103]
	v_fma_f64 v[122:123], -v[116:117], v[118:119], 1.0
	v_fmac_f64_e32 v[118:119], v[118:119], v[122:123]
	v_fma_f64 v[122:123], -v[116:117], v[118:119], 1.0
	v_fmac_f64_e32 v[118:119], v[118:119], v[122:123]
	v_mul_f64 v[122:123], v[120:121], v[118:119]
	v_fma_f64 v[116:117], -v[116:117], v[122:123], v[120:121]
	v_div_fmas_f64 v[116:117], v[116:117], v[118:119], v[122:123]
	v_div_fixup_f64 v[116:117], v[116:117], v[100:101], v[102:103]
	v_fmac_f64_e32 v[100:101], v[102:103], v[116:117]
	v_div_scale_f64 v[102:103], s[18:19], v[100:101], v[100:101], 1.0
	v_rcp_f64_e32 v[118:119], v[102:103]
	s_nop 0
	v_fma_f64 v[120:121], -v[102:103], v[118:119], 1.0
	v_fmac_f64_e32 v[118:119], v[118:119], v[120:121]
	v_fma_f64 v[120:121], -v[102:103], v[118:119], 1.0
	v_fmac_f64_e32 v[118:119], v[118:119], v[120:121]
	v_div_scale_f64 v[120:121], vcc, 1.0, v[100:101], 1.0
	v_mul_f64 v[122:123], v[120:121], v[118:119]
	v_fma_f64 v[102:103], -v[102:103], v[122:123], v[120:121]
	s_nop 1
	v_div_fmas_f64 v[102:103], v[102:103], v[118:119], v[122:123]
	v_div_fixup_f64 v[100:101], v[102:103], v[100:101], 1.0
	v_mul_f64 v[102:103], v[116:117], -v[100:101]
.LBB48_240:
	s_or_b64 exec, exec, s[16:17]
.LBB48_241:
	s_or_b64 exec, exec, s[0:1]
	v_cmp_ne_u32_e32 vcc, v113, v110
	s_and_saveexec_b64 s[0:1], vcc
	s_xor_b64 s[0:1], exec, s[0:1]
	s_cbranch_execz .LBB48_247
; %bb.242:
	v_cmp_eq_u32_e32 vcc, 11, v113
	s_and_saveexec_b64 s[16:17], vcc
	s_cbranch_execz .LBB48_246
; %bb.243:
	v_cmp_ne_u32_e32 vcc, 11, v110
	s_xor_b64 s[18:19], s[14:15], -1
	s_and_b64 s[22:23], s[18:19], vcc
	s_and_saveexec_b64 s[18:19], s[22:23]
	s_cbranch_execz .LBB48_245
; %bb.244:
	v_ashrrev_i32_e32 v111, 31, v110
	v_lshl_add_u64 v[116:117], v[110:111], 2, v[108:109]
	global_load_dword v111, v[116:117], off
	global_load_dword v113, v[108:109], off offset:44
	s_waitcnt vmcnt(1)
	global_store_dword v[108:109], v111, off offset:44
	s_waitcnt vmcnt(1)
	global_store_dword v[116:117], v113, off
.LBB48_245:
	s_or_b64 exec, exec, s[18:19]
	v_mov_b32_e32 v113, v110
	v_mov_b32_e32 v114, v110
.LBB48_246:
	s_or_b64 exec, exec, s[16:17]
.LBB48_247:
	s_andn2_saveexec_b64 s[0:1], s[0:1]
	s_cbranch_execz .LBB48_249
; %bb.248:
	v_mov_b32_e32 v113, 11
	s_waitcnt vmcnt(12)
	ds_write2_b64 v112, v[44:45], v[46:47] offset0:24 offset1:25
	s_waitcnt vmcnt(11)
	ds_write2_b64 v112, v[40:41], v[42:43] offset0:26 offset1:27
	s_waitcnt vmcnt(10)
	ds_write2_b64 v112, v[36:37], v[38:39] offset0:28 offset1:29
	s_waitcnt vmcnt(9)
	ds_write2_b64 v112, v[32:33], v[34:35] offset0:30 offset1:31
	s_waitcnt vmcnt(8)
	ds_write2_b64 v112, v[24:25], v[26:27] offset0:32 offset1:33
	s_waitcnt vmcnt(7)
	ds_write2_b64 v112, v[28:29], v[30:31] offset0:34 offset1:35
	s_waitcnt vmcnt(6)
	ds_write2_b64 v112, v[20:21], v[22:23] offset0:36 offset1:37
	s_waitcnt vmcnt(5)
	ds_write2_b64 v112, v[16:17], v[18:19] offset0:38 offset1:39
	s_waitcnt vmcnt(4)
	ds_write2_b64 v112, v[12:13], v[14:15] offset0:40 offset1:41
	s_waitcnt vmcnt(3)
	ds_write2_b64 v112, v[8:9], v[10:11] offset0:42 offset1:43
	s_waitcnt vmcnt(2)
	ds_write2_b64 v112, v[4:5], v[6:7] offset0:44 offset1:45
	s_waitcnt vmcnt(1)
	ds_write2_b64 v112, v[0:1], v[2:3] offset0:46 offset1:47
	s_waitcnt vmcnt(0)
	ds_write2_b64 v112, v[96:97], v[98:99] offset0:48 offset1:49
.LBB48_249:
	s_or_b64 exec, exec, s[0:1]
	v_cmp_lt_i32_e32 vcc, 11, v113
	s_waitcnt lgkmcnt(0)
	s_barrier
	s_and_saveexec_b64 s[0:1], vcc
	s_cbranch_execz .LBB48_251
; %bb.250:
	ds_read2_b64 v[116:119], v112 offset0:24 offset1:25
	v_mul_f64 v[110:111], v[100:101], v[50:51]
	v_fmac_f64_e32 v[110:111], v[102:103], v[48:49]
	v_mul_f64 v[50:51], v[102:103], v[50:51]
	v_fma_f64 v[48:49], v[100:101], v[48:49], -v[50:51]
	ds_read2_b64 v[100:103], v112 offset0:26 offset1:27
	s_waitcnt lgkmcnt(1)
	v_mul_f64 v[50:51], v[118:119], v[110:111]
	v_fma_f64 v[50:51], v[116:117], v[48:49], -v[50:51]
	v_mul_f64 v[116:117], v[116:117], v[110:111]
	v_fmac_f64_e32 v[116:117], v[118:119], v[48:49]
	s_waitcnt vmcnt(12)
	v_add_f64 v[46:47], v[46:47], -v[116:117]
	ds_read2_b64 v[116:119], v112 offset0:28 offset1:29
	v_add_f64 v[44:45], v[44:45], -v[50:51]
	s_waitcnt lgkmcnt(1)
	v_mul_f64 v[50:51], v[102:103], v[110:111]
	v_fma_f64 v[50:51], v[100:101], v[48:49], -v[50:51]
	v_mul_f64 v[100:101], v[100:101], v[110:111]
	v_fmac_f64_e32 v[100:101], v[102:103], v[48:49]
	s_waitcnt vmcnt(11)
	v_add_f64 v[40:41], v[40:41], -v[50:51]
	v_add_f64 v[42:43], v[42:43], -v[100:101]
	ds_read2_b64 v[100:103], v112 offset0:30 offset1:31
	s_waitcnt lgkmcnt(1)
	v_mul_f64 v[50:51], v[118:119], v[110:111]
	v_fma_f64 v[50:51], v[116:117], v[48:49], -v[50:51]
	v_mul_f64 v[116:117], v[116:117], v[110:111]
	v_fmac_f64_e32 v[116:117], v[118:119], v[48:49]
	s_waitcnt vmcnt(10)
	v_add_f64 v[38:39], v[38:39], -v[116:117]
	ds_read2_b64 v[116:119], v112 offset0:32 offset1:33
	v_add_f64 v[36:37], v[36:37], -v[50:51]
	s_waitcnt lgkmcnt(1)
	v_mul_f64 v[50:51], v[102:103], v[110:111]
	v_fma_f64 v[50:51], v[100:101], v[48:49], -v[50:51]
	v_mul_f64 v[100:101], v[100:101], v[110:111]
	v_fmac_f64_e32 v[100:101], v[102:103], v[48:49]
	s_waitcnt vmcnt(9)
	v_add_f64 v[32:33], v[32:33], -v[50:51]
	v_add_f64 v[34:35], v[34:35], -v[100:101]
	;; [unrolled: 18-line block ×6, first 2 shown]
	s_waitcnt lgkmcnt(0)
	v_mul_f64 v[50:51], v[118:119], v[110:111]
	v_mul_f64 v[100:101], v[116:117], v[110:111]
	v_fma_f64 v[50:51], v[116:117], v[48:49], -v[50:51]
	v_fmac_f64_e32 v[100:101], v[118:119], v[48:49]
	s_waitcnt vmcnt(0)
	v_add_f64 v[96:97], v[96:97], -v[50:51]
	v_add_f64 v[98:99], v[98:99], -v[100:101]
	v_mov_b64_e32 v[50:51], v[110:111]
.LBB48_251:
	s_or_b64 exec, exec, s[0:1]
	v_lshl_add_u32 v100, v113, 4, v112
	s_barrier
	s_waitcnt vmcnt(12)
	ds_write2_b64 v100, v[44:45], v[46:47] offset1:1
	s_waitcnt lgkmcnt(0)
	s_barrier
	ds_read2_b64 v[100:103], v112 offset0:24 offset1:25
	s_cmp_lt_i32 s20, 14
	v_mov_b32_e32 v110, 12
	s_cbranch_scc1 .LBB48_254
; %bb.252:
	v_add_u32_e32 v111, 0xd0, v112
	s_mov_b32 s16, 13
	v_mov_b32_e32 v110, 12
.LBB48_253:                             ; =>This Inner Loop Header: Depth=1
	ds_read2_b64 v[116:119], v111 offset1:1
	s_waitcnt lgkmcnt(1)
	v_xor_b32_e32 v121, 0x80000000, v101
	v_xor_b32_e32 v123, 0x80000000, v103
	v_cmp_gt_f64_e32 vcc, 0, v[102:103]
	v_cmp_gt_f64_e64 s[0:1], 0, v[100:101]
	v_mov_b32_e32 v120, v100
	v_mov_b32_e32 v122, v102
	v_cndmask_b32_e64 v121, v101, v121, s[0:1]
	v_cndmask_b32_e32 v123, v103, v123, vcc
	v_add_f64 v[120:121], v[120:121], v[122:123]
	s_waitcnt lgkmcnt(0)
	v_xor_b32_e32 v123, 0x80000000, v117
	v_xor_b32_e32 v125, 0x80000000, v119
	v_cmp_gt_f64_e32 vcc, 0, v[118:119]
	v_cmp_gt_f64_e64 s[0:1], 0, v[116:117]
	v_mov_b32_e32 v122, v116
	v_mov_b32_e32 v124, v118
	v_cndmask_b32_e64 v123, v117, v123, s[0:1]
	v_cndmask_b32_e32 v125, v119, v125, vcc
	v_add_f64 v[122:123], v[122:123], v[124:125]
	v_mov_b32_e32 v126, s16
	s_add_i32 s16, s16, 1
	v_cmp_lt_f64_e32 vcc, v[120:121], v[122:123]
	v_add_u32_e32 v111, 16, v111
	s_cmp_lg_u32 s20, s16
	v_cndmask_b32_e32 v101, v101, v117, vcc
	v_cndmask_b32_e32 v100, v100, v116, vcc
	;; [unrolled: 1-line block ×5, first 2 shown]
	s_cbranch_scc1 .LBB48_253
.LBB48_254:
	s_waitcnt lgkmcnt(0)
	v_cmp_eq_f64_e32 vcc, 0, v[100:101]
	v_cmp_eq_f64_e64 s[0:1], 0, v[102:103]
	s_and_b64 s[0:1], vcc, s[0:1]
	s_and_saveexec_b64 s[16:17], s[0:1]
	s_xor_b64 s[0:1], exec, s[16:17]
; %bb.255:
	v_cmp_ne_u32_e32 vcc, 0, v115
	s_nop 1
	v_cndmask_b32_e32 v115, 13, v115, vcc
; %bb.256:
	s_andn2_saveexec_b64 s[0:1], s[0:1]
	s_cbranch_execz .LBB48_262
; %bb.257:
	v_cmp_ngt_f64_e64 s[16:17], |v[100:101]|, |v[102:103]|
	s_and_saveexec_b64 s[18:19], s[16:17]
	s_xor_b64 s[16:17], exec, s[18:19]
	s_cbranch_execz .LBB48_259
; %bb.258:
	v_div_scale_f64 v[116:117], s[18:19], v[102:103], v[102:103], v[100:101]
	v_rcp_f64_e32 v[118:119], v[116:117]
	v_div_scale_f64 v[120:121], vcc, v[100:101], v[102:103], v[100:101]
	v_fma_f64 v[122:123], -v[116:117], v[118:119], 1.0
	v_fmac_f64_e32 v[118:119], v[118:119], v[122:123]
	v_fma_f64 v[122:123], -v[116:117], v[118:119], 1.0
	v_fmac_f64_e32 v[118:119], v[118:119], v[122:123]
	v_mul_f64 v[122:123], v[120:121], v[118:119]
	v_fma_f64 v[116:117], -v[116:117], v[122:123], v[120:121]
	v_div_fmas_f64 v[116:117], v[116:117], v[118:119], v[122:123]
	v_div_fixup_f64 v[116:117], v[116:117], v[102:103], v[100:101]
	v_fmac_f64_e32 v[102:103], v[100:101], v[116:117]
	v_div_scale_f64 v[100:101], s[18:19], v[102:103], v[102:103], 1.0
	v_rcp_f64_e32 v[118:119], v[100:101]
	s_nop 0
	v_fma_f64 v[120:121], -v[100:101], v[118:119], 1.0
	v_fmac_f64_e32 v[118:119], v[118:119], v[120:121]
	v_fma_f64 v[120:121], -v[100:101], v[118:119], 1.0
	v_fmac_f64_e32 v[118:119], v[118:119], v[120:121]
	v_div_scale_f64 v[120:121], vcc, 1.0, v[102:103], 1.0
	v_mul_f64 v[122:123], v[120:121], v[118:119]
	v_fma_f64 v[100:101], -v[100:101], v[122:123], v[120:121]
	s_nop 1
	v_div_fmas_f64 v[100:101], v[100:101], v[118:119], v[122:123]
	v_div_fixup_f64 v[102:103], v[100:101], v[102:103], 1.0
	v_mul_f64 v[100:101], v[116:117], v[102:103]
	v_xor_b32_e32 v103, 0x80000000, v103
.LBB48_259:
	s_andn2_saveexec_b64 s[16:17], s[16:17]
	s_cbranch_execz .LBB48_261
; %bb.260:
	v_div_scale_f64 v[116:117], s[18:19], v[100:101], v[100:101], v[102:103]
	v_rcp_f64_e32 v[118:119], v[116:117]
	v_div_scale_f64 v[120:121], vcc, v[102:103], v[100:101], v[102:103]
	v_fma_f64 v[122:123], -v[116:117], v[118:119], 1.0
	v_fmac_f64_e32 v[118:119], v[118:119], v[122:123]
	v_fma_f64 v[122:123], -v[116:117], v[118:119], 1.0
	v_fmac_f64_e32 v[118:119], v[118:119], v[122:123]
	v_mul_f64 v[122:123], v[120:121], v[118:119]
	v_fma_f64 v[116:117], -v[116:117], v[122:123], v[120:121]
	v_div_fmas_f64 v[116:117], v[116:117], v[118:119], v[122:123]
	v_div_fixup_f64 v[116:117], v[116:117], v[100:101], v[102:103]
	v_fmac_f64_e32 v[100:101], v[102:103], v[116:117]
	v_div_scale_f64 v[102:103], s[18:19], v[100:101], v[100:101], 1.0
	v_rcp_f64_e32 v[118:119], v[102:103]
	s_nop 0
	v_fma_f64 v[120:121], -v[102:103], v[118:119], 1.0
	v_fmac_f64_e32 v[118:119], v[118:119], v[120:121]
	v_fma_f64 v[120:121], -v[102:103], v[118:119], 1.0
	v_fmac_f64_e32 v[118:119], v[118:119], v[120:121]
	v_div_scale_f64 v[120:121], vcc, 1.0, v[100:101], 1.0
	v_mul_f64 v[122:123], v[120:121], v[118:119]
	v_fma_f64 v[102:103], -v[102:103], v[122:123], v[120:121]
	s_nop 1
	v_div_fmas_f64 v[102:103], v[102:103], v[118:119], v[122:123]
	v_div_fixup_f64 v[100:101], v[102:103], v[100:101], 1.0
	v_mul_f64 v[102:103], v[116:117], -v[100:101]
.LBB48_261:
	s_or_b64 exec, exec, s[16:17]
.LBB48_262:
	s_or_b64 exec, exec, s[0:1]
	v_cmp_ne_u32_e32 vcc, v113, v110
	s_and_saveexec_b64 s[0:1], vcc
	s_xor_b64 s[0:1], exec, s[0:1]
	s_cbranch_execz .LBB48_268
; %bb.263:
	v_cmp_eq_u32_e32 vcc, 12, v113
	s_and_saveexec_b64 s[16:17], vcc
	s_cbranch_execz .LBB48_267
; %bb.264:
	v_cmp_ne_u32_e32 vcc, 12, v110
	s_xor_b64 s[18:19], s[14:15], -1
	s_and_b64 s[22:23], s[18:19], vcc
	s_and_saveexec_b64 s[18:19], s[22:23]
	s_cbranch_execz .LBB48_266
; %bb.265:
	v_ashrrev_i32_e32 v111, 31, v110
	v_lshl_add_u64 v[116:117], v[110:111], 2, v[108:109]
	global_load_dword v111, v[116:117], off
	global_load_dword v113, v[108:109], off offset:48
	s_waitcnt vmcnt(1)
	global_store_dword v[108:109], v111, off offset:48
	s_waitcnt vmcnt(1)
	global_store_dword v[116:117], v113, off
.LBB48_266:
	s_or_b64 exec, exec, s[18:19]
	v_mov_b32_e32 v113, v110
	v_mov_b32_e32 v114, v110
.LBB48_267:
	s_or_b64 exec, exec, s[16:17]
.LBB48_268:
	s_andn2_saveexec_b64 s[0:1], s[0:1]
	s_cbranch_execz .LBB48_270
; %bb.269:
	v_mov_b32_e32 v113, 12
	s_waitcnt vmcnt(11)
	ds_write2_b64 v112, v[40:41], v[42:43] offset0:26 offset1:27
	s_waitcnt vmcnt(10)
	ds_write2_b64 v112, v[36:37], v[38:39] offset0:28 offset1:29
	;; [unrolled: 2-line block ×12, first 2 shown]
.LBB48_270:
	s_or_b64 exec, exec, s[0:1]
	v_cmp_lt_i32_e32 vcc, 12, v113
	s_waitcnt lgkmcnt(0)
	s_barrier
	s_and_saveexec_b64 s[0:1], vcc
	s_cbranch_execz .LBB48_272
; %bb.271:
	ds_read2_b64 v[116:119], v112 offset0:26 offset1:27
	v_mul_f64 v[110:111], v[100:101], v[46:47]
	v_mul_f64 v[46:47], v[102:103], v[46:47]
	v_fmac_f64_e32 v[110:111], v[102:103], v[44:45]
	v_fma_f64 v[44:45], v[100:101], v[44:45], -v[46:47]
	ds_read2_b64 v[100:103], v112 offset0:28 offset1:29
	s_waitcnt lgkmcnt(1)
	v_mul_f64 v[46:47], v[118:119], v[110:111]
	v_fma_f64 v[46:47], v[116:117], v[44:45], -v[46:47]
	v_mul_f64 v[116:117], v[116:117], v[110:111]
	v_fmac_f64_e32 v[116:117], v[118:119], v[44:45]
	s_waitcnt vmcnt(11)
	v_add_f64 v[40:41], v[40:41], -v[46:47]
	s_waitcnt lgkmcnt(0)
	v_mul_f64 v[46:47], v[102:103], v[110:111]
	v_add_f64 v[42:43], v[42:43], -v[116:117]
	v_fma_f64 v[46:47], v[100:101], v[44:45], -v[46:47]
	v_mul_f64 v[100:101], v[100:101], v[110:111]
	ds_read2_b64 v[116:119], v112 offset0:30 offset1:31
	v_fmac_f64_e32 v[100:101], v[102:103], v[44:45]
	s_waitcnt vmcnt(10)
	v_add_f64 v[38:39], v[38:39], -v[100:101]
	ds_read2_b64 v[100:103], v112 offset0:32 offset1:33
	v_add_f64 v[36:37], v[36:37], -v[46:47]
	s_waitcnt lgkmcnt(1)
	v_mul_f64 v[46:47], v[118:119], v[110:111]
	v_fma_f64 v[46:47], v[116:117], v[44:45], -v[46:47]
	v_mul_f64 v[116:117], v[116:117], v[110:111]
	v_fmac_f64_e32 v[116:117], v[118:119], v[44:45]
	s_waitcnt vmcnt(9)
	v_add_f64 v[32:33], v[32:33], -v[46:47]
	s_waitcnt lgkmcnt(0)
	v_mul_f64 v[46:47], v[102:103], v[110:111]
	v_add_f64 v[34:35], v[34:35], -v[116:117]
	v_fma_f64 v[46:47], v[100:101], v[44:45], -v[46:47]
	v_mul_f64 v[100:101], v[100:101], v[110:111]
	ds_read2_b64 v[116:119], v112 offset0:34 offset1:35
	v_fmac_f64_e32 v[100:101], v[102:103], v[44:45]
	s_waitcnt vmcnt(8)
	v_add_f64 v[26:27], v[26:27], -v[100:101]
	ds_read2_b64 v[100:103], v112 offset0:36 offset1:37
	v_add_f64 v[24:25], v[24:25], -v[46:47]
	s_waitcnt lgkmcnt(1)
	v_mul_f64 v[46:47], v[118:119], v[110:111]
	v_fma_f64 v[46:47], v[116:117], v[44:45], -v[46:47]
	v_mul_f64 v[116:117], v[116:117], v[110:111]
	v_fmac_f64_e32 v[116:117], v[118:119], v[44:45]
	s_waitcnt vmcnt(7)
	v_add_f64 v[28:29], v[28:29], -v[46:47]
	s_waitcnt lgkmcnt(0)
	v_mul_f64 v[46:47], v[102:103], v[110:111]
	v_add_f64 v[30:31], v[30:31], -v[116:117]
	v_fma_f64 v[46:47], v[100:101], v[44:45], -v[46:47]
	v_mul_f64 v[100:101], v[100:101], v[110:111]
	ds_read2_b64 v[116:119], v112 offset0:38 offset1:39
	v_fmac_f64_e32 v[100:101], v[102:103], v[44:45]
	s_waitcnt vmcnt(6)
	v_add_f64 v[22:23], v[22:23], -v[100:101]
	ds_read2_b64 v[100:103], v112 offset0:40 offset1:41
	v_add_f64 v[20:21], v[20:21], -v[46:47]
	s_waitcnt lgkmcnt(1)
	v_mul_f64 v[46:47], v[118:119], v[110:111]
	v_fma_f64 v[46:47], v[116:117], v[44:45], -v[46:47]
	v_mul_f64 v[116:117], v[116:117], v[110:111]
	v_fmac_f64_e32 v[116:117], v[118:119], v[44:45]
	s_waitcnt vmcnt(5)
	v_add_f64 v[16:17], v[16:17], -v[46:47]
	s_waitcnt lgkmcnt(0)
	v_mul_f64 v[46:47], v[102:103], v[110:111]
	v_add_f64 v[18:19], v[18:19], -v[116:117]
	v_fma_f64 v[46:47], v[100:101], v[44:45], -v[46:47]
	v_mul_f64 v[100:101], v[100:101], v[110:111]
	ds_read2_b64 v[116:119], v112 offset0:42 offset1:43
	v_fmac_f64_e32 v[100:101], v[102:103], v[44:45]
	s_waitcnt vmcnt(4)
	v_add_f64 v[14:15], v[14:15], -v[100:101]
	ds_read2_b64 v[100:103], v112 offset0:44 offset1:45
	v_add_f64 v[12:13], v[12:13], -v[46:47]
	s_waitcnt lgkmcnt(1)
	v_mul_f64 v[46:47], v[118:119], v[110:111]
	v_fma_f64 v[46:47], v[116:117], v[44:45], -v[46:47]
	v_mul_f64 v[116:117], v[116:117], v[110:111]
	v_fmac_f64_e32 v[116:117], v[118:119], v[44:45]
	s_waitcnt vmcnt(3)
	v_add_f64 v[8:9], v[8:9], -v[46:47]
	s_waitcnt lgkmcnt(0)
	v_mul_f64 v[46:47], v[102:103], v[110:111]
	v_add_f64 v[10:11], v[10:11], -v[116:117]
	v_fma_f64 v[46:47], v[100:101], v[44:45], -v[46:47]
	v_mul_f64 v[100:101], v[100:101], v[110:111]
	ds_read2_b64 v[116:119], v112 offset0:46 offset1:47
	v_fmac_f64_e32 v[100:101], v[102:103], v[44:45]
	s_waitcnt vmcnt(2)
	v_add_f64 v[6:7], v[6:7], -v[100:101]
	ds_read2_b64 v[100:103], v112 offset0:48 offset1:49
	v_add_f64 v[4:5], v[4:5], -v[46:47]
	s_waitcnt lgkmcnt(1)
	v_mul_f64 v[46:47], v[118:119], v[110:111]
	v_fma_f64 v[46:47], v[116:117], v[44:45], -v[46:47]
	s_waitcnt vmcnt(1)
	v_add_f64 v[0:1], v[0:1], -v[46:47]
	s_waitcnt lgkmcnt(0)
	v_mul_f64 v[46:47], v[102:103], v[110:111]
	v_mul_f64 v[116:117], v[116:117], v[110:111]
	v_fma_f64 v[46:47], v[100:101], v[44:45], -v[46:47]
	v_mul_f64 v[100:101], v[100:101], v[110:111]
	v_fmac_f64_e32 v[116:117], v[118:119], v[44:45]
	v_fmac_f64_e32 v[100:101], v[102:103], v[44:45]
	v_add_f64 v[2:3], v[2:3], -v[116:117]
	s_waitcnt vmcnt(0)
	v_add_f64 v[96:97], v[96:97], -v[46:47]
	v_add_f64 v[98:99], v[98:99], -v[100:101]
	v_mov_b64_e32 v[46:47], v[110:111]
.LBB48_272:
	s_or_b64 exec, exec, s[0:1]
	v_lshl_add_u32 v100, v113, 4, v112
	s_barrier
	s_waitcnt vmcnt(11)
	ds_write2_b64 v100, v[40:41], v[42:43] offset1:1
	s_waitcnt lgkmcnt(0)
	s_barrier
	ds_read2_b64 v[100:103], v112 offset0:26 offset1:27
	s_cmp_lt_i32 s20, 15
	v_mov_b32_e32 v110, 13
	s_cbranch_scc1 .LBB48_275
; %bb.273:
	v_add_u32_e32 v111, 0xe0, v112
	s_mov_b32 s16, 14
	v_mov_b32_e32 v110, 13
.LBB48_274:                             ; =>This Inner Loop Header: Depth=1
	ds_read2_b64 v[116:119], v111 offset1:1
	s_waitcnt lgkmcnt(1)
	v_xor_b32_e32 v121, 0x80000000, v101
	v_xor_b32_e32 v123, 0x80000000, v103
	v_cmp_gt_f64_e32 vcc, 0, v[102:103]
	v_cmp_gt_f64_e64 s[0:1], 0, v[100:101]
	v_mov_b32_e32 v120, v100
	v_mov_b32_e32 v122, v102
	v_cndmask_b32_e64 v121, v101, v121, s[0:1]
	v_cndmask_b32_e32 v123, v103, v123, vcc
	v_add_f64 v[120:121], v[120:121], v[122:123]
	s_waitcnt lgkmcnt(0)
	v_xor_b32_e32 v123, 0x80000000, v117
	v_xor_b32_e32 v125, 0x80000000, v119
	v_cmp_gt_f64_e32 vcc, 0, v[118:119]
	v_cmp_gt_f64_e64 s[0:1], 0, v[116:117]
	v_mov_b32_e32 v122, v116
	v_mov_b32_e32 v124, v118
	v_cndmask_b32_e64 v123, v117, v123, s[0:1]
	v_cndmask_b32_e32 v125, v119, v125, vcc
	v_add_f64 v[122:123], v[122:123], v[124:125]
	v_mov_b32_e32 v126, s16
	s_add_i32 s16, s16, 1
	v_cmp_lt_f64_e32 vcc, v[120:121], v[122:123]
	v_add_u32_e32 v111, 16, v111
	s_cmp_lg_u32 s20, s16
	v_cndmask_b32_e32 v101, v101, v117, vcc
	v_cndmask_b32_e32 v100, v100, v116, vcc
	;; [unrolled: 1-line block ×5, first 2 shown]
	s_cbranch_scc1 .LBB48_274
.LBB48_275:
	s_waitcnt lgkmcnt(0)
	v_cmp_eq_f64_e32 vcc, 0, v[100:101]
	v_cmp_eq_f64_e64 s[0:1], 0, v[102:103]
	s_and_b64 s[0:1], vcc, s[0:1]
	s_and_saveexec_b64 s[16:17], s[0:1]
	s_xor_b64 s[0:1], exec, s[16:17]
; %bb.276:
	v_cmp_ne_u32_e32 vcc, 0, v115
	s_nop 1
	v_cndmask_b32_e32 v115, 14, v115, vcc
; %bb.277:
	s_andn2_saveexec_b64 s[0:1], s[0:1]
	s_cbranch_execz .LBB48_283
; %bb.278:
	v_cmp_ngt_f64_e64 s[16:17], |v[100:101]|, |v[102:103]|
	s_and_saveexec_b64 s[18:19], s[16:17]
	s_xor_b64 s[16:17], exec, s[18:19]
	s_cbranch_execz .LBB48_280
; %bb.279:
	v_div_scale_f64 v[116:117], s[18:19], v[102:103], v[102:103], v[100:101]
	v_rcp_f64_e32 v[118:119], v[116:117]
	v_div_scale_f64 v[120:121], vcc, v[100:101], v[102:103], v[100:101]
	v_fma_f64 v[122:123], -v[116:117], v[118:119], 1.0
	v_fmac_f64_e32 v[118:119], v[118:119], v[122:123]
	v_fma_f64 v[122:123], -v[116:117], v[118:119], 1.0
	v_fmac_f64_e32 v[118:119], v[118:119], v[122:123]
	v_mul_f64 v[122:123], v[120:121], v[118:119]
	v_fma_f64 v[116:117], -v[116:117], v[122:123], v[120:121]
	v_div_fmas_f64 v[116:117], v[116:117], v[118:119], v[122:123]
	v_div_fixup_f64 v[116:117], v[116:117], v[102:103], v[100:101]
	v_fmac_f64_e32 v[102:103], v[100:101], v[116:117]
	v_div_scale_f64 v[100:101], s[18:19], v[102:103], v[102:103], 1.0
	v_rcp_f64_e32 v[118:119], v[100:101]
	s_nop 0
	v_fma_f64 v[120:121], -v[100:101], v[118:119], 1.0
	v_fmac_f64_e32 v[118:119], v[118:119], v[120:121]
	v_fma_f64 v[120:121], -v[100:101], v[118:119], 1.0
	v_fmac_f64_e32 v[118:119], v[118:119], v[120:121]
	v_div_scale_f64 v[120:121], vcc, 1.0, v[102:103], 1.0
	v_mul_f64 v[122:123], v[120:121], v[118:119]
	v_fma_f64 v[100:101], -v[100:101], v[122:123], v[120:121]
	s_nop 1
	v_div_fmas_f64 v[100:101], v[100:101], v[118:119], v[122:123]
	v_div_fixup_f64 v[102:103], v[100:101], v[102:103], 1.0
	v_mul_f64 v[100:101], v[116:117], v[102:103]
	v_xor_b32_e32 v103, 0x80000000, v103
.LBB48_280:
	s_andn2_saveexec_b64 s[16:17], s[16:17]
	s_cbranch_execz .LBB48_282
; %bb.281:
	v_div_scale_f64 v[116:117], s[18:19], v[100:101], v[100:101], v[102:103]
	v_rcp_f64_e32 v[118:119], v[116:117]
	v_div_scale_f64 v[120:121], vcc, v[102:103], v[100:101], v[102:103]
	v_fma_f64 v[122:123], -v[116:117], v[118:119], 1.0
	v_fmac_f64_e32 v[118:119], v[118:119], v[122:123]
	v_fma_f64 v[122:123], -v[116:117], v[118:119], 1.0
	v_fmac_f64_e32 v[118:119], v[118:119], v[122:123]
	v_mul_f64 v[122:123], v[120:121], v[118:119]
	v_fma_f64 v[116:117], -v[116:117], v[122:123], v[120:121]
	v_div_fmas_f64 v[116:117], v[116:117], v[118:119], v[122:123]
	v_div_fixup_f64 v[116:117], v[116:117], v[100:101], v[102:103]
	v_fmac_f64_e32 v[100:101], v[102:103], v[116:117]
	v_div_scale_f64 v[102:103], s[18:19], v[100:101], v[100:101], 1.0
	v_rcp_f64_e32 v[118:119], v[102:103]
	s_nop 0
	v_fma_f64 v[120:121], -v[102:103], v[118:119], 1.0
	v_fmac_f64_e32 v[118:119], v[118:119], v[120:121]
	v_fma_f64 v[120:121], -v[102:103], v[118:119], 1.0
	v_fmac_f64_e32 v[118:119], v[118:119], v[120:121]
	v_div_scale_f64 v[120:121], vcc, 1.0, v[100:101], 1.0
	v_mul_f64 v[122:123], v[120:121], v[118:119]
	v_fma_f64 v[102:103], -v[102:103], v[122:123], v[120:121]
	s_nop 1
	v_div_fmas_f64 v[102:103], v[102:103], v[118:119], v[122:123]
	v_div_fixup_f64 v[100:101], v[102:103], v[100:101], 1.0
	v_mul_f64 v[102:103], v[116:117], -v[100:101]
.LBB48_282:
	s_or_b64 exec, exec, s[16:17]
.LBB48_283:
	s_or_b64 exec, exec, s[0:1]
	v_cmp_ne_u32_e32 vcc, v113, v110
	s_and_saveexec_b64 s[0:1], vcc
	s_xor_b64 s[0:1], exec, s[0:1]
	s_cbranch_execz .LBB48_289
; %bb.284:
	v_cmp_eq_u32_e32 vcc, 13, v113
	s_and_saveexec_b64 s[16:17], vcc
	s_cbranch_execz .LBB48_288
; %bb.285:
	v_cmp_ne_u32_e32 vcc, 13, v110
	s_xor_b64 s[18:19], s[14:15], -1
	s_and_b64 s[22:23], s[18:19], vcc
	s_and_saveexec_b64 s[18:19], s[22:23]
	s_cbranch_execz .LBB48_287
; %bb.286:
	v_ashrrev_i32_e32 v111, 31, v110
	v_lshl_add_u64 v[116:117], v[110:111], 2, v[108:109]
	global_load_dword v111, v[116:117], off
	global_load_dword v113, v[108:109], off offset:52
	s_waitcnt vmcnt(1)
	global_store_dword v[108:109], v111, off offset:52
	s_waitcnt vmcnt(1)
	global_store_dword v[116:117], v113, off
.LBB48_287:
	s_or_b64 exec, exec, s[18:19]
	v_mov_b32_e32 v113, v110
	v_mov_b32_e32 v114, v110
.LBB48_288:
	s_or_b64 exec, exec, s[16:17]
.LBB48_289:
	s_andn2_saveexec_b64 s[0:1], s[0:1]
	s_cbranch_execz .LBB48_291
; %bb.290:
	v_mov_b32_e32 v113, 13
	s_waitcnt vmcnt(10)
	ds_write2_b64 v112, v[36:37], v[38:39] offset0:28 offset1:29
	s_waitcnt vmcnt(9)
	ds_write2_b64 v112, v[32:33], v[34:35] offset0:30 offset1:31
	;; [unrolled: 2-line block ×11, first 2 shown]
.LBB48_291:
	s_or_b64 exec, exec, s[0:1]
	v_cmp_lt_i32_e32 vcc, 13, v113
	s_waitcnt lgkmcnt(0)
	s_barrier
	s_and_saveexec_b64 s[0:1], vcc
	s_cbranch_execz .LBB48_293
; %bb.292:
	ds_read2_b64 v[116:119], v112 offset0:28 offset1:29
	v_mul_f64 v[110:111], v[100:101], v[42:43]
	v_fmac_f64_e32 v[110:111], v[102:103], v[40:41]
	v_mul_f64 v[42:43], v[102:103], v[42:43]
	v_fma_f64 v[40:41], v[100:101], v[40:41], -v[42:43]
	ds_read2_b64 v[100:103], v112 offset0:30 offset1:31
	s_waitcnt lgkmcnt(1)
	v_mul_f64 v[42:43], v[118:119], v[110:111]
	v_fma_f64 v[42:43], v[116:117], v[40:41], -v[42:43]
	v_mul_f64 v[116:117], v[116:117], v[110:111]
	v_fmac_f64_e32 v[116:117], v[118:119], v[40:41]
	s_waitcnt vmcnt(10)
	v_add_f64 v[38:39], v[38:39], -v[116:117]
	ds_read2_b64 v[116:119], v112 offset0:32 offset1:33
	v_add_f64 v[36:37], v[36:37], -v[42:43]
	s_waitcnt lgkmcnt(1)
	v_mul_f64 v[42:43], v[102:103], v[110:111]
	v_fma_f64 v[42:43], v[100:101], v[40:41], -v[42:43]
	v_mul_f64 v[100:101], v[100:101], v[110:111]
	v_fmac_f64_e32 v[100:101], v[102:103], v[40:41]
	s_waitcnt vmcnt(9)
	v_add_f64 v[32:33], v[32:33], -v[42:43]
	v_add_f64 v[34:35], v[34:35], -v[100:101]
	ds_read2_b64 v[100:103], v112 offset0:34 offset1:35
	s_waitcnt lgkmcnt(1)
	v_mul_f64 v[42:43], v[118:119], v[110:111]
	v_fma_f64 v[42:43], v[116:117], v[40:41], -v[42:43]
	v_mul_f64 v[116:117], v[116:117], v[110:111]
	v_fmac_f64_e32 v[116:117], v[118:119], v[40:41]
	s_waitcnt vmcnt(8)
	v_add_f64 v[26:27], v[26:27], -v[116:117]
	ds_read2_b64 v[116:119], v112 offset0:36 offset1:37
	v_add_f64 v[24:25], v[24:25], -v[42:43]
	s_waitcnt lgkmcnt(1)
	v_mul_f64 v[42:43], v[102:103], v[110:111]
	v_fma_f64 v[42:43], v[100:101], v[40:41], -v[42:43]
	v_mul_f64 v[100:101], v[100:101], v[110:111]
	v_fmac_f64_e32 v[100:101], v[102:103], v[40:41]
	s_waitcnt vmcnt(7)
	v_add_f64 v[28:29], v[28:29], -v[42:43]
	v_add_f64 v[30:31], v[30:31], -v[100:101]
	;; [unrolled: 18-line block ×5, first 2 shown]
	s_waitcnt lgkmcnt(0)
	v_mul_f64 v[42:43], v[118:119], v[110:111]
	v_mul_f64 v[100:101], v[116:117], v[110:111]
	v_fma_f64 v[42:43], v[116:117], v[40:41], -v[42:43]
	v_fmac_f64_e32 v[100:101], v[118:119], v[40:41]
	s_waitcnt vmcnt(0)
	v_add_f64 v[96:97], v[96:97], -v[42:43]
	v_add_f64 v[98:99], v[98:99], -v[100:101]
	v_mov_b64_e32 v[42:43], v[110:111]
.LBB48_293:
	s_or_b64 exec, exec, s[0:1]
	v_lshl_add_u32 v100, v113, 4, v112
	s_barrier
	s_waitcnt vmcnt(10)
	ds_write2_b64 v100, v[36:37], v[38:39] offset1:1
	s_waitcnt lgkmcnt(0)
	s_barrier
	ds_read2_b64 v[100:103], v112 offset0:28 offset1:29
	s_cmp_lt_i32 s20, 16
	v_mov_b32_e32 v110, 14
	s_cbranch_scc1 .LBB48_296
; %bb.294:
	v_add_u32_e32 v111, 0xf0, v112
	s_mov_b32 s16, 15
	v_mov_b32_e32 v110, 14
.LBB48_295:                             ; =>This Inner Loop Header: Depth=1
	ds_read2_b64 v[116:119], v111 offset1:1
	s_waitcnt lgkmcnt(1)
	v_xor_b32_e32 v121, 0x80000000, v101
	v_xor_b32_e32 v123, 0x80000000, v103
	v_cmp_gt_f64_e32 vcc, 0, v[102:103]
	v_cmp_gt_f64_e64 s[0:1], 0, v[100:101]
	v_mov_b32_e32 v120, v100
	v_mov_b32_e32 v122, v102
	v_cndmask_b32_e64 v121, v101, v121, s[0:1]
	v_cndmask_b32_e32 v123, v103, v123, vcc
	v_add_f64 v[120:121], v[120:121], v[122:123]
	s_waitcnt lgkmcnt(0)
	v_xor_b32_e32 v123, 0x80000000, v117
	v_xor_b32_e32 v125, 0x80000000, v119
	v_cmp_gt_f64_e32 vcc, 0, v[118:119]
	v_cmp_gt_f64_e64 s[0:1], 0, v[116:117]
	v_mov_b32_e32 v122, v116
	v_mov_b32_e32 v124, v118
	v_cndmask_b32_e64 v123, v117, v123, s[0:1]
	v_cndmask_b32_e32 v125, v119, v125, vcc
	v_add_f64 v[122:123], v[122:123], v[124:125]
	v_mov_b32_e32 v126, s16
	s_add_i32 s16, s16, 1
	v_cmp_lt_f64_e32 vcc, v[120:121], v[122:123]
	v_add_u32_e32 v111, 16, v111
	s_cmp_lg_u32 s20, s16
	v_cndmask_b32_e32 v101, v101, v117, vcc
	v_cndmask_b32_e32 v100, v100, v116, vcc
	;; [unrolled: 1-line block ×5, first 2 shown]
	s_cbranch_scc1 .LBB48_295
.LBB48_296:
	s_waitcnt lgkmcnt(0)
	v_cmp_eq_f64_e32 vcc, 0, v[100:101]
	v_cmp_eq_f64_e64 s[0:1], 0, v[102:103]
	s_and_b64 s[0:1], vcc, s[0:1]
	s_and_saveexec_b64 s[16:17], s[0:1]
	s_xor_b64 s[0:1], exec, s[16:17]
; %bb.297:
	v_cmp_ne_u32_e32 vcc, 0, v115
	s_nop 1
	v_cndmask_b32_e32 v115, 15, v115, vcc
; %bb.298:
	s_andn2_saveexec_b64 s[0:1], s[0:1]
	s_cbranch_execz .LBB48_304
; %bb.299:
	v_cmp_ngt_f64_e64 s[16:17], |v[100:101]|, |v[102:103]|
	s_and_saveexec_b64 s[18:19], s[16:17]
	s_xor_b64 s[16:17], exec, s[18:19]
	s_cbranch_execz .LBB48_301
; %bb.300:
	v_div_scale_f64 v[116:117], s[18:19], v[102:103], v[102:103], v[100:101]
	v_rcp_f64_e32 v[118:119], v[116:117]
	v_div_scale_f64 v[120:121], vcc, v[100:101], v[102:103], v[100:101]
	v_fma_f64 v[122:123], -v[116:117], v[118:119], 1.0
	v_fmac_f64_e32 v[118:119], v[118:119], v[122:123]
	v_fma_f64 v[122:123], -v[116:117], v[118:119], 1.0
	v_fmac_f64_e32 v[118:119], v[118:119], v[122:123]
	v_mul_f64 v[122:123], v[120:121], v[118:119]
	v_fma_f64 v[116:117], -v[116:117], v[122:123], v[120:121]
	v_div_fmas_f64 v[116:117], v[116:117], v[118:119], v[122:123]
	v_div_fixup_f64 v[116:117], v[116:117], v[102:103], v[100:101]
	v_fmac_f64_e32 v[102:103], v[100:101], v[116:117]
	v_div_scale_f64 v[100:101], s[18:19], v[102:103], v[102:103], 1.0
	v_rcp_f64_e32 v[118:119], v[100:101]
	s_nop 0
	v_fma_f64 v[120:121], -v[100:101], v[118:119], 1.0
	v_fmac_f64_e32 v[118:119], v[118:119], v[120:121]
	v_fma_f64 v[120:121], -v[100:101], v[118:119], 1.0
	v_fmac_f64_e32 v[118:119], v[118:119], v[120:121]
	v_div_scale_f64 v[120:121], vcc, 1.0, v[102:103], 1.0
	v_mul_f64 v[122:123], v[120:121], v[118:119]
	v_fma_f64 v[100:101], -v[100:101], v[122:123], v[120:121]
	s_nop 1
	v_div_fmas_f64 v[100:101], v[100:101], v[118:119], v[122:123]
	v_div_fixup_f64 v[102:103], v[100:101], v[102:103], 1.0
	v_mul_f64 v[100:101], v[116:117], v[102:103]
	v_xor_b32_e32 v103, 0x80000000, v103
.LBB48_301:
	s_andn2_saveexec_b64 s[16:17], s[16:17]
	s_cbranch_execz .LBB48_303
; %bb.302:
	v_div_scale_f64 v[116:117], s[18:19], v[100:101], v[100:101], v[102:103]
	v_rcp_f64_e32 v[118:119], v[116:117]
	v_div_scale_f64 v[120:121], vcc, v[102:103], v[100:101], v[102:103]
	v_fma_f64 v[122:123], -v[116:117], v[118:119], 1.0
	v_fmac_f64_e32 v[118:119], v[118:119], v[122:123]
	v_fma_f64 v[122:123], -v[116:117], v[118:119], 1.0
	v_fmac_f64_e32 v[118:119], v[118:119], v[122:123]
	v_mul_f64 v[122:123], v[120:121], v[118:119]
	v_fma_f64 v[116:117], -v[116:117], v[122:123], v[120:121]
	v_div_fmas_f64 v[116:117], v[116:117], v[118:119], v[122:123]
	v_div_fixup_f64 v[116:117], v[116:117], v[100:101], v[102:103]
	v_fmac_f64_e32 v[100:101], v[102:103], v[116:117]
	v_div_scale_f64 v[102:103], s[18:19], v[100:101], v[100:101], 1.0
	v_rcp_f64_e32 v[118:119], v[102:103]
	s_nop 0
	v_fma_f64 v[120:121], -v[102:103], v[118:119], 1.0
	v_fmac_f64_e32 v[118:119], v[118:119], v[120:121]
	v_fma_f64 v[120:121], -v[102:103], v[118:119], 1.0
	v_fmac_f64_e32 v[118:119], v[118:119], v[120:121]
	v_div_scale_f64 v[120:121], vcc, 1.0, v[100:101], 1.0
	v_mul_f64 v[122:123], v[120:121], v[118:119]
	v_fma_f64 v[102:103], -v[102:103], v[122:123], v[120:121]
	s_nop 1
	v_div_fmas_f64 v[102:103], v[102:103], v[118:119], v[122:123]
	v_div_fixup_f64 v[100:101], v[102:103], v[100:101], 1.0
	v_mul_f64 v[102:103], v[116:117], -v[100:101]
.LBB48_303:
	s_or_b64 exec, exec, s[16:17]
.LBB48_304:
	s_or_b64 exec, exec, s[0:1]
	v_cmp_ne_u32_e32 vcc, v113, v110
	s_and_saveexec_b64 s[0:1], vcc
	s_xor_b64 s[0:1], exec, s[0:1]
	s_cbranch_execz .LBB48_310
; %bb.305:
	v_cmp_eq_u32_e32 vcc, 14, v113
	s_and_saveexec_b64 s[16:17], vcc
	s_cbranch_execz .LBB48_309
; %bb.306:
	v_cmp_ne_u32_e32 vcc, 14, v110
	s_xor_b64 s[18:19], s[14:15], -1
	s_and_b64 s[22:23], s[18:19], vcc
	s_and_saveexec_b64 s[18:19], s[22:23]
	s_cbranch_execz .LBB48_308
; %bb.307:
	v_ashrrev_i32_e32 v111, 31, v110
	v_lshl_add_u64 v[116:117], v[110:111], 2, v[108:109]
	global_load_dword v111, v[116:117], off
	global_load_dword v113, v[108:109], off offset:56
	s_waitcnt vmcnt(1)
	global_store_dword v[108:109], v111, off offset:56
	s_waitcnt vmcnt(1)
	global_store_dword v[116:117], v113, off
.LBB48_308:
	s_or_b64 exec, exec, s[18:19]
	v_mov_b32_e32 v113, v110
	v_mov_b32_e32 v114, v110
.LBB48_309:
	s_or_b64 exec, exec, s[16:17]
.LBB48_310:
	s_andn2_saveexec_b64 s[0:1], s[0:1]
	s_cbranch_execz .LBB48_312
; %bb.311:
	v_mov_b32_e32 v113, 14
	s_waitcnt vmcnt(9)
	ds_write2_b64 v112, v[32:33], v[34:35] offset0:30 offset1:31
	s_waitcnt vmcnt(8)
	ds_write2_b64 v112, v[24:25], v[26:27] offset0:32 offset1:33
	;; [unrolled: 2-line block ×10, first 2 shown]
.LBB48_312:
	s_or_b64 exec, exec, s[0:1]
	v_cmp_lt_i32_e32 vcc, 14, v113
	s_waitcnt lgkmcnt(0)
	s_barrier
	s_and_saveexec_b64 s[0:1], vcc
	s_cbranch_execz .LBB48_314
; %bb.313:
	ds_read2_b64 v[116:119], v112 offset0:30 offset1:31
	v_mul_f64 v[110:111], v[100:101], v[38:39]
	v_mul_f64 v[38:39], v[102:103], v[38:39]
	v_fmac_f64_e32 v[110:111], v[102:103], v[36:37]
	v_fma_f64 v[36:37], v[100:101], v[36:37], -v[38:39]
	ds_read2_b64 v[100:103], v112 offset0:32 offset1:33
	s_waitcnt lgkmcnt(1)
	v_mul_f64 v[38:39], v[118:119], v[110:111]
	v_fma_f64 v[38:39], v[116:117], v[36:37], -v[38:39]
	v_mul_f64 v[116:117], v[116:117], v[110:111]
	v_fmac_f64_e32 v[116:117], v[118:119], v[36:37]
	s_waitcnt vmcnt(9)
	v_add_f64 v[32:33], v[32:33], -v[38:39]
	s_waitcnt lgkmcnt(0)
	v_mul_f64 v[38:39], v[102:103], v[110:111]
	v_add_f64 v[34:35], v[34:35], -v[116:117]
	v_fma_f64 v[38:39], v[100:101], v[36:37], -v[38:39]
	v_mul_f64 v[100:101], v[100:101], v[110:111]
	ds_read2_b64 v[116:119], v112 offset0:34 offset1:35
	v_fmac_f64_e32 v[100:101], v[102:103], v[36:37]
	s_waitcnt vmcnt(8)
	v_add_f64 v[26:27], v[26:27], -v[100:101]
	ds_read2_b64 v[100:103], v112 offset0:36 offset1:37
	v_add_f64 v[24:25], v[24:25], -v[38:39]
	s_waitcnt lgkmcnt(1)
	v_mul_f64 v[38:39], v[118:119], v[110:111]
	v_fma_f64 v[38:39], v[116:117], v[36:37], -v[38:39]
	v_mul_f64 v[116:117], v[116:117], v[110:111]
	v_fmac_f64_e32 v[116:117], v[118:119], v[36:37]
	s_waitcnt vmcnt(7)
	v_add_f64 v[28:29], v[28:29], -v[38:39]
	s_waitcnt lgkmcnt(0)
	v_mul_f64 v[38:39], v[102:103], v[110:111]
	v_add_f64 v[30:31], v[30:31], -v[116:117]
	v_fma_f64 v[38:39], v[100:101], v[36:37], -v[38:39]
	v_mul_f64 v[100:101], v[100:101], v[110:111]
	ds_read2_b64 v[116:119], v112 offset0:38 offset1:39
	v_fmac_f64_e32 v[100:101], v[102:103], v[36:37]
	s_waitcnt vmcnt(6)
	v_add_f64 v[22:23], v[22:23], -v[100:101]
	ds_read2_b64 v[100:103], v112 offset0:40 offset1:41
	v_add_f64 v[20:21], v[20:21], -v[38:39]
	;; [unrolled: 18-line block ×4, first 2 shown]
	s_waitcnt lgkmcnt(1)
	v_mul_f64 v[38:39], v[118:119], v[110:111]
	v_fma_f64 v[38:39], v[116:117], v[36:37], -v[38:39]
	s_waitcnt vmcnt(1)
	v_add_f64 v[0:1], v[0:1], -v[38:39]
	s_waitcnt lgkmcnt(0)
	v_mul_f64 v[38:39], v[102:103], v[110:111]
	v_mul_f64 v[116:117], v[116:117], v[110:111]
	v_fma_f64 v[38:39], v[100:101], v[36:37], -v[38:39]
	v_mul_f64 v[100:101], v[100:101], v[110:111]
	v_fmac_f64_e32 v[116:117], v[118:119], v[36:37]
	v_fmac_f64_e32 v[100:101], v[102:103], v[36:37]
	v_add_f64 v[2:3], v[2:3], -v[116:117]
	s_waitcnt vmcnt(0)
	v_add_f64 v[96:97], v[96:97], -v[38:39]
	v_add_f64 v[98:99], v[98:99], -v[100:101]
	v_mov_b64_e32 v[38:39], v[110:111]
.LBB48_314:
	s_or_b64 exec, exec, s[0:1]
	v_lshl_add_u32 v100, v113, 4, v112
	s_barrier
	s_waitcnt vmcnt(9)
	ds_write2_b64 v100, v[32:33], v[34:35] offset1:1
	s_waitcnt lgkmcnt(0)
	s_barrier
	ds_read2_b64 v[100:103], v112 offset0:30 offset1:31
	s_cmp_lt_i32 s20, 17
	v_mov_b32_e32 v110, 15
	s_cbranch_scc1 .LBB48_317
; %bb.315:
	v_add_u32_e32 v111, 0x100, v112
	s_mov_b32 s16, 16
	v_mov_b32_e32 v110, 15
.LBB48_316:                             ; =>This Inner Loop Header: Depth=1
	ds_read2_b64 v[116:119], v111 offset1:1
	s_waitcnt lgkmcnt(1)
	v_xor_b32_e32 v121, 0x80000000, v101
	v_xor_b32_e32 v123, 0x80000000, v103
	v_cmp_gt_f64_e32 vcc, 0, v[102:103]
	v_cmp_gt_f64_e64 s[0:1], 0, v[100:101]
	v_mov_b32_e32 v120, v100
	v_mov_b32_e32 v122, v102
	v_cndmask_b32_e64 v121, v101, v121, s[0:1]
	v_cndmask_b32_e32 v123, v103, v123, vcc
	v_add_f64 v[120:121], v[120:121], v[122:123]
	s_waitcnt lgkmcnt(0)
	v_xor_b32_e32 v123, 0x80000000, v117
	v_xor_b32_e32 v125, 0x80000000, v119
	v_cmp_gt_f64_e32 vcc, 0, v[118:119]
	v_cmp_gt_f64_e64 s[0:1], 0, v[116:117]
	v_mov_b32_e32 v122, v116
	v_mov_b32_e32 v124, v118
	v_cndmask_b32_e64 v123, v117, v123, s[0:1]
	v_cndmask_b32_e32 v125, v119, v125, vcc
	v_add_f64 v[122:123], v[122:123], v[124:125]
	v_mov_b32_e32 v126, s16
	s_add_i32 s16, s16, 1
	v_cmp_lt_f64_e32 vcc, v[120:121], v[122:123]
	v_add_u32_e32 v111, 16, v111
	s_cmp_lg_u32 s20, s16
	v_cndmask_b32_e32 v101, v101, v117, vcc
	v_cndmask_b32_e32 v100, v100, v116, vcc
	;; [unrolled: 1-line block ×5, first 2 shown]
	s_cbranch_scc1 .LBB48_316
.LBB48_317:
	s_waitcnt lgkmcnt(0)
	v_cmp_eq_f64_e32 vcc, 0, v[100:101]
	v_cmp_eq_f64_e64 s[0:1], 0, v[102:103]
	s_and_b64 s[0:1], vcc, s[0:1]
	s_and_saveexec_b64 s[16:17], s[0:1]
	s_xor_b64 s[0:1], exec, s[16:17]
; %bb.318:
	v_cmp_ne_u32_e32 vcc, 0, v115
	s_nop 1
	v_cndmask_b32_e32 v115, 16, v115, vcc
; %bb.319:
	s_andn2_saveexec_b64 s[0:1], s[0:1]
	s_cbranch_execz .LBB48_325
; %bb.320:
	v_cmp_ngt_f64_e64 s[16:17], |v[100:101]|, |v[102:103]|
	s_and_saveexec_b64 s[18:19], s[16:17]
	s_xor_b64 s[16:17], exec, s[18:19]
	s_cbranch_execz .LBB48_322
; %bb.321:
	v_div_scale_f64 v[116:117], s[18:19], v[102:103], v[102:103], v[100:101]
	v_rcp_f64_e32 v[118:119], v[116:117]
	v_div_scale_f64 v[120:121], vcc, v[100:101], v[102:103], v[100:101]
	v_fma_f64 v[122:123], -v[116:117], v[118:119], 1.0
	v_fmac_f64_e32 v[118:119], v[118:119], v[122:123]
	v_fma_f64 v[122:123], -v[116:117], v[118:119], 1.0
	v_fmac_f64_e32 v[118:119], v[118:119], v[122:123]
	v_mul_f64 v[122:123], v[120:121], v[118:119]
	v_fma_f64 v[116:117], -v[116:117], v[122:123], v[120:121]
	v_div_fmas_f64 v[116:117], v[116:117], v[118:119], v[122:123]
	v_div_fixup_f64 v[116:117], v[116:117], v[102:103], v[100:101]
	v_fmac_f64_e32 v[102:103], v[100:101], v[116:117]
	v_div_scale_f64 v[100:101], s[18:19], v[102:103], v[102:103], 1.0
	v_rcp_f64_e32 v[118:119], v[100:101]
	s_nop 0
	v_fma_f64 v[120:121], -v[100:101], v[118:119], 1.0
	v_fmac_f64_e32 v[118:119], v[118:119], v[120:121]
	v_fma_f64 v[120:121], -v[100:101], v[118:119], 1.0
	v_fmac_f64_e32 v[118:119], v[118:119], v[120:121]
	v_div_scale_f64 v[120:121], vcc, 1.0, v[102:103], 1.0
	v_mul_f64 v[122:123], v[120:121], v[118:119]
	v_fma_f64 v[100:101], -v[100:101], v[122:123], v[120:121]
	s_nop 1
	v_div_fmas_f64 v[100:101], v[100:101], v[118:119], v[122:123]
	v_div_fixup_f64 v[102:103], v[100:101], v[102:103], 1.0
	v_mul_f64 v[100:101], v[116:117], v[102:103]
	v_xor_b32_e32 v103, 0x80000000, v103
.LBB48_322:
	s_andn2_saveexec_b64 s[16:17], s[16:17]
	s_cbranch_execz .LBB48_324
; %bb.323:
	v_div_scale_f64 v[116:117], s[18:19], v[100:101], v[100:101], v[102:103]
	v_rcp_f64_e32 v[118:119], v[116:117]
	v_div_scale_f64 v[120:121], vcc, v[102:103], v[100:101], v[102:103]
	v_fma_f64 v[122:123], -v[116:117], v[118:119], 1.0
	v_fmac_f64_e32 v[118:119], v[118:119], v[122:123]
	v_fma_f64 v[122:123], -v[116:117], v[118:119], 1.0
	v_fmac_f64_e32 v[118:119], v[118:119], v[122:123]
	v_mul_f64 v[122:123], v[120:121], v[118:119]
	v_fma_f64 v[116:117], -v[116:117], v[122:123], v[120:121]
	v_div_fmas_f64 v[116:117], v[116:117], v[118:119], v[122:123]
	v_div_fixup_f64 v[116:117], v[116:117], v[100:101], v[102:103]
	v_fmac_f64_e32 v[100:101], v[102:103], v[116:117]
	v_div_scale_f64 v[102:103], s[18:19], v[100:101], v[100:101], 1.0
	v_rcp_f64_e32 v[118:119], v[102:103]
	s_nop 0
	v_fma_f64 v[120:121], -v[102:103], v[118:119], 1.0
	v_fmac_f64_e32 v[118:119], v[118:119], v[120:121]
	v_fma_f64 v[120:121], -v[102:103], v[118:119], 1.0
	v_fmac_f64_e32 v[118:119], v[118:119], v[120:121]
	v_div_scale_f64 v[120:121], vcc, 1.0, v[100:101], 1.0
	v_mul_f64 v[122:123], v[120:121], v[118:119]
	v_fma_f64 v[102:103], -v[102:103], v[122:123], v[120:121]
	s_nop 1
	v_div_fmas_f64 v[102:103], v[102:103], v[118:119], v[122:123]
	v_div_fixup_f64 v[100:101], v[102:103], v[100:101], 1.0
	v_mul_f64 v[102:103], v[116:117], -v[100:101]
.LBB48_324:
	s_or_b64 exec, exec, s[16:17]
.LBB48_325:
	s_or_b64 exec, exec, s[0:1]
	v_cmp_ne_u32_e32 vcc, v113, v110
	s_and_saveexec_b64 s[0:1], vcc
	s_xor_b64 s[0:1], exec, s[0:1]
	s_cbranch_execz .LBB48_331
; %bb.326:
	v_cmp_eq_u32_e32 vcc, 15, v113
	s_and_saveexec_b64 s[16:17], vcc
	s_cbranch_execz .LBB48_330
; %bb.327:
	v_cmp_ne_u32_e32 vcc, 15, v110
	s_xor_b64 s[18:19], s[14:15], -1
	s_and_b64 s[22:23], s[18:19], vcc
	s_and_saveexec_b64 s[18:19], s[22:23]
	s_cbranch_execz .LBB48_329
; %bb.328:
	v_ashrrev_i32_e32 v111, 31, v110
	v_lshl_add_u64 v[116:117], v[110:111], 2, v[108:109]
	global_load_dword v111, v[116:117], off
	global_load_dword v113, v[108:109], off offset:60
	s_waitcnt vmcnt(1)
	global_store_dword v[108:109], v111, off offset:60
	s_waitcnt vmcnt(1)
	global_store_dword v[116:117], v113, off
.LBB48_329:
	s_or_b64 exec, exec, s[18:19]
	v_mov_b32_e32 v113, v110
	v_mov_b32_e32 v114, v110
.LBB48_330:
	s_or_b64 exec, exec, s[16:17]
.LBB48_331:
	s_andn2_saveexec_b64 s[0:1], s[0:1]
	s_cbranch_execz .LBB48_333
; %bb.332:
	v_mov_b32_e32 v113, 15
	s_waitcnt vmcnt(8)
	ds_write2_b64 v112, v[24:25], v[26:27] offset0:32 offset1:33
	s_waitcnt vmcnt(7)
	ds_write2_b64 v112, v[28:29], v[30:31] offset0:34 offset1:35
	;; [unrolled: 2-line block ×9, first 2 shown]
.LBB48_333:
	s_or_b64 exec, exec, s[0:1]
	v_cmp_lt_i32_e32 vcc, 15, v113
	s_waitcnt lgkmcnt(0)
	s_barrier
	s_and_saveexec_b64 s[0:1], vcc
	s_cbranch_execz .LBB48_335
; %bb.334:
	ds_read2_b64 v[116:119], v112 offset0:32 offset1:33
	v_mul_f64 v[110:111], v[100:101], v[34:35]
	v_fmac_f64_e32 v[110:111], v[102:103], v[32:33]
	v_mul_f64 v[34:35], v[102:103], v[34:35]
	v_fma_f64 v[32:33], v[100:101], v[32:33], -v[34:35]
	ds_read2_b64 v[100:103], v112 offset0:34 offset1:35
	s_waitcnt lgkmcnt(1)
	v_mul_f64 v[34:35], v[118:119], v[110:111]
	v_fma_f64 v[34:35], v[116:117], v[32:33], -v[34:35]
	v_mul_f64 v[116:117], v[116:117], v[110:111]
	v_fmac_f64_e32 v[116:117], v[118:119], v[32:33]
	s_waitcnt vmcnt(8)
	v_add_f64 v[26:27], v[26:27], -v[116:117]
	ds_read2_b64 v[116:119], v112 offset0:36 offset1:37
	v_add_f64 v[24:25], v[24:25], -v[34:35]
	s_waitcnt lgkmcnt(1)
	v_mul_f64 v[34:35], v[102:103], v[110:111]
	v_fma_f64 v[34:35], v[100:101], v[32:33], -v[34:35]
	v_mul_f64 v[100:101], v[100:101], v[110:111]
	v_fmac_f64_e32 v[100:101], v[102:103], v[32:33]
	s_waitcnt vmcnt(7)
	v_add_f64 v[28:29], v[28:29], -v[34:35]
	v_add_f64 v[30:31], v[30:31], -v[100:101]
	ds_read2_b64 v[100:103], v112 offset0:38 offset1:39
	s_waitcnt lgkmcnt(1)
	v_mul_f64 v[34:35], v[118:119], v[110:111]
	v_fma_f64 v[34:35], v[116:117], v[32:33], -v[34:35]
	v_mul_f64 v[116:117], v[116:117], v[110:111]
	v_fmac_f64_e32 v[116:117], v[118:119], v[32:33]
	s_waitcnt vmcnt(6)
	v_add_f64 v[22:23], v[22:23], -v[116:117]
	ds_read2_b64 v[116:119], v112 offset0:40 offset1:41
	v_add_f64 v[20:21], v[20:21], -v[34:35]
	s_waitcnt lgkmcnt(1)
	v_mul_f64 v[34:35], v[102:103], v[110:111]
	v_fma_f64 v[34:35], v[100:101], v[32:33], -v[34:35]
	v_mul_f64 v[100:101], v[100:101], v[110:111]
	v_fmac_f64_e32 v[100:101], v[102:103], v[32:33]
	s_waitcnt vmcnt(5)
	v_add_f64 v[16:17], v[16:17], -v[34:35]
	v_add_f64 v[18:19], v[18:19], -v[100:101]
	;; [unrolled: 18-line block ×4, first 2 shown]
	s_waitcnt lgkmcnt(0)
	v_mul_f64 v[34:35], v[118:119], v[110:111]
	v_mul_f64 v[100:101], v[116:117], v[110:111]
	v_fma_f64 v[34:35], v[116:117], v[32:33], -v[34:35]
	v_fmac_f64_e32 v[100:101], v[118:119], v[32:33]
	s_waitcnt vmcnt(0)
	v_add_f64 v[96:97], v[96:97], -v[34:35]
	v_add_f64 v[98:99], v[98:99], -v[100:101]
	v_mov_b64_e32 v[34:35], v[110:111]
.LBB48_335:
	s_or_b64 exec, exec, s[0:1]
	v_lshl_add_u32 v100, v113, 4, v112
	s_barrier
	s_waitcnt vmcnt(8)
	ds_write2_b64 v100, v[24:25], v[26:27] offset1:1
	s_waitcnt lgkmcnt(0)
	s_barrier
	ds_read2_b64 v[100:103], v112 offset0:32 offset1:33
	s_cmp_lt_i32 s20, 18
	v_mov_b32_e32 v110, 16
	s_cbranch_scc1 .LBB48_338
; %bb.336:
	v_add_u32_e32 v111, 0x110, v112
	s_mov_b32 s16, 17
	v_mov_b32_e32 v110, 16
.LBB48_337:                             ; =>This Inner Loop Header: Depth=1
	ds_read2_b64 v[116:119], v111 offset1:1
	s_waitcnt lgkmcnt(1)
	v_xor_b32_e32 v121, 0x80000000, v101
	v_xor_b32_e32 v123, 0x80000000, v103
	v_cmp_gt_f64_e32 vcc, 0, v[102:103]
	v_cmp_gt_f64_e64 s[0:1], 0, v[100:101]
	v_mov_b32_e32 v120, v100
	v_mov_b32_e32 v122, v102
	v_cndmask_b32_e64 v121, v101, v121, s[0:1]
	v_cndmask_b32_e32 v123, v103, v123, vcc
	v_add_f64 v[120:121], v[120:121], v[122:123]
	s_waitcnt lgkmcnt(0)
	v_xor_b32_e32 v123, 0x80000000, v117
	v_xor_b32_e32 v125, 0x80000000, v119
	v_cmp_gt_f64_e32 vcc, 0, v[118:119]
	v_cmp_gt_f64_e64 s[0:1], 0, v[116:117]
	v_mov_b32_e32 v122, v116
	v_mov_b32_e32 v124, v118
	v_cndmask_b32_e64 v123, v117, v123, s[0:1]
	v_cndmask_b32_e32 v125, v119, v125, vcc
	v_add_f64 v[122:123], v[122:123], v[124:125]
	v_mov_b32_e32 v126, s16
	s_add_i32 s16, s16, 1
	v_cmp_lt_f64_e32 vcc, v[120:121], v[122:123]
	v_add_u32_e32 v111, 16, v111
	s_cmp_lg_u32 s20, s16
	v_cndmask_b32_e32 v101, v101, v117, vcc
	v_cndmask_b32_e32 v100, v100, v116, vcc
	;; [unrolled: 1-line block ×5, first 2 shown]
	s_cbranch_scc1 .LBB48_337
.LBB48_338:
	s_waitcnt lgkmcnt(0)
	v_cmp_eq_f64_e32 vcc, 0, v[100:101]
	v_cmp_eq_f64_e64 s[0:1], 0, v[102:103]
	s_and_b64 s[0:1], vcc, s[0:1]
	s_and_saveexec_b64 s[16:17], s[0:1]
	s_xor_b64 s[0:1], exec, s[16:17]
; %bb.339:
	v_cmp_ne_u32_e32 vcc, 0, v115
	s_nop 1
	v_cndmask_b32_e32 v115, 17, v115, vcc
; %bb.340:
	s_andn2_saveexec_b64 s[0:1], s[0:1]
	s_cbranch_execz .LBB48_346
; %bb.341:
	v_cmp_ngt_f64_e64 s[16:17], |v[100:101]|, |v[102:103]|
	s_and_saveexec_b64 s[18:19], s[16:17]
	s_xor_b64 s[16:17], exec, s[18:19]
	s_cbranch_execz .LBB48_343
; %bb.342:
	v_div_scale_f64 v[116:117], s[18:19], v[102:103], v[102:103], v[100:101]
	v_rcp_f64_e32 v[118:119], v[116:117]
	v_div_scale_f64 v[120:121], vcc, v[100:101], v[102:103], v[100:101]
	v_fma_f64 v[122:123], -v[116:117], v[118:119], 1.0
	v_fmac_f64_e32 v[118:119], v[118:119], v[122:123]
	v_fma_f64 v[122:123], -v[116:117], v[118:119], 1.0
	v_fmac_f64_e32 v[118:119], v[118:119], v[122:123]
	v_mul_f64 v[122:123], v[120:121], v[118:119]
	v_fma_f64 v[116:117], -v[116:117], v[122:123], v[120:121]
	v_div_fmas_f64 v[116:117], v[116:117], v[118:119], v[122:123]
	v_div_fixup_f64 v[116:117], v[116:117], v[102:103], v[100:101]
	v_fmac_f64_e32 v[102:103], v[100:101], v[116:117]
	v_div_scale_f64 v[100:101], s[18:19], v[102:103], v[102:103], 1.0
	v_rcp_f64_e32 v[118:119], v[100:101]
	s_nop 0
	v_fma_f64 v[120:121], -v[100:101], v[118:119], 1.0
	v_fmac_f64_e32 v[118:119], v[118:119], v[120:121]
	v_fma_f64 v[120:121], -v[100:101], v[118:119], 1.0
	v_fmac_f64_e32 v[118:119], v[118:119], v[120:121]
	v_div_scale_f64 v[120:121], vcc, 1.0, v[102:103], 1.0
	v_mul_f64 v[122:123], v[120:121], v[118:119]
	v_fma_f64 v[100:101], -v[100:101], v[122:123], v[120:121]
	s_nop 1
	v_div_fmas_f64 v[100:101], v[100:101], v[118:119], v[122:123]
	v_div_fixup_f64 v[102:103], v[100:101], v[102:103], 1.0
	v_mul_f64 v[100:101], v[116:117], v[102:103]
	v_xor_b32_e32 v103, 0x80000000, v103
.LBB48_343:
	s_andn2_saveexec_b64 s[16:17], s[16:17]
	s_cbranch_execz .LBB48_345
; %bb.344:
	v_div_scale_f64 v[116:117], s[18:19], v[100:101], v[100:101], v[102:103]
	v_rcp_f64_e32 v[118:119], v[116:117]
	v_div_scale_f64 v[120:121], vcc, v[102:103], v[100:101], v[102:103]
	v_fma_f64 v[122:123], -v[116:117], v[118:119], 1.0
	v_fmac_f64_e32 v[118:119], v[118:119], v[122:123]
	v_fma_f64 v[122:123], -v[116:117], v[118:119], 1.0
	v_fmac_f64_e32 v[118:119], v[118:119], v[122:123]
	v_mul_f64 v[122:123], v[120:121], v[118:119]
	v_fma_f64 v[116:117], -v[116:117], v[122:123], v[120:121]
	v_div_fmas_f64 v[116:117], v[116:117], v[118:119], v[122:123]
	v_div_fixup_f64 v[116:117], v[116:117], v[100:101], v[102:103]
	v_fmac_f64_e32 v[100:101], v[102:103], v[116:117]
	v_div_scale_f64 v[102:103], s[18:19], v[100:101], v[100:101], 1.0
	v_rcp_f64_e32 v[118:119], v[102:103]
	s_nop 0
	v_fma_f64 v[120:121], -v[102:103], v[118:119], 1.0
	v_fmac_f64_e32 v[118:119], v[118:119], v[120:121]
	v_fma_f64 v[120:121], -v[102:103], v[118:119], 1.0
	v_fmac_f64_e32 v[118:119], v[118:119], v[120:121]
	v_div_scale_f64 v[120:121], vcc, 1.0, v[100:101], 1.0
	v_mul_f64 v[122:123], v[120:121], v[118:119]
	v_fma_f64 v[102:103], -v[102:103], v[122:123], v[120:121]
	s_nop 1
	v_div_fmas_f64 v[102:103], v[102:103], v[118:119], v[122:123]
	v_div_fixup_f64 v[100:101], v[102:103], v[100:101], 1.0
	v_mul_f64 v[102:103], v[116:117], -v[100:101]
.LBB48_345:
	s_or_b64 exec, exec, s[16:17]
.LBB48_346:
	s_or_b64 exec, exec, s[0:1]
	v_cmp_ne_u32_e32 vcc, v113, v110
	s_and_saveexec_b64 s[0:1], vcc
	s_xor_b64 s[0:1], exec, s[0:1]
	s_cbranch_execz .LBB48_352
; %bb.347:
	v_cmp_eq_u32_e32 vcc, 16, v113
	s_and_saveexec_b64 s[16:17], vcc
	s_cbranch_execz .LBB48_351
; %bb.348:
	v_cmp_ne_u32_e32 vcc, 16, v110
	s_xor_b64 s[18:19], s[14:15], -1
	s_and_b64 s[22:23], s[18:19], vcc
	s_and_saveexec_b64 s[18:19], s[22:23]
	s_cbranch_execz .LBB48_350
; %bb.349:
	v_ashrrev_i32_e32 v111, 31, v110
	v_lshl_add_u64 v[116:117], v[110:111], 2, v[108:109]
	global_load_dword v111, v[116:117], off
	global_load_dword v113, v[108:109], off offset:64
	s_waitcnt vmcnt(1)
	global_store_dword v[108:109], v111, off offset:64
	s_waitcnt vmcnt(1)
	global_store_dword v[116:117], v113, off
.LBB48_350:
	s_or_b64 exec, exec, s[18:19]
	v_mov_b32_e32 v113, v110
	v_mov_b32_e32 v114, v110
.LBB48_351:
	s_or_b64 exec, exec, s[16:17]
.LBB48_352:
	s_andn2_saveexec_b64 s[0:1], s[0:1]
	s_cbranch_execz .LBB48_354
; %bb.353:
	v_mov_b32_e32 v113, 16
	s_waitcnt vmcnt(7)
	ds_write2_b64 v112, v[28:29], v[30:31] offset0:34 offset1:35
	s_waitcnt vmcnt(6)
	ds_write2_b64 v112, v[20:21], v[22:23] offset0:36 offset1:37
	;; [unrolled: 2-line block ×8, first 2 shown]
.LBB48_354:
	s_or_b64 exec, exec, s[0:1]
	v_cmp_lt_i32_e32 vcc, 16, v113
	s_waitcnt lgkmcnt(0)
	s_barrier
	s_and_saveexec_b64 s[0:1], vcc
	s_cbranch_execz .LBB48_356
; %bb.355:
	ds_read2_b64 v[116:119], v112 offset0:34 offset1:35
	v_mul_f64 v[110:111], v[100:101], v[26:27]
	v_mul_f64 v[26:27], v[102:103], v[26:27]
	v_fmac_f64_e32 v[110:111], v[102:103], v[24:25]
	v_fma_f64 v[24:25], v[100:101], v[24:25], -v[26:27]
	ds_read2_b64 v[100:103], v112 offset0:36 offset1:37
	s_waitcnt lgkmcnt(1)
	v_mul_f64 v[26:27], v[118:119], v[110:111]
	v_fma_f64 v[26:27], v[116:117], v[24:25], -v[26:27]
	v_mul_f64 v[116:117], v[116:117], v[110:111]
	v_fmac_f64_e32 v[116:117], v[118:119], v[24:25]
	s_waitcnt vmcnt(7)
	v_add_f64 v[28:29], v[28:29], -v[26:27]
	s_waitcnt lgkmcnt(0)
	v_mul_f64 v[26:27], v[102:103], v[110:111]
	v_add_f64 v[30:31], v[30:31], -v[116:117]
	v_fma_f64 v[26:27], v[100:101], v[24:25], -v[26:27]
	v_mul_f64 v[100:101], v[100:101], v[110:111]
	ds_read2_b64 v[116:119], v112 offset0:38 offset1:39
	v_fmac_f64_e32 v[100:101], v[102:103], v[24:25]
	s_waitcnt vmcnt(6)
	v_add_f64 v[22:23], v[22:23], -v[100:101]
	ds_read2_b64 v[100:103], v112 offset0:40 offset1:41
	v_add_f64 v[20:21], v[20:21], -v[26:27]
	s_waitcnt lgkmcnt(1)
	v_mul_f64 v[26:27], v[118:119], v[110:111]
	v_fma_f64 v[26:27], v[116:117], v[24:25], -v[26:27]
	v_mul_f64 v[116:117], v[116:117], v[110:111]
	v_fmac_f64_e32 v[116:117], v[118:119], v[24:25]
	s_waitcnt vmcnt(5)
	v_add_f64 v[16:17], v[16:17], -v[26:27]
	s_waitcnt lgkmcnt(0)
	v_mul_f64 v[26:27], v[102:103], v[110:111]
	v_add_f64 v[18:19], v[18:19], -v[116:117]
	v_fma_f64 v[26:27], v[100:101], v[24:25], -v[26:27]
	v_mul_f64 v[100:101], v[100:101], v[110:111]
	ds_read2_b64 v[116:119], v112 offset0:42 offset1:43
	v_fmac_f64_e32 v[100:101], v[102:103], v[24:25]
	s_waitcnt vmcnt(4)
	v_add_f64 v[14:15], v[14:15], -v[100:101]
	ds_read2_b64 v[100:103], v112 offset0:44 offset1:45
	v_add_f64 v[12:13], v[12:13], -v[26:27]
	s_waitcnt lgkmcnt(1)
	v_mul_f64 v[26:27], v[118:119], v[110:111]
	v_fma_f64 v[26:27], v[116:117], v[24:25], -v[26:27]
	v_mul_f64 v[116:117], v[116:117], v[110:111]
	v_fmac_f64_e32 v[116:117], v[118:119], v[24:25]
	s_waitcnt vmcnt(3)
	v_add_f64 v[8:9], v[8:9], -v[26:27]
	s_waitcnt lgkmcnt(0)
	v_mul_f64 v[26:27], v[102:103], v[110:111]
	v_add_f64 v[10:11], v[10:11], -v[116:117]
	v_fma_f64 v[26:27], v[100:101], v[24:25], -v[26:27]
	v_mul_f64 v[100:101], v[100:101], v[110:111]
	ds_read2_b64 v[116:119], v112 offset0:46 offset1:47
	v_fmac_f64_e32 v[100:101], v[102:103], v[24:25]
	s_waitcnt vmcnt(2)
	v_add_f64 v[6:7], v[6:7], -v[100:101]
	ds_read2_b64 v[100:103], v112 offset0:48 offset1:49
	v_add_f64 v[4:5], v[4:5], -v[26:27]
	s_waitcnt lgkmcnt(1)
	v_mul_f64 v[26:27], v[118:119], v[110:111]
	v_fma_f64 v[26:27], v[116:117], v[24:25], -v[26:27]
	s_waitcnt vmcnt(1)
	v_add_f64 v[0:1], v[0:1], -v[26:27]
	s_waitcnt lgkmcnt(0)
	v_mul_f64 v[26:27], v[102:103], v[110:111]
	v_mul_f64 v[116:117], v[116:117], v[110:111]
	v_fma_f64 v[26:27], v[100:101], v[24:25], -v[26:27]
	v_mul_f64 v[100:101], v[100:101], v[110:111]
	v_fmac_f64_e32 v[116:117], v[118:119], v[24:25]
	v_fmac_f64_e32 v[100:101], v[102:103], v[24:25]
	v_add_f64 v[2:3], v[2:3], -v[116:117]
	s_waitcnt vmcnt(0)
	v_add_f64 v[96:97], v[96:97], -v[26:27]
	v_add_f64 v[98:99], v[98:99], -v[100:101]
	v_mov_b64_e32 v[26:27], v[110:111]
.LBB48_356:
	s_or_b64 exec, exec, s[0:1]
	v_lshl_add_u32 v100, v113, 4, v112
	s_barrier
	s_waitcnt vmcnt(7)
	ds_write2_b64 v100, v[28:29], v[30:31] offset1:1
	s_waitcnt lgkmcnt(0)
	s_barrier
	ds_read2_b64 v[100:103], v112 offset0:34 offset1:35
	s_cmp_lt_i32 s20, 19
	v_mov_b32_e32 v110, 17
	s_cbranch_scc1 .LBB48_359
; %bb.357:
	v_add_u32_e32 v111, 0x120, v112
	s_mov_b32 s16, 18
	v_mov_b32_e32 v110, 17
.LBB48_358:                             ; =>This Inner Loop Header: Depth=1
	ds_read2_b64 v[116:119], v111 offset1:1
	s_waitcnt lgkmcnt(1)
	v_xor_b32_e32 v121, 0x80000000, v101
	v_xor_b32_e32 v123, 0x80000000, v103
	v_cmp_gt_f64_e32 vcc, 0, v[102:103]
	v_cmp_gt_f64_e64 s[0:1], 0, v[100:101]
	v_mov_b32_e32 v120, v100
	v_mov_b32_e32 v122, v102
	v_cndmask_b32_e64 v121, v101, v121, s[0:1]
	v_cndmask_b32_e32 v123, v103, v123, vcc
	v_add_f64 v[120:121], v[120:121], v[122:123]
	s_waitcnt lgkmcnt(0)
	v_xor_b32_e32 v123, 0x80000000, v117
	v_xor_b32_e32 v125, 0x80000000, v119
	v_cmp_gt_f64_e32 vcc, 0, v[118:119]
	v_cmp_gt_f64_e64 s[0:1], 0, v[116:117]
	v_mov_b32_e32 v122, v116
	v_mov_b32_e32 v124, v118
	v_cndmask_b32_e64 v123, v117, v123, s[0:1]
	v_cndmask_b32_e32 v125, v119, v125, vcc
	v_add_f64 v[122:123], v[122:123], v[124:125]
	v_mov_b32_e32 v126, s16
	s_add_i32 s16, s16, 1
	v_cmp_lt_f64_e32 vcc, v[120:121], v[122:123]
	v_add_u32_e32 v111, 16, v111
	s_cmp_lg_u32 s20, s16
	v_cndmask_b32_e32 v101, v101, v117, vcc
	v_cndmask_b32_e32 v100, v100, v116, vcc
	;; [unrolled: 1-line block ×5, first 2 shown]
	s_cbranch_scc1 .LBB48_358
.LBB48_359:
	s_waitcnt lgkmcnt(0)
	v_cmp_eq_f64_e32 vcc, 0, v[100:101]
	v_cmp_eq_f64_e64 s[0:1], 0, v[102:103]
	s_and_b64 s[0:1], vcc, s[0:1]
	s_and_saveexec_b64 s[16:17], s[0:1]
	s_xor_b64 s[0:1], exec, s[16:17]
; %bb.360:
	v_cmp_ne_u32_e32 vcc, 0, v115
	s_nop 1
	v_cndmask_b32_e32 v115, 18, v115, vcc
; %bb.361:
	s_andn2_saveexec_b64 s[0:1], s[0:1]
	s_cbranch_execz .LBB48_367
; %bb.362:
	v_cmp_ngt_f64_e64 s[16:17], |v[100:101]|, |v[102:103]|
	s_and_saveexec_b64 s[18:19], s[16:17]
	s_xor_b64 s[16:17], exec, s[18:19]
	s_cbranch_execz .LBB48_364
; %bb.363:
	v_div_scale_f64 v[116:117], s[18:19], v[102:103], v[102:103], v[100:101]
	v_rcp_f64_e32 v[118:119], v[116:117]
	v_div_scale_f64 v[120:121], vcc, v[100:101], v[102:103], v[100:101]
	v_fma_f64 v[122:123], -v[116:117], v[118:119], 1.0
	v_fmac_f64_e32 v[118:119], v[118:119], v[122:123]
	v_fma_f64 v[122:123], -v[116:117], v[118:119], 1.0
	v_fmac_f64_e32 v[118:119], v[118:119], v[122:123]
	v_mul_f64 v[122:123], v[120:121], v[118:119]
	v_fma_f64 v[116:117], -v[116:117], v[122:123], v[120:121]
	v_div_fmas_f64 v[116:117], v[116:117], v[118:119], v[122:123]
	v_div_fixup_f64 v[116:117], v[116:117], v[102:103], v[100:101]
	v_fmac_f64_e32 v[102:103], v[100:101], v[116:117]
	v_div_scale_f64 v[100:101], s[18:19], v[102:103], v[102:103], 1.0
	v_rcp_f64_e32 v[118:119], v[100:101]
	s_nop 0
	v_fma_f64 v[120:121], -v[100:101], v[118:119], 1.0
	v_fmac_f64_e32 v[118:119], v[118:119], v[120:121]
	v_fma_f64 v[120:121], -v[100:101], v[118:119], 1.0
	v_fmac_f64_e32 v[118:119], v[118:119], v[120:121]
	v_div_scale_f64 v[120:121], vcc, 1.0, v[102:103], 1.0
	v_mul_f64 v[122:123], v[120:121], v[118:119]
	v_fma_f64 v[100:101], -v[100:101], v[122:123], v[120:121]
	s_nop 1
	v_div_fmas_f64 v[100:101], v[100:101], v[118:119], v[122:123]
	v_div_fixup_f64 v[102:103], v[100:101], v[102:103], 1.0
	v_mul_f64 v[100:101], v[116:117], v[102:103]
	v_xor_b32_e32 v103, 0x80000000, v103
.LBB48_364:
	s_andn2_saveexec_b64 s[16:17], s[16:17]
	s_cbranch_execz .LBB48_366
; %bb.365:
	v_div_scale_f64 v[116:117], s[18:19], v[100:101], v[100:101], v[102:103]
	v_rcp_f64_e32 v[118:119], v[116:117]
	v_div_scale_f64 v[120:121], vcc, v[102:103], v[100:101], v[102:103]
	v_fma_f64 v[122:123], -v[116:117], v[118:119], 1.0
	v_fmac_f64_e32 v[118:119], v[118:119], v[122:123]
	v_fma_f64 v[122:123], -v[116:117], v[118:119], 1.0
	v_fmac_f64_e32 v[118:119], v[118:119], v[122:123]
	v_mul_f64 v[122:123], v[120:121], v[118:119]
	v_fma_f64 v[116:117], -v[116:117], v[122:123], v[120:121]
	v_div_fmas_f64 v[116:117], v[116:117], v[118:119], v[122:123]
	v_div_fixup_f64 v[116:117], v[116:117], v[100:101], v[102:103]
	v_fmac_f64_e32 v[100:101], v[102:103], v[116:117]
	v_div_scale_f64 v[102:103], s[18:19], v[100:101], v[100:101], 1.0
	v_rcp_f64_e32 v[118:119], v[102:103]
	s_nop 0
	v_fma_f64 v[120:121], -v[102:103], v[118:119], 1.0
	v_fmac_f64_e32 v[118:119], v[118:119], v[120:121]
	v_fma_f64 v[120:121], -v[102:103], v[118:119], 1.0
	v_fmac_f64_e32 v[118:119], v[118:119], v[120:121]
	v_div_scale_f64 v[120:121], vcc, 1.0, v[100:101], 1.0
	v_mul_f64 v[122:123], v[120:121], v[118:119]
	v_fma_f64 v[102:103], -v[102:103], v[122:123], v[120:121]
	s_nop 1
	v_div_fmas_f64 v[102:103], v[102:103], v[118:119], v[122:123]
	v_div_fixup_f64 v[100:101], v[102:103], v[100:101], 1.0
	v_mul_f64 v[102:103], v[116:117], -v[100:101]
.LBB48_366:
	s_or_b64 exec, exec, s[16:17]
.LBB48_367:
	s_or_b64 exec, exec, s[0:1]
	v_cmp_ne_u32_e32 vcc, v113, v110
	s_and_saveexec_b64 s[0:1], vcc
	s_xor_b64 s[0:1], exec, s[0:1]
	s_cbranch_execz .LBB48_373
; %bb.368:
	v_cmp_eq_u32_e32 vcc, 17, v113
	s_and_saveexec_b64 s[16:17], vcc
	s_cbranch_execz .LBB48_372
; %bb.369:
	v_cmp_ne_u32_e32 vcc, 17, v110
	s_xor_b64 s[18:19], s[14:15], -1
	s_and_b64 s[22:23], s[18:19], vcc
	s_and_saveexec_b64 s[18:19], s[22:23]
	s_cbranch_execz .LBB48_371
; %bb.370:
	v_ashrrev_i32_e32 v111, 31, v110
	v_lshl_add_u64 v[116:117], v[110:111], 2, v[108:109]
	global_load_dword v111, v[116:117], off
	global_load_dword v113, v[108:109], off offset:68
	s_waitcnt vmcnt(1)
	global_store_dword v[108:109], v111, off offset:68
	s_waitcnt vmcnt(1)
	global_store_dword v[116:117], v113, off
.LBB48_371:
	s_or_b64 exec, exec, s[18:19]
	v_mov_b32_e32 v113, v110
	v_mov_b32_e32 v114, v110
.LBB48_372:
	s_or_b64 exec, exec, s[16:17]
.LBB48_373:
	s_andn2_saveexec_b64 s[0:1], s[0:1]
	s_cbranch_execz .LBB48_375
; %bb.374:
	v_mov_b32_e32 v113, 17
	s_waitcnt vmcnt(6)
	ds_write2_b64 v112, v[20:21], v[22:23] offset0:36 offset1:37
	s_waitcnt vmcnt(5)
	ds_write2_b64 v112, v[16:17], v[18:19] offset0:38 offset1:39
	;; [unrolled: 2-line block ×7, first 2 shown]
.LBB48_375:
	s_or_b64 exec, exec, s[0:1]
	v_cmp_lt_i32_e32 vcc, 17, v113
	s_waitcnt lgkmcnt(0)
	s_barrier
	s_and_saveexec_b64 s[0:1], vcc
	s_cbranch_execz .LBB48_377
; %bb.376:
	ds_read2_b64 v[116:119], v112 offset0:36 offset1:37
	v_mul_f64 v[110:111], v[100:101], v[30:31]
	v_fmac_f64_e32 v[110:111], v[102:103], v[28:29]
	v_mul_f64 v[30:31], v[102:103], v[30:31]
	v_fma_f64 v[28:29], v[100:101], v[28:29], -v[30:31]
	ds_read2_b64 v[100:103], v112 offset0:38 offset1:39
	s_waitcnt lgkmcnt(1)
	v_mul_f64 v[30:31], v[118:119], v[110:111]
	v_fma_f64 v[30:31], v[116:117], v[28:29], -v[30:31]
	v_mul_f64 v[116:117], v[116:117], v[110:111]
	v_fmac_f64_e32 v[116:117], v[118:119], v[28:29]
	s_waitcnt vmcnt(6)
	v_add_f64 v[22:23], v[22:23], -v[116:117]
	ds_read2_b64 v[116:119], v112 offset0:40 offset1:41
	v_add_f64 v[20:21], v[20:21], -v[30:31]
	s_waitcnt lgkmcnt(1)
	v_mul_f64 v[30:31], v[102:103], v[110:111]
	v_fma_f64 v[30:31], v[100:101], v[28:29], -v[30:31]
	v_mul_f64 v[100:101], v[100:101], v[110:111]
	v_fmac_f64_e32 v[100:101], v[102:103], v[28:29]
	s_waitcnt vmcnt(5)
	v_add_f64 v[16:17], v[16:17], -v[30:31]
	v_add_f64 v[18:19], v[18:19], -v[100:101]
	ds_read2_b64 v[100:103], v112 offset0:42 offset1:43
	s_waitcnt lgkmcnt(1)
	v_mul_f64 v[30:31], v[118:119], v[110:111]
	v_fma_f64 v[30:31], v[116:117], v[28:29], -v[30:31]
	v_mul_f64 v[116:117], v[116:117], v[110:111]
	v_fmac_f64_e32 v[116:117], v[118:119], v[28:29]
	s_waitcnt vmcnt(4)
	v_add_f64 v[14:15], v[14:15], -v[116:117]
	ds_read2_b64 v[116:119], v112 offset0:44 offset1:45
	v_add_f64 v[12:13], v[12:13], -v[30:31]
	s_waitcnt lgkmcnt(1)
	v_mul_f64 v[30:31], v[102:103], v[110:111]
	v_fma_f64 v[30:31], v[100:101], v[28:29], -v[30:31]
	v_mul_f64 v[100:101], v[100:101], v[110:111]
	v_fmac_f64_e32 v[100:101], v[102:103], v[28:29]
	s_waitcnt vmcnt(3)
	v_add_f64 v[8:9], v[8:9], -v[30:31]
	v_add_f64 v[10:11], v[10:11], -v[100:101]
	;; [unrolled: 18-line block ×3, first 2 shown]
	s_waitcnt lgkmcnt(0)
	v_mul_f64 v[30:31], v[118:119], v[110:111]
	v_mul_f64 v[100:101], v[116:117], v[110:111]
	v_fma_f64 v[30:31], v[116:117], v[28:29], -v[30:31]
	v_fmac_f64_e32 v[100:101], v[118:119], v[28:29]
	s_waitcnt vmcnt(0)
	v_add_f64 v[96:97], v[96:97], -v[30:31]
	v_add_f64 v[98:99], v[98:99], -v[100:101]
	v_mov_b64_e32 v[30:31], v[110:111]
.LBB48_377:
	s_or_b64 exec, exec, s[0:1]
	v_lshl_add_u32 v100, v113, 4, v112
	s_barrier
	s_waitcnt vmcnt(6)
	ds_write2_b64 v100, v[20:21], v[22:23] offset1:1
	s_waitcnt lgkmcnt(0)
	s_barrier
	ds_read2_b64 v[100:103], v112 offset0:36 offset1:37
	s_cmp_lt_i32 s20, 20
	v_mov_b32_e32 v110, 18
	s_cbranch_scc1 .LBB48_380
; %bb.378:
	v_add_u32_e32 v111, 0x130, v112
	s_mov_b32 s16, 19
	v_mov_b32_e32 v110, 18
.LBB48_379:                             ; =>This Inner Loop Header: Depth=1
	ds_read2_b64 v[116:119], v111 offset1:1
	s_waitcnt lgkmcnt(1)
	v_xor_b32_e32 v121, 0x80000000, v101
	v_xor_b32_e32 v123, 0x80000000, v103
	v_cmp_gt_f64_e32 vcc, 0, v[102:103]
	v_cmp_gt_f64_e64 s[0:1], 0, v[100:101]
	v_mov_b32_e32 v120, v100
	v_mov_b32_e32 v122, v102
	v_cndmask_b32_e64 v121, v101, v121, s[0:1]
	v_cndmask_b32_e32 v123, v103, v123, vcc
	v_add_f64 v[120:121], v[120:121], v[122:123]
	s_waitcnt lgkmcnt(0)
	v_xor_b32_e32 v123, 0x80000000, v117
	v_xor_b32_e32 v125, 0x80000000, v119
	v_cmp_gt_f64_e32 vcc, 0, v[118:119]
	v_cmp_gt_f64_e64 s[0:1], 0, v[116:117]
	v_mov_b32_e32 v122, v116
	v_mov_b32_e32 v124, v118
	v_cndmask_b32_e64 v123, v117, v123, s[0:1]
	v_cndmask_b32_e32 v125, v119, v125, vcc
	v_add_f64 v[122:123], v[122:123], v[124:125]
	v_mov_b32_e32 v126, s16
	s_add_i32 s16, s16, 1
	v_cmp_lt_f64_e32 vcc, v[120:121], v[122:123]
	v_add_u32_e32 v111, 16, v111
	s_cmp_lg_u32 s20, s16
	v_cndmask_b32_e32 v101, v101, v117, vcc
	v_cndmask_b32_e32 v100, v100, v116, vcc
	;; [unrolled: 1-line block ×5, first 2 shown]
	s_cbranch_scc1 .LBB48_379
.LBB48_380:
	s_waitcnt lgkmcnt(0)
	v_cmp_eq_f64_e32 vcc, 0, v[100:101]
	v_cmp_eq_f64_e64 s[0:1], 0, v[102:103]
	s_and_b64 s[0:1], vcc, s[0:1]
	s_and_saveexec_b64 s[16:17], s[0:1]
	s_xor_b64 s[0:1], exec, s[16:17]
; %bb.381:
	v_cmp_ne_u32_e32 vcc, 0, v115
	s_nop 1
	v_cndmask_b32_e32 v115, 19, v115, vcc
; %bb.382:
	s_andn2_saveexec_b64 s[0:1], s[0:1]
	s_cbranch_execz .LBB48_388
; %bb.383:
	v_cmp_ngt_f64_e64 s[16:17], |v[100:101]|, |v[102:103]|
	s_and_saveexec_b64 s[18:19], s[16:17]
	s_xor_b64 s[16:17], exec, s[18:19]
	s_cbranch_execz .LBB48_385
; %bb.384:
	v_div_scale_f64 v[116:117], s[18:19], v[102:103], v[102:103], v[100:101]
	v_rcp_f64_e32 v[118:119], v[116:117]
	v_div_scale_f64 v[120:121], vcc, v[100:101], v[102:103], v[100:101]
	v_fma_f64 v[122:123], -v[116:117], v[118:119], 1.0
	v_fmac_f64_e32 v[118:119], v[118:119], v[122:123]
	v_fma_f64 v[122:123], -v[116:117], v[118:119], 1.0
	v_fmac_f64_e32 v[118:119], v[118:119], v[122:123]
	v_mul_f64 v[122:123], v[120:121], v[118:119]
	v_fma_f64 v[116:117], -v[116:117], v[122:123], v[120:121]
	v_div_fmas_f64 v[116:117], v[116:117], v[118:119], v[122:123]
	v_div_fixup_f64 v[116:117], v[116:117], v[102:103], v[100:101]
	v_fmac_f64_e32 v[102:103], v[100:101], v[116:117]
	v_div_scale_f64 v[100:101], s[18:19], v[102:103], v[102:103], 1.0
	v_rcp_f64_e32 v[118:119], v[100:101]
	s_nop 0
	v_fma_f64 v[120:121], -v[100:101], v[118:119], 1.0
	v_fmac_f64_e32 v[118:119], v[118:119], v[120:121]
	v_fma_f64 v[120:121], -v[100:101], v[118:119], 1.0
	v_fmac_f64_e32 v[118:119], v[118:119], v[120:121]
	v_div_scale_f64 v[120:121], vcc, 1.0, v[102:103], 1.0
	v_mul_f64 v[122:123], v[120:121], v[118:119]
	v_fma_f64 v[100:101], -v[100:101], v[122:123], v[120:121]
	s_nop 1
	v_div_fmas_f64 v[100:101], v[100:101], v[118:119], v[122:123]
	v_div_fixup_f64 v[102:103], v[100:101], v[102:103], 1.0
	v_mul_f64 v[100:101], v[116:117], v[102:103]
	v_xor_b32_e32 v103, 0x80000000, v103
.LBB48_385:
	s_andn2_saveexec_b64 s[16:17], s[16:17]
	s_cbranch_execz .LBB48_387
; %bb.386:
	v_div_scale_f64 v[116:117], s[18:19], v[100:101], v[100:101], v[102:103]
	v_rcp_f64_e32 v[118:119], v[116:117]
	v_div_scale_f64 v[120:121], vcc, v[102:103], v[100:101], v[102:103]
	v_fma_f64 v[122:123], -v[116:117], v[118:119], 1.0
	v_fmac_f64_e32 v[118:119], v[118:119], v[122:123]
	v_fma_f64 v[122:123], -v[116:117], v[118:119], 1.0
	v_fmac_f64_e32 v[118:119], v[118:119], v[122:123]
	v_mul_f64 v[122:123], v[120:121], v[118:119]
	v_fma_f64 v[116:117], -v[116:117], v[122:123], v[120:121]
	v_div_fmas_f64 v[116:117], v[116:117], v[118:119], v[122:123]
	v_div_fixup_f64 v[116:117], v[116:117], v[100:101], v[102:103]
	v_fmac_f64_e32 v[100:101], v[102:103], v[116:117]
	v_div_scale_f64 v[102:103], s[18:19], v[100:101], v[100:101], 1.0
	v_rcp_f64_e32 v[118:119], v[102:103]
	s_nop 0
	v_fma_f64 v[120:121], -v[102:103], v[118:119], 1.0
	v_fmac_f64_e32 v[118:119], v[118:119], v[120:121]
	v_fma_f64 v[120:121], -v[102:103], v[118:119], 1.0
	v_fmac_f64_e32 v[118:119], v[118:119], v[120:121]
	v_div_scale_f64 v[120:121], vcc, 1.0, v[100:101], 1.0
	v_mul_f64 v[122:123], v[120:121], v[118:119]
	v_fma_f64 v[102:103], -v[102:103], v[122:123], v[120:121]
	s_nop 1
	v_div_fmas_f64 v[102:103], v[102:103], v[118:119], v[122:123]
	v_div_fixup_f64 v[100:101], v[102:103], v[100:101], 1.0
	v_mul_f64 v[102:103], v[116:117], -v[100:101]
.LBB48_387:
	s_or_b64 exec, exec, s[16:17]
.LBB48_388:
	s_or_b64 exec, exec, s[0:1]
	v_cmp_ne_u32_e32 vcc, v113, v110
	s_and_saveexec_b64 s[0:1], vcc
	s_xor_b64 s[0:1], exec, s[0:1]
	s_cbranch_execz .LBB48_394
; %bb.389:
	v_cmp_eq_u32_e32 vcc, 18, v113
	s_and_saveexec_b64 s[16:17], vcc
	s_cbranch_execz .LBB48_393
; %bb.390:
	v_cmp_ne_u32_e32 vcc, 18, v110
	s_xor_b64 s[18:19], s[14:15], -1
	s_and_b64 s[22:23], s[18:19], vcc
	s_and_saveexec_b64 s[18:19], s[22:23]
	s_cbranch_execz .LBB48_392
; %bb.391:
	v_ashrrev_i32_e32 v111, 31, v110
	v_lshl_add_u64 v[116:117], v[110:111], 2, v[108:109]
	global_load_dword v111, v[116:117], off
	global_load_dword v113, v[108:109], off offset:72
	s_waitcnt vmcnt(1)
	global_store_dword v[108:109], v111, off offset:72
	s_waitcnt vmcnt(1)
	global_store_dword v[116:117], v113, off
.LBB48_392:
	s_or_b64 exec, exec, s[18:19]
	v_mov_b32_e32 v113, v110
	v_mov_b32_e32 v114, v110
.LBB48_393:
	s_or_b64 exec, exec, s[16:17]
.LBB48_394:
	s_andn2_saveexec_b64 s[0:1], s[0:1]
	s_cbranch_execz .LBB48_396
; %bb.395:
	v_mov_b32_e32 v113, 18
	s_waitcnt vmcnt(5)
	ds_write2_b64 v112, v[16:17], v[18:19] offset0:38 offset1:39
	s_waitcnt vmcnt(4)
	ds_write2_b64 v112, v[12:13], v[14:15] offset0:40 offset1:41
	;; [unrolled: 2-line block ×6, first 2 shown]
.LBB48_396:
	s_or_b64 exec, exec, s[0:1]
	v_cmp_lt_i32_e32 vcc, 18, v113
	s_waitcnt lgkmcnt(0)
	s_barrier
	s_and_saveexec_b64 s[0:1], vcc
	s_cbranch_execz .LBB48_398
; %bb.397:
	ds_read2_b64 v[116:119], v112 offset0:38 offset1:39
	v_mul_f64 v[110:111], v[100:101], v[22:23]
	v_mul_f64 v[22:23], v[102:103], v[22:23]
	v_fmac_f64_e32 v[110:111], v[102:103], v[20:21]
	v_fma_f64 v[20:21], v[100:101], v[20:21], -v[22:23]
	ds_read2_b64 v[100:103], v112 offset0:40 offset1:41
	s_waitcnt lgkmcnt(1)
	v_mul_f64 v[22:23], v[118:119], v[110:111]
	v_fma_f64 v[22:23], v[116:117], v[20:21], -v[22:23]
	v_mul_f64 v[116:117], v[116:117], v[110:111]
	v_fmac_f64_e32 v[116:117], v[118:119], v[20:21]
	s_waitcnt vmcnt(5)
	v_add_f64 v[16:17], v[16:17], -v[22:23]
	s_waitcnt lgkmcnt(0)
	v_mul_f64 v[22:23], v[102:103], v[110:111]
	v_add_f64 v[18:19], v[18:19], -v[116:117]
	v_fma_f64 v[22:23], v[100:101], v[20:21], -v[22:23]
	v_mul_f64 v[100:101], v[100:101], v[110:111]
	ds_read2_b64 v[116:119], v112 offset0:42 offset1:43
	v_fmac_f64_e32 v[100:101], v[102:103], v[20:21]
	s_waitcnt vmcnt(4)
	v_add_f64 v[14:15], v[14:15], -v[100:101]
	ds_read2_b64 v[100:103], v112 offset0:44 offset1:45
	v_add_f64 v[12:13], v[12:13], -v[22:23]
	s_waitcnt lgkmcnt(1)
	v_mul_f64 v[22:23], v[118:119], v[110:111]
	v_fma_f64 v[22:23], v[116:117], v[20:21], -v[22:23]
	v_mul_f64 v[116:117], v[116:117], v[110:111]
	v_fmac_f64_e32 v[116:117], v[118:119], v[20:21]
	s_waitcnt vmcnt(3)
	v_add_f64 v[8:9], v[8:9], -v[22:23]
	s_waitcnt lgkmcnt(0)
	v_mul_f64 v[22:23], v[102:103], v[110:111]
	v_add_f64 v[10:11], v[10:11], -v[116:117]
	v_fma_f64 v[22:23], v[100:101], v[20:21], -v[22:23]
	v_mul_f64 v[100:101], v[100:101], v[110:111]
	ds_read2_b64 v[116:119], v112 offset0:46 offset1:47
	v_fmac_f64_e32 v[100:101], v[102:103], v[20:21]
	s_waitcnt vmcnt(2)
	v_add_f64 v[6:7], v[6:7], -v[100:101]
	ds_read2_b64 v[100:103], v112 offset0:48 offset1:49
	v_add_f64 v[4:5], v[4:5], -v[22:23]
	s_waitcnt lgkmcnt(1)
	v_mul_f64 v[22:23], v[118:119], v[110:111]
	v_fma_f64 v[22:23], v[116:117], v[20:21], -v[22:23]
	s_waitcnt vmcnt(1)
	v_add_f64 v[0:1], v[0:1], -v[22:23]
	s_waitcnt lgkmcnt(0)
	v_mul_f64 v[22:23], v[102:103], v[110:111]
	v_mul_f64 v[116:117], v[116:117], v[110:111]
	v_fma_f64 v[22:23], v[100:101], v[20:21], -v[22:23]
	v_mul_f64 v[100:101], v[100:101], v[110:111]
	v_fmac_f64_e32 v[116:117], v[118:119], v[20:21]
	v_fmac_f64_e32 v[100:101], v[102:103], v[20:21]
	v_add_f64 v[2:3], v[2:3], -v[116:117]
	s_waitcnt vmcnt(0)
	v_add_f64 v[96:97], v[96:97], -v[22:23]
	v_add_f64 v[98:99], v[98:99], -v[100:101]
	v_mov_b64_e32 v[22:23], v[110:111]
.LBB48_398:
	s_or_b64 exec, exec, s[0:1]
	v_lshl_add_u32 v100, v113, 4, v112
	s_barrier
	s_waitcnt vmcnt(5)
	ds_write2_b64 v100, v[16:17], v[18:19] offset1:1
	s_waitcnt lgkmcnt(0)
	s_barrier
	ds_read2_b64 v[100:103], v112 offset0:38 offset1:39
	s_cmp_lt_i32 s20, 21
	v_mov_b32_e32 v110, 19
	s_cbranch_scc1 .LBB48_401
; %bb.399:
	v_add_u32_e32 v111, 0x140, v112
	s_mov_b32 s16, 20
	v_mov_b32_e32 v110, 19
.LBB48_400:                             ; =>This Inner Loop Header: Depth=1
	ds_read2_b64 v[116:119], v111 offset1:1
	s_waitcnt lgkmcnt(1)
	v_xor_b32_e32 v121, 0x80000000, v101
	v_xor_b32_e32 v123, 0x80000000, v103
	v_cmp_gt_f64_e32 vcc, 0, v[102:103]
	v_cmp_gt_f64_e64 s[0:1], 0, v[100:101]
	v_mov_b32_e32 v120, v100
	v_mov_b32_e32 v122, v102
	v_cndmask_b32_e64 v121, v101, v121, s[0:1]
	v_cndmask_b32_e32 v123, v103, v123, vcc
	v_add_f64 v[120:121], v[120:121], v[122:123]
	s_waitcnt lgkmcnt(0)
	v_xor_b32_e32 v123, 0x80000000, v117
	v_xor_b32_e32 v125, 0x80000000, v119
	v_cmp_gt_f64_e32 vcc, 0, v[118:119]
	v_cmp_gt_f64_e64 s[0:1], 0, v[116:117]
	v_mov_b32_e32 v122, v116
	v_mov_b32_e32 v124, v118
	v_cndmask_b32_e64 v123, v117, v123, s[0:1]
	v_cndmask_b32_e32 v125, v119, v125, vcc
	v_add_f64 v[122:123], v[122:123], v[124:125]
	v_mov_b32_e32 v126, s16
	s_add_i32 s16, s16, 1
	v_cmp_lt_f64_e32 vcc, v[120:121], v[122:123]
	v_add_u32_e32 v111, 16, v111
	s_cmp_lg_u32 s20, s16
	v_cndmask_b32_e32 v101, v101, v117, vcc
	v_cndmask_b32_e32 v100, v100, v116, vcc
	v_cndmask_b32_e32 v103, v103, v119, vcc
	v_cndmask_b32_e32 v102, v102, v118, vcc
	v_cndmask_b32_e32 v110, v110, v126, vcc
	s_cbranch_scc1 .LBB48_400
.LBB48_401:
	s_waitcnt lgkmcnt(0)
	v_cmp_eq_f64_e32 vcc, 0, v[100:101]
	v_cmp_eq_f64_e64 s[0:1], 0, v[102:103]
	s_and_b64 s[0:1], vcc, s[0:1]
	s_and_saveexec_b64 s[16:17], s[0:1]
	s_xor_b64 s[0:1], exec, s[16:17]
; %bb.402:
	v_cmp_ne_u32_e32 vcc, 0, v115
	s_nop 1
	v_cndmask_b32_e32 v115, 20, v115, vcc
; %bb.403:
	s_andn2_saveexec_b64 s[0:1], s[0:1]
	s_cbranch_execz .LBB48_409
; %bb.404:
	v_cmp_ngt_f64_e64 s[16:17], |v[100:101]|, |v[102:103]|
	s_and_saveexec_b64 s[18:19], s[16:17]
	s_xor_b64 s[16:17], exec, s[18:19]
	s_cbranch_execz .LBB48_406
; %bb.405:
	v_div_scale_f64 v[116:117], s[18:19], v[102:103], v[102:103], v[100:101]
	v_rcp_f64_e32 v[118:119], v[116:117]
	v_div_scale_f64 v[120:121], vcc, v[100:101], v[102:103], v[100:101]
	v_fma_f64 v[122:123], -v[116:117], v[118:119], 1.0
	v_fmac_f64_e32 v[118:119], v[118:119], v[122:123]
	v_fma_f64 v[122:123], -v[116:117], v[118:119], 1.0
	v_fmac_f64_e32 v[118:119], v[118:119], v[122:123]
	v_mul_f64 v[122:123], v[120:121], v[118:119]
	v_fma_f64 v[116:117], -v[116:117], v[122:123], v[120:121]
	v_div_fmas_f64 v[116:117], v[116:117], v[118:119], v[122:123]
	v_div_fixup_f64 v[116:117], v[116:117], v[102:103], v[100:101]
	v_fmac_f64_e32 v[102:103], v[100:101], v[116:117]
	v_div_scale_f64 v[100:101], s[18:19], v[102:103], v[102:103], 1.0
	v_rcp_f64_e32 v[118:119], v[100:101]
	s_nop 0
	v_fma_f64 v[120:121], -v[100:101], v[118:119], 1.0
	v_fmac_f64_e32 v[118:119], v[118:119], v[120:121]
	v_fma_f64 v[120:121], -v[100:101], v[118:119], 1.0
	v_fmac_f64_e32 v[118:119], v[118:119], v[120:121]
	v_div_scale_f64 v[120:121], vcc, 1.0, v[102:103], 1.0
	v_mul_f64 v[122:123], v[120:121], v[118:119]
	v_fma_f64 v[100:101], -v[100:101], v[122:123], v[120:121]
	s_nop 1
	v_div_fmas_f64 v[100:101], v[100:101], v[118:119], v[122:123]
	v_div_fixup_f64 v[102:103], v[100:101], v[102:103], 1.0
	v_mul_f64 v[100:101], v[116:117], v[102:103]
	v_xor_b32_e32 v103, 0x80000000, v103
.LBB48_406:
	s_andn2_saveexec_b64 s[16:17], s[16:17]
	s_cbranch_execz .LBB48_408
; %bb.407:
	v_div_scale_f64 v[116:117], s[18:19], v[100:101], v[100:101], v[102:103]
	v_rcp_f64_e32 v[118:119], v[116:117]
	v_div_scale_f64 v[120:121], vcc, v[102:103], v[100:101], v[102:103]
	v_fma_f64 v[122:123], -v[116:117], v[118:119], 1.0
	v_fmac_f64_e32 v[118:119], v[118:119], v[122:123]
	v_fma_f64 v[122:123], -v[116:117], v[118:119], 1.0
	v_fmac_f64_e32 v[118:119], v[118:119], v[122:123]
	v_mul_f64 v[122:123], v[120:121], v[118:119]
	v_fma_f64 v[116:117], -v[116:117], v[122:123], v[120:121]
	v_div_fmas_f64 v[116:117], v[116:117], v[118:119], v[122:123]
	v_div_fixup_f64 v[116:117], v[116:117], v[100:101], v[102:103]
	v_fmac_f64_e32 v[100:101], v[102:103], v[116:117]
	v_div_scale_f64 v[102:103], s[18:19], v[100:101], v[100:101], 1.0
	v_rcp_f64_e32 v[118:119], v[102:103]
	s_nop 0
	v_fma_f64 v[120:121], -v[102:103], v[118:119], 1.0
	v_fmac_f64_e32 v[118:119], v[118:119], v[120:121]
	v_fma_f64 v[120:121], -v[102:103], v[118:119], 1.0
	v_fmac_f64_e32 v[118:119], v[118:119], v[120:121]
	v_div_scale_f64 v[120:121], vcc, 1.0, v[100:101], 1.0
	v_mul_f64 v[122:123], v[120:121], v[118:119]
	v_fma_f64 v[102:103], -v[102:103], v[122:123], v[120:121]
	s_nop 1
	v_div_fmas_f64 v[102:103], v[102:103], v[118:119], v[122:123]
	v_div_fixup_f64 v[100:101], v[102:103], v[100:101], 1.0
	v_mul_f64 v[102:103], v[116:117], -v[100:101]
.LBB48_408:
	s_or_b64 exec, exec, s[16:17]
.LBB48_409:
	s_or_b64 exec, exec, s[0:1]
	v_cmp_ne_u32_e32 vcc, v113, v110
	s_and_saveexec_b64 s[0:1], vcc
	s_xor_b64 s[0:1], exec, s[0:1]
	s_cbranch_execz .LBB48_415
; %bb.410:
	v_cmp_eq_u32_e32 vcc, 19, v113
	s_and_saveexec_b64 s[16:17], vcc
	s_cbranch_execz .LBB48_414
; %bb.411:
	v_cmp_ne_u32_e32 vcc, 19, v110
	s_xor_b64 s[18:19], s[14:15], -1
	s_and_b64 s[22:23], s[18:19], vcc
	s_and_saveexec_b64 s[18:19], s[22:23]
	s_cbranch_execz .LBB48_413
; %bb.412:
	v_ashrrev_i32_e32 v111, 31, v110
	v_lshl_add_u64 v[116:117], v[110:111], 2, v[108:109]
	global_load_dword v111, v[116:117], off
	global_load_dword v113, v[108:109], off offset:76
	s_waitcnt vmcnt(1)
	global_store_dword v[108:109], v111, off offset:76
	s_waitcnt vmcnt(1)
	global_store_dword v[116:117], v113, off
.LBB48_413:
	s_or_b64 exec, exec, s[18:19]
	v_mov_b32_e32 v113, v110
	v_mov_b32_e32 v114, v110
.LBB48_414:
	s_or_b64 exec, exec, s[16:17]
.LBB48_415:
	s_andn2_saveexec_b64 s[0:1], s[0:1]
	s_cbranch_execz .LBB48_417
; %bb.416:
	v_mov_b32_e32 v113, 19
	s_waitcnt vmcnt(4)
	ds_write2_b64 v112, v[12:13], v[14:15] offset0:40 offset1:41
	s_waitcnt vmcnt(3)
	ds_write2_b64 v112, v[8:9], v[10:11] offset0:42 offset1:43
	;; [unrolled: 2-line block ×5, first 2 shown]
.LBB48_417:
	s_or_b64 exec, exec, s[0:1]
	v_cmp_lt_i32_e32 vcc, 19, v113
	s_waitcnt lgkmcnt(0)
	s_barrier
	s_and_saveexec_b64 s[0:1], vcc
	s_cbranch_execz .LBB48_419
; %bb.418:
	ds_read2_b64 v[116:119], v112 offset0:40 offset1:41
	v_mul_f64 v[110:111], v[100:101], v[18:19]
	v_fmac_f64_e32 v[110:111], v[102:103], v[16:17]
	v_mul_f64 v[18:19], v[102:103], v[18:19]
	v_fma_f64 v[16:17], v[100:101], v[16:17], -v[18:19]
	ds_read2_b64 v[100:103], v112 offset0:42 offset1:43
	s_waitcnt lgkmcnt(1)
	v_mul_f64 v[18:19], v[118:119], v[110:111]
	v_fma_f64 v[18:19], v[116:117], v[16:17], -v[18:19]
	v_mul_f64 v[116:117], v[116:117], v[110:111]
	v_fmac_f64_e32 v[116:117], v[118:119], v[16:17]
	s_waitcnt vmcnt(4)
	v_add_f64 v[14:15], v[14:15], -v[116:117]
	ds_read2_b64 v[116:119], v112 offset0:44 offset1:45
	v_add_f64 v[12:13], v[12:13], -v[18:19]
	s_waitcnt lgkmcnt(1)
	v_mul_f64 v[18:19], v[102:103], v[110:111]
	v_fma_f64 v[18:19], v[100:101], v[16:17], -v[18:19]
	v_mul_f64 v[100:101], v[100:101], v[110:111]
	v_fmac_f64_e32 v[100:101], v[102:103], v[16:17]
	s_waitcnt vmcnt(3)
	v_add_f64 v[8:9], v[8:9], -v[18:19]
	v_add_f64 v[10:11], v[10:11], -v[100:101]
	ds_read2_b64 v[100:103], v112 offset0:46 offset1:47
	s_waitcnt lgkmcnt(1)
	v_mul_f64 v[18:19], v[118:119], v[110:111]
	v_fma_f64 v[18:19], v[116:117], v[16:17], -v[18:19]
	v_mul_f64 v[116:117], v[116:117], v[110:111]
	v_fmac_f64_e32 v[116:117], v[118:119], v[16:17]
	s_waitcnt vmcnt(2)
	v_add_f64 v[6:7], v[6:7], -v[116:117]
	ds_read2_b64 v[116:119], v112 offset0:48 offset1:49
	v_add_f64 v[4:5], v[4:5], -v[18:19]
	s_waitcnt lgkmcnt(1)
	v_mul_f64 v[18:19], v[102:103], v[110:111]
	v_fma_f64 v[18:19], v[100:101], v[16:17], -v[18:19]
	v_mul_f64 v[100:101], v[100:101], v[110:111]
	v_fmac_f64_e32 v[100:101], v[102:103], v[16:17]
	s_waitcnt vmcnt(1)
	v_add_f64 v[0:1], v[0:1], -v[18:19]
	v_add_f64 v[2:3], v[2:3], -v[100:101]
	s_waitcnt lgkmcnt(0)
	v_mul_f64 v[18:19], v[118:119], v[110:111]
	v_mul_f64 v[100:101], v[116:117], v[110:111]
	v_fma_f64 v[18:19], v[116:117], v[16:17], -v[18:19]
	v_fmac_f64_e32 v[100:101], v[118:119], v[16:17]
	s_waitcnt vmcnt(0)
	v_add_f64 v[96:97], v[96:97], -v[18:19]
	v_add_f64 v[98:99], v[98:99], -v[100:101]
	v_mov_b64_e32 v[18:19], v[110:111]
.LBB48_419:
	s_or_b64 exec, exec, s[0:1]
	v_lshl_add_u32 v100, v113, 4, v112
	s_barrier
	s_waitcnt vmcnt(4)
	ds_write2_b64 v100, v[12:13], v[14:15] offset1:1
	s_waitcnt lgkmcnt(0)
	s_barrier
	ds_read2_b64 v[100:103], v112 offset0:40 offset1:41
	s_cmp_lt_i32 s20, 22
	v_mov_b32_e32 v110, 20
	s_cbranch_scc1 .LBB48_422
; %bb.420:
	v_add_u32_e32 v111, 0x150, v112
	s_mov_b32 s16, 21
	v_mov_b32_e32 v110, 20
.LBB48_421:                             ; =>This Inner Loop Header: Depth=1
	ds_read2_b64 v[116:119], v111 offset1:1
	s_waitcnt lgkmcnt(1)
	v_xor_b32_e32 v121, 0x80000000, v101
	v_xor_b32_e32 v123, 0x80000000, v103
	v_cmp_gt_f64_e32 vcc, 0, v[102:103]
	v_cmp_gt_f64_e64 s[0:1], 0, v[100:101]
	v_mov_b32_e32 v120, v100
	v_mov_b32_e32 v122, v102
	v_cndmask_b32_e64 v121, v101, v121, s[0:1]
	v_cndmask_b32_e32 v123, v103, v123, vcc
	v_add_f64 v[120:121], v[120:121], v[122:123]
	s_waitcnt lgkmcnt(0)
	v_xor_b32_e32 v123, 0x80000000, v117
	v_xor_b32_e32 v125, 0x80000000, v119
	v_cmp_gt_f64_e32 vcc, 0, v[118:119]
	v_cmp_gt_f64_e64 s[0:1], 0, v[116:117]
	v_mov_b32_e32 v122, v116
	v_mov_b32_e32 v124, v118
	v_cndmask_b32_e64 v123, v117, v123, s[0:1]
	v_cndmask_b32_e32 v125, v119, v125, vcc
	v_add_f64 v[122:123], v[122:123], v[124:125]
	v_mov_b32_e32 v126, s16
	s_add_i32 s16, s16, 1
	v_cmp_lt_f64_e32 vcc, v[120:121], v[122:123]
	v_add_u32_e32 v111, 16, v111
	s_cmp_lg_u32 s20, s16
	v_cndmask_b32_e32 v101, v101, v117, vcc
	v_cndmask_b32_e32 v100, v100, v116, vcc
	;; [unrolled: 1-line block ×5, first 2 shown]
	s_cbranch_scc1 .LBB48_421
.LBB48_422:
	s_waitcnt lgkmcnt(0)
	v_cmp_eq_f64_e32 vcc, 0, v[100:101]
	v_cmp_eq_f64_e64 s[0:1], 0, v[102:103]
	s_and_b64 s[0:1], vcc, s[0:1]
	s_and_saveexec_b64 s[16:17], s[0:1]
	s_xor_b64 s[0:1], exec, s[16:17]
; %bb.423:
	v_cmp_ne_u32_e32 vcc, 0, v115
	s_nop 1
	v_cndmask_b32_e32 v115, 21, v115, vcc
; %bb.424:
	s_andn2_saveexec_b64 s[0:1], s[0:1]
	s_cbranch_execz .LBB48_430
; %bb.425:
	v_cmp_ngt_f64_e64 s[16:17], |v[100:101]|, |v[102:103]|
	s_and_saveexec_b64 s[18:19], s[16:17]
	s_xor_b64 s[16:17], exec, s[18:19]
	s_cbranch_execz .LBB48_427
; %bb.426:
	v_div_scale_f64 v[116:117], s[18:19], v[102:103], v[102:103], v[100:101]
	v_rcp_f64_e32 v[118:119], v[116:117]
	v_div_scale_f64 v[120:121], vcc, v[100:101], v[102:103], v[100:101]
	v_fma_f64 v[122:123], -v[116:117], v[118:119], 1.0
	v_fmac_f64_e32 v[118:119], v[118:119], v[122:123]
	v_fma_f64 v[122:123], -v[116:117], v[118:119], 1.0
	v_fmac_f64_e32 v[118:119], v[118:119], v[122:123]
	v_mul_f64 v[122:123], v[120:121], v[118:119]
	v_fma_f64 v[116:117], -v[116:117], v[122:123], v[120:121]
	v_div_fmas_f64 v[116:117], v[116:117], v[118:119], v[122:123]
	v_div_fixup_f64 v[116:117], v[116:117], v[102:103], v[100:101]
	v_fmac_f64_e32 v[102:103], v[100:101], v[116:117]
	v_div_scale_f64 v[100:101], s[18:19], v[102:103], v[102:103], 1.0
	v_rcp_f64_e32 v[118:119], v[100:101]
	s_nop 0
	v_fma_f64 v[120:121], -v[100:101], v[118:119], 1.0
	v_fmac_f64_e32 v[118:119], v[118:119], v[120:121]
	v_fma_f64 v[120:121], -v[100:101], v[118:119], 1.0
	v_fmac_f64_e32 v[118:119], v[118:119], v[120:121]
	v_div_scale_f64 v[120:121], vcc, 1.0, v[102:103], 1.0
	v_mul_f64 v[122:123], v[120:121], v[118:119]
	v_fma_f64 v[100:101], -v[100:101], v[122:123], v[120:121]
	s_nop 1
	v_div_fmas_f64 v[100:101], v[100:101], v[118:119], v[122:123]
	v_div_fixup_f64 v[102:103], v[100:101], v[102:103], 1.0
	v_mul_f64 v[100:101], v[116:117], v[102:103]
	v_xor_b32_e32 v103, 0x80000000, v103
.LBB48_427:
	s_andn2_saveexec_b64 s[16:17], s[16:17]
	s_cbranch_execz .LBB48_429
; %bb.428:
	v_div_scale_f64 v[116:117], s[18:19], v[100:101], v[100:101], v[102:103]
	v_rcp_f64_e32 v[118:119], v[116:117]
	v_div_scale_f64 v[120:121], vcc, v[102:103], v[100:101], v[102:103]
	v_fma_f64 v[122:123], -v[116:117], v[118:119], 1.0
	v_fmac_f64_e32 v[118:119], v[118:119], v[122:123]
	v_fma_f64 v[122:123], -v[116:117], v[118:119], 1.0
	v_fmac_f64_e32 v[118:119], v[118:119], v[122:123]
	v_mul_f64 v[122:123], v[120:121], v[118:119]
	v_fma_f64 v[116:117], -v[116:117], v[122:123], v[120:121]
	v_div_fmas_f64 v[116:117], v[116:117], v[118:119], v[122:123]
	v_div_fixup_f64 v[116:117], v[116:117], v[100:101], v[102:103]
	v_fmac_f64_e32 v[100:101], v[102:103], v[116:117]
	v_div_scale_f64 v[102:103], s[18:19], v[100:101], v[100:101], 1.0
	v_rcp_f64_e32 v[118:119], v[102:103]
	s_nop 0
	v_fma_f64 v[120:121], -v[102:103], v[118:119], 1.0
	v_fmac_f64_e32 v[118:119], v[118:119], v[120:121]
	v_fma_f64 v[120:121], -v[102:103], v[118:119], 1.0
	v_fmac_f64_e32 v[118:119], v[118:119], v[120:121]
	v_div_scale_f64 v[120:121], vcc, 1.0, v[100:101], 1.0
	v_mul_f64 v[122:123], v[120:121], v[118:119]
	v_fma_f64 v[102:103], -v[102:103], v[122:123], v[120:121]
	s_nop 1
	v_div_fmas_f64 v[102:103], v[102:103], v[118:119], v[122:123]
	v_div_fixup_f64 v[100:101], v[102:103], v[100:101], 1.0
	v_mul_f64 v[102:103], v[116:117], -v[100:101]
.LBB48_429:
	s_or_b64 exec, exec, s[16:17]
.LBB48_430:
	s_or_b64 exec, exec, s[0:1]
	v_cmp_ne_u32_e32 vcc, v113, v110
	s_and_saveexec_b64 s[0:1], vcc
	s_xor_b64 s[0:1], exec, s[0:1]
	s_cbranch_execz .LBB48_436
; %bb.431:
	v_cmp_eq_u32_e32 vcc, 20, v113
	s_and_saveexec_b64 s[16:17], vcc
	s_cbranch_execz .LBB48_435
; %bb.432:
	v_cmp_ne_u32_e32 vcc, 20, v110
	s_xor_b64 s[18:19], s[14:15], -1
	s_and_b64 s[22:23], s[18:19], vcc
	s_and_saveexec_b64 s[18:19], s[22:23]
	s_cbranch_execz .LBB48_434
; %bb.433:
	v_ashrrev_i32_e32 v111, 31, v110
	v_lshl_add_u64 v[116:117], v[110:111], 2, v[108:109]
	global_load_dword v111, v[116:117], off
	global_load_dword v113, v[108:109], off offset:80
	s_waitcnt vmcnt(1)
	global_store_dword v[108:109], v111, off offset:80
	s_waitcnt vmcnt(1)
	global_store_dword v[116:117], v113, off
.LBB48_434:
	s_or_b64 exec, exec, s[18:19]
	v_mov_b32_e32 v113, v110
	v_mov_b32_e32 v114, v110
.LBB48_435:
	s_or_b64 exec, exec, s[16:17]
.LBB48_436:
	s_andn2_saveexec_b64 s[0:1], s[0:1]
	s_cbranch_execz .LBB48_438
; %bb.437:
	v_mov_b32_e32 v113, 20
	s_waitcnt vmcnt(3)
	ds_write2_b64 v112, v[8:9], v[10:11] offset0:42 offset1:43
	s_waitcnt vmcnt(2)
	ds_write2_b64 v112, v[4:5], v[6:7] offset0:44 offset1:45
	;; [unrolled: 2-line block ×4, first 2 shown]
.LBB48_438:
	s_or_b64 exec, exec, s[0:1]
	v_cmp_lt_i32_e32 vcc, 20, v113
	s_waitcnt lgkmcnt(0)
	s_barrier
	s_and_saveexec_b64 s[0:1], vcc
	s_cbranch_execz .LBB48_440
; %bb.439:
	ds_read2_b64 v[116:119], v112 offset0:42 offset1:43
	v_mul_f64 v[110:111], v[100:101], v[14:15]
	v_mul_f64 v[14:15], v[102:103], v[14:15]
	v_fmac_f64_e32 v[110:111], v[102:103], v[12:13]
	v_fma_f64 v[12:13], v[100:101], v[12:13], -v[14:15]
	ds_read2_b64 v[100:103], v112 offset0:44 offset1:45
	s_waitcnt lgkmcnt(1)
	v_mul_f64 v[14:15], v[118:119], v[110:111]
	v_fma_f64 v[14:15], v[116:117], v[12:13], -v[14:15]
	v_mul_f64 v[116:117], v[116:117], v[110:111]
	v_fmac_f64_e32 v[116:117], v[118:119], v[12:13]
	s_waitcnt vmcnt(3)
	v_add_f64 v[8:9], v[8:9], -v[14:15]
	s_waitcnt lgkmcnt(0)
	v_mul_f64 v[14:15], v[102:103], v[110:111]
	v_add_f64 v[10:11], v[10:11], -v[116:117]
	v_fma_f64 v[14:15], v[100:101], v[12:13], -v[14:15]
	v_mul_f64 v[100:101], v[100:101], v[110:111]
	ds_read2_b64 v[116:119], v112 offset0:46 offset1:47
	v_fmac_f64_e32 v[100:101], v[102:103], v[12:13]
	s_waitcnt vmcnt(2)
	v_add_f64 v[6:7], v[6:7], -v[100:101]
	ds_read2_b64 v[100:103], v112 offset0:48 offset1:49
	v_add_f64 v[4:5], v[4:5], -v[14:15]
	s_waitcnt lgkmcnt(1)
	v_mul_f64 v[14:15], v[118:119], v[110:111]
	v_fma_f64 v[14:15], v[116:117], v[12:13], -v[14:15]
	s_waitcnt vmcnt(1)
	v_add_f64 v[0:1], v[0:1], -v[14:15]
	s_waitcnt lgkmcnt(0)
	v_mul_f64 v[14:15], v[102:103], v[110:111]
	v_mul_f64 v[116:117], v[116:117], v[110:111]
	v_fma_f64 v[14:15], v[100:101], v[12:13], -v[14:15]
	v_mul_f64 v[100:101], v[100:101], v[110:111]
	v_fmac_f64_e32 v[116:117], v[118:119], v[12:13]
	v_fmac_f64_e32 v[100:101], v[102:103], v[12:13]
	v_add_f64 v[2:3], v[2:3], -v[116:117]
	s_waitcnt vmcnt(0)
	v_add_f64 v[96:97], v[96:97], -v[14:15]
	v_add_f64 v[98:99], v[98:99], -v[100:101]
	v_mov_b64_e32 v[14:15], v[110:111]
.LBB48_440:
	s_or_b64 exec, exec, s[0:1]
	v_lshl_add_u32 v100, v113, 4, v112
	s_barrier
	s_waitcnt vmcnt(3)
	ds_write2_b64 v100, v[8:9], v[10:11] offset1:1
	s_waitcnt lgkmcnt(0)
	s_barrier
	ds_read2_b64 v[100:103], v112 offset0:42 offset1:43
	s_cmp_lt_i32 s20, 23
	v_mov_b32_e32 v110, 21
	s_cbranch_scc1 .LBB48_443
; %bb.441:
	v_add_u32_e32 v111, 0x160, v112
	s_mov_b32 s16, 22
	v_mov_b32_e32 v110, 21
.LBB48_442:                             ; =>This Inner Loop Header: Depth=1
	ds_read2_b64 v[116:119], v111 offset1:1
	s_waitcnt lgkmcnt(1)
	v_xor_b32_e32 v121, 0x80000000, v101
	v_xor_b32_e32 v123, 0x80000000, v103
	v_cmp_gt_f64_e32 vcc, 0, v[102:103]
	v_cmp_gt_f64_e64 s[0:1], 0, v[100:101]
	v_mov_b32_e32 v120, v100
	v_mov_b32_e32 v122, v102
	v_cndmask_b32_e64 v121, v101, v121, s[0:1]
	v_cndmask_b32_e32 v123, v103, v123, vcc
	v_add_f64 v[120:121], v[120:121], v[122:123]
	s_waitcnt lgkmcnt(0)
	v_xor_b32_e32 v123, 0x80000000, v117
	v_xor_b32_e32 v125, 0x80000000, v119
	v_cmp_gt_f64_e32 vcc, 0, v[118:119]
	v_cmp_gt_f64_e64 s[0:1], 0, v[116:117]
	v_mov_b32_e32 v122, v116
	v_mov_b32_e32 v124, v118
	v_cndmask_b32_e64 v123, v117, v123, s[0:1]
	v_cndmask_b32_e32 v125, v119, v125, vcc
	v_add_f64 v[122:123], v[122:123], v[124:125]
	v_mov_b32_e32 v126, s16
	s_add_i32 s16, s16, 1
	v_cmp_lt_f64_e32 vcc, v[120:121], v[122:123]
	v_add_u32_e32 v111, 16, v111
	s_cmp_lg_u32 s20, s16
	v_cndmask_b32_e32 v101, v101, v117, vcc
	v_cndmask_b32_e32 v100, v100, v116, vcc
	;; [unrolled: 1-line block ×5, first 2 shown]
	s_cbranch_scc1 .LBB48_442
.LBB48_443:
	s_waitcnt lgkmcnt(0)
	v_cmp_eq_f64_e32 vcc, 0, v[100:101]
	v_cmp_eq_f64_e64 s[0:1], 0, v[102:103]
	s_and_b64 s[0:1], vcc, s[0:1]
	s_and_saveexec_b64 s[16:17], s[0:1]
	s_xor_b64 s[0:1], exec, s[16:17]
; %bb.444:
	v_cmp_ne_u32_e32 vcc, 0, v115
	s_nop 1
	v_cndmask_b32_e32 v115, 22, v115, vcc
; %bb.445:
	s_andn2_saveexec_b64 s[0:1], s[0:1]
	s_cbranch_execz .LBB48_451
; %bb.446:
	v_cmp_ngt_f64_e64 s[16:17], |v[100:101]|, |v[102:103]|
	s_and_saveexec_b64 s[18:19], s[16:17]
	s_xor_b64 s[16:17], exec, s[18:19]
	s_cbranch_execz .LBB48_448
; %bb.447:
	v_div_scale_f64 v[116:117], s[18:19], v[102:103], v[102:103], v[100:101]
	v_rcp_f64_e32 v[118:119], v[116:117]
	v_div_scale_f64 v[120:121], vcc, v[100:101], v[102:103], v[100:101]
	v_fma_f64 v[122:123], -v[116:117], v[118:119], 1.0
	v_fmac_f64_e32 v[118:119], v[118:119], v[122:123]
	v_fma_f64 v[122:123], -v[116:117], v[118:119], 1.0
	v_fmac_f64_e32 v[118:119], v[118:119], v[122:123]
	v_mul_f64 v[122:123], v[120:121], v[118:119]
	v_fma_f64 v[116:117], -v[116:117], v[122:123], v[120:121]
	v_div_fmas_f64 v[116:117], v[116:117], v[118:119], v[122:123]
	v_div_fixup_f64 v[116:117], v[116:117], v[102:103], v[100:101]
	v_fmac_f64_e32 v[102:103], v[100:101], v[116:117]
	v_div_scale_f64 v[100:101], s[18:19], v[102:103], v[102:103], 1.0
	v_rcp_f64_e32 v[118:119], v[100:101]
	s_nop 0
	v_fma_f64 v[120:121], -v[100:101], v[118:119], 1.0
	v_fmac_f64_e32 v[118:119], v[118:119], v[120:121]
	v_fma_f64 v[120:121], -v[100:101], v[118:119], 1.0
	v_fmac_f64_e32 v[118:119], v[118:119], v[120:121]
	v_div_scale_f64 v[120:121], vcc, 1.0, v[102:103], 1.0
	v_mul_f64 v[122:123], v[120:121], v[118:119]
	v_fma_f64 v[100:101], -v[100:101], v[122:123], v[120:121]
	s_nop 1
	v_div_fmas_f64 v[100:101], v[100:101], v[118:119], v[122:123]
	v_div_fixup_f64 v[102:103], v[100:101], v[102:103], 1.0
	v_mul_f64 v[100:101], v[116:117], v[102:103]
	v_xor_b32_e32 v103, 0x80000000, v103
.LBB48_448:
	s_andn2_saveexec_b64 s[16:17], s[16:17]
	s_cbranch_execz .LBB48_450
; %bb.449:
	v_div_scale_f64 v[116:117], s[18:19], v[100:101], v[100:101], v[102:103]
	v_rcp_f64_e32 v[118:119], v[116:117]
	v_div_scale_f64 v[120:121], vcc, v[102:103], v[100:101], v[102:103]
	v_fma_f64 v[122:123], -v[116:117], v[118:119], 1.0
	v_fmac_f64_e32 v[118:119], v[118:119], v[122:123]
	v_fma_f64 v[122:123], -v[116:117], v[118:119], 1.0
	v_fmac_f64_e32 v[118:119], v[118:119], v[122:123]
	v_mul_f64 v[122:123], v[120:121], v[118:119]
	v_fma_f64 v[116:117], -v[116:117], v[122:123], v[120:121]
	v_div_fmas_f64 v[116:117], v[116:117], v[118:119], v[122:123]
	v_div_fixup_f64 v[116:117], v[116:117], v[100:101], v[102:103]
	v_fmac_f64_e32 v[100:101], v[102:103], v[116:117]
	v_div_scale_f64 v[102:103], s[18:19], v[100:101], v[100:101], 1.0
	v_rcp_f64_e32 v[118:119], v[102:103]
	s_nop 0
	v_fma_f64 v[120:121], -v[102:103], v[118:119], 1.0
	v_fmac_f64_e32 v[118:119], v[118:119], v[120:121]
	v_fma_f64 v[120:121], -v[102:103], v[118:119], 1.0
	v_fmac_f64_e32 v[118:119], v[118:119], v[120:121]
	v_div_scale_f64 v[120:121], vcc, 1.0, v[100:101], 1.0
	v_mul_f64 v[122:123], v[120:121], v[118:119]
	v_fma_f64 v[102:103], -v[102:103], v[122:123], v[120:121]
	s_nop 1
	v_div_fmas_f64 v[102:103], v[102:103], v[118:119], v[122:123]
	v_div_fixup_f64 v[100:101], v[102:103], v[100:101], 1.0
	v_mul_f64 v[102:103], v[116:117], -v[100:101]
.LBB48_450:
	s_or_b64 exec, exec, s[16:17]
.LBB48_451:
	s_or_b64 exec, exec, s[0:1]
	v_cmp_ne_u32_e32 vcc, v113, v110
	s_and_saveexec_b64 s[0:1], vcc
	s_xor_b64 s[0:1], exec, s[0:1]
	s_cbranch_execz .LBB48_457
; %bb.452:
	v_cmp_eq_u32_e32 vcc, 21, v113
	s_and_saveexec_b64 s[16:17], vcc
	s_cbranch_execz .LBB48_456
; %bb.453:
	v_cmp_ne_u32_e32 vcc, 21, v110
	s_xor_b64 s[18:19], s[14:15], -1
	s_and_b64 s[22:23], s[18:19], vcc
	s_and_saveexec_b64 s[18:19], s[22:23]
	s_cbranch_execz .LBB48_455
; %bb.454:
	v_ashrrev_i32_e32 v111, 31, v110
	v_lshl_add_u64 v[116:117], v[110:111], 2, v[108:109]
	global_load_dword v111, v[116:117], off
	global_load_dword v113, v[108:109], off offset:84
	s_waitcnt vmcnt(1)
	global_store_dword v[108:109], v111, off offset:84
	s_waitcnt vmcnt(1)
	global_store_dword v[116:117], v113, off
.LBB48_455:
	s_or_b64 exec, exec, s[18:19]
	v_mov_b32_e32 v113, v110
	v_mov_b32_e32 v114, v110
.LBB48_456:
	s_or_b64 exec, exec, s[16:17]
.LBB48_457:
	s_andn2_saveexec_b64 s[0:1], s[0:1]
	s_cbranch_execz .LBB48_459
; %bb.458:
	v_mov_b32_e32 v113, 21
	s_waitcnt vmcnt(2)
	ds_write2_b64 v112, v[4:5], v[6:7] offset0:44 offset1:45
	s_waitcnt vmcnt(1)
	ds_write2_b64 v112, v[0:1], v[2:3] offset0:46 offset1:47
	;; [unrolled: 2-line block ×3, first 2 shown]
.LBB48_459:
	s_or_b64 exec, exec, s[0:1]
	v_cmp_lt_i32_e32 vcc, 21, v113
	s_waitcnt lgkmcnt(0)
	s_barrier
	s_and_saveexec_b64 s[0:1], vcc
	s_cbranch_execz .LBB48_461
; %bb.460:
	ds_read2_b64 v[116:119], v112 offset0:44 offset1:45
	v_mul_f64 v[110:111], v[100:101], v[10:11]
	v_fmac_f64_e32 v[110:111], v[102:103], v[8:9]
	v_mul_f64 v[10:11], v[102:103], v[10:11]
	v_fma_f64 v[8:9], v[100:101], v[8:9], -v[10:11]
	ds_read2_b64 v[100:103], v112 offset0:46 offset1:47
	s_waitcnt lgkmcnt(1)
	v_mul_f64 v[10:11], v[118:119], v[110:111]
	v_fma_f64 v[10:11], v[116:117], v[8:9], -v[10:11]
	v_mul_f64 v[116:117], v[116:117], v[110:111]
	v_fmac_f64_e32 v[116:117], v[118:119], v[8:9]
	s_waitcnt vmcnt(2)
	v_add_f64 v[6:7], v[6:7], -v[116:117]
	ds_read2_b64 v[116:119], v112 offset0:48 offset1:49
	v_add_f64 v[4:5], v[4:5], -v[10:11]
	s_waitcnt lgkmcnt(1)
	v_mul_f64 v[10:11], v[102:103], v[110:111]
	v_fma_f64 v[10:11], v[100:101], v[8:9], -v[10:11]
	v_mul_f64 v[100:101], v[100:101], v[110:111]
	v_fmac_f64_e32 v[100:101], v[102:103], v[8:9]
	s_waitcnt vmcnt(1)
	v_add_f64 v[0:1], v[0:1], -v[10:11]
	v_add_f64 v[2:3], v[2:3], -v[100:101]
	s_waitcnt lgkmcnt(0)
	v_mul_f64 v[10:11], v[118:119], v[110:111]
	v_mul_f64 v[100:101], v[116:117], v[110:111]
	v_fma_f64 v[10:11], v[116:117], v[8:9], -v[10:11]
	v_fmac_f64_e32 v[100:101], v[118:119], v[8:9]
	s_waitcnt vmcnt(0)
	v_add_f64 v[96:97], v[96:97], -v[10:11]
	v_add_f64 v[98:99], v[98:99], -v[100:101]
	v_mov_b64_e32 v[10:11], v[110:111]
.LBB48_461:
	s_or_b64 exec, exec, s[0:1]
	v_lshl_add_u32 v100, v113, 4, v112
	s_barrier
	s_waitcnt vmcnt(2)
	ds_write2_b64 v100, v[4:5], v[6:7] offset1:1
	s_waitcnt lgkmcnt(0)
	s_barrier
	ds_read2_b64 v[100:103], v112 offset0:44 offset1:45
	s_cmp_lt_i32 s20, 24
	v_mov_b32_e32 v110, 22
	s_cbranch_scc1 .LBB48_464
; %bb.462:
	v_add_u32_e32 v111, 0x170, v112
	s_mov_b32 s16, 23
	v_mov_b32_e32 v110, 22
.LBB48_463:                             ; =>This Inner Loop Header: Depth=1
	ds_read2_b64 v[116:119], v111 offset1:1
	s_waitcnt lgkmcnt(1)
	v_xor_b32_e32 v121, 0x80000000, v101
	v_xor_b32_e32 v123, 0x80000000, v103
	v_cmp_gt_f64_e32 vcc, 0, v[102:103]
	v_cmp_gt_f64_e64 s[0:1], 0, v[100:101]
	v_mov_b32_e32 v120, v100
	v_mov_b32_e32 v122, v102
	v_cndmask_b32_e64 v121, v101, v121, s[0:1]
	v_cndmask_b32_e32 v123, v103, v123, vcc
	v_add_f64 v[120:121], v[120:121], v[122:123]
	s_waitcnt lgkmcnt(0)
	v_xor_b32_e32 v123, 0x80000000, v117
	v_xor_b32_e32 v125, 0x80000000, v119
	v_cmp_gt_f64_e32 vcc, 0, v[118:119]
	v_cmp_gt_f64_e64 s[0:1], 0, v[116:117]
	v_mov_b32_e32 v122, v116
	v_mov_b32_e32 v124, v118
	v_cndmask_b32_e64 v123, v117, v123, s[0:1]
	v_cndmask_b32_e32 v125, v119, v125, vcc
	v_add_f64 v[122:123], v[122:123], v[124:125]
	v_mov_b32_e32 v126, s16
	s_add_i32 s16, s16, 1
	v_cmp_lt_f64_e32 vcc, v[120:121], v[122:123]
	v_add_u32_e32 v111, 16, v111
	s_cmp_lg_u32 s20, s16
	v_cndmask_b32_e32 v101, v101, v117, vcc
	v_cndmask_b32_e32 v100, v100, v116, vcc
	v_cndmask_b32_e32 v103, v103, v119, vcc
	v_cndmask_b32_e32 v102, v102, v118, vcc
	v_cndmask_b32_e32 v110, v110, v126, vcc
	s_cbranch_scc1 .LBB48_463
.LBB48_464:
	s_waitcnt lgkmcnt(0)
	v_cmp_eq_f64_e32 vcc, 0, v[100:101]
	v_cmp_eq_f64_e64 s[0:1], 0, v[102:103]
	s_and_b64 s[0:1], vcc, s[0:1]
	s_and_saveexec_b64 s[16:17], s[0:1]
	s_xor_b64 s[0:1], exec, s[16:17]
; %bb.465:
	v_cmp_ne_u32_e32 vcc, 0, v115
	s_nop 1
	v_cndmask_b32_e32 v115, 23, v115, vcc
; %bb.466:
	s_andn2_saveexec_b64 s[0:1], s[0:1]
	s_cbranch_execz .LBB48_472
; %bb.467:
	v_cmp_ngt_f64_e64 s[16:17], |v[100:101]|, |v[102:103]|
	s_and_saveexec_b64 s[18:19], s[16:17]
	s_xor_b64 s[16:17], exec, s[18:19]
	s_cbranch_execz .LBB48_469
; %bb.468:
	v_div_scale_f64 v[116:117], s[18:19], v[102:103], v[102:103], v[100:101]
	v_rcp_f64_e32 v[118:119], v[116:117]
	v_div_scale_f64 v[120:121], vcc, v[100:101], v[102:103], v[100:101]
	v_fma_f64 v[122:123], -v[116:117], v[118:119], 1.0
	v_fmac_f64_e32 v[118:119], v[118:119], v[122:123]
	v_fma_f64 v[122:123], -v[116:117], v[118:119], 1.0
	v_fmac_f64_e32 v[118:119], v[118:119], v[122:123]
	v_mul_f64 v[122:123], v[120:121], v[118:119]
	v_fma_f64 v[116:117], -v[116:117], v[122:123], v[120:121]
	v_div_fmas_f64 v[116:117], v[116:117], v[118:119], v[122:123]
	v_div_fixup_f64 v[116:117], v[116:117], v[102:103], v[100:101]
	v_fmac_f64_e32 v[102:103], v[100:101], v[116:117]
	v_div_scale_f64 v[100:101], s[18:19], v[102:103], v[102:103], 1.0
	v_rcp_f64_e32 v[118:119], v[100:101]
	s_nop 0
	v_fma_f64 v[120:121], -v[100:101], v[118:119], 1.0
	v_fmac_f64_e32 v[118:119], v[118:119], v[120:121]
	v_fma_f64 v[120:121], -v[100:101], v[118:119], 1.0
	v_fmac_f64_e32 v[118:119], v[118:119], v[120:121]
	v_div_scale_f64 v[120:121], vcc, 1.0, v[102:103], 1.0
	v_mul_f64 v[122:123], v[120:121], v[118:119]
	v_fma_f64 v[100:101], -v[100:101], v[122:123], v[120:121]
	s_nop 1
	v_div_fmas_f64 v[100:101], v[100:101], v[118:119], v[122:123]
	v_div_fixup_f64 v[102:103], v[100:101], v[102:103], 1.0
	v_mul_f64 v[100:101], v[116:117], v[102:103]
	v_xor_b32_e32 v103, 0x80000000, v103
.LBB48_469:
	s_andn2_saveexec_b64 s[16:17], s[16:17]
	s_cbranch_execz .LBB48_471
; %bb.470:
	v_div_scale_f64 v[116:117], s[18:19], v[100:101], v[100:101], v[102:103]
	v_rcp_f64_e32 v[118:119], v[116:117]
	v_div_scale_f64 v[120:121], vcc, v[102:103], v[100:101], v[102:103]
	v_fma_f64 v[122:123], -v[116:117], v[118:119], 1.0
	v_fmac_f64_e32 v[118:119], v[118:119], v[122:123]
	v_fma_f64 v[122:123], -v[116:117], v[118:119], 1.0
	v_fmac_f64_e32 v[118:119], v[118:119], v[122:123]
	v_mul_f64 v[122:123], v[120:121], v[118:119]
	v_fma_f64 v[116:117], -v[116:117], v[122:123], v[120:121]
	v_div_fmas_f64 v[116:117], v[116:117], v[118:119], v[122:123]
	v_div_fixup_f64 v[116:117], v[116:117], v[100:101], v[102:103]
	v_fmac_f64_e32 v[100:101], v[102:103], v[116:117]
	v_div_scale_f64 v[102:103], s[18:19], v[100:101], v[100:101], 1.0
	v_rcp_f64_e32 v[118:119], v[102:103]
	s_nop 0
	v_fma_f64 v[120:121], -v[102:103], v[118:119], 1.0
	v_fmac_f64_e32 v[118:119], v[118:119], v[120:121]
	v_fma_f64 v[120:121], -v[102:103], v[118:119], 1.0
	v_fmac_f64_e32 v[118:119], v[118:119], v[120:121]
	v_div_scale_f64 v[120:121], vcc, 1.0, v[100:101], 1.0
	v_mul_f64 v[122:123], v[120:121], v[118:119]
	v_fma_f64 v[102:103], -v[102:103], v[122:123], v[120:121]
	s_nop 1
	v_div_fmas_f64 v[102:103], v[102:103], v[118:119], v[122:123]
	v_div_fixup_f64 v[100:101], v[102:103], v[100:101], 1.0
	v_mul_f64 v[102:103], v[116:117], -v[100:101]
.LBB48_471:
	s_or_b64 exec, exec, s[16:17]
.LBB48_472:
	s_or_b64 exec, exec, s[0:1]
	v_cmp_ne_u32_e32 vcc, v113, v110
	s_and_saveexec_b64 s[0:1], vcc
	s_xor_b64 s[0:1], exec, s[0:1]
	s_cbranch_execz .LBB48_478
; %bb.473:
	v_cmp_eq_u32_e32 vcc, 22, v113
	s_and_saveexec_b64 s[16:17], vcc
	s_cbranch_execz .LBB48_477
; %bb.474:
	v_cmp_ne_u32_e32 vcc, 22, v110
	s_xor_b64 s[18:19], s[14:15], -1
	s_and_b64 s[22:23], s[18:19], vcc
	s_and_saveexec_b64 s[18:19], s[22:23]
	s_cbranch_execz .LBB48_476
; %bb.475:
	v_ashrrev_i32_e32 v111, 31, v110
	v_lshl_add_u64 v[116:117], v[110:111], 2, v[108:109]
	global_load_dword v111, v[116:117], off
	global_load_dword v113, v[108:109], off offset:88
	s_waitcnt vmcnt(1)
	global_store_dword v[108:109], v111, off offset:88
	s_waitcnt vmcnt(1)
	global_store_dword v[116:117], v113, off
.LBB48_476:
	s_or_b64 exec, exec, s[18:19]
	v_mov_b32_e32 v113, v110
	v_mov_b32_e32 v114, v110
.LBB48_477:
	s_or_b64 exec, exec, s[16:17]
.LBB48_478:
	s_andn2_saveexec_b64 s[0:1], s[0:1]
	s_cbranch_execz .LBB48_480
; %bb.479:
	v_mov_b32_e32 v113, 22
	s_waitcnt vmcnt(1)
	ds_write2_b64 v112, v[0:1], v[2:3] offset0:46 offset1:47
	s_waitcnt vmcnt(0)
	ds_write2_b64 v112, v[96:97], v[98:99] offset0:48 offset1:49
.LBB48_480:
	s_or_b64 exec, exec, s[0:1]
	v_cmp_lt_i32_e32 vcc, 22, v113
	s_waitcnt lgkmcnt(0)
	s_barrier
	s_and_saveexec_b64 s[0:1], vcc
	s_cbranch_execz .LBB48_482
; %bb.481:
	ds_read2_b64 v[116:119], v112 offset0:46 offset1:47
	v_mul_f64 v[110:111], v[100:101], v[6:7]
	v_mul_f64 v[6:7], v[102:103], v[6:7]
	v_fmac_f64_e32 v[110:111], v[102:103], v[4:5]
	v_fma_f64 v[4:5], v[100:101], v[4:5], -v[6:7]
	ds_read2_b64 v[100:103], v112 offset0:48 offset1:49
	s_waitcnt lgkmcnt(1)
	v_mul_f64 v[6:7], v[118:119], v[110:111]
	v_fma_f64 v[6:7], v[116:117], v[4:5], -v[6:7]
	s_waitcnt vmcnt(1)
	v_add_f64 v[0:1], v[0:1], -v[6:7]
	v_mul_f64 v[116:117], v[116:117], v[110:111]
	s_waitcnt lgkmcnt(0)
	v_mul_f64 v[6:7], v[102:103], v[110:111]
	v_fma_f64 v[6:7], v[100:101], v[4:5], -v[6:7]
	v_mul_f64 v[100:101], v[100:101], v[110:111]
	v_fmac_f64_e32 v[116:117], v[118:119], v[4:5]
	v_fmac_f64_e32 v[100:101], v[102:103], v[4:5]
	v_add_f64 v[2:3], v[2:3], -v[116:117]
	s_waitcnt vmcnt(0)
	v_add_f64 v[96:97], v[96:97], -v[6:7]
	v_add_f64 v[98:99], v[98:99], -v[100:101]
	v_mov_b64_e32 v[6:7], v[110:111]
.LBB48_482:
	s_or_b64 exec, exec, s[0:1]
	v_lshl_add_u32 v100, v113, 4, v112
	s_barrier
	s_waitcnt vmcnt(1)
	ds_write2_b64 v100, v[0:1], v[2:3] offset1:1
	s_waitcnt lgkmcnt(0)
	s_barrier
	ds_read2_b64 v[100:103], v112 offset0:46 offset1:47
	s_cmp_lt_i32 s20, 25
	v_mov_b32_e32 v110, 23
	s_cbranch_scc1 .LBB48_485
; %bb.483:
	v_add_u32_e32 v111, 0x180, v112
	s_mov_b32 s16, 24
	v_mov_b32_e32 v110, 23
.LBB48_484:                             ; =>This Inner Loop Header: Depth=1
	ds_read2_b64 v[116:119], v111 offset1:1
	s_waitcnt lgkmcnt(1)
	v_xor_b32_e32 v121, 0x80000000, v101
	v_xor_b32_e32 v123, 0x80000000, v103
	v_cmp_gt_f64_e32 vcc, 0, v[102:103]
	v_cmp_gt_f64_e64 s[0:1], 0, v[100:101]
	v_mov_b32_e32 v120, v100
	v_mov_b32_e32 v122, v102
	v_cndmask_b32_e64 v121, v101, v121, s[0:1]
	v_cndmask_b32_e32 v123, v103, v123, vcc
	v_add_f64 v[120:121], v[120:121], v[122:123]
	s_waitcnt lgkmcnt(0)
	v_xor_b32_e32 v123, 0x80000000, v117
	v_xor_b32_e32 v125, 0x80000000, v119
	v_cmp_gt_f64_e32 vcc, 0, v[118:119]
	v_cmp_gt_f64_e64 s[0:1], 0, v[116:117]
	v_mov_b32_e32 v122, v116
	v_mov_b32_e32 v124, v118
	v_cndmask_b32_e64 v123, v117, v123, s[0:1]
	v_cndmask_b32_e32 v125, v119, v125, vcc
	v_add_f64 v[122:123], v[122:123], v[124:125]
	v_mov_b32_e32 v126, s16
	s_add_i32 s16, s16, 1
	v_cmp_lt_f64_e32 vcc, v[120:121], v[122:123]
	v_add_u32_e32 v111, 16, v111
	s_cmp_lg_u32 s20, s16
	v_cndmask_b32_e32 v101, v101, v117, vcc
	v_cndmask_b32_e32 v100, v100, v116, vcc
	;; [unrolled: 1-line block ×5, first 2 shown]
	s_cbranch_scc1 .LBB48_484
.LBB48_485:
	s_waitcnt lgkmcnt(0)
	v_cmp_eq_f64_e32 vcc, 0, v[100:101]
	v_cmp_eq_f64_e64 s[0:1], 0, v[102:103]
	s_and_b64 s[0:1], vcc, s[0:1]
	s_and_saveexec_b64 s[16:17], s[0:1]
	s_xor_b64 s[0:1], exec, s[16:17]
; %bb.486:
	v_cmp_ne_u32_e32 vcc, 0, v115
	s_nop 1
	v_cndmask_b32_e32 v115, 24, v115, vcc
; %bb.487:
	s_andn2_saveexec_b64 s[0:1], s[0:1]
	s_cbranch_execz .LBB48_493
; %bb.488:
	v_cmp_ngt_f64_e64 s[16:17], |v[100:101]|, |v[102:103]|
	s_and_saveexec_b64 s[18:19], s[16:17]
	s_xor_b64 s[16:17], exec, s[18:19]
	s_cbranch_execz .LBB48_490
; %bb.489:
	v_div_scale_f64 v[116:117], s[18:19], v[102:103], v[102:103], v[100:101]
	v_rcp_f64_e32 v[118:119], v[116:117]
	v_div_scale_f64 v[120:121], vcc, v[100:101], v[102:103], v[100:101]
	v_fma_f64 v[122:123], -v[116:117], v[118:119], 1.0
	v_fmac_f64_e32 v[118:119], v[118:119], v[122:123]
	v_fma_f64 v[122:123], -v[116:117], v[118:119], 1.0
	v_fmac_f64_e32 v[118:119], v[118:119], v[122:123]
	v_mul_f64 v[122:123], v[120:121], v[118:119]
	v_fma_f64 v[116:117], -v[116:117], v[122:123], v[120:121]
	v_div_fmas_f64 v[116:117], v[116:117], v[118:119], v[122:123]
	v_div_fixup_f64 v[116:117], v[116:117], v[102:103], v[100:101]
	v_fmac_f64_e32 v[102:103], v[100:101], v[116:117]
	v_div_scale_f64 v[100:101], s[18:19], v[102:103], v[102:103], 1.0
	v_rcp_f64_e32 v[118:119], v[100:101]
	s_nop 0
	v_fma_f64 v[120:121], -v[100:101], v[118:119], 1.0
	v_fmac_f64_e32 v[118:119], v[118:119], v[120:121]
	v_fma_f64 v[120:121], -v[100:101], v[118:119], 1.0
	v_fmac_f64_e32 v[118:119], v[118:119], v[120:121]
	v_div_scale_f64 v[120:121], vcc, 1.0, v[102:103], 1.0
	v_mul_f64 v[122:123], v[120:121], v[118:119]
	v_fma_f64 v[100:101], -v[100:101], v[122:123], v[120:121]
	s_nop 1
	v_div_fmas_f64 v[100:101], v[100:101], v[118:119], v[122:123]
	v_div_fixup_f64 v[102:103], v[100:101], v[102:103], 1.0
	v_mul_f64 v[100:101], v[116:117], v[102:103]
	v_xor_b32_e32 v103, 0x80000000, v103
.LBB48_490:
	s_andn2_saveexec_b64 s[16:17], s[16:17]
	s_cbranch_execz .LBB48_492
; %bb.491:
	v_div_scale_f64 v[116:117], s[18:19], v[100:101], v[100:101], v[102:103]
	v_rcp_f64_e32 v[118:119], v[116:117]
	v_div_scale_f64 v[120:121], vcc, v[102:103], v[100:101], v[102:103]
	v_fma_f64 v[122:123], -v[116:117], v[118:119], 1.0
	v_fmac_f64_e32 v[118:119], v[118:119], v[122:123]
	v_fma_f64 v[122:123], -v[116:117], v[118:119], 1.0
	v_fmac_f64_e32 v[118:119], v[118:119], v[122:123]
	v_mul_f64 v[122:123], v[120:121], v[118:119]
	v_fma_f64 v[116:117], -v[116:117], v[122:123], v[120:121]
	v_div_fmas_f64 v[116:117], v[116:117], v[118:119], v[122:123]
	v_div_fixup_f64 v[116:117], v[116:117], v[100:101], v[102:103]
	v_fmac_f64_e32 v[100:101], v[102:103], v[116:117]
	v_div_scale_f64 v[102:103], s[18:19], v[100:101], v[100:101], 1.0
	v_rcp_f64_e32 v[118:119], v[102:103]
	s_nop 0
	v_fma_f64 v[120:121], -v[102:103], v[118:119], 1.0
	v_fmac_f64_e32 v[118:119], v[118:119], v[120:121]
	v_fma_f64 v[120:121], -v[102:103], v[118:119], 1.0
	v_fmac_f64_e32 v[118:119], v[118:119], v[120:121]
	v_div_scale_f64 v[120:121], vcc, 1.0, v[100:101], 1.0
	v_mul_f64 v[122:123], v[120:121], v[118:119]
	v_fma_f64 v[102:103], -v[102:103], v[122:123], v[120:121]
	s_nop 1
	v_div_fmas_f64 v[102:103], v[102:103], v[118:119], v[122:123]
	v_div_fixup_f64 v[100:101], v[102:103], v[100:101], 1.0
	v_mul_f64 v[102:103], v[116:117], -v[100:101]
.LBB48_492:
	s_or_b64 exec, exec, s[16:17]
.LBB48_493:
	s_or_b64 exec, exec, s[0:1]
	v_cmp_ne_u32_e32 vcc, v113, v110
	s_and_saveexec_b64 s[0:1], vcc
	s_xor_b64 s[0:1], exec, s[0:1]
	s_cbranch_execz .LBB48_499
; %bb.494:
	v_cmp_eq_u32_e32 vcc, 23, v113
	s_and_saveexec_b64 s[16:17], vcc
	s_cbranch_execz .LBB48_498
; %bb.495:
	v_cmp_ne_u32_e32 vcc, 23, v110
	s_xor_b64 s[18:19], s[14:15], -1
	s_and_b64 s[22:23], s[18:19], vcc
	s_and_saveexec_b64 s[18:19], s[22:23]
	s_cbranch_execz .LBB48_497
; %bb.496:
	v_ashrrev_i32_e32 v111, 31, v110
	v_lshl_add_u64 v[116:117], v[110:111], 2, v[108:109]
	global_load_dword v111, v[116:117], off
	global_load_dword v113, v[108:109], off offset:92
	s_waitcnt vmcnt(1)
	global_store_dword v[108:109], v111, off offset:92
	s_waitcnt vmcnt(1)
	global_store_dword v[116:117], v113, off
.LBB48_497:
	s_or_b64 exec, exec, s[18:19]
	v_mov_b32_e32 v113, v110
	v_mov_b32_e32 v114, v110
.LBB48_498:
	s_or_b64 exec, exec, s[16:17]
.LBB48_499:
	s_andn2_saveexec_b64 s[0:1], s[0:1]
	s_cbranch_execz .LBB48_501
; %bb.500:
	v_mov_b32_e32 v113, 23
	s_waitcnt vmcnt(0)
	ds_write2_b64 v112, v[96:97], v[98:99] offset0:48 offset1:49
.LBB48_501:
	s_or_b64 exec, exec, s[0:1]
	v_cmp_lt_i32_e32 vcc, 23, v113
	s_waitcnt lgkmcnt(0)
	s_barrier
	s_and_saveexec_b64 s[0:1], vcc
	s_cbranch_execz .LBB48_503
; %bb.502:
	ds_read2_b64 v[116:119], v112 offset0:48 offset1:49
	v_mul_f64 v[110:111], v[100:101], v[2:3]
	v_mul_f64 v[2:3], v[102:103], v[2:3]
	v_fmac_f64_e32 v[110:111], v[102:103], v[0:1]
	v_fma_f64 v[0:1], v[100:101], v[0:1], -v[2:3]
	s_waitcnt lgkmcnt(0)
	v_mul_f64 v[2:3], v[118:119], v[110:111]
	v_mul_f64 v[100:101], v[116:117], v[110:111]
	v_fma_f64 v[2:3], v[116:117], v[0:1], -v[2:3]
	v_fmac_f64_e32 v[100:101], v[118:119], v[0:1]
	s_waitcnt vmcnt(0)
	v_add_f64 v[96:97], v[96:97], -v[2:3]
	v_add_f64 v[98:99], v[98:99], -v[100:101]
	v_mov_b64_e32 v[2:3], v[110:111]
.LBB48_503:
	s_or_b64 exec, exec, s[0:1]
	v_lshl_add_u32 v100, v113, 4, v112
	s_barrier
	s_waitcnt vmcnt(0)
	ds_write2_b64 v100, v[96:97], v[98:99] offset1:1
	s_waitcnt lgkmcnt(0)
	s_barrier
	ds_read2_b64 v[100:103], v112 offset0:48 offset1:49
	s_cmp_lt_i32 s20, 26
	v_mov_b32_e32 v110, 24
	s_cbranch_scc1 .LBB48_506
; %bb.504:
	v_add_u32_e32 v111, 0x190, v112
	s_mov_b32 s16, 25
	v_mov_b32_e32 v110, 24
.LBB48_505:                             ; =>This Inner Loop Header: Depth=1
	ds_read2_b64 v[116:119], v111 offset1:1
	s_waitcnt lgkmcnt(1)
	v_xor_b32_e32 v112, 0x80000000, v101
	v_xor_b32_e32 v123, 0x80000000, v103
	v_cmp_gt_f64_e32 vcc, 0, v[102:103]
	v_cmp_gt_f64_e64 s[0:1], 0, v[100:101]
	v_mov_b32_e32 v120, v100
	v_mov_b32_e32 v122, v102
	v_cndmask_b32_e64 v121, v101, v112, s[0:1]
	v_cndmask_b32_e32 v123, v103, v123, vcc
	s_waitcnt lgkmcnt(0)
	v_xor_b32_e32 v112, 0x80000000, v117
	v_xor_b32_e32 v125, 0x80000000, v119
	v_cmp_gt_f64_e32 vcc, 0, v[118:119]
	v_cmp_gt_f64_e64 s[0:1], 0, v[116:117]
	v_add_f64 v[120:121], v[120:121], v[122:123]
	v_mov_b32_e32 v122, v116
	v_mov_b32_e32 v124, v118
	v_cndmask_b32_e64 v123, v117, v112, s[0:1]
	v_cndmask_b32_e32 v125, v119, v125, vcc
	v_add_f64 v[122:123], v[122:123], v[124:125]
	v_mov_b32_e32 v126, s16
	s_add_i32 s16, s16, 1
	v_cmp_lt_f64_e32 vcc, v[120:121], v[122:123]
	v_add_u32_e32 v111, 16, v111
	s_cmp_lg_u32 s20, s16
	v_cndmask_b32_e32 v101, v101, v117, vcc
	v_cndmask_b32_e32 v100, v100, v116, vcc
	;; [unrolled: 1-line block ×5, first 2 shown]
	s_cbranch_scc1 .LBB48_505
.LBB48_506:
	s_waitcnt lgkmcnt(0)
	v_cmp_eq_f64_e32 vcc, 0, v[100:101]
	v_cmp_eq_f64_e64 s[0:1], 0, v[102:103]
	s_and_b64 s[0:1], vcc, s[0:1]
	s_and_saveexec_b64 s[16:17], s[0:1]
	s_xor_b64 s[0:1], exec, s[16:17]
; %bb.507:
	v_cmp_ne_u32_e32 vcc, 0, v115
	s_nop 1
	v_cndmask_b32_e32 v115, 25, v115, vcc
; %bb.508:
	s_andn2_saveexec_b64 s[0:1], s[0:1]
	s_cbranch_execz .LBB48_514
; %bb.509:
	v_cmp_ngt_f64_e64 s[16:17], |v[100:101]|, |v[102:103]|
	s_and_saveexec_b64 s[18:19], s[16:17]
	s_xor_b64 s[16:17], exec, s[18:19]
	s_cbranch_execz .LBB48_511
; %bb.510:
	v_div_scale_f64 v[116:117], s[18:19], v[102:103], v[102:103], v[100:101]
	v_rcp_f64_e32 v[118:119], v[116:117]
	v_div_scale_f64 v[120:121], vcc, v[100:101], v[102:103], v[100:101]
	v_fma_f64 v[122:123], -v[116:117], v[118:119], 1.0
	v_fmac_f64_e32 v[118:119], v[118:119], v[122:123]
	v_fma_f64 v[122:123], -v[116:117], v[118:119], 1.0
	v_fmac_f64_e32 v[118:119], v[118:119], v[122:123]
	v_mul_f64 v[122:123], v[120:121], v[118:119]
	v_fma_f64 v[116:117], -v[116:117], v[122:123], v[120:121]
	v_div_fmas_f64 v[116:117], v[116:117], v[118:119], v[122:123]
	v_div_fixup_f64 v[116:117], v[116:117], v[102:103], v[100:101]
	v_fmac_f64_e32 v[102:103], v[100:101], v[116:117]
	v_div_scale_f64 v[100:101], s[18:19], v[102:103], v[102:103], 1.0
	v_rcp_f64_e32 v[118:119], v[100:101]
	s_nop 0
	v_fma_f64 v[120:121], -v[100:101], v[118:119], 1.0
	v_fmac_f64_e32 v[118:119], v[118:119], v[120:121]
	v_fma_f64 v[120:121], -v[100:101], v[118:119], 1.0
	v_fmac_f64_e32 v[118:119], v[118:119], v[120:121]
	v_div_scale_f64 v[120:121], vcc, 1.0, v[102:103], 1.0
	v_mul_f64 v[122:123], v[120:121], v[118:119]
	v_fma_f64 v[100:101], -v[100:101], v[122:123], v[120:121]
	s_nop 1
	v_div_fmas_f64 v[100:101], v[100:101], v[118:119], v[122:123]
	v_div_fixup_f64 v[102:103], v[100:101], v[102:103], 1.0
	v_mul_f64 v[100:101], v[116:117], v[102:103]
	v_xor_b32_e32 v103, 0x80000000, v103
.LBB48_511:
	s_andn2_saveexec_b64 s[16:17], s[16:17]
	s_cbranch_execz .LBB48_513
; %bb.512:
	v_div_scale_f64 v[116:117], s[18:19], v[100:101], v[100:101], v[102:103]
	v_rcp_f64_e32 v[118:119], v[116:117]
	v_div_scale_f64 v[120:121], vcc, v[102:103], v[100:101], v[102:103]
	v_fma_f64 v[122:123], -v[116:117], v[118:119], 1.0
	v_fmac_f64_e32 v[118:119], v[118:119], v[122:123]
	v_fma_f64 v[122:123], -v[116:117], v[118:119], 1.0
	v_fmac_f64_e32 v[118:119], v[118:119], v[122:123]
	v_mul_f64 v[122:123], v[120:121], v[118:119]
	v_fma_f64 v[116:117], -v[116:117], v[122:123], v[120:121]
	v_div_fmas_f64 v[116:117], v[116:117], v[118:119], v[122:123]
	v_div_fixup_f64 v[116:117], v[116:117], v[100:101], v[102:103]
	v_fmac_f64_e32 v[100:101], v[102:103], v[116:117]
	v_div_scale_f64 v[102:103], s[18:19], v[100:101], v[100:101], 1.0
	v_rcp_f64_e32 v[118:119], v[102:103]
	s_nop 0
	v_fma_f64 v[120:121], -v[102:103], v[118:119], 1.0
	v_fmac_f64_e32 v[118:119], v[118:119], v[120:121]
	v_fma_f64 v[120:121], -v[102:103], v[118:119], 1.0
	v_fmac_f64_e32 v[118:119], v[118:119], v[120:121]
	v_div_scale_f64 v[120:121], vcc, 1.0, v[100:101], 1.0
	v_mul_f64 v[122:123], v[120:121], v[118:119]
	v_fma_f64 v[102:103], -v[102:103], v[122:123], v[120:121]
	s_nop 1
	v_div_fmas_f64 v[102:103], v[102:103], v[118:119], v[122:123]
	v_div_fixup_f64 v[100:101], v[102:103], v[100:101], 1.0
	v_mul_f64 v[102:103], v[116:117], -v[100:101]
.LBB48_513:
	s_or_b64 exec, exec, s[16:17]
.LBB48_514:
	s_or_b64 exec, exec, s[0:1]
	v_cmp_ne_u32_e32 vcc, v113, v110
	v_mov_b32_e32 v112, 24
	s_and_saveexec_b64 s[0:1], vcc
	s_cbranch_execz .LBB48_520
; %bb.515:
	v_cmp_eq_u32_e32 vcc, 24, v113
	s_and_saveexec_b64 s[16:17], vcc
	s_cbranch_execz .LBB48_519
; %bb.516:
	v_cmp_ne_u32_e32 vcc, 24, v110
	s_xor_b64 s[14:15], s[14:15], -1
	s_and_b64 s[18:19], s[14:15], vcc
	s_and_saveexec_b64 s[14:15], s[18:19]
	s_cbranch_execz .LBB48_518
; %bb.517:
	v_ashrrev_i32_e32 v111, 31, v110
	v_lshl_add_u64 v[112:113], v[110:111], 2, v[108:109]
	global_load_dword v111, v[112:113], off
	global_load_dword v114, v[108:109], off offset:96
	s_waitcnt vmcnt(1)
	global_store_dword v[108:109], v111, off offset:96
	s_waitcnt vmcnt(1)
	global_store_dword v[112:113], v114, off
.LBB48_518:
	s_or_b64 exec, exec, s[14:15]
	v_mov_b32_e32 v113, v110
	v_mov_b32_e32 v114, v110
.LBB48_519:
	s_or_b64 exec, exec, s[16:17]
	v_mov_b32_e32 v112, v113
.LBB48_520:
	s_or_b64 exec, exec, s[0:1]
	v_cmp_gt_i32_e32 vcc, 25, v112
	v_ashrrev_i32_e32 v113, 31, v112
	s_barrier
	s_barrier
	s_and_saveexec_b64 s[0:1], vcc
	s_cbranch_execz .LBB48_522
; %bb.521:
	v_mov_b32_e32 v108, s6
	v_mov_b32_e32 v109, s7
	v_mul_lo_u32 v116, s11, v106
	v_mul_lo_u32 v117, s10, v107
	v_mad_u64_u32 v[110:111], s[6:7], s10, v106, 0
	v_add3_u32 v111, v111, v117, v116
	v_lshl_add_u64 v[108:109], v[110:111], 2, v[108:109]
	v_lshl_add_u64 v[108:109], s[8:9], 2, v[108:109]
	;; [unrolled: 1-line block ×3, first 2 shown]
	v_add3_u32 v110, v114, s13, 1
	global_store_dword v[108:109], v110, off
.LBB48_522:
	s_or_b64 exec, exec, s[0:1]
	v_cmp_eq_u32_e32 vcc, 0, v112
	s_and_saveexec_b64 s[6:7], vcc
	s_cbranch_execz .LBB48_525
; %bb.523:
	v_mov_b32_e32 v108, s4
	v_mov_b32_e32 v109, s5
	v_lshl_add_u64 v[106:107], v[106:107], 2, v[108:109]
	global_load_dword v108, v[106:107], off
	v_cmp_ne_u32_e64 s[0:1], 0, v115
	s_waitcnt vmcnt(0)
	v_cmp_eq_u32_e32 vcc, 0, v108
	s_and_b64 s[0:1], vcc, s[0:1]
	s_and_b64 exec, exec, s[0:1]
	s_cbranch_execz .LBB48_525
; %bb.524:
	v_add_u32_e32 v108, s13, v115
	global_store_dword v[106:107], v108, off
.LBB48_525:
	s_or_b64 exec, exec, s[6:7]
	v_mul_f64 v[106:107], v[102:103], v[98:99]
	v_fma_f64 v[106:107], v[100:101], v[96:97], -v[106:107]
	v_mul_f64 v[100:101], v[100:101], v[98:99]
	v_fmac_f64_e32 v[100:101], v[102:103], v[96:97]
	v_cmp_lt_i32_e32 vcc, 24, v112
	s_nop 1
	v_cndmask_b32_e32 v99, v99, v101, vcc
	v_cndmask_b32_e32 v98, v98, v100, vcc
	v_lshl_add_u64 v[100:101], v[112:113], 4, v[104:105]
	global_store_dwordx4 v[100:101], v[68:71], off
	v_cndmask_b32_e32 v97, v97, v107, vcc
	v_cndmask_b32_e32 v96, v96, v106, vcc
	v_lshl_add_u64 v[68:69], s[2:3], 4, v[100:101]
	global_store_dwordx4 v[68:69], v[64:67], off
	s_nop 1
	v_add_u32_e32 v64, s12, v112
	v_ashrrev_i32_e32 v65, 31, v64
	v_lshl_add_u64 v[66:67], v[64:65], 4, v[104:105]
	v_add_u32_e32 v64, s2, v64
	v_ashrrev_i32_e32 v65, 31, v64
	global_store_dwordx4 v[66:67], v[92:95], off
	v_lshl_add_u64 v[66:67], v[64:65], 4, v[104:105]
	v_add_u32_e32 v64, s2, v64
	v_ashrrev_i32_e32 v65, 31, v64
	global_store_dwordx4 v[66:67], v[88:91], off
	v_lshl_add_u64 v[66:67], v[64:65], 4, v[104:105]
	v_add_u32_e32 v64, s2, v64
	v_ashrrev_i32_e32 v65, 31, v64
	global_store_dwordx4 v[66:67], v[84:87], off
	v_lshl_add_u64 v[66:67], v[64:65], 4, v[104:105]
	v_add_u32_e32 v64, s2, v64
	v_ashrrev_i32_e32 v65, 31, v64
	global_store_dwordx4 v[66:67], v[80:83], off
	v_lshl_add_u64 v[66:67], v[64:65], 4, v[104:105]
	v_add_u32_e32 v64, s2, v64
	v_ashrrev_i32_e32 v65, 31, v64
	global_store_dwordx4 v[66:67], v[76:79], off
	v_lshl_add_u64 v[66:67], v[64:65], 4, v[104:105]
	v_add_u32_e32 v64, s2, v64
	v_ashrrev_i32_e32 v65, 31, v64
	global_store_dwordx4 v[66:67], v[72:75], off
	v_lshl_add_u64 v[66:67], v[64:65], 4, v[104:105]
	global_store_dwordx4 v[66:67], v[60:63], off
	s_nop 1
	v_add_u32_e32 v60, s2, v64
	v_ashrrev_i32_e32 v61, 31, v60
	v_lshl_add_u64 v[62:63], v[60:61], 4, v[104:105]
	global_store_dwordx4 v[62:63], v[56:59], off
	s_nop 1
	v_add_u32_e32 v56, s2, v60
	v_ashrrev_i32_e32 v57, 31, v56
	;; [unrolled: 5-line block ×9, first 2 shown]
	v_lshl_add_u64 v[26:27], v[24:25], 4, v[104:105]
	v_add_u32_e32 v24, s2, v24
	v_ashrrev_i32_e32 v25, 31, v24
	global_store_dwordx4 v[26:27], v[28:31], off
	v_lshl_add_u64 v[26:27], v[24:25], 4, v[104:105]
	global_store_dwordx4 v[26:27], v[20:23], off
	s_nop 1
	v_add_u32_e32 v20, s2, v24
	v_ashrrev_i32_e32 v21, 31, v20
	v_lshl_add_u64 v[22:23], v[20:21], 4, v[104:105]
	global_store_dwordx4 v[22:23], v[16:19], off
	s_nop 1
	v_add_u32_e32 v16, s2, v20
	v_ashrrev_i32_e32 v17, 31, v16
	;; [unrolled: 5-line block ×6, first 2 shown]
	v_lshl_add_u64 v[0:1], v[0:1], 4, v[104:105]
	global_store_dwordx4 v[0:1], v[96:99], off
.LBB48_526:
	s_endpgm
	.section	.rodata,"a",@progbits
	.p2align	6, 0x0
	.amdhsa_kernel _ZN9rocsolver6v33100L18getf2_small_kernelILi25E19rocblas_complex_numIdEiiPS3_EEvT1_T3_lS5_lPS5_llPT2_S5_S5_S7_l
		.amdhsa_group_segment_fixed_size 0
		.amdhsa_private_segment_fixed_size 0
		.amdhsa_kernarg_size 352
		.amdhsa_user_sgpr_count 2
		.amdhsa_user_sgpr_dispatch_ptr 0
		.amdhsa_user_sgpr_queue_ptr 0
		.amdhsa_user_sgpr_kernarg_segment_ptr 1
		.amdhsa_user_sgpr_dispatch_id 0
		.amdhsa_user_sgpr_kernarg_preload_length 0
		.amdhsa_user_sgpr_kernarg_preload_offset 0
		.amdhsa_user_sgpr_private_segment_size 0
		.amdhsa_uses_dynamic_stack 0
		.amdhsa_enable_private_segment 0
		.amdhsa_system_sgpr_workgroup_id_x 1
		.amdhsa_system_sgpr_workgroup_id_y 1
		.amdhsa_system_sgpr_workgroup_id_z 0
		.amdhsa_system_sgpr_workgroup_info 0
		.amdhsa_system_vgpr_workitem_id 1
		.amdhsa_next_free_vgpr 129
		.amdhsa_next_free_sgpr 24
		.amdhsa_accum_offset 132
		.amdhsa_reserve_vcc 1
		.amdhsa_float_round_mode_32 0
		.amdhsa_float_round_mode_16_64 0
		.amdhsa_float_denorm_mode_32 3
		.amdhsa_float_denorm_mode_16_64 3
		.amdhsa_dx10_clamp 1
		.amdhsa_ieee_mode 1
		.amdhsa_fp16_overflow 0
		.amdhsa_tg_split 0
		.amdhsa_exception_fp_ieee_invalid_op 0
		.amdhsa_exception_fp_denorm_src 0
		.amdhsa_exception_fp_ieee_div_zero 0
		.amdhsa_exception_fp_ieee_overflow 0
		.amdhsa_exception_fp_ieee_underflow 0
		.amdhsa_exception_fp_ieee_inexact 0
		.amdhsa_exception_int_div_zero 0
	.end_amdhsa_kernel
	.section	.text._ZN9rocsolver6v33100L18getf2_small_kernelILi25E19rocblas_complex_numIdEiiPS3_EEvT1_T3_lS5_lPS5_llPT2_S5_S5_S7_l,"axG",@progbits,_ZN9rocsolver6v33100L18getf2_small_kernelILi25E19rocblas_complex_numIdEiiPS3_EEvT1_T3_lS5_lPS5_llPT2_S5_S5_S7_l,comdat
.Lfunc_end48:
	.size	_ZN9rocsolver6v33100L18getf2_small_kernelILi25E19rocblas_complex_numIdEiiPS3_EEvT1_T3_lS5_lPS5_llPT2_S5_S5_S7_l, .Lfunc_end48-_ZN9rocsolver6v33100L18getf2_small_kernelILi25E19rocblas_complex_numIdEiiPS3_EEvT1_T3_lS5_lPS5_llPT2_S5_S5_S7_l
                                        ; -- End function
	.set _ZN9rocsolver6v33100L18getf2_small_kernelILi25E19rocblas_complex_numIdEiiPS3_EEvT1_T3_lS5_lPS5_llPT2_S5_S5_S7_l.num_vgpr, 129
	.set _ZN9rocsolver6v33100L18getf2_small_kernelILi25E19rocblas_complex_numIdEiiPS3_EEvT1_T3_lS5_lPS5_llPT2_S5_S5_S7_l.num_agpr, 0
	.set _ZN9rocsolver6v33100L18getf2_small_kernelILi25E19rocblas_complex_numIdEiiPS3_EEvT1_T3_lS5_lPS5_llPT2_S5_S5_S7_l.numbered_sgpr, 24
	.set _ZN9rocsolver6v33100L18getf2_small_kernelILi25E19rocblas_complex_numIdEiiPS3_EEvT1_T3_lS5_lPS5_llPT2_S5_S5_S7_l.num_named_barrier, 0
	.set _ZN9rocsolver6v33100L18getf2_small_kernelILi25E19rocblas_complex_numIdEiiPS3_EEvT1_T3_lS5_lPS5_llPT2_S5_S5_S7_l.private_seg_size, 0
	.set _ZN9rocsolver6v33100L18getf2_small_kernelILi25E19rocblas_complex_numIdEiiPS3_EEvT1_T3_lS5_lPS5_llPT2_S5_S5_S7_l.uses_vcc, 1
	.set _ZN9rocsolver6v33100L18getf2_small_kernelILi25E19rocblas_complex_numIdEiiPS3_EEvT1_T3_lS5_lPS5_llPT2_S5_S5_S7_l.uses_flat_scratch, 0
	.set _ZN9rocsolver6v33100L18getf2_small_kernelILi25E19rocblas_complex_numIdEiiPS3_EEvT1_T3_lS5_lPS5_llPT2_S5_S5_S7_l.has_dyn_sized_stack, 0
	.set _ZN9rocsolver6v33100L18getf2_small_kernelILi25E19rocblas_complex_numIdEiiPS3_EEvT1_T3_lS5_lPS5_llPT2_S5_S5_S7_l.has_recursion, 0
	.set _ZN9rocsolver6v33100L18getf2_small_kernelILi25E19rocblas_complex_numIdEiiPS3_EEvT1_T3_lS5_lPS5_llPT2_S5_S5_S7_l.has_indirect_call, 0
	.section	.AMDGPU.csdata,"",@progbits
; Kernel info:
; codeLenInByte = 44868
; TotalNumSgprs: 30
; NumVgprs: 129
; NumAgprs: 0
; TotalNumVgprs: 129
; ScratchSize: 0
; MemoryBound: 0
; FloatMode: 240
; IeeeMode: 1
; LDSByteSize: 0 bytes/workgroup (compile time only)
; SGPRBlocks: 3
; VGPRBlocks: 16
; NumSGPRsForWavesPerEU: 30
; NumVGPRsForWavesPerEU: 129
; AccumOffset: 132
; Occupancy: 3
; WaveLimiterHint : 0
; COMPUTE_PGM_RSRC2:SCRATCH_EN: 0
; COMPUTE_PGM_RSRC2:USER_SGPR: 2
; COMPUTE_PGM_RSRC2:TRAP_HANDLER: 0
; COMPUTE_PGM_RSRC2:TGID_X_EN: 1
; COMPUTE_PGM_RSRC2:TGID_Y_EN: 1
; COMPUTE_PGM_RSRC2:TGID_Z_EN: 0
; COMPUTE_PGM_RSRC2:TIDIG_COMP_CNT: 1
; COMPUTE_PGM_RSRC3_GFX90A:ACCUM_OFFSET: 32
; COMPUTE_PGM_RSRC3_GFX90A:TG_SPLIT: 0
	.section	.text._ZN9rocsolver6v33100L23getf2_npvt_small_kernelILi25E19rocblas_complex_numIdEiiPS3_EEvT1_T3_lS5_lPT2_S5_S5_,"axG",@progbits,_ZN9rocsolver6v33100L23getf2_npvt_small_kernelILi25E19rocblas_complex_numIdEiiPS3_EEvT1_T3_lS5_lPT2_S5_S5_,comdat
	.globl	_ZN9rocsolver6v33100L23getf2_npvt_small_kernelILi25E19rocblas_complex_numIdEiiPS3_EEvT1_T3_lS5_lPT2_S5_S5_ ; -- Begin function _ZN9rocsolver6v33100L23getf2_npvt_small_kernelILi25E19rocblas_complex_numIdEiiPS3_EEvT1_T3_lS5_lPT2_S5_S5_
	.p2align	8
	.type	_ZN9rocsolver6v33100L23getf2_npvt_small_kernelILi25E19rocblas_complex_numIdEiiPS3_EEvT1_T3_lS5_lPT2_S5_S5_,@function
_ZN9rocsolver6v33100L23getf2_npvt_small_kernelILi25E19rocblas_complex_numIdEiiPS3_EEvT1_T3_lS5_lPT2_S5_S5_: ; @_ZN9rocsolver6v33100L23getf2_npvt_small_kernelILi25E19rocblas_complex_numIdEiiPS3_EEvT1_T3_lS5_lPT2_S5_S5_
; %bb.0:
	s_load_dword s2, s[0:1], 0x44
	s_load_dwordx2 s[8:9], s[0:1], 0x30
	v_bfe_u32 v100, v0, 10, 10
	s_waitcnt lgkmcnt(0)
	s_lshr_b32 s10, s2, 16
	s_mul_i32 s3, s3, s10
	v_add_u32_e32 v222, s3, v100
	v_cmp_gt_i32_e32 vcc, s8, v222
	s_and_saveexec_b64 s[2:3], vcc
	s_cbranch_execz .LBB49_228
; %bb.1:
	s_load_dwordx4 s[12:15], s[0:1], 0x8
	s_load_dword s2, s[0:1], 0x18
	s_load_dwordx4 s[4:7], s[0:1], 0x20
	v_ashrrev_i32_e32 v223, 31, v222
	v_and_b32_e32 v252, 0x3ff, v0
	s_waitcnt lgkmcnt(0)
	v_mov_b32_e32 v2, s12
	v_mov_b32_e32 v3, s13
	v_mul_lo_u32 v4, s5, v222
	v_mul_lo_u32 v5, s4, v223
	v_mad_u64_u32 v[0:1], s[0:1], s4, v222, 0
	v_add3_u32 v1, v1, v5, v4
	v_lshl_add_u64 v[0:1], v[0:1], 4, v[2:3]
	v_lshl_add_u64 v[0:1], s[14:15], 4, v[0:1]
	v_lshlrev_b32_e32 v2, 4, v252
	v_mov_b32_e32 v3, 0
	s_add_i32 s0, s2, s2
	v_lshl_add_u64 v[200:201], v[0:1], 0, v[2:3]
	v_add_u32_e32 v2, s0, v252
	v_ashrrev_i32_e32 v3, 31, v2
	v_lshl_add_u64 v[6:7], v[2:3], 4, v[0:1]
	v_add_u32_e32 v2, s2, v2
	v_ashrrev_i32_e32 v3, 31, v2
	v_lshl_add_u64 v[210:211], v[2:3], 4, v[0:1]
	v_add_u32_e32 v2, s2, v2
	v_ashrrev_i32_e32 v3, 31, v2
	v_lshl_add_u64 v[212:213], v[2:3], 4, v[0:1]
	v_add_u32_e32 v2, s2, v2
	v_ashrrev_i32_e32 v3, 31, v2
	v_lshl_add_u64 v[214:215], v[2:3], 4, v[0:1]
	v_add_u32_e32 v2, s2, v2
	v_ashrrev_i32_e32 v3, 31, v2
	v_lshl_add_u64 v[216:217], v[2:3], 4, v[0:1]
	v_add_u32_e32 v2, s2, v2
	v_ashrrev_i32_e32 v3, 31, v2
	v_lshl_add_u64 v[218:219], v[2:3], 4, v[0:1]
	v_add_u32_e32 v2, s2, v2
	v_ashrrev_i32_e32 v3, 31, v2
	v_lshl_add_u64 v[220:221], v[2:3], 4, v[0:1]
	v_add_u32_e32 v2, s2, v2
	v_ashrrev_i32_e32 v3, 31, v2
	v_lshl_add_u64 v[224:225], v[2:3], 4, v[0:1]
	v_add_u32_e32 v2, s2, v2
	v_ashrrev_i32_e32 v3, 31, v2
	v_lshl_add_u64 v[226:227], v[2:3], 4, v[0:1]
	v_add_u32_e32 v2, s2, v2
	v_ashrrev_i32_e32 v3, 31, v2
	v_lshl_add_u64 v[228:229], v[2:3], 4, v[0:1]
	v_add_u32_e32 v2, s2, v2
	v_ashrrev_i32_e32 v3, 31, v2
	v_lshl_add_u64 v[230:231], v[2:3], 4, v[0:1]
	v_add_u32_e32 v2, s2, v2
	v_ashrrev_i32_e32 v3, 31, v2
	v_lshl_add_u64 v[232:233], v[2:3], 4, v[0:1]
	v_add_u32_e32 v2, s2, v2
	v_ashrrev_i32_e32 v3, 31, v2
	v_lshl_add_u64 v[234:235], v[2:3], 4, v[0:1]
	v_add_u32_e32 v2, s2, v2
	v_ashrrev_i32_e32 v3, 31, v2
	v_lshl_add_u64 v[236:237], v[2:3], 4, v[0:1]
	v_add_u32_e32 v2, s2, v2
	v_ashrrev_i32_e32 v3, 31, v2
	v_lshl_add_u64 v[238:239], v[2:3], 4, v[0:1]
	v_add_u32_e32 v2, s2, v2
	v_ashrrev_i32_e32 v3, 31, v2
	v_lshl_add_u64 v[240:241], v[2:3], 4, v[0:1]
	v_add_u32_e32 v2, s2, v2
	v_ashrrev_i32_e32 v3, 31, v2
	v_lshl_add_u64 v[242:243], v[2:3], 4, v[0:1]
	v_add_u32_e32 v2, s2, v2
	v_ashrrev_i32_e32 v3, 31, v2
	v_lshl_add_u64 v[244:245], v[2:3], 4, v[0:1]
	v_add_u32_e32 v2, s2, v2
	v_ashrrev_i32_e32 v3, 31, v2
	v_lshl_add_u64 v[246:247], v[2:3], 4, v[0:1]
	v_add_u32_e32 v2, s2, v2
	v_ashrrev_i32_e32 v3, 31, v2
	v_lshl_add_u64 v[248:249], v[2:3], 4, v[0:1]
	v_add_u32_e32 v2, s2, v2
	v_ashrrev_i32_e32 v3, 31, v2
	v_lshl_add_u64 v[250:251], v[2:3], 4, v[0:1]
	v_add_u32_e32 v2, s2, v2
	s_ashr_i32 s3, s2, 31
	v_ashrrev_i32_e32 v3, 31, v2
	v_lshl_add_u64 v[4:5], s[2:3], 4, v[200:201]
	v_lshl_add_u64 v[204:205], v[2:3], 4, v[0:1]
	v_add_u32_e32 v2, s2, v2
	v_ashrrev_i32_e32 v3, 31, v2
	scratch_store_dwordx2 off, v[4:5], off offset:16 ; 8-byte Folded Spill
	scratch_store_dwordx2 off, v[6:7], off offset:8 ; 8-byte Folded Spill
	v_lshl_add_u64 v[96:97], v[2:3], 4, v[0:1]
	global_load_dwordx4 v[92:95], v[200:201], off
	global_load_dwordx4 v[88:91], v[4:5], off
	global_load_dwordx4 v[84:87], v[6:7], off
	global_load_dwordx4 v[80:83], v[210:211], off
	global_load_dwordx4 v[76:79], v[212:213], off
	global_load_dwordx4 v[72:75], v[214:215], off
	global_load_dwordx4 v[68:71], v[216:217], off
	global_load_dwordx4 v[64:67], v[218:219], off
	global_load_dwordx4 v[60:63], v[220:221], off
	global_load_dwordx4 v[56:59], v[224:225], off
	global_load_dwordx4 v[52:55], v[226:227], off
	global_load_dwordx4 v[48:51], v[228:229], off
	global_load_dwordx4 v[44:47], v[230:231], off
	global_load_dwordx4 v[40:43], v[232:233], off
	global_load_dwordx4 v[36:39], v[234:235], off
	global_load_dwordx4 v[32:35], v[236:237], off
	global_load_dwordx4 v[28:31], v[238:239], off
	global_load_dwordx4 v[24:27], v[240:241], off
	global_load_dwordx4 v[20:23], v[242:243], off
	global_load_dwordx4 v[16:19], v[244:245], off
	global_load_dwordx4 v[12:15], v[246:247], off
	global_load_dwordx4 v[8:11], v[248:249], off
	global_load_dwordx4 v[4:7], v[250:251], off
	global_load_dwordx4 v[0:3], v[204:205], off
	s_mulk_i32 s10, 0x190
	scratch_store_dwordx2 off, v[96:97], off ; 8-byte Folded Spill
	global_load_dwordx4 v[96:99], v[96:97], off
	s_movk_i32 s0, 0x190
	s_add_i32 s1, s10, 0
	v_mad_u32_u24 v254, v100, s0, 0
	v_lshl_add_u32 v253, v100, 4, s1
	v_cmp_ne_u32_e64 s[2:3], 0, v252
	v_cmp_eq_u32_e64 s[0:1], 0, v252
	s_and_saveexec_b64 s[10:11], s[0:1]
	s_cbranch_execz .LBB49_8
; %bb.2:
	s_waitcnt vmcnt(25)
	ds_write2_b64 v253, v[92:93], v[94:95] offset1:1
	s_waitcnt vmcnt(24)
	ds_write2_b64 v254, v[88:89], v[90:91] offset0:2 offset1:3
	s_waitcnt vmcnt(23)
	ds_write2_b64 v254, v[84:85], v[86:87] offset0:4 offset1:5
	;; [unrolled: 2-line block ×24, first 2 shown]
	ds_read2_b64 v[100:103], v253 offset1:1
	s_waitcnt lgkmcnt(0)
	v_cmp_neq_f64_e32 vcc, 0, v[100:101]
	v_cmp_neq_f64_e64 s[4:5], 0, v[102:103]
	s_or_b64 s[4:5], vcc, s[4:5]
	s_and_b64 exec, exec, s[4:5]
	s_cbranch_execz .LBB49_8
; %bb.3:
	v_cmp_ngt_f64_e64 s[4:5], |v[100:101]|, |v[102:103]|
                                        ; implicit-def: $vgpr104_vgpr105
	s_and_saveexec_b64 s[12:13], s[4:5]
	s_xor_b64 s[4:5], exec, s[12:13]
                                        ; implicit-def: $vgpr106_vgpr107
	s_cbranch_execz .LBB49_5
; %bb.4:
	v_div_scale_f64 v[104:105], s[12:13], v[102:103], v[102:103], v[100:101]
	v_rcp_f64_e32 v[106:107], v[104:105]
	v_div_scale_f64 v[108:109], vcc, v[100:101], v[102:103], v[100:101]
	v_fma_f64 v[110:111], -v[104:105], v[106:107], 1.0
	v_fmac_f64_e32 v[106:107], v[106:107], v[110:111]
	v_fma_f64 v[110:111], -v[104:105], v[106:107], 1.0
	v_fmac_f64_e32 v[106:107], v[106:107], v[110:111]
	v_mul_f64 v[110:111], v[108:109], v[106:107]
	v_fma_f64 v[104:105], -v[104:105], v[110:111], v[108:109]
	v_div_fmas_f64 v[104:105], v[104:105], v[106:107], v[110:111]
	v_div_fixup_f64 v[104:105], v[104:105], v[102:103], v[100:101]
	v_fmac_f64_e32 v[102:103], v[100:101], v[104:105]
	v_div_scale_f64 v[100:101], s[12:13], v[102:103], v[102:103], 1.0
	v_rcp_f64_e32 v[106:107], v[100:101]
	s_nop 0
	v_fma_f64 v[108:109], -v[100:101], v[106:107], 1.0
	v_fmac_f64_e32 v[106:107], v[106:107], v[108:109]
	v_fma_f64 v[108:109], -v[100:101], v[106:107], 1.0
	v_fmac_f64_e32 v[106:107], v[106:107], v[108:109]
	v_div_scale_f64 v[108:109], vcc, 1.0, v[102:103], 1.0
	v_mul_f64 v[110:111], v[108:109], v[106:107]
	v_fma_f64 v[100:101], -v[100:101], v[110:111], v[108:109]
	s_nop 1
	v_div_fmas_f64 v[100:101], v[100:101], v[106:107], v[110:111]
	v_div_fixup_f64 v[106:107], v[100:101], v[102:103], 1.0
	v_mul_f64 v[104:105], v[104:105], v[106:107]
	v_xor_b32_e32 v107, 0x80000000, v107
                                        ; implicit-def: $vgpr100_vgpr101
.LBB49_5:
	s_andn2_saveexec_b64 s[4:5], s[4:5]
	s_cbranch_execz .LBB49_7
; %bb.6:
	v_div_scale_f64 v[104:105], s[12:13], v[100:101], v[100:101], v[102:103]
	v_rcp_f64_e32 v[106:107], v[104:105]
	v_div_scale_f64 v[108:109], vcc, v[102:103], v[100:101], v[102:103]
	v_fma_f64 v[110:111], -v[104:105], v[106:107], 1.0
	v_fmac_f64_e32 v[106:107], v[106:107], v[110:111]
	v_fma_f64 v[110:111], -v[104:105], v[106:107], 1.0
	v_fmac_f64_e32 v[106:107], v[106:107], v[110:111]
	v_mul_f64 v[110:111], v[108:109], v[106:107]
	v_fma_f64 v[104:105], -v[104:105], v[110:111], v[108:109]
	v_div_fmas_f64 v[104:105], v[104:105], v[106:107], v[110:111]
	v_div_fixup_f64 v[106:107], v[104:105], v[100:101], v[102:103]
	v_fmac_f64_e32 v[100:101], v[102:103], v[106:107]
	v_div_scale_f64 v[102:103], s[12:13], v[100:101], v[100:101], 1.0
	v_rcp_f64_e32 v[104:105], v[102:103]
	s_nop 0
	v_fma_f64 v[108:109], -v[102:103], v[104:105], 1.0
	v_fmac_f64_e32 v[104:105], v[104:105], v[108:109]
	v_fma_f64 v[108:109], -v[102:103], v[104:105], 1.0
	v_fmac_f64_e32 v[104:105], v[104:105], v[108:109]
	v_div_scale_f64 v[108:109], vcc, 1.0, v[100:101], 1.0
	v_mul_f64 v[110:111], v[108:109], v[104:105]
	v_fma_f64 v[102:103], -v[102:103], v[110:111], v[108:109]
	s_nop 1
	v_div_fmas_f64 v[102:103], v[102:103], v[104:105], v[110:111]
	v_div_fixup_f64 v[104:105], v[102:103], v[100:101], 1.0
	v_mul_f64 v[106:107], v[106:107], -v[104:105]
.LBB49_7:
	s_or_b64 exec, exec, s[4:5]
	ds_write2_b64 v253, v[104:105], v[106:107] offset1:1
.LBB49_8:
	s_or_b64 exec, exec, s[10:11]
	s_waitcnt lgkmcnt(0)
	s_barrier
	ds_read2_b64 v[100:103], v253 offset1:1
	s_and_saveexec_b64 s[4:5], s[2:3]
	s_cbranch_execz .LBB49_10
; %bb.9:
	ds_read2_b64 v[106:109], v254 offset0:2 offset1:3
	ds_read2_b64 v[110:113], v254 offset0:4 offset1:5
	s_waitcnt vmcnt(25) lgkmcnt(2)
	v_mul_f64 v[104:105], v[102:103], v[94:95]
	v_mul_f64 v[94:95], v[100:101], v[94:95]
	v_fmac_f64_e32 v[94:95], v[102:103], v[92:93]
	v_fma_f64 v[104:105], v[100:101], v[92:93], -v[104:105]
	s_waitcnt lgkmcnt(1)
	v_mul_f64 v[92:93], v[108:109], v[94:95]
	v_fma_f64 v[92:93], v[106:107], v[104:105], -v[92:93]
	v_mul_f64 v[106:107], v[106:107], v[94:95]
	v_fmac_f64_e32 v[106:107], v[108:109], v[104:105]
	s_waitcnt vmcnt(24)
	v_add_f64 v[88:89], v[88:89], -v[92:93]
	v_add_f64 v[90:91], v[90:91], -v[106:107]
	s_waitcnt lgkmcnt(0)
	v_mul_f64 v[92:93], v[112:113], v[94:95]
	ds_read2_b64 v[106:109], v254 offset0:6 offset1:7
	v_fma_f64 v[92:93], v[110:111], v[104:105], -v[92:93]
	v_mul_f64 v[110:111], v[110:111], v[94:95]
	v_fmac_f64_e32 v[110:111], v[112:113], v[104:105]
	s_waitcnt vmcnt(23)
	v_add_f64 v[86:87], v[86:87], -v[110:111]
	ds_read2_b64 v[110:113], v254 offset0:8 offset1:9
	v_add_f64 v[84:85], v[84:85], -v[92:93]
	s_waitcnt lgkmcnt(1)
	v_mul_f64 v[92:93], v[108:109], v[94:95]
	v_fma_f64 v[92:93], v[106:107], v[104:105], -v[92:93]
	v_mul_f64 v[106:107], v[106:107], v[94:95]
	v_fmac_f64_e32 v[106:107], v[108:109], v[104:105]
	s_waitcnt vmcnt(22)
	v_add_f64 v[80:81], v[80:81], -v[92:93]
	v_add_f64 v[82:83], v[82:83], -v[106:107]
	s_waitcnt lgkmcnt(0)
	v_mul_f64 v[92:93], v[112:113], v[94:95]
	ds_read2_b64 v[106:109], v254 offset0:10 offset1:11
	v_fma_f64 v[92:93], v[110:111], v[104:105], -v[92:93]
	v_mul_f64 v[110:111], v[110:111], v[94:95]
	v_fmac_f64_e32 v[110:111], v[112:113], v[104:105]
	s_waitcnt vmcnt(21)
	v_add_f64 v[78:79], v[78:79], -v[110:111]
	ds_read2_b64 v[110:113], v254 offset0:12 offset1:13
	v_add_f64 v[76:77], v[76:77], -v[92:93]
	;; [unrolled: 18-line block ×11, first 2 shown]
	s_waitcnt lgkmcnt(1)
	v_mul_f64 v[92:93], v[108:109], v[94:95]
	v_fma_f64 v[92:93], v[106:107], v[104:105], -v[92:93]
	v_mul_f64 v[106:107], v[106:107], v[94:95]
	v_fmac_f64_e32 v[106:107], v[108:109], v[104:105]
	s_waitcnt vmcnt(2)
	v_add_f64 v[0:1], v[0:1], -v[92:93]
	v_add_f64 v[2:3], v[2:3], -v[106:107]
	s_waitcnt lgkmcnt(0)
	v_mul_f64 v[92:93], v[112:113], v[94:95]
	v_mul_f64 v[106:107], v[110:111], v[94:95]
	v_fma_f64 v[92:93], v[110:111], v[104:105], -v[92:93]
	v_fmac_f64_e32 v[106:107], v[112:113], v[104:105]
	s_waitcnt vmcnt(0)
	v_add_f64 v[96:97], v[96:97], -v[92:93]
	v_add_f64 v[98:99], v[98:99], -v[106:107]
	v_mov_b64_e32 v[92:93], v[104:105]
.LBB49_10:
	s_or_b64 exec, exec, s[4:5]
	v_cmp_eq_u32_e32 vcc, 1, v252
	s_waitcnt lgkmcnt(0)
	s_barrier
	s_and_saveexec_b64 s[4:5], vcc
	s_cbranch_execz .LBB49_17
; %bb.11:
	s_waitcnt vmcnt(24)
	ds_write2_b64 v253, v[88:89], v[90:91] offset1:1
	s_waitcnt vmcnt(23)
	ds_write2_b64 v254, v[84:85], v[86:87] offset0:4 offset1:5
	s_waitcnt vmcnt(22)
	ds_write2_b64 v254, v[80:81], v[82:83] offset0:6 offset1:7
	;; [unrolled: 2-line block ×23, first 2 shown]
	ds_read2_b64 v[104:107], v253 offset1:1
	s_waitcnt lgkmcnt(0)
	v_cmp_neq_f64_e32 vcc, 0, v[104:105]
	v_cmp_neq_f64_e64 s[2:3], 0, v[106:107]
	s_or_b64 s[2:3], vcc, s[2:3]
	s_and_b64 exec, exec, s[2:3]
	s_cbranch_execz .LBB49_17
; %bb.12:
	v_cmp_ngt_f64_e64 s[2:3], |v[104:105]|, |v[106:107]|
                                        ; implicit-def: $vgpr108_vgpr109
	s_and_saveexec_b64 s[10:11], s[2:3]
	s_xor_b64 s[2:3], exec, s[10:11]
                                        ; implicit-def: $vgpr110_vgpr111
	s_cbranch_execz .LBB49_14
; %bb.13:
	v_div_scale_f64 v[108:109], s[10:11], v[106:107], v[106:107], v[104:105]
	v_rcp_f64_e32 v[110:111], v[108:109]
	v_div_scale_f64 v[112:113], vcc, v[104:105], v[106:107], v[104:105]
	v_fma_f64 v[114:115], -v[108:109], v[110:111], 1.0
	v_fmac_f64_e32 v[110:111], v[110:111], v[114:115]
	v_fma_f64 v[114:115], -v[108:109], v[110:111], 1.0
	v_fmac_f64_e32 v[110:111], v[110:111], v[114:115]
	v_mul_f64 v[114:115], v[112:113], v[110:111]
	v_fma_f64 v[108:109], -v[108:109], v[114:115], v[112:113]
	v_div_fmas_f64 v[108:109], v[108:109], v[110:111], v[114:115]
	v_div_fixup_f64 v[108:109], v[108:109], v[106:107], v[104:105]
	v_fmac_f64_e32 v[106:107], v[104:105], v[108:109]
	v_div_scale_f64 v[104:105], s[10:11], v[106:107], v[106:107], 1.0
	v_rcp_f64_e32 v[110:111], v[104:105]
	s_nop 0
	v_fma_f64 v[112:113], -v[104:105], v[110:111], 1.0
	v_fmac_f64_e32 v[110:111], v[110:111], v[112:113]
	v_fma_f64 v[112:113], -v[104:105], v[110:111], 1.0
	v_fmac_f64_e32 v[110:111], v[110:111], v[112:113]
	v_div_scale_f64 v[112:113], vcc, 1.0, v[106:107], 1.0
	v_mul_f64 v[114:115], v[112:113], v[110:111]
	v_fma_f64 v[104:105], -v[104:105], v[114:115], v[112:113]
	s_nop 1
	v_div_fmas_f64 v[104:105], v[104:105], v[110:111], v[114:115]
	v_div_fixup_f64 v[110:111], v[104:105], v[106:107], 1.0
	v_mul_f64 v[108:109], v[108:109], v[110:111]
	v_xor_b32_e32 v111, 0x80000000, v111
                                        ; implicit-def: $vgpr104_vgpr105
.LBB49_14:
	s_andn2_saveexec_b64 s[2:3], s[2:3]
	s_cbranch_execz .LBB49_16
; %bb.15:
	v_div_scale_f64 v[108:109], s[10:11], v[104:105], v[104:105], v[106:107]
	v_rcp_f64_e32 v[110:111], v[108:109]
	v_div_scale_f64 v[112:113], vcc, v[106:107], v[104:105], v[106:107]
	v_fma_f64 v[114:115], -v[108:109], v[110:111], 1.0
	v_fmac_f64_e32 v[110:111], v[110:111], v[114:115]
	v_fma_f64 v[114:115], -v[108:109], v[110:111], 1.0
	v_fmac_f64_e32 v[110:111], v[110:111], v[114:115]
	v_mul_f64 v[114:115], v[112:113], v[110:111]
	v_fma_f64 v[108:109], -v[108:109], v[114:115], v[112:113]
	v_div_fmas_f64 v[108:109], v[108:109], v[110:111], v[114:115]
	v_div_fixup_f64 v[110:111], v[108:109], v[104:105], v[106:107]
	v_fmac_f64_e32 v[104:105], v[106:107], v[110:111]
	v_div_scale_f64 v[106:107], s[10:11], v[104:105], v[104:105], 1.0
	v_rcp_f64_e32 v[108:109], v[106:107]
	s_nop 0
	v_fma_f64 v[112:113], -v[106:107], v[108:109], 1.0
	v_fmac_f64_e32 v[108:109], v[108:109], v[112:113]
	v_fma_f64 v[112:113], -v[106:107], v[108:109], 1.0
	v_fmac_f64_e32 v[108:109], v[108:109], v[112:113]
	v_div_scale_f64 v[112:113], vcc, 1.0, v[104:105], 1.0
	v_mul_f64 v[114:115], v[112:113], v[108:109]
	v_fma_f64 v[106:107], -v[106:107], v[114:115], v[112:113]
	s_nop 1
	v_div_fmas_f64 v[106:107], v[106:107], v[108:109], v[114:115]
	v_div_fixup_f64 v[108:109], v[106:107], v[104:105], 1.0
	v_mul_f64 v[110:111], v[110:111], -v[108:109]
.LBB49_16:
	s_or_b64 exec, exec, s[2:3]
	ds_write2_b64 v253, v[108:109], v[110:111] offset1:1
.LBB49_17:
	s_or_b64 exec, exec, s[4:5]
	s_waitcnt lgkmcnt(0)
	s_barrier
	ds_read2_b64 v[104:107], v253 offset1:1
	v_cmp_lt_u32_e32 vcc, 1, v252
	s_and_saveexec_b64 s[2:3], vcc
	s_cbranch_execz .LBB49_19
; %bb.18:
	ds_read2_b64 v[110:113], v254 offset0:4 offset1:5
	ds_read2_b64 v[114:117], v254 offset0:6 offset1:7
	s_waitcnt vmcnt(24) lgkmcnt(2)
	v_mul_f64 v[108:109], v[106:107], v[90:91]
	v_mul_f64 v[90:91], v[104:105], v[90:91]
	v_fmac_f64_e32 v[90:91], v[106:107], v[88:89]
	v_fma_f64 v[108:109], v[104:105], v[88:89], -v[108:109]
	s_waitcnt lgkmcnt(1)
	v_mul_f64 v[88:89], v[112:113], v[90:91]
	v_fma_f64 v[88:89], v[110:111], v[108:109], -v[88:89]
	v_mul_f64 v[110:111], v[110:111], v[90:91]
	v_fmac_f64_e32 v[110:111], v[112:113], v[108:109]
	s_waitcnt vmcnt(23)
	v_add_f64 v[86:87], v[86:87], -v[110:111]
	ds_read2_b64 v[110:113], v254 offset0:8 offset1:9
	v_add_f64 v[84:85], v[84:85], -v[88:89]
	s_waitcnt lgkmcnt(1)
	v_mul_f64 v[88:89], v[116:117], v[90:91]
	v_fma_f64 v[88:89], v[114:115], v[108:109], -v[88:89]
	v_mul_f64 v[114:115], v[114:115], v[90:91]
	v_fmac_f64_e32 v[114:115], v[116:117], v[108:109]
	s_waitcnt vmcnt(22)
	v_add_f64 v[80:81], v[80:81], -v[88:89]
	v_add_f64 v[82:83], v[82:83], -v[114:115]
	ds_read2_b64 v[114:117], v254 offset0:10 offset1:11
	s_waitcnt lgkmcnt(1)
	v_mul_f64 v[88:89], v[112:113], v[90:91]
	v_fma_f64 v[88:89], v[110:111], v[108:109], -v[88:89]
	v_mul_f64 v[110:111], v[110:111], v[90:91]
	v_fmac_f64_e32 v[110:111], v[112:113], v[108:109]
	s_waitcnt vmcnt(21)
	v_add_f64 v[78:79], v[78:79], -v[110:111]
	ds_read2_b64 v[110:113], v254 offset0:12 offset1:13
	v_add_f64 v[76:77], v[76:77], -v[88:89]
	s_waitcnt lgkmcnt(1)
	v_mul_f64 v[88:89], v[116:117], v[90:91]
	v_fma_f64 v[88:89], v[114:115], v[108:109], -v[88:89]
	v_mul_f64 v[114:115], v[114:115], v[90:91]
	v_fmac_f64_e32 v[114:115], v[116:117], v[108:109]
	s_waitcnt vmcnt(20)
	v_add_f64 v[72:73], v[72:73], -v[88:89]
	v_add_f64 v[74:75], v[74:75], -v[114:115]
	ds_read2_b64 v[114:117], v254 offset0:14 offset1:15
	;; [unrolled: 18-line block ×10, first 2 shown]
	s_waitcnt lgkmcnt(1)
	v_mul_f64 v[88:89], v[112:113], v[90:91]
	v_fma_f64 v[88:89], v[110:111], v[108:109], -v[88:89]
	v_mul_f64 v[110:111], v[110:111], v[90:91]
	v_fmac_f64_e32 v[110:111], v[112:113], v[108:109]
	s_waitcnt vmcnt(3)
	v_add_f64 v[6:7], v[6:7], -v[110:111]
	ds_read2_b64 v[110:113], v254 offset0:48 offset1:49
	v_add_f64 v[4:5], v[4:5], -v[88:89]
	s_waitcnt lgkmcnt(1)
	v_mul_f64 v[88:89], v[116:117], v[90:91]
	v_fma_f64 v[88:89], v[114:115], v[108:109], -v[88:89]
	s_waitcnt vmcnt(2)
	v_add_f64 v[0:1], v[0:1], -v[88:89]
	s_waitcnt lgkmcnt(0)
	v_mul_f64 v[88:89], v[112:113], v[90:91]
	v_mul_f64 v[114:115], v[114:115], v[90:91]
	v_fma_f64 v[88:89], v[110:111], v[108:109], -v[88:89]
	v_mul_f64 v[110:111], v[110:111], v[90:91]
	v_fmac_f64_e32 v[114:115], v[116:117], v[108:109]
	v_fmac_f64_e32 v[110:111], v[112:113], v[108:109]
	v_add_f64 v[2:3], v[2:3], -v[114:115]
	s_waitcnt vmcnt(0)
	v_add_f64 v[96:97], v[96:97], -v[88:89]
	v_add_f64 v[98:99], v[98:99], -v[110:111]
	v_mov_b64_e32 v[88:89], v[108:109]
.LBB49_19:
	s_or_b64 exec, exec, s[2:3]
	v_cmp_eq_u32_e32 vcc, 2, v252
	s_waitcnt lgkmcnt(0)
	s_barrier
	s_and_saveexec_b64 s[4:5], vcc
	s_cbranch_execz .LBB49_26
; %bb.20:
	s_waitcnt vmcnt(23)
	ds_write2_b64 v253, v[84:85], v[86:87] offset1:1
	s_waitcnt vmcnt(22)
	ds_write2_b64 v254, v[80:81], v[82:83] offset0:6 offset1:7
	s_waitcnt vmcnt(21)
	ds_write2_b64 v254, v[76:77], v[78:79] offset0:8 offset1:9
	;; [unrolled: 2-line block ×22, first 2 shown]
	ds_read2_b64 v[108:111], v253 offset1:1
	s_waitcnt lgkmcnt(0)
	v_cmp_neq_f64_e32 vcc, 0, v[108:109]
	v_cmp_neq_f64_e64 s[2:3], 0, v[110:111]
	s_or_b64 s[2:3], vcc, s[2:3]
	s_and_b64 exec, exec, s[2:3]
	s_cbranch_execz .LBB49_26
; %bb.21:
	v_cmp_ngt_f64_e64 s[2:3], |v[108:109]|, |v[110:111]|
                                        ; implicit-def: $vgpr112_vgpr113
	s_and_saveexec_b64 s[10:11], s[2:3]
	s_xor_b64 s[2:3], exec, s[10:11]
                                        ; implicit-def: $vgpr114_vgpr115
	s_cbranch_execz .LBB49_23
; %bb.22:
	v_div_scale_f64 v[112:113], s[10:11], v[110:111], v[110:111], v[108:109]
	v_rcp_f64_e32 v[114:115], v[112:113]
	v_div_scale_f64 v[116:117], vcc, v[108:109], v[110:111], v[108:109]
	v_fma_f64 v[118:119], -v[112:113], v[114:115], 1.0
	v_fmac_f64_e32 v[114:115], v[114:115], v[118:119]
	v_fma_f64 v[118:119], -v[112:113], v[114:115], 1.0
	v_fmac_f64_e32 v[114:115], v[114:115], v[118:119]
	v_mul_f64 v[118:119], v[116:117], v[114:115]
	v_fma_f64 v[112:113], -v[112:113], v[118:119], v[116:117]
	v_div_fmas_f64 v[112:113], v[112:113], v[114:115], v[118:119]
	v_div_fixup_f64 v[112:113], v[112:113], v[110:111], v[108:109]
	v_fmac_f64_e32 v[110:111], v[108:109], v[112:113]
	v_div_scale_f64 v[108:109], s[10:11], v[110:111], v[110:111], 1.0
	v_rcp_f64_e32 v[114:115], v[108:109]
	s_nop 0
	v_fma_f64 v[116:117], -v[108:109], v[114:115], 1.0
	v_fmac_f64_e32 v[114:115], v[114:115], v[116:117]
	v_fma_f64 v[116:117], -v[108:109], v[114:115], 1.0
	v_fmac_f64_e32 v[114:115], v[114:115], v[116:117]
	v_div_scale_f64 v[116:117], vcc, 1.0, v[110:111], 1.0
	v_mul_f64 v[118:119], v[116:117], v[114:115]
	v_fma_f64 v[108:109], -v[108:109], v[118:119], v[116:117]
	s_nop 1
	v_div_fmas_f64 v[108:109], v[108:109], v[114:115], v[118:119]
	v_div_fixup_f64 v[114:115], v[108:109], v[110:111], 1.0
	v_mul_f64 v[112:113], v[112:113], v[114:115]
	v_xor_b32_e32 v115, 0x80000000, v115
                                        ; implicit-def: $vgpr108_vgpr109
.LBB49_23:
	s_andn2_saveexec_b64 s[2:3], s[2:3]
	s_cbranch_execz .LBB49_25
; %bb.24:
	v_div_scale_f64 v[112:113], s[10:11], v[108:109], v[108:109], v[110:111]
	v_rcp_f64_e32 v[114:115], v[112:113]
	v_div_scale_f64 v[116:117], vcc, v[110:111], v[108:109], v[110:111]
	v_fma_f64 v[118:119], -v[112:113], v[114:115], 1.0
	v_fmac_f64_e32 v[114:115], v[114:115], v[118:119]
	v_fma_f64 v[118:119], -v[112:113], v[114:115], 1.0
	v_fmac_f64_e32 v[114:115], v[114:115], v[118:119]
	v_mul_f64 v[118:119], v[116:117], v[114:115]
	v_fma_f64 v[112:113], -v[112:113], v[118:119], v[116:117]
	v_div_fmas_f64 v[112:113], v[112:113], v[114:115], v[118:119]
	v_div_fixup_f64 v[114:115], v[112:113], v[108:109], v[110:111]
	v_fmac_f64_e32 v[108:109], v[110:111], v[114:115]
	v_div_scale_f64 v[110:111], s[10:11], v[108:109], v[108:109], 1.0
	v_rcp_f64_e32 v[112:113], v[110:111]
	s_nop 0
	v_fma_f64 v[116:117], -v[110:111], v[112:113], 1.0
	v_fmac_f64_e32 v[112:113], v[112:113], v[116:117]
	v_fma_f64 v[116:117], -v[110:111], v[112:113], 1.0
	v_fmac_f64_e32 v[112:113], v[112:113], v[116:117]
	v_div_scale_f64 v[116:117], vcc, 1.0, v[108:109], 1.0
	v_mul_f64 v[118:119], v[116:117], v[112:113]
	v_fma_f64 v[110:111], -v[110:111], v[118:119], v[116:117]
	s_nop 1
	v_div_fmas_f64 v[110:111], v[110:111], v[112:113], v[118:119]
	v_div_fixup_f64 v[112:113], v[110:111], v[108:109], 1.0
	v_mul_f64 v[114:115], v[114:115], -v[112:113]
.LBB49_25:
	s_or_b64 exec, exec, s[2:3]
	ds_write2_b64 v253, v[112:113], v[114:115] offset1:1
.LBB49_26:
	s_or_b64 exec, exec, s[4:5]
	s_waitcnt lgkmcnt(0)
	s_barrier
	ds_read2_b64 v[108:111], v253 offset1:1
	v_cmp_lt_u32_e32 vcc, 2, v252
	s_and_saveexec_b64 s[2:3], vcc
	s_cbranch_execz .LBB49_28
; %bb.27:
	ds_read2_b64 v[114:117], v254 offset0:6 offset1:7
	ds_read2_b64 v[118:121], v254 offset0:8 offset1:9
	s_waitcnt vmcnt(23) lgkmcnt(2)
	v_mul_f64 v[112:113], v[110:111], v[86:87]
	v_mul_f64 v[86:87], v[108:109], v[86:87]
	v_fmac_f64_e32 v[86:87], v[110:111], v[84:85]
	v_fma_f64 v[112:113], v[108:109], v[84:85], -v[112:113]
	s_waitcnt lgkmcnt(1)
	v_mul_f64 v[84:85], v[116:117], v[86:87]
	v_fma_f64 v[84:85], v[114:115], v[112:113], -v[84:85]
	v_mul_f64 v[114:115], v[114:115], v[86:87]
	v_fmac_f64_e32 v[114:115], v[116:117], v[112:113]
	s_waitcnt vmcnt(22)
	v_add_f64 v[80:81], v[80:81], -v[84:85]
	v_add_f64 v[82:83], v[82:83], -v[114:115]
	s_waitcnt lgkmcnt(0)
	v_mul_f64 v[84:85], v[120:121], v[86:87]
	ds_read2_b64 v[114:117], v254 offset0:10 offset1:11
	v_fma_f64 v[84:85], v[118:119], v[112:113], -v[84:85]
	v_mul_f64 v[118:119], v[118:119], v[86:87]
	v_fmac_f64_e32 v[118:119], v[120:121], v[112:113]
	s_waitcnt vmcnt(21)
	v_add_f64 v[78:79], v[78:79], -v[118:119]
	ds_read2_b64 v[118:121], v254 offset0:12 offset1:13
	v_add_f64 v[76:77], v[76:77], -v[84:85]
	s_waitcnt lgkmcnt(1)
	v_mul_f64 v[84:85], v[116:117], v[86:87]
	v_fma_f64 v[84:85], v[114:115], v[112:113], -v[84:85]
	v_mul_f64 v[114:115], v[114:115], v[86:87]
	v_fmac_f64_e32 v[114:115], v[116:117], v[112:113]
	s_waitcnt vmcnt(20)
	v_add_f64 v[72:73], v[72:73], -v[84:85]
	v_add_f64 v[74:75], v[74:75], -v[114:115]
	s_waitcnt lgkmcnt(0)
	v_mul_f64 v[84:85], v[120:121], v[86:87]
	ds_read2_b64 v[114:117], v254 offset0:14 offset1:15
	v_fma_f64 v[84:85], v[118:119], v[112:113], -v[84:85]
	v_mul_f64 v[118:119], v[118:119], v[86:87]
	v_fmac_f64_e32 v[118:119], v[120:121], v[112:113]
	s_waitcnt vmcnt(19)
	v_add_f64 v[70:71], v[70:71], -v[118:119]
	ds_read2_b64 v[118:121], v254 offset0:16 offset1:17
	v_add_f64 v[68:69], v[68:69], -v[84:85]
	s_waitcnt lgkmcnt(1)
	v_mul_f64 v[84:85], v[116:117], v[86:87]
	v_fma_f64 v[84:85], v[114:115], v[112:113], -v[84:85]
	v_mul_f64 v[114:115], v[114:115], v[86:87]
	v_fmac_f64_e32 v[114:115], v[116:117], v[112:113]
	s_waitcnt vmcnt(18)
	v_add_f64 v[64:65], v[64:65], -v[84:85]
	v_add_f64 v[66:67], v[66:67], -v[114:115]
	s_waitcnt lgkmcnt(0)
	v_mul_f64 v[84:85], v[120:121], v[86:87]
	ds_read2_b64 v[114:117], v254 offset0:18 offset1:19
	v_fma_f64 v[84:85], v[118:119], v[112:113], -v[84:85]
	v_mul_f64 v[118:119], v[118:119], v[86:87]
	v_fmac_f64_e32 v[118:119], v[120:121], v[112:113]
	s_waitcnt vmcnt(17)
	v_add_f64 v[62:63], v[62:63], -v[118:119]
	ds_read2_b64 v[118:121], v254 offset0:20 offset1:21
	v_add_f64 v[60:61], v[60:61], -v[84:85]
	s_waitcnt lgkmcnt(1)
	v_mul_f64 v[84:85], v[116:117], v[86:87]
	v_fma_f64 v[84:85], v[114:115], v[112:113], -v[84:85]
	v_mul_f64 v[114:115], v[114:115], v[86:87]
	v_fmac_f64_e32 v[114:115], v[116:117], v[112:113]
	s_waitcnt vmcnt(16)
	v_add_f64 v[56:57], v[56:57], -v[84:85]
	v_add_f64 v[58:59], v[58:59], -v[114:115]
	s_waitcnt lgkmcnt(0)
	v_mul_f64 v[84:85], v[120:121], v[86:87]
	ds_read2_b64 v[114:117], v254 offset0:22 offset1:23
	v_fma_f64 v[84:85], v[118:119], v[112:113], -v[84:85]
	v_mul_f64 v[118:119], v[118:119], v[86:87]
	v_fmac_f64_e32 v[118:119], v[120:121], v[112:113]
	s_waitcnt vmcnt(15)
	v_add_f64 v[54:55], v[54:55], -v[118:119]
	ds_read2_b64 v[118:121], v254 offset0:24 offset1:25
	v_add_f64 v[52:53], v[52:53], -v[84:85]
	s_waitcnt lgkmcnt(1)
	v_mul_f64 v[84:85], v[116:117], v[86:87]
	v_fma_f64 v[84:85], v[114:115], v[112:113], -v[84:85]
	v_mul_f64 v[114:115], v[114:115], v[86:87]
	v_fmac_f64_e32 v[114:115], v[116:117], v[112:113]
	s_waitcnt vmcnt(14)
	v_add_f64 v[48:49], v[48:49], -v[84:85]
	v_add_f64 v[50:51], v[50:51], -v[114:115]
	s_waitcnt lgkmcnt(0)
	v_mul_f64 v[84:85], v[120:121], v[86:87]
	ds_read2_b64 v[114:117], v254 offset0:26 offset1:27
	v_fma_f64 v[84:85], v[118:119], v[112:113], -v[84:85]
	v_mul_f64 v[118:119], v[118:119], v[86:87]
	v_fmac_f64_e32 v[118:119], v[120:121], v[112:113]
	s_waitcnt vmcnt(13)
	v_add_f64 v[46:47], v[46:47], -v[118:119]
	ds_read2_b64 v[118:121], v254 offset0:28 offset1:29
	v_add_f64 v[44:45], v[44:45], -v[84:85]
	s_waitcnt lgkmcnt(1)
	v_mul_f64 v[84:85], v[116:117], v[86:87]
	v_fma_f64 v[84:85], v[114:115], v[112:113], -v[84:85]
	v_mul_f64 v[114:115], v[114:115], v[86:87]
	v_fmac_f64_e32 v[114:115], v[116:117], v[112:113]
	s_waitcnt vmcnt(12)
	v_add_f64 v[40:41], v[40:41], -v[84:85]
	v_add_f64 v[42:43], v[42:43], -v[114:115]
	s_waitcnt lgkmcnt(0)
	v_mul_f64 v[84:85], v[120:121], v[86:87]
	ds_read2_b64 v[114:117], v254 offset0:30 offset1:31
	v_fma_f64 v[84:85], v[118:119], v[112:113], -v[84:85]
	v_mul_f64 v[118:119], v[118:119], v[86:87]
	v_fmac_f64_e32 v[118:119], v[120:121], v[112:113]
	s_waitcnt vmcnt(11)
	v_add_f64 v[38:39], v[38:39], -v[118:119]
	ds_read2_b64 v[118:121], v254 offset0:32 offset1:33
	v_add_f64 v[36:37], v[36:37], -v[84:85]
	s_waitcnt lgkmcnt(1)
	v_mul_f64 v[84:85], v[116:117], v[86:87]
	v_fma_f64 v[84:85], v[114:115], v[112:113], -v[84:85]
	v_mul_f64 v[114:115], v[114:115], v[86:87]
	v_fmac_f64_e32 v[114:115], v[116:117], v[112:113]
	s_waitcnt vmcnt(10)
	v_add_f64 v[32:33], v[32:33], -v[84:85]
	v_add_f64 v[34:35], v[34:35], -v[114:115]
	s_waitcnt lgkmcnt(0)
	v_mul_f64 v[84:85], v[120:121], v[86:87]
	ds_read2_b64 v[114:117], v254 offset0:34 offset1:35
	v_fma_f64 v[84:85], v[118:119], v[112:113], -v[84:85]
	v_mul_f64 v[118:119], v[118:119], v[86:87]
	v_fmac_f64_e32 v[118:119], v[120:121], v[112:113]
	s_waitcnt vmcnt(9)
	v_add_f64 v[30:31], v[30:31], -v[118:119]
	ds_read2_b64 v[118:121], v254 offset0:36 offset1:37
	v_add_f64 v[28:29], v[28:29], -v[84:85]
	s_waitcnt lgkmcnt(1)
	v_mul_f64 v[84:85], v[116:117], v[86:87]
	v_fma_f64 v[84:85], v[114:115], v[112:113], -v[84:85]
	v_mul_f64 v[114:115], v[114:115], v[86:87]
	v_fmac_f64_e32 v[114:115], v[116:117], v[112:113]
	s_waitcnt vmcnt(8)
	v_add_f64 v[24:25], v[24:25], -v[84:85]
	v_add_f64 v[26:27], v[26:27], -v[114:115]
	s_waitcnt lgkmcnt(0)
	v_mul_f64 v[84:85], v[120:121], v[86:87]
	ds_read2_b64 v[114:117], v254 offset0:38 offset1:39
	v_fma_f64 v[84:85], v[118:119], v[112:113], -v[84:85]
	v_mul_f64 v[118:119], v[118:119], v[86:87]
	v_fmac_f64_e32 v[118:119], v[120:121], v[112:113]
	s_waitcnt vmcnt(7)
	v_add_f64 v[22:23], v[22:23], -v[118:119]
	ds_read2_b64 v[118:121], v254 offset0:40 offset1:41
	v_add_f64 v[20:21], v[20:21], -v[84:85]
	s_waitcnt lgkmcnt(1)
	v_mul_f64 v[84:85], v[116:117], v[86:87]
	v_fma_f64 v[84:85], v[114:115], v[112:113], -v[84:85]
	v_mul_f64 v[114:115], v[114:115], v[86:87]
	v_fmac_f64_e32 v[114:115], v[116:117], v[112:113]
	s_waitcnt vmcnt(6)
	v_add_f64 v[16:17], v[16:17], -v[84:85]
	v_add_f64 v[18:19], v[18:19], -v[114:115]
	s_waitcnt lgkmcnt(0)
	v_mul_f64 v[84:85], v[120:121], v[86:87]
	ds_read2_b64 v[114:117], v254 offset0:42 offset1:43
	v_fma_f64 v[84:85], v[118:119], v[112:113], -v[84:85]
	v_mul_f64 v[118:119], v[118:119], v[86:87]
	v_fmac_f64_e32 v[118:119], v[120:121], v[112:113]
	s_waitcnt vmcnt(5)
	v_add_f64 v[14:15], v[14:15], -v[118:119]
	ds_read2_b64 v[118:121], v254 offset0:44 offset1:45
	v_add_f64 v[12:13], v[12:13], -v[84:85]
	s_waitcnt lgkmcnt(1)
	v_mul_f64 v[84:85], v[116:117], v[86:87]
	v_fma_f64 v[84:85], v[114:115], v[112:113], -v[84:85]
	v_mul_f64 v[114:115], v[114:115], v[86:87]
	v_fmac_f64_e32 v[114:115], v[116:117], v[112:113]
	s_waitcnt vmcnt(4)
	v_add_f64 v[8:9], v[8:9], -v[84:85]
	v_add_f64 v[10:11], v[10:11], -v[114:115]
	s_waitcnt lgkmcnt(0)
	v_mul_f64 v[84:85], v[120:121], v[86:87]
	ds_read2_b64 v[114:117], v254 offset0:46 offset1:47
	v_fma_f64 v[84:85], v[118:119], v[112:113], -v[84:85]
	v_mul_f64 v[118:119], v[118:119], v[86:87]
	v_fmac_f64_e32 v[118:119], v[120:121], v[112:113]
	s_waitcnt vmcnt(3)
	v_add_f64 v[6:7], v[6:7], -v[118:119]
	ds_read2_b64 v[118:121], v254 offset0:48 offset1:49
	v_add_f64 v[4:5], v[4:5], -v[84:85]
	s_waitcnt lgkmcnt(1)
	v_mul_f64 v[84:85], v[116:117], v[86:87]
	v_fma_f64 v[84:85], v[114:115], v[112:113], -v[84:85]
	v_mul_f64 v[114:115], v[114:115], v[86:87]
	v_fmac_f64_e32 v[114:115], v[116:117], v[112:113]
	s_waitcnt vmcnt(2)
	v_add_f64 v[0:1], v[0:1], -v[84:85]
	v_add_f64 v[2:3], v[2:3], -v[114:115]
	s_waitcnt lgkmcnt(0)
	v_mul_f64 v[84:85], v[120:121], v[86:87]
	v_mul_f64 v[114:115], v[118:119], v[86:87]
	v_fma_f64 v[84:85], v[118:119], v[112:113], -v[84:85]
	v_fmac_f64_e32 v[114:115], v[120:121], v[112:113]
	s_waitcnt vmcnt(0)
	v_add_f64 v[96:97], v[96:97], -v[84:85]
	v_add_f64 v[98:99], v[98:99], -v[114:115]
	v_mov_b64_e32 v[84:85], v[112:113]
.LBB49_28:
	s_or_b64 exec, exec, s[2:3]
	v_cmp_eq_u32_e32 vcc, 3, v252
	s_waitcnt lgkmcnt(0)
	s_barrier
	s_and_saveexec_b64 s[4:5], vcc
	s_cbranch_execz .LBB49_35
; %bb.29:
	s_waitcnt vmcnt(22)
	ds_write2_b64 v253, v[80:81], v[82:83] offset1:1
	s_waitcnt vmcnt(21)
	ds_write2_b64 v254, v[76:77], v[78:79] offset0:8 offset1:9
	s_waitcnt vmcnt(20)
	ds_write2_b64 v254, v[72:73], v[74:75] offset0:10 offset1:11
	;; [unrolled: 2-line block ×21, first 2 shown]
	ds_read2_b64 v[112:115], v253 offset1:1
	s_waitcnt lgkmcnt(0)
	v_cmp_neq_f64_e32 vcc, 0, v[112:113]
	v_cmp_neq_f64_e64 s[2:3], 0, v[114:115]
	s_or_b64 s[2:3], vcc, s[2:3]
	s_and_b64 exec, exec, s[2:3]
	s_cbranch_execz .LBB49_35
; %bb.30:
	v_cmp_ngt_f64_e64 s[2:3], |v[112:113]|, |v[114:115]|
                                        ; implicit-def: $vgpr116_vgpr117
	s_and_saveexec_b64 s[10:11], s[2:3]
	s_xor_b64 s[2:3], exec, s[10:11]
                                        ; implicit-def: $vgpr118_vgpr119
	s_cbranch_execz .LBB49_32
; %bb.31:
	v_div_scale_f64 v[116:117], s[10:11], v[114:115], v[114:115], v[112:113]
	v_rcp_f64_e32 v[118:119], v[116:117]
	v_div_scale_f64 v[120:121], vcc, v[112:113], v[114:115], v[112:113]
	v_fma_f64 v[122:123], -v[116:117], v[118:119], 1.0
	v_fmac_f64_e32 v[118:119], v[118:119], v[122:123]
	v_fma_f64 v[122:123], -v[116:117], v[118:119], 1.0
	v_fmac_f64_e32 v[118:119], v[118:119], v[122:123]
	v_mul_f64 v[122:123], v[120:121], v[118:119]
	v_fma_f64 v[116:117], -v[116:117], v[122:123], v[120:121]
	v_div_fmas_f64 v[116:117], v[116:117], v[118:119], v[122:123]
	v_div_fixup_f64 v[116:117], v[116:117], v[114:115], v[112:113]
	v_fmac_f64_e32 v[114:115], v[112:113], v[116:117]
	v_div_scale_f64 v[112:113], s[10:11], v[114:115], v[114:115], 1.0
	v_rcp_f64_e32 v[118:119], v[112:113]
	s_nop 0
	v_fma_f64 v[120:121], -v[112:113], v[118:119], 1.0
	v_fmac_f64_e32 v[118:119], v[118:119], v[120:121]
	v_fma_f64 v[120:121], -v[112:113], v[118:119], 1.0
	v_fmac_f64_e32 v[118:119], v[118:119], v[120:121]
	v_div_scale_f64 v[120:121], vcc, 1.0, v[114:115], 1.0
	v_mul_f64 v[122:123], v[120:121], v[118:119]
	v_fma_f64 v[112:113], -v[112:113], v[122:123], v[120:121]
	s_nop 1
	v_div_fmas_f64 v[112:113], v[112:113], v[118:119], v[122:123]
	v_div_fixup_f64 v[118:119], v[112:113], v[114:115], 1.0
	v_mul_f64 v[116:117], v[116:117], v[118:119]
	v_xor_b32_e32 v119, 0x80000000, v119
                                        ; implicit-def: $vgpr112_vgpr113
.LBB49_32:
	s_andn2_saveexec_b64 s[2:3], s[2:3]
	s_cbranch_execz .LBB49_34
; %bb.33:
	v_div_scale_f64 v[116:117], s[10:11], v[112:113], v[112:113], v[114:115]
	v_rcp_f64_e32 v[118:119], v[116:117]
	v_div_scale_f64 v[120:121], vcc, v[114:115], v[112:113], v[114:115]
	v_fma_f64 v[122:123], -v[116:117], v[118:119], 1.0
	v_fmac_f64_e32 v[118:119], v[118:119], v[122:123]
	v_fma_f64 v[122:123], -v[116:117], v[118:119], 1.0
	v_fmac_f64_e32 v[118:119], v[118:119], v[122:123]
	v_mul_f64 v[122:123], v[120:121], v[118:119]
	v_fma_f64 v[116:117], -v[116:117], v[122:123], v[120:121]
	v_div_fmas_f64 v[116:117], v[116:117], v[118:119], v[122:123]
	v_div_fixup_f64 v[118:119], v[116:117], v[112:113], v[114:115]
	v_fmac_f64_e32 v[112:113], v[114:115], v[118:119]
	v_div_scale_f64 v[114:115], s[10:11], v[112:113], v[112:113], 1.0
	v_rcp_f64_e32 v[116:117], v[114:115]
	s_nop 0
	v_fma_f64 v[120:121], -v[114:115], v[116:117], 1.0
	v_fmac_f64_e32 v[116:117], v[116:117], v[120:121]
	v_fma_f64 v[120:121], -v[114:115], v[116:117], 1.0
	v_fmac_f64_e32 v[116:117], v[116:117], v[120:121]
	v_div_scale_f64 v[120:121], vcc, 1.0, v[112:113], 1.0
	v_mul_f64 v[122:123], v[120:121], v[116:117]
	v_fma_f64 v[114:115], -v[114:115], v[122:123], v[120:121]
	s_nop 1
	v_div_fmas_f64 v[114:115], v[114:115], v[116:117], v[122:123]
	v_div_fixup_f64 v[116:117], v[114:115], v[112:113], 1.0
	v_mul_f64 v[118:119], v[118:119], -v[116:117]
.LBB49_34:
	s_or_b64 exec, exec, s[2:3]
	ds_write2_b64 v253, v[116:117], v[118:119] offset1:1
.LBB49_35:
	s_or_b64 exec, exec, s[4:5]
	s_waitcnt lgkmcnt(0)
	s_barrier
	ds_read2_b64 v[112:115], v253 offset1:1
	v_cmp_lt_u32_e32 vcc, 3, v252
	s_and_saveexec_b64 s[2:3], vcc
	s_cbranch_execz .LBB49_37
; %bb.36:
	ds_read2_b64 v[118:121], v254 offset0:8 offset1:9
	ds_read2_b64 v[122:125], v254 offset0:10 offset1:11
	s_waitcnt vmcnt(22) lgkmcnt(2)
	v_mul_f64 v[116:117], v[114:115], v[82:83]
	v_mul_f64 v[82:83], v[112:113], v[82:83]
	v_fmac_f64_e32 v[82:83], v[114:115], v[80:81]
	v_fma_f64 v[116:117], v[112:113], v[80:81], -v[116:117]
	s_waitcnt lgkmcnt(1)
	v_mul_f64 v[80:81], v[120:121], v[82:83]
	v_fma_f64 v[80:81], v[118:119], v[116:117], -v[80:81]
	v_mul_f64 v[118:119], v[118:119], v[82:83]
	v_fmac_f64_e32 v[118:119], v[120:121], v[116:117]
	s_waitcnt vmcnt(21)
	v_add_f64 v[78:79], v[78:79], -v[118:119]
	ds_read2_b64 v[118:121], v254 offset0:12 offset1:13
	v_add_f64 v[76:77], v[76:77], -v[80:81]
	s_waitcnt lgkmcnt(1)
	v_mul_f64 v[80:81], v[124:125], v[82:83]
	v_fma_f64 v[80:81], v[122:123], v[116:117], -v[80:81]
	v_mul_f64 v[122:123], v[122:123], v[82:83]
	v_fmac_f64_e32 v[122:123], v[124:125], v[116:117]
	s_waitcnt vmcnt(20)
	v_add_f64 v[72:73], v[72:73], -v[80:81]
	v_add_f64 v[74:75], v[74:75], -v[122:123]
	ds_read2_b64 v[122:125], v254 offset0:14 offset1:15
	s_waitcnt lgkmcnt(1)
	v_mul_f64 v[80:81], v[120:121], v[82:83]
	v_fma_f64 v[80:81], v[118:119], v[116:117], -v[80:81]
	v_mul_f64 v[118:119], v[118:119], v[82:83]
	v_fmac_f64_e32 v[118:119], v[120:121], v[116:117]
	s_waitcnt vmcnt(19)
	v_add_f64 v[70:71], v[70:71], -v[118:119]
	ds_read2_b64 v[118:121], v254 offset0:16 offset1:17
	v_add_f64 v[68:69], v[68:69], -v[80:81]
	s_waitcnt lgkmcnt(1)
	v_mul_f64 v[80:81], v[124:125], v[82:83]
	v_fma_f64 v[80:81], v[122:123], v[116:117], -v[80:81]
	v_mul_f64 v[122:123], v[122:123], v[82:83]
	v_fmac_f64_e32 v[122:123], v[124:125], v[116:117]
	s_waitcnt vmcnt(18)
	v_add_f64 v[64:65], v[64:65], -v[80:81]
	v_add_f64 v[66:67], v[66:67], -v[122:123]
	ds_read2_b64 v[122:125], v254 offset0:18 offset1:19
	;; [unrolled: 18-line block ×9, first 2 shown]
	s_waitcnt lgkmcnt(1)
	v_mul_f64 v[80:81], v[120:121], v[82:83]
	v_fma_f64 v[80:81], v[118:119], v[116:117], -v[80:81]
	v_mul_f64 v[118:119], v[118:119], v[82:83]
	v_fmac_f64_e32 v[118:119], v[120:121], v[116:117]
	s_waitcnt vmcnt(3)
	v_add_f64 v[6:7], v[6:7], -v[118:119]
	ds_read2_b64 v[118:121], v254 offset0:48 offset1:49
	v_add_f64 v[4:5], v[4:5], -v[80:81]
	s_waitcnt lgkmcnt(1)
	v_mul_f64 v[80:81], v[124:125], v[82:83]
	v_fma_f64 v[80:81], v[122:123], v[116:117], -v[80:81]
	s_waitcnt vmcnt(2)
	v_add_f64 v[0:1], v[0:1], -v[80:81]
	s_waitcnt lgkmcnt(0)
	v_mul_f64 v[80:81], v[120:121], v[82:83]
	v_mul_f64 v[122:123], v[122:123], v[82:83]
	v_fma_f64 v[80:81], v[118:119], v[116:117], -v[80:81]
	v_mul_f64 v[118:119], v[118:119], v[82:83]
	v_fmac_f64_e32 v[122:123], v[124:125], v[116:117]
	v_fmac_f64_e32 v[118:119], v[120:121], v[116:117]
	v_add_f64 v[2:3], v[2:3], -v[122:123]
	s_waitcnt vmcnt(0)
	v_add_f64 v[96:97], v[96:97], -v[80:81]
	v_add_f64 v[98:99], v[98:99], -v[118:119]
	v_mov_b64_e32 v[80:81], v[116:117]
.LBB49_37:
	s_or_b64 exec, exec, s[2:3]
	v_cmp_eq_u32_e32 vcc, 4, v252
	s_waitcnt lgkmcnt(0)
	s_barrier
	s_and_saveexec_b64 s[4:5], vcc
	s_cbranch_execz .LBB49_44
; %bb.38:
	s_waitcnt vmcnt(21)
	ds_write2_b64 v253, v[76:77], v[78:79] offset1:1
	s_waitcnt vmcnt(20)
	ds_write2_b64 v254, v[72:73], v[74:75] offset0:10 offset1:11
	s_waitcnt vmcnt(19)
	ds_write2_b64 v254, v[68:69], v[70:71] offset0:12 offset1:13
	;; [unrolled: 2-line block ×20, first 2 shown]
	ds_read2_b64 v[116:119], v253 offset1:1
	s_waitcnt lgkmcnt(0)
	v_cmp_neq_f64_e32 vcc, 0, v[116:117]
	v_cmp_neq_f64_e64 s[2:3], 0, v[118:119]
	s_or_b64 s[2:3], vcc, s[2:3]
	s_and_b64 exec, exec, s[2:3]
	s_cbranch_execz .LBB49_44
; %bb.39:
	v_cmp_ngt_f64_e64 s[2:3], |v[116:117]|, |v[118:119]|
                                        ; implicit-def: $vgpr120_vgpr121
	s_and_saveexec_b64 s[10:11], s[2:3]
	s_xor_b64 s[2:3], exec, s[10:11]
                                        ; implicit-def: $vgpr122_vgpr123
	s_cbranch_execz .LBB49_41
; %bb.40:
	v_div_scale_f64 v[120:121], s[10:11], v[118:119], v[118:119], v[116:117]
	v_rcp_f64_e32 v[122:123], v[120:121]
	v_div_scale_f64 v[124:125], vcc, v[116:117], v[118:119], v[116:117]
	v_fma_f64 v[126:127], -v[120:121], v[122:123], 1.0
	v_fmac_f64_e32 v[122:123], v[122:123], v[126:127]
	v_fma_f64 v[126:127], -v[120:121], v[122:123], 1.0
	v_fmac_f64_e32 v[122:123], v[122:123], v[126:127]
	v_mul_f64 v[126:127], v[124:125], v[122:123]
	v_fma_f64 v[120:121], -v[120:121], v[126:127], v[124:125]
	v_div_fmas_f64 v[120:121], v[120:121], v[122:123], v[126:127]
	v_div_fixup_f64 v[120:121], v[120:121], v[118:119], v[116:117]
	v_fmac_f64_e32 v[118:119], v[116:117], v[120:121]
	v_div_scale_f64 v[116:117], s[10:11], v[118:119], v[118:119], 1.0
	v_rcp_f64_e32 v[122:123], v[116:117]
	s_nop 0
	v_fma_f64 v[124:125], -v[116:117], v[122:123], 1.0
	v_fmac_f64_e32 v[122:123], v[122:123], v[124:125]
	v_fma_f64 v[124:125], -v[116:117], v[122:123], 1.0
	v_fmac_f64_e32 v[122:123], v[122:123], v[124:125]
	v_div_scale_f64 v[124:125], vcc, 1.0, v[118:119], 1.0
	v_mul_f64 v[126:127], v[124:125], v[122:123]
	v_fma_f64 v[116:117], -v[116:117], v[126:127], v[124:125]
	s_nop 1
	v_div_fmas_f64 v[116:117], v[116:117], v[122:123], v[126:127]
	v_div_fixup_f64 v[122:123], v[116:117], v[118:119], 1.0
	v_mul_f64 v[120:121], v[120:121], v[122:123]
	v_xor_b32_e32 v123, 0x80000000, v123
                                        ; implicit-def: $vgpr116_vgpr117
.LBB49_41:
	s_andn2_saveexec_b64 s[2:3], s[2:3]
	s_cbranch_execz .LBB49_43
; %bb.42:
	v_div_scale_f64 v[120:121], s[10:11], v[116:117], v[116:117], v[118:119]
	v_rcp_f64_e32 v[122:123], v[120:121]
	v_div_scale_f64 v[124:125], vcc, v[118:119], v[116:117], v[118:119]
	v_fma_f64 v[126:127], -v[120:121], v[122:123], 1.0
	v_fmac_f64_e32 v[122:123], v[122:123], v[126:127]
	v_fma_f64 v[126:127], -v[120:121], v[122:123], 1.0
	v_fmac_f64_e32 v[122:123], v[122:123], v[126:127]
	v_mul_f64 v[126:127], v[124:125], v[122:123]
	v_fma_f64 v[120:121], -v[120:121], v[126:127], v[124:125]
	v_div_fmas_f64 v[120:121], v[120:121], v[122:123], v[126:127]
	v_div_fixup_f64 v[122:123], v[120:121], v[116:117], v[118:119]
	v_fmac_f64_e32 v[116:117], v[118:119], v[122:123]
	v_div_scale_f64 v[118:119], s[10:11], v[116:117], v[116:117], 1.0
	v_rcp_f64_e32 v[120:121], v[118:119]
	s_nop 0
	v_fma_f64 v[124:125], -v[118:119], v[120:121], 1.0
	v_fmac_f64_e32 v[120:121], v[120:121], v[124:125]
	v_fma_f64 v[124:125], -v[118:119], v[120:121], 1.0
	v_fmac_f64_e32 v[120:121], v[120:121], v[124:125]
	v_div_scale_f64 v[124:125], vcc, 1.0, v[116:117], 1.0
	v_mul_f64 v[126:127], v[124:125], v[120:121]
	v_fma_f64 v[118:119], -v[118:119], v[126:127], v[124:125]
	s_nop 1
	v_div_fmas_f64 v[118:119], v[118:119], v[120:121], v[126:127]
	v_div_fixup_f64 v[120:121], v[118:119], v[116:117], 1.0
	v_mul_f64 v[122:123], v[122:123], -v[120:121]
.LBB49_43:
	s_or_b64 exec, exec, s[2:3]
	ds_write2_b64 v253, v[120:121], v[122:123] offset1:1
.LBB49_44:
	s_or_b64 exec, exec, s[4:5]
	s_waitcnt lgkmcnt(0)
	s_barrier
	ds_read2_b64 v[116:119], v253 offset1:1
	v_cmp_lt_u32_e32 vcc, 4, v252
	s_and_saveexec_b64 s[2:3], vcc
	s_cbranch_execz .LBB49_46
; %bb.45:
	ds_read2_b64 v[122:125], v254 offset0:10 offset1:11
	ds_read2_b64 v[126:129], v254 offset0:12 offset1:13
	s_waitcnt vmcnt(21) lgkmcnt(2)
	v_mul_f64 v[120:121], v[118:119], v[78:79]
	v_mul_f64 v[78:79], v[116:117], v[78:79]
	v_fmac_f64_e32 v[78:79], v[118:119], v[76:77]
	v_fma_f64 v[120:121], v[116:117], v[76:77], -v[120:121]
	s_waitcnt lgkmcnt(1)
	v_mul_f64 v[76:77], v[124:125], v[78:79]
	v_fma_f64 v[76:77], v[122:123], v[120:121], -v[76:77]
	v_mul_f64 v[122:123], v[122:123], v[78:79]
	v_fmac_f64_e32 v[122:123], v[124:125], v[120:121]
	s_waitcnt vmcnt(20)
	v_add_f64 v[72:73], v[72:73], -v[76:77]
	v_add_f64 v[74:75], v[74:75], -v[122:123]
	s_waitcnt lgkmcnt(0)
	v_mul_f64 v[76:77], v[128:129], v[78:79]
	ds_read2_b64 v[122:125], v254 offset0:14 offset1:15
	v_fma_f64 v[76:77], v[126:127], v[120:121], -v[76:77]
	v_mul_f64 v[126:127], v[126:127], v[78:79]
	v_fmac_f64_e32 v[126:127], v[128:129], v[120:121]
	s_waitcnt vmcnt(19)
	v_add_f64 v[70:71], v[70:71], -v[126:127]
	ds_read2_b64 v[126:129], v254 offset0:16 offset1:17
	v_add_f64 v[68:69], v[68:69], -v[76:77]
	s_waitcnt lgkmcnt(1)
	v_mul_f64 v[76:77], v[124:125], v[78:79]
	v_fma_f64 v[76:77], v[122:123], v[120:121], -v[76:77]
	v_mul_f64 v[122:123], v[122:123], v[78:79]
	v_fmac_f64_e32 v[122:123], v[124:125], v[120:121]
	s_waitcnt vmcnt(18)
	v_add_f64 v[64:65], v[64:65], -v[76:77]
	v_add_f64 v[66:67], v[66:67], -v[122:123]
	s_waitcnt lgkmcnt(0)
	v_mul_f64 v[76:77], v[128:129], v[78:79]
	ds_read2_b64 v[122:125], v254 offset0:18 offset1:19
	v_fma_f64 v[76:77], v[126:127], v[120:121], -v[76:77]
	v_mul_f64 v[126:127], v[126:127], v[78:79]
	v_fmac_f64_e32 v[126:127], v[128:129], v[120:121]
	s_waitcnt vmcnt(17)
	v_add_f64 v[62:63], v[62:63], -v[126:127]
	ds_read2_b64 v[126:129], v254 offset0:20 offset1:21
	v_add_f64 v[60:61], v[60:61], -v[76:77]
	;; [unrolled: 18-line block ×9, first 2 shown]
	s_waitcnt lgkmcnt(1)
	v_mul_f64 v[76:77], v[124:125], v[78:79]
	v_fma_f64 v[76:77], v[122:123], v[120:121], -v[76:77]
	v_mul_f64 v[122:123], v[122:123], v[78:79]
	v_fmac_f64_e32 v[122:123], v[124:125], v[120:121]
	s_waitcnt vmcnt(2)
	v_add_f64 v[0:1], v[0:1], -v[76:77]
	v_add_f64 v[2:3], v[2:3], -v[122:123]
	s_waitcnt lgkmcnt(0)
	v_mul_f64 v[76:77], v[128:129], v[78:79]
	v_mul_f64 v[122:123], v[126:127], v[78:79]
	v_fma_f64 v[76:77], v[126:127], v[120:121], -v[76:77]
	v_fmac_f64_e32 v[122:123], v[128:129], v[120:121]
	s_waitcnt vmcnt(0)
	v_add_f64 v[96:97], v[96:97], -v[76:77]
	v_add_f64 v[98:99], v[98:99], -v[122:123]
	v_mov_b64_e32 v[76:77], v[120:121]
.LBB49_46:
	s_or_b64 exec, exec, s[2:3]
	v_cmp_eq_u32_e32 vcc, 5, v252
	s_waitcnt lgkmcnt(0)
	s_barrier
	s_and_saveexec_b64 s[4:5], vcc
	s_cbranch_execz .LBB49_53
; %bb.47:
	s_waitcnt vmcnt(20)
	ds_write2_b64 v253, v[72:73], v[74:75] offset1:1
	s_waitcnt vmcnt(19)
	ds_write2_b64 v254, v[68:69], v[70:71] offset0:12 offset1:13
	s_waitcnt vmcnt(18)
	ds_write2_b64 v254, v[64:65], v[66:67] offset0:14 offset1:15
	;; [unrolled: 2-line block ×19, first 2 shown]
	ds_read2_b64 v[120:123], v253 offset1:1
	s_waitcnt lgkmcnt(0)
	v_cmp_neq_f64_e32 vcc, 0, v[120:121]
	v_cmp_neq_f64_e64 s[2:3], 0, v[122:123]
	s_or_b64 s[2:3], vcc, s[2:3]
	s_and_b64 exec, exec, s[2:3]
	s_cbranch_execz .LBB49_53
; %bb.48:
	v_cmp_ngt_f64_e64 s[2:3], |v[120:121]|, |v[122:123]|
                                        ; implicit-def: $vgpr124_vgpr125
	s_and_saveexec_b64 s[10:11], s[2:3]
	s_xor_b64 s[2:3], exec, s[10:11]
                                        ; implicit-def: $vgpr126_vgpr127
	s_cbranch_execz .LBB49_50
; %bb.49:
	v_div_scale_f64 v[124:125], s[10:11], v[122:123], v[122:123], v[120:121]
	v_rcp_f64_e32 v[126:127], v[124:125]
	v_div_scale_f64 v[128:129], vcc, v[120:121], v[122:123], v[120:121]
	v_fma_f64 v[130:131], -v[124:125], v[126:127], 1.0
	v_fmac_f64_e32 v[126:127], v[126:127], v[130:131]
	v_fma_f64 v[130:131], -v[124:125], v[126:127], 1.0
	v_fmac_f64_e32 v[126:127], v[126:127], v[130:131]
	v_mul_f64 v[130:131], v[128:129], v[126:127]
	v_fma_f64 v[124:125], -v[124:125], v[130:131], v[128:129]
	v_div_fmas_f64 v[124:125], v[124:125], v[126:127], v[130:131]
	v_div_fixup_f64 v[124:125], v[124:125], v[122:123], v[120:121]
	v_fmac_f64_e32 v[122:123], v[120:121], v[124:125]
	v_div_scale_f64 v[120:121], s[10:11], v[122:123], v[122:123], 1.0
	v_rcp_f64_e32 v[126:127], v[120:121]
	s_nop 0
	v_fma_f64 v[128:129], -v[120:121], v[126:127], 1.0
	v_fmac_f64_e32 v[126:127], v[126:127], v[128:129]
	v_fma_f64 v[128:129], -v[120:121], v[126:127], 1.0
	v_fmac_f64_e32 v[126:127], v[126:127], v[128:129]
	v_div_scale_f64 v[128:129], vcc, 1.0, v[122:123], 1.0
	v_mul_f64 v[130:131], v[128:129], v[126:127]
	v_fma_f64 v[120:121], -v[120:121], v[130:131], v[128:129]
	s_nop 1
	v_div_fmas_f64 v[120:121], v[120:121], v[126:127], v[130:131]
	v_div_fixup_f64 v[126:127], v[120:121], v[122:123], 1.0
	v_mul_f64 v[124:125], v[124:125], v[126:127]
	v_xor_b32_e32 v127, 0x80000000, v127
                                        ; implicit-def: $vgpr120_vgpr121
.LBB49_50:
	s_andn2_saveexec_b64 s[2:3], s[2:3]
	s_cbranch_execz .LBB49_52
; %bb.51:
	v_div_scale_f64 v[124:125], s[10:11], v[120:121], v[120:121], v[122:123]
	v_rcp_f64_e32 v[126:127], v[124:125]
	v_div_scale_f64 v[128:129], vcc, v[122:123], v[120:121], v[122:123]
	v_fma_f64 v[130:131], -v[124:125], v[126:127], 1.0
	v_fmac_f64_e32 v[126:127], v[126:127], v[130:131]
	v_fma_f64 v[130:131], -v[124:125], v[126:127], 1.0
	v_fmac_f64_e32 v[126:127], v[126:127], v[130:131]
	v_mul_f64 v[130:131], v[128:129], v[126:127]
	v_fma_f64 v[124:125], -v[124:125], v[130:131], v[128:129]
	v_div_fmas_f64 v[124:125], v[124:125], v[126:127], v[130:131]
	v_div_fixup_f64 v[126:127], v[124:125], v[120:121], v[122:123]
	v_fmac_f64_e32 v[120:121], v[122:123], v[126:127]
	v_div_scale_f64 v[122:123], s[10:11], v[120:121], v[120:121], 1.0
	v_rcp_f64_e32 v[124:125], v[122:123]
	s_nop 0
	v_fma_f64 v[128:129], -v[122:123], v[124:125], 1.0
	v_fmac_f64_e32 v[124:125], v[124:125], v[128:129]
	v_fma_f64 v[128:129], -v[122:123], v[124:125], 1.0
	v_fmac_f64_e32 v[124:125], v[124:125], v[128:129]
	v_div_scale_f64 v[128:129], vcc, 1.0, v[120:121], 1.0
	v_mul_f64 v[130:131], v[128:129], v[124:125]
	v_fma_f64 v[122:123], -v[122:123], v[130:131], v[128:129]
	s_nop 1
	v_div_fmas_f64 v[122:123], v[122:123], v[124:125], v[130:131]
	v_div_fixup_f64 v[124:125], v[122:123], v[120:121], 1.0
	v_mul_f64 v[126:127], v[126:127], -v[124:125]
.LBB49_52:
	s_or_b64 exec, exec, s[2:3]
	ds_write2_b64 v253, v[124:125], v[126:127] offset1:1
.LBB49_53:
	s_or_b64 exec, exec, s[4:5]
	s_waitcnt lgkmcnt(0)
	s_barrier
	ds_read2_b64 v[120:123], v253 offset1:1
	v_cmp_lt_u32_e32 vcc, 5, v252
	s_and_saveexec_b64 s[2:3], vcc
	s_cbranch_execz .LBB49_55
; %bb.54:
	ds_read2_b64 v[126:129], v254 offset0:12 offset1:13
	ds_read2_b64 v[130:133], v254 offset0:14 offset1:15
	s_waitcnt vmcnt(20) lgkmcnt(2)
	v_mul_f64 v[124:125], v[122:123], v[74:75]
	v_mul_f64 v[74:75], v[120:121], v[74:75]
	v_fmac_f64_e32 v[74:75], v[122:123], v[72:73]
	v_fma_f64 v[124:125], v[120:121], v[72:73], -v[124:125]
	s_waitcnt lgkmcnt(1)
	v_mul_f64 v[72:73], v[128:129], v[74:75]
	v_fma_f64 v[72:73], v[126:127], v[124:125], -v[72:73]
	v_mul_f64 v[126:127], v[126:127], v[74:75]
	v_fmac_f64_e32 v[126:127], v[128:129], v[124:125]
	s_waitcnt vmcnt(19)
	v_add_f64 v[70:71], v[70:71], -v[126:127]
	ds_read2_b64 v[126:129], v254 offset0:16 offset1:17
	v_add_f64 v[68:69], v[68:69], -v[72:73]
	s_waitcnt lgkmcnt(1)
	v_mul_f64 v[72:73], v[132:133], v[74:75]
	v_fma_f64 v[72:73], v[130:131], v[124:125], -v[72:73]
	v_mul_f64 v[130:131], v[130:131], v[74:75]
	v_fmac_f64_e32 v[130:131], v[132:133], v[124:125]
	s_waitcnt vmcnt(18)
	v_add_f64 v[64:65], v[64:65], -v[72:73]
	v_add_f64 v[66:67], v[66:67], -v[130:131]
	ds_read2_b64 v[130:133], v254 offset0:18 offset1:19
	s_waitcnt lgkmcnt(1)
	v_mul_f64 v[72:73], v[128:129], v[74:75]
	v_fma_f64 v[72:73], v[126:127], v[124:125], -v[72:73]
	v_mul_f64 v[126:127], v[126:127], v[74:75]
	v_fmac_f64_e32 v[126:127], v[128:129], v[124:125]
	s_waitcnt vmcnt(17)
	v_add_f64 v[62:63], v[62:63], -v[126:127]
	ds_read2_b64 v[126:129], v254 offset0:20 offset1:21
	v_add_f64 v[60:61], v[60:61], -v[72:73]
	s_waitcnt lgkmcnt(1)
	v_mul_f64 v[72:73], v[132:133], v[74:75]
	v_fma_f64 v[72:73], v[130:131], v[124:125], -v[72:73]
	v_mul_f64 v[130:131], v[130:131], v[74:75]
	v_fmac_f64_e32 v[130:131], v[132:133], v[124:125]
	s_waitcnt vmcnt(16)
	v_add_f64 v[56:57], v[56:57], -v[72:73]
	v_add_f64 v[58:59], v[58:59], -v[130:131]
	ds_read2_b64 v[130:133], v254 offset0:22 offset1:23
	;; [unrolled: 18-line block ×8, first 2 shown]
	s_waitcnt lgkmcnt(1)
	v_mul_f64 v[72:73], v[128:129], v[74:75]
	v_fma_f64 v[72:73], v[126:127], v[124:125], -v[72:73]
	v_mul_f64 v[126:127], v[126:127], v[74:75]
	v_fmac_f64_e32 v[126:127], v[128:129], v[124:125]
	s_waitcnt vmcnt(3)
	v_add_f64 v[6:7], v[6:7], -v[126:127]
	ds_read2_b64 v[126:129], v254 offset0:48 offset1:49
	v_add_f64 v[4:5], v[4:5], -v[72:73]
	s_waitcnt lgkmcnt(1)
	v_mul_f64 v[72:73], v[132:133], v[74:75]
	v_fma_f64 v[72:73], v[130:131], v[124:125], -v[72:73]
	s_waitcnt vmcnt(2)
	v_add_f64 v[0:1], v[0:1], -v[72:73]
	s_waitcnt lgkmcnt(0)
	v_mul_f64 v[72:73], v[128:129], v[74:75]
	v_mul_f64 v[130:131], v[130:131], v[74:75]
	v_fma_f64 v[72:73], v[126:127], v[124:125], -v[72:73]
	v_mul_f64 v[126:127], v[126:127], v[74:75]
	v_fmac_f64_e32 v[130:131], v[132:133], v[124:125]
	v_fmac_f64_e32 v[126:127], v[128:129], v[124:125]
	v_add_f64 v[2:3], v[2:3], -v[130:131]
	s_waitcnt vmcnt(0)
	v_add_f64 v[96:97], v[96:97], -v[72:73]
	v_add_f64 v[98:99], v[98:99], -v[126:127]
	v_mov_b64_e32 v[72:73], v[124:125]
.LBB49_55:
	s_or_b64 exec, exec, s[2:3]
	v_cmp_eq_u32_e32 vcc, 6, v252
	s_waitcnt lgkmcnt(0)
	s_barrier
	s_and_saveexec_b64 s[4:5], vcc
	s_cbranch_execz .LBB49_62
; %bb.56:
	s_waitcnt vmcnt(19)
	ds_write2_b64 v253, v[68:69], v[70:71] offset1:1
	s_waitcnt vmcnt(18)
	ds_write2_b64 v254, v[64:65], v[66:67] offset0:14 offset1:15
	s_waitcnt vmcnt(17)
	ds_write2_b64 v254, v[60:61], v[62:63] offset0:16 offset1:17
	;; [unrolled: 2-line block ×18, first 2 shown]
	ds_read2_b64 v[124:127], v253 offset1:1
	s_waitcnt lgkmcnt(0)
	v_cmp_neq_f64_e32 vcc, 0, v[124:125]
	v_cmp_neq_f64_e64 s[2:3], 0, v[126:127]
	s_or_b64 s[2:3], vcc, s[2:3]
	s_and_b64 exec, exec, s[2:3]
	s_cbranch_execz .LBB49_62
; %bb.57:
	v_cmp_ngt_f64_e64 s[2:3], |v[124:125]|, |v[126:127]|
                                        ; implicit-def: $vgpr128_vgpr129
	s_and_saveexec_b64 s[10:11], s[2:3]
	s_xor_b64 s[2:3], exec, s[10:11]
                                        ; implicit-def: $vgpr130_vgpr131
	s_cbranch_execz .LBB49_59
; %bb.58:
	v_div_scale_f64 v[128:129], s[10:11], v[126:127], v[126:127], v[124:125]
	v_rcp_f64_e32 v[130:131], v[128:129]
	v_div_scale_f64 v[132:133], vcc, v[124:125], v[126:127], v[124:125]
	v_fma_f64 v[134:135], -v[128:129], v[130:131], 1.0
	v_fmac_f64_e32 v[130:131], v[130:131], v[134:135]
	v_fma_f64 v[134:135], -v[128:129], v[130:131], 1.0
	v_fmac_f64_e32 v[130:131], v[130:131], v[134:135]
	v_mul_f64 v[134:135], v[132:133], v[130:131]
	v_fma_f64 v[128:129], -v[128:129], v[134:135], v[132:133]
	v_div_fmas_f64 v[128:129], v[128:129], v[130:131], v[134:135]
	v_div_fixup_f64 v[128:129], v[128:129], v[126:127], v[124:125]
	v_fmac_f64_e32 v[126:127], v[124:125], v[128:129]
	v_div_scale_f64 v[124:125], s[10:11], v[126:127], v[126:127], 1.0
	v_rcp_f64_e32 v[130:131], v[124:125]
	s_nop 0
	v_fma_f64 v[132:133], -v[124:125], v[130:131], 1.0
	v_fmac_f64_e32 v[130:131], v[130:131], v[132:133]
	v_fma_f64 v[132:133], -v[124:125], v[130:131], 1.0
	v_fmac_f64_e32 v[130:131], v[130:131], v[132:133]
	v_div_scale_f64 v[132:133], vcc, 1.0, v[126:127], 1.0
	v_mul_f64 v[134:135], v[132:133], v[130:131]
	v_fma_f64 v[124:125], -v[124:125], v[134:135], v[132:133]
	s_nop 1
	v_div_fmas_f64 v[124:125], v[124:125], v[130:131], v[134:135]
	v_div_fixup_f64 v[130:131], v[124:125], v[126:127], 1.0
	v_mul_f64 v[128:129], v[128:129], v[130:131]
	v_xor_b32_e32 v131, 0x80000000, v131
                                        ; implicit-def: $vgpr124_vgpr125
.LBB49_59:
	s_andn2_saveexec_b64 s[2:3], s[2:3]
	s_cbranch_execz .LBB49_61
; %bb.60:
	v_div_scale_f64 v[128:129], s[10:11], v[124:125], v[124:125], v[126:127]
	v_rcp_f64_e32 v[130:131], v[128:129]
	v_div_scale_f64 v[132:133], vcc, v[126:127], v[124:125], v[126:127]
	v_fma_f64 v[134:135], -v[128:129], v[130:131], 1.0
	v_fmac_f64_e32 v[130:131], v[130:131], v[134:135]
	v_fma_f64 v[134:135], -v[128:129], v[130:131], 1.0
	v_fmac_f64_e32 v[130:131], v[130:131], v[134:135]
	v_mul_f64 v[134:135], v[132:133], v[130:131]
	v_fma_f64 v[128:129], -v[128:129], v[134:135], v[132:133]
	v_div_fmas_f64 v[128:129], v[128:129], v[130:131], v[134:135]
	v_div_fixup_f64 v[130:131], v[128:129], v[124:125], v[126:127]
	v_fmac_f64_e32 v[124:125], v[126:127], v[130:131]
	v_div_scale_f64 v[126:127], s[10:11], v[124:125], v[124:125], 1.0
	v_rcp_f64_e32 v[128:129], v[126:127]
	s_nop 0
	v_fma_f64 v[132:133], -v[126:127], v[128:129], 1.0
	v_fmac_f64_e32 v[128:129], v[128:129], v[132:133]
	v_fma_f64 v[132:133], -v[126:127], v[128:129], 1.0
	v_fmac_f64_e32 v[128:129], v[128:129], v[132:133]
	v_div_scale_f64 v[132:133], vcc, 1.0, v[124:125], 1.0
	v_mul_f64 v[134:135], v[132:133], v[128:129]
	v_fma_f64 v[126:127], -v[126:127], v[134:135], v[132:133]
	s_nop 1
	v_div_fmas_f64 v[126:127], v[126:127], v[128:129], v[134:135]
	v_div_fixup_f64 v[128:129], v[126:127], v[124:125], 1.0
	v_mul_f64 v[130:131], v[130:131], -v[128:129]
.LBB49_61:
	s_or_b64 exec, exec, s[2:3]
	ds_write2_b64 v253, v[128:129], v[130:131] offset1:1
.LBB49_62:
	s_or_b64 exec, exec, s[4:5]
	s_waitcnt lgkmcnt(0)
	s_barrier
	ds_read2_b64 v[124:127], v253 offset1:1
	v_cmp_lt_u32_e32 vcc, 6, v252
	s_and_saveexec_b64 s[2:3], vcc
	s_cbranch_execz .LBB49_64
; %bb.63:
	ds_read2_b64 v[130:133], v254 offset0:14 offset1:15
	ds_read2_b64 v[134:137], v254 offset0:16 offset1:17
	s_waitcnt vmcnt(19) lgkmcnt(2)
	v_mul_f64 v[128:129], v[126:127], v[70:71]
	v_mul_f64 v[70:71], v[124:125], v[70:71]
	v_fmac_f64_e32 v[70:71], v[126:127], v[68:69]
	v_fma_f64 v[128:129], v[124:125], v[68:69], -v[128:129]
	s_waitcnt lgkmcnt(1)
	v_mul_f64 v[68:69], v[132:133], v[70:71]
	v_fma_f64 v[68:69], v[130:131], v[128:129], -v[68:69]
	v_mul_f64 v[130:131], v[130:131], v[70:71]
	v_fmac_f64_e32 v[130:131], v[132:133], v[128:129]
	s_waitcnt vmcnt(18)
	v_add_f64 v[64:65], v[64:65], -v[68:69]
	v_add_f64 v[66:67], v[66:67], -v[130:131]
	s_waitcnt lgkmcnt(0)
	v_mul_f64 v[68:69], v[136:137], v[70:71]
	ds_read2_b64 v[130:133], v254 offset0:18 offset1:19
	v_fma_f64 v[68:69], v[134:135], v[128:129], -v[68:69]
	v_mul_f64 v[134:135], v[134:135], v[70:71]
	v_fmac_f64_e32 v[134:135], v[136:137], v[128:129]
	s_waitcnt vmcnt(17)
	v_add_f64 v[62:63], v[62:63], -v[134:135]
	ds_read2_b64 v[134:137], v254 offset0:20 offset1:21
	v_add_f64 v[60:61], v[60:61], -v[68:69]
	s_waitcnt lgkmcnt(1)
	v_mul_f64 v[68:69], v[132:133], v[70:71]
	v_fma_f64 v[68:69], v[130:131], v[128:129], -v[68:69]
	v_mul_f64 v[130:131], v[130:131], v[70:71]
	v_fmac_f64_e32 v[130:131], v[132:133], v[128:129]
	s_waitcnt vmcnt(16)
	v_add_f64 v[56:57], v[56:57], -v[68:69]
	v_add_f64 v[58:59], v[58:59], -v[130:131]
	s_waitcnt lgkmcnt(0)
	v_mul_f64 v[68:69], v[136:137], v[70:71]
	ds_read2_b64 v[130:133], v254 offset0:22 offset1:23
	v_fma_f64 v[68:69], v[134:135], v[128:129], -v[68:69]
	v_mul_f64 v[134:135], v[134:135], v[70:71]
	v_fmac_f64_e32 v[134:135], v[136:137], v[128:129]
	s_waitcnt vmcnt(15)
	v_add_f64 v[54:55], v[54:55], -v[134:135]
	ds_read2_b64 v[134:137], v254 offset0:24 offset1:25
	v_add_f64 v[52:53], v[52:53], -v[68:69]
	;; [unrolled: 18-line block ×8, first 2 shown]
	s_waitcnt lgkmcnt(1)
	v_mul_f64 v[68:69], v[132:133], v[70:71]
	v_fma_f64 v[68:69], v[130:131], v[128:129], -v[68:69]
	v_mul_f64 v[130:131], v[130:131], v[70:71]
	v_fmac_f64_e32 v[130:131], v[132:133], v[128:129]
	s_waitcnt vmcnt(2)
	v_add_f64 v[0:1], v[0:1], -v[68:69]
	v_add_f64 v[2:3], v[2:3], -v[130:131]
	s_waitcnt lgkmcnt(0)
	v_mul_f64 v[68:69], v[136:137], v[70:71]
	v_mul_f64 v[130:131], v[134:135], v[70:71]
	v_fma_f64 v[68:69], v[134:135], v[128:129], -v[68:69]
	v_fmac_f64_e32 v[130:131], v[136:137], v[128:129]
	s_waitcnt vmcnt(0)
	v_add_f64 v[96:97], v[96:97], -v[68:69]
	v_add_f64 v[98:99], v[98:99], -v[130:131]
	v_mov_b64_e32 v[68:69], v[128:129]
.LBB49_64:
	s_or_b64 exec, exec, s[2:3]
	v_cmp_eq_u32_e32 vcc, 7, v252
	s_waitcnt lgkmcnt(0)
	s_barrier
	s_and_saveexec_b64 s[4:5], vcc
	s_cbranch_execz .LBB49_71
; %bb.65:
	s_waitcnt vmcnt(18)
	ds_write2_b64 v253, v[64:65], v[66:67] offset1:1
	s_waitcnt vmcnt(17)
	ds_write2_b64 v254, v[60:61], v[62:63] offset0:16 offset1:17
	s_waitcnt vmcnt(16)
	ds_write2_b64 v254, v[56:57], v[58:59] offset0:18 offset1:19
	;; [unrolled: 2-line block ×17, first 2 shown]
	ds_read2_b64 v[128:131], v253 offset1:1
	s_waitcnt lgkmcnt(0)
	v_cmp_neq_f64_e32 vcc, 0, v[128:129]
	v_cmp_neq_f64_e64 s[2:3], 0, v[130:131]
	s_or_b64 s[2:3], vcc, s[2:3]
	s_and_b64 exec, exec, s[2:3]
	s_cbranch_execz .LBB49_71
; %bb.66:
	v_cmp_ngt_f64_e64 s[2:3], |v[128:129]|, |v[130:131]|
                                        ; implicit-def: $vgpr132_vgpr133
	s_and_saveexec_b64 s[10:11], s[2:3]
	s_xor_b64 s[2:3], exec, s[10:11]
                                        ; implicit-def: $vgpr134_vgpr135
	s_cbranch_execz .LBB49_68
; %bb.67:
	v_div_scale_f64 v[132:133], s[10:11], v[130:131], v[130:131], v[128:129]
	v_rcp_f64_e32 v[134:135], v[132:133]
	v_div_scale_f64 v[136:137], vcc, v[128:129], v[130:131], v[128:129]
	v_fma_f64 v[138:139], -v[132:133], v[134:135], 1.0
	v_fmac_f64_e32 v[134:135], v[134:135], v[138:139]
	v_fma_f64 v[138:139], -v[132:133], v[134:135], 1.0
	v_fmac_f64_e32 v[134:135], v[134:135], v[138:139]
	v_mul_f64 v[138:139], v[136:137], v[134:135]
	v_fma_f64 v[132:133], -v[132:133], v[138:139], v[136:137]
	v_div_fmas_f64 v[132:133], v[132:133], v[134:135], v[138:139]
	v_div_fixup_f64 v[132:133], v[132:133], v[130:131], v[128:129]
	v_fmac_f64_e32 v[130:131], v[128:129], v[132:133]
	v_div_scale_f64 v[128:129], s[10:11], v[130:131], v[130:131], 1.0
	v_rcp_f64_e32 v[134:135], v[128:129]
	s_nop 0
	v_fma_f64 v[136:137], -v[128:129], v[134:135], 1.0
	v_fmac_f64_e32 v[134:135], v[134:135], v[136:137]
	v_fma_f64 v[136:137], -v[128:129], v[134:135], 1.0
	v_fmac_f64_e32 v[134:135], v[134:135], v[136:137]
	v_div_scale_f64 v[136:137], vcc, 1.0, v[130:131], 1.0
	v_mul_f64 v[138:139], v[136:137], v[134:135]
	v_fma_f64 v[128:129], -v[128:129], v[138:139], v[136:137]
	s_nop 1
	v_div_fmas_f64 v[128:129], v[128:129], v[134:135], v[138:139]
	v_div_fixup_f64 v[134:135], v[128:129], v[130:131], 1.0
	v_mul_f64 v[132:133], v[132:133], v[134:135]
	v_xor_b32_e32 v135, 0x80000000, v135
                                        ; implicit-def: $vgpr128_vgpr129
.LBB49_68:
	s_andn2_saveexec_b64 s[2:3], s[2:3]
	s_cbranch_execz .LBB49_70
; %bb.69:
	v_div_scale_f64 v[132:133], s[10:11], v[128:129], v[128:129], v[130:131]
	v_rcp_f64_e32 v[134:135], v[132:133]
	v_div_scale_f64 v[136:137], vcc, v[130:131], v[128:129], v[130:131]
	v_fma_f64 v[138:139], -v[132:133], v[134:135], 1.0
	v_fmac_f64_e32 v[134:135], v[134:135], v[138:139]
	v_fma_f64 v[138:139], -v[132:133], v[134:135], 1.0
	v_fmac_f64_e32 v[134:135], v[134:135], v[138:139]
	v_mul_f64 v[138:139], v[136:137], v[134:135]
	v_fma_f64 v[132:133], -v[132:133], v[138:139], v[136:137]
	v_div_fmas_f64 v[132:133], v[132:133], v[134:135], v[138:139]
	v_div_fixup_f64 v[134:135], v[132:133], v[128:129], v[130:131]
	v_fmac_f64_e32 v[128:129], v[130:131], v[134:135]
	v_div_scale_f64 v[130:131], s[10:11], v[128:129], v[128:129], 1.0
	v_rcp_f64_e32 v[132:133], v[130:131]
	s_nop 0
	v_fma_f64 v[136:137], -v[130:131], v[132:133], 1.0
	v_fmac_f64_e32 v[132:133], v[132:133], v[136:137]
	v_fma_f64 v[136:137], -v[130:131], v[132:133], 1.0
	v_fmac_f64_e32 v[132:133], v[132:133], v[136:137]
	v_div_scale_f64 v[136:137], vcc, 1.0, v[128:129], 1.0
	v_mul_f64 v[138:139], v[136:137], v[132:133]
	v_fma_f64 v[130:131], -v[130:131], v[138:139], v[136:137]
	s_nop 1
	v_div_fmas_f64 v[130:131], v[130:131], v[132:133], v[138:139]
	v_div_fixup_f64 v[132:133], v[130:131], v[128:129], 1.0
	v_mul_f64 v[134:135], v[134:135], -v[132:133]
.LBB49_70:
	s_or_b64 exec, exec, s[2:3]
	ds_write2_b64 v253, v[132:133], v[134:135] offset1:1
.LBB49_71:
	s_or_b64 exec, exec, s[4:5]
	s_waitcnt lgkmcnt(0)
	s_barrier
	ds_read2_b64 v[128:131], v253 offset1:1
	v_cmp_lt_u32_e32 vcc, 7, v252
	s_and_saveexec_b64 s[2:3], vcc
	s_cbranch_execz .LBB49_73
; %bb.72:
	ds_read2_b64 v[134:137], v254 offset0:16 offset1:17
	ds_read2_b64 v[138:141], v254 offset0:18 offset1:19
	s_waitcnt vmcnt(18) lgkmcnt(2)
	v_mul_f64 v[132:133], v[130:131], v[66:67]
	v_mul_f64 v[66:67], v[128:129], v[66:67]
	v_fmac_f64_e32 v[66:67], v[130:131], v[64:65]
	v_fma_f64 v[132:133], v[128:129], v[64:65], -v[132:133]
	s_waitcnt lgkmcnt(1)
	v_mul_f64 v[64:65], v[136:137], v[66:67]
	v_fma_f64 v[64:65], v[134:135], v[132:133], -v[64:65]
	v_mul_f64 v[134:135], v[134:135], v[66:67]
	v_fmac_f64_e32 v[134:135], v[136:137], v[132:133]
	s_waitcnt vmcnt(17)
	v_add_f64 v[62:63], v[62:63], -v[134:135]
	ds_read2_b64 v[134:137], v254 offset0:20 offset1:21
	v_add_f64 v[60:61], v[60:61], -v[64:65]
	s_waitcnt lgkmcnt(1)
	v_mul_f64 v[64:65], v[140:141], v[66:67]
	v_fma_f64 v[64:65], v[138:139], v[132:133], -v[64:65]
	v_mul_f64 v[138:139], v[138:139], v[66:67]
	v_fmac_f64_e32 v[138:139], v[140:141], v[132:133]
	s_waitcnt vmcnt(16)
	v_add_f64 v[56:57], v[56:57], -v[64:65]
	v_add_f64 v[58:59], v[58:59], -v[138:139]
	ds_read2_b64 v[138:141], v254 offset0:22 offset1:23
	s_waitcnt lgkmcnt(1)
	v_mul_f64 v[64:65], v[136:137], v[66:67]
	v_fma_f64 v[64:65], v[134:135], v[132:133], -v[64:65]
	v_mul_f64 v[134:135], v[134:135], v[66:67]
	v_fmac_f64_e32 v[134:135], v[136:137], v[132:133]
	s_waitcnt vmcnt(15)
	v_add_f64 v[54:55], v[54:55], -v[134:135]
	ds_read2_b64 v[134:137], v254 offset0:24 offset1:25
	v_add_f64 v[52:53], v[52:53], -v[64:65]
	s_waitcnt lgkmcnt(1)
	v_mul_f64 v[64:65], v[140:141], v[66:67]
	v_fma_f64 v[64:65], v[138:139], v[132:133], -v[64:65]
	v_mul_f64 v[138:139], v[138:139], v[66:67]
	v_fmac_f64_e32 v[138:139], v[140:141], v[132:133]
	s_waitcnt vmcnt(14)
	v_add_f64 v[48:49], v[48:49], -v[64:65]
	v_add_f64 v[50:51], v[50:51], -v[138:139]
	ds_read2_b64 v[138:141], v254 offset0:26 offset1:27
	;; [unrolled: 18-line block ×7, first 2 shown]
	s_waitcnt lgkmcnt(1)
	v_mul_f64 v[64:65], v[136:137], v[66:67]
	v_fma_f64 v[64:65], v[134:135], v[132:133], -v[64:65]
	v_mul_f64 v[134:135], v[134:135], v[66:67]
	v_fmac_f64_e32 v[134:135], v[136:137], v[132:133]
	s_waitcnt vmcnt(3)
	v_add_f64 v[6:7], v[6:7], -v[134:135]
	ds_read2_b64 v[134:137], v254 offset0:48 offset1:49
	v_add_f64 v[4:5], v[4:5], -v[64:65]
	s_waitcnt lgkmcnt(1)
	v_mul_f64 v[64:65], v[140:141], v[66:67]
	v_fma_f64 v[64:65], v[138:139], v[132:133], -v[64:65]
	s_waitcnt vmcnt(2)
	v_add_f64 v[0:1], v[0:1], -v[64:65]
	s_waitcnt lgkmcnt(0)
	v_mul_f64 v[64:65], v[136:137], v[66:67]
	v_mul_f64 v[138:139], v[138:139], v[66:67]
	v_fma_f64 v[64:65], v[134:135], v[132:133], -v[64:65]
	v_mul_f64 v[134:135], v[134:135], v[66:67]
	v_fmac_f64_e32 v[138:139], v[140:141], v[132:133]
	v_fmac_f64_e32 v[134:135], v[136:137], v[132:133]
	v_add_f64 v[2:3], v[2:3], -v[138:139]
	s_waitcnt vmcnt(0)
	v_add_f64 v[96:97], v[96:97], -v[64:65]
	v_add_f64 v[98:99], v[98:99], -v[134:135]
	v_mov_b64_e32 v[64:65], v[132:133]
.LBB49_73:
	s_or_b64 exec, exec, s[2:3]
	v_cmp_eq_u32_e32 vcc, 8, v252
	s_waitcnt lgkmcnt(0)
	s_barrier
	s_and_saveexec_b64 s[4:5], vcc
	s_cbranch_execz .LBB49_80
; %bb.74:
	s_waitcnt vmcnt(17)
	ds_write2_b64 v253, v[60:61], v[62:63] offset1:1
	s_waitcnt vmcnt(16)
	ds_write2_b64 v254, v[56:57], v[58:59] offset0:18 offset1:19
	s_waitcnt vmcnt(15)
	ds_write2_b64 v254, v[52:53], v[54:55] offset0:20 offset1:21
	;; [unrolled: 2-line block ×16, first 2 shown]
	ds_read2_b64 v[132:135], v253 offset1:1
	s_waitcnt lgkmcnt(0)
	v_cmp_neq_f64_e32 vcc, 0, v[132:133]
	v_cmp_neq_f64_e64 s[2:3], 0, v[134:135]
	s_or_b64 s[2:3], vcc, s[2:3]
	s_and_b64 exec, exec, s[2:3]
	s_cbranch_execz .LBB49_80
; %bb.75:
	v_cmp_ngt_f64_e64 s[2:3], |v[132:133]|, |v[134:135]|
                                        ; implicit-def: $vgpr136_vgpr137
	s_and_saveexec_b64 s[10:11], s[2:3]
	s_xor_b64 s[2:3], exec, s[10:11]
                                        ; implicit-def: $vgpr138_vgpr139
	s_cbranch_execz .LBB49_77
; %bb.76:
	v_div_scale_f64 v[136:137], s[10:11], v[134:135], v[134:135], v[132:133]
	v_rcp_f64_e32 v[138:139], v[136:137]
	v_div_scale_f64 v[140:141], vcc, v[132:133], v[134:135], v[132:133]
	v_fma_f64 v[142:143], -v[136:137], v[138:139], 1.0
	v_fmac_f64_e32 v[138:139], v[138:139], v[142:143]
	v_fma_f64 v[142:143], -v[136:137], v[138:139], 1.0
	v_fmac_f64_e32 v[138:139], v[138:139], v[142:143]
	v_mul_f64 v[142:143], v[140:141], v[138:139]
	v_fma_f64 v[136:137], -v[136:137], v[142:143], v[140:141]
	v_div_fmas_f64 v[136:137], v[136:137], v[138:139], v[142:143]
	v_div_fixup_f64 v[136:137], v[136:137], v[134:135], v[132:133]
	v_fmac_f64_e32 v[134:135], v[132:133], v[136:137]
	v_div_scale_f64 v[132:133], s[10:11], v[134:135], v[134:135], 1.0
	v_rcp_f64_e32 v[138:139], v[132:133]
	s_nop 0
	v_fma_f64 v[140:141], -v[132:133], v[138:139], 1.0
	v_fmac_f64_e32 v[138:139], v[138:139], v[140:141]
	v_fma_f64 v[140:141], -v[132:133], v[138:139], 1.0
	v_fmac_f64_e32 v[138:139], v[138:139], v[140:141]
	v_div_scale_f64 v[140:141], vcc, 1.0, v[134:135], 1.0
	v_mul_f64 v[142:143], v[140:141], v[138:139]
	v_fma_f64 v[132:133], -v[132:133], v[142:143], v[140:141]
	s_nop 1
	v_div_fmas_f64 v[132:133], v[132:133], v[138:139], v[142:143]
	v_div_fixup_f64 v[138:139], v[132:133], v[134:135], 1.0
	v_mul_f64 v[136:137], v[136:137], v[138:139]
	v_xor_b32_e32 v139, 0x80000000, v139
                                        ; implicit-def: $vgpr132_vgpr133
.LBB49_77:
	s_andn2_saveexec_b64 s[2:3], s[2:3]
	s_cbranch_execz .LBB49_79
; %bb.78:
	v_div_scale_f64 v[136:137], s[10:11], v[132:133], v[132:133], v[134:135]
	v_rcp_f64_e32 v[138:139], v[136:137]
	v_div_scale_f64 v[140:141], vcc, v[134:135], v[132:133], v[134:135]
	v_fma_f64 v[142:143], -v[136:137], v[138:139], 1.0
	v_fmac_f64_e32 v[138:139], v[138:139], v[142:143]
	v_fma_f64 v[142:143], -v[136:137], v[138:139], 1.0
	v_fmac_f64_e32 v[138:139], v[138:139], v[142:143]
	v_mul_f64 v[142:143], v[140:141], v[138:139]
	v_fma_f64 v[136:137], -v[136:137], v[142:143], v[140:141]
	v_div_fmas_f64 v[136:137], v[136:137], v[138:139], v[142:143]
	v_div_fixup_f64 v[138:139], v[136:137], v[132:133], v[134:135]
	v_fmac_f64_e32 v[132:133], v[134:135], v[138:139]
	v_div_scale_f64 v[134:135], s[10:11], v[132:133], v[132:133], 1.0
	v_rcp_f64_e32 v[136:137], v[134:135]
	s_nop 0
	v_fma_f64 v[140:141], -v[134:135], v[136:137], 1.0
	v_fmac_f64_e32 v[136:137], v[136:137], v[140:141]
	v_fma_f64 v[140:141], -v[134:135], v[136:137], 1.0
	v_fmac_f64_e32 v[136:137], v[136:137], v[140:141]
	v_div_scale_f64 v[140:141], vcc, 1.0, v[132:133], 1.0
	v_mul_f64 v[142:143], v[140:141], v[136:137]
	v_fma_f64 v[134:135], -v[134:135], v[142:143], v[140:141]
	s_nop 1
	v_div_fmas_f64 v[134:135], v[134:135], v[136:137], v[142:143]
	v_div_fixup_f64 v[136:137], v[134:135], v[132:133], 1.0
	v_mul_f64 v[138:139], v[138:139], -v[136:137]
.LBB49_79:
	s_or_b64 exec, exec, s[2:3]
	ds_write2_b64 v253, v[136:137], v[138:139] offset1:1
.LBB49_80:
	s_or_b64 exec, exec, s[4:5]
	s_waitcnt lgkmcnt(0)
	s_barrier
	ds_read2_b64 v[132:135], v253 offset1:1
	v_cmp_lt_u32_e32 vcc, 8, v252
	s_and_saveexec_b64 s[2:3], vcc
	s_cbranch_execz .LBB49_82
; %bb.81:
	ds_read2_b64 v[138:141], v254 offset0:18 offset1:19
	ds_read2_b64 v[142:145], v254 offset0:20 offset1:21
	s_waitcnt vmcnt(17) lgkmcnt(2)
	v_mul_f64 v[136:137], v[132:133], v[62:63]
	v_fmac_f64_e32 v[136:137], v[134:135], v[60:61]
	v_mul_f64 v[62:63], v[134:135], v[62:63]
	v_fma_f64 v[60:61], v[132:133], v[60:61], -v[62:63]
	s_waitcnt lgkmcnt(1)
	v_mul_f64 v[62:63], v[140:141], v[136:137]
	v_fma_f64 v[62:63], v[138:139], v[60:61], -v[62:63]
	v_mul_f64 v[138:139], v[138:139], v[136:137]
	v_fmac_f64_e32 v[138:139], v[140:141], v[60:61]
	s_waitcnt vmcnt(16)
	v_add_f64 v[56:57], v[56:57], -v[62:63]
	v_add_f64 v[58:59], v[58:59], -v[138:139]
	s_waitcnt lgkmcnt(0)
	v_mul_f64 v[62:63], v[144:145], v[136:137]
	ds_read2_b64 v[138:141], v254 offset0:22 offset1:23
	v_fma_f64 v[62:63], v[142:143], v[60:61], -v[62:63]
	v_mul_f64 v[142:143], v[142:143], v[136:137]
	v_fmac_f64_e32 v[142:143], v[144:145], v[60:61]
	s_waitcnt vmcnt(15)
	v_add_f64 v[54:55], v[54:55], -v[142:143]
	ds_read2_b64 v[142:145], v254 offset0:24 offset1:25
	v_add_f64 v[52:53], v[52:53], -v[62:63]
	s_waitcnt lgkmcnt(1)
	v_mul_f64 v[62:63], v[140:141], v[136:137]
	v_fma_f64 v[62:63], v[138:139], v[60:61], -v[62:63]
	v_mul_f64 v[138:139], v[138:139], v[136:137]
	v_fmac_f64_e32 v[138:139], v[140:141], v[60:61]
	s_waitcnt vmcnt(14)
	v_add_f64 v[48:49], v[48:49], -v[62:63]
	v_add_f64 v[50:51], v[50:51], -v[138:139]
	s_waitcnt lgkmcnt(0)
	v_mul_f64 v[62:63], v[144:145], v[136:137]
	ds_read2_b64 v[138:141], v254 offset0:26 offset1:27
	v_fma_f64 v[62:63], v[142:143], v[60:61], -v[62:63]
	v_mul_f64 v[142:143], v[142:143], v[136:137]
	v_fmac_f64_e32 v[142:143], v[144:145], v[60:61]
	s_waitcnt vmcnt(13)
	v_add_f64 v[46:47], v[46:47], -v[142:143]
	ds_read2_b64 v[142:145], v254 offset0:28 offset1:29
	v_add_f64 v[44:45], v[44:45], -v[62:63]
	s_waitcnt lgkmcnt(1)
	v_mul_f64 v[62:63], v[140:141], v[136:137]
	v_fma_f64 v[62:63], v[138:139], v[60:61], -v[62:63]
	v_mul_f64 v[138:139], v[138:139], v[136:137]
	v_fmac_f64_e32 v[138:139], v[140:141], v[60:61]
	s_waitcnt vmcnt(12)
	v_add_f64 v[40:41], v[40:41], -v[62:63]
	v_add_f64 v[42:43], v[42:43], -v[138:139]
	s_waitcnt lgkmcnt(0)
	v_mul_f64 v[62:63], v[144:145], v[136:137]
	ds_read2_b64 v[138:141], v254 offset0:30 offset1:31
	v_fma_f64 v[62:63], v[142:143], v[60:61], -v[62:63]
	v_mul_f64 v[142:143], v[142:143], v[136:137]
	v_fmac_f64_e32 v[142:143], v[144:145], v[60:61]
	s_waitcnt vmcnt(11)
	v_add_f64 v[38:39], v[38:39], -v[142:143]
	ds_read2_b64 v[142:145], v254 offset0:32 offset1:33
	v_add_f64 v[36:37], v[36:37], -v[62:63]
	s_waitcnt lgkmcnt(1)
	v_mul_f64 v[62:63], v[140:141], v[136:137]
	v_fma_f64 v[62:63], v[138:139], v[60:61], -v[62:63]
	v_mul_f64 v[138:139], v[138:139], v[136:137]
	v_fmac_f64_e32 v[138:139], v[140:141], v[60:61]
	s_waitcnt vmcnt(10)
	v_add_f64 v[32:33], v[32:33], -v[62:63]
	v_add_f64 v[34:35], v[34:35], -v[138:139]
	s_waitcnt lgkmcnt(0)
	v_mul_f64 v[62:63], v[144:145], v[136:137]
	ds_read2_b64 v[138:141], v254 offset0:34 offset1:35
	v_fma_f64 v[62:63], v[142:143], v[60:61], -v[62:63]
	v_mul_f64 v[142:143], v[142:143], v[136:137]
	v_fmac_f64_e32 v[142:143], v[144:145], v[60:61]
	s_waitcnt vmcnt(9)
	v_add_f64 v[30:31], v[30:31], -v[142:143]
	ds_read2_b64 v[142:145], v254 offset0:36 offset1:37
	v_add_f64 v[28:29], v[28:29], -v[62:63]
	s_waitcnt lgkmcnt(1)
	v_mul_f64 v[62:63], v[140:141], v[136:137]
	v_fma_f64 v[62:63], v[138:139], v[60:61], -v[62:63]
	v_mul_f64 v[138:139], v[138:139], v[136:137]
	v_fmac_f64_e32 v[138:139], v[140:141], v[60:61]
	s_waitcnt vmcnt(8)
	v_add_f64 v[24:25], v[24:25], -v[62:63]
	v_add_f64 v[26:27], v[26:27], -v[138:139]
	s_waitcnt lgkmcnt(0)
	v_mul_f64 v[62:63], v[144:145], v[136:137]
	ds_read2_b64 v[138:141], v254 offset0:38 offset1:39
	v_fma_f64 v[62:63], v[142:143], v[60:61], -v[62:63]
	v_mul_f64 v[142:143], v[142:143], v[136:137]
	v_fmac_f64_e32 v[142:143], v[144:145], v[60:61]
	s_waitcnt vmcnt(7)
	v_add_f64 v[22:23], v[22:23], -v[142:143]
	ds_read2_b64 v[142:145], v254 offset0:40 offset1:41
	v_add_f64 v[20:21], v[20:21], -v[62:63]
	s_waitcnt lgkmcnt(1)
	v_mul_f64 v[62:63], v[140:141], v[136:137]
	v_fma_f64 v[62:63], v[138:139], v[60:61], -v[62:63]
	v_mul_f64 v[138:139], v[138:139], v[136:137]
	v_fmac_f64_e32 v[138:139], v[140:141], v[60:61]
	s_waitcnt vmcnt(6)
	v_add_f64 v[16:17], v[16:17], -v[62:63]
	v_add_f64 v[18:19], v[18:19], -v[138:139]
	s_waitcnt lgkmcnt(0)
	v_mul_f64 v[62:63], v[144:145], v[136:137]
	ds_read2_b64 v[138:141], v254 offset0:42 offset1:43
	v_fma_f64 v[62:63], v[142:143], v[60:61], -v[62:63]
	v_mul_f64 v[142:143], v[142:143], v[136:137]
	v_fmac_f64_e32 v[142:143], v[144:145], v[60:61]
	s_waitcnt vmcnt(5)
	v_add_f64 v[14:15], v[14:15], -v[142:143]
	ds_read2_b64 v[142:145], v254 offset0:44 offset1:45
	v_add_f64 v[12:13], v[12:13], -v[62:63]
	s_waitcnt lgkmcnt(1)
	v_mul_f64 v[62:63], v[140:141], v[136:137]
	v_fma_f64 v[62:63], v[138:139], v[60:61], -v[62:63]
	v_mul_f64 v[138:139], v[138:139], v[136:137]
	v_fmac_f64_e32 v[138:139], v[140:141], v[60:61]
	s_waitcnt vmcnt(4)
	v_add_f64 v[8:9], v[8:9], -v[62:63]
	v_add_f64 v[10:11], v[10:11], -v[138:139]
	s_waitcnt lgkmcnt(0)
	v_mul_f64 v[62:63], v[144:145], v[136:137]
	ds_read2_b64 v[138:141], v254 offset0:46 offset1:47
	v_fma_f64 v[62:63], v[142:143], v[60:61], -v[62:63]
	v_mul_f64 v[142:143], v[142:143], v[136:137]
	v_fmac_f64_e32 v[142:143], v[144:145], v[60:61]
	s_waitcnt vmcnt(3)
	v_add_f64 v[6:7], v[6:7], -v[142:143]
	ds_read2_b64 v[142:145], v254 offset0:48 offset1:49
	v_add_f64 v[4:5], v[4:5], -v[62:63]
	s_waitcnt lgkmcnt(1)
	v_mul_f64 v[62:63], v[140:141], v[136:137]
	v_fma_f64 v[62:63], v[138:139], v[60:61], -v[62:63]
	v_mul_f64 v[138:139], v[138:139], v[136:137]
	v_fmac_f64_e32 v[138:139], v[140:141], v[60:61]
	s_waitcnt vmcnt(2)
	v_add_f64 v[0:1], v[0:1], -v[62:63]
	v_add_f64 v[2:3], v[2:3], -v[138:139]
	s_waitcnt lgkmcnt(0)
	v_mul_f64 v[62:63], v[144:145], v[136:137]
	v_mul_f64 v[138:139], v[142:143], v[136:137]
	v_fma_f64 v[62:63], v[142:143], v[60:61], -v[62:63]
	v_fmac_f64_e32 v[138:139], v[144:145], v[60:61]
	s_waitcnt vmcnt(0)
	v_add_f64 v[96:97], v[96:97], -v[62:63]
	v_add_f64 v[98:99], v[98:99], -v[138:139]
	v_mov_b64_e32 v[62:63], v[136:137]
.LBB49_82:
	s_or_b64 exec, exec, s[2:3]
	v_cmp_eq_u32_e32 vcc, 9, v252
	s_waitcnt lgkmcnt(0)
	s_barrier
	s_and_saveexec_b64 s[4:5], vcc
	s_cbranch_execz .LBB49_89
; %bb.83:
	s_waitcnt vmcnt(16)
	ds_write2_b64 v253, v[56:57], v[58:59] offset1:1
	s_waitcnt vmcnt(15)
	ds_write2_b64 v254, v[52:53], v[54:55] offset0:20 offset1:21
	s_waitcnt vmcnt(14)
	ds_write2_b64 v254, v[48:49], v[50:51] offset0:22 offset1:23
	;; [unrolled: 2-line block ×15, first 2 shown]
	ds_read2_b64 v[136:139], v253 offset1:1
	s_waitcnt lgkmcnt(0)
	v_cmp_neq_f64_e32 vcc, 0, v[136:137]
	v_cmp_neq_f64_e64 s[2:3], 0, v[138:139]
	s_or_b64 s[2:3], vcc, s[2:3]
	s_and_b64 exec, exec, s[2:3]
	s_cbranch_execz .LBB49_89
; %bb.84:
	v_cmp_ngt_f64_e64 s[2:3], |v[136:137]|, |v[138:139]|
                                        ; implicit-def: $vgpr140_vgpr141
	s_and_saveexec_b64 s[10:11], s[2:3]
	s_xor_b64 s[2:3], exec, s[10:11]
                                        ; implicit-def: $vgpr142_vgpr143
	s_cbranch_execz .LBB49_86
; %bb.85:
	v_div_scale_f64 v[140:141], s[10:11], v[138:139], v[138:139], v[136:137]
	v_rcp_f64_e32 v[142:143], v[140:141]
	v_div_scale_f64 v[144:145], vcc, v[136:137], v[138:139], v[136:137]
	v_fma_f64 v[146:147], -v[140:141], v[142:143], 1.0
	v_fmac_f64_e32 v[142:143], v[142:143], v[146:147]
	v_fma_f64 v[146:147], -v[140:141], v[142:143], 1.0
	v_fmac_f64_e32 v[142:143], v[142:143], v[146:147]
	v_mul_f64 v[146:147], v[144:145], v[142:143]
	v_fma_f64 v[140:141], -v[140:141], v[146:147], v[144:145]
	v_div_fmas_f64 v[140:141], v[140:141], v[142:143], v[146:147]
	v_div_fixup_f64 v[140:141], v[140:141], v[138:139], v[136:137]
	v_fmac_f64_e32 v[138:139], v[136:137], v[140:141]
	v_div_scale_f64 v[136:137], s[10:11], v[138:139], v[138:139], 1.0
	v_rcp_f64_e32 v[142:143], v[136:137]
	s_nop 0
	v_fma_f64 v[144:145], -v[136:137], v[142:143], 1.0
	v_fmac_f64_e32 v[142:143], v[142:143], v[144:145]
	v_fma_f64 v[144:145], -v[136:137], v[142:143], 1.0
	v_fmac_f64_e32 v[142:143], v[142:143], v[144:145]
	v_div_scale_f64 v[144:145], vcc, 1.0, v[138:139], 1.0
	v_mul_f64 v[146:147], v[144:145], v[142:143]
	v_fma_f64 v[136:137], -v[136:137], v[146:147], v[144:145]
	s_nop 1
	v_div_fmas_f64 v[136:137], v[136:137], v[142:143], v[146:147]
	v_div_fixup_f64 v[142:143], v[136:137], v[138:139], 1.0
	v_mul_f64 v[140:141], v[140:141], v[142:143]
	v_xor_b32_e32 v143, 0x80000000, v143
                                        ; implicit-def: $vgpr136_vgpr137
.LBB49_86:
	s_andn2_saveexec_b64 s[2:3], s[2:3]
	s_cbranch_execz .LBB49_88
; %bb.87:
	v_div_scale_f64 v[140:141], s[10:11], v[136:137], v[136:137], v[138:139]
	v_rcp_f64_e32 v[142:143], v[140:141]
	v_div_scale_f64 v[144:145], vcc, v[138:139], v[136:137], v[138:139]
	v_fma_f64 v[146:147], -v[140:141], v[142:143], 1.0
	v_fmac_f64_e32 v[142:143], v[142:143], v[146:147]
	v_fma_f64 v[146:147], -v[140:141], v[142:143], 1.0
	v_fmac_f64_e32 v[142:143], v[142:143], v[146:147]
	v_mul_f64 v[146:147], v[144:145], v[142:143]
	v_fma_f64 v[140:141], -v[140:141], v[146:147], v[144:145]
	v_div_fmas_f64 v[140:141], v[140:141], v[142:143], v[146:147]
	v_div_fixup_f64 v[142:143], v[140:141], v[136:137], v[138:139]
	v_fmac_f64_e32 v[136:137], v[138:139], v[142:143]
	v_div_scale_f64 v[138:139], s[10:11], v[136:137], v[136:137], 1.0
	v_rcp_f64_e32 v[140:141], v[138:139]
	s_nop 0
	v_fma_f64 v[144:145], -v[138:139], v[140:141], 1.0
	v_fmac_f64_e32 v[140:141], v[140:141], v[144:145]
	v_fma_f64 v[144:145], -v[138:139], v[140:141], 1.0
	v_fmac_f64_e32 v[140:141], v[140:141], v[144:145]
	v_div_scale_f64 v[144:145], vcc, 1.0, v[136:137], 1.0
	v_mul_f64 v[146:147], v[144:145], v[140:141]
	v_fma_f64 v[138:139], -v[138:139], v[146:147], v[144:145]
	s_nop 1
	v_div_fmas_f64 v[138:139], v[138:139], v[140:141], v[146:147]
	v_div_fixup_f64 v[140:141], v[138:139], v[136:137], 1.0
	v_mul_f64 v[142:143], v[142:143], -v[140:141]
.LBB49_88:
	s_or_b64 exec, exec, s[2:3]
	ds_write2_b64 v253, v[140:141], v[142:143] offset1:1
.LBB49_89:
	s_or_b64 exec, exec, s[4:5]
	s_waitcnt lgkmcnt(0)
	s_barrier
	ds_read2_b64 v[136:139], v253 offset1:1
	v_cmp_lt_u32_e32 vcc, 9, v252
	s_and_saveexec_b64 s[2:3], vcc
	s_cbranch_execz .LBB49_91
; %bb.90:
	ds_read2_b64 v[142:145], v254 offset0:20 offset1:21
	ds_read2_b64 v[146:149], v254 offset0:22 offset1:23
	s_waitcnt vmcnt(16) lgkmcnt(2)
	v_mul_f64 v[140:141], v[136:137], v[58:59]
	v_fmac_f64_e32 v[140:141], v[138:139], v[56:57]
	v_mul_f64 v[58:59], v[138:139], v[58:59]
	v_fma_f64 v[56:57], v[136:137], v[56:57], -v[58:59]
	s_waitcnt lgkmcnt(1)
	v_mul_f64 v[58:59], v[144:145], v[140:141]
	v_fma_f64 v[58:59], v[142:143], v[56:57], -v[58:59]
	v_mul_f64 v[142:143], v[142:143], v[140:141]
	v_fmac_f64_e32 v[142:143], v[144:145], v[56:57]
	s_waitcnt vmcnt(15)
	v_add_f64 v[54:55], v[54:55], -v[142:143]
	ds_read2_b64 v[142:145], v254 offset0:24 offset1:25
	v_add_f64 v[52:53], v[52:53], -v[58:59]
	s_waitcnt lgkmcnt(1)
	v_mul_f64 v[58:59], v[148:149], v[140:141]
	v_fma_f64 v[58:59], v[146:147], v[56:57], -v[58:59]
	v_mul_f64 v[146:147], v[146:147], v[140:141]
	v_fmac_f64_e32 v[146:147], v[148:149], v[56:57]
	s_waitcnt vmcnt(14)
	v_add_f64 v[48:49], v[48:49], -v[58:59]
	v_add_f64 v[50:51], v[50:51], -v[146:147]
	ds_read2_b64 v[146:149], v254 offset0:26 offset1:27
	s_waitcnt lgkmcnt(1)
	v_mul_f64 v[58:59], v[144:145], v[140:141]
	v_fma_f64 v[58:59], v[142:143], v[56:57], -v[58:59]
	v_mul_f64 v[142:143], v[142:143], v[140:141]
	v_fmac_f64_e32 v[142:143], v[144:145], v[56:57]
	s_waitcnt vmcnt(13)
	v_add_f64 v[46:47], v[46:47], -v[142:143]
	ds_read2_b64 v[142:145], v254 offset0:28 offset1:29
	v_add_f64 v[44:45], v[44:45], -v[58:59]
	s_waitcnt lgkmcnt(1)
	v_mul_f64 v[58:59], v[148:149], v[140:141]
	v_fma_f64 v[58:59], v[146:147], v[56:57], -v[58:59]
	v_mul_f64 v[146:147], v[146:147], v[140:141]
	v_fmac_f64_e32 v[146:147], v[148:149], v[56:57]
	s_waitcnt vmcnt(12)
	v_add_f64 v[40:41], v[40:41], -v[58:59]
	v_add_f64 v[42:43], v[42:43], -v[146:147]
	ds_read2_b64 v[146:149], v254 offset0:30 offset1:31
	;; [unrolled: 18-line block ×6, first 2 shown]
	s_waitcnt lgkmcnt(1)
	v_mul_f64 v[58:59], v[144:145], v[140:141]
	v_fma_f64 v[58:59], v[142:143], v[56:57], -v[58:59]
	v_mul_f64 v[142:143], v[142:143], v[140:141]
	v_fmac_f64_e32 v[142:143], v[144:145], v[56:57]
	s_waitcnt vmcnt(3)
	v_add_f64 v[6:7], v[6:7], -v[142:143]
	ds_read2_b64 v[142:145], v254 offset0:48 offset1:49
	v_add_f64 v[4:5], v[4:5], -v[58:59]
	s_waitcnt lgkmcnt(1)
	v_mul_f64 v[58:59], v[148:149], v[140:141]
	v_fma_f64 v[58:59], v[146:147], v[56:57], -v[58:59]
	s_waitcnt vmcnt(2)
	v_add_f64 v[0:1], v[0:1], -v[58:59]
	s_waitcnt lgkmcnt(0)
	v_mul_f64 v[58:59], v[144:145], v[140:141]
	v_mul_f64 v[146:147], v[146:147], v[140:141]
	v_fma_f64 v[58:59], v[142:143], v[56:57], -v[58:59]
	v_mul_f64 v[142:143], v[142:143], v[140:141]
	v_fmac_f64_e32 v[146:147], v[148:149], v[56:57]
	v_fmac_f64_e32 v[142:143], v[144:145], v[56:57]
	v_add_f64 v[2:3], v[2:3], -v[146:147]
	s_waitcnt vmcnt(0)
	v_add_f64 v[96:97], v[96:97], -v[58:59]
	v_add_f64 v[98:99], v[98:99], -v[142:143]
	v_mov_b64_e32 v[58:59], v[140:141]
.LBB49_91:
	s_or_b64 exec, exec, s[2:3]
	v_cmp_eq_u32_e32 vcc, 10, v252
	s_waitcnt lgkmcnt(0)
	s_barrier
	s_and_saveexec_b64 s[4:5], vcc
	s_cbranch_execz .LBB49_98
; %bb.92:
	s_waitcnt vmcnt(15)
	ds_write2_b64 v253, v[52:53], v[54:55] offset1:1
	s_waitcnt vmcnt(14)
	ds_write2_b64 v254, v[48:49], v[50:51] offset0:22 offset1:23
	s_waitcnt vmcnt(13)
	ds_write2_b64 v254, v[44:45], v[46:47] offset0:24 offset1:25
	;; [unrolled: 2-line block ×14, first 2 shown]
	ds_read2_b64 v[140:143], v253 offset1:1
	s_waitcnt lgkmcnt(0)
	v_cmp_neq_f64_e32 vcc, 0, v[140:141]
	v_cmp_neq_f64_e64 s[2:3], 0, v[142:143]
	s_or_b64 s[2:3], vcc, s[2:3]
	s_and_b64 exec, exec, s[2:3]
	s_cbranch_execz .LBB49_98
; %bb.93:
	v_cmp_ngt_f64_e64 s[2:3], |v[140:141]|, |v[142:143]|
                                        ; implicit-def: $vgpr144_vgpr145
	s_and_saveexec_b64 s[10:11], s[2:3]
	s_xor_b64 s[2:3], exec, s[10:11]
                                        ; implicit-def: $vgpr146_vgpr147
	s_cbranch_execz .LBB49_95
; %bb.94:
	v_div_scale_f64 v[144:145], s[10:11], v[142:143], v[142:143], v[140:141]
	v_rcp_f64_e32 v[146:147], v[144:145]
	v_div_scale_f64 v[148:149], vcc, v[140:141], v[142:143], v[140:141]
	v_fma_f64 v[150:151], -v[144:145], v[146:147], 1.0
	v_fmac_f64_e32 v[146:147], v[146:147], v[150:151]
	v_fma_f64 v[150:151], -v[144:145], v[146:147], 1.0
	v_fmac_f64_e32 v[146:147], v[146:147], v[150:151]
	v_mul_f64 v[150:151], v[148:149], v[146:147]
	v_fma_f64 v[144:145], -v[144:145], v[150:151], v[148:149]
	v_div_fmas_f64 v[144:145], v[144:145], v[146:147], v[150:151]
	v_div_fixup_f64 v[144:145], v[144:145], v[142:143], v[140:141]
	v_fmac_f64_e32 v[142:143], v[140:141], v[144:145]
	v_div_scale_f64 v[140:141], s[10:11], v[142:143], v[142:143], 1.0
	v_rcp_f64_e32 v[146:147], v[140:141]
	s_nop 0
	v_fma_f64 v[148:149], -v[140:141], v[146:147], 1.0
	v_fmac_f64_e32 v[146:147], v[146:147], v[148:149]
	v_fma_f64 v[148:149], -v[140:141], v[146:147], 1.0
	v_fmac_f64_e32 v[146:147], v[146:147], v[148:149]
	v_div_scale_f64 v[148:149], vcc, 1.0, v[142:143], 1.0
	v_mul_f64 v[150:151], v[148:149], v[146:147]
	v_fma_f64 v[140:141], -v[140:141], v[150:151], v[148:149]
	s_nop 1
	v_div_fmas_f64 v[140:141], v[140:141], v[146:147], v[150:151]
	v_div_fixup_f64 v[146:147], v[140:141], v[142:143], 1.0
	v_mul_f64 v[144:145], v[144:145], v[146:147]
	v_xor_b32_e32 v147, 0x80000000, v147
                                        ; implicit-def: $vgpr140_vgpr141
.LBB49_95:
	s_andn2_saveexec_b64 s[2:3], s[2:3]
	s_cbranch_execz .LBB49_97
; %bb.96:
	v_div_scale_f64 v[144:145], s[10:11], v[140:141], v[140:141], v[142:143]
	v_rcp_f64_e32 v[146:147], v[144:145]
	v_div_scale_f64 v[148:149], vcc, v[142:143], v[140:141], v[142:143]
	v_fma_f64 v[150:151], -v[144:145], v[146:147], 1.0
	v_fmac_f64_e32 v[146:147], v[146:147], v[150:151]
	v_fma_f64 v[150:151], -v[144:145], v[146:147], 1.0
	v_fmac_f64_e32 v[146:147], v[146:147], v[150:151]
	v_mul_f64 v[150:151], v[148:149], v[146:147]
	v_fma_f64 v[144:145], -v[144:145], v[150:151], v[148:149]
	v_div_fmas_f64 v[144:145], v[144:145], v[146:147], v[150:151]
	v_div_fixup_f64 v[146:147], v[144:145], v[140:141], v[142:143]
	v_fmac_f64_e32 v[140:141], v[142:143], v[146:147]
	v_div_scale_f64 v[142:143], s[10:11], v[140:141], v[140:141], 1.0
	v_rcp_f64_e32 v[144:145], v[142:143]
	s_nop 0
	v_fma_f64 v[148:149], -v[142:143], v[144:145], 1.0
	v_fmac_f64_e32 v[144:145], v[144:145], v[148:149]
	v_fma_f64 v[148:149], -v[142:143], v[144:145], 1.0
	v_fmac_f64_e32 v[144:145], v[144:145], v[148:149]
	v_div_scale_f64 v[148:149], vcc, 1.0, v[140:141], 1.0
	v_mul_f64 v[150:151], v[148:149], v[144:145]
	v_fma_f64 v[142:143], -v[142:143], v[150:151], v[148:149]
	s_nop 1
	v_div_fmas_f64 v[142:143], v[142:143], v[144:145], v[150:151]
	v_div_fixup_f64 v[144:145], v[142:143], v[140:141], 1.0
	v_mul_f64 v[146:147], v[146:147], -v[144:145]
.LBB49_97:
	s_or_b64 exec, exec, s[2:3]
	ds_write2_b64 v253, v[144:145], v[146:147] offset1:1
.LBB49_98:
	s_or_b64 exec, exec, s[4:5]
	s_waitcnt lgkmcnt(0)
	s_barrier
	ds_read2_b64 v[140:143], v253 offset1:1
	v_cmp_lt_u32_e32 vcc, 10, v252
	s_and_saveexec_b64 s[2:3], vcc
	s_cbranch_execz .LBB49_100
; %bb.99:
	ds_read2_b64 v[146:149], v254 offset0:22 offset1:23
	ds_read2_b64 v[150:153], v254 offset0:24 offset1:25
	s_waitcnt vmcnt(15) lgkmcnt(2)
	v_mul_f64 v[144:145], v[140:141], v[54:55]
	v_fmac_f64_e32 v[144:145], v[142:143], v[52:53]
	v_mul_f64 v[54:55], v[142:143], v[54:55]
	v_fma_f64 v[52:53], v[140:141], v[52:53], -v[54:55]
	s_waitcnt lgkmcnt(1)
	v_mul_f64 v[54:55], v[148:149], v[144:145]
	v_fma_f64 v[54:55], v[146:147], v[52:53], -v[54:55]
	v_mul_f64 v[146:147], v[146:147], v[144:145]
	v_fmac_f64_e32 v[146:147], v[148:149], v[52:53]
	s_waitcnt vmcnt(14)
	v_add_f64 v[48:49], v[48:49], -v[54:55]
	v_add_f64 v[50:51], v[50:51], -v[146:147]
	s_waitcnt lgkmcnt(0)
	v_mul_f64 v[54:55], v[152:153], v[144:145]
	ds_read2_b64 v[146:149], v254 offset0:26 offset1:27
	v_fma_f64 v[54:55], v[150:151], v[52:53], -v[54:55]
	v_mul_f64 v[150:151], v[150:151], v[144:145]
	v_fmac_f64_e32 v[150:151], v[152:153], v[52:53]
	s_waitcnt vmcnt(13)
	v_add_f64 v[46:47], v[46:47], -v[150:151]
	ds_read2_b64 v[150:153], v254 offset0:28 offset1:29
	v_add_f64 v[44:45], v[44:45], -v[54:55]
	s_waitcnt lgkmcnt(1)
	v_mul_f64 v[54:55], v[148:149], v[144:145]
	v_fma_f64 v[54:55], v[146:147], v[52:53], -v[54:55]
	v_mul_f64 v[146:147], v[146:147], v[144:145]
	v_fmac_f64_e32 v[146:147], v[148:149], v[52:53]
	s_waitcnt vmcnt(12)
	v_add_f64 v[40:41], v[40:41], -v[54:55]
	v_add_f64 v[42:43], v[42:43], -v[146:147]
	s_waitcnt lgkmcnt(0)
	v_mul_f64 v[54:55], v[152:153], v[144:145]
	ds_read2_b64 v[146:149], v254 offset0:30 offset1:31
	v_fma_f64 v[54:55], v[150:151], v[52:53], -v[54:55]
	v_mul_f64 v[150:151], v[150:151], v[144:145]
	v_fmac_f64_e32 v[150:151], v[152:153], v[52:53]
	s_waitcnt vmcnt(11)
	v_add_f64 v[38:39], v[38:39], -v[150:151]
	ds_read2_b64 v[150:153], v254 offset0:32 offset1:33
	v_add_f64 v[36:37], v[36:37], -v[54:55]
	s_waitcnt lgkmcnt(1)
	v_mul_f64 v[54:55], v[148:149], v[144:145]
	v_fma_f64 v[54:55], v[146:147], v[52:53], -v[54:55]
	v_mul_f64 v[146:147], v[146:147], v[144:145]
	v_fmac_f64_e32 v[146:147], v[148:149], v[52:53]
	s_waitcnt vmcnt(10)
	v_add_f64 v[32:33], v[32:33], -v[54:55]
	v_add_f64 v[34:35], v[34:35], -v[146:147]
	s_waitcnt lgkmcnt(0)
	v_mul_f64 v[54:55], v[152:153], v[144:145]
	ds_read2_b64 v[146:149], v254 offset0:34 offset1:35
	v_fma_f64 v[54:55], v[150:151], v[52:53], -v[54:55]
	v_mul_f64 v[150:151], v[150:151], v[144:145]
	v_fmac_f64_e32 v[150:151], v[152:153], v[52:53]
	s_waitcnt vmcnt(9)
	v_add_f64 v[30:31], v[30:31], -v[150:151]
	ds_read2_b64 v[150:153], v254 offset0:36 offset1:37
	v_add_f64 v[28:29], v[28:29], -v[54:55]
	s_waitcnt lgkmcnt(1)
	v_mul_f64 v[54:55], v[148:149], v[144:145]
	v_fma_f64 v[54:55], v[146:147], v[52:53], -v[54:55]
	v_mul_f64 v[146:147], v[146:147], v[144:145]
	v_fmac_f64_e32 v[146:147], v[148:149], v[52:53]
	s_waitcnt vmcnt(8)
	v_add_f64 v[24:25], v[24:25], -v[54:55]
	v_add_f64 v[26:27], v[26:27], -v[146:147]
	s_waitcnt lgkmcnt(0)
	v_mul_f64 v[54:55], v[152:153], v[144:145]
	ds_read2_b64 v[146:149], v254 offset0:38 offset1:39
	v_fma_f64 v[54:55], v[150:151], v[52:53], -v[54:55]
	v_mul_f64 v[150:151], v[150:151], v[144:145]
	v_fmac_f64_e32 v[150:151], v[152:153], v[52:53]
	s_waitcnt vmcnt(7)
	v_add_f64 v[22:23], v[22:23], -v[150:151]
	ds_read2_b64 v[150:153], v254 offset0:40 offset1:41
	v_add_f64 v[20:21], v[20:21], -v[54:55]
	s_waitcnt lgkmcnt(1)
	v_mul_f64 v[54:55], v[148:149], v[144:145]
	v_fma_f64 v[54:55], v[146:147], v[52:53], -v[54:55]
	v_mul_f64 v[146:147], v[146:147], v[144:145]
	v_fmac_f64_e32 v[146:147], v[148:149], v[52:53]
	s_waitcnt vmcnt(6)
	v_add_f64 v[16:17], v[16:17], -v[54:55]
	v_add_f64 v[18:19], v[18:19], -v[146:147]
	s_waitcnt lgkmcnt(0)
	v_mul_f64 v[54:55], v[152:153], v[144:145]
	ds_read2_b64 v[146:149], v254 offset0:42 offset1:43
	v_fma_f64 v[54:55], v[150:151], v[52:53], -v[54:55]
	v_mul_f64 v[150:151], v[150:151], v[144:145]
	v_fmac_f64_e32 v[150:151], v[152:153], v[52:53]
	s_waitcnt vmcnt(5)
	v_add_f64 v[14:15], v[14:15], -v[150:151]
	ds_read2_b64 v[150:153], v254 offset0:44 offset1:45
	v_add_f64 v[12:13], v[12:13], -v[54:55]
	s_waitcnt lgkmcnt(1)
	v_mul_f64 v[54:55], v[148:149], v[144:145]
	v_fma_f64 v[54:55], v[146:147], v[52:53], -v[54:55]
	v_mul_f64 v[146:147], v[146:147], v[144:145]
	v_fmac_f64_e32 v[146:147], v[148:149], v[52:53]
	s_waitcnt vmcnt(4)
	v_add_f64 v[8:9], v[8:9], -v[54:55]
	v_add_f64 v[10:11], v[10:11], -v[146:147]
	s_waitcnt lgkmcnt(0)
	v_mul_f64 v[54:55], v[152:153], v[144:145]
	ds_read2_b64 v[146:149], v254 offset0:46 offset1:47
	v_fma_f64 v[54:55], v[150:151], v[52:53], -v[54:55]
	v_mul_f64 v[150:151], v[150:151], v[144:145]
	v_fmac_f64_e32 v[150:151], v[152:153], v[52:53]
	s_waitcnt vmcnt(3)
	v_add_f64 v[6:7], v[6:7], -v[150:151]
	ds_read2_b64 v[150:153], v254 offset0:48 offset1:49
	v_add_f64 v[4:5], v[4:5], -v[54:55]
	s_waitcnt lgkmcnt(1)
	v_mul_f64 v[54:55], v[148:149], v[144:145]
	v_fma_f64 v[54:55], v[146:147], v[52:53], -v[54:55]
	v_mul_f64 v[146:147], v[146:147], v[144:145]
	v_fmac_f64_e32 v[146:147], v[148:149], v[52:53]
	s_waitcnt vmcnt(2)
	v_add_f64 v[0:1], v[0:1], -v[54:55]
	v_add_f64 v[2:3], v[2:3], -v[146:147]
	s_waitcnt lgkmcnt(0)
	v_mul_f64 v[54:55], v[152:153], v[144:145]
	v_mul_f64 v[146:147], v[150:151], v[144:145]
	v_fma_f64 v[54:55], v[150:151], v[52:53], -v[54:55]
	v_fmac_f64_e32 v[146:147], v[152:153], v[52:53]
	s_waitcnt vmcnt(0)
	v_add_f64 v[96:97], v[96:97], -v[54:55]
	v_add_f64 v[98:99], v[98:99], -v[146:147]
	v_mov_b64_e32 v[54:55], v[144:145]
.LBB49_100:
	s_or_b64 exec, exec, s[2:3]
	v_cmp_eq_u32_e32 vcc, 11, v252
	s_waitcnt lgkmcnt(0)
	s_barrier
	s_and_saveexec_b64 s[4:5], vcc
	s_cbranch_execz .LBB49_107
; %bb.101:
	s_waitcnt vmcnt(14)
	ds_write2_b64 v253, v[48:49], v[50:51] offset1:1
	s_waitcnt vmcnt(13)
	ds_write2_b64 v254, v[44:45], v[46:47] offset0:24 offset1:25
	s_waitcnt vmcnt(12)
	ds_write2_b64 v254, v[40:41], v[42:43] offset0:26 offset1:27
	;; [unrolled: 2-line block ×13, first 2 shown]
	ds_read2_b64 v[144:147], v253 offset1:1
	s_waitcnt lgkmcnt(0)
	v_cmp_neq_f64_e32 vcc, 0, v[144:145]
	v_cmp_neq_f64_e64 s[2:3], 0, v[146:147]
	s_or_b64 s[2:3], vcc, s[2:3]
	s_and_b64 exec, exec, s[2:3]
	s_cbranch_execz .LBB49_107
; %bb.102:
	v_cmp_ngt_f64_e64 s[2:3], |v[144:145]|, |v[146:147]|
                                        ; implicit-def: $vgpr148_vgpr149
	s_and_saveexec_b64 s[10:11], s[2:3]
	s_xor_b64 s[2:3], exec, s[10:11]
                                        ; implicit-def: $vgpr150_vgpr151
	s_cbranch_execz .LBB49_104
; %bb.103:
	v_div_scale_f64 v[148:149], s[10:11], v[146:147], v[146:147], v[144:145]
	v_rcp_f64_e32 v[150:151], v[148:149]
	v_div_scale_f64 v[152:153], vcc, v[144:145], v[146:147], v[144:145]
	v_fma_f64 v[154:155], -v[148:149], v[150:151], 1.0
	v_fmac_f64_e32 v[150:151], v[150:151], v[154:155]
	v_fma_f64 v[154:155], -v[148:149], v[150:151], 1.0
	v_fmac_f64_e32 v[150:151], v[150:151], v[154:155]
	v_mul_f64 v[154:155], v[152:153], v[150:151]
	v_fma_f64 v[148:149], -v[148:149], v[154:155], v[152:153]
	v_div_fmas_f64 v[148:149], v[148:149], v[150:151], v[154:155]
	v_div_fixup_f64 v[148:149], v[148:149], v[146:147], v[144:145]
	v_fmac_f64_e32 v[146:147], v[144:145], v[148:149]
	v_div_scale_f64 v[144:145], s[10:11], v[146:147], v[146:147], 1.0
	v_rcp_f64_e32 v[150:151], v[144:145]
	s_nop 0
	v_fma_f64 v[152:153], -v[144:145], v[150:151], 1.0
	v_fmac_f64_e32 v[150:151], v[150:151], v[152:153]
	v_fma_f64 v[152:153], -v[144:145], v[150:151], 1.0
	v_fmac_f64_e32 v[150:151], v[150:151], v[152:153]
	v_div_scale_f64 v[152:153], vcc, 1.0, v[146:147], 1.0
	v_mul_f64 v[154:155], v[152:153], v[150:151]
	v_fma_f64 v[144:145], -v[144:145], v[154:155], v[152:153]
	s_nop 1
	v_div_fmas_f64 v[144:145], v[144:145], v[150:151], v[154:155]
	v_div_fixup_f64 v[150:151], v[144:145], v[146:147], 1.0
	v_mul_f64 v[148:149], v[148:149], v[150:151]
	v_xor_b32_e32 v151, 0x80000000, v151
                                        ; implicit-def: $vgpr144_vgpr145
.LBB49_104:
	s_andn2_saveexec_b64 s[2:3], s[2:3]
	s_cbranch_execz .LBB49_106
; %bb.105:
	v_div_scale_f64 v[148:149], s[10:11], v[144:145], v[144:145], v[146:147]
	v_rcp_f64_e32 v[150:151], v[148:149]
	v_div_scale_f64 v[152:153], vcc, v[146:147], v[144:145], v[146:147]
	v_fma_f64 v[154:155], -v[148:149], v[150:151], 1.0
	v_fmac_f64_e32 v[150:151], v[150:151], v[154:155]
	v_fma_f64 v[154:155], -v[148:149], v[150:151], 1.0
	v_fmac_f64_e32 v[150:151], v[150:151], v[154:155]
	v_mul_f64 v[154:155], v[152:153], v[150:151]
	v_fma_f64 v[148:149], -v[148:149], v[154:155], v[152:153]
	v_div_fmas_f64 v[148:149], v[148:149], v[150:151], v[154:155]
	v_div_fixup_f64 v[150:151], v[148:149], v[144:145], v[146:147]
	v_fmac_f64_e32 v[144:145], v[146:147], v[150:151]
	v_div_scale_f64 v[146:147], s[10:11], v[144:145], v[144:145], 1.0
	v_rcp_f64_e32 v[148:149], v[146:147]
	s_nop 0
	v_fma_f64 v[152:153], -v[146:147], v[148:149], 1.0
	v_fmac_f64_e32 v[148:149], v[148:149], v[152:153]
	v_fma_f64 v[152:153], -v[146:147], v[148:149], 1.0
	v_fmac_f64_e32 v[148:149], v[148:149], v[152:153]
	v_div_scale_f64 v[152:153], vcc, 1.0, v[144:145], 1.0
	v_mul_f64 v[154:155], v[152:153], v[148:149]
	v_fma_f64 v[146:147], -v[146:147], v[154:155], v[152:153]
	s_nop 1
	v_div_fmas_f64 v[146:147], v[146:147], v[148:149], v[154:155]
	v_div_fixup_f64 v[148:149], v[146:147], v[144:145], 1.0
	v_mul_f64 v[150:151], v[150:151], -v[148:149]
.LBB49_106:
	s_or_b64 exec, exec, s[2:3]
	ds_write2_b64 v253, v[148:149], v[150:151] offset1:1
.LBB49_107:
	s_or_b64 exec, exec, s[4:5]
	s_waitcnt lgkmcnt(0)
	s_barrier
	ds_read2_b64 v[144:147], v253 offset1:1
	v_cmp_lt_u32_e32 vcc, 11, v252
	s_and_saveexec_b64 s[2:3], vcc
	s_cbranch_execz .LBB49_109
; %bb.108:
	ds_read2_b64 v[148:151], v254 offset0:24 offset1:25
	ds_read2_b64 v[152:155], v254 offset0:26 offset1:27
	s_waitcnt vmcnt(14) lgkmcnt(2)
	v_mul_f64 v[156:157], v[144:145], v[50:51]
	v_fmac_f64_e32 v[156:157], v[146:147], v[48:49]
	v_mul_f64 v[50:51], v[146:147], v[50:51]
	v_fma_f64 v[48:49], v[144:145], v[48:49], -v[50:51]
	s_waitcnt lgkmcnt(1)
	v_mul_f64 v[50:51], v[150:151], v[156:157]
	v_fma_f64 v[50:51], v[148:149], v[48:49], -v[50:51]
	v_mul_f64 v[148:149], v[148:149], v[156:157]
	v_fmac_f64_e32 v[148:149], v[150:151], v[48:49]
	s_waitcnt vmcnt(13)
	v_add_f64 v[46:47], v[46:47], -v[148:149]
	ds_read2_b64 v[148:151], v254 offset0:28 offset1:29
	v_add_f64 v[44:45], v[44:45], -v[50:51]
	s_waitcnt lgkmcnt(1)
	v_mul_f64 v[50:51], v[154:155], v[156:157]
	v_fma_f64 v[50:51], v[152:153], v[48:49], -v[50:51]
	v_mul_f64 v[152:153], v[152:153], v[156:157]
	v_fmac_f64_e32 v[152:153], v[154:155], v[48:49]
	s_waitcnt vmcnt(12)
	v_add_f64 v[40:41], v[40:41], -v[50:51]
	v_add_f64 v[42:43], v[42:43], -v[152:153]
	ds_read2_b64 v[152:155], v254 offset0:30 offset1:31
	s_waitcnt lgkmcnt(1)
	v_mul_f64 v[50:51], v[150:151], v[156:157]
	v_fma_f64 v[50:51], v[148:149], v[48:49], -v[50:51]
	v_mul_f64 v[148:149], v[148:149], v[156:157]
	v_fmac_f64_e32 v[148:149], v[150:151], v[48:49]
	s_waitcnt vmcnt(11)
	v_add_f64 v[38:39], v[38:39], -v[148:149]
	ds_read2_b64 v[148:151], v254 offset0:32 offset1:33
	v_add_f64 v[36:37], v[36:37], -v[50:51]
	s_waitcnt lgkmcnt(1)
	v_mul_f64 v[50:51], v[154:155], v[156:157]
	v_fma_f64 v[50:51], v[152:153], v[48:49], -v[50:51]
	v_mul_f64 v[152:153], v[152:153], v[156:157]
	v_fmac_f64_e32 v[152:153], v[154:155], v[48:49]
	s_waitcnt vmcnt(10)
	v_add_f64 v[32:33], v[32:33], -v[50:51]
	v_add_f64 v[34:35], v[34:35], -v[152:153]
	ds_read2_b64 v[152:155], v254 offset0:34 offset1:35
	;; [unrolled: 18-line block ×5, first 2 shown]
	s_waitcnt lgkmcnt(1)
	v_mul_f64 v[50:51], v[150:151], v[156:157]
	v_fma_f64 v[50:51], v[148:149], v[48:49], -v[50:51]
	v_mul_f64 v[148:149], v[148:149], v[156:157]
	v_fmac_f64_e32 v[148:149], v[150:151], v[48:49]
	s_waitcnt vmcnt(3)
	v_add_f64 v[6:7], v[6:7], -v[148:149]
	ds_read2_b64 v[148:151], v254 offset0:48 offset1:49
	v_add_f64 v[4:5], v[4:5], -v[50:51]
	s_waitcnt lgkmcnt(1)
	v_mul_f64 v[50:51], v[154:155], v[156:157]
	v_fma_f64 v[50:51], v[152:153], v[48:49], -v[50:51]
	s_waitcnt vmcnt(2)
	v_add_f64 v[0:1], v[0:1], -v[50:51]
	s_waitcnt lgkmcnt(0)
	v_mul_f64 v[50:51], v[150:151], v[156:157]
	v_mul_f64 v[152:153], v[152:153], v[156:157]
	v_fma_f64 v[50:51], v[148:149], v[48:49], -v[50:51]
	v_mul_f64 v[148:149], v[148:149], v[156:157]
	v_fmac_f64_e32 v[152:153], v[154:155], v[48:49]
	v_fmac_f64_e32 v[148:149], v[150:151], v[48:49]
	v_add_f64 v[2:3], v[2:3], -v[152:153]
	s_waitcnt vmcnt(0)
	v_add_f64 v[96:97], v[96:97], -v[50:51]
	v_add_f64 v[98:99], v[98:99], -v[148:149]
	v_mov_b64_e32 v[50:51], v[156:157]
.LBB49_109:
	s_or_b64 exec, exec, s[2:3]
	v_cmp_eq_u32_e32 vcc, 12, v252
	s_waitcnt lgkmcnt(0)
	s_barrier
	s_and_saveexec_b64 s[4:5], vcc
	s_cbranch_execz .LBB49_116
; %bb.110:
	s_waitcnt vmcnt(13)
	ds_write2_b64 v253, v[44:45], v[46:47] offset1:1
	s_waitcnt vmcnt(12)
	ds_write2_b64 v254, v[40:41], v[42:43] offset0:26 offset1:27
	s_waitcnt vmcnt(11)
	ds_write2_b64 v254, v[36:37], v[38:39] offset0:28 offset1:29
	;; [unrolled: 2-line block ×12, first 2 shown]
	ds_read2_b64 v[148:151], v253 offset1:1
	s_waitcnt lgkmcnt(0)
	v_cmp_neq_f64_e32 vcc, 0, v[148:149]
	v_cmp_neq_f64_e64 s[2:3], 0, v[150:151]
	s_or_b64 s[2:3], vcc, s[2:3]
	s_and_b64 exec, exec, s[2:3]
	s_cbranch_execz .LBB49_116
; %bb.111:
	v_cmp_ngt_f64_e64 s[2:3], |v[148:149]|, |v[150:151]|
                                        ; implicit-def: $vgpr152_vgpr153
	s_and_saveexec_b64 s[10:11], s[2:3]
	s_xor_b64 s[2:3], exec, s[10:11]
                                        ; implicit-def: $vgpr154_vgpr155
	s_cbranch_execz .LBB49_113
; %bb.112:
	v_div_scale_f64 v[152:153], s[10:11], v[150:151], v[150:151], v[148:149]
	v_rcp_f64_e32 v[154:155], v[152:153]
	v_div_scale_f64 v[156:157], vcc, v[148:149], v[150:151], v[148:149]
	v_fma_f64 v[158:159], -v[152:153], v[154:155], 1.0
	v_fmac_f64_e32 v[154:155], v[154:155], v[158:159]
	v_fma_f64 v[158:159], -v[152:153], v[154:155], 1.0
	v_fmac_f64_e32 v[154:155], v[154:155], v[158:159]
	v_mul_f64 v[158:159], v[156:157], v[154:155]
	v_fma_f64 v[152:153], -v[152:153], v[158:159], v[156:157]
	v_div_fmas_f64 v[152:153], v[152:153], v[154:155], v[158:159]
	v_div_fixup_f64 v[152:153], v[152:153], v[150:151], v[148:149]
	v_fmac_f64_e32 v[150:151], v[148:149], v[152:153]
	v_div_scale_f64 v[148:149], s[10:11], v[150:151], v[150:151], 1.0
	v_rcp_f64_e32 v[154:155], v[148:149]
	s_nop 0
	v_fma_f64 v[156:157], -v[148:149], v[154:155], 1.0
	v_fmac_f64_e32 v[154:155], v[154:155], v[156:157]
	v_fma_f64 v[156:157], -v[148:149], v[154:155], 1.0
	v_fmac_f64_e32 v[154:155], v[154:155], v[156:157]
	v_div_scale_f64 v[156:157], vcc, 1.0, v[150:151], 1.0
	v_mul_f64 v[158:159], v[156:157], v[154:155]
	v_fma_f64 v[148:149], -v[148:149], v[158:159], v[156:157]
	s_nop 1
	v_div_fmas_f64 v[148:149], v[148:149], v[154:155], v[158:159]
	v_div_fixup_f64 v[154:155], v[148:149], v[150:151], 1.0
	v_mul_f64 v[152:153], v[152:153], v[154:155]
	v_xor_b32_e32 v155, 0x80000000, v155
                                        ; implicit-def: $vgpr148_vgpr149
.LBB49_113:
	s_andn2_saveexec_b64 s[2:3], s[2:3]
	s_cbranch_execz .LBB49_115
; %bb.114:
	v_div_scale_f64 v[152:153], s[10:11], v[148:149], v[148:149], v[150:151]
	v_rcp_f64_e32 v[154:155], v[152:153]
	v_div_scale_f64 v[156:157], vcc, v[150:151], v[148:149], v[150:151]
	v_fma_f64 v[158:159], -v[152:153], v[154:155], 1.0
	v_fmac_f64_e32 v[154:155], v[154:155], v[158:159]
	v_fma_f64 v[158:159], -v[152:153], v[154:155], 1.0
	v_fmac_f64_e32 v[154:155], v[154:155], v[158:159]
	v_mul_f64 v[158:159], v[156:157], v[154:155]
	v_fma_f64 v[152:153], -v[152:153], v[158:159], v[156:157]
	v_div_fmas_f64 v[152:153], v[152:153], v[154:155], v[158:159]
	v_div_fixup_f64 v[154:155], v[152:153], v[148:149], v[150:151]
	v_fmac_f64_e32 v[148:149], v[150:151], v[154:155]
	v_div_scale_f64 v[150:151], s[10:11], v[148:149], v[148:149], 1.0
	v_rcp_f64_e32 v[152:153], v[150:151]
	s_nop 0
	v_fma_f64 v[156:157], -v[150:151], v[152:153], 1.0
	v_fmac_f64_e32 v[152:153], v[152:153], v[156:157]
	v_fma_f64 v[156:157], -v[150:151], v[152:153], 1.0
	v_fmac_f64_e32 v[152:153], v[152:153], v[156:157]
	v_div_scale_f64 v[156:157], vcc, 1.0, v[148:149], 1.0
	v_mul_f64 v[158:159], v[156:157], v[152:153]
	v_fma_f64 v[150:151], -v[150:151], v[158:159], v[156:157]
	s_nop 1
	v_div_fmas_f64 v[150:151], v[150:151], v[152:153], v[158:159]
	v_div_fixup_f64 v[152:153], v[150:151], v[148:149], 1.0
	v_mul_f64 v[154:155], v[154:155], -v[152:153]
.LBB49_115:
	s_or_b64 exec, exec, s[2:3]
	ds_write2_b64 v253, v[152:153], v[154:155] offset1:1
.LBB49_116:
	s_or_b64 exec, exec, s[4:5]
	s_waitcnt lgkmcnt(0)
	s_barrier
	ds_read2_b64 v[148:151], v253 offset1:1
	v_cmp_lt_u32_e32 vcc, 12, v252
	s_and_saveexec_b64 s[2:3], vcc
	s_cbranch_execz .LBB49_118
; %bb.117:
	ds_read2_b64 v[152:155], v254 offset0:26 offset1:27
	ds_read2_b64 v[156:159], v254 offset0:28 offset1:29
	s_waitcnt vmcnt(13) lgkmcnt(2)
	v_mul_f64 v[160:161], v[148:149], v[46:47]
	v_fmac_f64_e32 v[160:161], v[150:151], v[44:45]
	v_mul_f64 v[46:47], v[150:151], v[46:47]
	v_fma_f64 v[44:45], v[148:149], v[44:45], -v[46:47]
	s_waitcnt lgkmcnt(1)
	v_mul_f64 v[46:47], v[154:155], v[160:161]
	v_fma_f64 v[46:47], v[152:153], v[44:45], -v[46:47]
	v_mul_f64 v[152:153], v[152:153], v[160:161]
	v_fmac_f64_e32 v[152:153], v[154:155], v[44:45]
	s_waitcnt vmcnt(12)
	v_add_f64 v[40:41], v[40:41], -v[46:47]
	v_add_f64 v[42:43], v[42:43], -v[152:153]
	s_waitcnt lgkmcnt(0)
	v_mul_f64 v[46:47], v[158:159], v[160:161]
	ds_read2_b64 v[152:155], v254 offset0:30 offset1:31
	v_fma_f64 v[46:47], v[156:157], v[44:45], -v[46:47]
	v_mul_f64 v[156:157], v[156:157], v[160:161]
	v_fmac_f64_e32 v[156:157], v[158:159], v[44:45]
	s_waitcnt vmcnt(11)
	v_add_f64 v[38:39], v[38:39], -v[156:157]
	ds_read2_b64 v[156:159], v254 offset0:32 offset1:33
	v_add_f64 v[36:37], v[36:37], -v[46:47]
	s_waitcnt lgkmcnt(1)
	v_mul_f64 v[46:47], v[154:155], v[160:161]
	v_fma_f64 v[46:47], v[152:153], v[44:45], -v[46:47]
	v_mul_f64 v[152:153], v[152:153], v[160:161]
	v_fmac_f64_e32 v[152:153], v[154:155], v[44:45]
	s_waitcnt vmcnt(10)
	v_add_f64 v[32:33], v[32:33], -v[46:47]
	v_add_f64 v[34:35], v[34:35], -v[152:153]
	s_waitcnt lgkmcnt(0)
	v_mul_f64 v[46:47], v[158:159], v[160:161]
	ds_read2_b64 v[152:155], v254 offset0:34 offset1:35
	v_fma_f64 v[46:47], v[156:157], v[44:45], -v[46:47]
	v_mul_f64 v[156:157], v[156:157], v[160:161]
	v_fmac_f64_e32 v[156:157], v[158:159], v[44:45]
	s_waitcnt vmcnt(9)
	v_add_f64 v[30:31], v[30:31], -v[156:157]
	ds_read2_b64 v[156:159], v254 offset0:36 offset1:37
	v_add_f64 v[28:29], v[28:29], -v[46:47]
	;; [unrolled: 18-line block ×5, first 2 shown]
	s_waitcnt lgkmcnt(1)
	v_mul_f64 v[46:47], v[154:155], v[160:161]
	v_fma_f64 v[46:47], v[152:153], v[44:45], -v[46:47]
	v_mul_f64 v[152:153], v[152:153], v[160:161]
	v_fmac_f64_e32 v[152:153], v[154:155], v[44:45]
	s_waitcnt vmcnt(2)
	v_add_f64 v[0:1], v[0:1], -v[46:47]
	v_add_f64 v[2:3], v[2:3], -v[152:153]
	s_waitcnt lgkmcnt(0)
	v_mul_f64 v[46:47], v[158:159], v[160:161]
	v_mul_f64 v[152:153], v[156:157], v[160:161]
	v_fma_f64 v[46:47], v[156:157], v[44:45], -v[46:47]
	v_fmac_f64_e32 v[152:153], v[158:159], v[44:45]
	s_waitcnt vmcnt(0)
	v_add_f64 v[96:97], v[96:97], -v[46:47]
	v_add_f64 v[98:99], v[98:99], -v[152:153]
	v_mov_b64_e32 v[46:47], v[160:161]
.LBB49_118:
	s_or_b64 exec, exec, s[2:3]
	v_cmp_eq_u32_e32 vcc, 13, v252
	s_waitcnt lgkmcnt(0)
	s_barrier
	s_and_saveexec_b64 s[4:5], vcc
	s_cbranch_execz .LBB49_125
; %bb.119:
	s_waitcnt vmcnt(12)
	ds_write2_b64 v253, v[40:41], v[42:43] offset1:1
	s_waitcnt vmcnt(11)
	ds_write2_b64 v254, v[36:37], v[38:39] offset0:28 offset1:29
	s_waitcnt vmcnt(10)
	ds_write2_b64 v254, v[32:33], v[34:35] offset0:30 offset1:31
	;; [unrolled: 2-line block ×11, first 2 shown]
	ds_read2_b64 v[152:155], v253 offset1:1
	s_waitcnt lgkmcnt(0)
	v_cmp_neq_f64_e32 vcc, 0, v[152:153]
	v_cmp_neq_f64_e64 s[2:3], 0, v[154:155]
	s_or_b64 s[2:3], vcc, s[2:3]
	s_and_b64 exec, exec, s[2:3]
	s_cbranch_execz .LBB49_125
; %bb.120:
	v_cmp_ngt_f64_e64 s[2:3], |v[152:153]|, |v[154:155]|
                                        ; implicit-def: $vgpr156_vgpr157
	s_and_saveexec_b64 s[10:11], s[2:3]
	s_xor_b64 s[2:3], exec, s[10:11]
                                        ; implicit-def: $vgpr158_vgpr159
	s_cbranch_execz .LBB49_122
; %bb.121:
	v_div_scale_f64 v[156:157], s[10:11], v[154:155], v[154:155], v[152:153]
	v_rcp_f64_e32 v[158:159], v[156:157]
	v_div_scale_f64 v[160:161], vcc, v[152:153], v[154:155], v[152:153]
	v_fma_f64 v[162:163], -v[156:157], v[158:159], 1.0
	v_fmac_f64_e32 v[158:159], v[158:159], v[162:163]
	v_fma_f64 v[162:163], -v[156:157], v[158:159], 1.0
	v_fmac_f64_e32 v[158:159], v[158:159], v[162:163]
	v_mul_f64 v[162:163], v[160:161], v[158:159]
	v_fma_f64 v[156:157], -v[156:157], v[162:163], v[160:161]
	v_div_fmas_f64 v[156:157], v[156:157], v[158:159], v[162:163]
	v_div_fixup_f64 v[156:157], v[156:157], v[154:155], v[152:153]
	v_fmac_f64_e32 v[154:155], v[152:153], v[156:157]
	v_div_scale_f64 v[152:153], s[10:11], v[154:155], v[154:155], 1.0
	v_rcp_f64_e32 v[158:159], v[152:153]
	s_nop 0
	v_fma_f64 v[160:161], -v[152:153], v[158:159], 1.0
	v_fmac_f64_e32 v[158:159], v[158:159], v[160:161]
	v_fma_f64 v[160:161], -v[152:153], v[158:159], 1.0
	v_fmac_f64_e32 v[158:159], v[158:159], v[160:161]
	v_div_scale_f64 v[160:161], vcc, 1.0, v[154:155], 1.0
	v_mul_f64 v[162:163], v[160:161], v[158:159]
	v_fma_f64 v[152:153], -v[152:153], v[162:163], v[160:161]
	s_nop 1
	v_div_fmas_f64 v[152:153], v[152:153], v[158:159], v[162:163]
	v_div_fixup_f64 v[158:159], v[152:153], v[154:155], 1.0
	v_mul_f64 v[156:157], v[156:157], v[158:159]
	v_xor_b32_e32 v159, 0x80000000, v159
                                        ; implicit-def: $vgpr152_vgpr153
.LBB49_122:
	s_andn2_saveexec_b64 s[2:3], s[2:3]
	s_cbranch_execz .LBB49_124
; %bb.123:
	v_div_scale_f64 v[156:157], s[10:11], v[152:153], v[152:153], v[154:155]
	v_rcp_f64_e32 v[158:159], v[156:157]
	v_div_scale_f64 v[160:161], vcc, v[154:155], v[152:153], v[154:155]
	v_fma_f64 v[162:163], -v[156:157], v[158:159], 1.0
	v_fmac_f64_e32 v[158:159], v[158:159], v[162:163]
	v_fma_f64 v[162:163], -v[156:157], v[158:159], 1.0
	v_fmac_f64_e32 v[158:159], v[158:159], v[162:163]
	v_mul_f64 v[162:163], v[160:161], v[158:159]
	v_fma_f64 v[156:157], -v[156:157], v[162:163], v[160:161]
	v_div_fmas_f64 v[156:157], v[156:157], v[158:159], v[162:163]
	v_div_fixup_f64 v[158:159], v[156:157], v[152:153], v[154:155]
	v_fmac_f64_e32 v[152:153], v[154:155], v[158:159]
	v_div_scale_f64 v[154:155], s[10:11], v[152:153], v[152:153], 1.0
	v_rcp_f64_e32 v[156:157], v[154:155]
	s_nop 0
	v_fma_f64 v[160:161], -v[154:155], v[156:157], 1.0
	v_fmac_f64_e32 v[156:157], v[156:157], v[160:161]
	v_fma_f64 v[160:161], -v[154:155], v[156:157], 1.0
	v_fmac_f64_e32 v[156:157], v[156:157], v[160:161]
	v_div_scale_f64 v[160:161], vcc, 1.0, v[152:153], 1.0
	v_mul_f64 v[162:163], v[160:161], v[156:157]
	v_fma_f64 v[154:155], -v[154:155], v[162:163], v[160:161]
	s_nop 1
	v_div_fmas_f64 v[154:155], v[154:155], v[156:157], v[162:163]
	v_div_fixup_f64 v[156:157], v[154:155], v[152:153], 1.0
	v_mul_f64 v[158:159], v[158:159], -v[156:157]
.LBB49_124:
	s_or_b64 exec, exec, s[2:3]
	ds_write2_b64 v253, v[156:157], v[158:159] offset1:1
.LBB49_125:
	s_or_b64 exec, exec, s[4:5]
	s_waitcnt lgkmcnt(0)
	s_barrier
	ds_read2_b64 v[152:155], v253 offset1:1
	v_cmp_lt_u32_e32 vcc, 13, v252
	s_and_saveexec_b64 s[2:3], vcc
	s_cbranch_execz .LBB49_127
; %bb.126:
	ds_read2_b64 v[156:159], v254 offset0:28 offset1:29
	ds_read2_b64 v[160:163], v254 offset0:30 offset1:31
	s_waitcnt vmcnt(12) lgkmcnt(2)
	v_mul_f64 v[164:165], v[152:153], v[42:43]
	v_fmac_f64_e32 v[164:165], v[154:155], v[40:41]
	v_mul_f64 v[42:43], v[154:155], v[42:43]
	v_fma_f64 v[40:41], v[152:153], v[40:41], -v[42:43]
	s_waitcnt lgkmcnt(1)
	v_mul_f64 v[42:43], v[158:159], v[164:165]
	v_fma_f64 v[42:43], v[156:157], v[40:41], -v[42:43]
	v_mul_f64 v[156:157], v[156:157], v[164:165]
	v_fmac_f64_e32 v[156:157], v[158:159], v[40:41]
	s_waitcnt vmcnt(11)
	v_add_f64 v[38:39], v[38:39], -v[156:157]
	ds_read2_b64 v[156:159], v254 offset0:32 offset1:33
	v_add_f64 v[36:37], v[36:37], -v[42:43]
	s_waitcnt lgkmcnt(1)
	v_mul_f64 v[42:43], v[162:163], v[164:165]
	v_fma_f64 v[42:43], v[160:161], v[40:41], -v[42:43]
	v_mul_f64 v[160:161], v[160:161], v[164:165]
	v_fmac_f64_e32 v[160:161], v[162:163], v[40:41]
	s_waitcnt vmcnt(10)
	v_add_f64 v[32:33], v[32:33], -v[42:43]
	v_add_f64 v[34:35], v[34:35], -v[160:161]
	ds_read2_b64 v[160:163], v254 offset0:34 offset1:35
	s_waitcnt lgkmcnt(1)
	v_mul_f64 v[42:43], v[158:159], v[164:165]
	v_fma_f64 v[42:43], v[156:157], v[40:41], -v[42:43]
	v_mul_f64 v[156:157], v[156:157], v[164:165]
	v_fmac_f64_e32 v[156:157], v[158:159], v[40:41]
	s_waitcnt vmcnt(9)
	v_add_f64 v[30:31], v[30:31], -v[156:157]
	ds_read2_b64 v[156:159], v254 offset0:36 offset1:37
	v_add_f64 v[28:29], v[28:29], -v[42:43]
	s_waitcnt lgkmcnt(1)
	v_mul_f64 v[42:43], v[162:163], v[164:165]
	v_fma_f64 v[42:43], v[160:161], v[40:41], -v[42:43]
	v_mul_f64 v[160:161], v[160:161], v[164:165]
	v_fmac_f64_e32 v[160:161], v[162:163], v[40:41]
	s_waitcnt vmcnt(8)
	v_add_f64 v[24:25], v[24:25], -v[42:43]
	v_add_f64 v[26:27], v[26:27], -v[160:161]
	ds_read2_b64 v[160:163], v254 offset0:38 offset1:39
	;; [unrolled: 18-line block ×4, first 2 shown]
	s_waitcnt lgkmcnt(1)
	v_mul_f64 v[42:43], v[158:159], v[164:165]
	v_fma_f64 v[42:43], v[156:157], v[40:41], -v[42:43]
	v_mul_f64 v[156:157], v[156:157], v[164:165]
	v_fmac_f64_e32 v[156:157], v[158:159], v[40:41]
	s_waitcnt vmcnt(3)
	v_add_f64 v[6:7], v[6:7], -v[156:157]
	ds_read2_b64 v[156:159], v254 offset0:48 offset1:49
	v_add_f64 v[4:5], v[4:5], -v[42:43]
	s_waitcnt lgkmcnt(1)
	v_mul_f64 v[42:43], v[162:163], v[164:165]
	v_fma_f64 v[42:43], v[160:161], v[40:41], -v[42:43]
	s_waitcnt vmcnt(2)
	v_add_f64 v[0:1], v[0:1], -v[42:43]
	s_waitcnt lgkmcnt(0)
	v_mul_f64 v[42:43], v[158:159], v[164:165]
	v_mul_f64 v[160:161], v[160:161], v[164:165]
	v_fma_f64 v[42:43], v[156:157], v[40:41], -v[42:43]
	v_mul_f64 v[156:157], v[156:157], v[164:165]
	v_fmac_f64_e32 v[160:161], v[162:163], v[40:41]
	v_fmac_f64_e32 v[156:157], v[158:159], v[40:41]
	v_add_f64 v[2:3], v[2:3], -v[160:161]
	s_waitcnt vmcnt(0)
	v_add_f64 v[96:97], v[96:97], -v[42:43]
	v_add_f64 v[98:99], v[98:99], -v[156:157]
	v_mov_b64_e32 v[42:43], v[164:165]
.LBB49_127:
	s_or_b64 exec, exec, s[2:3]
	v_cmp_eq_u32_e32 vcc, 14, v252
	s_waitcnt lgkmcnt(0)
	s_barrier
	s_and_saveexec_b64 s[4:5], vcc
	s_cbranch_execz .LBB49_134
; %bb.128:
	s_waitcnt vmcnt(11)
	ds_write2_b64 v253, v[36:37], v[38:39] offset1:1
	s_waitcnt vmcnt(10)
	ds_write2_b64 v254, v[32:33], v[34:35] offset0:30 offset1:31
	s_waitcnt vmcnt(9)
	ds_write2_b64 v254, v[28:29], v[30:31] offset0:32 offset1:33
	;; [unrolled: 2-line block ×10, first 2 shown]
	ds_read2_b64 v[156:159], v253 offset1:1
	s_waitcnt lgkmcnt(0)
	v_cmp_neq_f64_e32 vcc, 0, v[156:157]
	v_cmp_neq_f64_e64 s[2:3], 0, v[158:159]
	s_or_b64 s[2:3], vcc, s[2:3]
	s_and_b64 exec, exec, s[2:3]
	s_cbranch_execz .LBB49_134
; %bb.129:
	v_cmp_ngt_f64_e64 s[2:3], |v[156:157]|, |v[158:159]|
                                        ; implicit-def: $vgpr160_vgpr161
	s_and_saveexec_b64 s[10:11], s[2:3]
	s_xor_b64 s[2:3], exec, s[10:11]
                                        ; implicit-def: $vgpr162_vgpr163
	s_cbranch_execz .LBB49_131
; %bb.130:
	v_div_scale_f64 v[160:161], s[10:11], v[158:159], v[158:159], v[156:157]
	v_rcp_f64_e32 v[162:163], v[160:161]
	v_div_scale_f64 v[164:165], vcc, v[156:157], v[158:159], v[156:157]
	v_fma_f64 v[166:167], -v[160:161], v[162:163], 1.0
	v_fmac_f64_e32 v[162:163], v[162:163], v[166:167]
	v_fma_f64 v[166:167], -v[160:161], v[162:163], 1.0
	v_fmac_f64_e32 v[162:163], v[162:163], v[166:167]
	v_mul_f64 v[166:167], v[164:165], v[162:163]
	v_fma_f64 v[160:161], -v[160:161], v[166:167], v[164:165]
	v_div_fmas_f64 v[160:161], v[160:161], v[162:163], v[166:167]
	v_div_fixup_f64 v[160:161], v[160:161], v[158:159], v[156:157]
	v_fmac_f64_e32 v[158:159], v[156:157], v[160:161]
	v_div_scale_f64 v[156:157], s[10:11], v[158:159], v[158:159], 1.0
	v_rcp_f64_e32 v[162:163], v[156:157]
	s_nop 0
	v_fma_f64 v[164:165], -v[156:157], v[162:163], 1.0
	v_fmac_f64_e32 v[162:163], v[162:163], v[164:165]
	v_fma_f64 v[164:165], -v[156:157], v[162:163], 1.0
	v_fmac_f64_e32 v[162:163], v[162:163], v[164:165]
	v_div_scale_f64 v[164:165], vcc, 1.0, v[158:159], 1.0
	v_mul_f64 v[166:167], v[164:165], v[162:163]
	v_fma_f64 v[156:157], -v[156:157], v[166:167], v[164:165]
	s_nop 1
	v_div_fmas_f64 v[156:157], v[156:157], v[162:163], v[166:167]
	v_div_fixup_f64 v[162:163], v[156:157], v[158:159], 1.0
	v_mul_f64 v[160:161], v[160:161], v[162:163]
	v_xor_b32_e32 v163, 0x80000000, v163
                                        ; implicit-def: $vgpr156_vgpr157
.LBB49_131:
	s_andn2_saveexec_b64 s[2:3], s[2:3]
	s_cbranch_execz .LBB49_133
; %bb.132:
	v_div_scale_f64 v[160:161], s[10:11], v[156:157], v[156:157], v[158:159]
	v_rcp_f64_e32 v[162:163], v[160:161]
	v_div_scale_f64 v[164:165], vcc, v[158:159], v[156:157], v[158:159]
	v_fma_f64 v[166:167], -v[160:161], v[162:163], 1.0
	v_fmac_f64_e32 v[162:163], v[162:163], v[166:167]
	v_fma_f64 v[166:167], -v[160:161], v[162:163], 1.0
	v_fmac_f64_e32 v[162:163], v[162:163], v[166:167]
	v_mul_f64 v[166:167], v[164:165], v[162:163]
	v_fma_f64 v[160:161], -v[160:161], v[166:167], v[164:165]
	v_div_fmas_f64 v[160:161], v[160:161], v[162:163], v[166:167]
	v_div_fixup_f64 v[162:163], v[160:161], v[156:157], v[158:159]
	v_fmac_f64_e32 v[156:157], v[158:159], v[162:163]
	v_div_scale_f64 v[158:159], s[10:11], v[156:157], v[156:157], 1.0
	v_rcp_f64_e32 v[160:161], v[158:159]
	s_nop 0
	v_fma_f64 v[164:165], -v[158:159], v[160:161], 1.0
	v_fmac_f64_e32 v[160:161], v[160:161], v[164:165]
	v_fma_f64 v[164:165], -v[158:159], v[160:161], 1.0
	v_fmac_f64_e32 v[160:161], v[160:161], v[164:165]
	v_div_scale_f64 v[164:165], vcc, 1.0, v[156:157], 1.0
	v_mul_f64 v[166:167], v[164:165], v[160:161]
	v_fma_f64 v[158:159], -v[158:159], v[166:167], v[164:165]
	s_nop 1
	v_div_fmas_f64 v[158:159], v[158:159], v[160:161], v[166:167]
	v_div_fixup_f64 v[160:161], v[158:159], v[156:157], 1.0
	v_mul_f64 v[162:163], v[162:163], -v[160:161]
.LBB49_133:
	s_or_b64 exec, exec, s[2:3]
	ds_write2_b64 v253, v[160:161], v[162:163] offset1:1
.LBB49_134:
	s_or_b64 exec, exec, s[4:5]
	s_waitcnt lgkmcnt(0)
	s_barrier
	ds_read2_b64 v[156:159], v253 offset1:1
	v_cmp_lt_u32_e32 vcc, 14, v252
	s_and_saveexec_b64 s[2:3], vcc
	s_cbranch_execz .LBB49_136
; %bb.135:
	ds_read2_b64 v[160:163], v254 offset0:30 offset1:31
	ds_read2_b64 v[164:167], v254 offset0:32 offset1:33
	s_waitcnt vmcnt(11) lgkmcnt(2)
	v_mul_f64 v[168:169], v[156:157], v[38:39]
	v_fmac_f64_e32 v[168:169], v[158:159], v[36:37]
	v_mul_f64 v[38:39], v[158:159], v[38:39]
	v_fma_f64 v[36:37], v[156:157], v[36:37], -v[38:39]
	s_waitcnt lgkmcnt(1)
	v_mul_f64 v[38:39], v[162:163], v[168:169]
	v_fma_f64 v[38:39], v[160:161], v[36:37], -v[38:39]
	v_mul_f64 v[160:161], v[160:161], v[168:169]
	v_fmac_f64_e32 v[160:161], v[162:163], v[36:37]
	s_waitcnt vmcnt(10)
	v_add_f64 v[32:33], v[32:33], -v[38:39]
	v_add_f64 v[34:35], v[34:35], -v[160:161]
	s_waitcnt lgkmcnt(0)
	v_mul_f64 v[38:39], v[166:167], v[168:169]
	ds_read2_b64 v[160:163], v254 offset0:34 offset1:35
	v_fma_f64 v[38:39], v[164:165], v[36:37], -v[38:39]
	v_mul_f64 v[164:165], v[164:165], v[168:169]
	v_fmac_f64_e32 v[164:165], v[166:167], v[36:37]
	s_waitcnt vmcnt(9)
	v_add_f64 v[30:31], v[30:31], -v[164:165]
	ds_read2_b64 v[164:167], v254 offset0:36 offset1:37
	v_add_f64 v[28:29], v[28:29], -v[38:39]
	s_waitcnt lgkmcnt(1)
	v_mul_f64 v[38:39], v[162:163], v[168:169]
	v_fma_f64 v[38:39], v[160:161], v[36:37], -v[38:39]
	v_mul_f64 v[160:161], v[160:161], v[168:169]
	v_fmac_f64_e32 v[160:161], v[162:163], v[36:37]
	s_waitcnt vmcnt(8)
	v_add_f64 v[24:25], v[24:25], -v[38:39]
	v_add_f64 v[26:27], v[26:27], -v[160:161]
	s_waitcnt lgkmcnt(0)
	v_mul_f64 v[38:39], v[166:167], v[168:169]
	ds_read2_b64 v[160:163], v254 offset0:38 offset1:39
	v_fma_f64 v[38:39], v[164:165], v[36:37], -v[38:39]
	v_mul_f64 v[164:165], v[164:165], v[168:169]
	v_fmac_f64_e32 v[164:165], v[166:167], v[36:37]
	s_waitcnt vmcnt(7)
	v_add_f64 v[22:23], v[22:23], -v[164:165]
	ds_read2_b64 v[164:167], v254 offset0:40 offset1:41
	v_add_f64 v[20:21], v[20:21], -v[38:39]
	;; [unrolled: 18-line block ×4, first 2 shown]
	s_waitcnt lgkmcnt(1)
	v_mul_f64 v[38:39], v[162:163], v[168:169]
	v_fma_f64 v[38:39], v[160:161], v[36:37], -v[38:39]
	v_mul_f64 v[160:161], v[160:161], v[168:169]
	v_fmac_f64_e32 v[160:161], v[162:163], v[36:37]
	s_waitcnt vmcnt(2)
	v_add_f64 v[0:1], v[0:1], -v[38:39]
	v_add_f64 v[2:3], v[2:3], -v[160:161]
	s_waitcnt lgkmcnt(0)
	v_mul_f64 v[38:39], v[166:167], v[168:169]
	v_mul_f64 v[160:161], v[164:165], v[168:169]
	v_fma_f64 v[38:39], v[164:165], v[36:37], -v[38:39]
	v_fmac_f64_e32 v[160:161], v[166:167], v[36:37]
	s_waitcnt vmcnt(0)
	v_add_f64 v[96:97], v[96:97], -v[38:39]
	v_add_f64 v[98:99], v[98:99], -v[160:161]
	v_mov_b64_e32 v[38:39], v[168:169]
.LBB49_136:
	s_or_b64 exec, exec, s[2:3]
	v_cmp_eq_u32_e32 vcc, 15, v252
	s_waitcnt lgkmcnt(0)
	s_barrier
	s_and_saveexec_b64 s[4:5], vcc
	s_cbranch_execz .LBB49_143
; %bb.137:
	s_waitcnt vmcnt(10)
	ds_write2_b64 v253, v[32:33], v[34:35] offset1:1
	s_waitcnt vmcnt(9)
	ds_write2_b64 v254, v[28:29], v[30:31] offset0:32 offset1:33
	s_waitcnt vmcnt(8)
	ds_write2_b64 v254, v[24:25], v[26:27] offset0:34 offset1:35
	;; [unrolled: 2-line block ×9, first 2 shown]
	ds_read2_b64 v[160:163], v253 offset1:1
	s_waitcnt lgkmcnt(0)
	v_cmp_neq_f64_e32 vcc, 0, v[160:161]
	v_cmp_neq_f64_e64 s[2:3], 0, v[162:163]
	s_or_b64 s[2:3], vcc, s[2:3]
	s_and_b64 exec, exec, s[2:3]
	s_cbranch_execz .LBB49_143
; %bb.138:
	v_cmp_ngt_f64_e64 s[2:3], |v[160:161]|, |v[162:163]|
                                        ; implicit-def: $vgpr164_vgpr165
	s_and_saveexec_b64 s[10:11], s[2:3]
	s_xor_b64 s[2:3], exec, s[10:11]
                                        ; implicit-def: $vgpr166_vgpr167
	s_cbranch_execz .LBB49_140
; %bb.139:
	v_div_scale_f64 v[164:165], s[10:11], v[162:163], v[162:163], v[160:161]
	v_rcp_f64_e32 v[166:167], v[164:165]
	v_div_scale_f64 v[168:169], vcc, v[160:161], v[162:163], v[160:161]
	v_fma_f64 v[170:171], -v[164:165], v[166:167], 1.0
	v_fmac_f64_e32 v[166:167], v[166:167], v[170:171]
	v_fma_f64 v[170:171], -v[164:165], v[166:167], 1.0
	v_fmac_f64_e32 v[166:167], v[166:167], v[170:171]
	v_mul_f64 v[170:171], v[168:169], v[166:167]
	v_fma_f64 v[164:165], -v[164:165], v[170:171], v[168:169]
	v_div_fmas_f64 v[164:165], v[164:165], v[166:167], v[170:171]
	v_div_fixup_f64 v[164:165], v[164:165], v[162:163], v[160:161]
	v_fmac_f64_e32 v[162:163], v[160:161], v[164:165]
	v_div_scale_f64 v[160:161], s[10:11], v[162:163], v[162:163], 1.0
	v_rcp_f64_e32 v[166:167], v[160:161]
	s_nop 0
	v_fma_f64 v[168:169], -v[160:161], v[166:167], 1.0
	v_fmac_f64_e32 v[166:167], v[166:167], v[168:169]
	v_fma_f64 v[168:169], -v[160:161], v[166:167], 1.0
	v_fmac_f64_e32 v[166:167], v[166:167], v[168:169]
	v_div_scale_f64 v[168:169], vcc, 1.0, v[162:163], 1.0
	v_mul_f64 v[170:171], v[168:169], v[166:167]
	v_fma_f64 v[160:161], -v[160:161], v[170:171], v[168:169]
	s_nop 1
	v_div_fmas_f64 v[160:161], v[160:161], v[166:167], v[170:171]
	v_div_fixup_f64 v[166:167], v[160:161], v[162:163], 1.0
	v_mul_f64 v[164:165], v[164:165], v[166:167]
	v_xor_b32_e32 v167, 0x80000000, v167
                                        ; implicit-def: $vgpr160_vgpr161
.LBB49_140:
	s_andn2_saveexec_b64 s[2:3], s[2:3]
	s_cbranch_execz .LBB49_142
; %bb.141:
	v_div_scale_f64 v[164:165], s[10:11], v[160:161], v[160:161], v[162:163]
	v_rcp_f64_e32 v[166:167], v[164:165]
	v_div_scale_f64 v[168:169], vcc, v[162:163], v[160:161], v[162:163]
	v_fma_f64 v[170:171], -v[164:165], v[166:167], 1.0
	v_fmac_f64_e32 v[166:167], v[166:167], v[170:171]
	v_fma_f64 v[170:171], -v[164:165], v[166:167], 1.0
	v_fmac_f64_e32 v[166:167], v[166:167], v[170:171]
	v_mul_f64 v[170:171], v[168:169], v[166:167]
	v_fma_f64 v[164:165], -v[164:165], v[170:171], v[168:169]
	v_div_fmas_f64 v[164:165], v[164:165], v[166:167], v[170:171]
	v_div_fixup_f64 v[166:167], v[164:165], v[160:161], v[162:163]
	v_fmac_f64_e32 v[160:161], v[162:163], v[166:167]
	v_div_scale_f64 v[162:163], s[10:11], v[160:161], v[160:161], 1.0
	v_rcp_f64_e32 v[164:165], v[162:163]
	s_nop 0
	v_fma_f64 v[168:169], -v[162:163], v[164:165], 1.0
	v_fmac_f64_e32 v[164:165], v[164:165], v[168:169]
	v_fma_f64 v[168:169], -v[162:163], v[164:165], 1.0
	v_fmac_f64_e32 v[164:165], v[164:165], v[168:169]
	v_div_scale_f64 v[168:169], vcc, 1.0, v[160:161], 1.0
	v_mul_f64 v[170:171], v[168:169], v[164:165]
	v_fma_f64 v[162:163], -v[162:163], v[170:171], v[168:169]
	s_nop 1
	v_div_fmas_f64 v[162:163], v[162:163], v[164:165], v[170:171]
	v_div_fixup_f64 v[164:165], v[162:163], v[160:161], 1.0
	v_mul_f64 v[166:167], v[166:167], -v[164:165]
.LBB49_142:
	s_or_b64 exec, exec, s[2:3]
	ds_write2_b64 v253, v[164:165], v[166:167] offset1:1
.LBB49_143:
	s_or_b64 exec, exec, s[4:5]
	s_waitcnt lgkmcnt(0)
	s_barrier
	ds_read2_b64 v[160:163], v253 offset1:1
	v_cmp_lt_u32_e32 vcc, 15, v252
	s_and_saveexec_b64 s[2:3], vcc
	s_cbranch_execz .LBB49_145
; %bb.144:
	ds_read2_b64 v[164:167], v254 offset0:32 offset1:33
	ds_read2_b64 v[168:171], v254 offset0:34 offset1:35
	s_waitcnt vmcnt(10) lgkmcnt(2)
	v_mul_f64 v[172:173], v[160:161], v[34:35]
	v_fmac_f64_e32 v[172:173], v[162:163], v[32:33]
	v_mul_f64 v[34:35], v[162:163], v[34:35]
	v_fma_f64 v[32:33], v[160:161], v[32:33], -v[34:35]
	s_waitcnt lgkmcnt(1)
	v_mul_f64 v[34:35], v[166:167], v[172:173]
	v_fma_f64 v[34:35], v[164:165], v[32:33], -v[34:35]
	v_mul_f64 v[164:165], v[164:165], v[172:173]
	v_fmac_f64_e32 v[164:165], v[166:167], v[32:33]
	s_waitcnt vmcnt(9)
	v_add_f64 v[30:31], v[30:31], -v[164:165]
	ds_read2_b64 v[164:167], v254 offset0:36 offset1:37
	v_add_f64 v[28:29], v[28:29], -v[34:35]
	s_waitcnt lgkmcnt(1)
	v_mul_f64 v[34:35], v[170:171], v[172:173]
	v_fma_f64 v[34:35], v[168:169], v[32:33], -v[34:35]
	v_mul_f64 v[168:169], v[168:169], v[172:173]
	v_fmac_f64_e32 v[168:169], v[170:171], v[32:33]
	s_waitcnt vmcnt(8)
	v_add_f64 v[24:25], v[24:25], -v[34:35]
	v_add_f64 v[26:27], v[26:27], -v[168:169]
	ds_read2_b64 v[168:171], v254 offset0:38 offset1:39
	s_waitcnt lgkmcnt(1)
	v_mul_f64 v[34:35], v[166:167], v[172:173]
	v_fma_f64 v[34:35], v[164:165], v[32:33], -v[34:35]
	v_mul_f64 v[164:165], v[164:165], v[172:173]
	v_fmac_f64_e32 v[164:165], v[166:167], v[32:33]
	s_waitcnt vmcnt(7)
	v_add_f64 v[22:23], v[22:23], -v[164:165]
	ds_read2_b64 v[164:167], v254 offset0:40 offset1:41
	v_add_f64 v[20:21], v[20:21], -v[34:35]
	s_waitcnt lgkmcnt(1)
	v_mul_f64 v[34:35], v[170:171], v[172:173]
	v_fma_f64 v[34:35], v[168:169], v[32:33], -v[34:35]
	v_mul_f64 v[168:169], v[168:169], v[172:173]
	v_fmac_f64_e32 v[168:169], v[170:171], v[32:33]
	s_waitcnt vmcnt(6)
	v_add_f64 v[16:17], v[16:17], -v[34:35]
	v_add_f64 v[18:19], v[18:19], -v[168:169]
	ds_read2_b64 v[168:171], v254 offset0:42 offset1:43
	s_waitcnt lgkmcnt(1)
	v_mul_f64 v[34:35], v[166:167], v[172:173]
	v_fma_f64 v[34:35], v[164:165], v[32:33], -v[34:35]
	v_mul_f64 v[164:165], v[164:165], v[172:173]
	v_fmac_f64_e32 v[164:165], v[166:167], v[32:33]
	s_waitcnt vmcnt(5)
	v_add_f64 v[14:15], v[14:15], -v[164:165]
	ds_read2_b64 v[164:167], v254 offset0:44 offset1:45
	v_add_f64 v[12:13], v[12:13], -v[34:35]
	s_waitcnt lgkmcnt(1)
	v_mul_f64 v[34:35], v[170:171], v[172:173]
	v_fma_f64 v[34:35], v[168:169], v[32:33], -v[34:35]
	v_mul_f64 v[168:169], v[168:169], v[172:173]
	v_fmac_f64_e32 v[168:169], v[170:171], v[32:33]
	s_waitcnt vmcnt(4)
	v_add_f64 v[8:9], v[8:9], -v[34:35]
	v_add_f64 v[10:11], v[10:11], -v[168:169]
	ds_read2_b64 v[168:171], v254 offset0:46 offset1:47
	s_waitcnt lgkmcnt(1)
	v_mul_f64 v[34:35], v[166:167], v[172:173]
	v_fma_f64 v[34:35], v[164:165], v[32:33], -v[34:35]
	v_mul_f64 v[164:165], v[164:165], v[172:173]
	v_fmac_f64_e32 v[164:165], v[166:167], v[32:33]
	s_waitcnt vmcnt(3)
	v_add_f64 v[6:7], v[6:7], -v[164:165]
	ds_read2_b64 v[164:167], v254 offset0:48 offset1:49
	v_add_f64 v[4:5], v[4:5], -v[34:35]
	s_waitcnt lgkmcnt(1)
	v_mul_f64 v[34:35], v[170:171], v[172:173]
	v_fma_f64 v[34:35], v[168:169], v[32:33], -v[34:35]
	s_waitcnt vmcnt(2)
	v_add_f64 v[0:1], v[0:1], -v[34:35]
	s_waitcnt lgkmcnt(0)
	v_mul_f64 v[34:35], v[166:167], v[172:173]
	v_mul_f64 v[168:169], v[168:169], v[172:173]
	v_fma_f64 v[34:35], v[164:165], v[32:33], -v[34:35]
	v_mul_f64 v[164:165], v[164:165], v[172:173]
	v_fmac_f64_e32 v[168:169], v[170:171], v[32:33]
	v_fmac_f64_e32 v[164:165], v[166:167], v[32:33]
	v_add_f64 v[2:3], v[2:3], -v[168:169]
	s_waitcnt vmcnt(0)
	v_add_f64 v[96:97], v[96:97], -v[34:35]
	v_add_f64 v[98:99], v[98:99], -v[164:165]
	v_mov_b64_e32 v[34:35], v[172:173]
.LBB49_145:
	s_or_b64 exec, exec, s[2:3]
	v_cmp_eq_u32_e32 vcc, 16, v252
	s_waitcnt lgkmcnt(0)
	s_barrier
	s_and_saveexec_b64 s[4:5], vcc
	s_cbranch_execz .LBB49_152
; %bb.146:
	s_waitcnt vmcnt(9)
	ds_write2_b64 v253, v[28:29], v[30:31] offset1:1
	s_waitcnt vmcnt(8)
	ds_write2_b64 v254, v[24:25], v[26:27] offset0:34 offset1:35
	s_waitcnt vmcnt(7)
	ds_write2_b64 v254, v[20:21], v[22:23] offset0:36 offset1:37
	;; [unrolled: 2-line block ×8, first 2 shown]
	ds_read2_b64 v[164:167], v253 offset1:1
	s_waitcnt lgkmcnt(0)
	v_cmp_neq_f64_e32 vcc, 0, v[164:165]
	v_cmp_neq_f64_e64 s[2:3], 0, v[166:167]
	s_or_b64 s[2:3], vcc, s[2:3]
	s_and_b64 exec, exec, s[2:3]
	s_cbranch_execz .LBB49_152
; %bb.147:
	v_cmp_ngt_f64_e64 s[2:3], |v[164:165]|, |v[166:167]|
                                        ; implicit-def: $vgpr168_vgpr169
	s_and_saveexec_b64 s[10:11], s[2:3]
	s_xor_b64 s[2:3], exec, s[10:11]
                                        ; implicit-def: $vgpr170_vgpr171
	s_cbranch_execz .LBB49_149
; %bb.148:
	v_div_scale_f64 v[168:169], s[10:11], v[166:167], v[166:167], v[164:165]
	v_rcp_f64_e32 v[170:171], v[168:169]
	v_div_scale_f64 v[172:173], vcc, v[164:165], v[166:167], v[164:165]
	v_fma_f64 v[174:175], -v[168:169], v[170:171], 1.0
	v_fmac_f64_e32 v[170:171], v[170:171], v[174:175]
	v_fma_f64 v[174:175], -v[168:169], v[170:171], 1.0
	v_fmac_f64_e32 v[170:171], v[170:171], v[174:175]
	v_mul_f64 v[174:175], v[172:173], v[170:171]
	v_fma_f64 v[168:169], -v[168:169], v[174:175], v[172:173]
	v_div_fmas_f64 v[168:169], v[168:169], v[170:171], v[174:175]
	v_div_fixup_f64 v[168:169], v[168:169], v[166:167], v[164:165]
	v_fmac_f64_e32 v[166:167], v[164:165], v[168:169]
	v_div_scale_f64 v[164:165], s[10:11], v[166:167], v[166:167], 1.0
	v_rcp_f64_e32 v[170:171], v[164:165]
	s_nop 0
	v_fma_f64 v[172:173], -v[164:165], v[170:171], 1.0
	v_fmac_f64_e32 v[170:171], v[170:171], v[172:173]
	v_fma_f64 v[172:173], -v[164:165], v[170:171], 1.0
	v_fmac_f64_e32 v[170:171], v[170:171], v[172:173]
	v_div_scale_f64 v[172:173], vcc, 1.0, v[166:167], 1.0
	v_mul_f64 v[174:175], v[172:173], v[170:171]
	v_fma_f64 v[164:165], -v[164:165], v[174:175], v[172:173]
	s_nop 1
	v_div_fmas_f64 v[164:165], v[164:165], v[170:171], v[174:175]
	v_div_fixup_f64 v[170:171], v[164:165], v[166:167], 1.0
	v_mul_f64 v[168:169], v[168:169], v[170:171]
	v_xor_b32_e32 v171, 0x80000000, v171
                                        ; implicit-def: $vgpr164_vgpr165
.LBB49_149:
	s_andn2_saveexec_b64 s[2:3], s[2:3]
	s_cbranch_execz .LBB49_151
; %bb.150:
	v_div_scale_f64 v[168:169], s[10:11], v[164:165], v[164:165], v[166:167]
	v_rcp_f64_e32 v[170:171], v[168:169]
	v_div_scale_f64 v[172:173], vcc, v[166:167], v[164:165], v[166:167]
	v_fma_f64 v[174:175], -v[168:169], v[170:171], 1.0
	v_fmac_f64_e32 v[170:171], v[170:171], v[174:175]
	v_fma_f64 v[174:175], -v[168:169], v[170:171], 1.0
	v_fmac_f64_e32 v[170:171], v[170:171], v[174:175]
	v_mul_f64 v[174:175], v[172:173], v[170:171]
	v_fma_f64 v[168:169], -v[168:169], v[174:175], v[172:173]
	v_div_fmas_f64 v[168:169], v[168:169], v[170:171], v[174:175]
	v_div_fixup_f64 v[170:171], v[168:169], v[164:165], v[166:167]
	v_fmac_f64_e32 v[164:165], v[166:167], v[170:171]
	v_div_scale_f64 v[166:167], s[10:11], v[164:165], v[164:165], 1.0
	v_rcp_f64_e32 v[168:169], v[166:167]
	s_nop 0
	v_fma_f64 v[172:173], -v[166:167], v[168:169], 1.0
	v_fmac_f64_e32 v[168:169], v[168:169], v[172:173]
	v_fma_f64 v[172:173], -v[166:167], v[168:169], 1.0
	v_fmac_f64_e32 v[168:169], v[168:169], v[172:173]
	v_div_scale_f64 v[172:173], vcc, 1.0, v[164:165], 1.0
	v_mul_f64 v[174:175], v[172:173], v[168:169]
	v_fma_f64 v[166:167], -v[166:167], v[174:175], v[172:173]
	s_nop 1
	v_div_fmas_f64 v[166:167], v[166:167], v[168:169], v[174:175]
	v_div_fixup_f64 v[168:169], v[166:167], v[164:165], 1.0
	v_mul_f64 v[170:171], v[170:171], -v[168:169]
.LBB49_151:
	s_or_b64 exec, exec, s[2:3]
	ds_write2_b64 v253, v[168:169], v[170:171] offset1:1
.LBB49_152:
	s_or_b64 exec, exec, s[4:5]
	s_waitcnt lgkmcnt(0)
	s_barrier
	ds_read2_b64 v[164:167], v253 offset1:1
	v_cmp_lt_u32_e32 vcc, 16, v252
	s_and_saveexec_b64 s[2:3], vcc
	s_cbranch_execz .LBB49_154
; %bb.153:
	ds_read2_b64 v[168:171], v254 offset0:34 offset1:35
	ds_read2_b64 v[172:175], v254 offset0:36 offset1:37
	s_waitcnt vmcnt(9) lgkmcnt(2)
	v_mul_f64 v[176:177], v[164:165], v[30:31]
	v_fmac_f64_e32 v[176:177], v[166:167], v[28:29]
	v_mul_f64 v[30:31], v[166:167], v[30:31]
	v_fma_f64 v[28:29], v[164:165], v[28:29], -v[30:31]
	s_waitcnt lgkmcnt(1)
	v_mul_f64 v[30:31], v[170:171], v[176:177]
	v_fma_f64 v[30:31], v[168:169], v[28:29], -v[30:31]
	v_mul_f64 v[168:169], v[168:169], v[176:177]
	v_fmac_f64_e32 v[168:169], v[170:171], v[28:29]
	s_waitcnt vmcnt(8)
	v_add_f64 v[24:25], v[24:25], -v[30:31]
	v_add_f64 v[26:27], v[26:27], -v[168:169]
	s_waitcnt lgkmcnt(0)
	v_mul_f64 v[30:31], v[174:175], v[176:177]
	ds_read2_b64 v[168:171], v254 offset0:38 offset1:39
	v_fma_f64 v[30:31], v[172:173], v[28:29], -v[30:31]
	v_mul_f64 v[172:173], v[172:173], v[176:177]
	v_fmac_f64_e32 v[172:173], v[174:175], v[28:29]
	s_waitcnt vmcnt(7)
	v_add_f64 v[22:23], v[22:23], -v[172:173]
	ds_read2_b64 v[172:175], v254 offset0:40 offset1:41
	v_add_f64 v[20:21], v[20:21], -v[30:31]
	s_waitcnt lgkmcnt(1)
	v_mul_f64 v[30:31], v[170:171], v[176:177]
	v_fma_f64 v[30:31], v[168:169], v[28:29], -v[30:31]
	v_mul_f64 v[168:169], v[168:169], v[176:177]
	v_fmac_f64_e32 v[168:169], v[170:171], v[28:29]
	s_waitcnt vmcnt(6)
	v_add_f64 v[16:17], v[16:17], -v[30:31]
	v_add_f64 v[18:19], v[18:19], -v[168:169]
	s_waitcnt lgkmcnt(0)
	v_mul_f64 v[30:31], v[174:175], v[176:177]
	ds_read2_b64 v[168:171], v254 offset0:42 offset1:43
	v_fma_f64 v[30:31], v[172:173], v[28:29], -v[30:31]
	v_mul_f64 v[172:173], v[172:173], v[176:177]
	v_fmac_f64_e32 v[172:173], v[174:175], v[28:29]
	s_waitcnt vmcnt(5)
	v_add_f64 v[14:15], v[14:15], -v[172:173]
	ds_read2_b64 v[172:175], v254 offset0:44 offset1:45
	v_add_f64 v[12:13], v[12:13], -v[30:31]
	;; [unrolled: 18-line block ×3, first 2 shown]
	s_waitcnt lgkmcnt(1)
	v_mul_f64 v[30:31], v[170:171], v[176:177]
	v_fma_f64 v[30:31], v[168:169], v[28:29], -v[30:31]
	v_mul_f64 v[168:169], v[168:169], v[176:177]
	v_fmac_f64_e32 v[168:169], v[170:171], v[28:29]
	s_waitcnt vmcnt(2)
	v_add_f64 v[0:1], v[0:1], -v[30:31]
	v_add_f64 v[2:3], v[2:3], -v[168:169]
	s_waitcnt lgkmcnt(0)
	v_mul_f64 v[30:31], v[174:175], v[176:177]
	v_mul_f64 v[168:169], v[172:173], v[176:177]
	v_fma_f64 v[30:31], v[172:173], v[28:29], -v[30:31]
	v_fmac_f64_e32 v[168:169], v[174:175], v[28:29]
	s_waitcnt vmcnt(0)
	v_add_f64 v[96:97], v[96:97], -v[30:31]
	v_add_f64 v[98:99], v[98:99], -v[168:169]
	v_mov_b64_e32 v[30:31], v[176:177]
.LBB49_154:
	s_or_b64 exec, exec, s[2:3]
	v_cmp_eq_u32_e32 vcc, 17, v252
	s_waitcnt lgkmcnt(0)
	s_barrier
	s_and_saveexec_b64 s[4:5], vcc
	s_cbranch_execz .LBB49_161
; %bb.155:
	s_waitcnt vmcnt(8)
	ds_write2_b64 v253, v[24:25], v[26:27] offset1:1
	s_waitcnt vmcnt(7)
	ds_write2_b64 v254, v[20:21], v[22:23] offset0:36 offset1:37
	s_waitcnt vmcnt(6)
	ds_write2_b64 v254, v[16:17], v[18:19] offset0:38 offset1:39
	s_waitcnt vmcnt(5)
	ds_write2_b64 v254, v[12:13], v[14:15] offset0:40 offset1:41
	s_waitcnt vmcnt(4)
	ds_write2_b64 v254, v[8:9], v[10:11] offset0:42 offset1:43
	s_waitcnt vmcnt(3)
	ds_write2_b64 v254, v[4:5], v[6:7] offset0:44 offset1:45
	s_waitcnt vmcnt(2)
	ds_write2_b64 v254, v[0:1], v[2:3] offset0:46 offset1:47
	s_waitcnt vmcnt(0)
	ds_write2_b64 v254, v[96:97], v[98:99] offset0:48 offset1:49
	ds_read2_b64 v[168:171], v253 offset1:1
	s_waitcnt lgkmcnt(0)
	v_cmp_neq_f64_e32 vcc, 0, v[168:169]
	v_cmp_neq_f64_e64 s[2:3], 0, v[170:171]
	s_or_b64 s[2:3], vcc, s[2:3]
	s_and_b64 exec, exec, s[2:3]
	s_cbranch_execz .LBB49_161
; %bb.156:
	v_cmp_ngt_f64_e64 s[2:3], |v[168:169]|, |v[170:171]|
                                        ; implicit-def: $vgpr172_vgpr173
	s_and_saveexec_b64 s[10:11], s[2:3]
	s_xor_b64 s[2:3], exec, s[10:11]
                                        ; implicit-def: $vgpr174_vgpr175
	s_cbranch_execz .LBB49_158
; %bb.157:
	v_div_scale_f64 v[172:173], s[10:11], v[170:171], v[170:171], v[168:169]
	v_rcp_f64_e32 v[174:175], v[172:173]
	v_div_scale_f64 v[176:177], vcc, v[168:169], v[170:171], v[168:169]
	v_fma_f64 v[178:179], -v[172:173], v[174:175], 1.0
	v_fmac_f64_e32 v[174:175], v[174:175], v[178:179]
	v_fma_f64 v[178:179], -v[172:173], v[174:175], 1.0
	v_fmac_f64_e32 v[174:175], v[174:175], v[178:179]
	v_mul_f64 v[178:179], v[176:177], v[174:175]
	v_fma_f64 v[172:173], -v[172:173], v[178:179], v[176:177]
	v_div_fmas_f64 v[172:173], v[172:173], v[174:175], v[178:179]
	v_div_fixup_f64 v[172:173], v[172:173], v[170:171], v[168:169]
	v_fmac_f64_e32 v[170:171], v[168:169], v[172:173]
	v_div_scale_f64 v[168:169], s[10:11], v[170:171], v[170:171], 1.0
	v_rcp_f64_e32 v[174:175], v[168:169]
	s_nop 0
	v_fma_f64 v[176:177], -v[168:169], v[174:175], 1.0
	v_fmac_f64_e32 v[174:175], v[174:175], v[176:177]
	v_fma_f64 v[176:177], -v[168:169], v[174:175], 1.0
	v_fmac_f64_e32 v[174:175], v[174:175], v[176:177]
	v_div_scale_f64 v[176:177], vcc, 1.0, v[170:171], 1.0
	v_mul_f64 v[178:179], v[176:177], v[174:175]
	v_fma_f64 v[168:169], -v[168:169], v[178:179], v[176:177]
	s_nop 1
	v_div_fmas_f64 v[168:169], v[168:169], v[174:175], v[178:179]
	v_div_fixup_f64 v[174:175], v[168:169], v[170:171], 1.0
	v_mul_f64 v[172:173], v[172:173], v[174:175]
	v_xor_b32_e32 v175, 0x80000000, v175
                                        ; implicit-def: $vgpr168_vgpr169
.LBB49_158:
	s_andn2_saveexec_b64 s[2:3], s[2:3]
	s_cbranch_execz .LBB49_160
; %bb.159:
	v_div_scale_f64 v[172:173], s[10:11], v[168:169], v[168:169], v[170:171]
	v_rcp_f64_e32 v[174:175], v[172:173]
	v_div_scale_f64 v[176:177], vcc, v[170:171], v[168:169], v[170:171]
	v_fma_f64 v[178:179], -v[172:173], v[174:175], 1.0
	v_fmac_f64_e32 v[174:175], v[174:175], v[178:179]
	v_fma_f64 v[178:179], -v[172:173], v[174:175], 1.0
	v_fmac_f64_e32 v[174:175], v[174:175], v[178:179]
	v_mul_f64 v[178:179], v[176:177], v[174:175]
	v_fma_f64 v[172:173], -v[172:173], v[178:179], v[176:177]
	v_div_fmas_f64 v[172:173], v[172:173], v[174:175], v[178:179]
	v_div_fixup_f64 v[174:175], v[172:173], v[168:169], v[170:171]
	v_fmac_f64_e32 v[168:169], v[170:171], v[174:175]
	v_div_scale_f64 v[170:171], s[10:11], v[168:169], v[168:169], 1.0
	v_rcp_f64_e32 v[172:173], v[170:171]
	s_nop 0
	v_fma_f64 v[176:177], -v[170:171], v[172:173], 1.0
	v_fmac_f64_e32 v[172:173], v[172:173], v[176:177]
	v_fma_f64 v[176:177], -v[170:171], v[172:173], 1.0
	v_fmac_f64_e32 v[172:173], v[172:173], v[176:177]
	v_div_scale_f64 v[176:177], vcc, 1.0, v[168:169], 1.0
	v_mul_f64 v[178:179], v[176:177], v[172:173]
	v_fma_f64 v[170:171], -v[170:171], v[178:179], v[176:177]
	s_nop 1
	v_div_fmas_f64 v[170:171], v[170:171], v[172:173], v[178:179]
	v_div_fixup_f64 v[172:173], v[170:171], v[168:169], 1.0
	v_mul_f64 v[174:175], v[174:175], -v[172:173]
.LBB49_160:
	s_or_b64 exec, exec, s[2:3]
	ds_write2_b64 v253, v[172:173], v[174:175] offset1:1
.LBB49_161:
	s_or_b64 exec, exec, s[4:5]
	s_waitcnt lgkmcnt(0)
	s_barrier
	ds_read2_b64 v[168:171], v253 offset1:1
	v_cmp_lt_u32_e32 vcc, 17, v252
	s_and_saveexec_b64 s[2:3], vcc
	s_cbranch_execz .LBB49_163
; %bb.162:
	ds_read2_b64 v[172:175], v254 offset0:36 offset1:37
	ds_read2_b64 v[176:179], v254 offset0:38 offset1:39
	s_waitcnt vmcnt(8) lgkmcnt(2)
	v_mul_f64 v[180:181], v[168:169], v[26:27]
	v_fmac_f64_e32 v[180:181], v[170:171], v[24:25]
	v_mul_f64 v[26:27], v[170:171], v[26:27]
	v_fma_f64 v[24:25], v[168:169], v[24:25], -v[26:27]
	s_waitcnt lgkmcnt(1)
	v_mul_f64 v[26:27], v[174:175], v[180:181]
	v_fma_f64 v[26:27], v[172:173], v[24:25], -v[26:27]
	v_mul_f64 v[172:173], v[172:173], v[180:181]
	v_fmac_f64_e32 v[172:173], v[174:175], v[24:25]
	s_waitcnt vmcnt(7)
	v_add_f64 v[22:23], v[22:23], -v[172:173]
	ds_read2_b64 v[172:175], v254 offset0:40 offset1:41
	v_add_f64 v[20:21], v[20:21], -v[26:27]
	s_waitcnt lgkmcnt(1)
	v_mul_f64 v[26:27], v[178:179], v[180:181]
	v_fma_f64 v[26:27], v[176:177], v[24:25], -v[26:27]
	v_mul_f64 v[176:177], v[176:177], v[180:181]
	v_fmac_f64_e32 v[176:177], v[178:179], v[24:25]
	s_waitcnt vmcnt(6)
	v_add_f64 v[16:17], v[16:17], -v[26:27]
	v_add_f64 v[18:19], v[18:19], -v[176:177]
	ds_read2_b64 v[176:179], v254 offset0:42 offset1:43
	s_waitcnt lgkmcnt(1)
	v_mul_f64 v[26:27], v[174:175], v[180:181]
	v_fma_f64 v[26:27], v[172:173], v[24:25], -v[26:27]
	v_mul_f64 v[172:173], v[172:173], v[180:181]
	v_fmac_f64_e32 v[172:173], v[174:175], v[24:25]
	s_waitcnt vmcnt(5)
	v_add_f64 v[14:15], v[14:15], -v[172:173]
	ds_read2_b64 v[172:175], v254 offset0:44 offset1:45
	v_add_f64 v[12:13], v[12:13], -v[26:27]
	s_waitcnt lgkmcnt(1)
	v_mul_f64 v[26:27], v[178:179], v[180:181]
	v_fma_f64 v[26:27], v[176:177], v[24:25], -v[26:27]
	v_mul_f64 v[176:177], v[176:177], v[180:181]
	v_fmac_f64_e32 v[176:177], v[178:179], v[24:25]
	s_waitcnt vmcnt(4)
	v_add_f64 v[8:9], v[8:9], -v[26:27]
	v_add_f64 v[10:11], v[10:11], -v[176:177]
	ds_read2_b64 v[176:179], v254 offset0:46 offset1:47
	s_waitcnt lgkmcnt(1)
	v_mul_f64 v[26:27], v[174:175], v[180:181]
	v_fma_f64 v[26:27], v[172:173], v[24:25], -v[26:27]
	v_mul_f64 v[172:173], v[172:173], v[180:181]
	v_fmac_f64_e32 v[172:173], v[174:175], v[24:25]
	s_waitcnt vmcnt(3)
	v_add_f64 v[6:7], v[6:7], -v[172:173]
	ds_read2_b64 v[172:175], v254 offset0:48 offset1:49
	v_add_f64 v[4:5], v[4:5], -v[26:27]
	s_waitcnt lgkmcnt(1)
	v_mul_f64 v[26:27], v[178:179], v[180:181]
	v_fma_f64 v[26:27], v[176:177], v[24:25], -v[26:27]
	s_waitcnt vmcnt(2)
	v_add_f64 v[0:1], v[0:1], -v[26:27]
	s_waitcnt lgkmcnt(0)
	v_mul_f64 v[26:27], v[174:175], v[180:181]
	v_mul_f64 v[176:177], v[176:177], v[180:181]
	v_fma_f64 v[26:27], v[172:173], v[24:25], -v[26:27]
	v_mul_f64 v[172:173], v[172:173], v[180:181]
	v_fmac_f64_e32 v[176:177], v[178:179], v[24:25]
	v_fmac_f64_e32 v[172:173], v[174:175], v[24:25]
	v_add_f64 v[2:3], v[2:3], -v[176:177]
	s_waitcnt vmcnt(0)
	v_add_f64 v[96:97], v[96:97], -v[26:27]
	v_add_f64 v[98:99], v[98:99], -v[172:173]
	v_mov_b64_e32 v[26:27], v[180:181]
.LBB49_163:
	s_or_b64 exec, exec, s[2:3]
	v_cmp_eq_u32_e32 vcc, 18, v252
	s_waitcnt lgkmcnt(0)
	s_barrier
	s_and_saveexec_b64 s[4:5], vcc
	s_cbranch_execz .LBB49_170
; %bb.164:
	s_waitcnt vmcnt(7)
	ds_write2_b64 v253, v[20:21], v[22:23] offset1:1
	s_waitcnt vmcnt(6)
	ds_write2_b64 v254, v[16:17], v[18:19] offset0:38 offset1:39
	s_waitcnt vmcnt(5)
	ds_write2_b64 v254, v[12:13], v[14:15] offset0:40 offset1:41
	;; [unrolled: 2-line block ×6, first 2 shown]
	ds_read2_b64 v[172:175], v253 offset1:1
	s_waitcnt lgkmcnt(0)
	v_cmp_neq_f64_e32 vcc, 0, v[172:173]
	v_cmp_neq_f64_e64 s[2:3], 0, v[174:175]
	s_or_b64 s[2:3], vcc, s[2:3]
	s_and_b64 exec, exec, s[2:3]
	s_cbranch_execz .LBB49_170
; %bb.165:
	v_cmp_ngt_f64_e64 s[2:3], |v[172:173]|, |v[174:175]|
                                        ; implicit-def: $vgpr176_vgpr177
	s_and_saveexec_b64 s[10:11], s[2:3]
	s_xor_b64 s[2:3], exec, s[10:11]
                                        ; implicit-def: $vgpr178_vgpr179
	s_cbranch_execz .LBB49_167
; %bb.166:
	v_div_scale_f64 v[176:177], s[10:11], v[174:175], v[174:175], v[172:173]
	v_rcp_f64_e32 v[178:179], v[176:177]
	v_div_scale_f64 v[180:181], vcc, v[172:173], v[174:175], v[172:173]
	v_fma_f64 v[182:183], -v[176:177], v[178:179], 1.0
	v_fmac_f64_e32 v[178:179], v[178:179], v[182:183]
	v_fma_f64 v[182:183], -v[176:177], v[178:179], 1.0
	v_fmac_f64_e32 v[178:179], v[178:179], v[182:183]
	v_mul_f64 v[182:183], v[180:181], v[178:179]
	v_fma_f64 v[176:177], -v[176:177], v[182:183], v[180:181]
	v_div_fmas_f64 v[176:177], v[176:177], v[178:179], v[182:183]
	v_div_fixup_f64 v[176:177], v[176:177], v[174:175], v[172:173]
	v_fmac_f64_e32 v[174:175], v[172:173], v[176:177]
	v_div_scale_f64 v[172:173], s[10:11], v[174:175], v[174:175], 1.0
	v_rcp_f64_e32 v[178:179], v[172:173]
	s_nop 0
	v_fma_f64 v[180:181], -v[172:173], v[178:179], 1.0
	v_fmac_f64_e32 v[178:179], v[178:179], v[180:181]
	v_fma_f64 v[180:181], -v[172:173], v[178:179], 1.0
	v_fmac_f64_e32 v[178:179], v[178:179], v[180:181]
	v_div_scale_f64 v[180:181], vcc, 1.0, v[174:175], 1.0
	v_mul_f64 v[182:183], v[180:181], v[178:179]
	v_fma_f64 v[172:173], -v[172:173], v[182:183], v[180:181]
	s_nop 1
	v_div_fmas_f64 v[172:173], v[172:173], v[178:179], v[182:183]
	v_div_fixup_f64 v[178:179], v[172:173], v[174:175], 1.0
	v_mul_f64 v[176:177], v[176:177], v[178:179]
	v_xor_b32_e32 v179, 0x80000000, v179
                                        ; implicit-def: $vgpr172_vgpr173
.LBB49_167:
	s_andn2_saveexec_b64 s[2:3], s[2:3]
	s_cbranch_execz .LBB49_169
; %bb.168:
	v_div_scale_f64 v[176:177], s[10:11], v[172:173], v[172:173], v[174:175]
	v_rcp_f64_e32 v[178:179], v[176:177]
	v_div_scale_f64 v[180:181], vcc, v[174:175], v[172:173], v[174:175]
	v_fma_f64 v[182:183], -v[176:177], v[178:179], 1.0
	v_fmac_f64_e32 v[178:179], v[178:179], v[182:183]
	v_fma_f64 v[182:183], -v[176:177], v[178:179], 1.0
	v_fmac_f64_e32 v[178:179], v[178:179], v[182:183]
	v_mul_f64 v[182:183], v[180:181], v[178:179]
	v_fma_f64 v[176:177], -v[176:177], v[182:183], v[180:181]
	v_div_fmas_f64 v[176:177], v[176:177], v[178:179], v[182:183]
	v_div_fixup_f64 v[178:179], v[176:177], v[172:173], v[174:175]
	v_fmac_f64_e32 v[172:173], v[174:175], v[178:179]
	v_div_scale_f64 v[174:175], s[10:11], v[172:173], v[172:173], 1.0
	v_rcp_f64_e32 v[176:177], v[174:175]
	s_nop 0
	v_fma_f64 v[180:181], -v[174:175], v[176:177], 1.0
	v_fmac_f64_e32 v[176:177], v[176:177], v[180:181]
	v_fma_f64 v[180:181], -v[174:175], v[176:177], 1.0
	v_fmac_f64_e32 v[176:177], v[176:177], v[180:181]
	v_div_scale_f64 v[180:181], vcc, 1.0, v[172:173], 1.0
	v_mul_f64 v[182:183], v[180:181], v[176:177]
	v_fma_f64 v[174:175], -v[174:175], v[182:183], v[180:181]
	s_nop 1
	v_div_fmas_f64 v[174:175], v[174:175], v[176:177], v[182:183]
	v_div_fixup_f64 v[176:177], v[174:175], v[172:173], 1.0
	v_mul_f64 v[178:179], v[178:179], -v[176:177]
.LBB49_169:
	s_or_b64 exec, exec, s[2:3]
	ds_write2_b64 v253, v[176:177], v[178:179] offset1:1
.LBB49_170:
	s_or_b64 exec, exec, s[4:5]
	s_waitcnt lgkmcnt(0)
	s_barrier
	ds_read2_b64 v[172:175], v253 offset1:1
	v_cmp_lt_u32_e32 vcc, 18, v252
	s_and_saveexec_b64 s[2:3], vcc
	s_cbranch_execz .LBB49_172
; %bb.171:
	ds_read2_b64 v[176:179], v254 offset0:38 offset1:39
	ds_read2_b64 v[180:183], v254 offset0:40 offset1:41
	s_waitcnt vmcnt(7) lgkmcnt(2)
	v_mul_f64 v[184:185], v[172:173], v[22:23]
	v_fmac_f64_e32 v[184:185], v[174:175], v[20:21]
	v_mul_f64 v[22:23], v[174:175], v[22:23]
	v_fma_f64 v[20:21], v[172:173], v[20:21], -v[22:23]
	s_waitcnt lgkmcnt(1)
	v_mul_f64 v[22:23], v[178:179], v[184:185]
	v_fma_f64 v[22:23], v[176:177], v[20:21], -v[22:23]
	v_mul_f64 v[176:177], v[176:177], v[184:185]
	v_fmac_f64_e32 v[176:177], v[178:179], v[20:21]
	s_waitcnt vmcnt(6)
	v_add_f64 v[16:17], v[16:17], -v[22:23]
	v_add_f64 v[18:19], v[18:19], -v[176:177]
	s_waitcnt lgkmcnt(0)
	v_mul_f64 v[22:23], v[182:183], v[184:185]
	ds_read2_b64 v[176:179], v254 offset0:42 offset1:43
	v_fma_f64 v[22:23], v[180:181], v[20:21], -v[22:23]
	v_mul_f64 v[180:181], v[180:181], v[184:185]
	v_fmac_f64_e32 v[180:181], v[182:183], v[20:21]
	s_waitcnt vmcnt(5)
	v_add_f64 v[14:15], v[14:15], -v[180:181]
	ds_read2_b64 v[180:183], v254 offset0:44 offset1:45
	v_add_f64 v[12:13], v[12:13], -v[22:23]
	s_waitcnt lgkmcnt(1)
	v_mul_f64 v[22:23], v[178:179], v[184:185]
	v_fma_f64 v[22:23], v[176:177], v[20:21], -v[22:23]
	v_mul_f64 v[176:177], v[176:177], v[184:185]
	v_fmac_f64_e32 v[176:177], v[178:179], v[20:21]
	s_waitcnt vmcnt(4)
	v_add_f64 v[8:9], v[8:9], -v[22:23]
	v_add_f64 v[10:11], v[10:11], -v[176:177]
	s_waitcnt lgkmcnt(0)
	v_mul_f64 v[22:23], v[182:183], v[184:185]
	ds_read2_b64 v[176:179], v254 offset0:46 offset1:47
	v_fma_f64 v[22:23], v[180:181], v[20:21], -v[22:23]
	v_mul_f64 v[180:181], v[180:181], v[184:185]
	v_fmac_f64_e32 v[180:181], v[182:183], v[20:21]
	s_waitcnt vmcnt(3)
	v_add_f64 v[6:7], v[6:7], -v[180:181]
	ds_read2_b64 v[180:183], v254 offset0:48 offset1:49
	v_add_f64 v[4:5], v[4:5], -v[22:23]
	s_waitcnt lgkmcnt(1)
	v_mul_f64 v[22:23], v[178:179], v[184:185]
	v_fma_f64 v[22:23], v[176:177], v[20:21], -v[22:23]
	v_mul_f64 v[176:177], v[176:177], v[184:185]
	v_fmac_f64_e32 v[176:177], v[178:179], v[20:21]
	s_waitcnt vmcnt(2)
	v_add_f64 v[0:1], v[0:1], -v[22:23]
	v_add_f64 v[2:3], v[2:3], -v[176:177]
	s_waitcnt lgkmcnt(0)
	v_mul_f64 v[22:23], v[182:183], v[184:185]
	v_mul_f64 v[176:177], v[180:181], v[184:185]
	v_fma_f64 v[22:23], v[180:181], v[20:21], -v[22:23]
	v_fmac_f64_e32 v[176:177], v[182:183], v[20:21]
	s_waitcnt vmcnt(0)
	v_add_f64 v[96:97], v[96:97], -v[22:23]
	v_add_f64 v[98:99], v[98:99], -v[176:177]
	v_mov_b64_e32 v[22:23], v[184:185]
.LBB49_172:
	s_or_b64 exec, exec, s[2:3]
	v_cmp_eq_u32_e32 vcc, 19, v252
	s_waitcnt lgkmcnt(0)
	s_barrier
	s_and_saveexec_b64 s[4:5], vcc
	s_cbranch_execz .LBB49_179
; %bb.173:
	s_waitcnt vmcnt(6)
	ds_write2_b64 v253, v[16:17], v[18:19] offset1:1
	s_waitcnt vmcnt(5)
	ds_write2_b64 v254, v[12:13], v[14:15] offset0:40 offset1:41
	s_waitcnt vmcnt(4)
	ds_write2_b64 v254, v[8:9], v[10:11] offset0:42 offset1:43
	;; [unrolled: 2-line block ×5, first 2 shown]
	ds_read2_b64 v[176:179], v253 offset1:1
	s_waitcnt lgkmcnt(0)
	v_cmp_neq_f64_e32 vcc, 0, v[176:177]
	v_cmp_neq_f64_e64 s[2:3], 0, v[178:179]
	s_or_b64 s[2:3], vcc, s[2:3]
	s_and_b64 exec, exec, s[2:3]
	s_cbranch_execz .LBB49_179
; %bb.174:
	v_cmp_ngt_f64_e64 s[2:3], |v[176:177]|, |v[178:179]|
                                        ; implicit-def: $vgpr180_vgpr181
	s_and_saveexec_b64 s[10:11], s[2:3]
	s_xor_b64 s[2:3], exec, s[10:11]
                                        ; implicit-def: $vgpr182_vgpr183
	s_cbranch_execz .LBB49_176
; %bb.175:
	v_div_scale_f64 v[180:181], s[10:11], v[178:179], v[178:179], v[176:177]
	v_rcp_f64_e32 v[182:183], v[180:181]
	v_div_scale_f64 v[184:185], vcc, v[176:177], v[178:179], v[176:177]
	v_fma_f64 v[186:187], -v[180:181], v[182:183], 1.0
	v_fmac_f64_e32 v[182:183], v[182:183], v[186:187]
	v_fma_f64 v[186:187], -v[180:181], v[182:183], 1.0
	v_fmac_f64_e32 v[182:183], v[182:183], v[186:187]
	v_mul_f64 v[186:187], v[184:185], v[182:183]
	v_fma_f64 v[180:181], -v[180:181], v[186:187], v[184:185]
	v_div_fmas_f64 v[180:181], v[180:181], v[182:183], v[186:187]
	v_div_fixup_f64 v[180:181], v[180:181], v[178:179], v[176:177]
	v_fmac_f64_e32 v[178:179], v[176:177], v[180:181]
	v_div_scale_f64 v[176:177], s[10:11], v[178:179], v[178:179], 1.0
	v_rcp_f64_e32 v[182:183], v[176:177]
	s_nop 0
	v_fma_f64 v[184:185], -v[176:177], v[182:183], 1.0
	v_fmac_f64_e32 v[182:183], v[182:183], v[184:185]
	v_fma_f64 v[184:185], -v[176:177], v[182:183], 1.0
	v_fmac_f64_e32 v[182:183], v[182:183], v[184:185]
	v_div_scale_f64 v[184:185], vcc, 1.0, v[178:179], 1.0
	v_mul_f64 v[186:187], v[184:185], v[182:183]
	v_fma_f64 v[176:177], -v[176:177], v[186:187], v[184:185]
	s_nop 1
	v_div_fmas_f64 v[176:177], v[176:177], v[182:183], v[186:187]
	v_div_fixup_f64 v[182:183], v[176:177], v[178:179], 1.0
	v_mul_f64 v[180:181], v[180:181], v[182:183]
	v_xor_b32_e32 v183, 0x80000000, v183
                                        ; implicit-def: $vgpr176_vgpr177
.LBB49_176:
	s_andn2_saveexec_b64 s[2:3], s[2:3]
	s_cbranch_execz .LBB49_178
; %bb.177:
	v_div_scale_f64 v[180:181], s[10:11], v[176:177], v[176:177], v[178:179]
	v_rcp_f64_e32 v[182:183], v[180:181]
	v_div_scale_f64 v[184:185], vcc, v[178:179], v[176:177], v[178:179]
	v_fma_f64 v[186:187], -v[180:181], v[182:183], 1.0
	v_fmac_f64_e32 v[182:183], v[182:183], v[186:187]
	v_fma_f64 v[186:187], -v[180:181], v[182:183], 1.0
	v_fmac_f64_e32 v[182:183], v[182:183], v[186:187]
	v_mul_f64 v[186:187], v[184:185], v[182:183]
	v_fma_f64 v[180:181], -v[180:181], v[186:187], v[184:185]
	v_div_fmas_f64 v[180:181], v[180:181], v[182:183], v[186:187]
	v_div_fixup_f64 v[182:183], v[180:181], v[176:177], v[178:179]
	v_fmac_f64_e32 v[176:177], v[178:179], v[182:183]
	v_div_scale_f64 v[178:179], s[10:11], v[176:177], v[176:177], 1.0
	v_rcp_f64_e32 v[180:181], v[178:179]
	s_nop 0
	v_fma_f64 v[184:185], -v[178:179], v[180:181], 1.0
	v_fmac_f64_e32 v[180:181], v[180:181], v[184:185]
	v_fma_f64 v[184:185], -v[178:179], v[180:181], 1.0
	v_fmac_f64_e32 v[180:181], v[180:181], v[184:185]
	v_div_scale_f64 v[184:185], vcc, 1.0, v[176:177], 1.0
	v_mul_f64 v[186:187], v[184:185], v[180:181]
	v_fma_f64 v[178:179], -v[178:179], v[186:187], v[184:185]
	s_nop 1
	v_div_fmas_f64 v[178:179], v[178:179], v[180:181], v[186:187]
	v_div_fixup_f64 v[180:181], v[178:179], v[176:177], 1.0
	v_mul_f64 v[182:183], v[182:183], -v[180:181]
.LBB49_178:
	s_or_b64 exec, exec, s[2:3]
	ds_write2_b64 v253, v[180:181], v[182:183] offset1:1
.LBB49_179:
	s_or_b64 exec, exec, s[4:5]
	s_waitcnt lgkmcnt(0)
	s_barrier
	ds_read2_b64 v[176:179], v253 offset1:1
	v_cmp_lt_u32_e32 vcc, 19, v252
	s_and_saveexec_b64 s[2:3], vcc
	s_cbranch_execz .LBB49_181
; %bb.180:
	ds_read2_b64 v[180:183], v254 offset0:40 offset1:41
	ds_read2_b64 v[184:187], v254 offset0:42 offset1:43
	s_waitcnt vmcnt(6) lgkmcnt(2)
	v_mul_f64 v[188:189], v[176:177], v[18:19]
	v_fmac_f64_e32 v[188:189], v[178:179], v[16:17]
	v_mul_f64 v[18:19], v[178:179], v[18:19]
	v_fma_f64 v[16:17], v[176:177], v[16:17], -v[18:19]
	s_waitcnt lgkmcnt(1)
	v_mul_f64 v[18:19], v[182:183], v[188:189]
	v_fma_f64 v[18:19], v[180:181], v[16:17], -v[18:19]
	v_mul_f64 v[180:181], v[180:181], v[188:189]
	v_fmac_f64_e32 v[180:181], v[182:183], v[16:17]
	s_waitcnt vmcnt(5)
	v_add_f64 v[14:15], v[14:15], -v[180:181]
	ds_read2_b64 v[180:183], v254 offset0:44 offset1:45
	v_add_f64 v[12:13], v[12:13], -v[18:19]
	s_waitcnt lgkmcnt(1)
	v_mul_f64 v[18:19], v[186:187], v[188:189]
	v_fma_f64 v[18:19], v[184:185], v[16:17], -v[18:19]
	v_mul_f64 v[184:185], v[184:185], v[188:189]
	v_fmac_f64_e32 v[184:185], v[186:187], v[16:17]
	s_waitcnt vmcnt(4)
	v_add_f64 v[8:9], v[8:9], -v[18:19]
	v_add_f64 v[10:11], v[10:11], -v[184:185]
	ds_read2_b64 v[184:187], v254 offset0:46 offset1:47
	s_waitcnt lgkmcnt(1)
	v_mul_f64 v[18:19], v[182:183], v[188:189]
	v_fma_f64 v[18:19], v[180:181], v[16:17], -v[18:19]
	v_mul_f64 v[180:181], v[180:181], v[188:189]
	v_fmac_f64_e32 v[180:181], v[182:183], v[16:17]
	s_waitcnt vmcnt(3)
	v_add_f64 v[6:7], v[6:7], -v[180:181]
	ds_read2_b64 v[180:183], v254 offset0:48 offset1:49
	v_add_f64 v[4:5], v[4:5], -v[18:19]
	s_waitcnt lgkmcnt(1)
	v_mul_f64 v[18:19], v[186:187], v[188:189]
	v_fma_f64 v[18:19], v[184:185], v[16:17], -v[18:19]
	s_waitcnt vmcnt(2)
	v_add_f64 v[0:1], v[0:1], -v[18:19]
	s_waitcnt lgkmcnt(0)
	v_mul_f64 v[18:19], v[182:183], v[188:189]
	v_mul_f64 v[184:185], v[184:185], v[188:189]
	v_fma_f64 v[18:19], v[180:181], v[16:17], -v[18:19]
	v_mul_f64 v[180:181], v[180:181], v[188:189]
	v_fmac_f64_e32 v[184:185], v[186:187], v[16:17]
	v_fmac_f64_e32 v[180:181], v[182:183], v[16:17]
	v_add_f64 v[2:3], v[2:3], -v[184:185]
	s_waitcnt vmcnt(0)
	v_add_f64 v[96:97], v[96:97], -v[18:19]
	v_add_f64 v[98:99], v[98:99], -v[180:181]
	v_mov_b64_e32 v[18:19], v[188:189]
.LBB49_181:
	s_or_b64 exec, exec, s[2:3]
	v_cmp_eq_u32_e32 vcc, 20, v252
	s_waitcnt lgkmcnt(0)
	s_barrier
	s_and_saveexec_b64 s[4:5], vcc
	s_cbranch_execz .LBB49_188
; %bb.182:
	s_waitcnt vmcnt(5)
	ds_write2_b64 v253, v[12:13], v[14:15] offset1:1
	s_waitcnt vmcnt(4)
	ds_write2_b64 v254, v[8:9], v[10:11] offset0:42 offset1:43
	s_waitcnt vmcnt(3)
	ds_write2_b64 v254, v[4:5], v[6:7] offset0:44 offset1:45
	;; [unrolled: 2-line block ×4, first 2 shown]
	ds_read2_b64 v[180:183], v253 offset1:1
	s_waitcnt lgkmcnt(0)
	v_cmp_neq_f64_e32 vcc, 0, v[180:181]
	v_cmp_neq_f64_e64 s[2:3], 0, v[182:183]
	s_or_b64 s[2:3], vcc, s[2:3]
	s_and_b64 exec, exec, s[2:3]
	s_cbranch_execz .LBB49_188
; %bb.183:
	v_cmp_ngt_f64_e64 s[2:3], |v[180:181]|, |v[182:183]|
                                        ; implicit-def: $vgpr184_vgpr185
	s_and_saveexec_b64 s[10:11], s[2:3]
	s_xor_b64 s[2:3], exec, s[10:11]
                                        ; implicit-def: $vgpr186_vgpr187
	s_cbranch_execz .LBB49_185
; %bb.184:
	v_div_scale_f64 v[184:185], s[10:11], v[182:183], v[182:183], v[180:181]
	v_rcp_f64_e32 v[186:187], v[184:185]
	v_div_scale_f64 v[188:189], vcc, v[180:181], v[182:183], v[180:181]
	v_fma_f64 v[190:191], -v[184:185], v[186:187], 1.0
	v_fmac_f64_e32 v[186:187], v[186:187], v[190:191]
	v_fma_f64 v[190:191], -v[184:185], v[186:187], 1.0
	v_fmac_f64_e32 v[186:187], v[186:187], v[190:191]
	v_mul_f64 v[190:191], v[188:189], v[186:187]
	v_fma_f64 v[184:185], -v[184:185], v[190:191], v[188:189]
	v_div_fmas_f64 v[184:185], v[184:185], v[186:187], v[190:191]
	v_div_fixup_f64 v[184:185], v[184:185], v[182:183], v[180:181]
	v_fmac_f64_e32 v[182:183], v[180:181], v[184:185]
	v_div_scale_f64 v[180:181], s[10:11], v[182:183], v[182:183], 1.0
	v_rcp_f64_e32 v[186:187], v[180:181]
	s_nop 0
	v_fma_f64 v[188:189], -v[180:181], v[186:187], 1.0
	v_fmac_f64_e32 v[186:187], v[186:187], v[188:189]
	v_fma_f64 v[188:189], -v[180:181], v[186:187], 1.0
	v_fmac_f64_e32 v[186:187], v[186:187], v[188:189]
	v_div_scale_f64 v[188:189], vcc, 1.0, v[182:183], 1.0
	v_mul_f64 v[190:191], v[188:189], v[186:187]
	v_fma_f64 v[180:181], -v[180:181], v[190:191], v[188:189]
	s_nop 1
	v_div_fmas_f64 v[180:181], v[180:181], v[186:187], v[190:191]
	v_div_fixup_f64 v[186:187], v[180:181], v[182:183], 1.0
	v_mul_f64 v[184:185], v[184:185], v[186:187]
	v_xor_b32_e32 v187, 0x80000000, v187
                                        ; implicit-def: $vgpr180_vgpr181
.LBB49_185:
	s_andn2_saveexec_b64 s[2:3], s[2:3]
	s_cbranch_execz .LBB49_187
; %bb.186:
	v_div_scale_f64 v[184:185], s[10:11], v[180:181], v[180:181], v[182:183]
	v_rcp_f64_e32 v[186:187], v[184:185]
	v_div_scale_f64 v[188:189], vcc, v[182:183], v[180:181], v[182:183]
	v_fma_f64 v[190:191], -v[184:185], v[186:187], 1.0
	v_fmac_f64_e32 v[186:187], v[186:187], v[190:191]
	v_fma_f64 v[190:191], -v[184:185], v[186:187], 1.0
	v_fmac_f64_e32 v[186:187], v[186:187], v[190:191]
	v_mul_f64 v[190:191], v[188:189], v[186:187]
	v_fma_f64 v[184:185], -v[184:185], v[190:191], v[188:189]
	v_div_fmas_f64 v[184:185], v[184:185], v[186:187], v[190:191]
	v_div_fixup_f64 v[186:187], v[184:185], v[180:181], v[182:183]
	v_fmac_f64_e32 v[180:181], v[182:183], v[186:187]
	v_div_scale_f64 v[182:183], s[10:11], v[180:181], v[180:181], 1.0
	v_rcp_f64_e32 v[184:185], v[182:183]
	s_nop 0
	v_fma_f64 v[188:189], -v[182:183], v[184:185], 1.0
	v_fmac_f64_e32 v[184:185], v[184:185], v[188:189]
	v_fma_f64 v[188:189], -v[182:183], v[184:185], 1.0
	v_fmac_f64_e32 v[184:185], v[184:185], v[188:189]
	v_div_scale_f64 v[188:189], vcc, 1.0, v[180:181], 1.0
	v_mul_f64 v[190:191], v[188:189], v[184:185]
	v_fma_f64 v[182:183], -v[182:183], v[190:191], v[188:189]
	s_nop 1
	v_div_fmas_f64 v[182:183], v[182:183], v[184:185], v[190:191]
	v_div_fixup_f64 v[184:185], v[182:183], v[180:181], 1.0
	v_mul_f64 v[186:187], v[186:187], -v[184:185]
.LBB49_187:
	s_or_b64 exec, exec, s[2:3]
	ds_write2_b64 v253, v[184:185], v[186:187] offset1:1
.LBB49_188:
	s_or_b64 exec, exec, s[4:5]
	s_waitcnt lgkmcnt(0)
	s_barrier
	ds_read2_b64 v[180:183], v253 offset1:1
	v_cmp_lt_u32_e32 vcc, 20, v252
	s_and_saveexec_b64 s[2:3], vcc
	s_cbranch_execz .LBB49_190
; %bb.189:
	ds_read2_b64 v[184:187], v254 offset0:42 offset1:43
	ds_read2_b64 v[188:191], v254 offset0:44 offset1:45
	s_waitcnt vmcnt(5) lgkmcnt(2)
	v_mul_f64 v[192:193], v[180:181], v[14:15]
	v_fmac_f64_e32 v[192:193], v[182:183], v[12:13]
	v_mul_f64 v[14:15], v[182:183], v[14:15]
	v_fma_f64 v[12:13], v[180:181], v[12:13], -v[14:15]
	s_waitcnt lgkmcnt(1)
	v_mul_f64 v[14:15], v[186:187], v[192:193]
	v_fma_f64 v[14:15], v[184:185], v[12:13], -v[14:15]
	v_mul_f64 v[184:185], v[184:185], v[192:193]
	v_fmac_f64_e32 v[184:185], v[186:187], v[12:13]
	s_waitcnt vmcnt(4)
	v_add_f64 v[8:9], v[8:9], -v[14:15]
	v_add_f64 v[10:11], v[10:11], -v[184:185]
	s_waitcnt lgkmcnt(0)
	v_mul_f64 v[14:15], v[190:191], v[192:193]
	ds_read2_b64 v[184:187], v254 offset0:46 offset1:47
	v_fma_f64 v[14:15], v[188:189], v[12:13], -v[14:15]
	v_mul_f64 v[188:189], v[188:189], v[192:193]
	v_fmac_f64_e32 v[188:189], v[190:191], v[12:13]
	s_waitcnt vmcnt(3)
	v_add_f64 v[6:7], v[6:7], -v[188:189]
	ds_read2_b64 v[188:191], v254 offset0:48 offset1:49
	v_add_f64 v[4:5], v[4:5], -v[14:15]
	s_waitcnt lgkmcnt(1)
	v_mul_f64 v[14:15], v[186:187], v[192:193]
	v_fma_f64 v[14:15], v[184:185], v[12:13], -v[14:15]
	v_mul_f64 v[184:185], v[184:185], v[192:193]
	v_fmac_f64_e32 v[184:185], v[186:187], v[12:13]
	s_waitcnt vmcnt(2)
	v_add_f64 v[0:1], v[0:1], -v[14:15]
	v_add_f64 v[2:3], v[2:3], -v[184:185]
	s_waitcnt lgkmcnt(0)
	v_mul_f64 v[14:15], v[190:191], v[192:193]
	v_mul_f64 v[184:185], v[188:189], v[192:193]
	v_fma_f64 v[14:15], v[188:189], v[12:13], -v[14:15]
	v_fmac_f64_e32 v[184:185], v[190:191], v[12:13]
	s_waitcnt vmcnt(0)
	v_add_f64 v[96:97], v[96:97], -v[14:15]
	v_add_f64 v[98:99], v[98:99], -v[184:185]
	v_mov_b64_e32 v[14:15], v[192:193]
.LBB49_190:
	s_or_b64 exec, exec, s[2:3]
	v_cmp_eq_u32_e32 vcc, 21, v252
	s_waitcnt lgkmcnt(0)
	s_barrier
	s_and_saveexec_b64 s[4:5], vcc
	s_cbranch_execz .LBB49_197
; %bb.191:
	s_waitcnt vmcnt(4)
	ds_write2_b64 v253, v[8:9], v[10:11] offset1:1
	s_waitcnt vmcnt(3)
	ds_write2_b64 v254, v[4:5], v[6:7] offset0:44 offset1:45
	s_waitcnt vmcnt(2)
	ds_write2_b64 v254, v[0:1], v[2:3] offset0:46 offset1:47
	;; [unrolled: 2-line block ×3, first 2 shown]
	ds_read2_b64 v[184:187], v253 offset1:1
	s_waitcnt lgkmcnt(0)
	v_cmp_neq_f64_e32 vcc, 0, v[184:185]
	v_cmp_neq_f64_e64 s[2:3], 0, v[186:187]
	s_or_b64 s[2:3], vcc, s[2:3]
	s_and_b64 exec, exec, s[2:3]
	s_cbranch_execz .LBB49_197
; %bb.192:
	v_cmp_ngt_f64_e64 s[2:3], |v[184:185]|, |v[186:187]|
                                        ; implicit-def: $vgpr188_vgpr189
	s_and_saveexec_b64 s[10:11], s[2:3]
	s_xor_b64 s[2:3], exec, s[10:11]
                                        ; implicit-def: $vgpr190_vgpr191
	s_cbranch_execz .LBB49_194
; %bb.193:
	v_div_scale_f64 v[188:189], s[10:11], v[186:187], v[186:187], v[184:185]
	v_rcp_f64_e32 v[190:191], v[188:189]
	v_div_scale_f64 v[192:193], vcc, v[184:185], v[186:187], v[184:185]
	v_fma_f64 v[194:195], -v[188:189], v[190:191], 1.0
	v_fmac_f64_e32 v[190:191], v[190:191], v[194:195]
	v_fma_f64 v[194:195], -v[188:189], v[190:191], 1.0
	v_fmac_f64_e32 v[190:191], v[190:191], v[194:195]
	v_mul_f64 v[194:195], v[192:193], v[190:191]
	v_fma_f64 v[188:189], -v[188:189], v[194:195], v[192:193]
	v_div_fmas_f64 v[188:189], v[188:189], v[190:191], v[194:195]
	v_div_fixup_f64 v[188:189], v[188:189], v[186:187], v[184:185]
	v_fmac_f64_e32 v[186:187], v[184:185], v[188:189]
	v_div_scale_f64 v[184:185], s[10:11], v[186:187], v[186:187], 1.0
	v_rcp_f64_e32 v[190:191], v[184:185]
	s_nop 0
	v_fma_f64 v[192:193], -v[184:185], v[190:191], 1.0
	v_fmac_f64_e32 v[190:191], v[190:191], v[192:193]
	v_fma_f64 v[192:193], -v[184:185], v[190:191], 1.0
	v_fmac_f64_e32 v[190:191], v[190:191], v[192:193]
	v_div_scale_f64 v[192:193], vcc, 1.0, v[186:187], 1.0
	v_mul_f64 v[194:195], v[192:193], v[190:191]
	v_fma_f64 v[184:185], -v[184:185], v[194:195], v[192:193]
	s_nop 1
	v_div_fmas_f64 v[184:185], v[184:185], v[190:191], v[194:195]
	v_div_fixup_f64 v[190:191], v[184:185], v[186:187], 1.0
	v_mul_f64 v[188:189], v[188:189], v[190:191]
	v_xor_b32_e32 v191, 0x80000000, v191
                                        ; implicit-def: $vgpr184_vgpr185
.LBB49_194:
	s_andn2_saveexec_b64 s[2:3], s[2:3]
	s_cbranch_execz .LBB49_196
; %bb.195:
	v_div_scale_f64 v[188:189], s[10:11], v[184:185], v[184:185], v[186:187]
	v_rcp_f64_e32 v[190:191], v[188:189]
	v_div_scale_f64 v[192:193], vcc, v[186:187], v[184:185], v[186:187]
	v_fma_f64 v[194:195], -v[188:189], v[190:191], 1.0
	v_fmac_f64_e32 v[190:191], v[190:191], v[194:195]
	v_fma_f64 v[194:195], -v[188:189], v[190:191], 1.0
	v_fmac_f64_e32 v[190:191], v[190:191], v[194:195]
	v_mul_f64 v[194:195], v[192:193], v[190:191]
	v_fma_f64 v[188:189], -v[188:189], v[194:195], v[192:193]
	v_div_fmas_f64 v[188:189], v[188:189], v[190:191], v[194:195]
	v_div_fixup_f64 v[190:191], v[188:189], v[184:185], v[186:187]
	v_fmac_f64_e32 v[184:185], v[186:187], v[190:191]
	v_div_scale_f64 v[186:187], s[10:11], v[184:185], v[184:185], 1.0
	v_rcp_f64_e32 v[188:189], v[186:187]
	s_nop 0
	v_fma_f64 v[192:193], -v[186:187], v[188:189], 1.0
	v_fmac_f64_e32 v[188:189], v[188:189], v[192:193]
	v_fma_f64 v[192:193], -v[186:187], v[188:189], 1.0
	v_fmac_f64_e32 v[188:189], v[188:189], v[192:193]
	v_div_scale_f64 v[192:193], vcc, 1.0, v[184:185], 1.0
	v_mul_f64 v[194:195], v[192:193], v[188:189]
	v_fma_f64 v[186:187], -v[186:187], v[194:195], v[192:193]
	s_nop 1
	v_div_fmas_f64 v[186:187], v[186:187], v[188:189], v[194:195]
	v_div_fixup_f64 v[188:189], v[186:187], v[184:185], 1.0
	v_mul_f64 v[190:191], v[190:191], -v[188:189]
.LBB49_196:
	s_or_b64 exec, exec, s[2:3]
	ds_write2_b64 v253, v[188:189], v[190:191] offset1:1
.LBB49_197:
	s_or_b64 exec, exec, s[4:5]
	s_waitcnt lgkmcnt(0)
	s_barrier
	ds_read2_b64 v[184:187], v253 offset1:1
	v_cmp_lt_u32_e32 vcc, 21, v252
	s_and_saveexec_b64 s[2:3], vcc
	s_cbranch_execz .LBB49_199
; %bb.198:
	ds_read2_b64 v[188:191], v254 offset0:44 offset1:45
	ds_read2_b64 v[192:195], v254 offset0:46 offset1:47
	s_waitcnt vmcnt(4) lgkmcnt(2)
	v_mul_f64 v[196:197], v[184:185], v[10:11]
	v_fmac_f64_e32 v[196:197], v[186:187], v[8:9]
	v_mul_f64 v[10:11], v[186:187], v[10:11]
	v_fma_f64 v[8:9], v[184:185], v[8:9], -v[10:11]
	s_waitcnt lgkmcnt(1)
	v_mul_f64 v[10:11], v[190:191], v[196:197]
	v_fma_f64 v[10:11], v[188:189], v[8:9], -v[10:11]
	v_mul_f64 v[188:189], v[188:189], v[196:197]
	v_fmac_f64_e32 v[188:189], v[190:191], v[8:9]
	s_waitcnt vmcnt(3)
	v_add_f64 v[6:7], v[6:7], -v[188:189]
	ds_read2_b64 v[188:191], v254 offset0:48 offset1:49
	v_add_f64 v[4:5], v[4:5], -v[10:11]
	s_waitcnt lgkmcnt(1)
	v_mul_f64 v[10:11], v[194:195], v[196:197]
	v_fma_f64 v[10:11], v[192:193], v[8:9], -v[10:11]
	s_waitcnt vmcnt(2)
	v_add_f64 v[0:1], v[0:1], -v[10:11]
	s_waitcnt lgkmcnt(0)
	v_mul_f64 v[10:11], v[190:191], v[196:197]
	v_mul_f64 v[192:193], v[192:193], v[196:197]
	v_fma_f64 v[10:11], v[188:189], v[8:9], -v[10:11]
	v_mul_f64 v[188:189], v[188:189], v[196:197]
	v_fmac_f64_e32 v[192:193], v[194:195], v[8:9]
	v_fmac_f64_e32 v[188:189], v[190:191], v[8:9]
	v_add_f64 v[2:3], v[2:3], -v[192:193]
	s_waitcnt vmcnt(0)
	v_add_f64 v[96:97], v[96:97], -v[10:11]
	v_add_f64 v[98:99], v[98:99], -v[188:189]
	v_mov_b64_e32 v[10:11], v[196:197]
.LBB49_199:
	s_or_b64 exec, exec, s[2:3]
	v_cmp_eq_u32_e32 vcc, 22, v252
	s_waitcnt lgkmcnt(0)
	s_barrier
	s_and_saveexec_b64 s[4:5], vcc
	s_cbranch_execz .LBB49_206
; %bb.200:
	s_waitcnt vmcnt(3)
	ds_write2_b64 v253, v[4:5], v[6:7] offset1:1
	s_waitcnt vmcnt(2)
	ds_write2_b64 v254, v[0:1], v[2:3] offset0:46 offset1:47
	s_waitcnt vmcnt(0)
	ds_write2_b64 v254, v[96:97], v[98:99] offset0:48 offset1:49
	ds_read2_b64 v[188:191], v253 offset1:1
	s_waitcnt lgkmcnt(0)
	v_cmp_neq_f64_e32 vcc, 0, v[188:189]
	v_cmp_neq_f64_e64 s[2:3], 0, v[190:191]
	s_or_b64 s[2:3], vcc, s[2:3]
	s_and_b64 exec, exec, s[2:3]
	s_cbranch_execz .LBB49_206
; %bb.201:
	v_cmp_ngt_f64_e64 s[2:3], |v[188:189]|, |v[190:191]|
                                        ; implicit-def: $vgpr192_vgpr193
	s_and_saveexec_b64 s[10:11], s[2:3]
	s_xor_b64 s[2:3], exec, s[10:11]
                                        ; implicit-def: $vgpr194_vgpr195
	s_cbranch_execz .LBB49_203
; %bb.202:
	v_div_scale_f64 v[192:193], s[10:11], v[190:191], v[190:191], v[188:189]
	v_rcp_f64_e32 v[194:195], v[192:193]
	v_div_scale_f64 v[196:197], vcc, v[188:189], v[190:191], v[188:189]
	v_fma_f64 v[198:199], -v[192:193], v[194:195], 1.0
	v_fmac_f64_e32 v[194:195], v[194:195], v[198:199]
	v_fma_f64 v[198:199], -v[192:193], v[194:195], 1.0
	v_fmac_f64_e32 v[194:195], v[194:195], v[198:199]
	v_mul_f64 v[198:199], v[196:197], v[194:195]
	v_fma_f64 v[192:193], -v[192:193], v[198:199], v[196:197]
	v_div_fmas_f64 v[192:193], v[192:193], v[194:195], v[198:199]
	v_div_fixup_f64 v[192:193], v[192:193], v[190:191], v[188:189]
	v_fmac_f64_e32 v[190:191], v[188:189], v[192:193]
	v_div_scale_f64 v[188:189], s[10:11], v[190:191], v[190:191], 1.0
	v_rcp_f64_e32 v[194:195], v[188:189]
	s_nop 0
	v_fma_f64 v[196:197], -v[188:189], v[194:195], 1.0
	v_fmac_f64_e32 v[194:195], v[194:195], v[196:197]
	v_fma_f64 v[196:197], -v[188:189], v[194:195], 1.0
	v_fmac_f64_e32 v[194:195], v[194:195], v[196:197]
	v_div_scale_f64 v[196:197], vcc, 1.0, v[190:191], 1.0
	v_mul_f64 v[198:199], v[196:197], v[194:195]
	v_fma_f64 v[188:189], -v[188:189], v[198:199], v[196:197]
	s_nop 1
	v_div_fmas_f64 v[188:189], v[188:189], v[194:195], v[198:199]
	v_div_fixup_f64 v[194:195], v[188:189], v[190:191], 1.0
	v_mul_f64 v[192:193], v[192:193], v[194:195]
	v_xor_b32_e32 v195, 0x80000000, v195
                                        ; implicit-def: $vgpr188_vgpr189
.LBB49_203:
	s_andn2_saveexec_b64 s[2:3], s[2:3]
	s_cbranch_execz .LBB49_205
; %bb.204:
	v_div_scale_f64 v[192:193], s[10:11], v[188:189], v[188:189], v[190:191]
	v_rcp_f64_e32 v[194:195], v[192:193]
	v_div_scale_f64 v[196:197], vcc, v[190:191], v[188:189], v[190:191]
	v_fma_f64 v[198:199], -v[192:193], v[194:195], 1.0
	v_fmac_f64_e32 v[194:195], v[194:195], v[198:199]
	v_fma_f64 v[198:199], -v[192:193], v[194:195], 1.0
	v_fmac_f64_e32 v[194:195], v[194:195], v[198:199]
	v_mul_f64 v[198:199], v[196:197], v[194:195]
	v_fma_f64 v[192:193], -v[192:193], v[198:199], v[196:197]
	v_div_fmas_f64 v[192:193], v[192:193], v[194:195], v[198:199]
	v_div_fixup_f64 v[194:195], v[192:193], v[188:189], v[190:191]
	v_fmac_f64_e32 v[188:189], v[190:191], v[194:195]
	v_div_scale_f64 v[190:191], s[10:11], v[188:189], v[188:189], 1.0
	v_rcp_f64_e32 v[192:193], v[190:191]
	s_nop 0
	v_fma_f64 v[196:197], -v[190:191], v[192:193], 1.0
	v_fmac_f64_e32 v[192:193], v[192:193], v[196:197]
	v_fma_f64 v[196:197], -v[190:191], v[192:193], 1.0
	v_fmac_f64_e32 v[192:193], v[192:193], v[196:197]
	v_div_scale_f64 v[196:197], vcc, 1.0, v[188:189], 1.0
	v_mul_f64 v[198:199], v[196:197], v[192:193]
	v_fma_f64 v[190:191], -v[190:191], v[198:199], v[196:197]
	s_nop 1
	v_div_fmas_f64 v[190:191], v[190:191], v[192:193], v[198:199]
	v_div_fixup_f64 v[192:193], v[190:191], v[188:189], 1.0
	v_mul_f64 v[194:195], v[194:195], -v[192:193]
.LBB49_205:
	s_or_b64 exec, exec, s[2:3]
	ds_write2_b64 v253, v[192:193], v[194:195] offset1:1
.LBB49_206:
	s_or_b64 exec, exec, s[4:5]
	s_waitcnt lgkmcnt(0)
	s_barrier
	ds_read2_b64 v[188:191], v253 offset1:1
	v_cmp_lt_u32_e32 vcc, 22, v252
	s_and_saveexec_b64 s[2:3], vcc
	s_cbranch_execz .LBB49_208
; %bb.207:
	ds_read2_b64 v[192:195], v254 offset0:46 offset1:47
	s_waitcnt vmcnt(3) lgkmcnt(1)
	v_mul_f64 v[196:197], v[188:189], v[6:7]
	v_fmac_f64_e32 v[196:197], v[190:191], v[4:5]
	v_mul_f64 v[6:7], v[190:191], v[6:7]
	v_fma_f64 v[4:5], v[188:189], v[4:5], -v[6:7]
	s_waitcnt lgkmcnt(0)
	v_mul_f64 v[6:7], v[194:195], v[196:197]
	v_fma_f64 v[6:7], v[192:193], v[4:5], -v[6:7]
	v_mul_f64 v[192:193], v[192:193], v[196:197]
	v_fmac_f64_e32 v[192:193], v[194:195], v[4:5]
	s_waitcnt vmcnt(2)
	v_add_f64 v[2:3], v[2:3], -v[192:193]
	ds_read2_b64 v[192:195], v254 offset0:48 offset1:49
	v_add_f64 v[0:1], v[0:1], -v[6:7]
	s_waitcnt lgkmcnt(0)
	v_mul_f64 v[6:7], v[194:195], v[196:197]
	v_fma_f64 v[6:7], v[192:193], v[4:5], -v[6:7]
	v_mul_f64 v[192:193], v[192:193], v[196:197]
	v_fmac_f64_e32 v[192:193], v[194:195], v[4:5]
	s_waitcnt vmcnt(0)
	v_add_f64 v[96:97], v[96:97], -v[6:7]
	v_add_f64 v[98:99], v[98:99], -v[192:193]
	v_mov_b64_e32 v[6:7], v[196:197]
.LBB49_208:
	s_or_b64 exec, exec, s[2:3]
	v_cmp_eq_u32_e32 vcc, 23, v252
	s_waitcnt lgkmcnt(0)
	s_barrier
	s_and_saveexec_b64 s[4:5], vcc
	s_cbranch_execz .LBB49_215
; %bb.209:
	s_waitcnt vmcnt(2)
	ds_write2_b64 v253, v[0:1], v[2:3] offset1:1
	s_waitcnt vmcnt(0)
	ds_write2_b64 v254, v[96:97], v[98:99] offset0:48 offset1:49
	ds_read2_b64 v[192:195], v253 offset1:1
	s_waitcnt lgkmcnt(0)
	v_cmp_neq_f64_e32 vcc, 0, v[192:193]
	v_cmp_neq_f64_e64 s[2:3], 0, v[194:195]
	s_or_b64 s[2:3], vcc, s[2:3]
	s_and_b64 exec, exec, s[2:3]
	s_cbranch_execz .LBB49_215
; %bb.210:
	v_cmp_ngt_f64_e64 s[2:3], |v[192:193]|, |v[194:195]|
                                        ; implicit-def: $vgpr196_vgpr197
	s_and_saveexec_b64 s[10:11], s[2:3]
	s_xor_b64 s[2:3], exec, s[10:11]
                                        ; implicit-def: $vgpr198_vgpr199
	s_cbranch_execz .LBB49_212
; %bb.211:
	v_mov_b64_e32 v[208:209], v[74:75]
	v_mov_b64_e32 v[206:207], v[72:73]
	;; [unrolled: 1-line block ×41, first 2 shown]
	v_div_scale_f64 v[196:197], s[10:11], v[194:195], v[194:195], v[192:193]
	v_mov_b64_e32 v[122:123], v[120:121]
	v_mov_b64_e32 v[120:121], v[118:119]
	v_rcp_f64_e32 v[198:199], v[196:197]
	v_mov_b64_e32 v[118:119], v[116:117]
	v_mov_b64_e32 v[116:117], v[114:115]
	;; [unrolled: 1-line block ×10, first 2 shown]
	v_fma_f64 v[204:205], -v[196:197], v[198:199], 1.0
	v_fmac_f64_e32 v[198:199], v[198:199], v[204:205]
	v_fma_f64 v[204:205], -v[196:197], v[198:199], 1.0
	v_div_scale_f64 v[202:203], vcc, v[192:193], v[194:195], v[192:193]
	v_fmac_f64_e32 v[198:199], v[198:199], v[204:205]
	v_mul_f64 v[204:205], v[202:203], v[198:199]
	v_fma_f64 v[196:197], -v[196:197], v[204:205], v[202:203]
	s_nop 0
	v_div_fmas_f64 v[196:197], v[196:197], v[198:199], v[204:205]
	v_div_fixup_f64 v[196:197], v[196:197], v[194:195], v[192:193]
	v_fmac_f64_e32 v[194:195], v[192:193], v[196:197]
	v_div_scale_f64 v[192:193], s[10:11], v[194:195], v[194:195], 1.0
	v_rcp_f64_e32 v[198:199], v[192:193]
	s_nop 0
	v_fma_f64 v[202:203], -v[192:193], v[198:199], 1.0
	v_fmac_f64_e32 v[198:199], v[198:199], v[202:203]
	v_fma_f64 v[202:203], -v[192:193], v[198:199], 1.0
	v_fmac_f64_e32 v[198:199], v[198:199], v[202:203]
	v_div_scale_f64 v[202:203], vcc, 1.0, v[194:195], 1.0
	v_mul_f64 v[204:205], v[202:203], v[198:199]
	v_fma_f64 v[192:193], -v[192:193], v[204:205], v[202:203]
	s_nop 1
	v_div_fmas_f64 v[192:193], v[192:193], v[198:199], v[204:205]
	v_mov_b64_e32 v[204:205], v[100:101]
	v_mov_b64_e32 v[100:101], v[102:103]
	v_mov_b64_e32 v[102:103], v[104:105]
	v_mov_b64_e32 v[104:105], v[106:107]
	v_mov_b64_e32 v[106:107], v[108:109]
	v_mov_b64_e32 v[108:109], v[110:111]
	v_mov_b64_e32 v[110:111], v[112:113]
	v_mov_b64_e32 v[112:113], v[114:115]
	v_mov_b64_e32 v[114:115], v[116:117]
	v_mov_b64_e32 v[116:117], v[118:119]
	v_mov_b64_e32 v[118:119], v[120:121]
	v_mov_b64_e32 v[120:121], v[122:123]
	v_mov_b64_e32 v[122:123], v[124:125]
	v_mov_b64_e32 v[124:125], v[126:127]
	v_mov_b64_e32 v[126:127], v[128:129]
	v_mov_b64_e32 v[128:129], v[130:131]
	v_mov_b64_e32 v[130:131], v[132:133]
	v_mov_b64_e32 v[132:133], v[134:135]
	v_mov_b64_e32 v[134:135], v[136:137]
	v_mov_b64_e32 v[136:137], v[138:139]
	v_mov_b64_e32 v[138:139], v[140:141]
	v_mov_b64_e32 v[140:141], v[142:143]
	v_mov_b64_e32 v[142:143], v[144:145]
	v_mov_b64_e32 v[144:145], v[146:147]
	v_mov_b64_e32 v[146:147], v[148:149]
	v_mov_b64_e32 v[148:149], v[150:151]
	v_mov_b64_e32 v[150:151], v[152:153]
	v_mov_b64_e32 v[152:153], v[154:155]
	v_mov_b64_e32 v[154:155], v[156:157]
	v_mov_b64_e32 v[156:157], v[158:159]
	v_mov_b64_e32 v[158:159], v[160:161]
	v_mov_b64_e32 v[160:161], v[162:163]
	v_mov_b64_e32 v[162:163], v[164:165]
	v_mov_b64_e32 v[164:165], v[166:167]
	v_mov_b64_e32 v[166:167], v[168:169]
	v_mov_b64_e32 v[168:169], v[170:171]
	v_mov_b64_e32 v[170:171], v[172:173]
	v_mov_b64_e32 v[174:175], v[94:95]
	v_mov_b64_e32 v[172:173], v[92:93]
	v_mov_b64_e32 v[94:95], v[90:91]
	v_mov_b64_e32 v[92:93], v[88:89]
	v_mov_b64_e32 v[90:91], v[86:87]
	v_mov_b64_e32 v[88:89], v[84:85]
	v_mov_b64_e32 v[84:85], v[176:177]
	v_mov_b64_e32 v[86:87], v[178:179]
	v_mov_b64_e32 v[178:179], v[82:83]
	v_mov_b64_e32 v[176:177], v[80:81]
	v_mov_b64_e32 v[82:83], v[78:79]
	v_mov_b64_e32 v[80:81], v[76:77]
	v_mov_b64_e32 v[78:79], v[74:75]
	v_mov_b64_e32 v[76:77], v[72:73]
	v_mov_b64_e32 v[72:73], v[206:207]
	v_div_fixup_f64 v[198:199], v[192:193], v[194:195], 1.0
	v_mov_b64_e32 v[74:75], v[208:209]
	v_mul_f64 v[196:197], v[196:197], v[198:199]
	v_xor_b32_e32 v199, 0x80000000, v199
                                        ; implicit-def: $vgpr192_vgpr193
.LBB49_212:
	s_andn2_saveexec_b64 s[2:3], s[2:3]
	s_cbranch_execz .LBB49_214
; %bb.213:
	v_mov_b64_e32 v[208:209], v[74:75]
	v_mov_b64_e32 v[206:207], v[72:73]
	v_mov_b64_e32 v[72:73], v[76:77]
	v_mov_b64_e32 v[74:75], v[78:79]
	v_mov_b64_e32 v[76:77], v[80:81]
	v_mov_b64_e32 v[78:79], v[82:83]
	v_mov_b64_e32 v[80:81], v[176:177]
	v_mov_b64_e32 v[82:83], v[178:179]
	v_mov_b64_e32 v[178:179], v[86:87]
	v_mov_b64_e32 v[176:177], v[84:85]
	v_mov_b64_e32 v[84:85], v[88:89]
	v_mov_b64_e32 v[86:87], v[90:91]
	v_mov_b64_e32 v[88:89], v[92:93]
	v_mov_b64_e32 v[90:91], v[94:95]
	v_mov_b64_e32 v[92:93], v[172:173]
	v_mov_b64_e32 v[94:95], v[174:175]
	v_mov_b64_e32 v[172:173], v[170:171]
	v_mov_b64_e32 v[170:171], v[168:169]
	v_mov_b64_e32 v[168:169], v[166:167]
	v_mov_b64_e32 v[166:167], v[164:165]
	v_mov_b64_e32 v[164:165], v[162:163]
	v_mov_b64_e32 v[162:163], v[160:161]
	v_mov_b64_e32 v[160:161], v[158:159]
	v_mov_b64_e32 v[158:159], v[156:157]
	v_mov_b64_e32 v[156:157], v[154:155]
	v_mov_b64_e32 v[154:155], v[152:153]
	v_mov_b64_e32 v[152:153], v[150:151]
	v_mov_b64_e32 v[150:151], v[148:149]
	v_mov_b64_e32 v[148:149], v[146:147]
	v_mov_b64_e32 v[146:147], v[144:145]
	v_mov_b64_e32 v[144:145], v[142:143]
	v_mov_b64_e32 v[142:143], v[140:141]
	v_mov_b64_e32 v[140:141], v[138:139]
	v_mov_b64_e32 v[138:139], v[136:137]
	v_mov_b64_e32 v[136:137], v[134:135]
	v_mov_b64_e32 v[134:135], v[132:133]
	v_mov_b64_e32 v[132:133], v[130:131]
	v_mov_b64_e32 v[130:131], v[128:129]
	v_mov_b64_e32 v[128:129], v[126:127]
	v_mov_b64_e32 v[126:127], v[124:125]
	v_mov_b64_e32 v[124:125], v[122:123]
	v_div_scale_f64 v[196:197], s[10:11], v[192:193], v[192:193], v[194:195]
	v_mov_b64_e32 v[122:123], v[120:121]
	v_mov_b64_e32 v[120:121], v[118:119]
	v_rcp_f64_e32 v[198:199], v[196:197]
	v_mov_b64_e32 v[118:119], v[116:117]
	v_mov_b64_e32 v[116:117], v[114:115]
	;; [unrolled: 1-line block ×10, first 2 shown]
	v_fma_f64 v[204:205], -v[196:197], v[198:199], 1.0
	v_fmac_f64_e32 v[198:199], v[198:199], v[204:205]
	v_fma_f64 v[204:205], -v[196:197], v[198:199], 1.0
	v_div_scale_f64 v[202:203], vcc, v[194:195], v[192:193], v[194:195]
	v_fmac_f64_e32 v[198:199], v[198:199], v[204:205]
	v_mul_f64 v[204:205], v[202:203], v[198:199]
	v_fma_f64 v[196:197], -v[196:197], v[204:205], v[202:203]
	s_nop 0
	v_div_fmas_f64 v[196:197], v[196:197], v[198:199], v[204:205]
	v_div_fixup_f64 v[198:199], v[196:197], v[192:193], v[194:195]
	v_fmac_f64_e32 v[192:193], v[194:195], v[198:199]
	v_div_scale_f64 v[194:195], s[10:11], v[192:193], v[192:193], 1.0
	v_rcp_f64_e32 v[196:197], v[194:195]
	s_nop 0
	v_fma_f64 v[202:203], -v[194:195], v[196:197], 1.0
	v_fmac_f64_e32 v[196:197], v[196:197], v[202:203]
	v_fma_f64 v[202:203], -v[194:195], v[196:197], 1.0
	v_fmac_f64_e32 v[196:197], v[196:197], v[202:203]
	v_div_scale_f64 v[202:203], vcc, 1.0, v[192:193], 1.0
	v_mul_f64 v[204:205], v[202:203], v[196:197]
	v_fma_f64 v[194:195], -v[194:195], v[204:205], v[202:203]
	s_nop 1
	v_div_fmas_f64 v[194:195], v[194:195], v[196:197], v[204:205]
	v_mov_b64_e32 v[204:205], v[100:101]
	v_mov_b64_e32 v[100:101], v[102:103]
	;; [unrolled: 1-line block ×52, first 2 shown]
	v_div_fixup_f64 v[196:197], v[194:195], v[192:193], 1.0
	v_mov_b64_e32 v[74:75], v[208:209]
	v_mul_f64 v[198:199], v[198:199], -v[196:197]
.LBB49_214:
	s_or_b64 exec, exec, s[2:3]
	ds_write2_b64 v253, v[196:197], v[198:199] offset1:1
.LBB49_215:
	s_or_b64 exec, exec, s[4:5]
	s_waitcnt lgkmcnt(0)
	s_barrier
	ds_read2_b64 v[192:195], v253 offset1:1
	v_cmp_lt_u32_e32 vcc, 23, v252
	s_and_saveexec_b64 s[2:3], vcc
	s_cbranch_execz .LBB49_217
; %bb.216:
	ds_read2_b64 v[196:199], v254 offset0:48 offset1:49
	s_waitcnt vmcnt(2) lgkmcnt(1)
	v_mul_f64 v[202:203], v[192:193], v[2:3]
	v_mul_f64 v[2:3], v[194:195], v[2:3]
	v_fmac_f64_e32 v[202:203], v[194:195], v[0:1]
	v_fma_f64 v[0:1], v[192:193], v[0:1], -v[2:3]
	s_waitcnt lgkmcnt(0)
	v_mul_f64 v[2:3], v[198:199], v[202:203]
	v_fma_f64 v[2:3], v[196:197], v[0:1], -v[2:3]
	v_mul_f64 v[196:197], v[196:197], v[202:203]
	v_fmac_f64_e32 v[196:197], v[198:199], v[0:1]
	s_waitcnt vmcnt(0)
	v_add_f64 v[96:97], v[96:97], -v[2:3]
	v_add_f64 v[98:99], v[98:99], -v[196:197]
	v_mov_b64_e32 v[2:3], v[202:203]
.LBB49_217:
	s_or_b64 exec, exec, s[2:3]
	v_cmp_eq_u32_e32 vcc, 24, v252
	s_waitcnt lgkmcnt(0)
	s_barrier
	s_and_saveexec_b64 s[4:5], vcc
	s_cbranch_execz .LBB49_224
; %bb.218:
	s_waitcnt vmcnt(0)
	v_cmp_neq_f64_e32 vcc, 0, v[96:97]
	v_cmp_neq_f64_e64 s[2:3], 0, v[98:99]
	s_or_b64 s[2:3], vcc, s[2:3]
	ds_write2_b64 v253, v[96:97], v[98:99] offset1:1
	s_and_b64 exec, exec, s[2:3]
	s_cbranch_execz .LBB49_224
; %bb.219:
	v_cmp_ngt_f64_e64 s[2:3], |v[96:97]|, |v[98:99]|
                                        ; implicit-def: $vgpr196_vgpr197
	s_mov_b64 s[10:11], exec
	s_and_b64 s[12:13], s[10:11], s[2:3]
	s_xor_b64 s[2:3], s[12:13], s[10:11]
                                        ; implicit-def: $vgpr198_vgpr199
	scratch_store_dwordx4 off, v[72:75], off offset:24 ; 16-byte Folded Spill
	s_mov_b64 exec, s[12:13]
	s_cbranch_execz .LBB49_221
; %bb.220:
	v_mov_b64_e32 v[72:73], v[76:77]
	v_mov_b64_e32 v[74:75], v[78:79]
	v_mov_b64_e32 v[76:77], v[80:81]
	v_mov_b64_e32 v[78:79], v[82:83]
	v_mov_b64_e32 v[80:81], v[176:177]
	v_mov_b64_e32 v[82:83], v[178:179]
	v_mov_b64_e32 v[178:179], v[86:87]
	v_mov_b64_e32 v[176:177], v[84:85]
	v_mov_b64_e32 v[84:85], v[88:89]
	v_mov_b64_e32 v[86:87], v[90:91]
	v_mov_b64_e32 v[88:89], v[92:93]
	v_mov_b64_e32 v[90:91], v[94:95]
	v_mov_b64_e32 v[92:93], v[172:173]
	v_mov_b64_e32 v[94:95], v[174:175]
	v_mov_b64_e32 v[174:175], v[170:171]
	v_mov_b64_e32 v[172:173], v[168:169]
	v_mov_b64_e32 v[170:171], v[166:167]
	v_mov_b64_e32 v[168:169], v[164:165]
	v_mov_b64_e32 v[166:167], v[162:163]
	v_mov_b64_e32 v[164:165], v[160:161]
	v_mov_b64_e32 v[162:163], v[158:159]
	v_mov_b64_e32 v[160:161], v[156:157]
	v_mov_b64_e32 v[158:159], v[154:155]
	v_mov_b64_e32 v[156:157], v[152:153]
	v_mov_b64_e32 v[154:155], v[150:151]
	v_mov_b64_e32 v[152:153], v[148:149]
	v_mov_b64_e32 v[150:151], v[146:147]
	v_mov_b64_e32 v[148:149], v[144:145]
	v_mov_b64_e32 v[146:147], v[142:143]
	v_mov_b64_e32 v[144:145], v[140:141]
	v_mov_b64_e32 v[142:143], v[138:139]
	v_mov_b64_e32 v[140:141], v[136:137]
	v_mov_b64_e32 v[138:139], v[134:135]
	v_mov_b64_e32 v[136:137], v[132:133]
	v_mov_b64_e32 v[134:135], v[130:131]
	v_mov_b64_e32 v[132:133], v[128:129]
	v_mov_b64_e32 v[130:131], v[126:127]
	v_mov_b64_e32 v[128:129], v[124:125]
	v_mov_b64_e32 v[126:127], v[122:123]
	v_div_scale_f64 v[196:197], s[10:11], v[98:99], v[98:99], v[96:97]
	v_mov_b64_e32 v[124:125], v[120:121]
	v_mov_b64_e32 v[122:123], v[118:119]
	v_rcp_f64_e32 v[198:199], v[196:197]
	v_mov_b64_e32 v[120:121], v[116:117]
	v_mov_b64_e32 v[118:119], v[114:115]
	;; [unrolled: 1-line block ×10, first 2 shown]
	v_fma_f64 v[204:205], -v[196:197], v[198:199], 1.0
	v_fmac_f64_e32 v[198:199], v[198:199], v[204:205]
	v_fma_f64 v[204:205], -v[196:197], v[198:199], 1.0
	v_div_scale_f64 v[202:203], vcc, v[96:97], v[98:99], v[96:97]
	v_fmac_f64_e32 v[198:199], v[198:199], v[204:205]
	v_mul_f64 v[204:205], v[202:203], v[198:199]
	v_fma_f64 v[196:197], -v[196:197], v[204:205], v[202:203]
	s_nop 0
	v_div_fmas_f64 v[196:197], v[196:197], v[198:199], v[204:205]
	v_div_fixup_f64 v[196:197], v[196:197], v[98:99], v[96:97]
	v_fma_f64 v[198:199], v[96:97], v[196:197], v[98:99]
	v_div_scale_f64 v[202:203], s[10:11], v[198:199], v[198:199], 1.0
	v_rcp_f64_e32 v[204:205], v[202:203]
	v_mov_b64_e32 v[100:101], v[200:201]
	v_mov_b64_e32 v[200:201], v[250:251]
	;; [unrolled: 1-line block ×3, first 2 shown]
	v_fma_f64 v[254:255], -v[202:203], v[204:205], 1.0
	v_fmac_f64_e32 v[204:205], v[204:205], v[254:255]
	v_fma_f64 v[254:255], -v[202:203], v[204:205], 1.0
	v_fmac_f64_e32 v[204:205], v[204:205], v[254:255]
	v_div_scale_f64 v[254:255], vcc, 1.0, v[198:199], 1.0
	v_mul_f64 v[206:207], v[254:255], v[204:205]
	v_mov_b64_e32 v[248:249], v[246:247]
	v_mov_b64_e32 v[246:247], v[244:245]
	;; [unrolled: 1-line block ×16, first 2 shown]
	v_fma_f64 v[202:203], -v[202:203], v[206:207], v[254:255]
	v_div_fmas_f64 v[202:203], v[202:203], v[204:205], v[206:207]
	v_mov_b64_e32 v[204:205], v[102:103]
	v_mov_b64_e32 v[214:215], v[216:217]
	;; [unrolled: 1-line block ×70, first 2 shown]
	scratch_load_dwordx4 v[72:75], off, off offset:24 ; 16-byte Folded Reload
	v_div_fixup_f64 v[198:199], v[202:203], v[198:199], 1.0
	v_mul_f64 v[196:197], v[196:197], v[198:199]
	v_xor_b32_e32 v199, 0x80000000, v199
.LBB49_221:
	s_andn2_saveexec_b64 s[2:3], s[2:3]
	s_cbranch_execz .LBB49_223
; %bb.222:
	s_waitcnt vmcnt(0)
	v_mov_b64_e32 v[72:73], v[76:77]
	v_mov_b64_e32 v[74:75], v[78:79]
	;; [unrolled: 1-line block ×39, first 2 shown]
	v_div_scale_f64 v[196:197], s[10:11], v[96:97], v[96:97], v[98:99]
	v_mov_b64_e32 v[124:125], v[120:121]
	v_mov_b64_e32 v[122:123], v[118:119]
	v_rcp_f64_e32 v[198:199], v[196:197]
	v_mov_b64_e32 v[120:121], v[116:117]
	v_mov_b64_e32 v[118:119], v[114:115]
	;; [unrolled: 1-line block ×10, first 2 shown]
	v_fma_f64 v[204:205], -v[196:197], v[198:199], 1.0
	v_fmac_f64_e32 v[198:199], v[198:199], v[204:205]
	v_fma_f64 v[204:205], -v[196:197], v[198:199], 1.0
	v_div_scale_f64 v[202:203], vcc, v[98:99], v[96:97], v[98:99]
	v_fmac_f64_e32 v[198:199], v[198:199], v[204:205]
	v_mul_f64 v[204:205], v[202:203], v[198:199]
	v_fma_f64 v[196:197], -v[196:197], v[204:205], v[202:203]
	s_nop 0
	v_div_fmas_f64 v[196:197], v[196:197], v[198:199], v[204:205]
	v_div_fixup_f64 v[198:199], v[196:197], v[96:97], v[98:99]
	v_fma_f64 v[196:197], v[98:99], v[198:199], v[96:97]
	v_div_scale_f64 v[202:203], s[10:11], v[196:197], v[196:197], 1.0
	v_rcp_f64_e32 v[204:205], v[202:203]
	v_mov_b64_e32 v[100:101], v[200:201]
	v_mov_b64_e32 v[200:201], v[250:251]
	;; [unrolled: 1-line block ×3, first 2 shown]
	v_fma_f64 v[206:207], -v[202:203], v[204:205], 1.0
	v_fmac_f64_e32 v[204:205], v[204:205], v[206:207]
	v_fma_f64 v[206:207], -v[202:203], v[204:205], 1.0
	v_fmac_f64_e32 v[204:205], v[204:205], v[206:207]
	v_div_scale_f64 v[206:207], vcc, 1.0, v[196:197], 1.0
	v_mul_f64 v[254:255], v[206:207], v[204:205]
	v_mov_b64_e32 v[248:249], v[246:247]
	v_mov_b64_e32 v[246:247], v[244:245]
	;; [unrolled: 1-line block ×16, first 2 shown]
	v_fma_f64 v[202:203], -v[202:203], v[254:255], v[206:207]
	v_mov_b64_e32 v[214:215], v[216:217]
	v_mov_b64_e32 v[216:217], v[218:219]
	;; [unrolled: 1-line block ×19, first 2 shown]
	v_div_fmas_f64 v[202:203], v[202:203], v[204:205], v[254:255]
	v_mov_b64_e32 v[204:205], v[102:103]
	v_mov_b64_e32 v[100:101], v[104:105]
	;; [unrolled: 1-line block ×51, first 2 shown]
	scratch_load_dwordx4 v[72:75], off, off offset:24 ; 16-byte Folded Reload
	v_div_fixup_f64 v[196:197], v[202:203], v[196:197], 1.0
	v_mul_f64 v[198:199], v[198:199], -v[196:197]
.LBB49_223:
	s_or_b64 exec, exec, s[2:3]
	ds_write2_b64 v253, v[196:197], v[198:199] offset1:1
.LBB49_224:
	s_or_b64 exec, exec, s[4:5]
	s_waitcnt lgkmcnt(0)
	s_barrier
	ds_read2_b64 v[196:199], v253 offset1:1
	s_waitcnt lgkmcnt(0)
	s_barrier
	s_and_saveexec_b64 s[2:3], s[0:1]
	s_cbranch_execz .LBB49_227
; %bb.225:
	v_cmp_eq_f64_e32 vcc, 0, v[100:101]
	v_cmp_eq_f64_e64 s[0:1], 0, v[102:103]
	s_and_b64 s[4:5], vcc, s[0:1]
	v_cmp_neq_f64_e32 vcc, 0, v[104:105]
	v_cmp_neq_f64_e64 s[0:1], 0, v[106:107]
	s_or_b64 s[0:1], vcc, s[0:1]
	v_cndmask_b32_e64 v100, 0, 1, s[4:5]
	s_or_b64 vcc, s[0:1], s[4:5]
	v_cndmask_b32_e32 v100, 2, v100, vcc
	v_cmp_eq_f64_e32 vcc, 0, v[108:109]
	v_cmp_eq_f64_e64 s[0:1], 0, v[110:111]
	s_and_b64 s[0:1], vcc, s[0:1]
	v_cmp_eq_u32_e32 vcc, 0, v100
	s_and_b64 s[0:1], s[0:1], vcc
	v_cndmask_b32_e64 v100, v100, 3, s[0:1]
	v_cmp_eq_f64_e32 vcc, 0, v[112:113]
	v_cmp_eq_f64_e64 s[0:1], 0, v[114:115]
	s_and_b64 s[0:1], vcc, s[0:1]
	v_cmp_eq_u32_e32 vcc, 0, v100
	s_and_b64 s[0:1], s[0:1], vcc
	v_cndmask_b32_e64 v100, v100, 4, s[0:1]
	;; [unrolled: 6-line block ×9, first 2 shown]
	v_mov_b32_e32 v100, s6
	v_mov_b32_e32 v101, s7
	v_lshl_add_u64 v[100:101], v[222:223], 2, v[100:101]
	global_load_dword v103, v[100:101], off
	v_cmp_eq_f64_e32 vcc, 0, v[144:145]
	v_cmp_eq_f64_e64 s[0:1], 0, v[146:147]
	s_and_b64 s[0:1], vcc, s[0:1]
	v_cmp_eq_u32_e32 vcc, 0, v102
	s_and_b64 s[0:1], s[0:1], vcc
	v_cndmask_b32_e64 v102, v102, 12, s[0:1]
	v_cmp_eq_f64_e32 vcc, 0, v[148:149]
	v_cmp_eq_f64_e64 s[0:1], 0, v[150:151]
	s_and_b64 s[0:1], vcc, s[0:1]
	v_cmp_eq_u32_e32 vcc, 0, v102
	s_and_b64 s[0:1], s[0:1], vcc
	v_cndmask_b32_e64 v102, v102, 13, s[0:1]
	;; [unrolled: 6-line block ×14, first 2 shown]
	s_waitcnt vmcnt(0)
	v_cmp_eq_u32_e32 vcc, 0, v103
	v_cmp_ne_u32_e64 s[0:1], 0, v102
	s_and_b64 s[0:1], vcc, s[0:1]
	s_and_b64 exec, exec, s[0:1]
	s_cbranch_execz .LBB49_227
; %bb.226:
	v_add_u32_e32 v102, s9, v102
	global_store_dword v[100:101], v102, off
.LBB49_227:
	s_or_b64 exec, exec, s[2:3]
	s_waitcnt vmcnt(25)
	global_store_dwordx4 v[200:201], v[92:95], off
	scratch_load_dwordx2 v[92:93], off, off offset:16 ; 8-byte Folded Reload
	s_waitcnt vmcnt(2)
	v_mul_f64 v[100:101], v[198:199], v[98:99]
	v_mul_f64 v[102:103], v[196:197], v[98:99]
	v_fma_f64 v[100:101], v[196:197], v[96:97], -v[100:101]
	v_fmac_f64_e32 v[102:103], v[198:199], v[96:97]
	v_cmp_lt_u32_e32 vcc, 24, v252
	s_waitcnt vmcnt(0)
	global_store_dwordx4 v[92:93], v[88:91], off
	scratch_load_dwordx2 v[88:89], off, off offset:8 ; 8-byte Folded Reload
	v_cndmask_b32_e32 v99, v99, v103, vcc
	v_cndmask_b32_e32 v98, v98, v102, vcc
	;; [unrolled: 1-line block ×4, first 2 shown]
	s_waitcnt vmcnt(0)
	global_store_dwordx4 v[88:89], v[84:87], off
	global_store_dwordx4 v[210:211], v[80:83], off
	;; [unrolled: 1-line block ×22, first 2 shown]
	scratch_load_dwordx2 v[0:1], off, off   ; 8-byte Folded Reload
	s_waitcnt vmcnt(0)
	global_store_dwordx4 v[0:1], v[96:99], off
.LBB49_228:
	s_endpgm
	.section	.rodata,"a",@progbits
	.p2align	6, 0x0
	.amdhsa_kernel _ZN9rocsolver6v33100L23getf2_npvt_small_kernelILi25E19rocblas_complex_numIdEiiPS3_EEvT1_T3_lS5_lPT2_S5_S5_
		.amdhsa_group_segment_fixed_size 0
		.amdhsa_private_segment_fixed_size 44
		.amdhsa_kernarg_size 312
		.amdhsa_user_sgpr_count 2
		.amdhsa_user_sgpr_dispatch_ptr 0
		.amdhsa_user_sgpr_queue_ptr 0
		.amdhsa_user_sgpr_kernarg_segment_ptr 1
		.amdhsa_user_sgpr_dispatch_id 0
		.amdhsa_user_sgpr_kernarg_preload_length 0
		.amdhsa_user_sgpr_kernarg_preload_offset 0
		.amdhsa_user_sgpr_private_segment_size 0
		.amdhsa_uses_dynamic_stack 0
		.amdhsa_enable_private_segment 1
		.amdhsa_system_sgpr_workgroup_id_x 1
		.amdhsa_system_sgpr_workgroup_id_y 1
		.amdhsa_system_sgpr_workgroup_id_z 0
		.amdhsa_system_sgpr_workgroup_info 0
		.amdhsa_system_vgpr_workitem_id 1
		.amdhsa_next_free_vgpr 256
		.amdhsa_next_free_sgpr 16
		.amdhsa_accum_offset 256
		.amdhsa_reserve_vcc 1
		.amdhsa_float_round_mode_32 0
		.amdhsa_float_round_mode_16_64 0
		.amdhsa_float_denorm_mode_32 3
		.amdhsa_float_denorm_mode_16_64 3
		.amdhsa_dx10_clamp 1
		.amdhsa_ieee_mode 1
		.amdhsa_fp16_overflow 0
		.amdhsa_tg_split 0
		.amdhsa_exception_fp_ieee_invalid_op 0
		.amdhsa_exception_fp_denorm_src 0
		.amdhsa_exception_fp_ieee_div_zero 0
		.amdhsa_exception_fp_ieee_overflow 0
		.amdhsa_exception_fp_ieee_underflow 0
		.amdhsa_exception_fp_ieee_inexact 0
		.amdhsa_exception_int_div_zero 0
	.end_amdhsa_kernel
	.section	.text._ZN9rocsolver6v33100L23getf2_npvt_small_kernelILi25E19rocblas_complex_numIdEiiPS3_EEvT1_T3_lS5_lPT2_S5_S5_,"axG",@progbits,_ZN9rocsolver6v33100L23getf2_npvt_small_kernelILi25E19rocblas_complex_numIdEiiPS3_EEvT1_T3_lS5_lPT2_S5_S5_,comdat
.Lfunc_end49:
	.size	_ZN9rocsolver6v33100L23getf2_npvt_small_kernelILi25E19rocblas_complex_numIdEiiPS3_EEvT1_T3_lS5_lPT2_S5_S5_, .Lfunc_end49-_ZN9rocsolver6v33100L23getf2_npvt_small_kernelILi25E19rocblas_complex_numIdEiiPS3_EEvT1_T3_lS5_lPT2_S5_S5_
                                        ; -- End function
	.set _ZN9rocsolver6v33100L23getf2_npvt_small_kernelILi25E19rocblas_complex_numIdEiiPS3_EEvT1_T3_lS5_lPT2_S5_S5_.num_vgpr, 256
	.set _ZN9rocsolver6v33100L23getf2_npvt_small_kernelILi25E19rocblas_complex_numIdEiiPS3_EEvT1_T3_lS5_lPT2_S5_S5_.num_agpr, 0
	.set _ZN9rocsolver6v33100L23getf2_npvt_small_kernelILi25E19rocblas_complex_numIdEiiPS3_EEvT1_T3_lS5_lPT2_S5_S5_.numbered_sgpr, 16
	.set _ZN9rocsolver6v33100L23getf2_npvt_small_kernelILi25E19rocblas_complex_numIdEiiPS3_EEvT1_T3_lS5_lPT2_S5_S5_.num_named_barrier, 0
	.set _ZN9rocsolver6v33100L23getf2_npvt_small_kernelILi25E19rocblas_complex_numIdEiiPS3_EEvT1_T3_lS5_lPT2_S5_S5_.private_seg_size, 44
	.set _ZN9rocsolver6v33100L23getf2_npvt_small_kernelILi25E19rocblas_complex_numIdEiiPS3_EEvT1_T3_lS5_lPT2_S5_S5_.uses_vcc, 1
	.set _ZN9rocsolver6v33100L23getf2_npvt_small_kernelILi25E19rocblas_complex_numIdEiiPS3_EEvT1_T3_lS5_lPT2_S5_S5_.uses_flat_scratch, 0
	.set _ZN9rocsolver6v33100L23getf2_npvt_small_kernelILi25E19rocblas_complex_numIdEiiPS3_EEvT1_T3_lS5_lPT2_S5_S5_.has_dyn_sized_stack, 0
	.set _ZN9rocsolver6v33100L23getf2_npvt_small_kernelILi25E19rocblas_complex_numIdEiiPS3_EEvT1_T3_lS5_lPT2_S5_S5_.has_recursion, 0
	.set _ZN9rocsolver6v33100L23getf2_npvt_small_kernelILi25E19rocblas_complex_numIdEiiPS3_EEvT1_T3_lS5_lPT2_S5_S5_.has_indirect_call, 0
	.section	.AMDGPU.csdata,"",@progbits
; Kernel info:
; codeLenInByte = 38812
; TotalNumSgprs: 22
; NumVgprs: 256
; NumAgprs: 0
; TotalNumVgprs: 256
; ScratchSize: 44
; MemoryBound: 1
; FloatMode: 240
; IeeeMode: 1
; LDSByteSize: 0 bytes/workgroup (compile time only)
; SGPRBlocks: 2
; VGPRBlocks: 31
; NumSGPRsForWavesPerEU: 22
; NumVGPRsForWavesPerEU: 256
; AccumOffset: 256
; Occupancy: 2
; WaveLimiterHint : 0
; COMPUTE_PGM_RSRC2:SCRATCH_EN: 1
; COMPUTE_PGM_RSRC2:USER_SGPR: 2
; COMPUTE_PGM_RSRC2:TRAP_HANDLER: 0
; COMPUTE_PGM_RSRC2:TGID_X_EN: 1
; COMPUTE_PGM_RSRC2:TGID_Y_EN: 1
; COMPUTE_PGM_RSRC2:TGID_Z_EN: 0
; COMPUTE_PGM_RSRC2:TIDIG_COMP_CNT: 1
; COMPUTE_PGM_RSRC3_GFX90A:ACCUM_OFFSET: 63
; COMPUTE_PGM_RSRC3_GFX90A:TG_SPLIT: 0
	.section	.text._ZN9rocsolver6v33100L18getf2_small_kernelILi26E19rocblas_complex_numIdEiiPS3_EEvT1_T3_lS5_lPS5_llPT2_S5_S5_S7_l,"axG",@progbits,_ZN9rocsolver6v33100L18getf2_small_kernelILi26E19rocblas_complex_numIdEiiPS3_EEvT1_T3_lS5_lPS5_llPT2_S5_S5_S7_l,comdat
	.globl	_ZN9rocsolver6v33100L18getf2_small_kernelILi26E19rocblas_complex_numIdEiiPS3_EEvT1_T3_lS5_lPS5_llPT2_S5_S5_S7_l ; -- Begin function _ZN9rocsolver6v33100L18getf2_small_kernelILi26E19rocblas_complex_numIdEiiPS3_EEvT1_T3_lS5_lPS5_llPT2_S5_S5_S7_l
	.p2align	8
	.type	_ZN9rocsolver6v33100L18getf2_small_kernelILi26E19rocblas_complex_numIdEiiPS3_EEvT1_T3_lS5_lPS5_llPT2_S5_S5_S7_l,@function
_ZN9rocsolver6v33100L18getf2_small_kernelILi26E19rocblas_complex_numIdEiiPS3_EEvT1_T3_lS5_lPS5_llPT2_S5_S5_S7_l: ; @_ZN9rocsolver6v33100L18getf2_small_kernelILi26E19rocblas_complex_numIdEiiPS3_EEvT1_T3_lS5_lPS5_llPT2_S5_S5_S7_l
; %bb.0:
	s_load_dword s2, s[0:1], 0x6c
	s_load_dwordx2 s[12:13], s[0:1], 0x48
	v_bfe_u32 v104, v0, 10, 10
	s_waitcnt lgkmcnt(0)
	s_lshr_b32 s2, s2, 16
	s_mul_i32 s3, s3, s2
	v_add_u32_e32 v110, s3, v104
	v_cmp_gt_i32_e32 vcc, s12, v110
	s_and_saveexec_b64 s[2:3], vcc
	s_cbranch_execz .LBB50_547
; %bb.1:
	s_load_dwordx4 s[4:7], s[0:1], 0x50
	v_ashrrev_i32_e32 v111, 31, v110
	v_mov_b64_e32 v[112:113], 0
	s_waitcnt lgkmcnt(0)
	s_cmp_eq_u64 s[4:5], 0
	s_cselect_b64 s[14:15], -1, 0
	s_and_b64 vcc, exec, s[14:15]
	s_cbranch_vccnz .LBB50_3
; %bb.2:
	v_mul_lo_u32 v1, s7, v110
	v_mul_lo_u32 v4, s6, v111
	v_mad_u64_u32 v[2:3], s[2:3], s6, v110, 0
	v_add3_u32 v3, v3, v4, v1
	v_lshl_add_u64 v[112:113], v[2:3], 2, s[4:5]
.LBB50_3:
	s_load_dwordx4 s[16:19], s[0:1], 0x8
	s_load_dwordx8 s[4:11], s[0:1], 0x20
	s_load_dword s2, s[0:1], 0x18
	s_load_dword s20, s[0:1], 0x0
	v_and_b32_e32 v118, 0x3ff, v0
	s_waitcnt lgkmcnt(0)
	v_mov_b32_e32 v2, s16
	v_mul_lo_u32 v1, s5, v110
	v_mul_lo_u32 v6, s4, v111
	v_mad_u64_u32 v[4:5], s[4:5], s4, v110, 0
	v_mov_b32_e32 v3, s17
	v_add3_u32 v5, v5, v6, v1
	v_lshl_add_u64 v[2:3], v[4:5], 4, v[2:3]
	s_add_i32 s12, s2, s2
	v_lshl_add_u64 v[108:109], s[18:19], 4, v[2:3]
	v_add_u32_e32 v2, s12, v118
	v_add_u32_e32 v4, s2, v2
	;; [unrolled: 1-line block ×3, first 2 shown]
	v_lshlrev_b32_e32 v114, 4, v118
	v_mov_b32_e32 v115, 0
	v_add_u32_e32 v8, s2, v6
	v_lshl_add_u64 v[0:1], v[108:109], 0, v[114:115]
	s_ashr_i32 s3, s2, 31
	v_ashrrev_i32_e32 v9, 31, v8
	v_add_u32_e32 v12, s2, v8
	v_lshl_add_u64 v[10:11], s[2:3], 4, v[0:1]
	global_load_dwordx4 v[72:75], v[0:1], off
	global_load_dwordx4 v[68:71], v[10:11], off
	v_lshl_add_u64 v[0:1], v[8:9], 4, v[108:109]
	v_ashrrev_i32_e32 v13, 31, v12
	v_add_u32_e32 v8, s2, v12
	v_lshl_add_u64 v[10:11], v[12:13], 4, v[108:109]
	v_add_u32_e32 v12, s2, v8
	v_add_u32_e32 v14, s2, v12
	;; [unrolled: 1-line block ×9, first 2 shown]
	v_ashrrev_i32_e32 v29, 31, v28
	v_add_u32_e32 v30, s2, v28
	v_lshl_add_u64 v[32:33], v[28:29], 4, v[108:109]
	v_ashrrev_i32_e32 v31, 31, v30
	v_add_u32_e32 v28, s2, v30
	v_lshl_add_u64 v[100:101], v[30:31], 4, v[108:109]
	v_ashrrev_i32_e32 v29, 31, v28
	v_add_u32_e32 v30, s2, v28
	v_lshl_add_u64 v[102:103], v[28:29], 4, v[108:109]
	v_ashrrev_i32_e32 v31, 31, v30
	v_add_u32_e32 v28, s2, v30
	v_lshl_add_u64 v[106:107], v[30:31], 4, v[108:109]
	v_ashrrev_i32_e32 v29, 31, v28
	v_add_u32_e32 v30, s2, v28
	v_lshl_add_u64 v[116:117], v[28:29], 4, v[108:109]
	v_add_u32_e32 v28, s2, v30
	v_ashrrev_i32_e32 v29, 31, v28
	v_lshl_add_u64 v[122:123], v[28:29], 4, v[108:109]
	v_add_u32_e32 v28, s2, v28
	v_ashrrev_i32_e32 v29, 31, v28
	v_lshl_add_u64 v[124:125], v[28:29], 4, v[108:109]
	v_add_u32_e32 v28, s2, v28
	v_ashrrev_i32_e32 v29, 31, v28
	v_ashrrev_i32_e32 v3, 31, v2
	v_ashrrev_i32_e32 v5, 31, v4
	v_ashrrev_i32_e32 v7, 31, v6
	v_ashrrev_i32_e32 v9, 31, v8
	v_ashrrev_i32_e32 v13, 31, v12
	v_ashrrev_i32_e32 v15, 31, v14
	v_ashrrev_i32_e32 v17, 31, v16
	v_ashrrev_i32_e32 v19, 31, v18
	v_ashrrev_i32_e32 v21, 31, v20
	v_ashrrev_i32_e32 v23, 31, v22
	v_ashrrev_i32_e32 v25, 31, v24
	v_ashrrev_i32_e32 v27, 31, v26
	v_lshl_add_u64 v[126:127], v[28:29], 4, v[108:109]
	v_add_u32_e32 v28, s2, v28
	v_lshl_add_u64 v[2:3], v[2:3], 4, v[108:109]
	v_lshl_add_u64 v[4:5], v[4:5], 4, v[108:109]
	;; [unrolled: 1-line block ×12, first 2 shown]
	v_ashrrev_i32_e32 v31, 31, v30
	v_ashrrev_i32_e32 v29, 31, v28
	v_lshl_add_u64 v[120:121], v[30:31], 4, v[108:109]
	v_lshl_add_u64 v[128:129], v[28:29], 4, v[108:109]
	global_load_dwordx4 v[96:99], v[2:3], off
	global_load_dwordx4 v[92:95], v[4:5], off
	;; [unrolled: 1-line block ×15, first 2 shown]
                                        ; kill: killed $vgpr12_vgpr13
                                        ; kill: killed $vgpr14_vgpr15
                                        ; kill: killed $vgpr16_vgpr17
                                        ; kill: killed $vgpr18_vgpr19
                                        ; kill: killed $vgpr2_vgpr3
                                        ; kill: killed $vgpr20_vgpr21
                                        ; kill: killed $vgpr4_vgpr5
                                        ; kill: killed $vgpr22_vgpr23
                                        ; kill: killed $vgpr6_vgpr7
                                        ; kill: killed $vgpr24_vgpr25
                                        ; kill: killed $vgpr0_vgpr1
                                        ; kill: killed $vgpr26_vgpr27
                                        ; kill: killed $vgpr10_vgpr11
                                        ; kill: killed $vgpr32_vgpr33
                                        ; kill: killed $vgpr8_vgpr9
	s_nop 0
	global_load_dwordx4 v[32:35], v[100:101], off
	global_load_dwordx4 v[24:27], v[102:103], off
	;; [unrolled: 1-line block ×8, first 2 shown]
                                        ; kill: killed $vgpr100_vgpr101
                                        ; kill: killed $vgpr102_vgpr103
                                        ; kill: killed $vgpr106_vgpr107
                                        ; kill: killed $vgpr116_vgpr117
                                        ; kill: killed $vgpr120_vgpr121
                                        ; kill: killed $vgpr122_vgpr123
                                        ; kill: killed $vgpr124_vgpr125
                                        ; kill: killed $vgpr126_vgpr127
	global_load_dwordx4 v[100:103], v[128:129], off
	s_load_dwordx2 s[4:5], s[0:1], 0x40
	s_max_i32 s0, s20, 26
	v_mul_lo_u32 v117, s0, v104
	v_lshl_add_u32 v116, v117, 4, 0
	v_add_u32_e32 v104, v116, v114
	s_cmp_lt_i32 s20, 2
	v_lshlrev_b32_e32 v120, 4, v117
	s_waitcnt vmcnt(25)
	ds_write2_b64 v104, v[72:73], v[74:75] offset1:1
	s_waitcnt lgkmcnt(0)
	s_barrier
	ds_read2_b64 v[104:107], v116 offset1:1
	s_cbranch_scc1 .LBB50_6
; %bb.4:
	v_add3_u32 v114, v120, 0, 16
	s_mov_b32 s16, 1
	v_mov_b32_e32 v115, 0
.LBB50_5:                               ; =>This Inner Loop Header: Depth=1
	ds_read2_b64 v[122:125], v114 offset1:1
	s_waitcnt lgkmcnt(1)
	v_xor_b32_e32 v117, 0x80000000, v105
	v_xor_b32_e32 v119, 0x80000000, v107
	v_cmp_gt_f64_e32 vcc, 0, v[106:107]
	v_cmp_gt_f64_e64 s[0:1], 0, v[104:105]
	v_mov_b32_e32 v126, v104
	v_mov_b32_e32 v128, v106
	v_cndmask_b32_e64 v127, v105, v117, s[0:1]
	v_cndmask_b32_e32 v129, v107, v119, vcc
	s_waitcnt lgkmcnt(0)
	v_xor_b32_e32 v117, 0x80000000, v123
	v_xor_b32_e32 v119, 0x80000000, v125
	v_cmp_gt_f64_e32 vcc, 0, v[124:125]
	v_cmp_gt_f64_e64 s[0:1], 0, v[122:123]
	v_add_f64 v[126:127], v[126:127], v[128:129]
	v_mov_b32_e32 v128, v122
	v_mov_b32_e32 v130, v124
	v_cndmask_b32_e64 v129, v123, v117, s[0:1]
	v_cndmask_b32_e32 v131, v125, v119, vcc
	v_add_f64 v[128:129], v[128:129], v[130:131]
	v_mov_b32_e32 v121, s16
	s_add_i32 s16, s16, 1
	v_cmp_lt_f64_e32 vcc, v[126:127], v[128:129]
	v_add_u32_e32 v114, 16, v114
	s_cmp_eq_u32 s20, s16
	v_cndmask_b32_e32 v105, v105, v123, vcc
	v_cndmask_b32_e32 v104, v104, v122, vcc
	;; [unrolled: 1-line block ×5, first 2 shown]
	s_cbranch_scc0 .LBB50_5
.LBB50_6:
	s_waitcnt lgkmcnt(0)
	v_cmp_neq_f64_e32 vcc, 0, v[104:105]
	v_cmp_neq_f64_e64 s[0:1], 0, v[106:107]
	s_or_b64 s[16:17], vcc, s[0:1]
	v_mov_b32_e32 v119, 1
	v_mov_b32_e32 v121, 1
	s_and_saveexec_b64 s[0:1], s[16:17]
	s_cbranch_execz .LBB50_12
; %bb.7:
	v_cmp_ngt_f64_e64 s[16:17], |v[104:105]|, |v[106:107]|
	s_and_saveexec_b64 s[18:19], s[16:17]
	s_xor_b64 s[16:17], exec, s[18:19]
	s_cbranch_execz .LBB50_9
; %bb.8:
	v_div_scale_f64 v[122:123], s[18:19], v[106:107], v[106:107], v[104:105]
	v_rcp_f64_e32 v[124:125], v[122:123]
	v_div_scale_f64 v[126:127], vcc, v[104:105], v[106:107], v[104:105]
	v_fma_f64 v[128:129], -v[122:123], v[124:125], 1.0
	v_fmac_f64_e32 v[124:125], v[124:125], v[128:129]
	v_fma_f64 v[128:129], -v[122:123], v[124:125], 1.0
	v_fmac_f64_e32 v[124:125], v[124:125], v[128:129]
	v_mul_f64 v[128:129], v[126:127], v[124:125]
	v_fma_f64 v[122:123], -v[122:123], v[128:129], v[126:127]
	v_div_fmas_f64 v[122:123], v[122:123], v[124:125], v[128:129]
	v_div_fixup_f64 v[122:123], v[122:123], v[106:107], v[104:105]
	v_fmac_f64_e32 v[106:107], v[104:105], v[122:123]
	v_div_scale_f64 v[104:105], s[18:19], v[106:107], v[106:107], 1.0
	v_rcp_f64_e32 v[124:125], v[104:105]
	s_nop 0
	v_fma_f64 v[126:127], -v[104:105], v[124:125], 1.0
	v_fmac_f64_e32 v[124:125], v[124:125], v[126:127]
	v_fma_f64 v[126:127], -v[104:105], v[124:125], 1.0
	v_fmac_f64_e32 v[124:125], v[124:125], v[126:127]
	v_div_scale_f64 v[126:127], vcc, 1.0, v[106:107], 1.0
	v_mul_f64 v[128:129], v[126:127], v[124:125]
	v_fma_f64 v[104:105], -v[104:105], v[128:129], v[126:127]
	s_nop 1
	v_div_fmas_f64 v[104:105], v[104:105], v[124:125], v[128:129]
	v_div_fixup_f64 v[106:107], v[104:105], v[106:107], 1.0
	v_mul_f64 v[104:105], v[122:123], v[106:107]
	v_xor_b32_e32 v107, 0x80000000, v107
.LBB50_9:
	s_andn2_saveexec_b64 s[16:17], s[16:17]
	s_cbranch_execz .LBB50_11
; %bb.10:
	v_div_scale_f64 v[122:123], s[18:19], v[104:105], v[104:105], v[106:107]
	v_rcp_f64_e32 v[124:125], v[122:123]
	v_div_scale_f64 v[126:127], vcc, v[106:107], v[104:105], v[106:107]
	v_fma_f64 v[128:129], -v[122:123], v[124:125], 1.0
	v_fmac_f64_e32 v[124:125], v[124:125], v[128:129]
	v_fma_f64 v[128:129], -v[122:123], v[124:125], 1.0
	v_fmac_f64_e32 v[124:125], v[124:125], v[128:129]
	v_mul_f64 v[128:129], v[126:127], v[124:125]
	v_fma_f64 v[122:123], -v[122:123], v[128:129], v[126:127]
	v_div_fmas_f64 v[122:123], v[122:123], v[124:125], v[128:129]
	v_div_fixup_f64 v[122:123], v[122:123], v[104:105], v[106:107]
	v_fmac_f64_e32 v[104:105], v[106:107], v[122:123]
	v_div_scale_f64 v[106:107], s[18:19], v[104:105], v[104:105], 1.0
	v_rcp_f64_e32 v[124:125], v[106:107]
	s_nop 0
	v_fma_f64 v[126:127], -v[106:107], v[124:125], 1.0
	v_fmac_f64_e32 v[124:125], v[124:125], v[126:127]
	v_fma_f64 v[126:127], -v[106:107], v[124:125], 1.0
	v_fmac_f64_e32 v[124:125], v[124:125], v[126:127]
	v_div_scale_f64 v[126:127], vcc, 1.0, v[104:105], 1.0
	v_mul_f64 v[128:129], v[126:127], v[124:125]
	v_fma_f64 v[106:107], -v[106:107], v[128:129], v[126:127]
	s_nop 1
	v_div_fmas_f64 v[106:107], v[106:107], v[124:125], v[128:129]
	v_div_fixup_f64 v[104:105], v[106:107], v[104:105], 1.0
	v_mul_f64 v[106:107], v[122:123], -v[104:105]
.LBB50_11:
	s_or_b64 exec, exec, s[16:17]
	v_mov_b32_e32 v121, 0
	v_mov_b32_e32 v119, 2
.LBB50_12:
	s_or_b64 exec, exec, s[0:1]
	v_cmp_ne_u32_e32 vcc, v118, v115
	s_and_saveexec_b64 s[0:1], vcc
	s_xor_b64 s[0:1], exec, s[0:1]
	s_cbranch_execz .LBB50_18
; %bb.13:
	v_cmp_eq_u32_e32 vcc, 0, v118
	s_and_saveexec_b64 s[16:17], vcc
	s_cbranch_execz .LBB50_17
; %bb.14:
	v_cmp_ne_u32_e32 vcc, 0, v115
	s_xor_b64 s[18:19], s[14:15], -1
	s_and_b64 s[22:23], s[18:19], vcc
	s_and_saveexec_b64 s[18:19], s[22:23]
	s_cbranch_execz .LBB50_16
; %bb.15:
	v_ashrrev_i32_e32 v123, 31, v115
	v_mov_b32_e32 v122, v115
	v_lshl_add_u64 v[122:123], v[122:123], 2, v[112:113]
	global_load_dword v114, v[122:123], off
	global_load_dword v117, v[112:113], off
	s_waitcnt vmcnt(1)
	global_store_dword v[112:113], v114, off
	s_waitcnt vmcnt(1)
	global_store_dword v[122:123], v117, off
.LBB50_16:
	s_or_b64 exec, exec, s[18:19]
	v_mov_b32_e32 v118, v115
.LBB50_17:
	s_or_b64 exec, exec, s[16:17]
.LBB50_18:
	s_or_saveexec_b64 s[0:1], s[0:1]
	v_mov_b32_e32 v117, v118
	s_xor_b64 exec, exec, s[0:1]
	s_cbranch_execz .LBB50_20
; %bb.19:
	v_mov_b32_e32 v117, 0
	s_waitcnt vmcnt(24)
	ds_write2_b64 v116, v[68:69], v[70:71] offset0:2 offset1:3
	s_waitcnt vmcnt(23)
	ds_write2_b64 v116, v[96:97], v[98:99] offset0:4 offset1:5
	;; [unrolled: 2-line block ×25, first 2 shown]
.LBB50_20:
	s_or_b64 exec, exec, s[0:1]
	v_cmp_lt_i32_e32 vcc, 0, v117
	s_waitcnt lgkmcnt(0)
	s_barrier
	s_and_saveexec_b64 s[0:1], vcc
	s_cbranch_execz .LBB50_22
; %bb.21:
	ds_read2_b64 v[122:125], v116 offset0:2 offset1:3
	v_mul_f64 v[114:115], v[106:107], v[74:75]
	v_mul_f64 v[74:75], v[104:105], v[74:75]
	v_fmac_f64_e32 v[74:75], v[106:107], v[72:73]
	v_fma_f64 v[114:115], v[104:105], v[72:73], -v[114:115]
	ds_read2_b64 v[104:107], v116 offset0:4 offset1:5
	s_waitcnt lgkmcnt(1)
	v_mul_f64 v[72:73], v[124:125], v[74:75]
	v_fma_f64 v[72:73], v[122:123], v[114:115], -v[72:73]
	v_mul_f64 v[122:123], v[122:123], v[74:75]
	v_fmac_f64_e32 v[122:123], v[124:125], v[114:115]
	s_waitcnt vmcnt(24)
	v_add_f64 v[70:71], v[70:71], -v[122:123]
	ds_read2_b64 v[122:125], v116 offset0:6 offset1:7
	v_add_f64 v[68:69], v[68:69], -v[72:73]
	s_waitcnt lgkmcnt(1)
	v_mul_f64 v[72:73], v[106:107], v[74:75]
	v_fma_f64 v[72:73], v[104:105], v[114:115], -v[72:73]
	v_mul_f64 v[104:105], v[104:105], v[74:75]
	v_fmac_f64_e32 v[104:105], v[106:107], v[114:115]
	s_waitcnt vmcnt(23)
	v_add_f64 v[96:97], v[96:97], -v[72:73]
	v_add_f64 v[98:99], v[98:99], -v[104:105]
	ds_read2_b64 v[104:107], v116 offset0:8 offset1:9
	s_waitcnt lgkmcnt(1)
	v_mul_f64 v[72:73], v[124:125], v[74:75]
	v_fma_f64 v[72:73], v[122:123], v[114:115], -v[72:73]
	v_mul_f64 v[122:123], v[122:123], v[74:75]
	v_fmac_f64_e32 v[122:123], v[124:125], v[114:115]
	s_waitcnt vmcnt(22)
	v_add_f64 v[94:95], v[94:95], -v[122:123]
	ds_read2_b64 v[122:125], v116 offset0:10 offset1:11
	v_add_f64 v[92:93], v[92:93], -v[72:73]
	s_waitcnt lgkmcnt(1)
	v_mul_f64 v[72:73], v[106:107], v[74:75]
	v_fma_f64 v[72:73], v[104:105], v[114:115], -v[72:73]
	v_mul_f64 v[104:105], v[104:105], v[74:75]
	v_fmac_f64_e32 v[104:105], v[106:107], v[114:115]
	s_waitcnt vmcnt(21)
	v_add_f64 v[88:89], v[88:89], -v[72:73]
	v_add_f64 v[90:91], v[90:91], -v[104:105]
	;; [unrolled: 18-line block ×12, first 2 shown]
	s_waitcnt lgkmcnt(0)
	v_mul_f64 v[72:73], v[124:125], v[74:75]
	v_mul_f64 v[104:105], v[122:123], v[74:75]
	v_fma_f64 v[72:73], v[122:123], v[114:115], -v[72:73]
	v_fmac_f64_e32 v[104:105], v[124:125], v[114:115]
	s_waitcnt vmcnt(0)
	v_add_f64 v[100:101], v[100:101], -v[72:73]
	v_add_f64 v[102:103], v[102:103], -v[104:105]
	v_mov_b64_e32 v[72:73], v[114:115]
.LBB50_22:
	s_or_b64 exec, exec, s[0:1]
	v_lshl_add_u32 v104, v117, 4, v116
	s_barrier
	s_waitcnt vmcnt(24)
	ds_write2_b64 v104, v[68:69], v[70:71] offset1:1
	s_waitcnt lgkmcnt(0)
	s_barrier
	ds_read2_b64 v[104:107], v116 offset0:2 offset1:3
	s_cmp_lt_i32 s20, 3
	v_mov_b32_e32 v114, 1
	s_cbranch_scc1 .LBB50_25
; %bb.23:
	v_add3_u32 v115, v120, 0, 32
	s_mov_b32 s16, 2
	v_mov_b32_e32 v114, 1
.LBB50_24:                              ; =>This Inner Loop Header: Depth=1
	ds_read2_b64 v[122:125], v115 offset1:1
	s_waitcnt lgkmcnt(1)
	v_xor_b32_e32 v127, 0x80000000, v105
	v_xor_b32_e32 v129, 0x80000000, v107
	v_cmp_gt_f64_e32 vcc, 0, v[106:107]
	v_cmp_gt_f64_e64 s[0:1], 0, v[104:105]
	v_mov_b32_e32 v126, v104
	v_mov_b32_e32 v128, v106
	v_cndmask_b32_e64 v127, v105, v127, s[0:1]
	v_cndmask_b32_e32 v129, v107, v129, vcc
	v_add_f64 v[126:127], v[126:127], v[128:129]
	s_waitcnt lgkmcnt(0)
	v_xor_b32_e32 v129, 0x80000000, v123
	v_xor_b32_e32 v131, 0x80000000, v125
	v_cmp_gt_f64_e32 vcc, 0, v[124:125]
	v_cmp_gt_f64_e64 s[0:1], 0, v[122:123]
	v_mov_b32_e32 v128, v122
	v_mov_b32_e32 v130, v124
	v_cndmask_b32_e64 v129, v123, v129, s[0:1]
	v_cndmask_b32_e32 v131, v125, v131, vcc
	v_add_f64 v[128:129], v[128:129], v[130:131]
	v_mov_b32_e32 v132, s16
	s_add_i32 s16, s16, 1
	v_cmp_lt_f64_e32 vcc, v[126:127], v[128:129]
	v_add_u32_e32 v115, 16, v115
	s_cmp_lg_u32 s20, s16
	v_cndmask_b32_e32 v105, v105, v123, vcc
	v_cndmask_b32_e32 v104, v104, v122, vcc
	v_cndmask_b32_e32 v107, v107, v125, vcc
	v_cndmask_b32_e32 v106, v106, v124, vcc
	v_cndmask_b32_e32 v114, v114, v132, vcc
	s_cbranch_scc1 .LBB50_24
.LBB50_25:
	s_waitcnt lgkmcnt(0)
	v_cmp_neq_f64_e32 vcc, 0, v[104:105]
	v_cmp_neq_f64_e64 s[0:1], 0, v[106:107]
	s_or_b64 s[16:17], vcc, s[0:1]
	s_and_saveexec_b64 s[0:1], s[16:17]
	s_cbranch_execz .LBB50_31
; %bb.26:
	v_cmp_ngt_f64_e64 s[16:17], |v[104:105]|, |v[106:107]|
	s_and_saveexec_b64 s[18:19], s[16:17]
	s_xor_b64 s[16:17], exec, s[18:19]
	s_cbranch_execz .LBB50_28
; %bb.27:
	v_div_scale_f64 v[122:123], s[18:19], v[106:107], v[106:107], v[104:105]
	v_rcp_f64_e32 v[124:125], v[122:123]
	v_div_scale_f64 v[126:127], vcc, v[104:105], v[106:107], v[104:105]
	v_fma_f64 v[128:129], -v[122:123], v[124:125], 1.0
	v_fmac_f64_e32 v[124:125], v[124:125], v[128:129]
	v_fma_f64 v[128:129], -v[122:123], v[124:125], 1.0
	v_fmac_f64_e32 v[124:125], v[124:125], v[128:129]
	v_mul_f64 v[128:129], v[126:127], v[124:125]
	v_fma_f64 v[122:123], -v[122:123], v[128:129], v[126:127]
	v_div_fmas_f64 v[122:123], v[122:123], v[124:125], v[128:129]
	v_div_fixup_f64 v[122:123], v[122:123], v[106:107], v[104:105]
	v_fmac_f64_e32 v[106:107], v[104:105], v[122:123]
	v_div_scale_f64 v[104:105], s[18:19], v[106:107], v[106:107], 1.0
	v_rcp_f64_e32 v[124:125], v[104:105]
	s_nop 0
	v_fma_f64 v[126:127], -v[104:105], v[124:125], 1.0
	v_fmac_f64_e32 v[124:125], v[124:125], v[126:127]
	v_fma_f64 v[126:127], -v[104:105], v[124:125], 1.0
	v_fmac_f64_e32 v[124:125], v[124:125], v[126:127]
	v_div_scale_f64 v[126:127], vcc, 1.0, v[106:107], 1.0
	v_mul_f64 v[128:129], v[126:127], v[124:125]
	v_fma_f64 v[104:105], -v[104:105], v[128:129], v[126:127]
	s_nop 1
	v_div_fmas_f64 v[104:105], v[104:105], v[124:125], v[128:129]
	v_div_fixup_f64 v[106:107], v[104:105], v[106:107], 1.0
	v_mul_f64 v[104:105], v[122:123], v[106:107]
	v_xor_b32_e32 v107, 0x80000000, v107
.LBB50_28:
	s_andn2_saveexec_b64 s[16:17], s[16:17]
	s_cbranch_execz .LBB50_30
; %bb.29:
	v_div_scale_f64 v[122:123], s[18:19], v[104:105], v[104:105], v[106:107]
	v_rcp_f64_e32 v[124:125], v[122:123]
	v_div_scale_f64 v[126:127], vcc, v[106:107], v[104:105], v[106:107]
	v_fma_f64 v[128:129], -v[122:123], v[124:125], 1.0
	v_fmac_f64_e32 v[124:125], v[124:125], v[128:129]
	v_fma_f64 v[128:129], -v[122:123], v[124:125], 1.0
	v_fmac_f64_e32 v[124:125], v[124:125], v[128:129]
	v_mul_f64 v[128:129], v[126:127], v[124:125]
	v_fma_f64 v[122:123], -v[122:123], v[128:129], v[126:127]
	v_div_fmas_f64 v[122:123], v[122:123], v[124:125], v[128:129]
	v_div_fixup_f64 v[122:123], v[122:123], v[104:105], v[106:107]
	v_fmac_f64_e32 v[104:105], v[106:107], v[122:123]
	v_div_scale_f64 v[106:107], s[18:19], v[104:105], v[104:105], 1.0
	v_rcp_f64_e32 v[124:125], v[106:107]
	s_nop 0
	v_fma_f64 v[126:127], -v[106:107], v[124:125], 1.0
	v_fmac_f64_e32 v[124:125], v[124:125], v[126:127]
	v_fma_f64 v[126:127], -v[106:107], v[124:125], 1.0
	v_fmac_f64_e32 v[124:125], v[124:125], v[126:127]
	v_div_scale_f64 v[126:127], vcc, 1.0, v[104:105], 1.0
	v_mul_f64 v[128:129], v[126:127], v[124:125]
	v_fma_f64 v[106:107], -v[106:107], v[128:129], v[126:127]
	s_nop 1
	v_div_fmas_f64 v[106:107], v[106:107], v[124:125], v[128:129]
	v_div_fixup_f64 v[104:105], v[106:107], v[104:105], 1.0
	v_mul_f64 v[106:107], v[122:123], -v[104:105]
.LBB50_30:
	s_or_b64 exec, exec, s[16:17]
	v_mov_b32_e32 v119, v121
.LBB50_31:
	s_or_b64 exec, exec, s[0:1]
	v_cmp_ne_u32_e32 vcc, v117, v114
	s_and_saveexec_b64 s[0:1], vcc
	s_xor_b64 s[0:1], exec, s[0:1]
	s_cbranch_execz .LBB50_37
; %bb.32:
	v_cmp_eq_u32_e32 vcc, 1, v117
	s_and_saveexec_b64 s[16:17], vcc
	s_cbranch_execz .LBB50_36
; %bb.33:
	v_cmp_ne_u32_e32 vcc, 1, v114
	s_xor_b64 s[18:19], s[14:15], -1
	s_and_b64 s[22:23], s[18:19], vcc
	s_and_saveexec_b64 s[18:19], s[22:23]
	s_cbranch_execz .LBB50_35
; %bb.34:
	v_ashrrev_i32_e32 v115, 31, v114
	v_lshl_add_u64 v[122:123], v[114:115], 2, v[112:113]
	global_load_dword v115, v[122:123], off
	global_load_dword v117, v[112:113], off offset:4
	s_waitcnt vmcnt(1)
	global_store_dword v[112:113], v115, off offset:4
	s_waitcnt vmcnt(1)
	global_store_dword v[122:123], v117, off
.LBB50_35:
	s_or_b64 exec, exec, s[18:19]
	v_mov_b32_e32 v117, v114
	v_mov_b32_e32 v118, v114
.LBB50_36:
	s_or_b64 exec, exec, s[16:17]
.LBB50_37:
	s_andn2_saveexec_b64 s[0:1], s[0:1]
	s_cbranch_execz .LBB50_39
; %bb.38:
	v_mov_b32_e32 v117, 1
	s_waitcnt vmcnt(23)
	ds_write2_b64 v116, v[96:97], v[98:99] offset0:4 offset1:5
	s_waitcnt vmcnt(22)
	ds_write2_b64 v116, v[92:93], v[94:95] offset0:6 offset1:7
	;; [unrolled: 2-line block ×24, first 2 shown]
.LBB50_39:
	s_or_b64 exec, exec, s[0:1]
	v_cmp_lt_i32_e32 vcc, 1, v117
	s_waitcnt lgkmcnt(0)
	s_barrier
	s_and_saveexec_b64 s[0:1], vcc
	s_cbranch_execz .LBB50_41
; %bb.40:
	ds_read2_b64 v[122:125], v116 offset0:4 offset1:5
	v_mul_f64 v[114:115], v[106:107], v[70:71]
	v_mul_f64 v[70:71], v[104:105], v[70:71]
	v_fma_f64 v[114:115], v[104:105], v[68:69], -v[114:115]
	v_fmac_f64_e32 v[70:71], v[106:107], v[68:69]
	ds_read2_b64 v[104:107], v116 offset0:6 offset1:7
	s_waitcnt lgkmcnt(1)
	v_mul_f64 v[68:69], v[124:125], v[70:71]
	v_fma_f64 v[68:69], v[122:123], v[114:115], -v[68:69]
	v_mul_f64 v[122:123], v[122:123], v[70:71]
	v_fmac_f64_e32 v[122:123], v[124:125], v[114:115]
	s_waitcnt vmcnt(23)
	v_add_f64 v[96:97], v[96:97], -v[68:69]
	s_waitcnt lgkmcnt(0)
	v_mul_f64 v[68:69], v[106:107], v[70:71]
	v_add_f64 v[98:99], v[98:99], -v[122:123]
	v_fma_f64 v[68:69], v[104:105], v[114:115], -v[68:69]
	v_mul_f64 v[104:105], v[104:105], v[70:71]
	ds_read2_b64 v[122:125], v116 offset0:8 offset1:9
	v_fmac_f64_e32 v[104:105], v[106:107], v[114:115]
	s_waitcnt vmcnt(22)
	v_add_f64 v[94:95], v[94:95], -v[104:105]
	ds_read2_b64 v[104:107], v116 offset0:10 offset1:11
	v_add_f64 v[92:93], v[92:93], -v[68:69]
	s_waitcnt lgkmcnt(1)
	v_mul_f64 v[68:69], v[124:125], v[70:71]
	v_fma_f64 v[68:69], v[122:123], v[114:115], -v[68:69]
	v_mul_f64 v[122:123], v[122:123], v[70:71]
	v_fmac_f64_e32 v[122:123], v[124:125], v[114:115]
	s_waitcnt vmcnt(21)
	v_add_f64 v[88:89], v[88:89], -v[68:69]
	s_waitcnt lgkmcnt(0)
	v_mul_f64 v[68:69], v[106:107], v[70:71]
	v_add_f64 v[90:91], v[90:91], -v[122:123]
	v_fma_f64 v[68:69], v[104:105], v[114:115], -v[68:69]
	v_mul_f64 v[104:105], v[104:105], v[70:71]
	ds_read2_b64 v[122:125], v116 offset0:12 offset1:13
	v_fmac_f64_e32 v[104:105], v[106:107], v[114:115]
	s_waitcnt vmcnt(20)
	v_add_f64 v[86:87], v[86:87], -v[104:105]
	ds_read2_b64 v[104:107], v116 offset0:14 offset1:15
	v_add_f64 v[84:85], v[84:85], -v[68:69]
	;; [unrolled: 18-line block ×11, first 2 shown]
	s_waitcnt lgkmcnt(1)
	v_mul_f64 v[68:69], v[124:125], v[70:71]
	v_fma_f64 v[68:69], v[122:123], v[114:115], -v[68:69]
	s_waitcnt vmcnt(1)
	v_add_f64 v[0:1], v[0:1], -v[68:69]
	s_waitcnt lgkmcnt(0)
	v_mul_f64 v[68:69], v[106:107], v[70:71]
	v_mul_f64 v[122:123], v[122:123], v[70:71]
	v_fma_f64 v[68:69], v[104:105], v[114:115], -v[68:69]
	v_mul_f64 v[104:105], v[104:105], v[70:71]
	v_fmac_f64_e32 v[122:123], v[124:125], v[114:115]
	v_fmac_f64_e32 v[104:105], v[106:107], v[114:115]
	v_add_f64 v[2:3], v[2:3], -v[122:123]
	s_waitcnt vmcnt(0)
	v_add_f64 v[100:101], v[100:101], -v[68:69]
	v_add_f64 v[102:103], v[102:103], -v[104:105]
	v_mov_b64_e32 v[68:69], v[114:115]
.LBB50_41:
	s_or_b64 exec, exec, s[0:1]
	v_lshl_add_u32 v104, v117, 4, v116
	s_barrier
	s_waitcnt vmcnt(23)
	ds_write2_b64 v104, v[96:97], v[98:99] offset1:1
	s_waitcnt lgkmcnt(0)
	s_barrier
	ds_read2_b64 v[104:107], v116 offset0:4 offset1:5
	s_cmp_lt_i32 s20, 4
	v_mov_b32_e32 v114, 2
	s_cbranch_scc1 .LBB50_44
; %bb.42:
	v_add3_u32 v115, v120, 0, 48
	s_mov_b32 s16, 3
	v_mov_b32_e32 v114, 2
.LBB50_43:                              ; =>This Inner Loop Header: Depth=1
	ds_read2_b64 v[122:125], v115 offset1:1
	s_waitcnt lgkmcnt(1)
	v_xor_b32_e32 v121, 0x80000000, v105
	v_xor_b32_e32 v129, 0x80000000, v107
	v_cmp_gt_f64_e32 vcc, 0, v[106:107]
	v_cmp_gt_f64_e64 s[0:1], 0, v[104:105]
	v_mov_b32_e32 v126, v104
	v_mov_b32_e32 v128, v106
	v_cndmask_b32_e64 v127, v105, v121, s[0:1]
	v_cndmask_b32_e32 v129, v107, v129, vcc
	s_waitcnt lgkmcnt(0)
	v_xor_b32_e32 v121, 0x80000000, v123
	v_xor_b32_e32 v131, 0x80000000, v125
	v_cmp_gt_f64_e32 vcc, 0, v[124:125]
	v_cmp_gt_f64_e64 s[0:1], 0, v[122:123]
	v_add_f64 v[126:127], v[126:127], v[128:129]
	v_mov_b32_e32 v128, v122
	v_mov_b32_e32 v130, v124
	v_cndmask_b32_e64 v129, v123, v121, s[0:1]
	v_cndmask_b32_e32 v131, v125, v131, vcc
	v_add_f64 v[128:129], v[128:129], v[130:131]
	v_mov_b32_e32 v132, s16
	s_add_i32 s16, s16, 1
	v_cmp_lt_f64_e32 vcc, v[126:127], v[128:129]
	v_add_u32_e32 v115, 16, v115
	s_cmp_lg_u32 s20, s16
	v_cndmask_b32_e32 v105, v105, v123, vcc
	v_cndmask_b32_e32 v104, v104, v122, vcc
	;; [unrolled: 1-line block ×5, first 2 shown]
	s_cbranch_scc1 .LBB50_43
.LBB50_44:
	s_waitcnt lgkmcnt(0)
	v_cmp_eq_f64_e32 vcc, 0, v[104:105]
	v_cmp_eq_f64_e64 s[0:1], 0, v[106:107]
	s_and_b64 s[0:1], vcc, s[0:1]
	s_and_saveexec_b64 s[16:17], s[0:1]
	s_xor_b64 s[0:1], exec, s[16:17]
; %bb.45:
	v_cmp_ne_u32_e32 vcc, 0, v119
	s_nop 1
	v_cndmask_b32_e32 v119, 3, v119, vcc
; %bb.46:
	s_andn2_saveexec_b64 s[0:1], s[0:1]
	s_cbranch_execz .LBB50_52
; %bb.47:
	v_cmp_ngt_f64_e64 s[16:17], |v[104:105]|, |v[106:107]|
	s_and_saveexec_b64 s[18:19], s[16:17]
	s_xor_b64 s[16:17], exec, s[18:19]
	s_cbranch_execz .LBB50_49
; %bb.48:
	v_div_scale_f64 v[122:123], s[18:19], v[106:107], v[106:107], v[104:105]
	v_rcp_f64_e32 v[124:125], v[122:123]
	v_div_scale_f64 v[126:127], vcc, v[104:105], v[106:107], v[104:105]
	v_fma_f64 v[128:129], -v[122:123], v[124:125], 1.0
	v_fmac_f64_e32 v[124:125], v[124:125], v[128:129]
	v_fma_f64 v[128:129], -v[122:123], v[124:125], 1.0
	v_fmac_f64_e32 v[124:125], v[124:125], v[128:129]
	v_mul_f64 v[128:129], v[126:127], v[124:125]
	v_fma_f64 v[122:123], -v[122:123], v[128:129], v[126:127]
	v_div_fmas_f64 v[122:123], v[122:123], v[124:125], v[128:129]
	v_div_fixup_f64 v[122:123], v[122:123], v[106:107], v[104:105]
	v_fmac_f64_e32 v[106:107], v[104:105], v[122:123]
	v_div_scale_f64 v[104:105], s[18:19], v[106:107], v[106:107], 1.0
	v_rcp_f64_e32 v[124:125], v[104:105]
	s_nop 0
	v_fma_f64 v[126:127], -v[104:105], v[124:125], 1.0
	v_fmac_f64_e32 v[124:125], v[124:125], v[126:127]
	v_fma_f64 v[126:127], -v[104:105], v[124:125], 1.0
	v_fmac_f64_e32 v[124:125], v[124:125], v[126:127]
	v_div_scale_f64 v[126:127], vcc, 1.0, v[106:107], 1.0
	v_mul_f64 v[128:129], v[126:127], v[124:125]
	v_fma_f64 v[104:105], -v[104:105], v[128:129], v[126:127]
	s_nop 1
	v_div_fmas_f64 v[104:105], v[104:105], v[124:125], v[128:129]
	v_div_fixup_f64 v[106:107], v[104:105], v[106:107], 1.0
	v_mul_f64 v[104:105], v[122:123], v[106:107]
	v_xor_b32_e32 v107, 0x80000000, v107
.LBB50_49:
	s_andn2_saveexec_b64 s[16:17], s[16:17]
	s_cbranch_execz .LBB50_51
; %bb.50:
	v_div_scale_f64 v[122:123], s[18:19], v[104:105], v[104:105], v[106:107]
	v_rcp_f64_e32 v[124:125], v[122:123]
	v_div_scale_f64 v[126:127], vcc, v[106:107], v[104:105], v[106:107]
	v_fma_f64 v[128:129], -v[122:123], v[124:125], 1.0
	v_fmac_f64_e32 v[124:125], v[124:125], v[128:129]
	v_fma_f64 v[128:129], -v[122:123], v[124:125], 1.0
	v_fmac_f64_e32 v[124:125], v[124:125], v[128:129]
	v_mul_f64 v[128:129], v[126:127], v[124:125]
	v_fma_f64 v[122:123], -v[122:123], v[128:129], v[126:127]
	v_div_fmas_f64 v[122:123], v[122:123], v[124:125], v[128:129]
	v_div_fixup_f64 v[122:123], v[122:123], v[104:105], v[106:107]
	v_fmac_f64_e32 v[104:105], v[106:107], v[122:123]
	v_div_scale_f64 v[106:107], s[18:19], v[104:105], v[104:105], 1.0
	v_rcp_f64_e32 v[124:125], v[106:107]
	s_nop 0
	v_fma_f64 v[126:127], -v[106:107], v[124:125], 1.0
	v_fmac_f64_e32 v[124:125], v[124:125], v[126:127]
	v_fma_f64 v[126:127], -v[106:107], v[124:125], 1.0
	v_fmac_f64_e32 v[124:125], v[124:125], v[126:127]
	v_div_scale_f64 v[126:127], vcc, 1.0, v[104:105], 1.0
	v_mul_f64 v[128:129], v[126:127], v[124:125]
	v_fma_f64 v[106:107], -v[106:107], v[128:129], v[126:127]
	s_nop 1
	v_div_fmas_f64 v[106:107], v[106:107], v[124:125], v[128:129]
	v_div_fixup_f64 v[104:105], v[106:107], v[104:105], 1.0
	v_mul_f64 v[106:107], v[122:123], -v[104:105]
.LBB50_51:
	s_or_b64 exec, exec, s[16:17]
.LBB50_52:
	s_or_b64 exec, exec, s[0:1]
	v_cmp_ne_u32_e32 vcc, v117, v114
	s_and_saveexec_b64 s[0:1], vcc
	s_xor_b64 s[0:1], exec, s[0:1]
	s_cbranch_execz .LBB50_58
; %bb.53:
	v_cmp_eq_u32_e32 vcc, 2, v117
	s_and_saveexec_b64 s[16:17], vcc
	s_cbranch_execz .LBB50_57
; %bb.54:
	v_cmp_ne_u32_e32 vcc, 2, v114
	s_xor_b64 s[18:19], s[14:15], -1
	s_and_b64 s[22:23], s[18:19], vcc
	s_and_saveexec_b64 s[18:19], s[22:23]
	s_cbranch_execz .LBB50_56
; %bb.55:
	v_ashrrev_i32_e32 v115, 31, v114
	v_lshl_add_u64 v[122:123], v[114:115], 2, v[112:113]
	global_load_dword v115, v[122:123], off
	global_load_dword v117, v[112:113], off offset:8
	s_waitcnt vmcnt(1)
	global_store_dword v[112:113], v115, off offset:8
	s_waitcnt vmcnt(1)
	global_store_dword v[122:123], v117, off
.LBB50_56:
	s_or_b64 exec, exec, s[18:19]
	v_mov_b32_e32 v117, v114
	v_mov_b32_e32 v118, v114
.LBB50_57:
	s_or_b64 exec, exec, s[16:17]
.LBB50_58:
	s_andn2_saveexec_b64 s[0:1], s[0:1]
	s_cbranch_execz .LBB50_60
; %bb.59:
	v_mov_b32_e32 v117, 2
	s_waitcnt vmcnt(22)
	ds_write2_b64 v116, v[92:93], v[94:95] offset0:6 offset1:7
	s_waitcnt vmcnt(21)
	ds_write2_b64 v116, v[88:89], v[90:91] offset0:8 offset1:9
	s_waitcnt vmcnt(20)
	ds_write2_b64 v116, v[84:85], v[86:87] offset0:10 offset1:11
	s_waitcnt vmcnt(19)
	ds_write2_b64 v116, v[80:81], v[82:83] offset0:12 offset1:13
	s_waitcnt vmcnt(18)
	ds_write2_b64 v116, v[76:77], v[78:79] offset0:14 offset1:15
	s_waitcnt vmcnt(17)
	ds_write2_b64 v116, v[64:65], v[66:67] offset0:16 offset1:17
	s_waitcnt vmcnt(16)
	ds_write2_b64 v116, v[60:61], v[62:63] offset0:18 offset1:19
	s_waitcnt vmcnt(15)
	ds_write2_b64 v116, v[56:57], v[58:59] offset0:20 offset1:21
	s_waitcnt vmcnt(14)
	ds_write2_b64 v116, v[52:53], v[54:55] offset0:22 offset1:23
	s_waitcnt vmcnt(13)
	ds_write2_b64 v116, v[48:49], v[50:51] offset0:24 offset1:25
	s_waitcnt vmcnt(12)
	ds_write2_b64 v116, v[44:45], v[46:47] offset0:26 offset1:27
	s_waitcnt vmcnt(11)
	ds_write2_b64 v116, v[40:41], v[42:43] offset0:28 offset1:29
	s_waitcnt vmcnt(10)
	ds_write2_b64 v116, v[36:37], v[38:39] offset0:30 offset1:31
	s_waitcnt vmcnt(9)
	ds_write2_b64 v116, v[28:29], v[30:31] offset0:32 offset1:33
	s_waitcnt vmcnt(8)
	ds_write2_b64 v116, v[32:33], v[34:35] offset0:34 offset1:35
	s_waitcnt vmcnt(7)
	ds_write2_b64 v116, v[24:25], v[26:27] offset0:36 offset1:37
	s_waitcnt vmcnt(6)
	ds_write2_b64 v116, v[20:21], v[22:23] offset0:38 offset1:39
	s_waitcnt vmcnt(5)
	ds_write2_b64 v116, v[16:17], v[18:19] offset0:40 offset1:41
	s_waitcnt vmcnt(4)
	ds_write2_b64 v116, v[12:13], v[14:15] offset0:42 offset1:43
	s_waitcnt vmcnt(3)
	ds_write2_b64 v116, v[8:9], v[10:11] offset0:44 offset1:45
	s_waitcnt vmcnt(2)
	ds_write2_b64 v116, v[4:5], v[6:7] offset0:46 offset1:47
	s_waitcnt vmcnt(1)
	ds_write2_b64 v116, v[0:1], v[2:3] offset0:48 offset1:49
	s_waitcnt vmcnt(0)
	ds_write2_b64 v116, v[100:101], v[102:103] offset0:50 offset1:51
.LBB50_60:
	s_or_b64 exec, exec, s[0:1]
	v_cmp_lt_i32_e32 vcc, 2, v117
	s_waitcnt lgkmcnt(0)
	s_barrier
	s_and_saveexec_b64 s[0:1], vcc
	s_cbranch_execz .LBB50_62
; %bb.61:
	ds_read2_b64 v[122:125], v116 offset0:6 offset1:7
	v_mul_f64 v[114:115], v[106:107], v[98:99]
	v_mul_f64 v[98:99], v[104:105], v[98:99]
	v_fmac_f64_e32 v[98:99], v[106:107], v[96:97]
	v_fma_f64 v[114:115], v[104:105], v[96:97], -v[114:115]
	ds_read2_b64 v[104:107], v116 offset0:8 offset1:9
	s_waitcnt lgkmcnt(1)
	v_mul_f64 v[96:97], v[124:125], v[98:99]
	v_fma_f64 v[96:97], v[122:123], v[114:115], -v[96:97]
	v_mul_f64 v[122:123], v[122:123], v[98:99]
	v_fmac_f64_e32 v[122:123], v[124:125], v[114:115]
	s_waitcnt vmcnt(22)
	v_add_f64 v[94:95], v[94:95], -v[122:123]
	ds_read2_b64 v[122:125], v116 offset0:10 offset1:11
	v_add_f64 v[92:93], v[92:93], -v[96:97]
	s_waitcnt lgkmcnt(1)
	v_mul_f64 v[96:97], v[106:107], v[98:99]
	v_fma_f64 v[96:97], v[104:105], v[114:115], -v[96:97]
	v_mul_f64 v[104:105], v[104:105], v[98:99]
	v_fmac_f64_e32 v[104:105], v[106:107], v[114:115]
	s_waitcnt vmcnt(21)
	v_add_f64 v[88:89], v[88:89], -v[96:97]
	v_add_f64 v[90:91], v[90:91], -v[104:105]
	ds_read2_b64 v[104:107], v116 offset0:12 offset1:13
	s_waitcnt lgkmcnt(1)
	v_mul_f64 v[96:97], v[124:125], v[98:99]
	v_fma_f64 v[96:97], v[122:123], v[114:115], -v[96:97]
	v_mul_f64 v[122:123], v[122:123], v[98:99]
	v_fmac_f64_e32 v[122:123], v[124:125], v[114:115]
	s_waitcnt vmcnt(20)
	v_add_f64 v[86:87], v[86:87], -v[122:123]
	ds_read2_b64 v[122:125], v116 offset0:14 offset1:15
	v_add_f64 v[84:85], v[84:85], -v[96:97]
	s_waitcnt lgkmcnt(1)
	v_mul_f64 v[96:97], v[106:107], v[98:99]
	v_fma_f64 v[96:97], v[104:105], v[114:115], -v[96:97]
	v_mul_f64 v[104:105], v[104:105], v[98:99]
	v_fmac_f64_e32 v[104:105], v[106:107], v[114:115]
	s_waitcnt vmcnt(19)
	v_add_f64 v[80:81], v[80:81], -v[96:97]
	v_add_f64 v[82:83], v[82:83], -v[104:105]
	;; [unrolled: 18-line block ×11, first 2 shown]
	s_waitcnt lgkmcnt(0)
	v_mul_f64 v[96:97], v[124:125], v[98:99]
	v_mul_f64 v[104:105], v[122:123], v[98:99]
	v_fma_f64 v[96:97], v[122:123], v[114:115], -v[96:97]
	v_fmac_f64_e32 v[104:105], v[124:125], v[114:115]
	s_waitcnt vmcnt(0)
	v_add_f64 v[100:101], v[100:101], -v[96:97]
	v_add_f64 v[102:103], v[102:103], -v[104:105]
	v_mov_b64_e32 v[96:97], v[114:115]
.LBB50_62:
	s_or_b64 exec, exec, s[0:1]
	v_lshl_add_u32 v104, v117, 4, v116
	s_barrier
	s_waitcnt vmcnt(22)
	ds_write2_b64 v104, v[92:93], v[94:95] offset1:1
	s_waitcnt lgkmcnt(0)
	s_barrier
	ds_read2_b64 v[104:107], v116 offset0:6 offset1:7
	s_mov_b32 s16, 4
	s_cmp_lt_i32 s20, 5
	v_mov_b32_e32 v114, 3
	s_cbranch_scc1 .LBB50_65
; %bb.63:
	v_add3_u32 v115, v120, 0, 64
	v_mov_b32_e32 v114, 3
.LBB50_64:                              ; =>This Inner Loop Header: Depth=1
	ds_read2_b64 v[120:123], v115 offset1:1
	s_waitcnt lgkmcnt(1)
	v_xor_b32_e32 v125, 0x80000000, v105
	v_xor_b32_e32 v127, 0x80000000, v107
	v_cmp_gt_f64_e32 vcc, 0, v[106:107]
	v_cmp_gt_f64_e64 s[0:1], 0, v[104:105]
	v_mov_b32_e32 v124, v104
	v_mov_b32_e32 v126, v106
	v_cndmask_b32_e64 v125, v105, v125, s[0:1]
	v_cndmask_b32_e32 v127, v107, v127, vcc
	v_add_f64 v[124:125], v[124:125], v[126:127]
	s_waitcnt lgkmcnt(0)
	v_xor_b32_e32 v127, 0x80000000, v121
	v_xor_b32_e32 v129, 0x80000000, v123
	v_cmp_gt_f64_e32 vcc, 0, v[122:123]
	v_cmp_gt_f64_e64 s[0:1], 0, v[120:121]
	v_mov_b32_e32 v126, v120
	v_mov_b32_e32 v128, v122
	v_cndmask_b32_e64 v127, v121, v127, s[0:1]
	v_cndmask_b32_e32 v129, v123, v129, vcc
	v_add_f64 v[126:127], v[126:127], v[128:129]
	v_mov_b32_e32 v130, s16
	s_add_i32 s16, s16, 1
	v_cmp_lt_f64_e32 vcc, v[124:125], v[126:127]
	v_add_u32_e32 v115, 16, v115
	s_cmp_lg_u32 s20, s16
	v_cndmask_b32_e32 v105, v105, v121, vcc
	v_cndmask_b32_e32 v104, v104, v120, vcc
	;; [unrolled: 1-line block ×5, first 2 shown]
	s_cbranch_scc1 .LBB50_64
.LBB50_65:
	s_waitcnt lgkmcnt(0)
	v_cmp_eq_f64_e32 vcc, 0, v[104:105]
	v_cmp_eq_f64_e64 s[0:1], 0, v[106:107]
	s_and_b64 s[0:1], vcc, s[0:1]
	s_and_saveexec_b64 s[16:17], s[0:1]
	s_xor_b64 s[0:1], exec, s[16:17]
; %bb.66:
	v_cmp_ne_u32_e32 vcc, 0, v119
	s_nop 1
	v_cndmask_b32_e32 v119, 4, v119, vcc
; %bb.67:
	s_andn2_saveexec_b64 s[0:1], s[0:1]
	s_cbranch_execz .LBB50_73
; %bb.68:
	v_cmp_ngt_f64_e64 s[16:17], |v[104:105]|, |v[106:107]|
	s_and_saveexec_b64 s[18:19], s[16:17]
	s_xor_b64 s[16:17], exec, s[18:19]
	s_cbranch_execz .LBB50_70
; %bb.69:
	v_div_scale_f64 v[120:121], s[18:19], v[106:107], v[106:107], v[104:105]
	v_rcp_f64_e32 v[122:123], v[120:121]
	v_div_scale_f64 v[124:125], vcc, v[104:105], v[106:107], v[104:105]
	v_fma_f64 v[126:127], -v[120:121], v[122:123], 1.0
	v_fmac_f64_e32 v[122:123], v[122:123], v[126:127]
	v_fma_f64 v[126:127], -v[120:121], v[122:123], 1.0
	v_fmac_f64_e32 v[122:123], v[122:123], v[126:127]
	v_mul_f64 v[126:127], v[124:125], v[122:123]
	v_fma_f64 v[120:121], -v[120:121], v[126:127], v[124:125]
	v_div_fmas_f64 v[120:121], v[120:121], v[122:123], v[126:127]
	v_div_fixup_f64 v[120:121], v[120:121], v[106:107], v[104:105]
	v_fmac_f64_e32 v[106:107], v[104:105], v[120:121]
	v_div_scale_f64 v[104:105], s[18:19], v[106:107], v[106:107], 1.0
	v_rcp_f64_e32 v[122:123], v[104:105]
	s_nop 0
	v_fma_f64 v[124:125], -v[104:105], v[122:123], 1.0
	v_fmac_f64_e32 v[122:123], v[122:123], v[124:125]
	v_fma_f64 v[124:125], -v[104:105], v[122:123], 1.0
	v_fmac_f64_e32 v[122:123], v[122:123], v[124:125]
	v_div_scale_f64 v[124:125], vcc, 1.0, v[106:107], 1.0
	v_mul_f64 v[126:127], v[124:125], v[122:123]
	v_fma_f64 v[104:105], -v[104:105], v[126:127], v[124:125]
	s_nop 1
	v_div_fmas_f64 v[104:105], v[104:105], v[122:123], v[126:127]
	v_div_fixup_f64 v[106:107], v[104:105], v[106:107], 1.0
	v_mul_f64 v[104:105], v[120:121], v[106:107]
	v_xor_b32_e32 v107, 0x80000000, v107
.LBB50_70:
	s_andn2_saveexec_b64 s[16:17], s[16:17]
	s_cbranch_execz .LBB50_72
; %bb.71:
	v_div_scale_f64 v[120:121], s[18:19], v[104:105], v[104:105], v[106:107]
	v_rcp_f64_e32 v[122:123], v[120:121]
	v_div_scale_f64 v[124:125], vcc, v[106:107], v[104:105], v[106:107]
	v_fma_f64 v[126:127], -v[120:121], v[122:123], 1.0
	v_fmac_f64_e32 v[122:123], v[122:123], v[126:127]
	v_fma_f64 v[126:127], -v[120:121], v[122:123], 1.0
	v_fmac_f64_e32 v[122:123], v[122:123], v[126:127]
	v_mul_f64 v[126:127], v[124:125], v[122:123]
	v_fma_f64 v[120:121], -v[120:121], v[126:127], v[124:125]
	v_div_fmas_f64 v[120:121], v[120:121], v[122:123], v[126:127]
	v_div_fixup_f64 v[120:121], v[120:121], v[104:105], v[106:107]
	v_fmac_f64_e32 v[104:105], v[106:107], v[120:121]
	v_div_scale_f64 v[106:107], s[18:19], v[104:105], v[104:105], 1.0
	v_rcp_f64_e32 v[122:123], v[106:107]
	s_nop 0
	v_fma_f64 v[124:125], -v[106:107], v[122:123], 1.0
	v_fmac_f64_e32 v[122:123], v[122:123], v[124:125]
	v_fma_f64 v[124:125], -v[106:107], v[122:123], 1.0
	v_fmac_f64_e32 v[122:123], v[122:123], v[124:125]
	v_div_scale_f64 v[124:125], vcc, 1.0, v[104:105], 1.0
	v_mul_f64 v[126:127], v[124:125], v[122:123]
	v_fma_f64 v[106:107], -v[106:107], v[126:127], v[124:125]
	s_nop 1
	v_div_fmas_f64 v[106:107], v[106:107], v[122:123], v[126:127]
	v_div_fixup_f64 v[104:105], v[106:107], v[104:105], 1.0
	v_mul_f64 v[106:107], v[120:121], -v[104:105]
.LBB50_72:
	s_or_b64 exec, exec, s[16:17]
.LBB50_73:
	s_or_b64 exec, exec, s[0:1]
	v_cmp_ne_u32_e32 vcc, v117, v114
	s_and_saveexec_b64 s[0:1], vcc
	s_xor_b64 s[0:1], exec, s[0:1]
	s_cbranch_execz .LBB50_79
; %bb.74:
	v_cmp_eq_u32_e32 vcc, 3, v117
	s_and_saveexec_b64 s[16:17], vcc
	s_cbranch_execz .LBB50_78
; %bb.75:
	v_cmp_ne_u32_e32 vcc, 3, v114
	s_xor_b64 s[18:19], s[14:15], -1
	s_and_b64 s[22:23], s[18:19], vcc
	s_and_saveexec_b64 s[18:19], s[22:23]
	s_cbranch_execz .LBB50_77
; %bb.76:
	v_ashrrev_i32_e32 v115, 31, v114
	v_lshl_add_u64 v[120:121], v[114:115], 2, v[112:113]
	global_load_dword v115, v[120:121], off
	global_load_dword v117, v[112:113], off offset:12
	s_waitcnt vmcnt(1)
	global_store_dword v[112:113], v115, off offset:12
	s_waitcnt vmcnt(1)
	global_store_dword v[120:121], v117, off
.LBB50_77:
	s_or_b64 exec, exec, s[18:19]
	v_mov_b32_e32 v117, v114
	v_mov_b32_e32 v118, v114
.LBB50_78:
	s_or_b64 exec, exec, s[16:17]
.LBB50_79:
	s_andn2_saveexec_b64 s[0:1], s[0:1]
	s_cbranch_execz .LBB50_81
; %bb.80:
	v_mov_b32_e32 v117, 3
	s_waitcnt vmcnt(21)
	ds_write2_b64 v116, v[88:89], v[90:91] offset0:8 offset1:9
	s_waitcnt vmcnt(20)
	ds_write2_b64 v116, v[84:85], v[86:87] offset0:10 offset1:11
	s_waitcnt vmcnt(19)
	ds_write2_b64 v116, v[80:81], v[82:83] offset0:12 offset1:13
	s_waitcnt vmcnt(18)
	ds_write2_b64 v116, v[76:77], v[78:79] offset0:14 offset1:15
	s_waitcnt vmcnt(17)
	ds_write2_b64 v116, v[64:65], v[66:67] offset0:16 offset1:17
	s_waitcnt vmcnt(16)
	ds_write2_b64 v116, v[60:61], v[62:63] offset0:18 offset1:19
	s_waitcnt vmcnt(15)
	ds_write2_b64 v116, v[56:57], v[58:59] offset0:20 offset1:21
	s_waitcnt vmcnt(14)
	ds_write2_b64 v116, v[52:53], v[54:55] offset0:22 offset1:23
	s_waitcnt vmcnt(13)
	ds_write2_b64 v116, v[48:49], v[50:51] offset0:24 offset1:25
	s_waitcnt vmcnt(12)
	ds_write2_b64 v116, v[44:45], v[46:47] offset0:26 offset1:27
	s_waitcnt vmcnt(11)
	ds_write2_b64 v116, v[40:41], v[42:43] offset0:28 offset1:29
	s_waitcnt vmcnt(10)
	ds_write2_b64 v116, v[36:37], v[38:39] offset0:30 offset1:31
	s_waitcnt vmcnt(9)
	ds_write2_b64 v116, v[28:29], v[30:31] offset0:32 offset1:33
	s_waitcnt vmcnt(8)
	ds_write2_b64 v116, v[32:33], v[34:35] offset0:34 offset1:35
	s_waitcnt vmcnt(7)
	ds_write2_b64 v116, v[24:25], v[26:27] offset0:36 offset1:37
	s_waitcnt vmcnt(6)
	ds_write2_b64 v116, v[20:21], v[22:23] offset0:38 offset1:39
	s_waitcnt vmcnt(5)
	ds_write2_b64 v116, v[16:17], v[18:19] offset0:40 offset1:41
	s_waitcnt vmcnt(4)
	ds_write2_b64 v116, v[12:13], v[14:15] offset0:42 offset1:43
	s_waitcnt vmcnt(3)
	ds_write2_b64 v116, v[8:9], v[10:11] offset0:44 offset1:45
	s_waitcnt vmcnt(2)
	ds_write2_b64 v116, v[4:5], v[6:7] offset0:46 offset1:47
	s_waitcnt vmcnt(1)
	ds_write2_b64 v116, v[0:1], v[2:3] offset0:48 offset1:49
	s_waitcnt vmcnt(0)
	ds_write2_b64 v116, v[100:101], v[102:103] offset0:50 offset1:51
.LBB50_81:
	s_or_b64 exec, exec, s[0:1]
	v_cmp_lt_i32_e32 vcc, 3, v117
	s_waitcnt lgkmcnt(0)
	s_barrier
	s_and_saveexec_b64 s[0:1], vcc
	s_cbranch_execz .LBB50_83
; %bb.82:
	ds_read2_b64 v[120:123], v116 offset0:8 offset1:9
	v_mul_f64 v[114:115], v[106:107], v[94:95]
	v_mul_f64 v[94:95], v[104:105], v[94:95]
	v_fma_f64 v[114:115], v[104:105], v[92:93], -v[114:115]
	v_fmac_f64_e32 v[94:95], v[106:107], v[92:93]
	ds_read2_b64 v[104:107], v116 offset0:10 offset1:11
	s_waitcnt lgkmcnt(1)
	v_mul_f64 v[92:93], v[122:123], v[94:95]
	v_fma_f64 v[92:93], v[120:121], v[114:115], -v[92:93]
	v_mul_f64 v[120:121], v[120:121], v[94:95]
	v_fmac_f64_e32 v[120:121], v[122:123], v[114:115]
	s_waitcnt vmcnt(21)
	v_add_f64 v[88:89], v[88:89], -v[92:93]
	s_waitcnt lgkmcnt(0)
	v_mul_f64 v[92:93], v[106:107], v[94:95]
	v_add_f64 v[90:91], v[90:91], -v[120:121]
	v_fma_f64 v[92:93], v[104:105], v[114:115], -v[92:93]
	v_mul_f64 v[104:105], v[104:105], v[94:95]
	ds_read2_b64 v[120:123], v116 offset0:12 offset1:13
	v_fmac_f64_e32 v[104:105], v[106:107], v[114:115]
	s_waitcnt vmcnt(20)
	v_add_f64 v[86:87], v[86:87], -v[104:105]
	ds_read2_b64 v[104:107], v116 offset0:14 offset1:15
	v_add_f64 v[84:85], v[84:85], -v[92:93]
	s_waitcnt lgkmcnt(1)
	v_mul_f64 v[92:93], v[122:123], v[94:95]
	v_fma_f64 v[92:93], v[120:121], v[114:115], -v[92:93]
	v_mul_f64 v[120:121], v[120:121], v[94:95]
	v_fmac_f64_e32 v[120:121], v[122:123], v[114:115]
	s_waitcnt vmcnt(19)
	v_add_f64 v[80:81], v[80:81], -v[92:93]
	s_waitcnt lgkmcnt(0)
	v_mul_f64 v[92:93], v[106:107], v[94:95]
	v_add_f64 v[82:83], v[82:83], -v[120:121]
	v_fma_f64 v[92:93], v[104:105], v[114:115], -v[92:93]
	v_mul_f64 v[104:105], v[104:105], v[94:95]
	ds_read2_b64 v[120:123], v116 offset0:16 offset1:17
	v_fmac_f64_e32 v[104:105], v[106:107], v[114:115]
	s_waitcnt vmcnt(18)
	v_add_f64 v[78:79], v[78:79], -v[104:105]
	ds_read2_b64 v[104:107], v116 offset0:18 offset1:19
	v_add_f64 v[76:77], v[76:77], -v[92:93]
	;; [unrolled: 18-line block ×10, first 2 shown]
	s_waitcnt lgkmcnt(1)
	v_mul_f64 v[92:93], v[122:123], v[94:95]
	v_fma_f64 v[92:93], v[120:121], v[114:115], -v[92:93]
	s_waitcnt vmcnt(1)
	v_add_f64 v[0:1], v[0:1], -v[92:93]
	s_waitcnt lgkmcnt(0)
	v_mul_f64 v[92:93], v[106:107], v[94:95]
	v_mul_f64 v[120:121], v[120:121], v[94:95]
	v_fma_f64 v[92:93], v[104:105], v[114:115], -v[92:93]
	v_mul_f64 v[104:105], v[104:105], v[94:95]
	v_fmac_f64_e32 v[120:121], v[122:123], v[114:115]
	v_fmac_f64_e32 v[104:105], v[106:107], v[114:115]
	v_add_f64 v[2:3], v[2:3], -v[120:121]
	s_waitcnt vmcnt(0)
	v_add_f64 v[100:101], v[100:101], -v[92:93]
	v_add_f64 v[102:103], v[102:103], -v[104:105]
	v_mov_b64_e32 v[92:93], v[114:115]
.LBB50_83:
	s_or_b64 exec, exec, s[0:1]
	v_lshl_add_u32 v104, v117, 4, v116
	s_barrier
	s_waitcnt vmcnt(21)
	ds_write2_b64 v104, v[88:89], v[90:91] offset1:1
	s_waitcnt lgkmcnt(0)
	s_barrier
	ds_read2_b64 v[104:107], v116 offset0:8 offset1:9
	s_cmp_lt_i32 s20, 6
	v_mov_b32_e32 v114, 4
	s_cbranch_scc1 .LBB50_86
; %bb.84:
	v_mov_b32_e32 v114, 4
	v_add_u32_e32 v115, 0x50, v116
	s_mov_b32 s16, 5
.LBB50_85:                              ; =>This Inner Loop Header: Depth=1
	ds_read2_b64 v[120:123], v115 offset1:1
	s_waitcnt lgkmcnt(1)
	v_xor_b32_e32 v125, 0x80000000, v105
	v_xor_b32_e32 v127, 0x80000000, v107
	v_cmp_gt_f64_e32 vcc, 0, v[106:107]
	v_cmp_gt_f64_e64 s[0:1], 0, v[104:105]
	v_mov_b32_e32 v124, v104
	v_mov_b32_e32 v126, v106
	v_cndmask_b32_e64 v125, v105, v125, s[0:1]
	v_cndmask_b32_e32 v127, v107, v127, vcc
	v_add_f64 v[124:125], v[124:125], v[126:127]
	s_waitcnt lgkmcnt(0)
	v_xor_b32_e32 v127, 0x80000000, v121
	v_xor_b32_e32 v129, 0x80000000, v123
	v_cmp_gt_f64_e32 vcc, 0, v[122:123]
	v_cmp_gt_f64_e64 s[0:1], 0, v[120:121]
	v_mov_b32_e32 v126, v120
	v_mov_b32_e32 v128, v122
	v_cndmask_b32_e64 v127, v121, v127, s[0:1]
	v_cndmask_b32_e32 v129, v123, v129, vcc
	v_add_f64 v[126:127], v[126:127], v[128:129]
	v_mov_b32_e32 v130, s16
	s_add_i32 s16, s16, 1
	v_cmp_lt_f64_e32 vcc, v[124:125], v[126:127]
	v_add_u32_e32 v115, 16, v115
	s_cmp_lg_u32 s20, s16
	v_cndmask_b32_e32 v105, v105, v121, vcc
	v_cndmask_b32_e32 v104, v104, v120, vcc
	;; [unrolled: 1-line block ×5, first 2 shown]
	s_cbranch_scc1 .LBB50_85
.LBB50_86:
	s_waitcnt lgkmcnt(0)
	v_cmp_eq_f64_e32 vcc, 0, v[104:105]
	v_cmp_eq_f64_e64 s[0:1], 0, v[106:107]
	s_and_b64 s[0:1], vcc, s[0:1]
	s_and_saveexec_b64 s[16:17], s[0:1]
	s_xor_b64 s[0:1], exec, s[16:17]
; %bb.87:
	v_cmp_ne_u32_e32 vcc, 0, v119
	s_nop 1
	v_cndmask_b32_e32 v119, 5, v119, vcc
; %bb.88:
	s_andn2_saveexec_b64 s[0:1], s[0:1]
	s_cbranch_execz .LBB50_94
; %bb.89:
	v_cmp_ngt_f64_e64 s[16:17], |v[104:105]|, |v[106:107]|
	s_and_saveexec_b64 s[18:19], s[16:17]
	s_xor_b64 s[16:17], exec, s[18:19]
	s_cbranch_execz .LBB50_91
; %bb.90:
	v_div_scale_f64 v[120:121], s[18:19], v[106:107], v[106:107], v[104:105]
	v_rcp_f64_e32 v[122:123], v[120:121]
	v_div_scale_f64 v[124:125], vcc, v[104:105], v[106:107], v[104:105]
	v_fma_f64 v[126:127], -v[120:121], v[122:123], 1.0
	v_fmac_f64_e32 v[122:123], v[122:123], v[126:127]
	v_fma_f64 v[126:127], -v[120:121], v[122:123], 1.0
	v_fmac_f64_e32 v[122:123], v[122:123], v[126:127]
	v_mul_f64 v[126:127], v[124:125], v[122:123]
	v_fma_f64 v[120:121], -v[120:121], v[126:127], v[124:125]
	v_div_fmas_f64 v[120:121], v[120:121], v[122:123], v[126:127]
	v_div_fixup_f64 v[120:121], v[120:121], v[106:107], v[104:105]
	v_fmac_f64_e32 v[106:107], v[104:105], v[120:121]
	v_div_scale_f64 v[104:105], s[18:19], v[106:107], v[106:107], 1.0
	v_rcp_f64_e32 v[122:123], v[104:105]
	s_nop 0
	v_fma_f64 v[124:125], -v[104:105], v[122:123], 1.0
	v_fmac_f64_e32 v[122:123], v[122:123], v[124:125]
	v_fma_f64 v[124:125], -v[104:105], v[122:123], 1.0
	v_fmac_f64_e32 v[122:123], v[122:123], v[124:125]
	v_div_scale_f64 v[124:125], vcc, 1.0, v[106:107], 1.0
	v_mul_f64 v[126:127], v[124:125], v[122:123]
	v_fma_f64 v[104:105], -v[104:105], v[126:127], v[124:125]
	s_nop 1
	v_div_fmas_f64 v[104:105], v[104:105], v[122:123], v[126:127]
	v_div_fixup_f64 v[106:107], v[104:105], v[106:107], 1.0
	v_mul_f64 v[104:105], v[120:121], v[106:107]
	v_xor_b32_e32 v107, 0x80000000, v107
.LBB50_91:
	s_andn2_saveexec_b64 s[16:17], s[16:17]
	s_cbranch_execz .LBB50_93
; %bb.92:
	v_div_scale_f64 v[120:121], s[18:19], v[104:105], v[104:105], v[106:107]
	v_rcp_f64_e32 v[122:123], v[120:121]
	v_div_scale_f64 v[124:125], vcc, v[106:107], v[104:105], v[106:107]
	v_fma_f64 v[126:127], -v[120:121], v[122:123], 1.0
	v_fmac_f64_e32 v[122:123], v[122:123], v[126:127]
	v_fma_f64 v[126:127], -v[120:121], v[122:123], 1.0
	v_fmac_f64_e32 v[122:123], v[122:123], v[126:127]
	v_mul_f64 v[126:127], v[124:125], v[122:123]
	v_fma_f64 v[120:121], -v[120:121], v[126:127], v[124:125]
	v_div_fmas_f64 v[120:121], v[120:121], v[122:123], v[126:127]
	v_div_fixup_f64 v[120:121], v[120:121], v[104:105], v[106:107]
	v_fmac_f64_e32 v[104:105], v[106:107], v[120:121]
	v_div_scale_f64 v[106:107], s[18:19], v[104:105], v[104:105], 1.0
	v_rcp_f64_e32 v[122:123], v[106:107]
	s_nop 0
	v_fma_f64 v[124:125], -v[106:107], v[122:123], 1.0
	v_fmac_f64_e32 v[122:123], v[122:123], v[124:125]
	v_fma_f64 v[124:125], -v[106:107], v[122:123], 1.0
	v_fmac_f64_e32 v[122:123], v[122:123], v[124:125]
	v_div_scale_f64 v[124:125], vcc, 1.0, v[104:105], 1.0
	v_mul_f64 v[126:127], v[124:125], v[122:123]
	v_fma_f64 v[106:107], -v[106:107], v[126:127], v[124:125]
	s_nop 1
	v_div_fmas_f64 v[106:107], v[106:107], v[122:123], v[126:127]
	v_div_fixup_f64 v[104:105], v[106:107], v[104:105], 1.0
	v_mul_f64 v[106:107], v[120:121], -v[104:105]
.LBB50_93:
	s_or_b64 exec, exec, s[16:17]
.LBB50_94:
	s_or_b64 exec, exec, s[0:1]
	v_cmp_ne_u32_e32 vcc, v117, v114
	s_and_saveexec_b64 s[0:1], vcc
	s_xor_b64 s[0:1], exec, s[0:1]
	s_cbranch_execz .LBB50_100
; %bb.95:
	v_cmp_eq_u32_e32 vcc, 4, v117
	s_and_saveexec_b64 s[16:17], vcc
	s_cbranch_execz .LBB50_99
; %bb.96:
	v_cmp_ne_u32_e32 vcc, 4, v114
	s_xor_b64 s[18:19], s[14:15], -1
	s_and_b64 s[22:23], s[18:19], vcc
	s_and_saveexec_b64 s[18:19], s[22:23]
	s_cbranch_execz .LBB50_98
; %bb.97:
	v_ashrrev_i32_e32 v115, 31, v114
	v_lshl_add_u64 v[120:121], v[114:115], 2, v[112:113]
	global_load_dword v115, v[120:121], off
	global_load_dword v117, v[112:113], off offset:16
	s_waitcnt vmcnt(1)
	global_store_dword v[112:113], v115, off offset:16
	s_waitcnt vmcnt(1)
	global_store_dword v[120:121], v117, off
.LBB50_98:
	s_or_b64 exec, exec, s[18:19]
	v_mov_b32_e32 v117, v114
	v_mov_b32_e32 v118, v114
.LBB50_99:
	s_or_b64 exec, exec, s[16:17]
.LBB50_100:
	s_andn2_saveexec_b64 s[0:1], s[0:1]
	s_cbranch_execz .LBB50_102
; %bb.101:
	v_mov_b32_e32 v117, 4
	s_waitcnt vmcnt(20)
	ds_write2_b64 v116, v[84:85], v[86:87] offset0:10 offset1:11
	s_waitcnt vmcnt(19)
	ds_write2_b64 v116, v[80:81], v[82:83] offset0:12 offset1:13
	;; [unrolled: 2-line block ×21, first 2 shown]
.LBB50_102:
	s_or_b64 exec, exec, s[0:1]
	v_cmp_lt_i32_e32 vcc, 4, v117
	s_waitcnt lgkmcnt(0)
	s_barrier
	s_and_saveexec_b64 s[0:1], vcc
	s_cbranch_execz .LBB50_104
; %bb.103:
	ds_read2_b64 v[120:123], v116 offset0:10 offset1:11
	v_mul_f64 v[114:115], v[106:107], v[90:91]
	v_mul_f64 v[90:91], v[104:105], v[90:91]
	v_fmac_f64_e32 v[90:91], v[106:107], v[88:89]
	v_fma_f64 v[114:115], v[104:105], v[88:89], -v[114:115]
	ds_read2_b64 v[104:107], v116 offset0:12 offset1:13
	s_waitcnt lgkmcnt(1)
	v_mul_f64 v[88:89], v[122:123], v[90:91]
	v_fma_f64 v[88:89], v[120:121], v[114:115], -v[88:89]
	v_mul_f64 v[120:121], v[120:121], v[90:91]
	v_fmac_f64_e32 v[120:121], v[122:123], v[114:115]
	s_waitcnt vmcnt(20)
	v_add_f64 v[86:87], v[86:87], -v[120:121]
	ds_read2_b64 v[120:123], v116 offset0:14 offset1:15
	v_add_f64 v[84:85], v[84:85], -v[88:89]
	s_waitcnt lgkmcnt(1)
	v_mul_f64 v[88:89], v[106:107], v[90:91]
	v_fma_f64 v[88:89], v[104:105], v[114:115], -v[88:89]
	v_mul_f64 v[104:105], v[104:105], v[90:91]
	v_fmac_f64_e32 v[104:105], v[106:107], v[114:115]
	s_waitcnt vmcnt(19)
	v_add_f64 v[80:81], v[80:81], -v[88:89]
	v_add_f64 v[82:83], v[82:83], -v[104:105]
	ds_read2_b64 v[104:107], v116 offset0:16 offset1:17
	s_waitcnt lgkmcnt(1)
	v_mul_f64 v[88:89], v[122:123], v[90:91]
	v_fma_f64 v[88:89], v[120:121], v[114:115], -v[88:89]
	v_mul_f64 v[120:121], v[120:121], v[90:91]
	v_fmac_f64_e32 v[120:121], v[122:123], v[114:115]
	s_waitcnt vmcnt(18)
	v_add_f64 v[78:79], v[78:79], -v[120:121]
	ds_read2_b64 v[120:123], v116 offset0:18 offset1:19
	v_add_f64 v[76:77], v[76:77], -v[88:89]
	s_waitcnt lgkmcnt(1)
	v_mul_f64 v[88:89], v[106:107], v[90:91]
	v_fma_f64 v[88:89], v[104:105], v[114:115], -v[88:89]
	v_mul_f64 v[104:105], v[104:105], v[90:91]
	v_fmac_f64_e32 v[104:105], v[106:107], v[114:115]
	s_waitcnt vmcnt(17)
	v_add_f64 v[64:65], v[64:65], -v[88:89]
	v_add_f64 v[66:67], v[66:67], -v[104:105]
	;; [unrolled: 18-line block ×10, first 2 shown]
	s_waitcnt lgkmcnt(0)
	v_mul_f64 v[88:89], v[122:123], v[90:91]
	v_mul_f64 v[104:105], v[120:121], v[90:91]
	v_fma_f64 v[88:89], v[120:121], v[114:115], -v[88:89]
	v_fmac_f64_e32 v[104:105], v[122:123], v[114:115]
	s_waitcnt vmcnt(0)
	v_add_f64 v[100:101], v[100:101], -v[88:89]
	v_add_f64 v[102:103], v[102:103], -v[104:105]
	v_mov_b64_e32 v[88:89], v[114:115]
.LBB50_104:
	s_or_b64 exec, exec, s[0:1]
	v_lshl_add_u32 v104, v117, 4, v116
	s_barrier
	s_waitcnt vmcnt(20)
	ds_write2_b64 v104, v[84:85], v[86:87] offset1:1
	s_waitcnt lgkmcnt(0)
	s_barrier
	ds_read2_b64 v[104:107], v116 offset0:10 offset1:11
	s_cmp_lt_i32 s20, 7
	v_mov_b32_e32 v114, 5
	s_cbranch_scc1 .LBB50_107
; %bb.105:
	v_add_u32_e32 v115, 0x60, v116
	s_mov_b32 s16, 6
	v_mov_b32_e32 v114, 5
.LBB50_106:                             ; =>This Inner Loop Header: Depth=1
	ds_read2_b64 v[120:123], v115 offset1:1
	s_waitcnt lgkmcnt(1)
	v_xor_b32_e32 v125, 0x80000000, v105
	v_xor_b32_e32 v127, 0x80000000, v107
	v_cmp_gt_f64_e32 vcc, 0, v[106:107]
	v_cmp_gt_f64_e64 s[0:1], 0, v[104:105]
	v_mov_b32_e32 v124, v104
	v_mov_b32_e32 v126, v106
	v_cndmask_b32_e64 v125, v105, v125, s[0:1]
	v_cndmask_b32_e32 v127, v107, v127, vcc
	v_add_f64 v[124:125], v[124:125], v[126:127]
	s_waitcnt lgkmcnt(0)
	v_xor_b32_e32 v127, 0x80000000, v121
	v_xor_b32_e32 v129, 0x80000000, v123
	v_cmp_gt_f64_e32 vcc, 0, v[122:123]
	v_cmp_gt_f64_e64 s[0:1], 0, v[120:121]
	v_mov_b32_e32 v126, v120
	v_mov_b32_e32 v128, v122
	v_cndmask_b32_e64 v127, v121, v127, s[0:1]
	v_cndmask_b32_e32 v129, v123, v129, vcc
	v_add_f64 v[126:127], v[126:127], v[128:129]
	v_mov_b32_e32 v130, s16
	s_add_i32 s16, s16, 1
	v_cmp_lt_f64_e32 vcc, v[124:125], v[126:127]
	v_add_u32_e32 v115, 16, v115
	s_cmp_lg_u32 s20, s16
	v_cndmask_b32_e32 v105, v105, v121, vcc
	v_cndmask_b32_e32 v104, v104, v120, vcc
	;; [unrolled: 1-line block ×5, first 2 shown]
	s_cbranch_scc1 .LBB50_106
.LBB50_107:
	s_waitcnt lgkmcnt(0)
	v_cmp_eq_f64_e32 vcc, 0, v[104:105]
	v_cmp_eq_f64_e64 s[0:1], 0, v[106:107]
	s_and_b64 s[0:1], vcc, s[0:1]
	s_and_saveexec_b64 s[16:17], s[0:1]
	s_xor_b64 s[0:1], exec, s[16:17]
; %bb.108:
	v_cmp_ne_u32_e32 vcc, 0, v119
	s_nop 1
	v_cndmask_b32_e32 v119, 6, v119, vcc
; %bb.109:
	s_andn2_saveexec_b64 s[0:1], s[0:1]
	s_cbranch_execz .LBB50_115
; %bb.110:
	v_cmp_ngt_f64_e64 s[16:17], |v[104:105]|, |v[106:107]|
	s_and_saveexec_b64 s[18:19], s[16:17]
	s_xor_b64 s[16:17], exec, s[18:19]
	s_cbranch_execz .LBB50_112
; %bb.111:
	v_div_scale_f64 v[120:121], s[18:19], v[106:107], v[106:107], v[104:105]
	v_rcp_f64_e32 v[122:123], v[120:121]
	v_div_scale_f64 v[124:125], vcc, v[104:105], v[106:107], v[104:105]
	v_fma_f64 v[126:127], -v[120:121], v[122:123], 1.0
	v_fmac_f64_e32 v[122:123], v[122:123], v[126:127]
	v_fma_f64 v[126:127], -v[120:121], v[122:123], 1.0
	v_fmac_f64_e32 v[122:123], v[122:123], v[126:127]
	v_mul_f64 v[126:127], v[124:125], v[122:123]
	v_fma_f64 v[120:121], -v[120:121], v[126:127], v[124:125]
	v_div_fmas_f64 v[120:121], v[120:121], v[122:123], v[126:127]
	v_div_fixup_f64 v[120:121], v[120:121], v[106:107], v[104:105]
	v_fmac_f64_e32 v[106:107], v[104:105], v[120:121]
	v_div_scale_f64 v[104:105], s[18:19], v[106:107], v[106:107], 1.0
	v_rcp_f64_e32 v[122:123], v[104:105]
	s_nop 0
	v_fma_f64 v[124:125], -v[104:105], v[122:123], 1.0
	v_fmac_f64_e32 v[122:123], v[122:123], v[124:125]
	v_fma_f64 v[124:125], -v[104:105], v[122:123], 1.0
	v_fmac_f64_e32 v[122:123], v[122:123], v[124:125]
	v_div_scale_f64 v[124:125], vcc, 1.0, v[106:107], 1.0
	v_mul_f64 v[126:127], v[124:125], v[122:123]
	v_fma_f64 v[104:105], -v[104:105], v[126:127], v[124:125]
	s_nop 1
	v_div_fmas_f64 v[104:105], v[104:105], v[122:123], v[126:127]
	v_div_fixup_f64 v[106:107], v[104:105], v[106:107], 1.0
	v_mul_f64 v[104:105], v[120:121], v[106:107]
	v_xor_b32_e32 v107, 0x80000000, v107
.LBB50_112:
	s_andn2_saveexec_b64 s[16:17], s[16:17]
	s_cbranch_execz .LBB50_114
; %bb.113:
	v_div_scale_f64 v[120:121], s[18:19], v[104:105], v[104:105], v[106:107]
	v_rcp_f64_e32 v[122:123], v[120:121]
	v_div_scale_f64 v[124:125], vcc, v[106:107], v[104:105], v[106:107]
	v_fma_f64 v[126:127], -v[120:121], v[122:123], 1.0
	v_fmac_f64_e32 v[122:123], v[122:123], v[126:127]
	v_fma_f64 v[126:127], -v[120:121], v[122:123], 1.0
	v_fmac_f64_e32 v[122:123], v[122:123], v[126:127]
	v_mul_f64 v[126:127], v[124:125], v[122:123]
	v_fma_f64 v[120:121], -v[120:121], v[126:127], v[124:125]
	v_div_fmas_f64 v[120:121], v[120:121], v[122:123], v[126:127]
	v_div_fixup_f64 v[120:121], v[120:121], v[104:105], v[106:107]
	v_fmac_f64_e32 v[104:105], v[106:107], v[120:121]
	v_div_scale_f64 v[106:107], s[18:19], v[104:105], v[104:105], 1.0
	v_rcp_f64_e32 v[122:123], v[106:107]
	s_nop 0
	v_fma_f64 v[124:125], -v[106:107], v[122:123], 1.0
	v_fmac_f64_e32 v[122:123], v[122:123], v[124:125]
	v_fma_f64 v[124:125], -v[106:107], v[122:123], 1.0
	v_fmac_f64_e32 v[122:123], v[122:123], v[124:125]
	v_div_scale_f64 v[124:125], vcc, 1.0, v[104:105], 1.0
	v_mul_f64 v[126:127], v[124:125], v[122:123]
	v_fma_f64 v[106:107], -v[106:107], v[126:127], v[124:125]
	s_nop 1
	v_div_fmas_f64 v[106:107], v[106:107], v[122:123], v[126:127]
	v_div_fixup_f64 v[104:105], v[106:107], v[104:105], 1.0
	v_mul_f64 v[106:107], v[120:121], -v[104:105]
.LBB50_114:
	s_or_b64 exec, exec, s[16:17]
.LBB50_115:
	s_or_b64 exec, exec, s[0:1]
	v_cmp_ne_u32_e32 vcc, v117, v114
	s_and_saveexec_b64 s[0:1], vcc
	s_xor_b64 s[0:1], exec, s[0:1]
	s_cbranch_execz .LBB50_121
; %bb.116:
	v_cmp_eq_u32_e32 vcc, 5, v117
	s_and_saveexec_b64 s[16:17], vcc
	s_cbranch_execz .LBB50_120
; %bb.117:
	v_cmp_ne_u32_e32 vcc, 5, v114
	s_xor_b64 s[18:19], s[14:15], -1
	s_and_b64 s[22:23], s[18:19], vcc
	s_and_saveexec_b64 s[18:19], s[22:23]
	s_cbranch_execz .LBB50_119
; %bb.118:
	v_ashrrev_i32_e32 v115, 31, v114
	v_lshl_add_u64 v[120:121], v[114:115], 2, v[112:113]
	global_load_dword v115, v[120:121], off
	global_load_dword v117, v[112:113], off offset:20
	s_waitcnt vmcnt(1)
	global_store_dword v[112:113], v115, off offset:20
	s_waitcnt vmcnt(1)
	global_store_dword v[120:121], v117, off
.LBB50_119:
	s_or_b64 exec, exec, s[18:19]
	v_mov_b32_e32 v117, v114
	v_mov_b32_e32 v118, v114
.LBB50_120:
	s_or_b64 exec, exec, s[16:17]
.LBB50_121:
	s_andn2_saveexec_b64 s[0:1], s[0:1]
	s_cbranch_execz .LBB50_123
; %bb.122:
	v_mov_b32_e32 v117, 5
	s_waitcnt vmcnt(19)
	ds_write2_b64 v116, v[80:81], v[82:83] offset0:12 offset1:13
	s_waitcnt vmcnt(18)
	ds_write2_b64 v116, v[76:77], v[78:79] offset0:14 offset1:15
	;; [unrolled: 2-line block ×20, first 2 shown]
.LBB50_123:
	s_or_b64 exec, exec, s[0:1]
	v_cmp_lt_i32_e32 vcc, 5, v117
	s_waitcnt lgkmcnt(0)
	s_barrier
	s_and_saveexec_b64 s[0:1], vcc
	s_cbranch_execz .LBB50_125
; %bb.124:
	ds_read2_b64 v[120:123], v116 offset0:12 offset1:13
	v_mul_f64 v[114:115], v[106:107], v[86:87]
	v_mul_f64 v[86:87], v[104:105], v[86:87]
	v_fma_f64 v[114:115], v[104:105], v[84:85], -v[114:115]
	v_fmac_f64_e32 v[86:87], v[106:107], v[84:85]
	ds_read2_b64 v[104:107], v116 offset0:14 offset1:15
	s_waitcnt lgkmcnt(1)
	v_mul_f64 v[84:85], v[122:123], v[86:87]
	v_fma_f64 v[84:85], v[120:121], v[114:115], -v[84:85]
	v_mul_f64 v[120:121], v[120:121], v[86:87]
	v_fmac_f64_e32 v[120:121], v[122:123], v[114:115]
	s_waitcnt vmcnt(19)
	v_add_f64 v[80:81], v[80:81], -v[84:85]
	s_waitcnt lgkmcnt(0)
	v_mul_f64 v[84:85], v[106:107], v[86:87]
	v_add_f64 v[82:83], v[82:83], -v[120:121]
	v_fma_f64 v[84:85], v[104:105], v[114:115], -v[84:85]
	v_mul_f64 v[104:105], v[104:105], v[86:87]
	ds_read2_b64 v[120:123], v116 offset0:16 offset1:17
	v_fmac_f64_e32 v[104:105], v[106:107], v[114:115]
	s_waitcnt vmcnt(18)
	v_add_f64 v[78:79], v[78:79], -v[104:105]
	ds_read2_b64 v[104:107], v116 offset0:18 offset1:19
	v_add_f64 v[76:77], v[76:77], -v[84:85]
	s_waitcnt lgkmcnt(1)
	v_mul_f64 v[84:85], v[122:123], v[86:87]
	v_fma_f64 v[84:85], v[120:121], v[114:115], -v[84:85]
	v_mul_f64 v[120:121], v[120:121], v[86:87]
	v_fmac_f64_e32 v[120:121], v[122:123], v[114:115]
	s_waitcnt vmcnt(17)
	v_add_f64 v[64:65], v[64:65], -v[84:85]
	s_waitcnt lgkmcnt(0)
	v_mul_f64 v[84:85], v[106:107], v[86:87]
	v_add_f64 v[66:67], v[66:67], -v[120:121]
	v_fma_f64 v[84:85], v[104:105], v[114:115], -v[84:85]
	v_mul_f64 v[104:105], v[104:105], v[86:87]
	ds_read2_b64 v[120:123], v116 offset0:20 offset1:21
	v_fmac_f64_e32 v[104:105], v[106:107], v[114:115]
	s_waitcnt vmcnt(16)
	v_add_f64 v[62:63], v[62:63], -v[104:105]
	ds_read2_b64 v[104:107], v116 offset0:22 offset1:23
	v_add_f64 v[60:61], v[60:61], -v[84:85]
	;; [unrolled: 18-line block ×9, first 2 shown]
	s_waitcnt lgkmcnt(1)
	v_mul_f64 v[84:85], v[122:123], v[86:87]
	v_fma_f64 v[84:85], v[120:121], v[114:115], -v[84:85]
	s_waitcnt vmcnt(1)
	v_add_f64 v[0:1], v[0:1], -v[84:85]
	s_waitcnt lgkmcnt(0)
	v_mul_f64 v[84:85], v[106:107], v[86:87]
	v_mul_f64 v[120:121], v[120:121], v[86:87]
	v_fma_f64 v[84:85], v[104:105], v[114:115], -v[84:85]
	v_mul_f64 v[104:105], v[104:105], v[86:87]
	v_fmac_f64_e32 v[120:121], v[122:123], v[114:115]
	v_fmac_f64_e32 v[104:105], v[106:107], v[114:115]
	v_add_f64 v[2:3], v[2:3], -v[120:121]
	s_waitcnt vmcnt(0)
	v_add_f64 v[100:101], v[100:101], -v[84:85]
	v_add_f64 v[102:103], v[102:103], -v[104:105]
	v_mov_b64_e32 v[84:85], v[114:115]
.LBB50_125:
	s_or_b64 exec, exec, s[0:1]
	v_lshl_add_u32 v104, v117, 4, v116
	s_barrier
	s_waitcnt vmcnt(19)
	ds_write2_b64 v104, v[80:81], v[82:83] offset1:1
	s_waitcnt lgkmcnt(0)
	s_barrier
	ds_read2_b64 v[104:107], v116 offset0:12 offset1:13
	s_cmp_lt_i32 s20, 8
	v_mov_b32_e32 v114, 6
	s_cbranch_scc1 .LBB50_128
; %bb.126:
	v_add_u32_e32 v115, 0x70, v116
	s_mov_b32 s16, 7
	v_mov_b32_e32 v114, 6
.LBB50_127:                             ; =>This Inner Loop Header: Depth=1
	ds_read2_b64 v[120:123], v115 offset1:1
	s_waitcnt lgkmcnt(1)
	v_xor_b32_e32 v125, 0x80000000, v105
	v_xor_b32_e32 v127, 0x80000000, v107
	v_cmp_gt_f64_e32 vcc, 0, v[106:107]
	v_cmp_gt_f64_e64 s[0:1], 0, v[104:105]
	v_mov_b32_e32 v124, v104
	v_mov_b32_e32 v126, v106
	v_cndmask_b32_e64 v125, v105, v125, s[0:1]
	v_cndmask_b32_e32 v127, v107, v127, vcc
	v_add_f64 v[124:125], v[124:125], v[126:127]
	s_waitcnt lgkmcnt(0)
	v_xor_b32_e32 v127, 0x80000000, v121
	v_xor_b32_e32 v129, 0x80000000, v123
	v_cmp_gt_f64_e32 vcc, 0, v[122:123]
	v_cmp_gt_f64_e64 s[0:1], 0, v[120:121]
	v_mov_b32_e32 v126, v120
	v_mov_b32_e32 v128, v122
	v_cndmask_b32_e64 v127, v121, v127, s[0:1]
	v_cndmask_b32_e32 v129, v123, v129, vcc
	v_add_f64 v[126:127], v[126:127], v[128:129]
	v_mov_b32_e32 v130, s16
	s_add_i32 s16, s16, 1
	v_cmp_lt_f64_e32 vcc, v[124:125], v[126:127]
	v_add_u32_e32 v115, 16, v115
	s_cmp_lg_u32 s20, s16
	v_cndmask_b32_e32 v105, v105, v121, vcc
	v_cndmask_b32_e32 v104, v104, v120, vcc
	;; [unrolled: 1-line block ×5, first 2 shown]
	s_cbranch_scc1 .LBB50_127
.LBB50_128:
	s_waitcnt lgkmcnt(0)
	v_cmp_eq_f64_e32 vcc, 0, v[104:105]
	v_cmp_eq_f64_e64 s[0:1], 0, v[106:107]
	s_and_b64 s[0:1], vcc, s[0:1]
	s_and_saveexec_b64 s[16:17], s[0:1]
	s_xor_b64 s[0:1], exec, s[16:17]
; %bb.129:
	v_cmp_ne_u32_e32 vcc, 0, v119
	s_nop 1
	v_cndmask_b32_e32 v119, 7, v119, vcc
; %bb.130:
	s_andn2_saveexec_b64 s[0:1], s[0:1]
	s_cbranch_execz .LBB50_136
; %bb.131:
	v_cmp_ngt_f64_e64 s[16:17], |v[104:105]|, |v[106:107]|
	s_and_saveexec_b64 s[18:19], s[16:17]
	s_xor_b64 s[16:17], exec, s[18:19]
	s_cbranch_execz .LBB50_133
; %bb.132:
	v_div_scale_f64 v[120:121], s[18:19], v[106:107], v[106:107], v[104:105]
	v_rcp_f64_e32 v[122:123], v[120:121]
	v_div_scale_f64 v[124:125], vcc, v[104:105], v[106:107], v[104:105]
	v_fma_f64 v[126:127], -v[120:121], v[122:123], 1.0
	v_fmac_f64_e32 v[122:123], v[122:123], v[126:127]
	v_fma_f64 v[126:127], -v[120:121], v[122:123], 1.0
	v_fmac_f64_e32 v[122:123], v[122:123], v[126:127]
	v_mul_f64 v[126:127], v[124:125], v[122:123]
	v_fma_f64 v[120:121], -v[120:121], v[126:127], v[124:125]
	v_div_fmas_f64 v[120:121], v[120:121], v[122:123], v[126:127]
	v_div_fixup_f64 v[120:121], v[120:121], v[106:107], v[104:105]
	v_fmac_f64_e32 v[106:107], v[104:105], v[120:121]
	v_div_scale_f64 v[104:105], s[18:19], v[106:107], v[106:107], 1.0
	v_rcp_f64_e32 v[122:123], v[104:105]
	s_nop 0
	v_fma_f64 v[124:125], -v[104:105], v[122:123], 1.0
	v_fmac_f64_e32 v[122:123], v[122:123], v[124:125]
	v_fma_f64 v[124:125], -v[104:105], v[122:123], 1.0
	v_fmac_f64_e32 v[122:123], v[122:123], v[124:125]
	v_div_scale_f64 v[124:125], vcc, 1.0, v[106:107], 1.0
	v_mul_f64 v[126:127], v[124:125], v[122:123]
	v_fma_f64 v[104:105], -v[104:105], v[126:127], v[124:125]
	s_nop 1
	v_div_fmas_f64 v[104:105], v[104:105], v[122:123], v[126:127]
	v_div_fixup_f64 v[106:107], v[104:105], v[106:107], 1.0
	v_mul_f64 v[104:105], v[120:121], v[106:107]
	v_xor_b32_e32 v107, 0x80000000, v107
.LBB50_133:
	s_andn2_saveexec_b64 s[16:17], s[16:17]
	s_cbranch_execz .LBB50_135
; %bb.134:
	v_div_scale_f64 v[120:121], s[18:19], v[104:105], v[104:105], v[106:107]
	v_rcp_f64_e32 v[122:123], v[120:121]
	v_div_scale_f64 v[124:125], vcc, v[106:107], v[104:105], v[106:107]
	v_fma_f64 v[126:127], -v[120:121], v[122:123], 1.0
	v_fmac_f64_e32 v[122:123], v[122:123], v[126:127]
	v_fma_f64 v[126:127], -v[120:121], v[122:123], 1.0
	v_fmac_f64_e32 v[122:123], v[122:123], v[126:127]
	v_mul_f64 v[126:127], v[124:125], v[122:123]
	v_fma_f64 v[120:121], -v[120:121], v[126:127], v[124:125]
	v_div_fmas_f64 v[120:121], v[120:121], v[122:123], v[126:127]
	v_div_fixup_f64 v[120:121], v[120:121], v[104:105], v[106:107]
	v_fmac_f64_e32 v[104:105], v[106:107], v[120:121]
	v_div_scale_f64 v[106:107], s[18:19], v[104:105], v[104:105], 1.0
	v_rcp_f64_e32 v[122:123], v[106:107]
	s_nop 0
	v_fma_f64 v[124:125], -v[106:107], v[122:123], 1.0
	v_fmac_f64_e32 v[122:123], v[122:123], v[124:125]
	v_fma_f64 v[124:125], -v[106:107], v[122:123], 1.0
	v_fmac_f64_e32 v[122:123], v[122:123], v[124:125]
	v_div_scale_f64 v[124:125], vcc, 1.0, v[104:105], 1.0
	v_mul_f64 v[126:127], v[124:125], v[122:123]
	v_fma_f64 v[106:107], -v[106:107], v[126:127], v[124:125]
	s_nop 1
	v_div_fmas_f64 v[106:107], v[106:107], v[122:123], v[126:127]
	v_div_fixup_f64 v[104:105], v[106:107], v[104:105], 1.0
	v_mul_f64 v[106:107], v[120:121], -v[104:105]
.LBB50_135:
	s_or_b64 exec, exec, s[16:17]
.LBB50_136:
	s_or_b64 exec, exec, s[0:1]
	v_cmp_ne_u32_e32 vcc, v117, v114
	s_and_saveexec_b64 s[0:1], vcc
	s_xor_b64 s[0:1], exec, s[0:1]
	s_cbranch_execz .LBB50_142
; %bb.137:
	v_cmp_eq_u32_e32 vcc, 6, v117
	s_and_saveexec_b64 s[16:17], vcc
	s_cbranch_execz .LBB50_141
; %bb.138:
	v_cmp_ne_u32_e32 vcc, 6, v114
	s_xor_b64 s[18:19], s[14:15], -1
	s_and_b64 s[22:23], s[18:19], vcc
	s_and_saveexec_b64 s[18:19], s[22:23]
	s_cbranch_execz .LBB50_140
; %bb.139:
	v_ashrrev_i32_e32 v115, 31, v114
	v_lshl_add_u64 v[120:121], v[114:115], 2, v[112:113]
	global_load_dword v115, v[120:121], off
	global_load_dword v117, v[112:113], off offset:24
	s_waitcnt vmcnt(1)
	global_store_dword v[112:113], v115, off offset:24
	s_waitcnt vmcnt(1)
	global_store_dword v[120:121], v117, off
.LBB50_140:
	s_or_b64 exec, exec, s[18:19]
	v_mov_b32_e32 v117, v114
	v_mov_b32_e32 v118, v114
.LBB50_141:
	s_or_b64 exec, exec, s[16:17]
.LBB50_142:
	s_andn2_saveexec_b64 s[0:1], s[0:1]
	s_cbranch_execz .LBB50_144
; %bb.143:
	v_mov_b32_e32 v117, 6
	s_waitcnt vmcnt(18)
	ds_write2_b64 v116, v[76:77], v[78:79] offset0:14 offset1:15
	s_waitcnt vmcnt(17)
	ds_write2_b64 v116, v[64:65], v[66:67] offset0:16 offset1:17
	;; [unrolled: 2-line block ×19, first 2 shown]
.LBB50_144:
	s_or_b64 exec, exec, s[0:1]
	v_cmp_lt_i32_e32 vcc, 6, v117
	s_waitcnt lgkmcnt(0)
	s_barrier
	s_and_saveexec_b64 s[0:1], vcc
	s_cbranch_execz .LBB50_146
; %bb.145:
	ds_read2_b64 v[120:123], v116 offset0:14 offset1:15
	v_mul_f64 v[114:115], v[106:107], v[82:83]
	v_mul_f64 v[82:83], v[104:105], v[82:83]
	v_fmac_f64_e32 v[82:83], v[106:107], v[80:81]
	v_fma_f64 v[114:115], v[104:105], v[80:81], -v[114:115]
	ds_read2_b64 v[104:107], v116 offset0:16 offset1:17
	s_waitcnt lgkmcnt(1)
	v_mul_f64 v[80:81], v[122:123], v[82:83]
	v_fma_f64 v[80:81], v[120:121], v[114:115], -v[80:81]
	v_mul_f64 v[120:121], v[120:121], v[82:83]
	v_fmac_f64_e32 v[120:121], v[122:123], v[114:115]
	s_waitcnt vmcnt(18)
	v_add_f64 v[78:79], v[78:79], -v[120:121]
	ds_read2_b64 v[120:123], v116 offset0:18 offset1:19
	v_add_f64 v[76:77], v[76:77], -v[80:81]
	s_waitcnt lgkmcnt(1)
	v_mul_f64 v[80:81], v[106:107], v[82:83]
	v_fma_f64 v[80:81], v[104:105], v[114:115], -v[80:81]
	v_mul_f64 v[104:105], v[104:105], v[82:83]
	v_fmac_f64_e32 v[104:105], v[106:107], v[114:115]
	s_waitcnt vmcnt(17)
	v_add_f64 v[64:65], v[64:65], -v[80:81]
	v_add_f64 v[66:67], v[66:67], -v[104:105]
	ds_read2_b64 v[104:107], v116 offset0:20 offset1:21
	s_waitcnt lgkmcnt(1)
	v_mul_f64 v[80:81], v[122:123], v[82:83]
	v_fma_f64 v[80:81], v[120:121], v[114:115], -v[80:81]
	v_mul_f64 v[120:121], v[120:121], v[82:83]
	v_fmac_f64_e32 v[120:121], v[122:123], v[114:115]
	s_waitcnt vmcnt(16)
	v_add_f64 v[62:63], v[62:63], -v[120:121]
	ds_read2_b64 v[120:123], v116 offset0:22 offset1:23
	v_add_f64 v[60:61], v[60:61], -v[80:81]
	s_waitcnt lgkmcnt(1)
	v_mul_f64 v[80:81], v[106:107], v[82:83]
	v_fma_f64 v[80:81], v[104:105], v[114:115], -v[80:81]
	v_mul_f64 v[104:105], v[104:105], v[82:83]
	v_fmac_f64_e32 v[104:105], v[106:107], v[114:115]
	s_waitcnt vmcnt(15)
	v_add_f64 v[56:57], v[56:57], -v[80:81]
	v_add_f64 v[58:59], v[58:59], -v[104:105]
	;; [unrolled: 18-line block ×9, first 2 shown]
	s_waitcnt lgkmcnt(0)
	v_mul_f64 v[80:81], v[122:123], v[82:83]
	v_mul_f64 v[104:105], v[120:121], v[82:83]
	v_fma_f64 v[80:81], v[120:121], v[114:115], -v[80:81]
	v_fmac_f64_e32 v[104:105], v[122:123], v[114:115]
	s_waitcnt vmcnt(0)
	v_add_f64 v[100:101], v[100:101], -v[80:81]
	v_add_f64 v[102:103], v[102:103], -v[104:105]
	v_mov_b64_e32 v[80:81], v[114:115]
.LBB50_146:
	s_or_b64 exec, exec, s[0:1]
	v_lshl_add_u32 v104, v117, 4, v116
	s_barrier
	s_waitcnt vmcnt(18)
	ds_write2_b64 v104, v[76:77], v[78:79] offset1:1
	s_waitcnt lgkmcnt(0)
	s_barrier
	ds_read2_b64 v[104:107], v116 offset0:14 offset1:15
	s_cmp_lt_i32 s20, 9
	v_mov_b32_e32 v114, 7
	s_cbranch_scc1 .LBB50_149
; %bb.147:
	v_add_u32_e32 v115, 0x80, v116
	s_mov_b32 s16, 8
	v_mov_b32_e32 v114, 7
.LBB50_148:                             ; =>This Inner Loop Header: Depth=1
	ds_read2_b64 v[120:123], v115 offset1:1
	s_waitcnt lgkmcnt(1)
	v_xor_b32_e32 v125, 0x80000000, v105
	v_xor_b32_e32 v127, 0x80000000, v107
	v_cmp_gt_f64_e32 vcc, 0, v[106:107]
	v_cmp_gt_f64_e64 s[0:1], 0, v[104:105]
	v_mov_b32_e32 v124, v104
	v_mov_b32_e32 v126, v106
	v_cndmask_b32_e64 v125, v105, v125, s[0:1]
	v_cndmask_b32_e32 v127, v107, v127, vcc
	v_add_f64 v[124:125], v[124:125], v[126:127]
	s_waitcnt lgkmcnt(0)
	v_xor_b32_e32 v127, 0x80000000, v121
	v_xor_b32_e32 v129, 0x80000000, v123
	v_cmp_gt_f64_e32 vcc, 0, v[122:123]
	v_cmp_gt_f64_e64 s[0:1], 0, v[120:121]
	v_mov_b32_e32 v126, v120
	v_mov_b32_e32 v128, v122
	v_cndmask_b32_e64 v127, v121, v127, s[0:1]
	v_cndmask_b32_e32 v129, v123, v129, vcc
	v_add_f64 v[126:127], v[126:127], v[128:129]
	v_mov_b32_e32 v130, s16
	s_add_i32 s16, s16, 1
	v_cmp_lt_f64_e32 vcc, v[124:125], v[126:127]
	v_add_u32_e32 v115, 16, v115
	s_cmp_lg_u32 s20, s16
	v_cndmask_b32_e32 v105, v105, v121, vcc
	v_cndmask_b32_e32 v104, v104, v120, vcc
	;; [unrolled: 1-line block ×5, first 2 shown]
	s_cbranch_scc1 .LBB50_148
.LBB50_149:
	s_waitcnt lgkmcnt(0)
	v_cmp_eq_f64_e32 vcc, 0, v[104:105]
	v_cmp_eq_f64_e64 s[0:1], 0, v[106:107]
	s_and_b64 s[0:1], vcc, s[0:1]
	s_and_saveexec_b64 s[16:17], s[0:1]
	s_xor_b64 s[0:1], exec, s[16:17]
; %bb.150:
	v_cmp_ne_u32_e32 vcc, 0, v119
	s_nop 1
	v_cndmask_b32_e32 v119, 8, v119, vcc
; %bb.151:
	s_andn2_saveexec_b64 s[0:1], s[0:1]
	s_cbranch_execz .LBB50_157
; %bb.152:
	v_cmp_ngt_f64_e64 s[16:17], |v[104:105]|, |v[106:107]|
	s_and_saveexec_b64 s[18:19], s[16:17]
	s_xor_b64 s[16:17], exec, s[18:19]
	s_cbranch_execz .LBB50_154
; %bb.153:
	v_div_scale_f64 v[120:121], s[18:19], v[106:107], v[106:107], v[104:105]
	v_rcp_f64_e32 v[122:123], v[120:121]
	v_div_scale_f64 v[124:125], vcc, v[104:105], v[106:107], v[104:105]
	v_fma_f64 v[126:127], -v[120:121], v[122:123], 1.0
	v_fmac_f64_e32 v[122:123], v[122:123], v[126:127]
	v_fma_f64 v[126:127], -v[120:121], v[122:123], 1.0
	v_fmac_f64_e32 v[122:123], v[122:123], v[126:127]
	v_mul_f64 v[126:127], v[124:125], v[122:123]
	v_fma_f64 v[120:121], -v[120:121], v[126:127], v[124:125]
	v_div_fmas_f64 v[120:121], v[120:121], v[122:123], v[126:127]
	v_div_fixup_f64 v[120:121], v[120:121], v[106:107], v[104:105]
	v_fmac_f64_e32 v[106:107], v[104:105], v[120:121]
	v_div_scale_f64 v[104:105], s[18:19], v[106:107], v[106:107], 1.0
	v_rcp_f64_e32 v[122:123], v[104:105]
	s_nop 0
	v_fma_f64 v[124:125], -v[104:105], v[122:123], 1.0
	v_fmac_f64_e32 v[122:123], v[122:123], v[124:125]
	v_fma_f64 v[124:125], -v[104:105], v[122:123], 1.0
	v_fmac_f64_e32 v[122:123], v[122:123], v[124:125]
	v_div_scale_f64 v[124:125], vcc, 1.0, v[106:107], 1.0
	v_mul_f64 v[126:127], v[124:125], v[122:123]
	v_fma_f64 v[104:105], -v[104:105], v[126:127], v[124:125]
	s_nop 1
	v_div_fmas_f64 v[104:105], v[104:105], v[122:123], v[126:127]
	v_div_fixup_f64 v[106:107], v[104:105], v[106:107], 1.0
	v_mul_f64 v[104:105], v[120:121], v[106:107]
	v_xor_b32_e32 v107, 0x80000000, v107
.LBB50_154:
	s_andn2_saveexec_b64 s[16:17], s[16:17]
	s_cbranch_execz .LBB50_156
; %bb.155:
	v_div_scale_f64 v[120:121], s[18:19], v[104:105], v[104:105], v[106:107]
	v_rcp_f64_e32 v[122:123], v[120:121]
	v_div_scale_f64 v[124:125], vcc, v[106:107], v[104:105], v[106:107]
	v_fma_f64 v[126:127], -v[120:121], v[122:123], 1.0
	v_fmac_f64_e32 v[122:123], v[122:123], v[126:127]
	v_fma_f64 v[126:127], -v[120:121], v[122:123], 1.0
	v_fmac_f64_e32 v[122:123], v[122:123], v[126:127]
	v_mul_f64 v[126:127], v[124:125], v[122:123]
	v_fma_f64 v[120:121], -v[120:121], v[126:127], v[124:125]
	v_div_fmas_f64 v[120:121], v[120:121], v[122:123], v[126:127]
	v_div_fixup_f64 v[120:121], v[120:121], v[104:105], v[106:107]
	v_fmac_f64_e32 v[104:105], v[106:107], v[120:121]
	v_div_scale_f64 v[106:107], s[18:19], v[104:105], v[104:105], 1.0
	v_rcp_f64_e32 v[122:123], v[106:107]
	s_nop 0
	v_fma_f64 v[124:125], -v[106:107], v[122:123], 1.0
	v_fmac_f64_e32 v[122:123], v[122:123], v[124:125]
	v_fma_f64 v[124:125], -v[106:107], v[122:123], 1.0
	v_fmac_f64_e32 v[122:123], v[122:123], v[124:125]
	v_div_scale_f64 v[124:125], vcc, 1.0, v[104:105], 1.0
	v_mul_f64 v[126:127], v[124:125], v[122:123]
	v_fma_f64 v[106:107], -v[106:107], v[126:127], v[124:125]
	s_nop 1
	v_div_fmas_f64 v[106:107], v[106:107], v[122:123], v[126:127]
	v_div_fixup_f64 v[104:105], v[106:107], v[104:105], 1.0
	v_mul_f64 v[106:107], v[120:121], -v[104:105]
.LBB50_156:
	s_or_b64 exec, exec, s[16:17]
.LBB50_157:
	s_or_b64 exec, exec, s[0:1]
	v_cmp_ne_u32_e32 vcc, v117, v114
	s_and_saveexec_b64 s[0:1], vcc
	s_xor_b64 s[0:1], exec, s[0:1]
	s_cbranch_execz .LBB50_163
; %bb.158:
	v_cmp_eq_u32_e32 vcc, 7, v117
	s_and_saveexec_b64 s[16:17], vcc
	s_cbranch_execz .LBB50_162
; %bb.159:
	v_cmp_ne_u32_e32 vcc, 7, v114
	s_xor_b64 s[18:19], s[14:15], -1
	s_and_b64 s[22:23], s[18:19], vcc
	s_and_saveexec_b64 s[18:19], s[22:23]
	s_cbranch_execz .LBB50_161
; %bb.160:
	v_ashrrev_i32_e32 v115, 31, v114
	v_lshl_add_u64 v[120:121], v[114:115], 2, v[112:113]
	global_load_dword v115, v[120:121], off
	global_load_dword v117, v[112:113], off offset:28
	s_waitcnt vmcnt(1)
	global_store_dword v[112:113], v115, off offset:28
	s_waitcnt vmcnt(1)
	global_store_dword v[120:121], v117, off
.LBB50_161:
	s_or_b64 exec, exec, s[18:19]
	v_mov_b32_e32 v117, v114
	v_mov_b32_e32 v118, v114
.LBB50_162:
	s_or_b64 exec, exec, s[16:17]
.LBB50_163:
	s_andn2_saveexec_b64 s[0:1], s[0:1]
	s_cbranch_execz .LBB50_165
; %bb.164:
	v_mov_b32_e32 v117, 7
	s_waitcnt vmcnt(17)
	ds_write2_b64 v116, v[64:65], v[66:67] offset0:16 offset1:17
	s_waitcnt vmcnt(16)
	ds_write2_b64 v116, v[60:61], v[62:63] offset0:18 offset1:19
	;; [unrolled: 2-line block ×18, first 2 shown]
.LBB50_165:
	s_or_b64 exec, exec, s[0:1]
	v_cmp_lt_i32_e32 vcc, 7, v117
	s_waitcnt lgkmcnt(0)
	s_barrier
	s_and_saveexec_b64 s[0:1], vcc
	s_cbranch_execz .LBB50_167
; %bb.166:
	ds_read2_b64 v[120:123], v116 offset0:16 offset1:17
	v_mul_f64 v[114:115], v[106:107], v[78:79]
	v_mul_f64 v[78:79], v[104:105], v[78:79]
	v_fma_f64 v[114:115], v[104:105], v[76:77], -v[114:115]
	v_fmac_f64_e32 v[78:79], v[106:107], v[76:77]
	ds_read2_b64 v[104:107], v116 offset0:18 offset1:19
	s_waitcnt lgkmcnt(1)
	v_mul_f64 v[76:77], v[122:123], v[78:79]
	v_fma_f64 v[76:77], v[120:121], v[114:115], -v[76:77]
	v_mul_f64 v[120:121], v[120:121], v[78:79]
	v_fmac_f64_e32 v[120:121], v[122:123], v[114:115]
	s_waitcnt vmcnt(17)
	v_add_f64 v[64:65], v[64:65], -v[76:77]
	s_waitcnt lgkmcnt(0)
	v_mul_f64 v[76:77], v[106:107], v[78:79]
	v_add_f64 v[66:67], v[66:67], -v[120:121]
	v_fma_f64 v[76:77], v[104:105], v[114:115], -v[76:77]
	v_mul_f64 v[104:105], v[104:105], v[78:79]
	ds_read2_b64 v[120:123], v116 offset0:20 offset1:21
	v_fmac_f64_e32 v[104:105], v[106:107], v[114:115]
	s_waitcnt vmcnt(16)
	v_add_f64 v[62:63], v[62:63], -v[104:105]
	ds_read2_b64 v[104:107], v116 offset0:22 offset1:23
	v_add_f64 v[60:61], v[60:61], -v[76:77]
	s_waitcnt lgkmcnt(1)
	v_mul_f64 v[76:77], v[122:123], v[78:79]
	v_fma_f64 v[76:77], v[120:121], v[114:115], -v[76:77]
	v_mul_f64 v[120:121], v[120:121], v[78:79]
	v_fmac_f64_e32 v[120:121], v[122:123], v[114:115]
	s_waitcnt vmcnt(15)
	v_add_f64 v[56:57], v[56:57], -v[76:77]
	s_waitcnt lgkmcnt(0)
	v_mul_f64 v[76:77], v[106:107], v[78:79]
	v_add_f64 v[58:59], v[58:59], -v[120:121]
	v_fma_f64 v[76:77], v[104:105], v[114:115], -v[76:77]
	v_mul_f64 v[104:105], v[104:105], v[78:79]
	ds_read2_b64 v[120:123], v116 offset0:24 offset1:25
	v_fmac_f64_e32 v[104:105], v[106:107], v[114:115]
	s_waitcnt vmcnt(14)
	v_add_f64 v[54:55], v[54:55], -v[104:105]
	ds_read2_b64 v[104:107], v116 offset0:26 offset1:27
	v_add_f64 v[52:53], v[52:53], -v[76:77]
	;; [unrolled: 18-line block ×8, first 2 shown]
	s_waitcnt lgkmcnt(1)
	v_mul_f64 v[76:77], v[122:123], v[78:79]
	v_fma_f64 v[76:77], v[120:121], v[114:115], -v[76:77]
	s_waitcnt vmcnt(1)
	v_add_f64 v[0:1], v[0:1], -v[76:77]
	s_waitcnt lgkmcnt(0)
	v_mul_f64 v[76:77], v[106:107], v[78:79]
	v_mul_f64 v[120:121], v[120:121], v[78:79]
	v_fma_f64 v[76:77], v[104:105], v[114:115], -v[76:77]
	v_mul_f64 v[104:105], v[104:105], v[78:79]
	v_fmac_f64_e32 v[120:121], v[122:123], v[114:115]
	v_fmac_f64_e32 v[104:105], v[106:107], v[114:115]
	v_add_f64 v[2:3], v[2:3], -v[120:121]
	s_waitcnt vmcnt(0)
	v_add_f64 v[100:101], v[100:101], -v[76:77]
	v_add_f64 v[102:103], v[102:103], -v[104:105]
	v_mov_b64_e32 v[76:77], v[114:115]
.LBB50_167:
	s_or_b64 exec, exec, s[0:1]
	v_lshl_add_u32 v104, v117, 4, v116
	s_barrier
	s_waitcnt vmcnt(17)
	ds_write2_b64 v104, v[64:65], v[66:67] offset1:1
	s_waitcnt lgkmcnt(0)
	s_barrier
	ds_read2_b64 v[104:107], v116 offset0:16 offset1:17
	s_cmp_lt_i32 s20, 10
	v_mov_b32_e32 v114, 8
	s_cbranch_scc1 .LBB50_170
; %bb.168:
	v_add_u32_e32 v115, 0x90, v116
	s_mov_b32 s16, 9
	v_mov_b32_e32 v114, 8
.LBB50_169:                             ; =>This Inner Loop Header: Depth=1
	ds_read2_b64 v[120:123], v115 offset1:1
	s_waitcnt lgkmcnt(1)
	v_xor_b32_e32 v125, 0x80000000, v105
	v_xor_b32_e32 v127, 0x80000000, v107
	v_cmp_gt_f64_e32 vcc, 0, v[106:107]
	v_cmp_gt_f64_e64 s[0:1], 0, v[104:105]
	v_mov_b32_e32 v124, v104
	v_mov_b32_e32 v126, v106
	v_cndmask_b32_e64 v125, v105, v125, s[0:1]
	v_cndmask_b32_e32 v127, v107, v127, vcc
	v_add_f64 v[124:125], v[124:125], v[126:127]
	s_waitcnt lgkmcnt(0)
	v_xor_b32_e32 v127, 0x80000000, v121
	v_xor_b32_e32 v129, 0x80000000, v123
	v_cmp_gt_f64_e32 vcc, 0, v[122:123]
	v_cmp_gt_f64_e64 s[0:1], 0, v[120:121]
	v_mov_b32_e32 v126, v120
	v_mov_b32_e32 v128, v122
	v_cndmask_b32_e64 v127, v121, v127, s[0:1]
	v_cndmask_b32_e32 v129, v123, v129, vcc
	v_add_f64 v[126:127], v[126:127], v[128:129]
	v_mov_b32_e32 v130, s16
	s_add_i32 s16, s16, 1
	v_cmp_lt_f64_e32 vcc, v[124:125], v[126:127]
	v_add_u32_e32 v115, 16, v115
	s_cmp_lg_u32 s20, s16
	v_cndmask_b32_e32 v105, v105, v121, vcc
	v_cndmask_b32_e32 v104, v104, v120, vcc
	;; [unrolled: 1-line block ×5, first 2 shown]
	s_cbranch_scc1 .LBB50_169
.LBB50_170:
	s_waitcnt lgkmcnt(0)
	v_cmp_eq_f64_e32 vcc, 0, v[104:105]
	v_cmp_eq_f64_e64 s[0:1], 0, v[106:107]
	s_and_b64 s[0:1], vcc, s[0:1]
	s_and_saveexec_b64 s[16:17], s[0:1]
	s_xor_b64 s[0:1], exec, s[16:17]
; %bb.171:
	v_cmp_ne_u32_e32 vcc, 0, v119
	s_nop 1
	v_cndmask_b32_e32 v119, 9, v119, vcc
; %bb.172:
	s_andn2_saveexec_b64 s[0:1], s[0:1]
	s_cbranch_execz .LBB50_178
; %bb.173:
	v_cmp_ngt_f64_e64 s[16:17], |v[104:105]|, |v[106:107]|
	s_and_saveexec_b64 s[18:19], s[16:17]
	s_xor_b64 s[16:17], exec, s[18:19]
	s_cbranch_execz .LBB50_175
; %bb.174:
	v_div_scale_f64 v[120:121], s[18:19], v[106:107], v[106:107], v[104:105]
	v_rcp_f64_e32 v[122:123], v[120:121]
	v_div_scale_f64 v[124:125], vcc, v[104:105], v[106:107], v[104:105]
	v_fma_f64 v[126:127], -v[120:121], v[122:123], 1.0
	v_fmac_f64_e32 v[122:123], v[122:123], v[126:127]
	v_fma_f64 v[126:127], -v[120:121], v[122:123], 1.0
	v_fmac_f64_e32 v[122:123], v[122:123], v[126:127]
	v_mul_f64 v[126:127], v[124:125], v[122:123]
	v_fma_f64 v[120:121], -v[120:121], v[126:127], v[124:125]
	v_div_fmas_f64 v[120:121], v[120:121], v[122:123], v[126:127]
	v_div_fixup_f64 v[120:121], v[120:121], v[106:107], v[104:105]
	v_fmac_f64_e32 v[106:107], v[104:105], v[120:121]
	v_div_scale_f64 v[104:105], s[18:19], v[106:107], v[106:107], 1.0
	v_rcp_f64_e32 v[122:123], v[104:105]
	s_nop 0
	v_fma_f64 v[124:125], -v[104:105], v[122:123], 1.0
	v_fmac_f64_e32 v[122:123], v[122:123], v[124:125]
	v_fma_f64 v[124:125], -v[104:105], v[122:123], 1.0
	v_fmac_f64_e32 v[122:123], v[122:123], v[124:125]
	v_div_scale_f64 v[124:125], vcc, 1.0, v[106:107], 1.0
	v_mul_f64 v[126:127], v[124:125], v[122:123]
	v_fma_f64 v[104:105], -v[104:105], v[126:127], v[124:125]
	s_nop 1
	v_div_fmas_f64 v[104:105], v[104:105], v[122:123], v[126:127]
	v_div_fixup_f64 v[106:107], v[104:105], v[106:107], 1.0
	v_mul_f64 v[104:105], v[120:121], v[106:107]
	v_xor_b32_e32 v107, 0x80000000, v107
.LBB50_175:
	s_andn2_saveexec_b64 s[16:17], s[16:17]
	s_cbranch_execz .LBB50_177
; %bb.176:
	v_div_scale_f64 v[120:121], s[18:19], v[104:105], v[104:105], v[106:107]
	v_rcp_f64_e32 v[122:123], v[120:121]
	v_div_scale_f64 v[124:125], vcc, v[106:107], v[104:105], v[106:107]
	v_fma_f64 v[126:127], -v[120:121], v[122:123], 1.0
	v_fmac_f64_e32 v[122:123], v[122:123], v[126:127]
	v_fma_f64 v[126:127], -v[120:121], v[122:123], 1.0
	v_fmac_f64_e32 v[122:123], v[122:123], v[126:127]
	v_mul_f64 v[126:127], v[124:125], v[122:123]
	v_fma_f64 v[120:121], -v[120:121], v[126:127], v[124:125]
	v_div_fmas_f64 v[120:121], v[120:121], v[122:123], v[126:127]
	v_div_fixup_f64 v[120:121], v[120:121], v[104:105], v[106:107]
	v_fmac_f64_e32 v[104:105], v[106:107], v[120:121]
	v_div_scale_f64 v[106:107], s[18:19], v[104:105], v[104:105], 1.0
	v_rcp_f64_e32 v[122:123], v[106:107]
	s_nop 0
	v_fma_f64 v[124:125], -v[106:107], v[122:123], 1.0
	v_fmac_f64_e32 v[122:123], v[122:123], v[124:125]
	v_fma_f64 v[124:125], -v[106:107], v[122:123], 1.0
	v_fmac_f64_e32 v[122:123], v[122:123], v[124:125]
	v_div_scale_f64 v[124:125], vcc, 1.0, v[104:105], 1.0
	v_mul_f64 v[126:127], v[124:125], v[122:123]
	v_fma_f64 v[106:107], -v[106:107], v[126:127], v[124:125]
	s_nop 1
	v_div_fmas_f64 v[106:107], v[106:107], v[122:123], v[126:127]
	v_div_fixup_f64 v[104:105], v[106:107], v[104:105], 1.0
	v_mul_f64 v[106:107], v[120:121], -v[104:105]
.LBB50_177:
	s_or_b64 exec, exec, s[16:17]
.LBB50_178:
	s_or_b64 exec, exec, s[0:1]
	v_cmp_ne_u32_e32 vcc, v117, v114
	s_and_saveexec_b64 s[0:1], vcc
	s_xor_b64 s[0:1], exec, s[0:1]
	s_cbranch_execz .LBB50_184
; %bb.179:
	v_cmp_eq_u32_e32 vcc, 8, v117
	s_and_saveexec_b64 s[16:17], vcc
	s_cbranch_execz .LBB50_183
; %bb.180:
	v_cmp_ne_u32_e32 vcc, 8, v114
	s_xor_b64 s[18:19], s[14:15], -1
	s_and_b64 s[22:23], s[18:19], vcc
	s_and_saveexec_b64 s[18:19], s[22:23]
	s_cbranch_execz .LBB50_182
; %bb.181:
	v_ashrrev_i32_e32 v115, 31, v114
	v_lshl_add_u64 v[120:121], v[114:115], 2, v[112:113]
	global_load_dword v115, v[120:121], off
	global_load_dword v117, v[112:113], off offset:32
	s_waitcnt vmcnt(1)
	global_store_dword v[112:113], v115, off offset:32
	s_waitcnt vmcnt(1)
	global_store_dword v[120:121], v117, off
.LBB50_182:
	s_or_b64 exec, exec, s[18:19]
	v_mov_b32_e32 v117, v114
	v_mov_b32_e32 v118, v114
.LBB50_183:
	s_or_b64 exec, exec, s[16:17]
.LBB50_184:
	s_andn2_saveexec_b64 s[0:1], s[0:1]
	s_cbranch_execz .LBB50_186
; %bb.185:
	v_mov_b32_e32 v117, 8
	s_waitcnt vmcnt(16)
	ds_write2_b64 v116, v[60:61], v[62:63] offset0:18 offset1:19
	s_waitcnt vmcnt(15)
	ds_write2_b64 v116, v[56:57], v[58:59] offset0:20 offset1:21
	;; [unrolled: 2-line block ×17, first 2 shown]
.LBB50_186:
	s_or_b64 exec, exec, s[0:1]
	v_cmp_lt_i32_e32 vcc, 8, v117
	s_waitcnt lgkmcnt(0)
	s_barrier
	s_and_saveexec_b64 s[0:1], vcc
	s_cbranch_execz .LBB50_188
; %bb.187:
	ds_read2_b64 v[120:123], v116 offset0:18 offset1:19
	v_mul_f64 v[114:115], v[106:107], v[66:67]
	v_mul_f64 v[66:67], v[104:105], v[66:67]
	v_fmac_f64_e32 v[66:67], v[106:107], v[64:65]
	v_fma_f64 v[114:115], v[104:105], v[64:65], -v[114:115]
	ds_read2_b64 v[104:107], v116 offset0:20 offset1:21
	s_waitcnt lgkmcnt(1)
	v_mul_f64 v[64:65], v[122:123], v[66:67]
	v_fma_f64 v[64:65], v[120:121], v[114:115], -v[64:65]
	v_mul_f64 v[120:121], v[120:121], v[66:67]
	v_fmac_f64_e32 v[120:121], v[122:123], v[114:115]
	s_waitcnt vmcnt(16)
	v_add_f64 v[62:63], v[62:63], -v[120:121]
	ds_read2_b64 v[120:123], v116 offset0:22 offset1:23
	v_add_f64 v[60:61], v[60:61], -v[64:65]
	s_waitcnt lgkmcnt(1)
	v_mul_f64 v[64:65], v[106:107], v[66:67]
	v_fma_f64 v[64:65], v[104:105], v[114:115], -v[64:65]
	v_mul_f64 v[104:105], v[104:105], v[66:67]
	v_fmac_f64_e32 v[104:105], v[106:107], v[114:115]
	s_waitcnt vmcnt(15)
	v_add_f64 v[56:57], v[56:57], -v[64:65]
	v_add_f64 v[58:59], v[58:59], -v[104:105]
	ds_read2_b64 v[104:107], v116 offset0:24 offset1:25
	s_waitcnt lgkmcnt(1)
	v_mul_f64 v[64:65], v[122:123], v[66:67]
	v_fma_f64 v[64:65], v[120:121], v[114:115], -v[64:65]
	v_mul_f64 v[120:121], v[120:121], v[66:67]
	v_fmac_f64_e32 v[120:121], v[122:123], v[114:115]
	s_waitcnt vmcnt(14)
	v_add_f64 v[54:55], v[54:55], -v[120:121]
	ds_read2_b64 v[120:123], v116 offset0:26 offset1:27
	v_add_f64 v[52:53], v[52:53], -v[64:65]
	s_waitcnt lgkmcnt(1)
	v_mul_f64 v[64:65], v[106:107], v[66:67]
	v_fma_f64 v[64:65], v[104:105], v[114:115], -v[64:65]
	v_mul_f64 v[104:105], v[104:105], v[66:67]
	v_fmac_f64_e32 v[104:105], v[106:107], v[114:115]
	s_waitcnt vmcnt(13)
	v_add_f64 v[48:49], v[48:49], -v[64:65]
	v_add_f64 v[50:51], v[50:51], -v[104:105]
	ds_read2_b64 v[104:107], v116 offset0:28 offset1:29
	s_waitcnt lgkmcnt(1)
	v_mul_f64 v[64:65], v[122:123], v[66:67]
	v_fma_f64 v[64:65], v[120:121], v[114:115], -v[64:65]
	v_mul_f64 v[120:121], v[120:121], v[66:67]
	v_fmac_f64_e32 v[120:121], v[122:123], v[114:115]
	s_waitcnt vmcnt(12)
	v_add_f64 v[46:47], v[46:47], -v[120:121]
	ds_read2_b64 v[120:123], v116 offset0:30 offset1:31
	v_add_f64 v[44:45], v[44:45], -v[64:65]
	s_waitcnt lgkmcnt(1)
	v_mul_f64 v[64:65], v[106:107], v[66:67]
	v_fma_f64 v[64:65], v[104:105], v[114:115], -v[64:65]
	v_mul_f64 v[104:105], v[104:105], v[66:67]
	v_fmac_f64_e32 v[104:105], v[106:107], v[114:115]
	s_waitcnt vmcnt(11)
	v_add_f64 v[40:41], v[40:41], -v[64:65]
	v_add_f64 v[42:43], v[42:43], -v[104:105]
	ds_read2_b64 v[104:107], v116 offset0:32 offset1:33
	s_waitcnt lgkmcnt(1)
	v_mul_f64 v[64:65], v[122:123], v[66:67]
	v_fma_f64 v[64:65], v[120:121], v[114:115], -v[64:65]
	v_mul_f64 v[120:121], v[120:121], v[66:67]
	v_fmac_f64_e32 v[120:121], v[122:123], v[114:115]
	s_waitcnt vmcnt(10)
	v_add_f64 v[38:39], v[38:39], -v[120:121]
	ds_read2_b64 v[120:123], v116 offset0:34 offset1:35
	v_add_f64 v[36:37], v[36:37], -v[64:65]
	s_waitcnt lgkmcnt(1)
	v_mul_f64 v[64:65], v[106:107], v[66:67]
	v_fma_f64 v[64:65], v[104:105], v[114:115], -v[64:65]
	v_mul_f64 v[104:105], v[104:105], v[66:67]
	v_fmac_f64_e32 v[104:105], v[106:107], v[114:115]
	s_waitcnt vmcnt(9)
	v_add_f64 v[28:29], v[28:29], -v[64:65]
	v_add_f64 v[30:31], v[30:31], -v[104:105]
	ds_read2_b64 v[104:107], v116 offset0:36 offset1:37
	s_waitcnt lgkmcnt(1)
	v_mul_f64 v[64:65], v[122:123], v[66:67]
	v_fma_f64 v[64:65], v[120:121], v[114:115], -v[64:65]
	v_mul_f64 v[120:121], v[120:121], v[66:67]
	v_fmac_f64_e32 v[120:121], v[122:123], v[114:115]
	s_waitcnt vmcnt(8)
	v_add_f64 v[34:35], v[34:35], -v[120:121]
	ds_read2_b64 v[120:123], v116 offset0:38 offset1:39
	v_add_f64 v[32:33], v[32:33], -v[64:65]
	s_waitcnt lgkmcnt(1)
	v_mul_f64 v[64:65], v[106:107], v[66:67]
	v_fma_f64 v[64:65], v[104:105], v[114:115], -v[64:65]
	v_mul_f64 v[104:105], v[104:105], v[66:67]
	v_fmac_f64_e32 v[104:105], v[106:107], v[114:115]
	s_waitcnt vmcnt(7)
	v_add_f64 v[24:25], v[24:25], -v[64:65]
	v_add_f64 v[26:27], v[26:27], -v[104:105]
	ds_read2_b64 v[104:107], v116 offset0:40 offset1:41
	s_waitcnt lgkmcnt(1)
	v_mul_f64 v[64:65], v[122:123], v[66:67]
	v_fma_f64 v[64:65], v[120:121], v[114:115], -v[64:65]
	v_mul_f64 v[120:121], v[120:121], v[66:67]
	v_fmac_f64_e32 v[120:121], v[122:123], v[114:115]
	s_waitcnt vmcnt(6)
	v_add_f64 v[22:23], v[22:23], -v[120:121]
	ds_read2_b64 v[120:123], v116 offset0:42 offset1:43
	v_add_f64 v[20:21], v[20:21], -v[64:65]
	s_waitcnt lgkmcnt(1)
	v_mul_f64 v[64:65], v[106:107], v[66:67]
	v_fma_f64 v[64:65], v[104:105], v[114:115], -v[64:65]
	v_mul_f64 v[104:105], v[104:105], v[66:67]
	v_fmac_f64_e32 v[104:105], v[106:107], v[114:115]
	s_waitcnt vmcnt(5)
	v_add_f64 v[16:17], v[16:17], -v[64:65]
	v_add_f64 v[18:19], v[18:19], -v[104:105]
	ds_read2_b64 v[104:107], v116 offset0:44 offset1:45
	s_waitcnt lgkmcnt(1)
	v_mul_f64 v[64:65], v[122:123], v[66:67]
	v_fma_f64 v[64:65], v[120:121], v[114:115], -v[64:65]
	v_mul_f64 v[120:121], v[120:121], v[66:67]
	v_fmac_f64_e32 v[120:121], v[122:123], v[114:115]
	s_waitcnt vmcnt(4)
	v_add_f64 v[14:15], v[14:15], -v[120:121]
	ds_read2_b64 v[120:123], v116 offset0:46 offset1:47
	v_add_f64 v[12:13], v[12:13], -v[64:65]
	s_waitcnt lgkmcnt(1)
	v_mul_f64 v[64:65], v[106:107], v[66:67]
	v_fma_f64 v[64:65], v[104:105], v[114:115], -v[64:65]
	v_mul_f64 v[104:105], v[104:105], v[66:67]
	v_fmac_f64_e32 v[104:105], v[106:107], v[114:115]
	s_waitcnt vmcnt(3)
	v_add_f64 v[8:9], v[8:9], -v[64:65]
	v_add_f64 v[10:11], v[10:11], -v[104:105]
	ds_read2_b64 v[104:107], v116 offset0:48 offset1:49
	s_waitcnt lgkmcnt(1)
	v_mul_f64 v[64:65], v[122:123], v[66:67]
	v_fma_f64 v[64:65], v[120:121], v[114:115], -v[64:65]
	v_mul_f64 v[120:121], v[120:121], v[66:67]
	v_fmac_f64_e32 v[120:121], v[122:123], v[114:115]
	s_waitcnt vmcnt(2)
	v_add_f64 v[6:7], v[6:7], -v[120:121]
	ds_read2_b64 v[120:123], v116 offset0:50 offset1:51
	v_add_f64 v[4:5], v[4:5], -v[64:65]
	s_waitcnt lgkmcnt(1)
	v_mul_f64 v[64:65], v[106:107], v[66:67]
	v_fma_f64 v[64:65], v[104:105], v[114:115], -v[64:65]
	v_mul_f64 v[104:105], v[104:105], v[66:67]
	v_fmac_f64_e32 v[104:105], v[106:107], v[114:115]
	s_waitcnt vmcnt(1)
	v_add_f64 v[0:1], v[0:1], -v[64:65]
	v_add_f64 v[2:3], v[2:3], -v[104:105]
	s_waitcnt lgkmcnt(0)
	v_mul_f64 v[64:65], v[122:123], v[66:67]
	v_mul_f64 v[104:105], v[120:121], v[66:67]
	v_fma_f64 v[64:65], v[120:121], v[114:115], -v[64:65]
	v_fmac_f64_e32 v[104:105], v[122:123], v[114:115]
	s_waitcnt vmcnt(0)
	v_add_f64 v[100:101], v[100:101], -v[64:65]
	v_add_f64 v[102:103], v[102:103], -v[104:105]
	v_mov_b64_e32 v[64:65], v[114:115]
.LBB50_188:
	s_or_b64 exec, exec, s[0:1]
	v_lshl_add_u32 v104, v117, 4, v116
	s_barrier
	s_waitcnt vmcnt(16)
	ds_write2_b64 v104, v[60:61], v[62:63] offset1:1
	s_waitcnt lgkmcnt(0)
	s_barrier
	ds_read2_b64 v[104:107], v116 offset0:18 offset1:19
	s_cmp_lt_i32 s20, 11
	v_mov_b32_e32 v114, 9
	s_cbranch_scc1 .LBB50_191
; %bb.189:
	v_add_u32_e32 v115, 0xa0, v116
	s_mov_b32 s16, 10
	v_mov_b32_e32 v114, 9
.LBB50_190:                             ; =>This Inner Loop Header: Depth=1
	ds_read2_b64 v[120:123], v115 offset1:1
	s_waitcnt lgkmcnt(1)
	v_xor_b32_e32 v125, 0x80000000, v105
	v_xor_b32_e32 v127, 0x80000000, v107
	v_cmp_gt_f64_e32 vcc, 0, v[106:107]
	v_cmp_gt_f64_e64 s[0:1], 0, v[104:105]
	v_mov_b32_e32 v124, v104
	v_mov_b32_e32 v126, v106
	v_cndmask_b32_e64 v125, v105, v125, s[0:1]
	v_cndmask_b32_e32 v127, v107, v127, vcc
	v_add_f64 v[124:125], v[124:125], v[126:127]
	s_waitcnt lgkmcnt(0)
	v_xor_b32_e32 v127, 0x80000000, v121
	v_xor_b32_e32 v129, 0x80000000, v123
	v_cmp_gt_f64_e32 vcc, 0, v[122:123]
	v_cmp_gt_f64_e64 s[0:1], 0, v[120:121]
	v_mov_b32_e32 v126, v120
	v_mov_b32_e32 v128, v122
	v_cndmask_b32_e64 v127, v121, v127, s[0:1]
	v_cndmask_b32_e32 v129, v123, v129, vcc
	v_add_f64 v[126:127], v[126:127], v[128:129]
	v_mov_b32_e32 v130, s16
	s_add_i32 s16, s16, 1
	v_cmp_lt_f64_e32 vcc, v[124:125], v[126:127]
	v_add_u32_e32 v115, 16, v115
	s_cmp_lg_u32 s20, s16
	v_cndmask_b32_e32 v105, v105, v121, vcc
	v_cndmask_b32_e32 v104, v104, v120, vcc
	;; [unrolled: 1-line block ×5, first 2 shown]
	s_cbranch_scc1 .LBB50_190
.LBB50_191:
	s_waitcnt lgkmcnt(0)
	v_cmp_eq_f64_e32 vcc, 0, v[104:105]
	v_cmp_eq_f64_e64 s[0:1], 0, v[106:107]
	s_and_b64 s[0:1], vcc, s[0:1]
	s_and_saveexec_b64 s[16:17], s[0:1]
	s_xor_b64 s[0:1], exec, s[16:17]
; %bb.192:
	v_cmp_ne_u32_e32 vcc, 0, v119
	s_nop 1
	v_cndmask_b32_e32 v119, 10, v119, vcc
; %bb.193:
	s_andn2_saveexec_b64 s[0:1], s[0:1]
	s_cbranch_execz .LBB50_199
; %bb.194:
	v_cmp_ngt_f64_e64 s[16:17], |v[104:105]|, |v[106:107]|
	s_and_saveexec_b64 s[18:19], s[16:17]
	s_xor_b64 s[16:17], exec, s[18:19]
	s_cbranch_execz .LBB50_196
; %bb.195:
	v_div_scale_f64 v[120:121], s[18:19], v[106:107], v[106:107], v[104:105]
	v_rcp_f64_e32 v[122:123], v[120:121]
	v_div_scale_f64 v[124:125], vcc, v[104:105], v[106:107], v[104:105]
	v_fma_f64 v[126:127], -v[120:121], v[122:123], 1.0
	v_fmac_f64_e32 v[122:123], v[122:123], v[126:127]
	v_fma_f64 v[126:127], -v[120:121], v[122:123], 1.0
	v_fmac_f64_e32 v[122:123], v[122:123], v[126:127]
	v_mul_f64 v[126:127], v[124:125], v[122:123]
	v_fma_f64 v[120:121], -v[120:121], v[126:127], v[124:125]
	v_div_fmas_f64 v[120:121], v[120:121], v[122:123], v[126:127]
	v_div_fixup_f64 v[120:121], v[120:121], v[106:107], v[104:105]
	v_fmac_f64_e32 v[106:107], v[104:105], v[120:121]
	v_div_scale_f64 v[104:105], s[18:19], v[106:107], v[106:107], 1.0
	v_rcp_f64_e32 v[122:123], v[104:105]
	s_nop 0
	v_fma_f64 v[124:125], -v[104:105], v[122:123], 1.0
	v_fmac_f64_e32 v[122:123], v[122:123], v[124:125]
	v_fma_f64 v[124:125], -v[104:105], v[122:123], 1.0
	v_fmac_f64_e32 v[122:123], v[122:123], v[124:125]
	v_div_scale_f64 v[124:125], vcc, 1.0, v[106:107], 1.0
	v_mul_f64 v[126:127], v[124:125], v[122:123]
	v_fma_f64 v[104:105], -v[104:105], v[126:127], v[124:125]
	s_nop 1
	v_div_fmas_f64 v[104:105], v[104:105], v[122:123], v[126:127]
	v_div_fixup_f64 v[106:107], v[104:105], v[106:107], 1.0
	v_mul_f64 v[104:105], v[120:121], v[106:107]
	v_xor_b32_e32 v107, 0x80000000, v107
.LBB50_196:
	s_andn2_saveexec_b64 s[16:17], s[16:17]
	s_cbranch_execz .LBB50_198
; %bb.197:
	v_div_scale_f64 v[120:121], s[18:19], v[104:105], v[104:105], v[106:107]
	v_rcp_f64_e32 v[122:123], v[120:121]
	v_div_scale_f64 v[124:125], vcc, v[106:107], v[104:105], v[106:107]
	v_fma_f64 v[126:127], -v[120:121], v[122:123], 1.0
	v_fmac_f64_e32 v[122:123], v[122:123], v[126:127]
	v_fma_f64 v[126:127], -v[120:121], v[122:123], 1.0
	v_fmac_f64_e32 v[122:123], v[122:123], v[126:127]
	v_mul_f64 v[126:127], v[124:125], v[122:123]
	v_fma_f64 v[120:121], -v[120:121], v[126:127], v[124:125]
	v_div_fmas_f64 v[120:121], v[120:121], v[122:123], v[126:127]
	v_div_fixup_f64 v[120:121], v[120:121], v[104:105], v[106:107]
	v_fmac_f64_e32 v[104:105], v[106:107], v[120:121]
	v_div_scale_f64 v[106:107], s[18:19], v[104:105], v[104:105], 1.0
	v_rcp_f64_e32 v[122:123], v[106:107]
	s_nop 0
	v_fma_f64 v[124:125], -v[106:107], v[122:123], 1.0
	v_fmac_f64_e32 v[122:123], v[122:123], v[124:125]
	v_fma_f64 v[124:125], -v[106:107], v[122:123], 1.0
	v_fmac_f64_e32 v[122:123], v[122:123], v[124:125]
	v_div_scale_f64 v[124:125], vcc, 1.0, v[104:105], 1.0
	v_mul_f64 v[126:127], v[124:125], v[122:123]
	v_fma_f64 v[106:107], -v[106:107], v[126:127], v[124:125]
	s_nop 1
	v_div_fmas_f64 v[106:107], v[106:107], v[122:123], v[126:127]
	v_div_fixup_f64 v[104:105], v[106:107], v[104:105], 1.0
	v_mul_f64 v[106:107], v[120:121], -v[104:105]
.LBB50_198:
	s_or_b64 exec, exec, s[16:17]
.LBB50_199:
	s_or_b64 exec, exec, s[0:1]
	v_cmp_ne_u32_e32 vcc, v117, v114
	s_and_saveexec_b64 s[0:1], vcc
	s_xor_b64 s[0:1], exec, s[0:1]
	s_cbranch_execz .LBB50_205
; %bb.200:
	v_cmp_eq_u32_e32 vcc, 9, v117
	s_and_saveexec_b64 s[16:17], vcc
	s_cbranch_execz .LBB50_204
; %bb.201:
	v_cmp_ne_u32_e32 vcc, 9, v114
	s_xor_b64 s[18:19], s[14:15], -1
	s_and_b64 s[22:23], s[18:19], vcc
	s_and_saveexec_b64 s[18:19], s[22:23]
	s_cbranch_execz .LBB50_203
; %bb.202:
	v_ashrrev_i32_e32 v115, 31, v114
	v_lshl_add_u64 v[120:121], v[114:115], 2, v[112:113]
	global_load_dword v115, v[120:121], off
	global_load_dword v117, v[112:113], off offset:36
	s_waitcnt vmcnt(1)
	global_store_dword v[112:113], v115, off offset:36
	s_waitcnt vmcnt(1)
	global_store_dword v[120:121], v117, off
.LBB50_203:
	s_or_b64 exec, exec, s[18:19]
	v_mov_b32_e32 v117, v114
	v_mov_b32_e32 v118, v114
.LBB50_204:
	s_or_b64 exec, exec, s[16:17]
.LBB50_205:
	s_andn2_saveexec_b64 s[0:1], s[0:1]
	s_cbranch_execz .LBB50_207
; %bb.206:
	v_mov_b32_e32 v117, 9
	s_waitcnt vmcnt(15)
	ds_write2_b64 v116, v[56:57], v[58:59] offset0:20 offset1:21
	s_waitcnt vmcnt(14)
	ds_write2_b64 v116, v[52:53], v[54:55] offset0:22 offset1:23
	;; [unrolled: 2-line block ×16, first 2 shown]
.LBB50_207:
	s_or_b64 exec, exec, s[0:1]
	v_cmp_lt_i32_e32 vcc, 9, v117
	s_waitcnt lgkmcnt(0)
	s_barrier
	s_and_saveexec_b64 s[0:1], vcc
	s_cbranch_execz .LBB50_209
; %bb.208:
	ds_read2_b64 v[120:123], v116 offset0:20 offset1:21
	v_mul_f64 v[114:115], v[104:105], v[62:63]
	v_mul_f64 v[62:63], v[106:107], v[62:63]
	v_fmac_f64_e32 v[114:115], v[106:107], v[60:61]
	v_fma_f64 v[60:61], v[104:105], v[60:61], -v[62:63]
	ds_read2_b64 v[104:107], v116 offset0:22 offset1:23
	s_waitcnt lgkmcnt(1)
	v_mul_f64 v[62:63], v[122:123], v[114:115]
	v_fma_f64 v[62:63], v[120:121], v[60:61], -v[62:63]
	v_mul_f64 v[120:121], v[120:121], v[114:115]
	v_fmac_f64_e32 v[120:121], v[122:123], v[60:61]
	s_waitcnt vmcnt(15)
	v_add_f64 v[56:57], v[56:57], -v[62:63]
	s_waitcnt lgkmcnt(0)
	v_mul_f64 v[62:63], v[106:107], v[114:115]
	v_add_f64 v[58:59], v[58:59], -v[120:121]
	v_fma_f64 v[62:63], v[104:105], v[60:61], -v[62:63]
	v_mul_f64 v[104:105], v[104:105], v[114:115]
	ds_read2_b64 v[120:123], v116 offset0:24 offset1:25
	v_fmac_f64_e32 v[104:105], v[106:107], v[60:61]
	s_waitcnt vmcnt(14)
	v_add_f64 v[54:55], v[54:55], -v[104:105]
	ds_read2_b64 v[104:107], v116 offset0:26 offset1:27
	v_add_f64 v[52:53], v[52:53], -v[62:63]
	s_waitcnt lgkmcnt(1)
	v_mul_f64 v[62:63], v[122:123], v[114:115]
	v_fma_f64 v[62:63], v[120:121], v[60:61], -v[62:63]
	v_mul_f64 v[120:121], v[120:121], v[114:115]
	v_fmac_f64_e32 v[120:121], v[122:123], v[60:61]
	s_waitcnt vmcnt(13)
	v_add_f64 v[48:49], v[48:49], -v[62:63]
	s_waitcnt lgkmcnt(0)
	v_mul_f64 v[62:63], v[106:107], v[114:115]
	v_add_f64 v[50:51], v[50:51], -v[120:121]
	v_fma_f64 v[62:63], v[104:105], v[60:61], -v[62:63]
	v_mul_f64 v[104:105], v[104:105], v[114:115]
	ds_read2_b64 v[120:123], v116 offset0:28 offset1:29
	v_fmac_f64_e32 v[104:105], v[106:107], v[60:61]
	s_waitcnt vmcnt(12)
	v_add_f64 v[46:47], v[46:47], -v[104:105]
	ds_read2_b64 v[104:107], v116 offset0:30 offset1:31
	v_add_f64 v[44:45], v[44:45], -v[62:63]
	;; [unrolled: 18-line block ×7, first 2 shown]
	s_waitcnt lgkmcnt(1)
	v_mul_f64 v[62:63], v[122:123], v[114:115]
	v_fma_f64 v[62:63], v[120:121], v[60:61], -v[62:63]
	s_waitcnt vmcnt(1)
	v_add_f64 v[0:1], v[0:1], -v[62:63]
	s_waitcnt lgkmcnt(0)
	v_mul_f64 v[62:63], v[106:107], v[114:115]
	v_mul_f64 v[120:121], v[120:121], v[114:115]
	v_fma_f64 v[62:63], v[104:105], v[60:61], -v[62:63]
	v_mul_f64 v[104:105], v[104:105], v[114:115]
	v_fmac_f64_e32 v[120:121], v[122:123], v[60:61]
	v_fmac_f64_e32 v[104:105], v[106:107], v[60:61]
	v_add_f64 v[2:3], v[2:3], -v[120:121]
	s_waitcnt vmcnt(0)
	v_add_f64 v[100:101], v[100:101], -v[62:63]
	v_add_f64 v[102:103], v[102:103], -v[104:105]
	v_mov_b64_e32 v[62:63], v[114:115]
.LBB50_209:
	s_or_b64 exec, exec, s[0:1]
	v_lshl_add_u32 v104, v117, 4, v116
	s_barrier
	s_waitcnt vmcnt(15)
	ds_write2_b64 v104, v[56:57], v[58:59] offset1:1
	s_waitcnt lgkmcnt(0)
	s_barrier
	ds_read2_b64 v[104:107], v116 offset0:20 offset1:21
	s_cmp_lt_i32 s20, 12
	v_mov_b32_e32 v114, 10
	s_cbranch_scc1 .LBB50_212
; %bb.210:
	v_add_u32_e32 v115, 0xb0, v116
	s_mov_b32 s16, 11
	v_mov_b32_e32 v114, 10
.LBB50_211:                             ; =>This Inner Loop Header: Depth=1
	ds_read2_b64 v[120:123], v115 offset1:1
	s_waitcnt lgkmcnt(1)
	v_xor_b32_e32 v125, 0x80000000, v105
	v_xor_b32_e32 v127, 0x80000000, v107
	v_cmp_gt_f64_e32 vcc, 0, v[106:107]
	v_cmp_gt_f64_e64 s[0:1], 0, v[104:105]
	v_mov_b32_e32 v124, v104
	v_mov_b32_e32 v126, v106
	v_cndmask_b32_e64 v125, v105, v125, s[0:1]
	v_cndmask_b32_e32 v127, v107, v127, vcc
	v_add_f64 v[124:125], v[124:125], v[126:127]
	s_waitcnt lgkmcnt(0)
	v_xor_b32_e32 v127, 0x80000000, v121
	v_xor_b32_e32 v129, 0x80000000, v123
	v_cmp_gt_f64_e32 vcc, 0, v[122:123]
	v_cmp_gt_f64_e64 s[0:1], 0, v[120:121]
	v_mov_b32_e32 v126, v120
	v_mov_b32_e32 v128, v122
	v_cndmask_b32_e64 v127, v121, v127, s[0:1]
	v_cndmask_b32_e32 v129, v123, v129, vcc
	v_add_f64 v[126:127], v[126:127], v[128:129]
	v_mov_b32_e32 v130, s16
	s_add_i32 s16, s16, 1
	v_cmp_lt_f64_e32 vcc, v[124:125], v[126:127]
	v_add_u32_e32 v115, 16, v115
	s_cmp_lg_u32 s20, s16
	v_cndmask_b32_e32 v105, v105, v121, vcc
	v_cndmask_b32_e32 v104, v104, v120, vcc
	;; [unrolled: 1-line block ×5, first 2 shown]
	s_cbranch_scc1 .LBB50_211
.LBB50_212:
	s_waitcnt lgkmcnt(0)
	v_cmp_eq_f64_e32 vcc, 0, v[104:105]
	v_cmp_eq_f64_e64 s[0:1], 0, v[106:107]
	s_and_b64 s[0:1], vcc, s[0:1]
	s_and_saveexec_b64 s[16:17], s[0:1]
	s_xor_b64 s[0:1], exec, s[16:17]
; %bb.213:
	v_cmp_ne_u32_e32 vcc, 0, v119
	s_nop 1
	v_cndmask_b32_e32 v119, 11, v119, vcc
; %bb.214:
	s_andn2_saveexec_b64 s[0:1], s[0:1]
	s_cbranch_execz .LBB50_220
; %bb.215:
	v_cmp_ngt_f64_e64 s[16:17], |v[104:105]|, |v[106:107]|
	s_and_saveexec_b64 s[18:19], s[16:17]
	s_xor_b64 s[16:17], exec, s[18:19]
	s_cbranch_execz .LBB50_217
; %bb.216:
	v_div_scale_f64 v[120:121], s[18:19], v[106:107], v[106:107], v[104:105]
	v_rcp_f64_e32 v[122:123], v[120:121]
	v_div_scale_f64 v[124:125], vcc, v[104:105], v[106:107], v[104:105]
	v_fma_f64 v[126:127], -v[120:121], v[122:123], 1.0
	v_fmac_f64_e32 v[122:123], v[122:123], v[126:127]
	v_fma_f64 v[126:127], -v[120:121], v[122:123], 1.0
	v_fmac_f64_e32 v[122:123], v[122:123], v[126:127]
	v_mul_f64 v[126:127], v[124:125], v[122:123]
	v_fma_f64 v[120:121], -v[120:121], v[126:127], v[124:125]
	v_div_fmas_f64 v[120:121], v[120:121], v[122:123], v[126:127]
	v_div_fixup_f64 v[120:121], v[120:121], v[106:107], v[104:105]
	v_fmac_f64_e32 v[106:107], v[104:105], v[120:121]
	v_div_scale_f64 v[104:105], s[18:19], v[106:107], v[106:107], 1.0
	v_rcp_f64_e32 v[122:123], v[104:105]
	s_nop 0
	v_fma_f64 v[124:125], -v[104:105], v[122:123], 1.0
	v_fmac_f64_e32 v[122:123], v[122:123], v[124:125]
	v_fma_f64 v[124:125], -v[104:105], v[122:123], 1.0
	v_fmac_f64_e32 v[122:123], v[122:123], v[124:125]
	v_div_scale_f64 v[124:125], vcc, 1.0, v[106:107], 1.0
	v_mul_f64 v[126:127], v[124:125], v[122:123]
	v_fma_f64 v[104:105], -v[104:105], v[126:127], v[124:125]
	s_nop 1
	v_div_fmas_f64 v[104:105], v[104:105], v[122:123], v[126:127]
	v_div_fixup_f64 v[106:107], v[104:105], v[106:107], 1.0
	v_mul_f64 v[104:105], v[120:121], v[106:107]
	v_xor_b32_e32 v107, 0x80000000, v107
.LBB50_217:
	s_andn2_saveexec_b64 s[16:17], s[16:17]
	s_cbranch_execz .LBB50_219
; %bb.218:
	v_div_scale_f64 v[120:121], s[18:19], v[104:105], v[104:105], v[106:107]
	v_rcp_f64_e32 v[122:123], v[120:121]
	v_div_scale_f64 v[124:125], vcc, v[106:107], v[104:105], v[106:107]
	v_fma_f64 v[126:127], -v[120:121], v[122:123], 1.0
	v_fmac_f64_e32 v[122:123], v[122:123], v[126:127]
	v_fma_f64 v[126:127], -v[120:121], v[122:123], 1.0
	v_fmac_f64_e32 v[122:123], v[122:123], v[126:127]
	v_mul_f64 v[126:127], v[124:125], v[122:123]
	v_fma_f64 v[120:121], -v[120:121], v[126:127], v[124:125]
	v_div_fmas_f64 v[120:121], v[120:121], v[122:123], v[126:127]
	v_div_fixup_f64 v[120:121], v[120:121], v[104:105], v[106:107]
	v_fmac_f64_e32 v[104:105], v[106:107], v[120:121]
	v_div_scale_f64 v[106:107], s[18:19], v[104:105], v[104:105], 1.0
	v_rcp_f64_e32 v[122:123], v[106:107]
	s_nop 0
	v_fma_f64 v[124:125], -v[106:107], v[122:123], 1.0
	v_fmac_f64_e32 v[122:123], v[122:123], v[124:125]
	v_fma_f64 v[124:125], -v[106:107], v[122:123], 1.0
	v_fmac_f64_e32 v[122:123], v[122:123], v[124:125]
	v_div_scale_f64 v[124:125], vcc, 1.0, v[104:105], 1.0
	v_mul_f64 v[126:127], v[124:125], v[122:123]
	v_fma_f64 v[106:107], -v[106:107], v[126:127], v[124:125]
	s_nop 1
	v_div_fmas_f64 v[106:107], v[106:107], v[122:123], v[126:127]
	v_div_fixup_f64 v[104:105], v[106:107], v[104:105], 1.0
	v_mul_f64 v[106:107], v[120:121], -v[104:105]
.LBB50_219:
	s_or_b64 exec, exec, s[16:17]
.LBB50_220:
	s_or_b64 exec, exec, s[0:1]
	v_cmp_ne_u32_e32 vcc, v117, v114
	s_and_saveexec_b64 s[0:1], vcc
	s_xor_b64 s[0:1], exec, s[0:1]
	s_cbranch_execz .LBB50_226
; %bb.221:
	v_cmp_eq_u32_e32 vcc, 10, v117
	s_and_saveexec_b64 s[16:17], vcc
	s_cbranch_execz .LBB50_225
; %bb.222:
	v_cmp_ne_u32_e32 vcc, 10, v114
	s_xor_b64 s[18:19], s[14:15], -1
	s_and_b64 s[22:23], s[18:19], vcc
	s_and_saveexec_b64 s[18:19], s[22:23]
	s_cbranch_execz .LBB50_224
; %bb.223:
	v_ashrrev_i32_e32 v115, 31, v114
	v_lshl_add_u64 v[120:121], v[114:115], 2, v[112:113]
	global_load_dword v115, v[120:121], off
	global_load_dword v117, v[112:113], off offset:40
	s_waitcnt vmcnt(1)
	global_store_dword v[112:113], v115, off offset:40
	s_waitcnt vmcnt(1)
	global_store_dword v[120:121], v117, off
.LBB50_224:
	s_or_b64 exec, exec, s[18:19]
	v_mov_b32_e32 v117, v114
	v_mov_b32_e32 v118, v114
.LBB50_225:
	s_or_b64 exec, exec, s[16:17]
.LBB50_226:
	s_andn2_saveexec_b64 s[0:1], s[0:1]
	s_cbranch_execz .LBB50_228
; %bb.227:
	v_mov_b32_e32 v117, 10
	s_waitcnt vmcnt(14)
	ds_write2_b64 v116, v[52:53], v[54:55] offset0:22 offset1:23
	s_waitcnt vmcnt(13)
	ds_write2_b64 v116, v[48:49], v[50:51] offset0:24 offset1:25
	;; [unrolled: 2-line block ×15, first 2 shown]
.LBB50_228:
	s_or_b64 exec, exec, s[0:1]
	v_cmp_lt_i32_e32 vcc, 10, v117
	s_waitcnt lgkmcnt(0)
	s_barrier
	s_and_saveexec_b64 s[0:1], vcc
	s_cbranch_execz .LBB50_230
; %bb.229:
	ds_read2_b64 v[120:123], v116 offset0:22 offset1:23
	v_mul_f64 v[114:115], v[104:105], v[58:59]
	v_fmac_f64_e32 v[114:115], v[106:107], v[56:57]
	v_mul_f64 v[58:59], v[106:107], v[58:59]
	v_fma_f64 v[56:57], v[104:105], v[56:57], -v[58:59]
	ds_read2_b64 v[104:107], v116 offset0:24 offset1:25
	s_waitcnt lgkmcnt(1)
	v_mul_f64 v[58:59], v[122:123], v[114:115]
	v_fma_f64 v[58:59], v[120:121], v[56:57], -v[58:59]
	v_mul_f64 v[120:121], v[120:121], v[114:115]
	v_fmac_f64_e32 v[120:121], v[122:123], v[56:57]
	s_waitcnt vmcnt(14)
	v_add_f64 v[54:55], v[54:55], -v[120:121]
	ds_read2_b64 v[120:123], v116 offset0:26 offset1:27
	v_add_f64 v[52:53], v[52:53], -v[58:59]
	s_waitcnt lgkmcnt(1)
	v_mul_f64 v[58:59], v[106:107], v[114:115]
	v_fma_f64 v[58:59], v[104:105], v[56:57], -v[58:59]
	v_mul_f64 v[104:105], v[104:105], v[114:115]
	v_fmac_f64_e32 v[104:105], v[106:107], v[56:57]
	s_waitcnt vmcnt(13)
	v_add_f64 v[48:49], v[48:49], -v[58:59]
	v_add_f64 v[50:51], v[50:51], -v[104:105]
	ds_read2_b64 v[104:107], v116 offset0:28 offset1:29
	s_waitcnt lgkmcnt(1)
	v_mul_f64 v[58:59], v[122:123], v[114:115]
	v_fma_f64 v[58:59], v[120:121], v[56:57], -v[58:59]
	v_mul_f64 v[120:121], v[120:121], v[114:115]
	v_fmac_f64_e32 v[120:121], v[122:123], v[56:57]
	s_waitcnt vmcnt(12)
	v_add_f64 v[46:47], v[46:47], -v[120:121]
	ds_read2_b64 v[120:123], v116 offset0:30 offset1:31
	v_add_f64 v[44:45], v[44:45], -v[58:59]
	s_waitcnt lgkmcnt(1)
	v_mul_f64 v[58:59], v[106:107], v[114:115]
	v_fma_f64 v[58:59], v[104:105], v[56:57], -v[58:59]
	v_mul_f64 v[104:105], v[104:105], v[114:115]
	v_fmac_f64_e32 v[104:105], v[106:107], v[56:57]
	s_waitcnt vmcnt(11)
	v_add_f64 v[40:41], v[40:41], -v[58:59]
	v_add_f64 v[42:43], v[42:43], -v[104:105]
	ds_read2_b64 v[104:107], v116 offset0:32 offset1:33
	s_waitcnt lgkmcnt(1)
	v_mul_f64 v[58:59], v[122:123], v[114:115]
	v_fma_f64 v[58:59], v[120:121], v[56:57], -v[58:59]
	v_mul_f64 v[120:121], v[120:121], v[114:115]
	v_fmac_f64_e32 v[120:121], v[122:123], v[56:57]
	s_waitcnt vmcnt(10)
	v_add_f64 v[38:39], v[38:39], -v[120:121]
	ds_read2_b64 v[120:123], v116 offset0:34 offset1:35
	v_add_f64 v[36:37], v[36:37], -v[58:59]
	s_waitcnt lgkmcnt(1)
	v_mul_f64 v[58:59], v[106:107], v[114:115]
	v_fma_f64 v[58:59], v[104:105], v[56:57], -v[58:59]
	v_mul_f64 v[104:105], v[104:105], v[114:115]
	v_fmac_f64_e32 v[104:105], v[106:107], v[56:57]
	s_waitcnt vmcnt(9)
	v_add_f64 v[28:29], v[28:29], -v[58:59]
	v_add_f64 v[30:31], v[30:31], -v[104:105]
	ds_read2_b64 v[104:107], v116 offset0:36 offset1:37
	s_waitcnt lgkmcnt(1)
	v_mul_f64 v[58:59], v[122:123], v[114:115]
	v_fma_f64 v[58:59], v[120:121], v[56:57], -v[58:59]
	v_mul_f64 v[120:121], v[120:121], v[114:115]
	v_fmac_f64_e32 v[120:121], v[122:123], v[56:57]
	s_waitcnt vmcnt(8)
	v_add_f64 v[34:35], v[34:35], -v[120:121]
	ds_read2_b64 v[120:123], v116 offset0:38 offset1:39
	v_add_f64 v[32:33], v[32:33], -v[58:59]
	s_waitcnt lgkmcnt(1)
	v_mul_f64 v[58:59], v[106:107], v[114:115]
	v_fma_f64 v[58:59], v[104:105], v[56:57], -v[58:59]
	v_mul_f64 v[104:105], v[104:105], v[114:115]
	v_fmac_f64_e32 v[104:105], v[106:107], v[56:57]
	s_waitcnt vmcnt(7)
	v_add_f64 v[24:25], v[24:25], -v[58:59]
	v_add_f64 v[26:27], v[26:27], -v[104:105]
	ds_read2_b64 v[104:107], v116 offset0:40 offset1:41
	s_waitcnt lgkmcnt(1)
	v_mul_f64 v[58:59], v[122:123], v[114:115]
	v_fma_f64 v[58:59], v[120:121], v[56:57], -v[58:59]
	v_mul_f64 v[120:121], v[120:121], v[114:115]
	v_fmac_f64_e32 v[120:121], v[122:123], v[56:57]
	s_waitcnt vmcnt(6)
	v_add_f64 v[22:23], v[22:23], -v[120:121]
	ds_read2_b64 v[120:123], v116 offset0:42 offset1:43
	v_add_f64 v[20:21], v[20:21], -v[58:59]
	s_waitcnt lgkmcnt(1)
	v_mul_f64 v[58:59], v[106:107], v[114:115]
	v_fma_f64 v[58:59], v[104:105], v[56:57], -v[58:59]
	v_mul_f64 v[104:105], v[104:105], v[114:115]
	v_fmac_f64_e32 v[104:105], v[106:107], v[56:57]
	s_waitcnt vmcnt(5)
	v_add_f64 v[16:17], v[16:17], -v[58:59]
	v_add_f64 v[18:19], v[18:19], -v[104:105]
	ds_read2_b64 v[104:107], v116 offset0:44 offset1:45
	s_waitcnt lgkmcnt(1)
	v_mul_f64 v[58:59], v[122:123], v[114:115]
	v_fma_f64 v[58:59], v[120:121], v[56:57], -v[58:59]
	v_mul_f64 v[120:121], v[120:121], v[114:115]
	v_fmac_f64_e32 v[120:121], v[122:123], v[56:57]
	s_waitcnt vmcnt(4)
	v_add_f64 v[14:15], v[14:15], -v[120:121]
	ds_read2_b64 v[120:123], v116 offset0:46 offset1:47
	v_add_f64 v[12:13], v[12:13], -v[58:59]
	s_waitcnt lgkmcnt(1)
	v_mul_f64 v[58:59], v[106:107], v[114:115]
	v_fma_f64 v[58:59], v[104:105], v[56:57], -v[58:59]
	v_mul_f64 v[104:105], v[104:105], v[114:115]
	v_fmac_f64_e32 v[104:105], v[106:107], v[56:57]
	s_waitcnt vmcnt(3)
	v_add_f64 v[8:9], v[8:9], -v[58:59]
	v_add_f64 v[10:11], v[10:11], -v[104:105]
	ds_read2_b64 v[104:107], v116 offset0:48 offset1:49
	s_waitcnt lgkmcnt(1)
	v_mul_f64 v[58:59], v[122:123], v[114:115]
	v_fma_f64 v[58:59], v[120:121], v[56:57], -v[58:59]
	v_mul_f64 v[120:121], v[120:121], v[114:115]
	v_fmac_f64_e32 v[120:121], v[122:123], v[56:57]
	s_waitcnt vmcnt(2)
	v_add_f64 v[6:7], v[6:7], -v[120:121]
	ds_read2_b64 v[120:123], v116 offset0:50 offset1:51
	v_add_f64 v[4:5], v[4:5], -v[58:59]
	s_waitcnt lgkmcnt(1)
	v_mul_f64 v[58:59], v[106:107], v[114:115]
	v_fma_f64 v[58:59], v[104:105], v[56:57], -v[58:59]
	v_mul_f64 v[104:105], v[104:105], v[114:115]
	v_fmac_f64_e32 v[104:105], v[106:107], v[56:57]
	s_waitcnt vmcnt(1)
	v_add_f64 v[0:1], v[0:1], -v[58:59]
	v_add_f64 v[2:3], v[2:3], -v[104:105]
	s_waitcnt lgkmcnt(0)
	v_mul_f64 v[58:59], v[122:123], v[114:115]
	v_mul_f64 v[104:105], v[120:121], v[114:115]
	v_fma_f64 v[58:59], v[120:121], v[56:57], -v[58:59]
	v_fmac_f64_e32 v[104:105], v[122:123], v[56:57]
	s_waitcnt vmcnt(0)
	v_add_f64 v[100:101], v[100:101], -v[58:59]
	v_add_f64 v[102:103], v[102:103], -v[104:105]
	v_mov_b64_e32 v[58:59], v[114:115]
.LBB50_230:
	s_or_b64 exec, exec, s[0:1]
	v_lshl_add_u32 v104, v117, 4, v116
	s_barrier
	s_waitcnt vmcnt(14)
	ds_write2_b64 v104, v[52:53], v[54:55] offset1:1
	s_waitcnt lgkmcnt(0)
	s_barrier
	ds_read2_b64 v[104:107], v116 offset0:22 offset1:23
	s_cmp_lt_i32 s20, 13
	v_mov_b32_e32 v114, 11
	s_cbranch_scc1 .LBB50_233
; %bb.231:
	v_add_u32_e32 v115, 0xc0, v116
	s_mov_b32 s16, 12
	v_mov_b32_e32 v114, 11
.LBB50_232:                             ; =>This Inner Loop Header: Depth=1
	ds_read2_b64 v[120:123], v115 offset1:1
	s_waitcnt lgkmcnt(1)
	v_xor_b32_e32 v125, 0x80000000, v105
	v_xor_b32_e32 v127, 0x80000000, v107
	v_cmp_gt_f64_e32 vcc, 0, v[106:107]
	v_cmp_gt_f64_e64 s[0:1], 0, v[104:105]
	v_mov_b32_e32 v124, v104
	v_mov_b32_e32 v126, v106
	v_cndmask_b32_e64 v125, v105, v125, s[0:1]
	v_cndmask_b32_e32 v127, v107, v127, vcc
	v_add_f64 v[124:125], v[124:125], v[126:127]
	s_waitcnt lgkmcnt(0)
	v_xor_b32_e32 v127, 0x80000000, v121
	v_xor_b32_e32 v129, 0x80000000, v123
	v_cmp_gt_f64_e32 vcc, 0, v[122:123]
	v_cmp_gt_f64_e64 s[0:1], 0, v[120:121]
	v_mov_b32_e32 v126, v120
	v_mov_b32_e32 v128, v122
	v_cndmask_b32_e64 v127, v121, v127, s[0:1]
	v_cndmask_b32_e32 v129, v123, v129, vcc
	v_add_f64 v[126:127], v[126:127], v[128:129]
	v_mov_b32_e32 v130, s16
	s_add_i32 s16, s16, 1
	v_cmp_lt_f64_e32 vcc, v[124:125], v[126:127]
	v_add_u32_e32 v115, 16, v115
	s_cmp_lg_u32 s20, s16
	v_cndmask_b32_e32 v105, v105, v121, vcc
	v_cndmask_b32_e32 v104, v104, v120, vcc
	;; [unrolled: 1-line block ×5, first 2 shown]
	s_cbranch_scc1 .LBB50_232
.LBB50_233:
	s_waitcnt lgkmcnt(0)
	v_cmp_eq_f64_e32 vcc, 0, v[104:105]
	v_cmp_eq_f64_e64 s[0:1], 0, v[106:107]
	s_and_b64 s[0:1], vcc, s[0:1]
	s_and_saveexec_b64 s[16:17], s[0:1]
	s_xor_b64 s[0:1], exec, s[16:17]
; %bb.234:
	v_cmp_ne_u32_e32 vcc, 0, v119
	s_nop 1
	v_cndmask_b32_e32 v119, 12, v119, vcc
; %bb.235:
	s_andn2_saveexec_b64 s[0:1], s[0:1]
	s_cbranch_execz .LBB50_241
; %bb.236:
	v_cmp_ngt_f64_e64 s[16:17], |v[104:105]|, |v[106:107]|
	s_and_saveexec_b64 s[18:19], s[16:17]
	s_xor_b64 s[16:17], exec, s[18:19]
	s_cbranch_execz .LBB50_238
; %bb.237:
	v_div_scale_f64 v[120:121], s[18:19], v[106:107], v[106:107], v[104:105]
	v_rcp_f64_e32 v[122:123], v[120:121]
	v_div_scale_f64 v[124:125], vcc, v[104:105], v[106:107], v[104:105]
	v_fma_f64 v[126:127], -v[120:121], v[122:123], 1.0
	v_fmac_f64_e32 v[122:123], v[122:123], v[126:127]
	v_fma_f64 v[126:127], -v[120:121], v[122:123], 1.0
	v_fmac_f64_e32 v[122:123], v[122:123], v[126:127]
	v_mul_f64 v[126:127], v[124:125], v[122:123]
	v_fma_f64 v[120:121], -v[120:121], v[126:127], v[124:125]
	v_div_fmas_f64 v[120:121], v[120:121], v[122:123], v[126:127]
	v_div_fixup_f64 v[120:121], v[120:121], v[106:107], v[104:105]
	v_fmac_f64_e32 v[106:107], v[104:105], v[120:121]
	v_div_scale_f64 v[104:105], s[18:19], v[106:107], v[106:107], 1.0
	v_rcp_f64_e32 v[122:123], v[104:105]
	s_nop 0
	v_fma_f64 v[124:125], -v[104:105], v[122:123], 1.0
	v_fmac_f64_e32 v[122:123], v[122:123], v[124:125]
	v_fma_f64 v[124:125], -v[104:105], v[122:123], 1.0
	v_fmac_f64_e32 v[122:123], v[122:123], v[124:125]
	v_div_scale_f64 v[124:125], vcc, 1.0, v[106:107], 1.0
	v_mul_f64 v[126:127], v[124:125], v[122:123]
	v_fma_f64 v[104:105], -v[104:105], v[126:127], v[124:125]
	s_nop 1
	v_div_fmas_f64 v[104:105], v[104:105], v[122:123], v[126:127]
	v_div_fixup_f64 v[106:107], v[104:105], v[106:107], 1.0
	v_mul_f64 v[104:105], v[120:121], v[106:107]
	v_xor_b32_e32 v107, 0x80000000, v107
.LBB50_238:
	s_andn2_saveexec_b64 s[16:17], s[16:17]
	s_cbranch_execz .LBB50_240
; %bb.239:
	v_div_scale_f64 v[120:121], s[18:19], v[104:105], v[104:105], v[106:107]
	v_rcp_f64_e32 v[122:123], v[120:121]
	v_div_scale_f64 v[124:125], vcc, v[106:107], v[104:105], v[106:107]
	v_fma_f64 v[126:127], -v[120:121], v[122:123], 1.0
	v_fmac_f64_e32 v[122:123], v[122:123], v[126:127]
	v_fma_f64 v[126:127], -v[120:121], v[122:123], 1.0
	v_fmac_f64_e32 v[122:123], v[122:123], v[126:127]
	v_mul_f64 v[126:127], v[124:125], v[122:123]
	v_fma_f64 v[120:121], -v[120:121], v[126:127], v[124:125]
	v_div_fmas_f64 v[120:121], v[120:121], v[122:123], v[126:127]
	v_div_fixup_f64 v[120:121], v[120:121], v[104:105], v[106:107]
	v_fmac_f64_e32 v[104:105], v[106:107], v[120:121]
	v_div_scale_f64 v[106:107], s[18:19], v[104:105], v[104:105], 1.0
	v_rcp_f64_e32 v[122:123], v[106:107]
	s_nop 0
	v_fma_f64 v[124:125], -v[106:107], v[122:123], 1.0
	v_fmac_f64_e32 v[122:123], v[122:123], v[124:125]
	v_fma_f64 v[124:125], -v[106:107], v[122:123], 1.0
	v_fmac_f64_e32 v[122:123], v[122:123], v[124:125]
	v_div_scale_f64 v[124:125], vcc, 1.0, v[104:105], 1.0
	v_mul_f64 v[126:127], v[124:125], v[122:123]
	v_fma_f64 v[106:107], -v[106:107], v[126:127], v[124:125]
	s_nop 1
	v_div_fmas_f64 v[106:107], v[106:107], v[122:123], v[126:127]
	v_div_fixup_f64 v[104:105], v[106:107], v[104:105], 1.0
	v_mul_f64 v[106:107], v[120:121], -v[104:105]
.LBB50_240:
	s_or_b64 exec, exec, s[16:17]
.LBB50_241:
	s_or_b64 exec, exec, s[0:1]
	v_cmp_ne_u32_e32 vcc, v117, v114
	s_and_saveexec_b64 s[0:1], vcc
	s_xor_b64 s[0:1], exec, s[0:1]
	s_cbranch_execz .LBB50_247
; %bb.242:
	v_cmp_eq_u32_e32 vcc, 11, v117
	s_and_saveexec_b64 s[16:17], vcc
	s_cbranch_execz .LBB50_246
; %bb.243:
	v_cmp_ne_u32_e32 vcc, 11, v114
	s_xor_b64 s[18:19], s[14:15], -1
	s_and_b64 s[22:23], s[18:19], vcc
	s_and_saveexec_b64 s[18:19], s[22:23]
	s_cbranch_execz .LBB50_245
; %bb.244:
	v_ashrrev_i32_e32 v115, 31, v114
	v_lshl_add_u64 v[120:121], v[114:115], 2, v[112:113]
	global_load_dword v115, v[120:121], off
	global_load_dword v117, v[112:113], off offset:44
	s_waitcnt vmcnt(1)
	global_store_dword v[112:113], v115, off offset:44
	s_waitcnt vmcnt(1)
	global_store_dword v[120:121], v117, off
.LBB50_245:
	s_or_b64 exec, exec, s[18:19]
	v_mov_b32_e32 v117, v114
	v_mov_b32_e32 v118, v114
.LBB50_246:
	s_or_b64 exec, exec, s[16:17]
.LBB50_247:
	s_andn2_saveexec_b64 s[0:1], s[0:1]
	s_cbranch_execz .LBB50_249
; %bb.248:
	v_mov_b32_e32 v117, 11
	s_waitcnt vmcnt(13)
	ds_write2_b64 v116, v[48:49], v[50:51] offset0:24 offset1:25
	s_waitcnt vmcnt(12)
	ds_write2_b64 v116, v[44:45], v[46:47] offset0:26 offset1:27
	;; [unrolled: 2-line block ×14, first 2 shown]
.LBB50_249:
	s_or_b64 exec, exec, s[0:1]
	v_cmp_lt_i32_e32 vcc, 11, v117
	s_waitcnt lgkmcnt(0)
	s_barrier
	s_and_saveexec_b64 s[0:1], vcc
	s_cbranch_execz .LBB50_251
; %bb.250:
	ds_read2_b64 v[120:123], v116 offset0:24 offset1:25
	v_mul_f64 v[114:115], v[104:105], v[54:55]
	v_mul_f64 v[54:55], v[106:107], v[54:55]
	v_fmac_f64_e32 v[114:115], v[106:107], v[52:53]
	v_fma_f64 v[52:53], v[104:105], v[52:53], -v[54:55]
	ds_read2_b64 v[104:107], v116 offset0:26 offset1:27
	s_waitcnt lgkmcnt(1)
	v_mul_f64 v[54:55], v[122:123], v[114:115]
	v_fma_f64 v[54:55], v[120:121], v[52:53], -v[54:55]
	v_mul_f64 v[120:121], v[120:121], v[114:115]
	v_fmac_f64_e32 v[120:121], v[122:123], v[52:53]
	s_waitcnt vmcnt(13)
	v_add_f64 v[48:49], v[48:49], -v[54:55]
	s_waitcnt lgkmcnt(0)
	v_mul_f64 v[54:55], v[106:107], v[114:115]
	v_add_f64 v[50:51], v[50:51], -v[120:121]
	v_fma_f64 v[54:55], v[104:105], v[52:53], -v[54:55]
	v_mul_f64 v[104:105], v[104:105], v[114:115]
	ds_read2_b64 v[120:123], v116 offset0:28 offset1:29
	v_fmac_f64_e32 v[104:105], v[106:107], v[52:53]
	s_waitcnt vmcnt(12)
	v_add_f64 v[46:47], v[46:47], -v[104:105]
	ds_read2_b64 v[104:107], v116 offset0:30 offset1:31
	v_add_f64 v[44:45], v[44:45], -v[54:55]
	s_waitcnt lgkmcnt(1)
	v_mul_f64 v[54:55], v[122:123], v[114:115]
	v_fma_f64 v[54:55], v[120:121], v[52:53], -v[54:55]
	v_mul_f64 v[120:121], v[120:121], v[114:115]
	v_fmac_f64_e32 v[120:121], v[122:123], v[52:53]
	s_waitcnt vmcnt(11)
	v_add_f64 v[40:41], v[40:41], -v[54:55]
	s_waitcnt lgkmcnt(0)
	v_mul_f64 v[54:55], v[106:107], v[114:115]
	v_add_f64 v[42:43], v[42:43], -v[120:121]
	v_fma_f64 v[54:55], v[104:105], v[52:53], -v[54:55]
	v_mul_f64 v[104:105], v[104:105], v[114:115]
	ds_read2_b64 v[120:123], v116 offset0:32 offset1:33
	v_fmac_f64_e32 v[104:105], v[106:107], v[52:53]
	s_waitcnt vmcnt(10)
	v_add_f64 v[38:39], v[38:39], -v[104:105]
	ds_read2_b64 v[104:107], v116 offset0:34 offset1:35
	v_add_f64 v[36:37], v[36:37], -v[54:55]
	;; [unrolled: 18-line block ×6, first 2 shown]
	s_waitcnt lgkmcnt(1)
	v_mul_f64 v[54:55], v[122:123], v[114:115]
	v_fma_f64 v[54:55], v[120:121], v[52:53], -v[54:55]
	s_waitcnt vmcnt(1)
	v_add_f64 v[0:1], v[0:1], -v[54:55]
	s_waitcnt lgkmcnt(0)
	v_mul_f64 v[54:55], v[106:107], v[114:115]
	v_mul_f64 v[120:121], v[120:121], v[114:115]
	v_fma_f64 v[54:55], v[104:105], v[52:53], -v[54:55]
	v_mul_f64 v[104:105], v[104:105], v[114:115]
	v_fmac_f64_e32 v[120:121], v[122:123], v[52:53]
	v_fmac_f64_e32 v[104:105], v[106:107], v[52:53]
	v_add_f64 v[2:3], v[2:3], -v[120:121]
	s_waitcnt vmcnt(0)
	v_add_f64 v[100:101], v[100:101], -v[54:55]
	v_add_f64 v[102:103], v[102:103], -v[104:105]
	v_mov_b64_e32 v[54:55], v[114:115]
.LBB50_251:
	s_or_b64 exec, exec, s[0:1]
	v_lshl_add_u32 v104, v117, 4, v116
	s_barrier
	s_waitcnt vmcnt(13)
	ds_write2_b64 v104, v[48:49], v[50:51] offset1:1
	s_waitcnt lgkmcnt(0)
	s_barrier
	ds_read2_b64 v[104:107], v116 offset0:24 offset1:25
	s_cmp_lt_i32 s20, 14
	v_mov_b32_e32 v114, 12
	s_cbranch_scc1 .LBB50_254
; %bb.252:
	v_add_u32_e32 v115, 0xd0, v116
	s_mov_b32 s16, 13
	v_mov_b32_e32 v114, 12
.LBB50_253:                             ; =>This Inner Loop Header: Depth=1
	ds_read2_b64 v[120:123], v115 offset1:1
	s_waitcnt lgkmcnt(1)
	v_xor_b32_e32 v125, 0x80000000, v105
	v_xor_b32_e32 v127, 0x80000000, v107
	v_cmp_gt_f64_e32 vcc, 0, v[106:107]
	v_cmp_gt_f64_e64 s[0:1], 0, v[104:105]
	v_mov_b32_e32 v124, v104
	v_mov_b32_e32 v126, v106
	v_cndmask_b32_e64 v125, v105, v125, s[0:1]
	v_cndmask_b32_e32 v127, v107, v127, vcc
	v_add_f64 v[124:125], v[124:125], v[126:127]
	s_waitcnt lgkmcnt(0)
	v_xor_b32_e32 v127, 0x80000000, v121
	v_xor_b32_e32 v129, 0x80000000, v123
	v_cmp_gt_f64_e32 vcc, 0, v[122:123]
	v_cmp_gt_f64_e64 s[0:1], 0, v[120:121]
	v_mov_b32_e32 v126, v120
	v_mov_b32_e32 v128, v122
	v_cndmask_b32_e64 v127, v121, v127, s[0:1]
	v_cndmask_b32_e32 v129, v123, v129, vcc
	v_add_f64 v[126:127], v[126:127], v[128:129]
	v_mov_b32_e32 v130, s16
	s_add_i32 s16, s16, 1
	v_cmp_lt_f64_e32 vcc, v[124:125], v[126:127]
	v_add_u32_e32 v115, 16, v115
	s_cmp_lg_u32 s20, s16
	v_cndmask_b32_e32 v105, v105, v121, vcc
	v_cndmask_b32_e32 v104, v104, v120, vcc
	;; [unrolled: 1-line block ×5, first 2 shown]
	s_cbranch_scc1 .LBB50_253
.LBB50_254:
	s_waitcnt lgkmcnt(0)
	v_cmp_eq_f64_e32 vcc, 0, v[104:105]
	v_cmp_eq_f64_e64 s[0:1], 0, v[106:107]
	s_and_b64 s[0:1], vcc, s[0:1]
	s_and_saveexec_b64 s[16:17], s[0:1]
	s_xor_b64 s[0:1], exec, s[16:17]
; %bb.255:
	v_cmp_ne_u32_e32 vcc, 0, v119
	s_nop 1
	v_cndmask_b32_e32 v119, 13, v119, vcc
; %bb.256:
	s_andn2_saveexec_b64 s[0:1], s[0:1]
	s_cbranch_execz .LBB50_262
; %bb.257:
	v_cmp_ngt_f64_e64 s[16:17], |v[104:105]|, |v[106:107]|
	s_and_saveexec_b64 s[18:19], s[16:17]
	s_xor_b64 s[16:17], exec, s[18:19]
	s_cbranch_execz .LBB50_259
; %bb.258:
	v_div_scale_f64 v[120:121], s[18:19], v[106:107], v[106:107], v[104:105]
	v_rcp_f64_e32 v[122:123], v[120:121]
	v_div_scale_f64 v[124:125], vcc, v[104:105], v[106:107], v[104:105]
	v_fma_f64 v[126:127], -v[120:121], v[122:123], 1.0
	v_fmac_f64_e32 v[122:123], v[122:123], v[126:127]
	v_fma_f64 v[126:127], -v[120:121], v[122:123], 1.0
	v_fmac_f64_e32 v[122:123], v[122:123], v[126:127]
	v_mul_f64 v[126:127], v[124:125], v[122:123]
	v_fma_f64 v[120:121], -v[120:121], v[126:127], v[124:125]
	v_div_fmas_f64 v[120:121], v[120:121], v[122:123], v[126:127]
	v_div_fixup_f64 v[120:121], v[120:121], v[106:107], v[104:105]
	v_fmac_f64_e32 v[106:107], v[104:105], v[120:121]
	v_div_scale_f64 v[104:105], s[18:19], v[106:107], v[106:107], 1.0
	v_rcp_f64_e32 v[122:123], v[104:105]
	s_nop 0
	v_fma_f64 v[124:125], -v[104:105], v[122:123], 1.0
	v_fmac_f64_e32 v[122:123], v[122:123], v[124:125]
	v_fma_f64 v[124:125], -v[104:105], v[122:123], 1.0
	v_fmac_f64_e32 v[122:123], v[122:123], v[124:125]
	v_div_scale_f64 v[124:125], vcc, 1.0, v[106:107], 1.0
	v_mul_f64 v[126:127], v[124:125], v[122:123]
	v_fma_f64 v[104:105], -v[104:105], v[126:127], v[124:125]
	s_nop 1
	v_div_fmas_f64 v[104:105], v[104:105], v[122:123], v[126:127]
	v_div_fixup_f64 v[106:107], v[104:105], v[106:107], 1.0
	v_mul_f64 v[104:105], v[120:121], v[106:107]
	v_xor_b32_e32 v107, 0x80000000, v107
.LBB50_259:
	s_andn2_saveexec_b64 s[16:17], s[16:17]
	s_cbranch_execz .LBB50_261
; %bb.260:
	v_div_scale_f64 v[120:121], s[18:19], v[104:105], v[104:105], v[106:107]
	v_rcp_f64_e32 v[122:123], v[120:121]
	v_div_scale_f64 v[124:125], vcc, v[106:107], v[104:105], v[106:107]
	v_fma_f64 v[126:127], -v[120:121], v[122:123], 1.0
	v_fmac_f64_e32 v[122:123], v[122:123], v[126:127]
	v_fma_f64 v[126:127], -v[120:121], v[122:123], 1.0
	v_fmac_f64_e32 v[122:123], v[122:123], v[126:127]
	v_mul_f64 v[126:127], v[124:125], v[122:123]
	v_fma_f64 v[120:121], -v[120:121], v[126:127], v[124:125]
	v_div_fmas_f64 v[120:121], v[120:121], v[122:123], v[126:127]
	v_div_fixup_f64 v[120:121], v[120:121], v[104:105], v[106:107]
	v_fmac_f64_e32 v[104:105], v[106:107], v[120:121]
	v_div_scale_f64 v[106:107], s[18:19], v[104:105], v[104:105], 1.0
	v_rcp_f64_e32 v[122:123], v[106:107]
	s_nop 0
	v_fma_f64 v[124:125], -v[106:107], v[122:123], 1.0
	v_fmac_f64_e32 v[122:123], v[122:123], v[124:125]
	v_fma_f64 v[124:125], -v[106:107], v[122:123], 1.0
	v_fmac_f64_e32 v[122:123], v[122:123], v[124:125]
	v_div_scale_f64 v[124:125], vcc, 1.0, v[104:105], 1.0
	v_mul_f64 v[126:127], v[124:125], v[122:123]
	v_fma_f64 v[106:107], -v[106:107], v[126:127], v[124:125]
	s_nop 1
	v_div_fmas_f64 v[106:107], v[106:107], v[122:123], v[126:127]
	v_div_fixup_f64 v[104:105], v[106:107], v[104:105], 1.0
	v_mul_f64 v[106:107], v[120:121], -v[104:105]
.LBB50_261:
	s_or_b64 exec, exec, s[16:17]
.LBB50_262:
	s_or_b64 exec, exec, s[0:1]
	v_cmp_ne_u32_e32 vcc, v117, v114
	s_and_saveexec_b64 s[0:1], vcc
	s_xor_b64 s[0:1], exec, s[0:1]
	s_cbranch_execz .LBB50_268
; %bb.263:
	v_cmp_eq_u32_e32 vcc, 12, v117
	s_and_saveexec_b64 s[16:17], vcc
	s_cbranch_execz .LBB50_267
; %bb.264:
	v_cmp_ne_u32_e32 vcc, 12, v114
	s_xor_b64 s[18:19], s[14:15], -1
	s_and_b64 s[22:23], s[18:19], vcc
	s_and_saveexec_b64 s[18:19], s[22:23]
	s_cbranch_execz .LBB50_266
; %bb.265:
	v_ashrrev_i32_e32 v115, 31, v114
	v_lshl_add_u64 v[120:121], v[114:115], 2, v[112:113]
	global_load_dword v115, v[120:121], off
	global_load_dword v117, v[112:113], off offset:48
	s_waitcnt vmcnt(1)
	global_store_dword v[112:113], v115, off offset:48
	s_waitcnt vmcnt(1)
	global_store_dword v[120:121], v117, off
.LBB50_266:
	s_or_b64 exec, exec, s[18:19]
	v_mov_b32_e32 v117, v114
	v_mov_b32_e32 v118, v114
.LBB50_267:
	s_or_b64 exec, exec, s[16:17]
.LBB50_268:
	s_andn2_saveexec_b64 s[0:1], s[0:1]
	s_cbranch_execz .LBB50_270
; %bb.269:
	v_mov_b32_e32 v117, 12
	s_waitcnt vmcnt(12)
	ds_write2_b64 v116, v[44:45], v[46:47] offset0:26 offset1:27
	s_waitcnt vmcnt(11)
	ds_write2_b64 v116, v[40:41], v[42:43] offset0:28 offset1:29
	s_waitcnt vmcnt(10)
	ds_write2_b64 v116, v[36:37], v[38:39] offset0:30 offset1:31
	s_waitcnt vmcnt(9)
	ds_write2_b64 v116, v[28:29], v[30:31] offset0:32 offset1:33
	s_waitcnt vmcnt(8)
	ds_write2_b64 v116, v[32:33], v[34:35] offset0:34 offset1:35
	s_waitcnt vmcnt(7)
	ds_write2_b64 v116, v[24:25], v[26:27] offset0:36 offset1:37
	s_waitcnt vmcnt(6)
	ds_write2_b64 v116, v[20:21], v[22:23] offset0:38 offset1:39
	s_waitcnt vmcnt(5)
	ds_write2_b64 v116, v[16:17], v[18:19] offset0:40 offset1:41
	s_waitcnt vmcnt(4)
	ds_write2_b64 v116, v[12:13], v[14:15] offset0:42 offset1:43
	s_waitcnt vmcnt(3)
	ds_write2_b64 v116, v[8:9], v[10:11] offset0:44 offset1:45
	s_waitcnt vmcnt(2)
	ds_write2_b64 v116, v[4:5], v[6:7] offset0:46 offset1:47
	s_waitcnt vmcnt(1)
	ds_write2_b64 v116, v[0:1], v[2:3] offset0:48 offset1:49
	s_waitcnt vmcnt(0)
	ds_write2_b64 v116, v[100:101], v[102:103] offset0:50 offset1:51
.LBB50_270:
	s_or_b64 exec, exec, s[0:1]
	v_cmp_lt_i32_e32 vcc, 12, v117
	s_waitcnt lgkmcnt(0)
	s_barrier
	s_and_saveexec_b64 s[0:1], vcc
	s_cbranch_execz .LBB50_272
; %bb.271:
	ds_read2_b64 v[120:123], v116 offset0:26 offset1:27
	v_mul_f64 v[114:115], v[104:105], v[50:51]
	v_fmac_f64_e32 v[114:115], v[106:107], v[48:49]
	v_mul_f64 v[50:51], v[106:107], v[50:51]
	v_fma_f64 v[48:49], v[104:105], v[48:49], -v[50:51]
	ds_read2_b64 v[104:107], v116 offset0:28 offset1:29
	s_waitcnt lgkmcnt(1)
	v_mul_f64 v[50:51], v[122:123], v[114:115]
	v_fma_f64 v[50:51], v[120:121], v[48:49], -v[50:51]
	v_mul_f64 v[120:121], v[120:121], v[114:115]
	v_fmac_f64_e32 v[120:121], v[122:123], v[48:49]
	s_waitcnt vmcnt(12)
	v_add_f64 v[46:47], v[46:47], -v[120:121]
	ds_read2_b64 v[120:123], v116 offset0:30 offset1:31
	v_add_f64 v[44:45], v[44:45], -v[50:51]
	s_waitcnt lgkmcnt(1)
	v_mul_f64 v[50:51], v[106:107], v[114:115]
	v_fma_f64 v[50:51], v[104:105], v[48:49], -v[50:51]
	v_mul_f64 v[104:105], v[104:105], v[114:115]
	v_fmac_f64_e32 v[104:105], v[106:107], v[48:49]
	s_waitcnt vmcnt(11)
	v_add_f64 v[40:41], v[40:41], -v[50:51]
	v_add_f64 v[42:43], v[42:43], -v[104:105]
	ds_read2_b64 v[104:107], v116 offset0:32 offset1:33
	s_waitcnt lgkmcnt(1)
	v_mul_f64 v[50:51], v[122:123], v[114:115]
	v_fma_f64 v[50:51], v[120:121], v[48:49], -v[50:51]
	v_mul_f64 v[120:121], v[120:121], v[114:115]
	v_fmac_f64_e32 v[120:121], v[122:123], v[48:49]
	s_waitcnt vmcnt(10)
	v_add_f64 v[38:39], v[38:39], -v[120:121]
	ds_read2_b64 v[120:123], v116 offset0:34 offset1:35
	v_add_f64 v[36:37], v[36:37], -v[50:51]
	s_waitcnt lgkmcnt(1)
	v_mul_f64 v[50:51], v[106:107], v[114:115]
	v_fma_f64 v[50:51], v[104:105], v[48:49], -v[50:51]
	v_mul_f64 v[104:105], v[104:105], v[114:115]
	v_fmac_f64_e32 v[104:105], v[106:107], v[48:49]
	s_waitcnt vmcnt(9)
	v_add_f64 v[28:29], v[28:29], -v[50:51]
	v_add_f64 v[30:31], v[30:31], -v[104:105]
	;; [unrolled: 18-line block ×6, first 2 shown]
	s_waitcnt lgkmcnt(0)
	v_mul_f64 v[50:51], v[122:123], v[114:115]
	v_mul_f64 v[104:105], v[120:121], v[114:115]
	v_fma_f64 v[50:51], v[120:121], v[48:49], -v[50:51]
	v_fmac_f64_e32 v[104:105], v[122:123], v[48:49]
	s_waitcnt vmcnt(0)
	v_add_f64 v[100:101], v[100:101], -v[50:51]
	v_add_f64 v[102:103], v[102:103], -v[104:105]
	v_mov_b64_e32 v[50:51], v[114:115]
.LBB50_272:
	s_or_b64 exec, exec, s[0:1]
	v_lshl_add_u32 v104, v117, 4, v116
	s_barrier
	s_waitcnt vmcnt(12)
	ds_write2_b64 v104, v[44:45], v[46:47] offset1:1
	s_waitcnt lgkmcnt(0)
	s_barrier
	ds_read2_b64 v[104:107], v116 offset0:26 offset1:27
	s_cmp_lt_i32 s20, 15
	v_mov_b32_e32 v114, 13
	s_cbranch_scc1 .LBB50_275
; %bb.273:
	v_add_u32_e32 v115, 0xe0, v116
	s_mov_b32 s16, 14
	v_mov_b32_e32 v114, 13
.LBB50_274:                             ; =>This Inner Loop Header: Depth=1
	ds_read2_b64 v[120:123], v115 offset1:1
	s_waitcnt lgkmcnt(1)
	v_xor_b32_e32 v125, 0x80000000, v105
	v_xor_b32_e32 v127, 0x80000000, v107
	v_cmp_gt_f64_e32 vcc, 0, v[106:107]
	v_cmp_gt_f64_e64 s[0:1], 0, v[104:105]
	v_mov_b32_e32 v124, v104
	v_mov_b32_e32 v126, v106
	v_cndmask_b32_e64 v125, v105, v125, s[0:1]
	v_cndmask_b32_e32 v127, v107, v127, vcc
	v_add_f64 v[124:125], v[124:125], v[126:127]
	s_waitcnt lgkmcnt(0)
	v_xor_b32_e32 v127, 0x80000000, v121
	v_xor_b32_e32 v129, 0x80000000, v123
	v_cmp_gt_f64_e32 vcc, 0, v[122:123]
	v_cmp_gt_f64_e64 s[0:1], 0, v[120:121]
	v_mov_b32_e32 v126, v120
	v_mov_b32_e32 v128, v122
	v_cndmask_b32_e64 v127, v121, v127, s[0:1]
	v_cndmask_b32_e32 v129, v123, v129, vcc
	v_add_f64 v[126:127], v[126:127], v[128:129]
	v_mov_b32_e32 v130, s16
	s_add_i32 s16, s16, 1
	v_cmp_lt_f64_e32 vcc, v[124:125], v[126:127]
	v_add_u32_e32 v115, 16, v115
	s_cmp_lg_u32 s20, s16
	v_cndmask_b32_e32 v105, v105, v121, vcc
	v_cndmask_b32_e32 v104, v104, v120, vcc
	;; [unrolled: 1-line block ×5, first 2 shown]
	s_cbranch_scc1 .LBB50_274
.LBB50_275:
	s_waitcnt lgkmcnt(0)
	v_cmp_eq_f64_e32 vcc, 0, v[104:105]
	v_cmp_eq_f64_e64 s[0:1], 0, v[106:107]
	s_and_b64 s[0:1], vcc, s[0:1]
	s_and_saveexec_b64 s[16:17], s[0:1]
	s_xor_b64 s[0:1], exec, s[16:17]
; %bb.276:
	v_cmp_ne_u32_e32 vcc, 0, v119
	s_nop 1
	v_cndmask_b32_e32 v119, 14, v119, vcc
; %bb.277:
	s_andn2_saveexec_b64 s[0:1], s[0:1]
	s_cbranch_execz .LBB50_283
; %bb.278:
	v_cmp_ngt_f64_e64 s[16:17], |v[104:105]|, |v[106:107]|
	s_and_saveexec_b64 s[18:19], s[16:17]
	s_xor_b64 s[16:17], exec, s[18:19]
	s_cbranch_execz .LBB50_280
; %bb.279:
	v_div_scale_f64 v[120:121], s[18:19], v[106:107], v[106:107], v[104:105]
	v_rcp_f64_e32 v[122:123], v[120:121]
	v_div_scale_f64 v[124:125], vcc, v[104:105], v[106:107], v[104:105]
	v_fma_f64 v[126:127], -v[120:121], v[122:123], 1.0
	v_fmac_f64_e32 v[122:123], v[122:123], v[126:127]
	v_fma_f64 v[126:127], -v[120:121], v[122:123], 1.0
	v_fmac_f64_e32 v[122:123], v[122:123], v[126:127]
	v_mul_f64 v[126:127], v[124:125], v[122:123]
	v_fma_f64 v[120:121], -v[120:121], v[126:127], v[124:125]
	v_div_fmas_f64 v[120:121], v[120:121], v[122:123], v[126:127]
	v_div_fixup_f64 v[120:121], v[120:121], v[106:107], v[104:105]
	v_fmac_f64_e32 v[106:107], v[104:105], v[120:121]
	v_div_scale_f64 v[104:105], s[18:19], v[106:107], v[106:107], 1.0
	v_rcp_f64_e32 v[122:123], v[104:105]
	s_nop 0
	v_fma_f64 v[124:125], -v[104:105], v[122:123], 1.0
	v_fmac_f64_e32 v[122:123], v[122:123], v[124:125]
	v_fma_f64 v[124:125], -v[104:105], v[122:123], 1.0
	v_fmac_f64_e32 v[122:123], v[122:123], v[124:125]
	v_div_scale_f64 v[124:125], vcc, 1.0, v[106:107], 1.0
	v_mul_f64 v[126:127], v[124:125], v[122:123]
	v_fma_f64 v[104:105], -v[104:105], v[126:127], v[124:125]
	s_nop 1
	v_div_fmas_f64 v[104:105], v[104:105], v[122:123], v[126:127]
	v_div_fixup_f64 v[106:107], v[104:105], v[106:107], 1.0
	v_mul_f64 v[104:105], v[120:121], v[106:107]
	v_xor_b32_e32 v107, 0x80000000, v107
.LBB50_280:
	s_andn2_saveexec_b64 s[16:17], s[16:17]
	s_cbranch_execz .LBB50_282
; %bb.281:
	v_div_scale_f64 v[120:121], s[18:19], v[104:105], v[104:105], v[106:107]
	v_rcp_f64_e32 v[122:123], v[120:121]
	v_div_scale_f64 v[124:125], vcc, v[106:107], v[104:105], v[106:107]
	v_fma_f64 v[126:127], -v[120:121], v[122:123], 1.0
	v_fmac_f64_e32 v[122:123], v[122:123], v[126:127]
	v_fma_f64 v[126:127], -v[120:121], v[122:123], 1.0
	v_fmac_f64_e32 v[122:123], v[122:123], v[126:127]
	v_mul_f64 v[126:127], v[124:125], v[122:123]
	v_fma_f64 v[120:121], -v[120:121], v[126:127], v[124:125]
	v_div_fmas_f64 v[120:121], v[120:121], v[122:123], v[126:127]
	v_div_fixup_f64 v[120:121], v[120:121], v[104:105], v[106:107]
	v_fmac_f64_e32 v[104:105], v[106:107], v[120:121]
	v_div_scale_f64 v[106:107], s[18:19], v[104:105], v[104:105], 1.0
	v_rcp_f64_e32 v[122:123], v[106:107]
	s_nop 0
	v_fma_f64 v[124:125], -v[106:107], v[122:123], 1.0
	v_fmac_f64_e32 v[122:123], v[122:123], v[124:125]
	v_fma_f64 v[124:125], -v[106:107], v[122:123], 1.0
	v_fmac_f64_e32 v[122:123], v[122:123], v[124:125]
	v_div_scale_f64 v[124:125], vcc, 1.0, v[104:105], 1.0
	v_mul_f64 v[126:127], v[124:125], v[122:123]
	v_fma_f64 v[106:107], -v[106:107], v[126:127], v[124:125]
	s_nop 1
	v_div_fmas_f64 v[106:107], v[106:107], v[122:123], v[126:127]
	v_div_fixup_f64 v[104:105], v[106:107], v[104:105], 1.0
	v_mul_f64 v[106:107], v[120:121], -v[104:105]
.LBB50_282:
	s_or_b64 exec, exec, s[16:17]
.LBB50_283:
	s_or_b64 exec, exec, s[0:1]
	v_cmp_ne_u32_e32 vcc, v117, v114
	s_and_saveexec_b64 s[0:1], vcc
	s_xor_b64 s[0:1], exec, s[0:1]
	s_cbranch_execz .LBB50_289
; %bb.284:
	v_cmp_eq_u32_e32 vcc, 13, v117
	s_and_saveexec_b64 s[16:17], vcc
	s_cbranch_execz .LBB50_288
; %bb.285:
	v_cmp_ne_u32_e32 vcc, 13, v114
	s_xor_b64 s[18:19], s[14:15], -1
	s_and_b64 s[22:23], s[18:19], vcc
	s_and_saveexec_b64 s[18:19], s[22:23]
	s_cbranch_execz .LBB50_287
; %bb.286:
	v_ashrrev_i32_e32 v115, 31, v114
	v_lshl_add_u64 v[120:121], v[114:115], 2, v[112:113]
	global_load_dword v115, v[120:121], off
	global_load_dword v117, v[112:113], off offset:52
	s_waitcnt vmcnt(1)
	global_store_dword v[112:113], v115, off offset:52
	s_waitcnt vmcnt(1)
	global_store_dword v[120:121], v117, off
.LBB50_287:
	s_or_b64 exec, exec, s[18:19]
	v_mov_b32_e32 v117, v114
	v_mov_b32_e32 v118, v114
.LBB50_288:
	s_or_b64 exec, exec, s[16:17]
.LBB50_289:
	s_andn2_saveexec_b64 s[0:1], s[0:1]
	s_cbranch_execz .LBB50_291
; %bb.290:
	v_mov_b32_e32 v117, 13
	s_waitcnt vmcnt(11)
	ds_write2_b64 v116, v[40:41], v[42:43] offset0:28 offset1:29
	s_waitcnt vmcnt(10)
	ds_write2_b64 v116, v[36:37], v[38:39] offset0:30 offset1:31
	;; [unrolled: 2-line block ×12, first 2 shown]
.LBB50_291:
	s_or_b64 exec, exec, s[0:1]
	v_cmp_lt_i32_e32 vcc, 13, v117
	s_waitcnt lgkmcnt(0)
	s_barrier
	s_and_saveexec_b64 s[0:1], vcc
	s_cbranch_execz .LBB50_293
; %bb.292:
	ds_read2_b64 v[120:123], v116 offset0:28 offset1:29
	v_mul_f64 v[114:115], v[104:105], v[46:47]
	v_mul_f64 v[46:47], v[106:107], v[46:47]
	v_fmac_f64_e32 v[114:115], v[106:107], v[44:45]
	v_fma_f64 v[44:45], v[104:105], v[44:45], -v[46:47]
	ds_read2_b64 v[104:107], v116 offset0:30 offset1:31
	s_waitcnt lgkmcnt(1)
	v_mul_f64 v[46:47], v[122:123], v[114:115]
	v_fma_f64 v[46:47], v[120:121], v[44:45], -v[46:47]
	v_mul_f64 v[120:121], v[120:121], v[114:115]
	v_fmac_f64_e32 v[120:121], v[122:123], v[44:45]
	s_waitcnt vmcnt(11)
	v_add_f64 v[40:41], v[40:41], -v[46:47]
	s_waitcnt lgkmcnt(0)
	v_mul_f64 v[46:47], v[106:107], v[114:115]
	v_add_f64 v[42:43], v[42:43], -v[120:121]
	v_fma_f64 v[46:47], v[104:105], v[44:45], -v[46:47]
	v_mul_f64 v[104:105], v[104:105], v[114:115]
	ds_read2_b64 v[120:123], v116 offset0:32 offset1:33
	v_fmac_f64_e32 v[104:105], v[106:107], v[44:45]
	s_waitcnt vmcnt(10)
	v_add_f64 v[38:39], v[38:39], -v[104:105]
	ds_read2_b64 v[104:107], v116 offset0:34 offset1:35
	v_add_f64 v[36:37], v[36:37], -v[46:47]
	s_waitcnt lgkmcnt(1)
	v_mul_f64 v[46:47], v[122:123], v[114:115]
	v_fma_f64 v[46:47], v[120:121], v[44:45], -v[46:47]
	v_mul_f64 v[120:121], v[120:121], v[114:115]
	v_fmac_f64_e32 v[120:121], v[122:123], v[44:45]
	s_waitcnt vmcnt(9)
	v_add_f64 v[28:29], v[28:29], -v[46:47]
	s_waitcnt lgkmcnt(0)
	v_mul_f64 v[46:47], v[106:107], v[114:115]
	v_add_f64 v[30:31], v[30:31], -v[120:121]
	v_fma_f64 v[46:47], v[104:105], v[44:45], -v[46:47]
	v_mul_f64 v[104:105], v[104:105], v[114:115]
	ds_read2_b64 v[120:123], v116 offset0:36 offset1:37
	v_fmac_f64_e32 v[104:105], v[106:107], v[44:45]
	s_waitcnt vmcnt(8)
	v_add_f64 v[34:35], v[34:35], -v[104:105]
	ds_read2_b64 v[104:107], v116 offset0:38 offset1:39
	v_add_f64 v[32:33], v[32:33], -v[46:47]
	;; [unrolled: 18-line block ×5, first 2 shown]
	s_waitcnt lgkmcnt(1)
	v_mul_f64 v[46:47], v[122:123], v[114:115]
	v_fma_f64 v[46:47], v[120:121], v[44:45], -v[46:47]
	s_waitcnt vmcnt(1)
	v_add_f64 v[0:1], v[0:1], -v[46:47]
	s_waitcnt lgkmcnt(0)
	v_mul_f64 v[46:47], v[106:107], v[114:115]
	v_mul_f64 v[120:121], v[120:121], v[114:115]
	v_fma_f64 v[46:47], v[104:105], v[44:45], -v[46:47]
	v_mul_f64 v[104:105], v[104:105], v[114:115]
	v_fmac_f64_e32 v[120:121], v[122:123], v[44:45]
	v_fmac_f64_e32 v[104:105], v[106:107], v[44:45]
	v_add_f64 v[2:3], v[2:3], -v[120:121]
	s_waitcnt vmcnt(0)
	v_add_f64 v[100:101], v[100:101], -v[46:47]
	v_add_f64 v[102:103], v[102:103], -v[104:105]
	v_mov_b64_e32 v[46:47], v[114:115]
.LBB50_293:
	s_or_b64 exec, exec, s[0:1]
	v_lshl_add_u32 v104, v117, 4, v116
	s_barrier
	s_waitcnt vmcnt(11)
	ds_write2_b64 v104, v[40:41], v[42:43] offset1:1
	s_waitcnt lgkmcnt(0)
	s_barrier
	ds_read2_b64 v[104:107], v116 offset0:28 offset1:29
	s_cmp_lt_i32 s20, 16
	v_mov_b32_e32 v114, 14
	s_cbranch_scc1 .LBB50_296
; %bb.294:
	v_add_u32_e32 v115, 0xf0, v116
	s_mov_b32 s16, 15
	v_mov_b32_e32 v114, 14
.LBB50_295:                             ; =>This Inner Loop Header: Depth=1
	ds_read2_b64 v[120:123], v115 offset1:1
	s_waitcnt lgkmcnt(1)
	v_xor_b32_e32 v125, 0x80000000, v105
	v_xor_b32_e32 v127, 0x80000000, v107
	v_cmp_gt_f64_e32 vcc, 0, v[106:107]
	v_cmp_gt_f64_e64 s[0:1], 0, v[104:105]
	v_mov_b32_e32 v124, v104
	v_mov_b32_e32 v126, v106
	v_cndmask_b32_e64 v125, v105, v125, s[0:1]
	v_cndmask_b32_e32 v127, v107, v127, vcc
	v_add_f64 v[124:125], v[124:125], v[126:127]
	s_waitcnt lgkmcnt(0)
	v_xor_b32_e32 v127, 0x80000000, v121
	v_xor_b32_e32 v129, 0x80000000, v123
	v_cmp_gt_f64_e32 vcc, 0, v[122:123]
	v_cmp_gt_f64_e64 s[0:1], 0, v[120:121]
	v_mov_b32_e32 v126, v120
	v_mov_b32_e32 v128, v122
	v_cndmask_b32_e64 v127, v121, v127, s[0:1]
	v_cndmask_b32_e32 v129, v123, v129, vcc
	v_add_f64 v[126:127], v[126:127], v[128:129]
	v_mov_b32_e32 v130, s16
	s_add_i32 s16, s16, 1
	v_cmp_lt_f64_e32 vcc, v[124:125], v[126:127]
	v_add_u32_e32 v115, 16, v115
	s_cmp_lg_u32 s20, s16
	v_cndmask_b32_e32 v105, v105, v121, vcc
	v_cndmask_b32_e32 v104, v104, v120, vcc
	v_cndmask_b32_e32 v107, v107, v123, vcc
	v_cndmask_b32_e32 v106, v106, v122, vcc
	v_cndmask_b32_e32 v114, v114, v130, vcc
	s_cbranch_scc1 .LBB50_295
.LBB50_296:
	s_waitcnt lgkmcnt(0)
	v_cmp_eq_f64_e32 vcc, 0, v[104:105]
	v_cmp_eq_f64_e64 s[0:1], 0, v[106:107]
	s_and_b64 s[0:1], vcc, s[0:1]
	s_and_saveexec_b64 s[16:17], s[0:1]
	s_xor_b64 s[0:1], exec, s[16:17]
; %bb.297:
	v_cmp_ne_u32_e32 vcc, 0, v119
	s_nop 1
	v_cndmask_b32_e32 v119, 15, v119, vcc
; %bb.298:
	s_andn2_saveexec_b64 s[0:1], s[0:1]
	s_cbranch_execz .LBB50_304
; %bb.299:
	v_cmp_ngt_f64_e64 s[16:17], |v[104:105]|, |v[106:107]|
	s_and_saveexec_b64 s[18:19], s[16:17]
	s_xor_b64 s[16:17], exec, s[18:19]
	s_cbranch_execz .LBB50_301
; %bb.300:
	v_div_scale_f64 v[120:121], s[18:19], v[106:107], v[106:107], v[104:105]
	v_rcp_f64_e32 v[122:123], v[120:121]
	v_div_scale_f64 v[124:125], vcc, v[104:105], v[106:107], v[104:105]
	v_fma_f64 v[126:127], -v[120:121], v[122:123], 1.0
	v_fmac_f64_e32 v[122:123], v[122:123], v[126:127]
	v_fma_f64 v[126:127], -v[120:121], v[122:123], 1.0
	v_fmac_f64_e32 v[122:123], v[122:123], v[126:127]
	v_mul_f64 v[126:127], v[124:125], v[122:123]
	v_fma_f64 v[120:121], -v[120:121], v[126:127], v[124:125]
	v_div_fmas_f64 v[120:121], v[120:121], v[122:123], v[126:127]
	v_div_fixup_f64 v[120:121], v[120:121], v[106:107], v[104:105]
	v_fmac_f64_e32 v[106:107], v[104:105], v[120:121]
	v_div_scale_f64 v[104:105], s[18:19], v[106:107], v[106:107], 1.0
	v_rcp_f64_e32 v[122:123], v[104:105]
	s_nop 0
	v_fma_f64 v[124:125], -v[104:105], v[122:123], 1.0
	v_fmac_f64_e32 v[122:123], v[122:123], v[124:125]
	v_fma_f64 v[124:125], -v[104:105], v[122:123], 1.0
	v_fmac_f64_e32 v[122:123], v[122:123], v[124:125]
	v_div_scale_f64 v[124:125], vcc, 1.0, v[106:107], 1.0
	v_mul_f64 v[126:127], v[124:125], v[122:123]
	v_fma_f64 v[104:105], -v[104:105], v[126:127], v[124:125]
	s_nop 1
	v_div_fmas_f64 v[104:105], v[104:105], v[122:123], v[126:127]
	v_div_fixup_f64 v[106:107], v[104:105], v[106:107], 1.0
	v_mul_f64 v[104:105], v[120:121], v[106:107]
	v_xor_b32_e32 v107, 0x80000000, v107
.LBB50_301:
	s_andn2_saveexec_b64 s[16:17], s[16:17]
	s_cbranch_execz .LBB50_303
; %bb.302:
	v_div_scale_f64 v[120:121], s[18:19], v[104:105], v[104:105], v[106:107]
	v_rcp_f64_e32 v[122:123], v[120:121]
	v_div_scale_f64 v[124:125], vcc, v[106:107], v[104:105], v[106:107]
	v_fma_f64 v[126:127], -v[120:121], v[122:123], 1.0
	v_fmac_f64_e32 v[122:123], v[122:123], v[126:127]
	v_fma_f64 v[126:127], -v[120:121], v[122:123], 1.0
	v_fmac_f64_e32 v[122:123], v[122:123], v[126:127]
	v_mul_f64 v[126:127], v[124:125], v[122:123]
	v_fma_f64 v[120:121], -v[120:121], v[126:127], v[124:125]
	v_div_fmas_f64 v[120:121], v[120:121], v[122:123], v[126:127]
	v_div_fixup_f64 v[120:121], v[120:121], v[104:105], v[106:107]
	v_fmac_f64_e32 v[104:105], v[106:107], v[120:121]
	v_div_scale_f64 v[106:107], s[18:19], v[104:105], v[104:105], 1.0
	v_rcp_f64_e32 v[122:123], v[106:107]
	s_nop 0
	v_fma_f64 v[124:125], -v[106:107], v[122:123], 1.0
	v_fmac_f64_e32 v[122:123], v[122:123], v[124:125]
	v_fma_f64 v[124:125], -v[106:107], v[122:123], 1.0
	v_fmac_f64_e32 v[122:123], v[122:123], v[124:125]
	v_div_scale_f64 v[124:125], vcc, 1.0, v[104:105], 1.0
	v_mul_f64 v[126:127], v[124:125], v[122:123]
	v_fma_f64 v[106:107], -v[106:107], v[126:127], v[124:125]
	s_nop 1
	v_div_fmas_f64 v[106:107], v[106:107], v[122:123], v[126:127]
	v_div_fixup_f64 v[104:105], v[106:107], v[104:105], 1.0
	v_mul_f64 v[106:107], v[120:121], -v[104:105]
.LBB50_303:
	s_or_b64 exec, exec, s[16:17]
.LBB50_304:
	s_or_b64 exec, exec, s[0:1]
	v_cmp_ne_u32_e32 vcc, v117, v114
	s_and_saveexec_b64 s[0:1], vcc
	s_xor_b64 s[0:1], exec, s[0:1]
	s_cbranch_execz .LBB50_310
; %bb.305:
	v_cmp_eq_u32_e32 vcc, 14, v117
	s_and_saveexec_b64 s[16:17], vcc
	s_cbranch_execz .LBB50_309
; %bb.306:
	v_cmp_ne_u32_e32 vcc, 14, v114
	s_xor_b64 s[18:19], s[14:15], -1
	s_and_b64 s[22:23], s[18:19], vcc
	s_and_saveexec_b64 s[18:19], s[22:23]
	s_cbranch_execz .LBB50_308
; %bb.307:
	v_ashrrev_i32_e32 v115, 31, v114
	v_lshl_add_u64 v[120:121], v[114:115], 2, v[112:113]
	global_load_dword v115, v[120:121], off
	global_load_dword v117, v[112:113], off offset:56
	s_waitcnt vmcnt(1)
	global_store_dword v[112:113], v115, off offset:56
	s_waitcnt vmcnt(1)
	global_store_dword v[120:121], v117, off
.LBB50_308:
	s_or_b64 exec, exec, s[18:19]
	v_mov_b32_e32 v117, v114
	v_mov_b32_e32 v118, v114
.LBB50_309:
	s_or_b64 exec, exec, s[16:17]
.LBB50_310:
	s_andn2_saveexec_b64 s[0:1], s[0:1]
	s_cbranch_execz .LBB50_312
; %bb.311:
	v_mov_b32_e32 v117, 14
	s_waitcnt vmcnt(10)
	ds_write2_b64 v116, v[36:37], v[38:39] offset0:30 offset1:31
	s_waitcnt vmcnt(9)
	ds_write2_b64 v116, v[28:29], v[30:31] offset0:32 offset1:33
	;; [unrolled: 2-line block ×11, first 2 shown]
.LBB50_312:
	s_or_b64 exec, exec, s[0:1]
	v_cmp_lt_i32_e32 vcc, 14, v117
	s_waitcnt lgkmcnt(0)
	s_barrier
	s_and_saveexec_b64 s[0:1], vcc
	s_cbranch_execz .LBB50_314
; %bb.313:
	ds_read2_b64 v[120:123], v116 offset0:30 offset1:31
	v_mul_f64 v[114:115], v[104:105], v[42:43]
	v_fmac_f64_e32 v[114:115], v[106:107], v[40:41]
	v_mul_f64 v[42:43], v[106:107], v[42:43]
	v_fma_f64 v[40:41], v[104:105], v[40:41], -v[42:43]
	ds_read2_b64 v[104:107], v116 offset0:32 offset1:33
	s_waitcnt lgkmcnt(1)
	v_mul_f64 v[42:43], v[122:123], v[114:115]
	v_fma_f64 v[42:43], v[120:121], v[40:41], -v[42:43]
	v_mul_f64 v[120:121], v[120:121], v[114:115]
	v_fmac_f64_e32 v[120:121], v[122:123], v[40:41]
	s_waitcnt vmcnt(10)
	v_add_f64 v[38:39], v[38:39], -v[120:121]
	ds_read2_b64 v[120:123], v116 offset0:34 offset1:35
	v_add_f64 v[36:37], v[36:37], -v[42:43]
	s_waitcnt lgkmcnt(1)
	v_mul_f64 v[42:43], v[106:107], v[114:115]
	v_fma_f64 v[42:43], v[104:105], v[40:41], -v[42:43]
	v_mul_f64 v[104:105], v[104:105], v[114:115]
	v_fmac_f64_e32 v[104:105], v[106:107], v[40:41]
	s_waitcnt vmcnt(9)
	v_add_f64 v[28:29], v[28:29], -v[42:43]
	v_add_f64 v[30:31], v[30:31], -v[104:105]
	ds_read2_b64 v[104:107], v116 offset0:36 offset1:37
	s_waitcnt lgkmcnt(1)
	v_mul_f64 v[42:43], v[122:123], v[114:115]
	v_fma_f64 v[42:43], v[120:121], v[40:41], -v[42:43]
	v_mul_f64 v[120:121], v[120:121], v[114:115]
	v_fmac_f64_e32 v[120:121], v[122:123], v[40:41]
	s_waitcnt vmcnt(8)
	v_add_f64 v[34:35], v[34:35], -v[120:121]
	ds_read2_b64 v[120:123], v116 offset0:38 offset1:39
	v_add_f64 v[32:33], v[32:33], -v[42:43]
	s_waitcnt lgkmcnt(1)
	v_mul_f64 v[42:43], v[106:107], v[114:115]
	v_fma_f64 v[42:43], v[104:105], v[40:41], -v[42:43]
	v_mul_f64 v[104:105], v[104:105], v[114:115]
	v_fmac_f64_e32 v[104:105], v[106:107], v[40:41]
	s_waitcnt vmcnt(7)
	v_add_f64 v[24:25], v[24:25], -v[42:43]
	v_add_f64 v[26:27], v[26:27], -v[104:105]
	;; [unrolled: 18-line block ×5, first 2 shown]
	s_waitcnt lgkmcnt(0)
	v_mul_f64 v[42:43], v[122:123], v[114:115]
	v_mul_f64 v[104:105], v[120:121], v[114:115]
	v_fma_f64 v[42:43], v[120:121], v[40:41], -v[42:43]
	v_fmac_f64_e32 v[104:105], v[122:123], v[40:41]
	s_waitcnt vmcnt(0)
	v_add_f64 v[100:101], v[100:101], -v[42:43]
	v_add_f64 v[102:103], v[102:103], -v[104:105]
	v_mov_b64_e32 v[42:43], v[114:115]
.LBB50_314:
	s_or_b64 exec, exec, s[0:1]
	v_lshl_add_u32 v104, v117, 4, v116
	s_barrier
	s_waitcnt vmcnt(10)
	ds_write2_b64 v104, v[36:37], v[38:39] offset1:1
	s_waitcnt lgkmcnt(0)
	s_barrier
	ds_read2_b64 v[104:107], v116 offset0:30 offset1:31
	s_cmp_lt_i32 s20, 17
	v_mov_b32_e32 v114, 15
	s_cbranch_scc1 .LBB50_317
; %bb.315:
	v_add_u32_e32 v115, 0x100, v116
	s_mov_b32 s16, 16
	v_mov_b32_e32 v114, 15
.LBB50_316:                             ; =>This Inner Loop Header: Depth=1
	ds_read2_b64 v[120:123], v115 offset1:1
	s_waitcnt lgkmcnt(1)
	v_xor_b32_e32 v125, 0x80000000, v105
	v_xor_b32_e32 v127, 0x80000000, v107
	v_cmp_gt_f64_e32 vcc, 0, v[106:107]
	v_cmp_gt_f64_e64 s[0:1], 0, v[104:105]
	v_mov_b32_e32 v124, v104
	v_mov_b32_e32 v126, v106
	v_cndmask_b32_e64 v125, v105, v125, s[0:1]
	v_cndmask_b32_e32 v127, v107, v127, vcc
	v_add_f64 v[124:125], v[124:125], v[126:127]
	s_waitcnt lgkmcnt(0)
	v_xor_b32_e32 v127, 0x80000000, v121
	v_xor_b32_e32 v129, 0x80000000, v123
	v_cmp_gt_f64_e32 vcc, 0, v[122:123]
	v_cmp_gt_f64_e64 s[0:1], 0, v[120:121]
	v_mov_b32_e32 v126, v120
	v_mov_b32_e32 v128, v122
	v_cndmask_b32_e64 v127, v121, v127, s[0:1]
	v_cndmask_b32_e32 v129, v123, v129, vcc
	v_add_f64 v[126:127], v[126:127], v[128:129]
	v_mov_b32_e32 v130, s16
	s_add_i32 s16, s16, 1
	v_cmp_lt_f64_e32 vcc, v[124:125], v[126:127]
	v_add_u32_e32 v115, 16, v115
	s_cmp_lg_u32 s20, s16
	v_cndmask_b32_e32 v105, v105, v121, vcc
	v_cndmask_b32_e32 v104, v104, v120, vcc
	;; [unrolled: 1-line block ×5, first 2 shown]
	s_cbranch_scc1 .LBB50_316
.LBB50_317:
	s_waitcnt lgkmcnt(0)
	v_cmp_eq_f64_e32 vcc, 0, v[104:105]
	v_cmp_eq_f64_e64 s[0:1], 0, v[106:107]
	s_and_b64 s[0:1], vcc, s[0:1]
	s_and_saveexec_b64 s[16:17], s[0:1]
	s_xor_b64 s[0:1], exec, s[16:17]
; %bb.318:
	v_cmp_ne_u32_e32 vcc, 0, v119
	s_nop 1
	v_cndmask_b32_e32 v119, 16, v119, vcc
; %bb.319:
	s_andn2_saveexec_b64 s[0:1], s[0:1]
	s_cbranch_execz .LBB50_325
; %bb.320:
	v_cmp_ngt_f64_e64 s[16:17], |v[104:105]|, |v[106:107]|
	s_and_saveexec_b64 s[18:19], s[16:17]
	s_xor_b64 s[16:17], exec, s[18:19]
	s_cbranch_execz .LBB50_322
; %bb.321:
	v_div_scale_f64 v[120:121], s[18:19], v[106:107], v[106:107], v[104:105]
	v_rcp_f64_e32 v[122:123], v[120:121]
	v_div_scale_f64 v[124:125], vcc, v[104:105], v[106:107], v[104:105]
	v_fma_f64 v[126:127], -v[120:121], v[122:123], 1.0
	v_fmac_f64_e32 v[122:123], v[122:123], v[126:127]
	v_fma_f64 v[126:127], -v[120:121], v[122:123], 1.0
	v_fmac_f64_e32 v[122:123], v[122:123], v[126:127]
	v_mul_f64 v[126:127], v[124:125], v[122:123]
	v_fma_f64 v[120:121], -v[120:121], v[126:127], v[124:125]
	v_div_fmas_f64 v[120:121], v[120:121], v[122:123], v[126:127]
	v_div_fixup_f64 v[120:121], v[120:121], v[106:107], v[104:105]
	v_fmac_f64_e32 v[106:107], v[104:105], v[120:121]
	v_div_scale_f64 v[104:105], s[18:19], v[106:107], v[106:107], 1.0
	v_rcp_f64_e32 v[122:123], v[104:105]
	s_nop 0
	v_fma_f64 v[124:125], -v[104:105], v[122:123], 1.0
	v_fmac_f64_e32 v[122:123], v[122:123], v[124:125]
	v_fma_f64 v[124:125], -v[104:105], v[122:123], 1.0
	v_fmac_f64_e32 v[122:123], v[122:123], v[124:125]
	v_div_scale_f64 v[124:125], vcc, 1.0, v[106:107], 1.0
	v_mul_f64 v[126:127], v[124:125], v[122:123]
	v_fma_f64 v[104:105], -v[104:105], v[126:127], v[124:125]
	s_nop 1
	v_div_fmas_f64 v[104:105], v[104:105], v[122:123], v[126:127]
	v_div_fixup_f64 v[106:107], v[104:105], v[106:107], 1.0
	v_mul_f64 v[104:105], v[120:121], v[106:107]
	v_xor_b32_e32 v107, 0x80000000, v107
.LBB50_322:
	s_andn2_saveexec_b64 s[16:17], s[16:17]
	s_cbranch_execz .LBB50_324
; %bb.323:
	v_div_scale_f64 v[120:121], s[18:19], v[104:105], v[104:105], v[106:107]
	v_rcp_f64_e32 v[122:123], v[120:121]
	v_div_scale_f64 v[124:125], vcc, v[106:107], v[104:105], v[106:107]
	v_fma_f64 v[126:127], -v[120:121], v[122:123], 1.0
	v_fmac_f64_e32 v[122:123], v[122:123], v[126:127]
	v_fma_f64 v[126:127], -v[120:121], v[122:123], 1.0
	v_fmac_f64_e32 v[122:123], v[122:123], v[126:127]
	v_mul_f64 v[126:127], v[124:125], v[122:123]
	v_fma_f64 v[120:121], -v[120:121], v[126:127], v[124:125]
	v_div_fmas_f64 v[120:121], v[120:121], v[122:123], v[126:127]
	v_div_fixup_f64 v[120:121], v[120:121], v[104:105], v[106:107]
	v_fmac_f64_e32 v[104:105], v[106:107], v[120:121]
	v_div_scale_f64 v[106:107], s[18:19], v[104:105], v[104:105], 1.0
	v_rcp_f64_e32 v[122:123], v[106:107]
	s_nop 0
	v_fma_f64 v[124:125], -v[106:107], v[122:123], 1.0
	v_fmac_f64_e32 v[122:123], v[122:123], v[124:125]
	v_fma_f64 v[124:125], -v[106:107], v[122:123], 1.0
	v_fmac_f64_e32 v[122:123], v[122:123], v[124:125]
	v_div_scale_f64 v[124:125], vcc, 1.0, v[104:105], 1.0
	v_mul_f64 v[126:127], v[124:125], v[122:123]
	v_fma_f64 v[106:107], -v[106:107], v[126:127], v[124:125]
	s_nop 1
	v_div_fmas_f64 v[106:107], v[106:107], v[122:123], v[126:127]
	v_div_fixup_f64 v[104:105], v[106:107], v[104:105], 1.0
	v_mul_f64 v[106:107], v[120:121], -v[104:105]
.LBB50_324:
	s_or_b64 exec, exec, s[16:17]
.LBB50_325:
	s_or_b64 exec, exec, s[0:1]
	v_cmp_ne_u32_e32 vcc, v117, v114
	s_and_saveexec_b64 s[0:1], vcc
	s_xor_b64 s[0:1], exec, s[0:1]
	s_cbranch_execz .LBB50_331
; %bb.326:
	v_cmp_eq_u32_e32 vcc, 15, v117
	s_and_saveexec_b64 s[16:17], vcc
	s_cbranch_execz .LBB50_330
; %bb.327:
	v_cmp_ne_u32_e32 vcc, 15, v114
	s_xor_b64 s[18:19], s[14:15], -1
	s_and_b64 s[22:23], s[18:19], vcc
	s_and_saveexec_b64 s[18:19], s[22:23]
	s_cbranch_execz .LBB50_329
; %bb.328:
	v_ashrrev_i32_e32 v115, 31, v114
	v_lshl_add_u64 v[120:121], v[114:115], 2, v[112:113]
	global_load_dword v115, v[120:121], off
	global_load_dword v117, v[112:113], off offset:60
	s_waitcnt vmcnt(1)
	global_store_dword v[112:113], v115, off offset:60
	s_waitcnt vmcnt(1)
	global_store_dword v[120:121], v117, off
.LBB50_329:
	s_or_b64 exec, exec, s[18:19]
	v_mov_b32_e32 v117, v114
	v_mov_b32_e32 v118, v114
.LBB50_330:
	s_or_b64 exec, exec, s[16:17]
.LBB50_331:
	s_andn2_saveexec_b64 s[0:1], s[0:1]
	s_cbranch_execz .LBB50_333
; %bb.332:
	v_mov_b32_e32 v117, 15
	s_waitcnt vmcnt(9)
	ds_write2_b64 v116, v[28:29], v[30:31] offset0:32 offset1:33
	s_waitcnt vmcnt(8)
	ds_write2_b64 v116, v[32:33], v[34:35] offset0:34 offset1:35
	s_waitcnt vmcnt(7)
	ds_write2_b64 v116, v[24:25], v[26:27] offset0:36 offset1:37
	s_waitcnt vmcnt(6)
	ds_write2_b64 v116, v[20:21], v[22:23] offset0:38 offset1:39
	s_waitcnt vmcnt(5)
	ds_write2_b64 v116, v[16:17], v[18:19] offset0:40 offset1:41
	s_waitcnt vmcnt(4)
	ds_write2_b64 v116, v[12:13], v[14:15] offset0:42 offset1:43
	s_waitcnt vmcnt(3)
	ds_write2_b64 v116, v[8:9], v[10:11] offset0:44 offset1:45
	s_waitcnt vmcnt(2)
	ds_write2_b64 v116, v[4:5], v[6:7] offset0:46 offset1:47
	s_waitcnt vmcnt(1)
	ds_write2_b64 v116, v[0:1], v[2:3] offset0:48 offset1:49
	s_waitcnt vmcnt(0)
	ds_write2_b64 v116, v[100:101], v[102:103] offset0:50 offset1:51
.LBB50_333:
	s_or_b64 exec, exec, s[0:1]
	v_cmp_lt_i32_e32 vcc, 15, v117
	s_waitcnt lgkmcnt(0)
	s_barrier
	s_and_saveexec_b64 s[0:1], vcc
	s_cbranch_execz .LBB50_335
; %bb.334:
	ds_read2_b64 v[120:123], v116 offset0:32 offset1:33
	v_mul_f64 v[114:115], v[104:105], v[38:39]
	v_mul_f64 v[38:39], v[106:107], v[38:39]
	v_fmac_f64_e32 v[114:115], v[106:107], v[36:37]
	v_fma_f64 v[36:37], v[104:105], v[36:37], -v[38:39]
	ds_read2_b64 v[104:107], v116 offset0:34 offset1:35
	s_waitcnt lgkmcnt(1)
	v_mul_f64 v[38:39], v[122:123], v[114:115]
	v_fma_f64 v[38:39], v[120:121], v[36:37], -v[38:39]
	v_mul_f64 v[120:121], v[120:121], v[114:115]
	v_fmac_f64_e32 v[120:121], v[122:123], v[36:37]
	s_waitcnt vmcnt(9)
	v_add_f64 v[28:29], v[28:29], -v[38:39]
	s_waitcnt lgkmcnt(0)
	v_mul_f64 v[38:39], v[106:107], v[114:115]
	v_add_f64 v[30:31], v[30:31], -v[120:121]
	v_fma_f64 v[38:39], v[104:105], v[36:37], -v[38:39]
	v_mul_f64 v[104:105], v[104:105], v[114:115]
	ds_read2_b64 v[120:123], v116 offset0:36 offset1:37
	v_fmac_f64_e32 v[104:105], v[106:107], v[36:37]
	s_waitcnt vmcnt(8)
	v_add_f64 v[34:35], v[34:35], -v[104:105]
	ds_read2_b64 v[104:107], v116 offset0:38 offset1:39
	v_add_f64 v[32:33], v[32:33], -v[38:39]
	s_waitcnt lgkmcnt(1)
	v_mul_f64 v[38:39], v[122:123], v[114:115]
	v_fma_f64 v[38:39], v[120:121], v[36:37], -v[38:39]
	v_mul_f64 v[120:121], v[120:121], v[114:115]
	v_fmac_f64_e32 v[120:121], v[122:123], v[36:37]
	s_waitcnt vmcnt(7)
	v_add_f64 v[24:25], v[24:25], -v[38:39]
	s_waitcnt lgkmcnt(0)
	v_mul_f64 v[38:39], v[106:107], v[114:115]
	v_add_f64 v[26:27], v[26:27], -v[120:121]
	v_fma_f64 v[38:39], v[104:105], v[36:37], -v[38:39]
	v_mul_f64 v[104:105], v[104:105], v[114:115]
	ds_read2_b64 v[120:123], v116 offset0:40 offset1:41
	v_fmac_f64_e32 v[104:105], v[106:107], v[36:37]
	s_waitcnt vmcnt(6)
	v_add_f64 v[22:23], v[22:23], -v[104:105]
	ds_read2_b64 v[104:107], v116 offset0:42 offset1:43
	v_add_f64 v[20:21], v[20:21], -v[38:39]
	;; [unrolled: 18-line block ×4, first 2 shown]
	s_waitcnt lgkmcnt(1)
	v_mul_f64 v[38:39], v[122:123], v[114:115]
	v_fma_f64 v[38:39], v[120:121], v[36:37], -v[38:39]
	s_waitcnt vmcnt(1)
	v_add_f64 v[0:1], v[0:1], -v[38:39]
	s_waitcnt lgkmcnt(0)
	v_mul_f64 v[38:39], v[106:107], v[114:115]
	v_mul_f64 v[120:121], v[120:121], v[114:115]
	v_fma_f64 v[38:39], v[104:105], v[36:37], -v[38:39]
	v_mul_f64 v[104:105], v[104:105], v[114:115]
	v_fmac_f64_e32 v[120:121], v[122:123], v[36:37]
	v_fmac_f64_e32 v[104:105], v[106:107], v[36:37]
	v_add_f64 v[2:3], v[2:3], -v[120:121]
	s_waitcnt vmcnt(0)
	v_add_f64 v[100:101], v[100:101], -v[38:39]
	v_add_f64 v[102:103], v[102:103], -v[104:105]
	v_mov_b64_e32 v[38:39], v[114:115]
.LBB50_335:
	s_or_b64 exec, exec, s[0:1]
	v_lshl_add_u32 v104, v117, 4, v116
	s_barrier
	s_waitcnt vmcnt(9)
	ds_write2_b64 v104, v[28:29], v[30:31] offset1:1
	s_waitcnt lgkmcnt(0)
	s_barrier
	ds_read2_b64 v[104:107], v116 offset0:32 offset1:33
	s_cmp_lt_i32 s20, 18
	v_mov_b32_e32 v114, 16
	s_cbranch_scc1 .LBB50_338
; %bb.336:
	v_add_u32_e32 v115, 0x110, v116
	s_mov_b32 s16, 17
	v_mov_b32_e32 v114, 16
.LBB50_337:                             ; =>This Inner Loop Header: Depth=1
	ds_read2_b64 v[120:123], v115 offset1:1
	s_waitcnt lgkmcnt(1)
	v_xor_b32_e32 v125, 0x80000000, v105
	v_xor_b32_e32 v127, 0x80000000, v107
	v_cmp_gt_f64_e32 vcc, 0, v[106:107]
	v_cmp_gt_f64_e64 s[0:1], 0, v[104:105]
	v_mov_b32_e32 v124, v104
	v_mov_b32_e32 v126, v106
	v_cndmask_b32_e64 v125, v105, v125, s[0:1]
	v_cndmask_b32_e32 v127, v107, v127, vcc
	v_add_f64 v[124:125], v[124:125], v[126:127]
	s_waitcnt lgkmcnt(0)
	v_xor_b32_e32 v127, 0x80000000, v121
	v_xor_b32_e32 v129, 0x80000000, v123
	v_cmp_gt_f64_e32 vcc, 0, v[122:123]
	v_cmp_gt_f64_e64 s[0:1], 0, v[120:121]
	v_mov_b32_e32 v126, v120
	v_mov_b32_e32 v128, v122
	v_cndmask_b32_e64 v127, v121, v127, s[0:1]
	v_cndmask_b32_e32 v129, v123, v129, vcc
	v_add_f64 v[126:127], v[126:127], v[128:129]
	v_mov_b32_e32 v130, s16
	s_add_i32 s16, s16, 1
	v_cmp_lt_f64_e32 vcc, v[124:125], v[126:127]
	v_add_u32_e32 v115, 16, v115
	s_cmp_lg_u32 s20, s16
	v_cndmask_b32_e32 v105, v105, v121, vcc
	v_cndmask_b32_e32 v104, v104, v120, vcc
	;; [unrolled: 1-line block ×5, first 2 shown]
	s_cbranch_scc1 .LBB50_337
.LBB50_338:
	s_waitcnt lgkmcnt(0)
	v_cmp_eq_f64_e32 vcc, 0, v[104:105]
	v_cmp_eq_f64_e64 s[0:1], 0, v[106:107]
	s_and_b64 s[0:1], vcc, s[0:1]
	s_and_saveexec_b64 s[16:17], s[0:1]
	s_xor_b64 s[0:1], exec, s[16:17]
; %bb.339:
	v_cmp_ne_u32_e32 vcc, 0, v119
	s_nop 1
	v_cndmask_b32_e32 v119, 17, v119, vcc
; %bb.340:
	s_andn2_saveexec_b64 s[0:1], s[0:1]
	s_cbranch_execz .LBB50_346
; %bb.341:
	v_cmp_ngt_f64_e64 s[16:17], |v[104:105]|, |v[106:107]|
	s_and_saveexec_b64 s[18:19], s[16:17]
	s_xor_b64 s[16:17], exec, s[18:19]
	s_cbranch_execz .LBB50_343
; %bb.342:
	v_div_scale_f64 v[120:121], s[18:19], v[106:107], v[106:107], v[104:105]
	v_rcp_f64_e32 v[122:123], v[120:121]
	v_div_scale_f64 v[124:125], vcc, v[104:105], v[106:107], v[104:105]
	v_fma_f64 v[126:127], -v[120:121], v[122:123], 1.0
	v_fmac_f64_e32 v[122:123], v[122:123], v[126:127]
	v_fma_f64 v[126:127], -v[120:121], v[122:123], 1.0
	v_fmac_f64_e32 v[122:123], v[122:123], v[126:127]
	v_mul_f64 v[126:127], v[124:125], v[122:123]
	v_fma_f64 v[120:121], -v[120:121], v[126:127], v[124:125]
	v_div_fmas_f64 v[120:121], v[120:121], v[122:123], v[126:127]
	v_div_fixup_f64 v[120:121], v[120:121], v[106:107], v[104:105]
	v_fmac_f64_e32 v[106:107], v[104:105], v[120:121]
	v_div_scale_f64 v[104:105], s[18:19], v[106:107], v[106:107], 1.0
	v_rcp_f64_e32 v[122:123], v[104:105]
	s_nop 0
	v_fma_f64 v[124:125], -v[104:105], v[122:123], 1.0
	v_fmac_f64_e32 v[122:123], v[122:123], v[124:125]
	v_fma_f64 v[124:125], -v[104:105], v[122:123], 1.0
	v_fmac_f64_e32 v[122:123], v[122:123], v[124:125]
	v_div_scale_f64 v[124:125], vcc, 1.0, v[106:107], 1.0
	v_mul_f64 v[126:127], v[124:125], v[122:123]
	v_fma_f64 v[104:105], -v[104:105], v[126:127], v[124:125]
	s_nop 1
	v_div_fmas_f64 v[104:105], v[104:105], v[122:123], v[126:127]
	v_div_fixup_f64 v[106:107], v[104:105], v[106:107], 1.0
	v_mul_f64 v[104:105], v[120:121], v[106:107]
	v_xor_b32_e32 v107, 0x80000000, v107
.LBB50_343:
	s_andn2_saveexec_b64 s[16:17], s[16:17]
	s_cbranch_execz .LBB50_345
; %bb.344:
	v_div_scale_f64 v[120:121], s[18:19], v[104:105], v[104:105], v[106:107]
	v_rcp_f64_e32 v[122:123], v[120:121]
	v_div_scale_f64 v[124:125], vcc, v[106:107], v[104:105], v[106:107]
	v_fma_f64 v[126:127], -v[120:121], v[122:123], 1.0
	v_fmac_f64_e32 v[122:123], v[122:123], v[126:127]
	v_fma_f64 v[126:127], -v[120:121], v[122:123], 1.0
	v_fmac_f64_e32 v[122:123], v[122:123], v[126:127]
	v_mul_f64 v[126:127], v[124:125], v[122:123]
	v_fma_f64 v[120:121], -v[120:121], v[126:127], v[124:125]
	v_div_fmas_f64 v[120:121], v[120:121], v[122:123], v[126:127]
	v_div_fixup_f64 v[120:121], v[120:121], v[104:105], v[106:107]
	v_fmac_f64_e32 v[104:105], v[106:107], v[120:121]
	v_div_scale_f64 v[106:107], s[18:19], v[104:105], v[104:105], 1.0
	v_rcp_f64_e32 v[122:123], v[106:107]
	s_nop 0
	v_fma_f64 v[124:125], -v[106:107], v[122:123], 1.0
	v_fmac_f64_e32 v[122:123], v[122:123], v[124:125]
	v_fma_f64 v[124:125], -v[106:107], v[122:123], 1.0
	v_fmac_f64_e32 v[122:123], v[122:123], v[124:125]
	v_div_scale_f64 v[124:125], vcc, 1.0, v[104:105], 1.0
	v_mul_f64 v[126:127], v[124:125], v[122:123]
	v_fma_f64 v[106:107], -v[106:107], v[126:127], v[124:125]
	s_nop 1
	v_div_fmas_f64 v[106:107], v[106:107], v[122:123], v[126:127]
	v_div_fixup_f64 v[104:105], v[106:107], v[104:105], 1.0
	v_mul_f64 v[106:107], v[120:121], -v[104:105]
.LBB50_345:
	s_or_b64 exec, exec, s[16:17]
.LBB50_346:
	s_or_b64 exec, exec, s[0:1]
	v_cmp_ne_u32_e32 vcc, v117, v114
	s_and_saveexec_b64 s[0:1], vcc
	s_xor_b64 s[0:1], exec, s[0:1]
	s_cbranch_execz .LBB50_352
; %bb.347:
	v_cmp_eq_u32_e32 vcc, 16, v117
	s_and_saveexec_b64 s[16:17], vcc
	s_cbranch_execz .LBB50_351
; %bb.348:
	v_cmp_ne_u32_e32 vcc, 16, v114
	s_xor_b64 s[18:19], s[14:15], -1
	s_and_b64 s[22:23], s[18:19], vcc
	s_and_saveexec_b64 s[18:19], s[22:23]
	s_cbranch_execz .LBB50_350
; %bb.349:
	v_ashrrev_i32_e32 v115, 31, v114
	v_lshl_add_u64 v[120:121], v[114:115], 2, v[112:113]
	global_load_dword v115, v[120:121], off
	global_load_dword v117, v[112:113], off offset:64
	s_waitcnt vmcnt(1)
	global_store_dword v[112:113], v115, off offset:64
	s_waitcnt vmcnt(1)
	global_store_dword v[120:121], v117, off
.LBB50_350:
	s_or_b64 exec, exec, s[18:19]
	v_mov_b32_e32 v117, v114
	v_mov_b32_e32 v118, v114
.LBB50_351:
	s_or_b64 exec, exec, s[16:17]
.LBB50_352:
	s_andn2_saveexec_b64 s[0:1], s[0:1]
	s_cbranch_execz .LBB50_354
; %bb.353:
	v_mov_b32_e32 v117, 16
	s_waitcnt vmcnt(8)
	ds_write2_b64 v116, v[32:33], v[34:35] offset0:34 offset1:35
	s_waitcnt vmcnt(7)
	ds_write2_b64 v116, v[24:25], v[26:27] offset0:36 offset1:37
	;; [unrolled: 2-line block ×9, first 2 shown]
.LBB50_354:
	s_or_b64 exec, exec, s[0:1]
	v_cmp_lt_i32_e32 vcc, 16, v117
	s_waitcnt lgkmcnt(0)
	s_barrier
	s_and_saveexec_b64 s[0:1], vcc
	s_cbranch_execz .LBB50_356
; %bb.355:
	ds_read2_b64 v[120:123], v116 offset0:34 offset1:35
	v_mul_f64 v[114:115], v[104:105], v[30:31]
	v_fmac_f64_e32 v[114:115], v[106:107], v[28:29]
	v_mul_f64 v[30:31], v[106:107], v[30:31]
	v_fma_f64 v[28:29], v[104:105], v[28:29], -v[30:31]
	ds_read2_b64 v[104:107], v116 offset0:36 offset1:37
	s_waitcnt lgkmcnt(1)
	v_mul_f64 v[30:31], v[122:123], v[114:115]
	v_fma_f64 v[30:31], v[120:121], v[28:29], -v[30:31]
	v_mul_f64 v[120:121], v[120:121], v[114:115]
	v_fmac_f64_e32 v[120:121], v[122:123], v[28:29]
	s_waitcnt vmcnt(8)
	v_add_f64 v[34:35], v[34:35], -v[120:121]
	ds_read2_b64 v[120:123], v116 offset0:38 offset1:39
	v_add_f64 v[32:33], v[32:33], -v[30:31]
	s_waitcnt lgkmcnt(1)
	v_mul_f64 v[30:31], v[106:107], v[114:115]
	v_fma_f64 v[30:31], v[104:105], v[28:29], -v[30:31]
	v_mul_f64 v[104:105], v[104:105], v[114:115]
	v_fmac_f64_e32 v[104:105], v[106:107], v[28:29]
	s_waitcnt vmcnt(7)
	v_add_f64 v[24:25], v[24:25], -v[30:31]
	v_add_f64 v[26:27], v[26:27], -v[104:105]
	ds_read2_b64 v[104:107], v116 offset0:40 offset1:41
	s_waitcnt lgkmcnt(1)
	v_mul_f64 v[30:31], v[122:123], v[114:115]
	v_fma_f64 v[30:31], v[120:121], v[28:29], -v[30:31]
	v_mul_f64 v[120:121], v[120:121], v[114:115]
	v_fmac_f64_e32 v[120:121], v[122:123], v[28:29]
	s_waitcnt vmcnt(6)
	v_add_f64 v[22:23], v[22:23], -v[120:121]
	ds_read2_b64 v[120:123], v116 offset0:42 offset1:43
	v_add_f64 v[20:21], v[20:21], -v[30:31]
	s_waitcnt lgkmcnt(1)
	v_mul_f64 v[30:31], v[106:107], v[114:115]
	v_fma_f64 v[30:31], v[104:105], v[28:29], -v[30:31]
	v_mul_f64 v[104:105], v[104:105], v[114:115]
	v_fmac_f64_e32 v[104:105], v[106:107], v[28:29]
	s_waitcnt vmcnt(5)
	v_add_f64 v[16:17], v[16:17], -v[30:31]
	v_add_f64 v[18:19], v[18:19], -v[104:105]
	;; [unrolled: 18-line block ×4, first 2 shown]
	s_waitcnt lgkmcnt(0)
	v_mul_f64 v[30:31], v[122:123], v[114:115]
	v_mul_f64 v[104:105], v[120:121], v[114:115]
	v_fma_f64 v[30:31], v[120:121], v[28:29], -v[30:31]
	v_fmac_f64_e32 v[104:105], v[122:123], v[28:29]
	s_waitcnt vmcnt(0)
	v_add_f64 v[100:101], v[100:101], -v[30:31]
	v_add_f64 v[102:103], v[102:103], -v[104:105]
	v_mov_b64_e32 v[30:31], v[114:115]
.LBB50_356:
	s_or_b64 exec, exec, s[0:1]
	v_lshl_add_u32 v104, v117, 4, v116
	s_barrier
	s_waitcnt vmcnt(8)
	ds_write2_b64 v104, v[32:33], v[34:35] offset1:1
	s_waitcnt lgkmcnt(0)
	s_barrier
	ds_read2_b64 v[104:107], v116 offset0:34 offset1:35
	s_cmp_lt_i32 s20, 19
	v_mov_b32_e32 v114, 17
	s_cbranch_scc1 .LBB50_359
; %bb.357:
	v_add_u32_e32 v115, 0x120, v116
	s_mov_b32 s16, 18
	v_mov_b32_e32 v114, 17
.LBB50_358:                             ; =>This Inner Loop Header: Depth=1
	ds_read2_b64 v[120:123], v115 offset1:1
	s_waitcnt lgkmcnt(1)
	v_xor_b32_e32 v125, 0x80000000, v105
	v_xor_b32_e32 v127, 0x80000000, v107
	v_cmp_gt_f64_e32 vcc, 0, v[106:107]
	v_cmp_gt_f64_e64 s[0:1], 0, v[104:105]
	v_mov_b32_e32 v124, v104
	v_mov_b32_e32 v126, v106
	v_cndmask_b32_e64 v125, v105, v125, s[0:1]
	v_cndmask_b32_e32 v127, v107, v127, vcc
	v_add_f64 v[124:125], v[124:125], v[126:127]
	s_waitcnt lgkmcnt(0)
	v_xor_b32_e32 v127, 0x80000000, v121
	v_xor_b32_e32 v129, 0x80000000, v123
	v_cmp_gt_f64_e32 vcc, 0, v[122:123]
	v_cmp_gt_f64_e64 s[0:1], 0, v[120:121]
	v_mov_b32_e32 v126, v120
	v_mov_b32_e32 v128, v122
	v_cndmask_b32_e64 v127, v121, v127, s[0:1]
	v_cndmask_b32_e32 v129, v123, v129, vcc
	v_add_f64 v[126:127], v[126:127], v[128:129]
	v_mov_b32_e32 v130, s16
	s_add_i32 s16, s16, 1
	v_cmp_lt_f64_e32 vcc, v[124:125], v[126:127]
	v_add_u32_e32 v115, 16, v115
	s_cmp_lg_u32 s20, s16
	v_cndmask_b32_e32 v105, v105, v121, vcc
	v_cndmask_b32_e32 v104, v104, v120, vcc
	;; [unrolled: 1-line block ×5, first 2 shown]
	s_cbranch_scc1 .LBB50_358
.LBB50_359:
	s_waitcnt lgkmcnt(0)
	v_cmp_eq_f64_e32 vcc, 0, v[104:105]
	v_cmp_eq_f64_e64 s[0:1], 0, v[106:107]
	s_and_b64 s[0:1], vcc, s[0:1]
	s_and_saveexec_b64 s[16:17], s[0:1]
	s_xor_b64 s[0:1], exec, s[16:17]
; %bb.360:
	v_cmp_ne_u32_e32 vcc, 0, v119
	s_nop 1
	v_cndmask_b32_e32 v119, 18, v119, vcc
; %bb.361:
	s_andn2_saveexec_b64 s[0:1], s[0:1]
	s_cbranch_execz .LBB50_367
; %bb.362:
	v_cmp_ngt_f64_e64 s[16:17], |v[104:105]|, |v[106:107]|
	s_and_saveexec_b64 s[18:19], s[16:17]
	s_xor_b64 s[16:17], exec, s[18:19]
	s_cbranch_execz .LBB50_364
; %bb.363:
	v_div_scale_f64 v[120:121], s[18:19], v[106:107], v[106:107], v[104:105]
	v_rcp_f64_e32 v[122:123], v[120:121]
	v_div_scale_f64 v[124:125], vcc, v[104:105], v[106:107], v[104:105]
	v_fma_f64 v[126:127], -v[120:121], v[122:123], 1.0
	v_fmac_f64_e32 v[122:123], v[122:123], v[126:127]
	v_fma_f64 v[126:127], -v[120:121], v[122:123], 1.0
	v_fmac_f64_e32 v[122:123], v[122:123], v[126:127]
	v_mul_f64 v[126:127], v[124:125], v[122:123]
	v_fma_f64 v[120:121], -v[120:121], v[126:127], v[124:125]
	v_div_fmas_f64 v[120:121], v[120:121], v[122:123], v[126:127]
	v_div_fixup_f64 v[120:121], v[120:121], v[106:107], v[104:105]
	v_fmac_f64_e32 v[106:107], v[104:105], v[120:121]
	v_div_scale_f64 v[104:105], s[18:19], v[106:107], v[106:107], 1.0
	v_rcp_f64_e32 v[122:123], v[104:105]
	s_nop 0
	v_fma_f64 v[124:125], -v[104:105], v[122:123], 1.0
	v_fmac_f64_e32 v[122:123], v[122:123], v[124:125]
	v_fma_f64 v[124:125], -v[104:105], v[122:123], 1.0
	v_fmac_f64_e32 v[122:123], v[122:123], v[124:125]
	v_div_scale_f64 v[124:125], vcc, 1.0, v[106:107], 1.0
	v_mul_f64 v[126:127], v[124:125], v[122:123]
	v_fma_f64 v[104:105], -v[104:105], v[126:127], v[124:125]
	s_nop 1
	v_div_fmas_f64 v[104:105], v[104:105], v[122:123], v[126:127]
	v_div_fixup_f64 v[106:107], v[104:105], v[106:107], 1.0
	v_mul_f64 v[104:105], v[120:121], v[106:107]
	v_xor_b32_e32 v107, 0x80000000, v107
.LBB50_364:
	s_andn2_saveexec_b64 s[16:17], s[16:17]
	s_cbranch_execz .LBB50_366
; %bb.365:
	v_div_scale_f64 v[120:121], s[18:19], v[104:105], v[104:105], v[106:107]
	v_rcp_f64_e32 v[122:123], v[120:121]
	v_div_scale_f64 v[124:125], vcc, v[106:107], v[104:105], v[106:107]
	v_fma_f64 v[126:127], -v[120:121], v[122:123], 1.0
	v_fmac_f64_e32 v[122:123], v[122:123], v[126:127]
	v_fma_f64 v[126:127], -v[120:121], v[122:123], 1.0
	v_fmac_f64_e32 v[122:123], v[122:123], v[126:127]
	v_mul_f64 v[126:127], v[124:125], v[122:123]
	v_fma_f64 v[120:121], -v[120:121], v[126:127], v[124:125]
	v_div_fmas_f64 v[120:121], v[120:121], v[122:123], v[126:127]
	v_div_fixup_f64 v[120:121], v[120:121], v[104:105], v[106:107]
	v_fmac_f64_e32 v[104:105], v[106:107], v[120:121]
	v_div_scale_f64 v[106:107], s[18:19], v[104:105], v[104:105], 1.0
	v_rcp_f64_e32 v[122:123], v[106:107]
	s_nop 0
	v_fma_f64 v[124:125], -v[106:107], v[122:123], 1.0
	v_fmac_f64_e32 v[122:123], v[122:123], v[124:125]
	v_fma_f64 v[124:125], -v[106:107], v[122:123], 1.0
	v_fmac_f64_e32 v[122:123], v[122:123], v[124:125]
	v_div_scale_f64 v[124:125], vcc, 1.0, v[104:105], 1.0
	v_mul_f64 v[126:127], v[124:125], v[122:123]
	v_fma_f64 v[106:107], -v[106:107], v[126:127], v[124:125]
	s_nop 1
	v_div_fmas_f64 v[106:107], v[106:107], v[122:123], v[126:127]
	v_div_fixup_f64 v[104:105], v[106:107], v[104:105], 1.0
	v_mul_f64 v[106:107], v[120:121], -v[104:105]
.LBB50_366:
	s_or_b64 exec, exec, s[16:17]
.LBB50_367:
	s_or_b64 exec, exec, s[0:1]
	v_cmp_ne_u32_e32 vcc, v117, v114
	s_and_saveexec_b64 s[0:1], vcc
	s_xor_b64 s[0:1], exec, s[0:1]
	s_cbranch_execz .LBB50_373
; %bb.368:
	v_cmp_eq_u32_e32 vcc, 17, v117
	s_and_saveexec_b64 s[16:17], vcc
	s_cbranch_execz .LBB50_372
; %bb.369:
	v_cmp_ne_u32_e32 vcc, 17, v114
	s_xor_b64 s[18:19], s[14:15], -1
	s_and_b64 s[22:23], s[18:19], vcc
	s_and_saveexec_b64 s[18:19], s[22:23]
	s_cbranch_execz .LBB50_371
; %bb.370:
	v_ashrrev_i32_e32 v115, 31, v114
	v_lshl_add_u64 v[120:121], v[114:115], 2, v[112:113]
	global_load_dword v115, v[120:121], off
	global_load_dword v117, v[112:113], off offset:68
	s_waitcnt vmcnt(1)
	global_store_dword v[112:113], v115, off offset:68
	s_waitcnt vmcnt(1)
	global_store_dword v[120:121], v117, off
.LBB50_371:
	s_or_b64 exec, exec, s[18:19]
	v_mov_b32_e32 v117, v114
	v_mov_b32_e32 v118, v114
.LBB50_372:
	s_or_b64 exec, exec, s[16:17]
.LBB50_373:
	s_andn2_saveexec_b64 s[0:1], s[0:1]
	s_cbranch_execz .LBB50_375
; %bb.374:
	v_mov_b32_e32 v117, 17
	s_waitcnt vmcnt(7)
	ds_write2_b64 v116, v[24:25], v[26:27] offset0:36 offset1:37
	s_waitcnt vmcnt(6)
	ds_write2_b64 v116, v[20:21], v[22:23] offset0:38 offset1:39
	;; [unrolled: 2-line block ×8, first 2 shown]
.LBB50_375:
	s_or_b64 exec, exec, s[0:1]
	v_cmp_lt_i32_e32 vcc, 17, v117
	s_waitcnt lgkmcnt(0)
	s_barrier
	s_and_saveexec_b64 s[0:1], vcc
	s_cbranch_execz .LBB50_377
; %bb.376:
	ds_read2_b64 v[120:123], v116 offset0:36 offset1:37
	v_mul_f64 v[114:115], v[104:105], v[34:35]
	v_mul_f64 v[34:35], v[106:107], v[34:35]
	v_fmac_f64_e32 v[114:115], v[106:107], v[32:33]
	v_fma_f64 v[32:33], v[104:105], v[32:33], -v[34:35]
	ds_read2_b64 v[104:107], v116 offset0:38 offset1:39
	s_waitcnt lgkmcnt(1)
	v_mul_f64 v[34:35], v[122:123], v[114:115]
	v_fma_f64 v[34:35], v[120:121], v[32:33], -v[34:35]
	v_mul_f64 v[120:121], v[120:121], v[114:115]
	v_fmac_f64_e32 v[120:121], v[122:123], v[32:33]
	s_waitcnt vmcnt(7)
	v_add_f64 v[24:25], v[24:25], -v[34:35]
	s_waitcnt lgkmcnt(0)
	v_mul_f64 v[34:35], v[106:107], v[114:115]
	v_add_f64 v[26:27], v[26:27], -v[120:121]
	v_fma_f64 v[34:35], v[104:105], v[32:33], -v[34:35]
	v_mul_f64 v[104:105], v[104:105], v[114:115]
	ds_read2_b64 v[120:123], v116 offset0:40 offset1:41
	v_fmac_f64_e32 v[104:105], v[106:107], v[32:33]
	s_waitcnt vmcnt(6)
	v_add_f64 v[22:23], v[22:23], -v[104:105]
	ds_read2_b64 v[104:107], v116 offset0:42 offset1:43
	v_add_f64 v[20:21], v[20:21], -v[34:35]
	s_waitcnt lgkmcnt(1)
	v_mul_f64 v[34:35], v[122:123], v[114:115]
	v_fma_f64 v[34:35], v[120:121], v[32:33], -v[34:35]
	v_mul_f64 v[120:121], v[120:121], v[114:115]
	v_fmac_f64_e32 v[120:121], v[122:123], v[32:33]
	s_waitcnt vmcnt(5)
	v_add_f64 v[16:17], v[16:17], -v[34:35]
	s_waitcnt lgkmcnt(0)
	v_mul_f64 v[34:35], v[106:107], v[114:115]
	v_add_f64 v[18:19], v[18:19], -v[120:121]
	v_fma_f64 v[34:35], v[104:105], v[32:33], -v[34:35]
	v_mul_f64 v[104:105], v[104:105], v[114:115]
	ds_read2_b64 v[120:123], v116 offset0:44 offset1:45
	v_fmac_f64_e32 v[104:105], v[106:107], v[32:33]
	s_waitcnt vmcnt(4)
	v_add_f64 v[14:15], v[14:15], -v[104:105]
	ds_read2_b64 v[104:107], v116 offset0:46 offset1:47
	v_add_f64 v[12:13], v[12:13], -v[34:35]
	;; [unrolled: 18-line block ×3, first 2 shown]
	s_waitcnt lgkmcnt(1)
	v_mul_f64 v[34:35], v[122:123], v[114:115]
	v_fma_f64 v[34:35], v[120:121], v[32:33], -v[34:35]
	s_waitcnt vmcnt(1)
	v_add_f64 v[0:1], v[0:1], -v[34:35]
	s_waitcnt lgkmcnt(0)
	v_mul_f64 v[34:35], v[106:107], v[114:115]
	v_mul_f64 v[120:121], v[120:121], v[114:115]
	v_fma_f64 v[34:35], v[104:105], v[32:33], -v[34:35]
	v_mul_f64 v[104:105], v[104:105], v[114:115]
	v_fmac_f64_e32 v[120:121], v[122:123], v[32:33]
	v_fmac_f64_e32 v[104:105], v[106:107], v[32:33]
	v_add_f64 v[2:3], v[2:3], -v[120:121]
	s_waitcnt vmcnt(0)
	v_add_f64 v[100:101], v[100:101], -v[34:35]
	v_add_f64 v[102:103], v[102:103], -v[104:105]
	v_mov_b64_e32 v[34:35], v[114:115]
.LBB50_377:
	s_or_b64 exec, exec, s[0:1]
	v_lshl_add_u32 v104, v117, 4, v116
	s_barrier
	s_waitcnt vmcnt(7)
	ds_write2_b64 v104, v[24:25], v[26:27] offset1:1
	s_waitcnt lgkmcnt(0)
	s_barrier
	ds_read2_b64 v[104:107], v116 offset0:36 offset1:37
	s_cmp_lt_i32 s20, 20
	v_mov_b32_e32 v114, 18
	s_cbranch_scc1 .LBB50_380
; %bb.378:
	v_add_u32_e32 v115, 0x130, v116
	s_mov_b32 s16, 19
	v_mov_b32_e32 v114, 18
.LBB50_379:                             ; =>This Inner Loop Header: Depth=1
	ds_read2_b64 v[120:123], v115 offset1:1
	s_waitcnt lgkmcnt(1)
	v_xor_b32_e32 v125, 0x80000000, v105
	v_xor_b32_e32 v127, 0x80000000, v107
	v_cmp_gt_f64_e32 vcc, 0, v[106:107]
	v_cmp_gt_f64_e64 s[0:1], 0, v[104:105]
	v_mov_b32_e32 v124, v104
	v_mov_b32_e32 v126, v106
	v_cndmask_b32_e64 v125, v105, v125, s[0:1]
	v_cndmask_b32_e32 v127, v107, v127, vcc
	v_add_f64 v[124:125], v[124:125], v[126:127]
	s_waitcnt lgkmcnt(0)
	v_xor_b32_e32 v127, 0x80000000, v121
	v_xor_b32_e32 v129, 0x80000000, v123
	v_cmp_gt_f64_e32 vcc, 0, v[122:123]
	v_cmp_gt_f64_e64 s[0:1], 0, v[120:121]
	v_mov_b32_e32 v126, v120
	v_mov_b32_e32 v128, v122
	v_cndmask_b32_e64 v127, v121, v127, s[0:1]
	v_cndmask_b32_e32 v129, v123, v129, vcc
	v_add_f64 v[126:127], v[126:127], v[128:129]
	v_mov_b32_e32 v130, s16
	s_add_i32 s16, s16, 1
	v_cmp_lt_f64_e32 vcc, v[124:125], v[126:127]
	v_add_u32_e32 v115, 16, v115
	s_cmp_lg_u32 s20, s16
	v_cndmask_b32_e32 v105, v105, v121, vcc
	v_cndmask_b32_e32 v104, v104, v120, vcc
	;; [unrolled: 1-line block ×5, first 2 shown]
	s_cbranch_scc1 .LBB50_379
.LBB50_380:
	s_waitcnt lgkmcnt(0)
	v_cmp_eq_f64_e32 vcc, 0, v[104:105]
	v_cmp_eq_f64_e64 s[0:1], 0, v[106:107]
	s_and_b64 s[0:1], vcc, s[0:1]
	s_and_saveexec_b64 s[16:17], s[0:1]
	s_xor_b64 s[0:1], exec, s[16:17]
; %bb.381:
	v_cmp_ne_u32_e32 vcc, 0, v119
	s_nop 1
	v_cndmask_b32_e32 v119, 19, v119, vcc
; %bb.382:
	s_andn2_saveexec_b64 s[0:1], s[0:1]
	s_cbranch_execz .LBB50_388
; %bb.383:
	v_cmp_ngt_f64_e64 s[16:17], |v[104:105]|, |v[106:107]|
	s_and_saveexec_b64 s[18:19], s[16:17]
	s_xor_b64 s[16:17], exec, s[18:19]
	s_cbranch_execz .LBB50_385
; %bb.384:
	v_div_scale_f64 v[120:121], s[18:19], v[106:107], v[106:107], v[104:105]
	v_rcp_f64_e32 v[122:123], v[120:121]
	v_div_scale_f64 v[124:125], vcc, v[104:105], v[106:107], v[104:105]
	v_fma_f64 v[126:127], -v[120:121], v[122:123], 1.0
	v_fmac_f64_e32 v[122:123], v[122:123], v[126:127]
	v_fma_f64 v[126:127], -v[120:121], v[122:123], 1.0
	v_fmac_f64_e32 v[122:123], v[122:123], v[126:127]
	v_mul_f64 v[126:127], v[124:125], v[122:123]
	v_fma_f64 v[120:121], -v[120:121], v[126:127], v[124:125]
	v_div_fmas_f64 v[120:121], v[120:121], v[122:123], v[126:127]
	v_div_fixup_f64 v[120:121], v[120:121], v[106:107], v[104:105]
	v_fmac_f64_e32 v[106:107], v[104:105], v[120:121]
	v_div_scale_f64 v[104:105], s[18:19], v[106:107], v[106:107], 1.0
	v_rcp_f64_e32 v[122:123], v[104:105]
	s_nop 0
	v_fma_f64 v[124:125], -v[104:105], v[122:123], 1.0
	v_fmac_f64_e32 v[122:123], v[122:123], v[124:125]
	v_fma_f64 v[124:125], -v[104:105], v[122:123], 1.0
	v_fmac_f64_e32 v[122:123], v[122:123], v[124:125]
	v_div_scale_f64 v[124:125], vcc, 1.0, v[106:107], 1.0
	v_mul_f64 v[126:127], v[124:125], v[122:123]
	v_fma_f64 v[104:105], -v[104:105], v[126:127], v[124:125]
	s_nop 1
	v_div_fmas_f64 v[104:105], v[104:105], v[122:123], v[126:127]
	v_div_fixup_f64 v[106:107], v[104:105], v[106:107], 1.0
	v_mul_f64 v[104:105], v[120:121], v[106:107]
	v_xor_b32_e32 v107, 0x80000000, v107
.LBB50_385:
	s_andn2_saveexec_b64 s[16:17], s[16:17]
	s_cbranch_execz .LBB50_387
; %bb.386:
	v_div_scale_f64 v[120:121], s[18:19], v[104:105], v[104:105], v[106:107]
	v_rcp_f64_e32 v[122:123], v[120:121]
	v_div_scale_f64 v[124:125], vcc, v[106:107], v[104:105], v[106:107]
	v_fma_f64 v[126:127], -v[120:121], v[122:123], 1.0
	v_fmac_f64_e32 v[122:123], v[122:123], v[126:127]
	v_fma_f64 v[126:127], -v[120:121], v[122:123], 1.0
	v_fmac_f64_e32 v[122:123], v[122:123], v[126:127]
	v_mul_f64 v[126:127], v[124:125], v[122:123]
	v_fma_f64 v[120:121], -v[120:121], v[126:127], v[124:125]
	v_div_fmas_f64 v[120:121], v[120:121], v[122:123], v[126:127]
	v_div_fixup_f64 v[120:121], v[120:121], v[104:105], v[106:107]
	v_fmac_f64_e32 v[104:105], v[106:107], v[120:121]
	v_div_scale_f64 v[106:107], s[18:19], v[104:105], v[104:105], 1.0
	v_rcp_f64_e32 v[122:123], v[106:107]
	s_nop 0
	v_fma_f64 v[124:125], -v[106:107], v[122:123], 1.0
	v_fmac_f64_e32 v[122:123], v[122:123], v[124:125]
	v_fma_f64 v[124:125], -v[106:107], v[122:123], 1.0
	v_fmac_f64_e32 v[122:123], v[122:123], v[124:125]
	v_div_scale_f64 v[124:125], vcc, 1.0, v[104:105], 1.0
	v_mul_f64 v[126:127], v[124:125], v[122:123]
	v_fma_f64 v[106:107], -v[106:107], v[126:127], v[124:125]
	s_nop 1
	v_div_fmas_f64 v[106:107], v[106:107], v[122:123], v[126:127]
	v_div_fixup_f64 v[104:105], v[106:107], v[104:105], 1.0
	v_mul_f64 v[106:107], v[120:121], -v[104:105]
.LBB50_387:
	s_or_b64 exec, exec, s[16:17]
.LBB50_388:
	s_or_b64 exec, exec, s[0:1]
	v_cmp_ne_u32_e32 vcc, v117, v114
	s_and_saveexec_b64 s[0:1], vcc
	s_xor_b64 s[0:1], exec, s[0:1]
	s_cbranch_execz .LBB50_394
; %bb.389:
	v_cmp_eq_u32_e32 vcc, 18, v117
	s_and_saveexec_b64 s[16:17], vcc
	s_cbranch_execz .LBB50_393
; %bb.390:
	v_cmp_ne_u32_e32 vcc, 18, v114
	s_xor_b64 s[18:19], s[14:15], -1
	s_and_b64 s[22:23], s[18:19], vcc
	s_and_saveexec_b64 s[18:19], s[22:23]
	s_cbranch_execz .LBB50_392
; %bb.391:
	v_ashrrev_i32_e32 v115, 31, v114
	v_lshl_add_u64 v[120:121], v[114:115], 2, v[112:113]
	global_load_dword v115, v[120:121], off
	global_load_dword v117, v[112:113], off offset:72
	s_waitcnt vmcnt(1)
	global_store_dword v[112:113], v115, off offset:72
	s_waitcnt vmcnt(1)
	global_store_dword v[120:121], v117, off
.LBB50_392:
	s_or_b64 exec, exec, s[18:19]
	v_mov_b32_e32 v117, v114
	v_mov_b32_e32 v118, v114
.LBB50_393:
	s_or_b64 exec, exec, s[16:17]
.LBB50_394:
	s_andn2_saveexec_b64 s[0:1], s[0:1]
	s_cbranch_execz .LBB50_396
; %bb.395:
	v_mov_b32_e32 v117, 18
	s_waitcnt vmcnt(6)
	ds_write2_b64 v116, v[20:21], v[22:23] offset0:38 offset1:39
	s_waitcnt vmcnt(5)
	ds_write2_b64 v116, v[16:17], v[18:19] offset0:40 offset1:41
	;; [unrolled: 2-line block ×7, first 2 shown]
.LBB50_396:
	s_or_b64 exec, exec, s[0:1]
	v_cmp_lt_i32_e32 vcc, 18, v117
	s_waitcnt lgkmcnt(0)
	s_barrier
	s_and_saveexec_b64 s[0:1], vcc
	s_cbranch_execz .LBB50_398
; %bb.397:
	ds_read2_b64 v[120:123], v116 offset0:38 offset1:39
	v_mul_f64 v[114:115], v[104:105], v[26:27]
	v_fmac_f64_e32 v[114:115], v[106:107], v[24:25]
	v_mul_f64 v[26:27], v[106:107], v[26:27]
	v_fma_f64 v[24:25], v[104:105], v[24:25], -v[26:27]
	ds_read2_b64 v[104:107], v116 offset0:40 offset1:41
	s_waitcnt lgkmcnt(1)
	v_mul_f64 v[26:27], v[122:123], v[114:115]
	v_fma_f64 v[26:27], v[120:121], v[24:25], -v[26:27]
	v_mul_f64 v[120:121], v[120:121], v[114:115]
	v_fmac_f64_e32 v[120:121], v[122:123], v[24:25]
	s_waitcnt vmcnt(6)
	v_add_f64 v[22:23], v[22:23], -v[120:121]
	ds_read2_b64 v[120:123], v116 offset0:42 offset1:43
	v_add_f64 v[20:21], v[20:21], -v[26:27]
	s_waitcnt lgkmcnt(1)
	v_mul_f64 v[26:27], v[106:107], v[114:115]
	v_fma_f64 v[26:27], v[104:105], v[24:25], -v[26:27]
	v_mul_f64 v[104:105], v[104:105], v[114:115]
	v_fmac_f64_e32 v[104:105], v[106:107], v[24:25]
	s_waitcnt vmcnt(5)
	v_add_f64 v[16:17], v[16:17], -v[26:27]
	v_add_f64 v[18:19], v[18:19], -v[104:105]
	ds_read2_b64 v[104:107], v116 offset0:44 offset1:45
	s_waitcnt lgkmcnt(1)
	v_mul_f64 v[26:27], v[122:123], v[114:115]
	v_fma_f64 v[26:27], v[120:121], v[24:25], -v[26:27]
	v_mul_f64 v[120:121], v[120:121], v[114:115]
	v_fmac_f64_e32 v[120:121], v[122:123], v[24:25]
	s_waitcnt vmcnt(4)
	v_add_f64 v[14:15], v[14:15], -v[120:121]
	ds_read2_b64 v[120:123], v116 offset0:46 offset1:47
	v_add_f64 v[12:13], v[12:13], -v[26:27]
	s_waitcnt lgkmcnt(1)
	v_mul_f64 v[26:27], v[106:107], v[114:115]
	v_fma_f64 v[26:27], v[104:105], v[24:25], -v[26:27]
	v_mul_f64 v[104:105], v[104:105], v[114:115]
	v_fmac_f64_e32 v[104:105], v[106:107], v[24:25]
	s_waitcnt vmcnt(3)
	v_add_f64 v[8:9], v[8:9], -v[26:27]
	v_add_f64 v[10:11], v[10:11], -v[104:105]
	;; [unrolled: 18-line block ×3, first 2 shown]
	s_waitcnt lgkmcnt(0)
	v_mul_f64 v[26:27], v[122:123], v[114:115]
	v_mul_f64 v[104:105], v[120:121], v[114:115]
	v_fma_f64 v[26:27], v[120:121], v[24:25], -v[26:27]
	v_fmac_f64_e32 v[104:105], v[122:123], v[24:25]
	s_waitcnt vmcnt(0)
	v_add_f64 v[100:101], v[100:101], -v[26:27]
	v_add_f64 v[102:103], v[102:103], -v[104:105]
	v_mov_b64_e32 v[26:27], v[114:115]
.LBB50_398:
	s_or_b64 exec, exec, s[0:1]
	v_lshl_add_u32 v104, v117, 4, v116
	s_barrier
	s_waitcnt vmcnt(6)
	ds_write2_b64 v104, v[20:21], v[22:23] offset1:1
	s_waitcnt lgkmcnt(0)
	s_barrier
	ds_read2_b64 v[104:107], v116 offset0:38 offset1:39
	s_cmp_lt_i32 s20, 21
	v_mov_b32_e32 v114, 19
	s_cbranch_scc1 .LBB50_401
; %bb.399:
	v_add_u32_e32 v115, 0x140, v116
	s_mov_b32 s16, 20
	v_mov_b32_e32 v114, 19
.LBB50_400:                             ; =>This Inner Loop Header: Depth=1
	ds_read2_b64 v[120:123], v115 offset1:1
	s_waitcnt lgkmcnt(1)
	v_xor_b32_e32 v125, 0x80000000, v105
	v_xor_b32_e32 v127, 0x80000000, v107
	v_cmp_gt_f64_e32 vcc, 0, v[106:107]
	v_cmp_gt_f64_e64 s[0:1], 0, v[104:105]
	v_mov_b32_e32 v124, v104
	v_mov_b32_e32 v126, v106
	v_cndmask_b32_e64 v125, v105, v125, s[0:1]
	v_cndmask_b32_e32 v127, v107, v127, vcc
	v_add_f64 v[124:125], v[124:125], v[126:127]
	s_waitcnt lgkmcnt(0)
	v_xor_b32_e32 v127, 0x80000000, v121
	v_xor_b32_e32 v129, 0x80000000, v123
	v_cmp_gt_f64_e32 vcc, 0, v[122:123]
	v_cmp_gt_f64_e64 s[0:1], 0, v[120:121]
	v_mov_b32_e32 v126, v120
	v_mov_b32_e32 v128, v122
	v_cndmask_b32_e64 v127, v121, v127, s[0:1]
	v_cndmask_b32_e32 v129, v123, v129, vcc
	v_add_f64 v[126:127], v[126:127], v[128:129]
	v_mov_b32_e32 v130, s16
	s_add_i32 s16, s16, 1
	v_cmp_lt_f64_e32 vcc, v[124:125], v[126:127]
	v_add_u32_e32 v115, 16, v115
	s_cmp_lg_u32 s20, s16
	v_cndmask_b32_e32 v105, v105, v121, vcc
	v_cndmask_b32_e32 v104, v104, v120, vcc
	;; [unrolled: 1-line block ×5, first 2 shown]
	s_cbranch_scc1 .LBB50_400
.LBB50_401:
	s_waitcnt lgkmcnt(0)
	v_cmp_eq_f64_e32 vcc, 0, v[104:105]
	v_cmp_eq_f64_e64 s[0:1], 0, v[106:107]
	s_and_b64 s[0:1], vcc, s[0:1]
	s_and_saveexec_b64 s[16:17], s[0:1]
	s_xor_b64 s[0:1], exec, s[16:17]
; %bb.402:
	v_cmp_ne_u32_e32 vcc, 0, v119
	s_nop 1
	v_cndmask_b32_e32 v119, 20, v119, vcc
; %bb.403:
	s_andn2_saveexec_b64 s[0:1], s[0:1]
	s_cbranch_execz .LBB50_409
; %bb.404:
	v_cmp_ngt_f64_e64 s[16:17], |v[104:105]|, |v[106:107]|
	s_and_saveexec_b64 s[18:19], s[16:17]
	s_xor_b64 s[16:17], exec, s[18:19]
	s_cbranch_execz .LBB50_406
; %bb.405:
	v_div_scale_f64 v[120:121], s[18:19], v[106:107], v[106:107], v[104:105]
	v_rcp_f64_e32 v[122:123], v[120:121]
	v_div_scale_f64 v[124:125], vcc, v[104:105], v[106:107], v[104:105]
	v_fma_f64 v[126:127], -v[120:121], v[122:123], 1.0
	v_fmac_f64_e32 v[122:123], v[122:123], v[126:127]
	v_fma_f64 v[126:127], -v[120:121], v[122:123], 1.0
	v_fmac_f64_e32 v[122:123], v[122:123], v[126:127]
	v_mul_f64 v[126:127], v[124:125], v[122:123]
	v_fma_f64 v[120:121], -v[120:121], v[126:127], v[124:125]
	v_div_fmas_f64 v[120:121], v[120:121], v[122:123], v[126:127]
	v_div_fixup_f64 v[120:121], v[120:121], v[106:107], v[104:105]
	v_fmac_f64_e32 v[106:107], v[104:105], v[120:121]
	v_div_scale_f64 v[104:105], s[18:19], v[106:107], v[106:107], 1.0
	v_rcp_f64_e32 v[122:123], v[104:105]
	s_nop 0
	v_fma_f64 v[124:125], -v[104:105], v[122:123], 1.0
	v_fmac_f64_e32 v[122:123], v[122:123], v[124:125]
	v_fma_f64 v[124:125], -v[104:105], v[122:123], 1.0
	v_fmac_f64_e32 v[122:123], v[122:123], v[124:125]
	v_div_scale_f64 v[124:125], vcc, 1.0, v[106:107], 1.0
	v_mul_f64 v[126:127], v[124:125], v[122:123]
	v_fma_f64 v[104:105], -v[104:105], v[126:127], v[124:125]
	s_nop 1
	v_div_fmas_f64 v[104:105], v[104:105], v[122:123], v[126:127]
	v_div_fixup_f64 v[106:107], v[104:105], v[106:107], 1.0
	v_mul_f64 v[104:105], v[120:121], v[106:107]
	v_xor_b32_e32 v107, 0x80000000, v107
.LBB50_406:
	s_andn2_saveexec_b64 s[16:17], s[16:17]
	s_cbranch_execz .LBB50_408
; %bb.407:
	v_div_scale_f64 v[120:121], s[18:19], v[104:105], v[104:105], v[106:107]
	v_rcp_f64_e32 v[122:123], v[120:121]
	v_div_scale_f64 v[124:125], vcc, v[106:107], v[104:105], v[106:107]
	v_fma_f64 v[126:127], -v[120:121], v[122:123], 1.0
	v_fmac_f64_e32 v[122:123], v[122:123], v[126:127]
	v_fma_f64 v[126:127], -v[120:121], v[122:123], 1.0
	v_fmac_f64_e32 v[122:123], v[122:123], v[126:127]
	v_mul_f64 v[126:127], v[124:125], v[122:123]
	v_fma_f64 v[120:121], -v[120:121], v[126:127], v[124:125]
	v_div_fmas_f64 v[120:121], v[120:121], v[122:123], v[126:127]
	v_div_fixup_f64 v[120:121], v[120:121], v[104:105], v[106:107]
	v_fmac_f64_e32 v[104:105], v[106:107], v[120:121]
	v_div_scale_f64 v[106:107], s[18:19], v[104:105], v[104:105], 1.0
	v_rcp_f64_e32 v[122:123], v[106:107]
	s_nop 0
	v_fma_f64 v[124:125], -v[106:107], v[122:123], 1.0
	v_fmac_f64_e32 v[122:123], v[122:123], v[124:125]
	v_fma_f64 v[124:125], -v[106:107], v[122:123], 1.0
	v_fmac_f64_e32 v[122:123], v[122:123], v[124:125]
	v_div_scale_f64 v[124:125], vcc, 1.0, v[104:105], 1.0
	v_mul_f64 v[126:127], v[124:125], v[122:123]
	v_fma_f64 v[106:107], -v[106:107], v[126:127], v[124:125]
	s_nop 1
	v_div_fmas_f64 v[106:107], v[106:107], v[122:123], v[126:127]
	v_div_fixup_f64 v[104:105], v[106:107], v[104:105], 1.0
	v_mul_f64 v[106:107], v[120:121], -v[104:105]
.LBB50_408:
	s_or_b64 exec, exec, s[16:17]
.LBB50_409:
	s_or_b64 exec, exec, s[0:1]
	v_cmp_ne_u32_e32 vcc, v117, v114
	s_and_saveexec_b64 s[0:1], vcc
	s_xor_b64 s[0:1], exec, s[0:1]
	s_cbranch_execz .LBB50_415
; %bb.410:
	v_cmp_eq_u32_e32 vcc, 19, v117
	s_and_saveexec_b64 s[16:17], vcc
	s_cbranch_execz .LBB50_414
; %bb.411:
	v_cmp_ne_u32_e32 vcc, 19, v114
	s_xor_b64 s[18:19], s[14:15], -1
	s_and_b64 s[22:23], s[18:19], vcc
	s_and_saveexec_b64 s[18:19], s[22:23]
	s_cbranch_execz .LBB50_413
; %bb.412:
	v_ashrrev_i32_e32 v115, 31, v114
	v_lshl_add_u64 v[120:121], v[114:115], 2, v[112:113]
	global_load_dword v115, v[120:121], off
	global_load_dword v117, v[112:113], off offset:76
	s_waitcnt vmcnt(1)
	global_store_dword v[112:113], v115, off offset:76
	s_waitcnt vmcnt(1)
	global_store_dword v[120:121], v117, off
.LBB50_413:
	s_or_b64 exec, exec, s[18:19]
	v_mov_b32_e32 v117, v114
	v_mov_b32_e32 v118, v114
.LBB50_414:
	s_or_b64 exec, exec, s[16:17]
.LBB50_415:
	s_andn2_saveexec_b64 s[0:1], s[0:1]
	s_cbranch_execz .LBB50_417
; %bb.416:
	v_mov_b32_e32 v117, 19
	s_waitcnt vmcnt(5)
	ds_write2_b64 v116, v[16:17], v[18:19] offset0:40 offset1:41
	s_waitcnt vmcnt(4)
	ds_write2_b64 v116, v[12:13], v[14:15] offset0:42 offset1:43
	;; [unrolled: 2-line block ×6, first 2 shown]
.LBB50_417:
	s_or_b64 exec, exec, s[0:1]
	v_cmp_lt_i32_e32 vcc, 19, v117
	s_waitcnt lgkmcnt(0)
	s_barrier
	s_and_saveexec_b64 s[0:1], vcc
	s_cbranch_execz .LBB50_419
; %bb.418:
	ds_read2_b64 v[120:123], v116 offset0:40 offset1:41
	v_mul_f64 v[114:115], v[104:105], v[22:23]
	v_mul_f64 v[22:23], v[106:107], v[22:23]
	v_fmac_f64_e32 v[114:115], v[106:107], v[20:21]
	v_fma_f64 v[20:21], v[104:105], v[20:21], -v[22:23]
	ds_read2_b64 v[104:107], v116 offset0:42 offset1:43
	s_waitcnt lgkmcnt(1)
	v_mul_f64 v[22:23], v[122:123], v[114:115]
	v_fma_f64 v[22:23], v[120:121], v[20:21], -v[22:23]
	v_mul_f64 v[120:121], v[120:121], v[114:115]
	v_fmac_f64_e32 v[120:121], v[122:123], v[20:21]
	s_waitcnt vmcnt(5)
	v_add_f64 v[16:17], v[16:17], -v[22:23]
	s_waitcnt lgkmcnt(0)
	v_mul_f64 v[22:23], v[106:107], v[114:115]
	v_add_f64 v[18:19], v[18:19], -v[120:121]
	v_fma_f64 v[22:23], v[104:105], v[20:21], -v[22:23]
	v_mul_f64 v[104:105], v[104:105], v[114:115]
	ds_read2_b64 v[120:123], v116 offset0:44 offset1:45
	v_fmac_f64_e32 v[104:105], v[106:107], v[20:21]
	s_waitcnt vmcnt(4)
	v_add_f64 v[14:15], v[14:15], -v[104:105]
	ds_read2_b64 v[104:107], v116 offset0:46 offset1:47
	v_add_f64 v[12:13], v[12:13], -v[22:23]
	s_waitcnt lgkmcnt(1)
	v_mul_f64 v[22:23], v[122:123], v[114:115]
	v_fma_f64 v[22:23], v[120:121], v[20:21], -v[22:23]
	v_mul_f64 v[120:121], v[120:121], v[114:115]
	v_fmac_f64_e32 v[120:121], v[122:123], v[20:21]
	s_waitcnt vmcnt(3)
	v_add_f64 v[8:9], v[8:9], -v[22:23]
	s_waitcnt lgkmcnt(0)
	v_mul_f64 v[22:23], v[106:107], v[114:115]
	v_add_f64 v[10:11], v[10:11], -v[120:121]
	v_fma_f64 v[22:23], v[104:105], v[20:21], -v[22:23]
	v_mul_f64 v[104:105], v[104:105], v[114:115]
	ds_read2_b64 v[120:123], v116 offset0:48 offset1:49
	v_fmac_f64_e32 v[104:105], v[106:107], v[20:21]
	s_waitcnt vmcnt(2)
	v_add_f64 v[6:7], v[6:7], -v[104:105]
	ds_read2_b64 v[104:107], v116 offset0:50 offset1:51
	v_add_f64 v[4:5], v[4:5], -v[22:23]
	s_waitcnt lgkmcnt(1)
	v_mul_f64 v[22:23], v[122:123], v[114:115]
	v_fma_f64 v[22:23], v[120:121], v[20:21], -v[22:23]
	s_waitcnt vmcnt(1)
	v_add_f64 v[0:1], v[0:1], -v[22:23]
	s_waitcnt lgkmcnt(0)
	v_mul_f64 v[22:23], v[106:107], v[114:115]
	v_mul_f64 v[120:121], v[120:121], v[114:115]
	v_fma_f64 v[22:23], v[104:105], v[20:21], -v[22:23]
	v_mul_f64 v[104:105], v[104:105], v[114:115]
	v_fmac_f64_e32 v[120:121], v[122:123], v[20:21]
	v_fmac_f64_e32 v[104:105], v[106:107], v[20:21]
	v_add_f64 v[2:3], v[2:3], -v[120:121]
	s_waitcnt vmcnt(0)
	v_add_f64 v[100:101], v[100:101], -v[22:23]
	v_add_f64 v[102:103], v[102:103], -v[104:105]
	v_mov_b64_e32 v[22:23], v[114:115]
.LBB50_419:
	s_or_b64 exec, exec, s[0:1]
	v_lshl_add_u32 v104, v117, 4, v116
	s_barrier
	s_waitcnt vmcnt(5)
	ds_write2_b64 v104, v[16:17], v[18:19] offset1:1
	s_waitcnt lgkmcnt(0)
	s_barrier
	ds_read2_b64 v[104:107], v116 offset0:40 offset1:41
	s_cmp_lt_i32 s20, 22
	v_mov_b32_e32 v114, 20
	s_cbranch_scc1 .LBB50_422
; %bb.420:
	v_add_u32_e32 v115, 0x150, v116
	s_mov_b32 s16, 21
	v_mov_b32_e32 v114, 20
.LBB50_421:                             ; =>This Inner Loop Header: Depth=1
	ds_read2_b64 v[120:123], v115 offset1:1
	s_waitcnt lgkmcnt(1)
	v_xor_b32_e32 v125, 0x80000000, v105
	v_xor_b32_e32 v127, 0x80000000, v107
	v_cmp_gt_f64_e32 vcc, 0, v[106:107]
	v_cmp_gt_f64_e64 s[0:1], 0, v[104:105]
	v_mov_b32_e32 v124, v104
	v_mov_b32_e32 v126, v106
	v_cndmask_b32_e64 v125, v105, v125, s[0:1]
	v_cndmask_b32_e32 v127, v107, v127, vcc
	v_add_f64 v[124:125], v[124:125], v[126:127]
	s_waitcnt lgkmcnt(0)
	v_xor_b32_e32 v127, 0x80000000, v121
	v_xor_b32_e32 v129, 0x80000000, v123
	v_cmp_gt_f64_e32 vcc, 0, v[122:123]
	v_cmp_gt_f64_e64 s[0:1], 0, v[120:121]
	v_mov_b32_e32 v126, v120
	v_mov_b32_e32 v128, v122
	v_cndmask_b32_e64 v127, v121, v127, s[0:1]
	v_cndmask_b32_e32 v129, v123, v129, vcc
	v_add_f64 v[126:127], v[126:127], v[128:129]
	v_mov_b32_e32 v130, s16
	s_add_i32 s16, s16, 1
	v_cmp_lt_f64_e32 vcc, v[124:125], v[126:127]
	v_add_u32_e32 v115, 16, v115
	s_cmp_lg_u32 s20, s16
	v_cndmask_b32_e32 v105, v105, v121, vcc
	v_cndmask_b32_e32 v104, v104, v120, vcc
	v_cndmask_b32_e32 v107, v107, v123, vcc
	v_cndmask_b32_e32 v106, v106, v122, vcc
	v_cndmask_b32_e32 v114, v114, v130, vcc
	s_cbranch_scc1 .LBB50_421
.LBB50_422:
	s_waitcnt lgkmcnt(0)
	v_cmp_eq_f64_e32 vcc, 0, v[104:105]
	v_cmp_eq_f64_e64 s[0:1], 0, v[106:107]
	s_and_b64 s[0:1], vcc, s[0:1]
	s_and_saveexec_b64 s[16:17], s[0:1]
	s_xor_b64 s[0:1], exec, s[16:17]
; %bb.423:
	v_cmp_ne_u32_e32 vcc, 0, v119
	s_nop 1
	v_cndmask_b32_e32 v119, 21, v119, vcc
; %bb.424:
	s_andn2_saveexec_b64 s[0:1], s[0:1]
	s_cbranch_execz .LBB50_430
; %bb.425:
	v_cmp_ngt_f64_e64 s[16:17], |v[104:105]|, |v[106:107]|
	s_and_saveexec_b64 s[18:19], s[16:17]
	s_xor_b64 s[16:17], exec, s[18:19]
	s_cbranch_execz .LBB50_427
; %bb.426:
	v_div_scale_f64 v[120:121], s[18:19], v[106:107], v[106:107], v[104:105]
	v_rcp_f64_e32 v[122:123], v[120:121]
	v_div_scale_f64 v[124:125], vcc, v[104:105], v[106:107], v[104:105]
	v_fma_f64 v[126:127], -v[120:121], v[122:123], 1.0
	v_fmac_f64_e32 v[122:123], v[122:123], v[126:127]
	v_fma_f64 v[126:127], -v[120:121], v[122:123], 1.0
	v_fmac_f64_e32 v[122:123], v[122:123], v[126:127]
	v_mul_f64 v[126:127], v[124:125], v[122:123]
	v_fma_f64 v[120:121], -v[120:121], v[126:127], v[124:125]
	v_div_fmas_f64 v[120:121], v[120:121], v[122:123], v[126:127]
	v_div_fixup_f64 v[120:121], v[120:121], v[106:107], v[104:105]
	v_fmac_f64_e32 v[106:107], v[104:105], v[120:121]
	v_div_scale_f64 v[104:105], s[18:19], v[106:107], v[106:107], 1.0
	v_rcp_f64_e32 v[122:123], v[104:105]
	s_nop 0
	v_fma_f64 v[124:125], -v[104:105], v[122:123], 1.0
	v_fmac_f64_e32 v[122:123], v[122:123], v[124:125]
	v_fma_f64 v[124:125], -v[104:105], v[122:123], 1.0
	v_fmac_f64_e32 v[122:123], v[122:123], v[124:125]
	v_div_scale_f64 v[124:125], vcc, 1.0, v[106:107], 1.0
	v_mul_f64 v[126:127], v[124:125], v[122:123]
	v_fma_f64 v[104:105], -v[104:105], v[126:127], v[124:125]
	s_nop 1
	v_div_fmas_f64 v[104:105], v[104:105], v[122:123], v[126:127]
	v_div_fixup_f64 v[106:107], v[104:105], v[106:107], 1.0
	v_mul_f64 v[104:105], v[120:121], v[106:107]
	v_xor_b32_e32 v107, 0x80000000, v107
.LBB50_427:
	s_andn2_saveexec_b64 s[16:17], s[16:17]
	s_cbranch_execz .LBB50_429
; %bb.428:
	v_div_scale_f64 v[120:121], s[18:19], v[104:105], v[104:105], v[106:107]
	v_rcp_f64_e32 v[122:123], v[120:121]
	v_div_scale_f64 v[124:125], vcc, v[106:107], v[104:105], v[106:107]
	v_fma_f64 v[126:127], -v[120:121], v[122:123], 1.0
	v_fmac_f64_e32 v[122:123], v[122:123], v[126:127]
	v_fma_f64 v[126:127], -v[120:121], v[122:123], 1.0
	v_fmac_f64_e32 v[122:123], v[122:123], v[126:127]
	v_mul_f64 v[126:127], v[124:125], v[122:123]
	v_fma_f64 v[120:121], -v[120:121], v[126:127], v[124:125]
	v_div_fmas_f64 v[120:121], v[120:121], v[122:123], v[126:127]
	v_div_fixup_f64 v[120:121], v[120:121], v[104:105], v[106:107]
	v_fmac_f64_e32 v[104:105], v[106:107], v[120:121]
	v_div_scale_f64 v[106:107], s[18:19], v[104:105], v[104:105], 1.0
	v_rcp_f64_e32 v[122:123], v[106:107]
	s_nop 0
	v_fma_f64 v[124:125], -v[106:107], v[122:123], 1.0
	v_fmac_f64_e32 v[122:123], v[122:123], v[124:125]
	v_fma_f64 v[124:125], -v[106:107], v[122:123], 1.0
	v_fmac_f64_e32 v[122:123], v[122:123], v[124:125]
	v_div_scale_f64 v[124:125], vcc, 1.0, v[104:105], 1.0
	v_mul_f64 v[126:127], v[124:125], v[122:123]
	v_fma_f64 v[106:107], -v[106:107], v[126:127], v[124:125]
	s_nop 1
	v_div_fmas_f64 v[106:107], v[106:107], v[122:123], v[126:127]
	v_div_fixup_f64 v[104:105], v[106:107], v[104:105], 1.0
	v_mul_f64 v[106:107], v[120:121], -v[104:105]
.LBB50_429:
	s_or_b64 exec, exec, s[16:17]
.LBB50_430:
	s_or_b64 exec, exec, s[0:1]
	v_cmp_ne_u32_e32 vcc, v117, v114
	s_and_saveexec_b64 s[0:1], vcc
	s_xor_b64 s[0:1], exec, s[0:1]
	s_cbranch_execz .LBB50_436
; %bb.431:
	v_cmp_eq_u32_e32 vcc, 20, v117
	s_and_saveexec_b64 s[16:17], vcc
	s_cbranch_execz .LBB50_435
; %bb.432:
	v_cmp_ne_u32_e32 vcc, 20, v114
	s_xor_b64 s[18:19], s[14:15], -1
	s_and_b64 s[22:23], s[18:19], vcc
	s_and_saveexec_b64 s[18:19], s[22:23]
	s_cbranch_execz .LBB50_434
; %bb.433:
	v_ashrrev_i32_e32 v115, 31, v114
	v_lshl_add_u64 v[120:121], v[114:115], 2, v[112:113]
	global_load_dword v115, v[120:121], off
	global_load_dword v117, v[112:113], off offset:80
	s_waitcnt vmcnt(1)
	global_store_dword v[112:113], v115, off offset:80
	s_waitcnt vmcnt(1)
	global_store_dword v[120:121], v117, off
.LBB50_434:
	s_or_b64 exec, exec, s[18:19]
	v_mov_b32_e32 v117, v114
	v_mov_b32_e32 v118, v114
.LBB50_435:
	s_or_b64 exec, exec, s[16:17]
.LBB50_436:
	s_andn2_saveexec_b64 s[0:1], s[0:1]
	s_cbranch_execz .LBB50_438
; %bb.437:
	v_mov_b32_e32 v117, 20
	s_waitcnt vmcnt(4)
	ds_write2_b64 v116, v[12:13], v[14:15] offset0:42 offset1:43
	s_waitcnt vmcnt(3)
	ds_write2_b64 v116, v[8:9], v[10:11] offset0:44 offset1:45
	;; [unrolled: 2-line block ×5, first 2 shown]
.LBB50_438:
	s_or_b64 exec, exec, s[0:1]
	v_cmp_lt_i32_e32 vcc, 20, v117
	s_waitcnt lgkmcnt(0)
	s_barrier
	s_and_saveexec_b64 s[0:1], vcc
	s_cbranch_execz .LBB50_440
; %bb.439:
	ds_read2_b64 v[120:123], v116 offset0:42 offset1:43
	v_mul_f64 v[114:115], v[104:105], v[18:19]
	v_fmac_f64_e32 v[114:115], v[106:107], v[16:17]
	v_mul_f64 v[18:19], v[106:107], v[18:19]
	v_fma_f64 v[16:17], v[104:105], v[16:17], -v[18:19]
	ds_read2_b64 v[104:107], v116 offset0:44 offset1:45
	s_waitcnt lgkmcnt(1)
	v_mul_f64 v[18:19], v[122:123], v[114:115]
	v_fma_f64 v[18:19], v[120:121], v[16:17], -v[18:19]
	v_mul_f64 v[120:121], v[120:121], v[114:115]
	v_fmac_f64_e32 v[120:121], v[122:123], v[16:17]
	s_waitcnt vmcnt(4)
	v_add_f64 v[14:15], v[14:15], -v[120:121]
	ds_read2_b64 v[120:123], v116 offset0:46 offset1:47
	v_add_f64 v[12:13], v[12:13], -v[18:19]
	s_waitcnt lgkmcnt(1)
	v_mul_f64 v[18:19], v[106:107], v[114:115]
	v_fma_f64 v[18:19], v[104:105], v[16:17], -v[18:19]
	v_mul_f64 v[104:105], v[104:105], v[114:115]
	v_fmac_f64_e32 v[104:105], v[106:107], v[16:17]
	s_waitcnt vmcnt(3)
	v_add_f64 v[8:9], v[8:9], -v[18:19]
	v_add_f64 v[10:11], v[10:11], -v[104:105]
	ds_read2_b64 v[104:107], v116 offset0:48 offset1:49
	s_waitcnt lgkmcnt(1)
	v_mul_f64 v[18:19], v[122:123], v[114:115]
	v_fma_f64 v[18:19], v[120:121], v[16:17], -v[18:19]
	v_mul_f64 v[120:121], v[120:121], v[114:115]
	v_fmac_f64_e32 v[120:121], v[122:123], v[16:17]
	s_waitcnt vmcnt(2)
	v_add_f64 v[6:7], v[6:7], -v[120:121]
	ds_read2_b64 v[120:123], v116 offset0:50 offset1:51
	v_add_f64 v[4:5], v[4:5], -v[18:19]
	s_waitcnt lgkmcnt(1)
	v_mul_f64 v[18:19], v[106:107], v[114:115]
	v_fma_f64 v[18:19], v[104:105], v[16:17], -v[18:19]
	v_mul_f64 v[104:105], v[104:105], v[114:115]
	v_fmac_f64_e32 v[104:105], v[106:107], v[16:17]
	s_waitcnt vmcnt(1)
	v_add_f64 v[0:1], v[0:1], -v[18:19]
	v_add_f64 v[2:3], v[2:3], -v[104:105]
	s_waitcnt lgkmcnt(0)
	v_mul_f64 v[18:19], v[122:123], v[114:115]
	v_mul_f64 v[104:105], v[120:121], v[114:115]
	v_fma_f64 v[18:19], v[120:121], v[16:17], -v[18:19]
	v_fmac_f64_e32 v[104:105], v[122:123], v[16:17]
	s_waitcnt vmcnt(0)
	v_add_f64 v[100:101], v[100:101], -v[18:19]
	v_add_f64 v[102:103], v[102:103], -v[104:105]
	v_mov_b64_e32 v[18:19], v[114:115]
.LBB50_440:
	s_or_b64 exec, exec, s[0:1]
	v_lshl_add_u32 v104, v117, 4, v116
	s_barrier
	s_waitcnt vmcnt(4)
	ds_write2_b64 v104, v[12:13], v[14:15] offset1:1
	s_waitcnt lgkmcnt(0)
	s_barrier
	ds_read2_b64 v[104:107], v116 offset0:42 offset1:43
	s_cmp_lt_i32 s20, 23
	v_mov_b32_e32 v114, 21
	s_cbranch_scc1 .LBB50_443
; %bb.441:
	v_add_u32_e32 v115, 0x160, v116
	s_mov_b32 s16, 22
	v_mov_b32_e32 v114, 21
.LBB50_442:                             ; =>This Inner Loop Header: Depth=1
	ds_read2_b64 v[120:123], v115 offset1:1
	s_waitcnt lgkmcnt(1)
	v_xor_b32_e32 v125, 0x80000000, v105
	v_xor_b32_e32 v127, 0x80000000, v107
	v_cmp_gt_f64_e32 vcc, 0, v[106:107]
	v_cmp_gt_f64_e64 s[0:1], 0, v[104:105]
	v_mov_b32_e32 v124, v104
	v_mov_b32_e32 v126, v106
	v_cndmask_b32_e64 v125, v105, v125, s[0:1]
	v_cndmask_b32_e32 v127, v107, v127, vcc
	v_add_f64 v[124:125], v[124:125], v[126:127]
	s_waitcnt lgkmcnt(0)
	v_xor_b32_e32 v127, 0x80000000, v121
	v_xor_b32_e32 v129, 0x80000000, v123
	v_cmp_gt_f64_e32 vcc, 0, v[122:123]
	v_cmp_gt_f64_e64 s[0:1], 0, v[120:121]
	v_mov_b32_e32 v126, v120
	v_mov_b32_e32 v128, v122
	v_cndmask_b32_e64 v127, v121, v127, s[0:1]
	v_cndmask_b32_e32 v129, v123, v129, vcc
	v_add_f64 v[126:127], v[126:127], v[128:129]
	v_mov_b32_e32 v130, s16
	s_add_i32 s16, s16, 1
	v_cmp_lt_f64_e32 vcc, v[124:125], v[126:127]
	v_add_u32_e32 v115, 16, v115
	s_cmp_lg_u32 s20, s16
	v_cndmask_b32_e32 v105, v105, v121, vcc
	v_cndmask_b32_e32 v104, v104, v120, vcc
	;; [unrolled: 1-line block ×5, first 2 shown]
	s_cbranch_scc1 .LBB50_442
.LBB50_443:
	s_waitcnt lgkmcnt(0)
	v_cmp_eq_f64_e32 vcc, 0, v[104:105]
	v_cmp_eq_f64_e64 s[0:1], 0, v[106:107]
	s_and_b64 s[0:1], vcc, s[0:1]
	s_and_saveexec_b64 s[16:17], s[0:1]
	s_xor_b64 s[0:1], exec, s[16:17]
; %bb.444:
	v_cmp_ne_u32_e32 vcc, 0, v119
	s_nop 1
	v_cndmask_b32_e32 v119, 22, v119, vcc
; %bb.445:
	s_andn2_saveexec_b64 s[0:1], s[0:1]
	s_cbranch_execz .LBB50_451
; %bb.446:
	v_cmp_ngt_f64_e64 s[16:17], |v[104:105]|, |v[106:107]|
	s_and_saveexec_b64 s[18:19], s[16:17]
	s_xor_b64 s[16:17], exec, s[18:19]
	s_cbranch_execz .LBB50_448
; %bb.447:
	v_div_scale_f64 v[120:121], s[18:19], v[106:107], v[106:107], v[104:105]
	v_rcp_f64_e32 v[122:123], v[120:121]
	v_div_scale_f64 v[124:125], vcc, v[104:105], v[106:107], v[104:105]
	v_fma_f64 v[126:127], -v[120:121], v[122:123], 1.0
	v_fmac_f64_e32 v[122:123], v[122:123], v[126:127]
	v_fma_f64 v[126:127], -v[120:121], v[122:123], 1.0
	v_fmac_f64_e32 v[122:123], v[122:123], v[126:127]
	v_mul_f64 v[126:127], v[124:125], v[122:123]
	v_fma_f64 v[120:121], -v[120:121], v[126:127], v[124:125]
	v_div_fmas_f64 v[120:121], v[120:121], v[122:123], v[126:127]
	v_div_fixup_f64 v[120:121], v[120:121], v[106:107], v[104:105]
	v_fmac_f64_e32 v[106:107], v[104:105], v[120:121]
	v_div_scale_f64 v[104:105], s[18:19], v[106:107], v[106:107], 1.0
	v_rcp_f64_e32 v[122:123], v[104:105]
	s_nop 0
	v_fma_f64 v[124:125], -v[104:105], v[122:123], 1.0
	v_fmac_f64_e32 v[122:123], v[122:123], v[124:125]
	v_fma_f64 v[124:125], -v[104:105], v[122:123], 1.0
	v_fmac_f64_e32 v[122:123], v[122:123], v[124:125]
	v_div_scale_f64 v[124:125], vcc, 1.0, v[106:107], 1.0
	v_mul_f64 v[126:127], v[124:125], v[122:123]
	v_fma_f64 v[104:105], -v[104:105], v[126:127], v[124:125]
	s_nop 1
	v_div_fmas_f64 v[104:105], v[104:105], v[122:123], v[126:127]
	v_div_fixup_f64 v[106:107], v[104:105], v[106:107], 1.0
	v_mul_f64 v[104:105], v[120:121], v[106:107]
	v_xor_b32_e32 v107, 0x80000000, v107
.LBB50_448:
	s_andn2_saveexec_b64 s[16:17], s[16:17]
	s_cbranch_execz .LBB50_450
; %bb.449:
	v_div_scale_f64 v[120:121], s[18:19], v[104:105], v[104:105], v[106:107]
	v_rcp_f64_e32 v[122:123], v[120:121]
	v_div_scale_f64 v[124:125], vcc, v[106:107], v[104:105], v[106:107]
	v_fma_f64 v[126:127], -v[120:121], v[122:123], 1.0
	v_fmac_f64_e32 v[122:123], v[122:123], v[126:127]
	v_fma_f64 v[126:127], -v[120:121], v[122:123], 1.0
	v_fmac_f64_e32 v[122:123], v[122:123], v[126:127]
	v_mul_f64 v[126:127], v[124:125], v[122:123]
	v_fma_f64 v[120:121], -v[120:121], v[126:127], v[124:125]
	v_div_fmas_f64 v[120:121], v[120:121], v[122:123], v[126:127]
	v_div_fixup_f64 v[120:121], v[120:121], v[104:105], v[106:107]
	v_fmac_f64_e32 v[104:105], v[106:107], v[120:121]
	v_div_scale_f64 v[106:107], s[18:19], v[104:105], v[104:105], 1.0
	v_rcp_f64_e32 v[122:123], v[106:107]
	s_nop 0
	v_fma_f64 v[124:125], -v[106:107], v[122:123], 1.0
	v_fmac_f64_e32 v[122:123], v[122:123], v[124:125]
	v_fma_f64 v[124:125], -v[106:107], v[122:123], 1.0
	v_fmac_f64_e32 v[122:123], v[122:123], v[124:125]
	v_div_scale_f64 v[124:125], vcc, 1.0, v[104:105], 1.0
	v_mul_f64 v[126:127], v[124:125], v[122:123]
	v_fma_f64 v[106:107], -v[106:107], v[126:127], v[124:125]
	s_nop 1
	v_div_fmas_f64 v[106:107], v[106:107], v[122:123], v[126:127]
	v_div_fixup_f64 v[104:105], v[106:107], v[104:105], 1.0
	v_mul_f64 v[106:107], v[120:121], -v[104:105]
.LBB50_450:
	s_or_b64 exec, exec, s[16:17]
.LBB50_451:
	s_or_b64 exec, exec, s[0:1]
	v_cmp_ne_u32_e32 vcc, v117, v114
	s_and_saveexec_b64 s[0:1], vcc
	s_xor_b64 s[0:1], exec, s[0:1]
	s_cbranch_execz .LBB50_457
; %bb.452:
	v_cmp_eq_u32_e32 vcc, 21, v117
	s_and_saveexec_b64 s[16:17], vcc
	s_cbranch_execz .LBB50_456
; %bb.453:
	v_cmp_ne_u32_e32 vcc, 21, v114
	s_xor_b64 s[18:19], s[14:15], -1
	s_and_b64 s[22:23], s[18:19], vcc
	s_and_saveexec_b64 s[18:19], s[22:23]
	s_cbranch_execz .LBB50_455
; %bb.454:
	v_ashrrev_i32_e32 v115, 31, v114
	v_lshl_add_u64 v[120:121], v[114:115], 2, v[112:113]
	global_load_dword v115, v[120:121], off
	global_load_dword v117, v[112:113], off offset:84
	s_waitcnt vmcnt(1)
	global_store_dword v[112:113], v115, off offset:84
	s_waitcnt vmcnt(1)
	global_store_dword v[120:121], v117, off
.LBB50_455:
	s_or_b64 exec, exec, s[18:19]
	v_mov_b32_e32 v117, v114
	v_mov_b32_e32 v118, v114
.LBB50_456:
	s_or_b64 exec, exec, s[16:17]
.LBB50_457:
	s_andn2_saveexec_b64 s[0:1], s[0:1]
	s_cbranch_execz .LBB50_459
; %bb.458:
	v_mov_b32_e32 v117, 21
	s_waitcnt vmcnt(3)
	ds_write2_b64 v116, v[8:9], v[10:11] offset0:44 offset1:45
	s_waitcnt vmcnt(2)
	ds_write2_b64 v116, v[4:5], v[6:7] offset0:46 offset1:47
	;; [unrolled: 2-line block ×4, first 2 shown]
.LBB50_459:
	s_or_b64 exec, exec, s[0:1]
	v_cmp_lt_i32_e32 vcc, 21, v117
	s_waitcnt lgkmcnt(0)
	s_barrier
	s_and_saveexec_b64 s[0:1], vcc
	s_cbranch_execz .LBB50_461
; %bb.460:
	ds_read2_b64 v[120:123], v116 offset0:44 offset1:45
	v_mul_f64 v[114:115], v[104:105], v[14:15]
	v_mul_f64 v[14:15], v[106:107], v[14:15]
	v_fmac_f64_e32 v[114:115], v[106:107], v[12:13]
	v_fma_f64 v[12:13], v[104:105], v[12:13], -v[14:15]
	ds_read2_b64 v[104:107], v116 offset0:46 offset1:47
	s_waitcnt lgkmcnt(1)
	v_mul_f64 v[14:15], v[122:123], v[114:115]
	v_fma_f64 v[14:15], v[120:121], v[12:13], -v[14:15]
	v_mul_f64 v[120:121], v[120:121], v[114:115]
	v_fmac_f64_e32 v[120:121], v[122:123], v[12:13]
	s_waitcnt vmcnt(3)
	v_add_f64 v[8:9], v[8:9], -v[14:15]
	s_waitcnt lgkmcnt(0)
	v_mul_f64 v[14:15], v[106:107], v[114:115]
	v_add_f64 v[10:11], v[10:11], -v[120:121]
	v_fma_f64 v[14:15], v[104:105], v[12:13], -v[14:15]
	v_mul_f64 v[104:105], v[104:105], v[114:115]
	ds_read2_b64 v[120:123], v116 offset0:48 offset1:49
	v_fmac_f64_e32 v[104:105], v[106:107], v[12:13]
	s_waitcnt vmcnt(2)
	v_add_f64 v[6:7], v[6:7], -v[104:105]
	ds_read2_b64 v[104:107], v116 offset0:50 offset1:51
	v_add_f64 v[4:5], v[4:5], -v[14:15]
	s_waitcnt lgkmcnt(1)
	v_mul_f64 v[14:15], v[122:123], v[114:115]
	v_fma_f64 v[14:15], v[120:121], v[12:13], -v[14:15]
	s_waitcnt vmcnt(1)
	v_add_f64 v[0:1], v[0:1], -v[14:15]
	s_waitcnt lgkmcnt(0)
	v_mul_f64 v[14:15], v[106:107], v[114:115]
	v_mul_f64 v[120:121], v[120:121], v[114:115]
	v_fma_f64 v[14:15], v[104:105], v[12:13], -v[14:15]
	v_mul_f64 v[104:105], v[104:105], v[114:115]
	v_fmac_f64_e32 v[120:121], v[122:123], v[12:13]
	v_fmac_f64_e32 v[104:105], v[106:107], v[12:13]
	v_add_f64 v[2:3], v[2:3], -v[120:121]
	s_waitcnt vmcnt(0)
	v_add_f64 v[100:101], v[100:101], -v[14:15]
	v_add_f64 v[102:103], v[102:103], -v[104:105]
	v_mov_b64_e32 v[14:15], v[114:115]
.LBB50_461:
	s_or_b64 exec, exec, s[0:1]
	v_lshl_add_u32 v104, v117, 4, v116
	s_barrier
	s_waitcnt vmcnt(3)
	ds_write2_b64 v104, v[8:9], v[10:11] offset1:1
	s_waitcnt lgkmcnt(0)
	s_barrier
	ds_read2_b64 v[104:107], v116 offset0:44 offset1:45
	s_cmp_lt_i32 s20, 24
	v_mov_b32_e32 v114, 22
	s_cbranch_scc1 .LBB50_464
; %bb.462:
	v_add_u32_e32 v115, 0x170, v116
	s_mov_b32 s16, 23
	v_mov_b32_e32 v114, 22
.LBB50_463:                             ; =>This Inner Loop Header: Depth=1
	ds_read2_b64 v[120:123], v115 offset1:1
	s_waitcnt lgkmcnt(1)
	v_xor_b32_e32 v125, 0x80000000, v105
	v_xor_b32_e32 v127, 0x80000000, v107
	v_cmp_gt_f64_e32 vcc, 0, v[106:107]
	v_cmp_gt_f64_e64 s[0:1], 0, v[104:105]
	v_mov_b32_e32 v124, v104
	v_mov_b32_e32 v126, v106
	v_cndmask_b32_e64 v125, v105, v125, s[0:1]
	v_cndmask_b32_e32 v127, v107, v127, vcc
	v_add_f64 v[124:125], v[124:125], v[126:127]
	s_waitcnt lgkmcnt(0)
	v_xor_b32_e32 v127, 0x80000000, v121
	v_xor_b32_e32 v129, 0x80000000, v123
	v_cmp_gt_f64_e32 vcc, 0, v[122:123]
	v_cmp_gt_f64_e64 s[0:1], 0, v[120:121]
	v_mov_b32_e32 v126, v120
	v_mov_b32_e32 v128, v122
	v_cndmask_b32_e64 v127, v121, v127, s[0:1]
	v_cndmask_b32_e32 v129, v123, v129, vcc
	v_add_f64 v[126:127], v[126:127], v[128:129]
	v_mov_b32_e32 v130, s16
	s_add_i32 s16, s16, 1
	v_cmp_lt_f64_e32 vcc, v[124:125], v[126:127]
	v_add_u32_e32 v115, 16, v115
	s_cmp_lg_u32 s20, s16
	v_cndmask_b32_e32 v105, v105, v121, vcc
	v_cndmask_b32_e32 v104, v104, v120, vcc
	;; [unrolled: 1-line block ×5, first 2 shown]
	s_cbranch_scc1 .LBB50_463
.LBB50_464:
	s_waitcnt lgkmcnt(0)
	v_cmp_eq_f64_e32 vcc, 0, v[104:105]
	v_cmp_eq_f64_e64 s[0:1], 0, v[106:107]
	s_and_b64 s[0:1], vcc, s[0:1]
	s_and_saveexec_b64 s[16:17], s[0:1]
	s_xor_b64 s[0:1], exec, s[16:17]
; %bb.465:
	v_cmp_ne_u32_e32 vcc, 0, v119
	s_nop 1
	v_cndmask_b32_e32 v119, 23, v119, vcc
; %bb.466:
	s_andn2_saveexec_b64 s[0:1], s[0:1]
	s_cbranch_execz .LBB50_472
; %bb.467:
	v_cmp_ngt_f64_e64 s[16:17], |v[104:105]|, |v[106:107]|
	s_and_saveexec_b64 s[18:19], s[16:17]
	s_xor_b64 s[16:17], exec, s[18:19]
	s_cbranch_execz .LBB50_469
; %bb.468:
	v_div_scale_f64 v[120:121], s[18:19], v[106:107], v[106:107], v[104:105]
	v_rcp_f64_e32 v[122:123], v[120:121]
	v_div_scale_f64 v[124:125], vcc, v[104:105], v[106:107], v[104:105]
	v_fma_f64 v[126:127], -v[120:121], v[122:123], 1.0
	v_fmac_f64_e32 v[122:123], v[122:123], v[126:127]
	v_fma_f64 v[126:127], -v[120:121], v[122:123], 1.0
	v_fmac_f64_e32 v[122:123], v[122:123], v[126:127]
	v_mul_f64 v[126:127], v[124:125], v[122:123]
	v_fma_f64 v[120:121], -v[120:121], v[126:127], v[124:125]
	v_div_fmas_f64 v[120:121], v[120:121], v[122:123], v[126:127]
	v_div_fixup_f64 v[120:121], v[120:121], v[106:107], v[104:105]
	v_fmac_f64_e32 v[106:107], v[104:105], v[120:121]
	v_div_scale_f64 v[104:105], s[18:19], v[106:107], v[106:107], 1.0
	v_rcp_f64_e32 v[122:123], v[104:105]
	s_nop 0
	v_fma_f64 v[124:125], -v[104:105], v[122:123], 1.0
	v_fmac_f64_e32 v[122:123], v[122:123], v[124:125]
	v_fma_f64 v[124:125], -v[104:105], v[122:123], 1.0
	v_fmac_f64_e32 v[122:123], v[122:123], v[124:125]
	v_div_scale_f64 v[124:125], vcc, 1.0, v[106:107], 1.0
	v_mul_f64 v[126:127], v[124:125], v[122:123]
	v_fma_f64 v[104:105], -v[104:105], v[126:127], v[124:125]
	s_nop 1
	v_div_fmas_f64 v[104:105], v[104:105], v[122:123], v[126:127]
	v_div_fixup_f64 v[106:107], v[104:105], v[106:107], 1.0
	v_mul_f64 v[104:105], v[120:121], v[106:107]
	v_xor_b32_e32 v107, 0x80000000, v107
.LBB50_469:
	s_andn2_saveexec_b64 s[16:17], s[16:17]
	s_cbranch_execz .LBB50_471
; %bb.470:
	v_div_scale_f64 v[120:121], s[18:19], v[104:105], v[104:105], v[106:107]
	v_rcp_f64_e32 v[122:123], v[120:121]
	v_div_scale_f64 v[124:125], vcc, v[106:107], v[104:105], v[106:107]
	v_fma_f64 v[126:127], -v[120:121], v[122:123], 1.0
	v_fmac_f64_e32 v[122:123], v[122:123], v[126:127]
	v_fma_f64 v[126:127], -v[120:121], v[122:123], 1.0
	v_fmac_f64_e32 v[122:123], v[122:123], v[126:127]
	v_mul_f64 v[126:127], v[124:125], v[122:123]
	v_fma_f64 v[120:121], -v[120:121], v[126:127], v[124:125]
	v_div_fmas_f64 v[120:121], v[120:121], v[122:123], v[126:127]
	v_div_fixup_f64 v[120:121], v[120:121], v[104:105], v[106:107]
	v_fmac_f64_e32 v[104:105], v[106:107], v[120:121]
	v_div_scale_f64 v[106:107], s[18:19], v[104:105], v[104:105], 1.0
	v_rcp_f64_e32 v[122:123], v[106:107]
	s_nop 0
	v_fma_f64 v[124:125], -v[106:107], v[122:123], 1.0
	v_fmac_f64_e32 v[122:123], v[122:123], v[124:125]
	v_fma_f64 v[124:125], -v[106:107], v[122:123], 1.0
	v_fmac_f64_e32 v[122:123], v[122:123], v[124:125]
	v_div_scale_f64 v[124:125], vcc, 1.0, v[104:105], 1.0
	v_mul_f64 v[126:127], v[124:125], v[122:123]
	v_fma_f64 v[106:107], -v[106:107], v[126:127], v[124:125]
	s_nop 1
	v_div_fmas_f64 v[106:107], v[106:107], v[122:123], v[126:127]
	v_div_fixup_f64 v[104:105], v[106:107], v[104:105], 1.0
	v_mul_f64 v[106:107], v[120:121], -v[104:105]
.LBB50_471:
	s_or_b64 exec, exec, s[16:17]
.LBB50_472:
	s_or_b64 exec, exec, s[0:1]
	v_cmp_ne_u32_e32 vcc, v117, v114
	s_and_saveexec_b64 s[0:1], vcc
	s_xor_b64 s[0:1], exec, s[0:1]
	s_cbranch_execz .LBB50_478
; %bb.473:
	v_cmp_eq_u32_e32 vcc, 22, v117
	s_and_saveexec_b64 s[16:17], vcc
	s_cbranch_execz .LBB50_477
; %bb.474:
	v_cmp_ne_u32_e32 vcc, 22, v114
	s_xor_b64 s[18:19], s[14:15], -1
	s_and_b64 s[22:23], s[18:19], vcc
	s_and_saveexec_b64 s[18:19], s[22:23]
	s_cbranch_execz .LBB50_476
; %bb.475:
	v_ashrrev_i32_e32 v115, 31, v114
	v_lshl_add_u64 v[120:121], v[114:115], 2, v[112:113]
	global_load_dword v115, v[120:121], off
	global_load_dword v117, v[112:113], off offset:88
	s_waitcnt vmcnt(1)
	global_store_dword v[112:113], v115, off offset:88
	s_waitcnt vmcnt(1)
	global_store_dword v[120:121], v117, off
.LBB50_476:
	s_or_b64 exec, exec, s[18:19]
	v_mov_b32_e32 v117, v114
	v_mov_b32_e32 v118, v114
.LBB50_477:
	s_or_b64 exec, exec, s[16:17]
.LBB50_478:
	s_andn2_saveexec_b64 s[0:1], s[0:1]
	s_cbranch_execz .LBB50_480
; %bb.479:
	v_mov_b32_e32 v117, 22
	s_waitcnt vmcnt(2)
	ds_write2_b64 v116, v[4:5], v[6:7] offset0:46 offset1:47
	s_waitcnt vmcnt(1)
	ds_write2_b64 v116, v[0:1], v[2:3] offset0:48 offset1:49
	;; [unrolled: 2-line block ×3, first 2 shown]
.LBB50_480:
	s_or_b64 exec, exec, s[0:1]
	v_cmp_lt_i32_e32 vcc, 22, v117
	s_waitcnt lgkmcnt(0)
	s_barrier
	s_and_saveexec_b64 s[0:1], vcc
	s_cbranch_execz .LBB50_482
; %bb.481:
	ds_read2_b64 v[120:123], v116 offset0:46 offset1:47
	v_mul_f64 v[114:115], v[104:105], v[10:11]
	v_fmac_f64_e32 v[114:115], v[106:107], v[8:9]
	v_mul_f64 v[10:11], v[106:107], v[10:11]
	v_fma_f64 v[8:9], v[104:105], v[8:9], -v[10:11]
	ds_read2_b64 v[104:107], v116 offset0:48 offset1:49
	s_waitcnt lgkmcnt(1)
	v_mul_f64 v[10:11], v[122:123], v[114:115]
	v_fma_f64 v[10:11], v[120:121], v[8:9], -v[10:11]
	v_mul_f64 v[120:121], v[120:121], v[114:115]
	v_fmac_f64_e32 v[120:121], v[122:123], v[8:9]
	s_waitcnt vmcnt(2)
	v_add_f64 v[6:7], v[6:7], -v[120:121]
	ds_read2_b64 v[120:123], v116 offset0:50 offset1:51
	v_add_f64 v[4:5], v[4:5], -v[10:11]
	s_waitcnt lgkmcnt(1)
	v_mul_f64 v[10:11], v[106:107], v[114:115]
	v_fma_f64 v[10:11], v[104:105], v[8:9], -v[10:11]
	v_mul_f64 v[104:105], v[104:105], v[114:115]
	v_fmac_f64_e32 v[104:105], v[106:107], v[8:9]
	s_waitcnt vmcnt(1)
	v_add_f64 v[0:1], v[0:1], -v[10:11]
	v_add_f64 v[2:3], v[2:3], -v[104:105]
	s_waitcnt lgkmcnt(0)
	v_mul_f64 v[10:11], v[122:123], v[114:115]
	v_mul_f64 v[104:105], v[120:121], v[114:115]
	v_fma_f64 v[10:11], v[120:121], v[8:9], -v[10:11]
	v_fmac_f64_e32 v[104:105], v[122:123], v[8:9]
	s_waitcnt vmcnt(0)
	v_add_f64 v[100:101], v[100:101], -v[10:11]
	v_add_f64 v[102:103], v[102:103], -v[104:105]
	v_mov_b64_e32 v[10:11], v[114:115]
.LBB50_482:
	s_or_b64 exec, exec, s[0:1]
	v_lshl_add_u32 v104, v117, 4, v116
	s_barrier
	s_waitcnt vmcnt(2)
	ds_write2_b64 v104, v[4:5], v[6:7] offset1:1
	s_waitcnt lgkmcnt(0)
	s_barrier
	ds_read2_b64 v[104:107], v116 offset0:46 offset1:47
	s_cmp_lt_i32 s20, 25
	v_mov_b32_e32 v114, 23
	s_cbranch_scc1 .LBB50_485
; %bb.483:
	v_add_u32_e32 v115, 0x180, v116
	s_mov_b32 s16, 24
	v_mov_b32_e32 v114, 23
.LBB50_484:                             ; =>This Inner Loop Header: Depth=1
	ds_read2_b64 v[120:123], v115 offset1:1
	s_waitcnt lgkmcnt(1)
	v_xor_b32_e32 v125, 0x80000000, v105
	v_xor_b32_e32 v127, 0x80000000, v107
	v_cmp_gt_f64_e32 vcc, 0, v[106:107]
	v_cmp_gt_f64_e64 s[0:1], 0, v[104:105]
	v_mov_b32_e32 v124, v104
	v_mov_b32_e32 v126, v106
	v_cndmask_b32_e64 v125, v105, v125, s[0:1]
	v_cndmask_b32_e32 v127, v107, v127, vcc
	v_add_f64 v[124:125], v[124:125], v[126:127]
	s_waitcnt lgkmcnt(0)
	v_xor_b32_e32 v127, 0x80000000, v121
	v_xor_b32_e32 v129, 0x80000000, v123
	v_cmp_gt_f64_e32 vcc, 0, v[122:123]
	v_cmp_gt_f64_e64 s[0:1], 0, v[120:121]
	v_mov_b32_e32 v126, v120
	v_mov_b32_e32 v128, v122
	v_cndmask_b32_e64 v127, v121, v127, s[0:1]
	v_cndmask_b32_e32 v129, v123, v129, vcc
	v_add_f64 v[126:127], v[126:127], v[128:129]
	v_mov_b32_e32 v130, s16
	s_add_i32 s16, s16, 1
	v_cmp_lt_f64_e32 vcc, v[124:125], v[126:127]
	v_add_u32_e32 v115, 16, v115
	s_cmp_lg_u32 s20, s16
	v_cndmask_b32_e32 v105, v105, v121, vcc
	v_cndmask_b32_e32 v104, v104, v120, vcc
	;; [unrolled: 1-line block ×5, first 2 shown]
	s_cbranch_scc1 .LBB50_484
.LBB50_485:
	s_waitcnt lgkmcnt(0)
	v_cmp_eq_f64_e32 vcc, 0, v[104:105]
	v_cmp_eq_f64_e64 s[0:1], 0, v[106:107]
	s_and_b64 s[0:1], vcc, s[0:1]
	s_and_saveexec_b64 s[16:17], s[0:1]
	s_xor_b64 s[0:1], exec, s[16:17]
; %bb.486:
	v_cmp_ne_u32_e32 vcc, 0, v119
	s_nop 1
	v_cndmask_b32_e32 v119, 24, v119, vcc
; %bb.487:
	s_andn2_saveexec_b64 s[0:1], s[0:1]
	s_cbranch_execz .LBB50_493
; %bb.488:
	v_cmp_ngt_f64_e64 s[16:17], |v[104:105]|, |v[106:107]|
	s_and_saveexec_b64 s[18:19], s[16:17]
	s_xor_b64 s[16:17], exec, s[18:19]
	s_cbranch_execz .LBB50_490
; %bb.489:
	v_div_scale_f64 v[120:121], s[18:19], v[106:107], v[106:107], v[104:105]
	v_rcp_f64_e32 v[122:123], v[120:121]
	v_div_scale_f64 v[124:125], vcc, v[104:105], v[106:107], v[104:105]
	v_fma_f64 v[126:127], -v[120:121], v[122:123], 1.0
	v_fmac_f64_e32 v[122:123], v[122:123], v[126:127]
	v_fma_f64 v[126:127], -v[120:121], v[122:123], 1.0
	v_fmac_f64_e32 v[122:123], v[122:123], v[126:127]
	v_mul_f64 v[126:127], v[124:125], v[122:123]
	v_fma_f64 v[120:121], -v[120:121], v[126:127], v[124:125]
	v_div_fmas_f64 v[120:121], v[120:121], v[122:123], v[126:127]
	v_div_fixup_f64 v[120:121], v[120:121], v[106:107], v[104:105]
	v_fmac_f64_e32 v[106:107], v[104:105], v[120:121]
	v_div_scale_f64 v[104:105], s[18:19], v[106:107], v[106:107], 1.0
	v_rcp_f64_e32 v[122:123], v[104:105]
	s_nop 0
	v_fma_f64 v[124:125], -v[104:105], v[122:123], 1.0
	v_fmac_f64_e32 v[122:123], v[122:123], v[124:125]
	v_fma_f64 v[124:125], -v[104:105], v[122:123], 1.0
	v_fmac_f64_e32 v[122:123], v[122:123], v[124:125]
	v_div_scale_f64 v[124:125], vcc, 1.0, v[106:107], 1.0
	v_mul_f64 v[126:127], v[124:125], v[122:123]
	v_fma_f64 v[104:105], -v[104:105], v[126:127], v[124:125]
	s_nop 1
	v_div_fmas_f64 v[104:105], v[104:105], v[122:123], v[126:127]
	v_div_fixup_f64 v[106:107], v[104:105], v[106:107], 1.0
	v_mul_f64 v[104:105], v[120:121], v[106:107]
	v_xor_b32_e32 v107, 0x80000000, v107
.LBB50_490:
	s_andn2_saveexec_b64 s[16:17], s[16:17]
	s_cbranch_execz .LBB50_492
; %bb.491:
	v_div_scale_f64 v[120:121], s[18:19], v[104:105], v[104:105], v[106:107]
	v_rcp_f64_e32 v[122:123], v[120:121]
	v_div_scale_f64 v[124:125], vcc, v[106:107], v[104:105], v[106:107]
	v_fma_f64 v[126:127], -v[120:121], v[122:123], 1.0
	v_fmac_f64_e32 v[122:123], v[122:123], v[126:127]
	v_fma_f64 v[126:127], -v[120:121], v[122:123], 1.0
	v_fmac_f64_e32 v[122:123], v[122:123], v[126:127]
	v_mul_f64 v[126:127], v[124:125], v[122:123]
	v_fma_f64 v[120:121], -v[120:121], v[126:127], v[124:125]
	v_div_fmas_f64 v[120:121], v[120:121], v[122:123], v[126:127]
	v_div_fixup_f64 v[120:121], v[120:121], v[104:105], v[106:107]
	v_fmac_f64_e32 v[104:105], v[106:107], v[120:121]
	v_div_scale_f64 v[106:107], s[18:19], v[104:105], v[104:105], 1.0
	v_rcp_f64_e32 v[122:123], v[106:107]
	s_nop 0
	v_fma_f64 v[124:125], -v[106:107], v[122:123], 1.0
	v_fmac_f64_e32 v[122:123], v[122:123], v[124:125]
	v_fma_f64 v[124:125], -v[106:107], v[122:123], 1.0
	v_fmac_f64_e32 v[122:123], v[122:123], v[124:125]
	v_div_scale_f64 v[124:125], vcc, 1.0, v[104:105], 1.0
	v_mul_f64 v[126:127], v[124:125], v[122:123]
	v_fma_f64 v[106:107], -v[106:107], v[126:127], v[124:125]
	s_nop 1
	v_div_fmas_f64 v[106:107], v[106:107], v[122:123], v[126:127]
	v_div_fixup_f64 v[104:105], v[106:107], v[104:105], 1.0
	v_mul_f64 v[106:107], v[120:121], -v[104:105]
.LBB50_492:
	s_or_b64 exec, exec, s[16:17]
.LBB50_493:
	s_or_b64 exec, exec, s[0:1]
	v_cmp_ne_u32_e32 vcc, v117, v114
	s_and_saveexec_b64 s[0:1], vcc
	s_xor_b64 s[0:1], exec, s[0:1]
	s_cbranch_execz .LBB50_499
; %bb.494:
	v_cmp_eq_u32_e32 vcc, 23, v117
	s_and_saveexec_b64 s[16:17], vcc
	s_cbranch_execz .LBB50_498
; %bb.495:
	v_cmp_ne_u32_e32 vcc, 23, v114
	s_xor_b64 s[18:19], s[14:15], -1
	s_and_b64 s[22:23], s[18:19], vcc
	s_and_saveexec_b64 s[18:19], s[22:23]
	s_cbranch_execz .LBB50_497
; %bb.496:
	v_ashrrev_i32_e32 v115, 31, v114
	v_lshl_add_u64 v[120:121], v[114:115], 2, v[112:113]
	global_load_dword v115, v[120:121], off
	global_load_dword v117, v[112:113], off offset:92
	s_waitcnt vmcnt(1)
	global_store_dword v[112:113], v115, off offset:92
	s_waitcnt vmcnt(1)
	global_store_dword v[120:121], v117, off
.LBB50_497:
	s_or_b64 exec, exec, s[18:19]
	v_mov_b32_e32 v117, v114
	v_mov_b32_e32 v118, v114
.LBB50_498:
	s_or_b64 exec, exec, s[16:17]
.LBB50_499:
	s_andn2_saveexec_b64 s[0:1], s[0:1]
	s_cbranch_execz .LBB50_501
; %bb.500:
	v_mov_b32_e32 v117, 23
	s_waitcnt vmcnt(1)
	ds_write2_b64 v116, v[0:1], v[2:3] offset0:48 offset1:49
	s_waitcnt vmcnt(0)
	ds_write2_b64 v116, v[100:101], v[102:103] offset0:50 offset1:51
.LBB50_501:
	s_or_b64 exec, exec, s[0:1]
	v_cmp_lt_i32_e32 vcc, 23, v117
	s_waitcnt lgkmcnt(0)
	s_barrier
	s_and_saveexec_b64 s[0:1], vcc
	s_cbranch_execz .LBB50_503
; %bb.502:
	ds_read2_b64 v[120:123], v116 offset0:48 offset1:49
	v_mul_f64 v[114:115], v[104:105], v[6:7]
	v_mul_f64 v[6:7], v[106:107], v[6:7]
	v_fmac_f64_e32 v[114:115], v[106:107], v[4:5]
	v_fma_f64 v[4:5], v[104:105], v[4:5], -v[6:7]
	ds_read2_b64 v[104:107], v116 offset0:50 offset1:51
	s_waitcnt lgkmcnt(1)
	v_mul_f64 v[6:7], v[122:123], v[114:115]
	v_fma_f64 v[6:7], v[120:121], v[4:5], -v[6:7]
	s_waitcnt vmcnt(1)
	v_add_f64 v[0:1], v[0:1], -v[6:7]
	v_mul_f64 v[120:121], v[120:121], v[114:115]
	s_waitcnt lgkmcnt(0)
	v_mul_f64 v[6:7], v[106:107], v[114:115]
	v_fma_f64 v[6:7], v[104:105], v[4:5], -v[6:7]
	v_mul_f64 v[104:105], v[104:105], v[114:115]
	v_fmac_f64_e32 v[120:121], v[122:123], v[4:5]
	v_fmac_f64_e32 v[104:105], v[106:107], v[4:5]
	v_add_f64 v[2:3], v[2:3], -v[120:121]
	s_waitcnt vmcnt(0)
	v_add_f64 v[100:101], v[100:101], -v[6:7]
	v_add_f64 v[102:103], v[102:103], -v[104:105]
	v_mov_b64_e32 v[6:7], v[114:115]
.LBB50_503:
	s_or_b64 exec, exec, s[0:1]
	v_lshl_add_u32 v104, v117, 4, v116
	s_barrier
	s_waitcnt vmcnt(1)
	ds_write2_b64 v104, v[0:1], v[2:3] offset1:1
	s_waitcnt lgkmcnt(0)
	s_barrier
	ds_read2_b64 v[104:107], v116 offset0:48 offset1:49
	s_cmp_lt_i32 s20, 26
	v_mov_b32_e32 v114, 24
	s_cbranch_scc1 .LBB50_506
; %bb.504:
	v_add_u32_e32 v115, 0x190, v116
	s_mov_b32 s16, 25
	v_mov_b32_e32 v114, 24
.LBB50_505:                             ; =>This Inner Loop Header: Depth=1
	ds_read2_b64 v[120:123], v115 offset1:1
	s_waitcnt lgkmcnt(1)
	v_xor_b32_e32 v125, 0x80000000, v105
	v_xor_b32_e32 v127, 0x80000000, v107
	v_cmp_gt_f64_e32 vcc, 0, v[106:107]
	v_cmp_gt_f64_e64 s[0:1], 0, v[104:105]
	v_mov_b32_e32 v124, v104
	v_mov_b32_e32 v126, v106
	v_cndmask_b32_e64 v125, v105, v125, s[0:1]
	v_cndmask_b32_e32 v127, v107, v127, vcc
	v_add_f64 v[124:125], v[124:125], v[126:127]
	s_waitcnt lgkmcnt(0)
	v_xor_b32_e32 v127, 0x80000000, v121
	v_xor_b32_e32 v129, 0x80000000, v123
	v_cmp_gt_f64_e32 vcc, 0, v[122:123]
	v_cmp_gt_f64_e64 s[0:1], 0, v[120:121]
	v_mov_b32_e32 v126, v120
	v_mov_b32_e32 v128, v122
	v_cndmask_b32_e64 v127, v121, v127, s[0:1]
	v_cndmask_b32_e32 v129, v123, v129, vcc
	v_add_f64 v[126:127], v[126:127], v[128:129]
	v_mov_b32_e32 v130, s16
	s_add_i32 s16, s16, 1
	v_cmp_lt_f64_e32 vcc, v[124:125], v[126:127]
	v_add_u32_e32 v115, 16, v115
	s_cmp_lg_u32 s20, s16
	v_cndmask_b32_e32 v105, v105, v121, vcc
	v_cndmask_b32_e32 v104, v104, v120, vcc
	;; [unrolled: 1-line block ×5, first 2 shown]
	s_cbranch_scc1 .LBB50_505
.LBB50_506:
	s_waitcnt lgkmcnt(0)
	v_cmp_eq_f64_e32 vcc, 0, v[104:105]
	v_cmp_eq_f64_e64 s[0:1], 0, v[106:107]
	s_and_b64 s[0:1], vcc, s[0:1]
	s_and_saveexec_b64 s[16:17], s[0:1]
	s_xor_b64 s[0:1], exec, s[16:17]
; %bb.507:
	v_cmp_ne_u32_e32 vcc, 0, v119
	s_nop 1
	v_cndmask_b32_e32 v119, 25, v119, vcc
; %bb.508:
	s_andn2_saveexec_b64 s[0:1], s[0:1]
	s_cbranch_execz .LBB50_514
; %bb.509:
	v_cmp_ngt_f64_e64 s[16:17], |v[104:105]|, |v[106:107]|
	s_and_saveexec_b64 s[18:19], s[16:17]
	s_xor_b64 s[16:17], exec, s[18:19]
	s_cbranch_execz .LBB50_511
; %bb.510:
	v_div_scale_f64 v[120:121], s[18:19], v[106:107], v[106:107], v[104:105]
	v_rcp_f64_e32 v[122:123], v[120:121]
	v_div_scale_f64 v[124:125], vcc, v[104:105], v[106:107], v[104:105]
	v_fma_f64 v[126:127], -v[120:121], v[122:123], 1.0
	v_fmac_f64_e32 v[122:123], v[122:123], v[126:127]
	v_fma_f64 v[126:127], -v[120:121], v[122:123], 1.0
	v_fmac_f64_e32 v[122:123], v[122:123], v[126:127]
	v_mul_f64 v[126:127], v[124:125], v[122:123]
	v_fma_f64 v[120:121], -v[120:121], v[126:127], v[124:125]
	v_div_fmas_f64 v[120:121], v[120:121], v[122:123], v[126:127]
	v_div_fixup_f64 v[120:121], v[120:121], v[106:107], v[104:105]
	v_fmac_f64_e32 v[106:107], v[104:105], v[120:121]
	v_div_scale_f64 v[104:105], s[18:19], v[106:107], v[106:107], 1.0
	v_rcp_f64_e32 v[122:123], v[104:105]
	s_nop 0
	v_fma_f64 v[124:125], -v[104:105], v[122:123], 1.0
	v_fmac_f64_e32 v[122:123], v[122:123], v[124:125]
	v_fma_f64 v[124:125], -v[104:105], v[122:123], 1.0
	v_fmac_f64_e32 v[122:123], v[122:123], v[124:125]
	v_div_scale_f64 v[124:125], vcc, 1.0, v[106:107], 1.0
	v_mul_f64 v[126:127], v[124:125], v[122:123]
	v_fma_f64 v[104:105], -v[104:105], v[126:127], v[124:125]
	s_nop 1
	v_div_fmas_f64 v[104:105], v[104:105], v[122:123], v[126:127]
	v_div_fixup_f64 v[106:107], v[104:105], v[106:107], 1.0
	v_mul_f64 v[104:105], v[120:121], v[106:107]
	v_xor_b32_e32 v107, 0x80000000, v107
.LBB50_511:
	s_andn2_saveexec_b64 s[16:17], s[16:17]
	s_cbranch_execz .LBB50_513
; %bb.512:
	v_div_scale_f64 v[120:121], s[18:19], v[104:105], v[104:105], v[106:107]
	v_rcp_f64_e32 v[122:123], v[120:121]
	v_div_scale_f64 v[124:125], vcc, v[106:107], v[104:105], v[106:107]
	v_fma_f64 v[126:127], -v[120:121], v[122:123], 1.0
	v_fmac_f64_e32 v[122:123], v[122:123], v[126:127]
	v_fma_f64 v[126:127], -v[120:121], v[122:123], 1.0
	v_fmac_f64_e32 v[122:123], v[122:123], v[126:127]
	v_mul_f64 v[126:127], v[124:125], v[122:123]
	v_fma_f64 v[120:121], -v[120:121], v[126:127], v[124:125]
	v_div_fmas_f64 v[120:121], v[120:121], v[122:123], v[126:127]
	v_div_fixup_f64 v[120:121], v[120:121], v[104:105], v[106:107]
	v_fmac_f64_e32 v[104:105], v[106:107], v[120:121]
	v_div_scale_f64 v[106:107], s[18:19], v[104:105], v[104:105], 1.0
	v_rcp_f64_e32 v[122:123], v[106:107]
	s_nop 0
	v_fma_f64 v[124:125], -v[106:107], v[122:123], 1.0
	v_fmac_f64_e32 v[122:123], v[122:123], v[124:125]
	v_fma_f64 v[124:125], -v[106:107], v[122:123], 1.0
	v_fmac_f64_e32 v[122:123], v[122:123], v[124:125]
	v_div_scale_f64 v[124:125], vcc, 1.0, v[104:105], 1.0
	v_mul_f64 v[126:127], v[124:125], v[122:123]
	v_fma_f64 v[106:107], -v[106:107], v[126:127], v[124:125]
	s_nop 1
	v_div_fmas_f64 v[106:107], v[106:107], v[122:123], v[126:127]
	v_div_fixup_f64 v[104:105], v[106:107], v[104:105], 1.0
	v_mul_f64 v[106:107], v[120:121], -v[104:105]
.LBB50_513:
	s_or_b64 exec, exec, s[16:17]
.LBB50_514:
	s_or_b64 exec, exec, s[0:1]
	v_cmp_ne_u32_e32 vcc, v117, v114
	s_and_saveexec_b64 s[0:1], vcc
	s_xor_b64 s[0:1], exec, s[0:1]
	s_cbranch_execz .LBB50_520
; %bb.515:
	v_cmp_eq_u32_e32 vcc, 24, v117
	s_and_saveexec_b64 s[16:17], vcc
	s_cbranch_execz .LBB50_519
; %bb.516:
	v_cmp_ne_u32_e32 vcc, 24, v114
	s_xor_b64 s[18:19], s[14:15], -1
	s_and_b64 s[22:23], s[18:19], vcc
	s_and_saveexec_b64 s[18:19], s[22:23]
	s_cbranch_execz .LBB50_518
; %bb.517:
	v_ashrrev_i32_e32 v115, 31, v114
	v_lshl_add_u64 v[120:121], v[114:115], 2, v[112:113]
	global_load_dword v115, v[120:121], off
	global_load_dword v117, v[112:113], off offset:96
	s_waitcnt vmcnt(1)
	global_store_dword v[112:113], v115, off offset:96
	s_waitcnt vmcnt(1)
	global_store_dword v[120:121], v117, off
.LBB50_518:
	s_or_b64 exec, exec, s[18:19]
	v_mov_b32_e32 v117, v114
	v_mov_b32_e32 v118, v114
.LBB50_519:
	s_or_b64 exec, exec, s[16:17]
.LBB50_520:
	s_andn2_saveexec_b64 s[0:1], s[0:1]
	s_cbranch_execz .LBB50_522
; %bb.521:
	v_mov_b32_e32 v117, 24
	s_waitcnt vmcnt(0)
	ds_write2_b64 v116, v[100:101], v[102:103] offset0:50 offset1:51
.LBB50_522:
	s_or_b64 exec, exec, s[0:1]
	v_cmp_lt_i32_e32 vcc, 24, v117
	s_waitcnt lgkmcnt(0)
	s_barrier
	s_and_saveexec_b64 s[0:1], vcc
	s_cbranch_execz .LBB50_524
; %bb.523:
	ds_read2_b64 v[120:123], v116 offset0:50 offset1:51
	v_mul_f64 v[114:115], v[104:105], v[2:3]
	v_mul_f64 v[2:3], v[106:107], v[2:3]
	v_fmac_f64_e32 v[114:115], v[106:107], v[0:1]
	v_fma_f64 v[0:1], v[104:105], v[0:1], -v[2:3]
	s_waitcnt lgkmcnt(0)
	v_mul_f64 v[2:3], v[122:123], v[114:115]
	v_mul_f64 v[104:105], v[120:121], v[114:115]
	v_fma_f64 v[2:3], v[120:121], v[0:1], -v[2:3]
	v_fmac_f64_e32 v[104:105], v[122:123], v[0:1]
	s_waitcnt vmcnt(0)
	v_add_f64 v[100:101], v[100:101], -v[2:3]
	v_add_f64 v[102:103], v[102:103], -v[104:105]
	v_mov_b64_e32 v[2:3], v[114:115]
.LBB50_524:
	s_or_b64 exec, exec, s[0:1]
	v_lshl_add_u32 v104, v117, 4, v116
	s_barrier
	s_waitcnt vmcnt(0)
	ds_write2_b64 v104, v[100:101], v[102:103] offset1:1
	s_waitcnt lgkmcnt(0)
	s_barrier
	ds_read2_b64 v[104:107], v116 offset0:50 offset1:51
	s_cmp_lt_i32 s20, 27
	v_mov_b32_e32 v114, 25
	s_cbranch_scc1 .LBB50_527
; %bb.525:
	v_add_u32_e32 v115, 0x1a0, v116
	s_mov_b32 s16, 26
	v_mov_b32_e32 v114, 25
.LBB50_526:                             ; =>This Inner Loop Header: Depth=1
	ds_read2_b64 v[120:123], v115 offset1:1
	s_waitcnt lgkmcnt(1)
	v_xor_b32_e32 v116, 0x80000000, v105
	v_xor_b32_e32 v127, 0x80000000, v107
	v_cmp_gt_f64_e32 vcc, 0, v[106:107]
	v_cmp_gt_f64_e64 s[0:1], 0, v[104:105]
	v_mov_b32_e32 v124, v104
	v_mov_b32_e32 v126, v106
	v_cndmask_b32_e64 v125, v105, v116, s[0:1]
	v_cndmask_b32_e32 v127, v107, v127, vcc
	s_waitcnt lgkmcnt(0)
	v_xor_b32_e32 v116, 0x80000000, v121
	v_xor_b32_e32 v129, 0x80000000, v123
	v_cmp_gt_f64_e32 vcc, 0, v[122:123]
	v_cmp_gt_f64_e64 s[0:1], 0, v[120:121]
	v_add_f64 v[124:125], v[124:125], v[126:127]
	v_mov_b32_e32 v126, v120
	v_mov_b32_e32 v128, v122
	v_cndmask_b32_e64 v127, v121, v116, s[0:1]
	v_cndmask_b32_e32 v129, v123, v129, vcc
	v_add_f64 v[126:127], v[126:127], v[128:129]
	v_mov_b32_e32 v130, s16
	s_add_i32 s16, s16, 1
	v_cmp_lt_f64_e32 vcc, v[124:125], v[126:127]
	v_add_u32_e32 v115, 16, v115
	s_cmp_lg_u32 s20, s16
	v_cndmask_b32_e32 v105, v105, v121, vcc
	v_cndmask_b32_e32 v104, v104, v120, vcc
	;; [unrolled: 1-line block ×5, first 2 shown]
	s_cbranch_scc1 .LBB50_526
.LBB50_527:
	s_waitcnt lgkmcnt(0)
	v_cmp_eq_f64_e32 vcc, 0, v[104:105]
	v_cmp_eq_f64_e64 s[0:1], 0, v[106:107]
	s_and_b64 s[0:1], vcc, s[0:1]
	s_and_saveexec_b64 s[16:17], s[0:1]
	s_xor_b64 s[0:1], exec, s[16:17]
; %bb.528:
	v_cmp_ne_u32_e32 vcc, 0, v119
	s_nop 1
	v_cndmask_b32_e32 v119, 26, v119, vcc
; %bb.529:
	s_andn2_saveexec_b64 s[0:1], s[0:1]
	s_cbranch_execz .LBB50_535
; %bb.530:
	v_cmp_ngt_f64_e64 s[16:17], |v[104:105]|, |v[106:107]|
	s_and_saveexec_b64 s[18:19], s[16:17]
	s_xor_b64 s[16:17], exec, s[18:19]
	s_cbranch_execz .LBB50_532
; %bb.531:
	v_div_scale_f64 v[120:121], s[18:19], v[106:107], v[106:107], v[104:105]
	v_rcp_f64_e32 v[122:123], v[120:121]
	v_div_scale_f64 v[124:125], vcc, v[104:105], v[106:107], v[104:105]
	v_fma_f64 v[126:127], -v[120:121], v[122:123], 1.0
	v_fmac_f64_e32 v[122:123], v[122:123], v[126:127]
	v_fma_f64 v[126:127], -v[120:121], v[122:123], 1.0
	v_fmac_f64_e32 v[122:123], v[122:123], v[126:127]
	v_mul_f64 v[126:127], v[124:125], v[122:123]
	v_fma_f64 v[120:121], -v[120:121], v[126:127], v[124:125]
	v_div_fmas_f64 v[120:121], v[120:121], v[122:123], v[126:127]
	v_div_fixup_f64 v[120:121], v[120:121], v[106:107], v[104:105]
	v_fmac_f64_e32 v[106:107], v[104:105], v[120:121]
	v_div_scale_f64 v[104:105], s[18:19], v[106:107], v[106:107], 1.0
	v_rcp_f64_e32 v[122:123], v[104:105]
	s_nop 0
	v_fma_f64 v[124:125], -v[104:105], v[122:123], 1.0
	v_fmac_f64_e32 v[122:123], v[122:123], v[124:125]
	v_fma_f64 v[124:125], -v[104:105], v[122:123], 1.0
	v_fmac_f64_e32 v[122:123], v[122:123], v[124:125]
	v_div_scale_f64 v[124:125], vcc, 1.0, v[106:107], 1.0
	v_mul_f64 v[126:127], v[124:125], v[122:123]
	v_fma_f64 v[104:105], -v[104:105], v[126:127], v[124:125]
	s_nop 1
	v_div_fmas_f64 v[104:105], v[104:105], v[122:123], v[126:127]
	v_div_fixup_f64 v[106:107], v[104:105], v[106:107], 1.0
	v_mul_f64 v[104:105], v[120:121], v[106:107]
	v_xor_b32_e32 v107, 0x80000000, v107
.LBB50_532:
	s_andn2_saveexec_b64 s[16:17], s[16:17]
	s_cbranch_execz .LBB50_534
; %bb.533:
	v_div_scale_f64 v[120:121], s[18:19], v[104:105], v[104:105], v[106:107]
	v_rcp_f64_e32 v[122:123], v[120:121]
	v_div_scale_f64 v[124:125], vcc, v[106:107], v[104:105], v[106:107]
	v_fma_f64 v[126:127], -v[120:121], v[122:123], 1.0
	v_fmac_f64_e32 v[122:123], v[122:123], v[126:127]
	v_fma_f64 v[126:127], -v[120:121], v[122:123], 1.0
	v_fmac_f64_e32 v[122:123], v[122:123], v[126:127]
	v_mul_f64 v[126:127], v[124:125], v[122:123]
	v_fma_f64 v[120:121], -v[120:121], v[126:127], v[124:125]
	v_div_fmas_f64 v[120:121], v[120:121], v[122:123], v[126:127]
	v_div_fixup_f64 v[120:121], v[120:121], v[104:105], v[106:107]
	v_fmac_f64_e32 v[104:105], v[106:107], v[120:121]
	v_div_scale_f64 v[106:107], s[18:19], v[104:105], v[104:105], 1.0
	v_rcp_f64_e32 v[122:123], v[106:107]
	s_nop 0
	v_fma_f64 v[124:125], -v[106:107], v[122:123], 1.0
	v_fmac_f64_e32 v[122:123], v[122:123], v[124:125]
	v_fma_f64 v[124:125], -v[106:107], v[122:123], 1.0
	v_fmac_f64_e32 v[122:123], v[122:123], v[124:125]
	v_div_scale_f64 v[124:125], vcc, 1.0, v[104:105], 1.0
	v_mul_f64 v[126:127], v[124:125], v[122:123]
	v_fma_f64 v[106:107], -v[106:107], v[126:127], v[124:125]
	s_nop 1
	v_div_fmas_f64 v[106:107], v[106:107], v[122:123], v[126:127]
	v_div_fixup_f64 v[104:105], v[106:107], v[104:105], 1.0
	v_mul_f64 v[106:107], v[120:121], -v[104:105]
.LBB50_534:
	s_or_b64 exec, exec, s[16:17]
.LBB50_535:
	s_or_b64 exec, exec, s[0:1]
	v_cmp_ne_u32_e32 vcc, v117, v114
	v_mov_b32_e32 v116, 25
	s_and_saveexec_b64 s[0:1], vcc
	s_cbranch_execz .LBB50_541
; %bb.536:
	v_cmp_eq_u32_e32 vcc, 25, v117
	s_and_saveexec_b64 s[16:17], vcc
	s_cbranch_execz .LBB50_540
; %bb.537:
	v_cmp_ne_u32_e32 vcc, 25, v114
	s_xor_b64 s[14:15], s[14:15], -1
	s_and_b64 s[18:19], s[14:15], vcc
	s_and_saveexec_b64 s[14:15], s[18:19]
	s_cbranch_execz .LBB50_539
; %bb.538:
	v_ashrrev_i32_e32 v115, 31, v114
	v_lshl_add_u64 v[116:117], v[114:115], 2, v[112:113]
	global_load_dword v115, v[116:117], off
	global_load_dword v118, v[112:113], off offset:100
	s_waitcnt vmcnt(1)
	global_store_dword v[112:113], v115, off offset:100
	s_waitcnt vmcnt(1)
	global_store_dword v[116:117], v118, off
.LBB50_539:
	s_or_b64 exec, exec, s[14:15]
	v_mov_b32_e32 v117, v114
	v_mov_b32_e32 v118, v114
.LBB50_540:
	s_or_b64 exec, exec, s[16:17]
	v_mov_b32_e32 v116, v117
.LBB50_541:
	s_or_b64 exec, exec, s[0:1]
	v_cmp_gt_i32_e32 vcc, 26, v116
	v_ashrrev_i32_e32 v117, 31, v116
	s_barrier
	s_barrier
	s_and_saveexec_b64 s[0:1], vcc
	s_cbranch_execz .LBB50_543
; %bb.542:
	v_mov_b32_e32 v112, s6
	v_mov_b32_e32 v113, s7
	v_mul_lo_u32 v120, s11, v110
	v_mul_lo_u32 v121, s10, v111
	v_mad_u64_u32 v[114:115], s[6:7], s10, v110, 0
	v_add3_u32 v115, v115, v121, v120
	v_lshl_add_u64 v[112:113], v[114:115], 2, v[112:113]
	v_lshl_add_u64 v[112:113], s[8:9], 2, v[112:113]
	;; [unrolled: 1-line block ×3, first 2 shown]
	v_add3_u32 v114, v118, s13, 1
	global_store_dword v[112:113], v114, off
.LBB50_543:
	s_or_b64 exec, exec, s[0:1]
	v_cmp_eq_u32_e32 vcc, 0, v116
	s_and_saveexec_b64 s[6:7], vcc
	s_cbranch_execz .LBB50_546
; %bb.544:
	v_mov_b32_e32 v112, s4
	v_mov_b32_e32 v113, s5
	v_lshl_add_u64 v[110:111], v[110:111], 2, v[112:113]
	global_load_dword v112, v[110:111], off
	v_cmp_ne_u32_e64 s[0:1], 0, v119
	s_waitcnt vmcnt(0)
	v_cmp_eq_u32_e32 vcc, 0, v112
	s_and_b64 s[0:1], vcc, s[0:1]
	s_and_b64 exec, exec, s[0:1]
	s_cbranch_execz .LBB50_546
; %bb.545:
	v_add_u32_e32 v112, s13, v119
	global_store_dword v[110:111], v112, off
.LBB50_546:
	s_or_b64 exec, exec, s[6:7]
	v_mul_f64 v[110:111], v[106:107], v[102:103]
	v_fma_f64 v[110:111], v[104:105], v[100:101], -v[110:111]
	v_mul_f64 v[104:105], v[104:105], v[102:103]
	v_fmac_f64_e32 v[104:105], v[106:107], v[100:101]
	v_cmp_lt_i32_e32 vcc, 25, v116
	s_nop 1
	v_cndmask_b32_e32 v103, v103, v105, vcc
	v_cndmask_b32_e32 v102, v102, v104, vcc
	v_lshl_add_u64 v[104:105], v[116:117], 4, v[108:109]
	global_store_dwordx4 v[104:105], v[72:75], off
	v_cndmask_b32_e32 v101, v101, v111, vcc
	v_cndmask_b32_e32 v100, v100, v110, vcc
	v_lshl_add_u64 v[72:73], s[2:3], 4, v[104:105]
	global_store_dwordx4 v[72:73], v[68:71], off
	s_nop 1
	v_add_u32_e32 v68, s12, v116
	v_ashrrev_i32_e32 v69, 31, v68
	v_lshl_add_u64 v[70:71], v[68:69], 4, v[108:109]
	v_add_u32_e32 v68, s2, v68
	v_ashrrev_i32_e32 v69, 31, v68
	global_store_dwordx4 v[70:71], v[96:99], off
	v_lshl_add_u64 v[70:71], v[68:69], 4, v[108:109]
	v_add_u32_e32 v68, s2, v68
	v_ashrrev_i32_e32 v69, 31, v68
	global_store_dwordx4 v[70:71], v[92:95], off
	;; [unrolled: 4-line block ×6, first 2 shown]
	v_lshl_add_u64 v[70:71], v[68:69], 4, v[108:109]
	global_store_dwordx4 v[70:71], v[64:67], off
	s_nop 1
	v_add_u32_e32 v64, s2, v68
	v_ashrrev_i32_e32 v65, 31, v64
	v_lshl_add_u64 v[66:67], v[64:65], 4, v[108:109]
	global_store_dwordx4 v[66:67], v[60:63], off
	s_nop 1
	v_add_u32_e32 v60, s2, v64
	v_ashrrev_i32_e32 v61, 31, v60
	;; [unrolled: 5-line block ×9, first 2 shown]
	v_lshl_add_u64 v[30:31], v[28:29], 4, v[108:109]
	v_add_u32_e32 v28, s2, v28
	v_ashrrev_i32_e32 v29, 31, v28
	global_store_dwordx4 v[30:31], v[32:35], off
	v_lshl_add_u64 v[30:31], v[28:29], 4, v[108:109]
	global_store_dwordx4 v[30:31], v[24:27], off
	s_nop 1
	v_add_u32_e32 v24, s2, v28
	v_ashrrev_i32_e32 v25, 31, v24
	v_lshl_add_u64 v[26:27], v[24:25], 4, v[108:109]
	global_store_dwordx4 v[26:27], v[20:23], off
	s_nop 1
	v_add_u32_e32 v20, s2, v24
	v_ashrrev_i32_e32 v21, 31, v20
	v_lshl_add_u64 v[22:23], v[20:21], 4, v[108:109]
	global_store_dwordx4 v[22:23], v[16:19], off
	s_nop 1
	v_add_u32_e32 v16, s2, v20
	v_ashrrev_i32_e32 v17, 31, v16
	v_lshl_add_u64 v[18:19], v[16:17], 4, v[108:109]
	global_store_dwordx4 v[18:19], v[12:15], off
	s_nop 1
	v_add_u32_e32 v12, s2, v16
	v_ashrrev_i32_e32 v13, 31, v12
	v_lshl_add_u64 v[14:15], v[12:13], 4, v[108:109]
	global_store_dwordx4 v[14:15], v[8:11], off
	s_nop 1
	v_add_u32_e32 v8, s2, v12
	v_ashrrev_i32_e32 v9, 31, v8
	v_lshl_add_u64 v[10:11], v[8:9], 4, v[108:109]
	global_store_dwordx4 v[10:11], v[4:7], off
	s_nop 1
	v_add_u32_e32 v4, s2, v8
	v_ashrrev_i32_e32 v5, 31, v4
	v_lshl_add_u64 v[6:7], v[4:5], 4, v[108:109]
	global_store_dwordx4 v[6:7], v[0:3], off
	s_nop 1
	v_add_u32_e32 v0, s2, v4
	v_ashrrev_i32_e32 v1, 31, v0
	v_lshl_add_u64 v[0:1], v[0:1], 4, v[108:109]
	global_store_dwordx4 v[0:1], v[100:103], off
.LBB50_547:
	s_endpgm
	.section	.rodata,"a",@progbits
	.p2align	6, 0x0
	.amdhsa_kernel _ZN9rocsolver6v33100L18getf2_small_kernelILi26E19rocblas_complex_numIdEiiPS3_EEvT1_T3_lS5_lPS5_llPT2_S5_S5_S7_l
		.amdhsa_group_segment_fixed_size 0
		.amdhsa_private_segment_fixed_size 0
		.amdhsa_kernarg_size 352
		.amdhsa_user_sgpr_count 2
		.amdhsa_user_sgpr_dispatch_ptr 0
		.amdhsa_user_sgpr_queue_ptr 0
		.amdhsa_user_sgpr_kernarg_segment_ptr 1
		.amdhsa_user_sgpr_dispatch_id 0
		.amdhsa_user_sgpr_kernarg_preload_length 0
		.amdhsa_user_sgpr_kernarg_preload_offset 0
		.amdhsa_user_sgpr_private_segment_size 0
		.amdhsa_uses_dynamic_stack 0
		.amdhsa_enable_private_segment 0
		.amdhsa_system_sgpr_workgroup_id_x 1
		.amdhsa_system_sgpr_workgroup_id_y 1
		.amdhsa_system_sgpr_workgroup_id_z 0
		.amdhsa_system_sgpr_workgroup_info 0
		.amdhsa_system_vgpr_workitem_id 1
		.amdhsa_next_free_vgpr 133
		.amdhsa_next_free_sgpr 24
		.amdhsa_accum_offset 136
		.amdhsa_reserve_vcc 1
		.amdhsa_float_round_mode_32 0
		.amdhsa_float_round_mode_16_64 0
		.amdhsa_float_denorm_mode_32 3
		.amdhsa_float_denorm_mode_16_64 3
		.amdhsa_dx10_clamp 1
		.amdhsa_ieee_mode 1
		.amdhsa_fp16_overflow 0
		.amdhsa_tg_split 0
		.amdhsa_exception_fp_ieee_invalid_op 0
		.amdhsa_exception_fp_denorm_src 0
		.amdhsa_exception_fp_ieee_div_zero 0
		.amdhsa_exception_fp_ieee_overflow 0
		.amdhsa_exception_fp_ieee_underflow 0
		.amdhsa_exception_fp_ieee_inexact 0
		.amdhsa_exception_int_div_zero 0
	.end_amdhsa_kernel
	.section	.text._ZN9rocsolver6v33100L18getf2_small_kernelILi26E19rocblas_complex_numIdEiiPS3_EEvT1_T3_lS5_lPS5_llPT2_S5_S5_S7_l,"axG",@progbits,_ZN9rocsolver6v33100L18getf2_small_kernelILi26E19rocblas_complex_numIdEiiPS3_EEvT1_T3_lS5_lPS5_llPT2_S5_S5_S7_l,comdat
.Lfunc_end50:
	.size	_ZN9rocsolver6v33100L18getf2_small_kernelILi26E19rocblas_complex_numIdEiiPS3_EEvT1_T3_lS5_lPS5_llPT2_S5_S5_S7_l, .Lfunc_end50-_ZN9rocsolver6v33100L18getf2_small_kernelILi26E19rocblas_complex_numIdEiiPS3_EEvT1_T3_lS5_lPS5_llPT2_S5_S5_S7_l
                                        ; -- End function
	.set _ZN9rocsolver6v33100L18getf2_small_kernelILi26E19rocblas_complex_numIdEiiPS3_EEvT1_T3_lS5_lPS5_llPT2_S5_S5_S7_l.num_vgpr, 133
	.set _ZN9rocsolver6v33100L18getf2_small_kernelILi26E19rocblas_complex_numIdEiiPS3_EEvT1_T3_lS5_lPS5_llPT2_S5_S5_S7_l.num_agpr, 0
	.set _ZN9rocsolver6v33100L18getf2_small_kernelILi26E19rocblas_complex_numIdEiiPS3_EEvT1_T3_lS5_lPS5_llPT2_S5_S5_S7_l.numbered_sgpr, 24
	.set _ZN9rocsolver6v33100L18getf2_small_kernelILi26E19rocblas_complex_numIdEiiPS3_EEvT1_T3_lS5_lPS5_llPT2_S5_S5_S7_l.num_named_barrier, 0
	.set _ZN9rocsolver6v33100L18getf2_small_kernelILi26E19rocblas_complex_numIdEiiPS3_EEvT1_T3_lS5_lPS5_llPT2_S5_S5_S7_l.private_seg_size, 0
	.set _ZN9rocsolver6v33100L18getf2_small_kernelILi26E19rocblas_complex_numIdEiiPS3_EEvT1_T3_lS5_lPS5_llPT2_S5_S5_S7_l.uses_vcc, 1
	.set _ZN9rocsolver6v33100L18getf2_small_kernelILi26E19rocblas_complex_numIdEiiPS3_EEvT1_T3_lS5_lPS5_llPT2_S5_S5_S7_l.uses_flat_scratch, 0
	.set _ZN9rocsolver6v33100L18getf2_small_kernelILi26E19rocblas_complex_numIdEiiPS3_EEvT1_T3_lS5_lPS5_llPT2_S5_S5_S7_l.has_dyn_sized_stack, 0
	.set _ZN9rocsolver6v33100L18getf2_small_kernelILi26E19rocblas_complex_numIdEiiPS3_EEvT1_T3_lS5_lPS5_llPT2_S5_S5_S7_l.has_recursion, 0
	.set _ZN9rocsolver6v33100L18getf2_small_kernelILi26E19rocblas_complex_numIdEiiPS3_EEvT1_T3_lS5_lPS5_llPT2_S5_S5_S7_l.has_indirect_call, 0
	.section	.AMDGPU.csdata,"",@progbits
; Kernel info:
; codeLenInByte = 47584
; TotalNumSgprs: 30
; NumVgprs: 133
; NumAgprs: 0
; TotalNumVgprs: 133
; ScratchSize: 0
; MemoryBound: 0
; FloatMode: 240
; IeeeMode: 1
; LDSByteSize: 0 bytes/workgroup (compile time only)
; SGPRBlocks: 3
; VGPRBlocks: 16
; NumSGPRsForWavesPerEU: 30
; NumVGPRsForWavesPerEU: 133
; AccumOffset: 136
; Occupancy: 3
; WaveLimiterHint : 0
; COMPUTE_PGM_RSRC2:SCRATCH_EN: 0
; COMPUTE_PGM_RSRC2:USER_SGPR: 2
; COMPUTE_PGM_RSRC2:TRAP_HANDLER: 0
; COMPUTE_PGM_RSRC2:TGID_X_EN: 1
; COMPUTE_PGM_RSRC2:TGID_Y_EN: 1
; COMPUTE_PGM_RSRC2:TGID_Z_EN: 0
; COMPUTE_PGM_RSRC2:TIDIG_COMP_CNT: 1
; COMPUTE_PGM_RSRC3_GFX90A:ACCUM_OFFSET: 33
; COMPUTE_PGM_RSRC3_GFX90A:TG_SPLIT: 0
	.section	.text._ZN9rocsolver6v33100L23getf2_npvt_small_kernelILi26E19rocblas_complex_numIdEiiPS3_EEvT1_T3_lS5_lPT2_S5_S5_,"axG",@progbits,_ZN9rocsolver6v33100L23getf2_npvt_small_kernelILi26E19rocblas_complex_numIdEiiPS3_EEvT1_T3_lS5_lPT2_S5_S5_,comdat
	.globl	_ZN9rocsolver6v33100L23getf2_npvt_small_kernelILi26E19rocblas_complex_numIdEiiPS3_EEvT1_T3_lS5_lPT2_S5_S5_ ; -- Begin function _ZN9rocsolver6v33100L23getf2_npvt_small_kernelILi26E19rocblas_complex_numIdEiiPS3_EEvT1_T3_lS5_lPT2_S5_S5_
	.p2align	8
	.type	_ZN9rocsolver6v33100L23getf2_npvt_small_kernelILi26E19rocblas_complex_numIdEiiPS3_EEvT1_T3_lS5_lPT2_S5_S5_,@function
_ZN9rocsolver6v33100L23getf2_npvt_small_kernelILi26E19rocblas_complex_numIdEiiPS3_EEvT1_T3_lS5_lPT2_S5_S5_: ; @_ZN9rocsolver6v33100L23getf2_npvt_small_kernelILi26E19rocblas_complex_numIdEiiPS3_EEvT1_T3_lS5_lPT2_S5_S5_
; %bb.0:
	s_load_dword s2, s[0:1], 0x44
	s_load_dwordx2 s[8:9], s[0:1], 0x30
	v_bfe_u32 v104, v0, 10, 10
	s_waitcnt lgkmcnt(0)
	s_lshr_b32 s10, s2, 16
	s_mul_i32 s3, s3, s10
	v_add_u32_e32 v230, s3, v104
	v_cmp_gt_i32_e32 vcc, s8, v230
	s_and_saveexec_b64 s[2:3], vcc
	s_cbranch_execz .LBB51_237
; %bb.1:
	s_load_dwordx4 s[12:15], s[0:1], 0x8
	s_load_dword s2, s[0:1], 0x18
	s_load_dwordx4 s[4:7], s[0:1], 0x20
	v_ashrrev_i32_e32 v231, 31, v230
	v_and_b32_e32 v216, 0x3ff, v0
	s_waitcnt lgkmcnt(0)
	v_mov_b32_e32 v2, s12
	v_mov_b32_e32 v3, s13
	v_mul_lo_u32 v4, s5, v230
	v_mul_lo_u32 v5, s4, v231
	v_mad_u64_u32 v[0:1], s[0:1], s4, v230, 0
	v_add3_u32 v1, v1, v5, v4
	v_lshl_add_u64 v[0:1], v[0:1], 4, v[2:3]
	v_lshl_add_u64 v[0:1], s[14:15], 4, v[0:1]
	v_lshlrev_b32_e32 v2, 4, v216
	v_mov_b32_e32 v3, 0
	s_add_i32 s0, s2, s2
	v_lshl_add_u64 v[208:209], v[0:1], 0, v[2:3]
	v_add_u32_e32 v2, s0, v216
	v_ashrrev_i32_e32 v3, 31, v2
	v_lshl_add_u64 v[10:11], v[2:3], 4, v[0:1]
	v_add_u32_e32 v2, s2, v2
	v_ashrrev_i32_e32 v3, 31, v2
	;; [unrolled: 3-line block ×17, first 2 shown]
	v_lshl_add_u64 v[214:215], v[2:3], 4, v[0:1]
	v_add_u32_e32 v2, s2, v2
	s_ashr_i32 s3, s2, 31
	v_ashrrev_i32_e32 v3, 31, v2
	v_lshl_add_u64 v[8:9], s[2:3], 4, v[208:209]
	v_lshl_add_u64 v[220:221], v[2:3], 4, v[0:1]
	v_add_u32_e32 v2, s2, v2
	v_ashrrev_i32_e32 v3, 31, v2
	scratch_store_dwordx2 off, v[8:9], off offset:48 ; 8-byte Folded Spill
	scratch_store_dwordx2 off, v[10:11], off offset:40 ; 8-byte Folded Spill
	v_lshl_add_u64 v[222:223], v[2:3], 4, v[0:1]
	global_load_dwordx4 v[96:99], v[208:209], off
	global_load_dwordx4 v[92:95], v[8:9], off
	;; [unrolled: 1-line block ×21, first 2 shown]
	v_add_u32_e32 v2, s2, v2
	v_ashrrev_i32_e32 v3, 31, v2
	v_lshl_add_u64 v[4:5], v[2:3], 4, v[0:1]
	v_add_u32_e32 v2, s2, v2
	v_ashrrev_i32_e32 v3, 31, v2
	v_lshl_add_u64 v[6:7], v[2:3], 4, v[0:1]
	;; [unrolled: 3-line block ×5, first 2 shown]
	scratch_store_dwordx2 off, v[4:5], off  ; 8-byte Folded Spill
	global_load_dwordx4 v[12:15], v[4:5], off
	global_load_dwordx4 v[8:11], v[6:7], off
	;; [unrolled: 1-line block ×3, first 2 shown]
	s_mulk_i32 s10, 0x1a0
	scratch_store_dwordx2 off, v[6:7], off offset:8 ; 8-byte Folded Spill
	scratch_store_dwordx2 off, v[100:101], off offset:16 ; 8-byte Folded Spill
	global_load_dwordx4 v[4:7], v[100:101], off
	s_movk_i32 s0, 0x1a0
	scratch_store_dwordx2 off, v[102:103], off offset:24 ; 8-byte Folded Spill
	global_load_dwordx4 v[100:103], v[106:107], off
	s_add_i32 s1, s10, 0
	v_mad_u32_u24 v218, v104, s0, 0
	v_lshl_add_u32 v217, v104, 4, s1
	v_cmp_ne_u32_e64 s[2:3], 0, v216
	v_cmp_eq_u32_e64 s[0:1], 0, v216
	scratch_store_dwordx2 off, v[106:107], off offset:32 ; 8-byte Folded Spill
	s_and_saveexec_b64 s[10:11], s[0:1]
	s_cbranch_execz .LBB51_8
; %bb.2:
	s_waitcnt vmcnt(30)
	ds_write2_b64 v217, v[96:97], v[98:99] offset1:1
	s_waitcnt vmcnt(29)
	ds_write2_b64 v218, v[92:93], v[94:95] offset0:2 offset1:3
	s_waitcnt vmcnt(28)
	ds_write2_b64 v218, v[88:89], v[90:91] offset0:4 offset1:5
	;; [unrolled: 2-line block ×23, first 2 shown]
	ds_write2_b64 v218, v[0:1], v[2:3] offset0:48 offset1:49
	s_waitcnt vmcnt(1)
	ds_write2_b64 v218, v[100:101], v[102:103] offset0:50 offset1:51
	ds_read2_b64 v[104:107], v217 offset1:1
	s_waitcnt lgkmcnt(0)
	v_cmp_neq_f64_e32 vcc, 0, v[104:105]
	v_cmp_neq_f64_e64 s[4:5], 0, v[106:107]
	s_or_b64 s[4:5], vcc, s[4:5]
	s_and_b64 exec, exec, s[4:5]
	s_cbranch_execz .LBB51_8
; %bb.3:
	v_cmp_ngt_f64_e64 s[4:5], |v[104:105]|, |v[106:107]|
                                        ; implicit-def: $vgpr108_vgpr109
	s_and_saveexec_b64 s[12:13], s[4:5]
	s_xor_b64 s[4:5], exec, s[12:13]
                                        ; implicit-def: $vgpr110_vgpr111
	s_cbranch_execz .LBB51_5
; %bb.4:
	v_div_scale_f64 v[108:109], s[12:13], v[106:107], v[106:107], v[104:105]
	v_rcp_f64_e32 v[110:111], v[108:109]
	v_div_scale_f64 v[112:113], vcc, v[104:105], v[106:107], v[104:105]
	v_fma_f64 v[114:115], -v[108:109], v[110:111], 1.0
	v_fmac_f64_e32 v[110:111], v[110:111], v[114:115]
	v_fma_f64 v[114:115], -v[108:109], v[110:111], 1.0
	v_fmac_f64_e32 v[110:111], v[110:111], v[114:115]
	v_mul_f64 v[114:115], v[112:113], v[110:111]
	v_fma_f64 v[108:109], -v[108:109], v[114:115], v[112:113]
	v_div_fmas_f64 v[108:109], v[108:109], v[110:111], v[114:115]
	v_div_fixup_f64 v[108:109], v[108:109], v[106:107], v[104:105]
	v_fmac_f64_e32 v[106:107], v[104:105], v[108:109]
	v_div_scale_f64 v[104:105], s[12:13], v[106:107], v[106:107], 1.0
	v_rcp_f64_e32 v[110:111], v[104:105]
	s_nop 0
	v_fma_f64 v[112:113], -v[104:105], v[110:111], 1.0
	v_fmac_f64_e32 v[110:111], v[110:111], v[112:113]
	v_fma_f64 v[112:113], -v[104:105], v[110:111], 1.0
	v_fmac_f64_e32 v[110:111], v[110:111], v[112:113]
	v_div_scale_f64 v[112:113], vcc, 1.0, v[106:107], 1.0
	v_mul_f64 v[114:115], v[112:113], v[110:111]
	v_fma_f64 v[104:105], -v[104:105], v[114:115], v[112:113]
	s_nop 1
	v_div_fmas_f64 v[104:105], v[104:105], v[110:111], v[114:115]
	v_div_fixup_f64 v[110:111], v[104:105], v[106:107], 1.0
	v_mul_f64 v[108:109], v[108:109], v[110:111]
	v_xor_b32_e32 v111, 0x80000000, v111
                                        ; implicit-def: $vgpr104_vgpr105
.LBB51_5:
	s_andn2_saveexec_b64 s[4:5], s[4:5]
	s_cbranch_execz .LBB51_7
; %bb.6:
	v_div_scale_f64 v[108:109], s[12:13], v[104:105], v[104:105], v[106:107]
	v_rcp_f64_e32 v[110:111], v[108:109]
	v_div_scale_f64 v[112:113], vcc, v[106:107], v[104:105], v[106:107]
	v_fma_f64 v[114:115], -v[108:109], v[110:111], 1.0
	v_fmac_f64_e32 v[110:111], v[110:111], v[114:115]
	v_fma_f64 v[114:115], -v[108:109], v[110:111], 1.0
	v_fmac_f64_e32 v[110:111], v[110:111], v[114:115]
	v_mul_f64 v[114:115], v[112:113], v[110:111]
	v_fma_f64 v[108:109], -v[108:109], v[114:115], v[112:113]
	v_div_fmas_f64 v[108:109], v[108:109], v[110:111], v[114:115]
	v_div_fixup_f64 v[110:111], v[108:109], v[104:105], v[106:107]
	v_fmac_f64_e32 v[104:105], v[106:107], v[110:111]
	v_div_scale_f64 v[106:107], s[12:13], v[104:105], v[104:105], 1.0
	v_rcp_f64_e32 v[108:109], v[106:107]
	s_nop 0
	v_fma_f64 v[112:113], -v[106:107], v[108:109], 1.0
	v_fmac_f64_e32 v[108:109], v[108:109], v[112:113]
	v_fma_f64 v[112:113], -v[106:107], v[108:109], 1.0
	v_fmac_f64_e32 v[108:109], v[108:109], v[112:113]
	v_div_scale_f64 v[112:113], vcc, 1.0, v[104:105], 1.0
	v_mul_f64 v[114:115], v[112:113], v[108:109]
	v_fma_f64 v[106:107], -v[106:107], v[114:115], v[112:113]
	s_nop 1
	v_div_fmas_f64 v[106:107], v[106:107], v[108:109], v[114:115]
	v_div_fixup_f64 v[108:109], v[106:107], v[104:105], 1.0
	v_mul_f64 v[110:111], v[110:111], -v[108:109]
.LBB51_7:
	s_or_b64 exec, exec, s[4:5]
	ds_write2_b64 v217, v[108:109], v[110:111] offset1:1
.LBB51_8:
	s_or_b64 exec, exec, s[10:11]
	s_waitcnt lgkmcnt(0)
	s_barrier
	ds_read2_b64 v[104:107], v217 offset1:1
	s_and_saveexec_b64 s[4:5], s[2:3]
	s_cbranch_execz .LBB51_10
; %bb.9:
	ds_read2_b64 v[110:113], v218 offset0:2 offset1:3
	ds_read2_b64 v[114:117], v218 offset0:4 offset1:5
	s_waitcnt vmcnt(30) lgkmcnt(2)
	v_mul_f64 v[108:109], v[106:107], v[98:99]
	v_mul_f64 v[98:99], v[104:105], v[98:99]
	v_fmac_f64_e32 v[98:99], v[106:107], v[96:97]
	v_fma_f64 v[108:109], v[104:105], v[96:97], -v[108:109]
	s_waitcnt lgkmcnt(1)
	v_mul_f64 v[96:97], v[112:113], v[98:99]
	v_fma_f64 v[96:97], v[110:111], v[108:109], -v[96:97]
	v_mul_f64 v[110:111], v[110:111], v[98:99]
	v_fmac_f64_e32 v[110:111], v[112:113], v[108:109]
	s_waitcnt vmcnt(29)
	v_add_f64 v[94:95], v[94:95], -v[110:111]
	ds_read2_b64 v[110:113], v218 offset0:6 offset1:7
	v_add_f64 v[92:93], v[92:93], -v[96:97]
	s_waitcnt lgkmcnt(1)
	v_mul_f64 v[96:97], v[116:117], v[98:99]
	v_fma_f64 v[96:97], v[114:115], v[108:109], -v[96:97]
	v_mul_f64 v[114:115], v[114:115], v[98:99]
	v_fmac_f64_e32 v[114:115], v[116:117], v[108:109]
	s_waitcnt vmcnt(28)
	v_add_f64 v[88:89], v[88:89], -v[96:97]
	v_add_f64 v[90:91], v[90:91], -v[114:115]
	ds_read2_b64 v[114:117], v218 offset0:8 offset1:9
	s_waitcnt lgkmcnt(1)
	v_mul_f64 v[96:97], v[112:113], v[98:99]
	v_fma_f64 v[96:97], v[110:111], v[108:109], -v[96:97]
	v_mul_f64 v[110:111], v[110:111], v[98:99]
	v_fmac_f64_e32 v[110:111], v[112:113], v[108:109]
	s_waitcnt vmcnt(27)
	v_add_f64 v[86:87], v[86:87], -v[110:111]
	ds_read2_b64 v[110:113], v218 offset0:10 offset1:11
	v_add_f64 v[84:85], v[84:85], -v[96:97]
	s_waitcnt lgkmcnt(1)
	v_mul_f64 v[96:97], v[116:117], v[98:99]
	v_fma_f64 v[96:97], v[114:115], v[108:109], -v[96:97]
	v_mul_f64 v[114:115], v[114:115], v[98:99]
	v_fmac_f64_e32 v[114:115], v[116:117], v[108:109]
	s_waitcnt vmcnt(26)
	v_add_f64 v[80:81], v[80:81], -v[96:97]
	v_add_f64 v[82:83], v[82:83], -v[114:115]
	ds_read2_b64 v[114:117], v218 offset0:12 offset1:13
	;; [unrolled: 18-line block ×11, first 2 shown]
	s_waitcnt lgkmcnt(1)
	v_mul_f64 v[96:97], v[112:113], v[98:99]
	v_fma_f64 v[96:97], v[110:111], v[108:109], -v[96:97]
	v_mul_f64 v[110:111], v[110:111], v[98:99]
	v_fmac_f64_e32 v[110:111], v[112:113], v[108:109]
	s_waitcnt vmcnt(3)
	v_add_f64 v[6:7], v[6:7], -v[110:111]
	ds_read2_b64 v[110:113], v218 offset0:50 offset1:51
	v_add_f64 v[4:5], v[4:5], -v[96:97]
	s_waitcnt lgkmcnt(1)
	v_mul_f64 v[96:97], v[116:117], v[98:99]
	v_fma_f64 v[96:97], v[114:115], v[108:109], -v[96:97]
	v_add_f64 v[0:1], v[0:1], -v[96:97]
	s_waitcnt lgkmcnt(0)
	v_mul_f64 v[96:97], v[112:113], v[98:99]
	v_mul_f64 v[114:115], v[114:115], v[98:99]
	v_fma_f64 v[96:97], v[110:111], v[108:109], -v[96:97]
	v_mul_f64 v[110:111], v[110:111], v[98:99]
	v_fmac_f64_e32 v[114:115], v[116:117], v[108:109]
	v_fmac_f64_e32 v[110:111], v[112:113], v[108:109]
	v_add_f64 v[2:3], v[2:3], -v[114:115]
	s_waitcnt vmcnt(1)
	v_add_f64 v[100:101], v[100:101], -v[96:97]
	v_add_f64 v[102:103], v[102:103], -v[110:111]
	v_mov_b64_e32 v[96:97], v[108:109]
.LBB51_10:
	s_or_b64 exec, exec, s[4:5]
	v_cmp_eq_u32_e32 vcc, 1, v216
	s_waitcnt lgkmcnt(0)
	s_barrier
	s_and_saveexec_b64 s[4:5], vcc
	s_cbranch_execz .LBB51_17
; %bb.11:
	s_waitcnt vmcnt(29)
	ds_write2_b64 v217, v[92:93], v[94:95] offset1:1
	s_waitcnt vmcnt(28)
	ds_write2_b64 v218, v[88:89], v[90:91] offset0:4 offset1:5
	s_waitcnt vmcnt(27)
	ds_write2_b64 v218, v[84:85], v[86:87] offset0:6 offset1:7
	;; [unrolled: 2-line block ×22, first 2 shown]
	ds_write2_b64 v218, v[0:1], v[2:3] offset0:48 offset1:49
	s_waitcnt vmcnt(1)
	ds_write2_b64 v218, v[100:101], v[102:103] offset0:50 offset1:51
	ds_read2_b64 v[108:111], v217 offset1:1
	s_waitcnt lgkmcnt(0)
	v_cmp_neq_f64_e32 vcc, 0, v[108:109]
	v_cmp_neq_f64_e64 s[2:3], 0, v[110:111]
	s_or_b64 s[2:3], vcc, s[2:3]
	s_and_b64 exec, exec, s[2:3]
	s_cbranch_execz .LBB51_17
; %bb.12:
	v_cmp_ngt_f64_e64 s[2:3], |v[108:109]|, |v[110:111]|
                                        ; implicit-def: $vgpr112_vgpr113
	s_and_saveexec_b64 s[10:11], s[2:3]
	s_xor_b64 s[2:3], exec, s[10:11]
                                        ; implicit-def: $vgpr114_vgpr115
	s_cbranch_execz .LBB51_14
; %bb.13:
	v_div_scale_f64 v[112:113], s[10:11], v[110:111], v[110:111], v[108:109]
	v_rcp_f64_e32 v[114:115], v[112:113]
	v_div_scale_f64 v[116:117], vcc, v[108:109], v[110:111], v[108:109]
	v_fma_f64 v[118:119], -v[112:113], v[114:115], 1.0
	v_fmac_f64_e32 v[114:115], v[114:115], v[118:119]
	v_fma_f64 v[118:119], -v[112:113], v[114:115], 1.0
	v_fmac_f64_e32 v[114:115], v[114:115], v[118:119]
	v_mul_f64 v[118:119], v[116:117], v[114:115]
	v_fma_f64 v[112:113], -v[112:113], v[118:119], v[116:117]
	v_div_fmas_f64 v[112:113], v[112:113], v[114:115], v[118:119]
	v_div_fixup_f64 v[112:113], v[112:113], v[110:111], v[108:109]
	v_fmac_f64_e32 v[110:111], v[108:109], v[112:113]
	v_div_scale_f64 v[108:109], s[10:11], v[110:111], v[110:111], 1.0
	v_rcp_f64_e32 v[114:115], v[108:109]
	s_nop 0
	v_fma_f64 v[116:117], -v[108:109], v[114:115], 1.0
	v_fmac_f64_e32 v[114:115], v[114:115], v[116:117]
	v_fma_f64 v[116:117], -v[108:109], v[114:115], 1.0
	v_fmac_f64_e32 v[114:115], v[114:115], v[116:117]
	v_div_scale_f64 v[116:117], vcc, 1.0, v[110:111], 1.0
	v_mul_f64 v[118:119], v[116:117], v[114:115]
	v_fma_f64 v[108:109], -v[108:109], v[118:119], v[116:117]
	s_nop 1
	v_div_fmas_f64 v[108:109], v[108:109], v[114:115], v[118:119]
	v_div_fixup_f64 v[114:115], v[108:109], v[110:111], 1.0
	v_mul_f64 v[112:113], v[112:113], v[114:115]
	v_xor_b32_e32 v115, 0x80000000, v115
                                        ; implicit-def: $vgpr108_vgpr109
.LBB51_14:
	s_andn2_saveexec_b64 s[2:3], s[2:3]
	s_cbranch_execz .LBB51_16
; %bb.15:
	v_div_scale_f64 v[112:113], s[10:11], v[108:109], v[108:109], v[110:111]
	v_rcp_f64_e32 v[114:115], v[112:113]
	v_div_scale_f64 v[116:117], vcc, v[110:111], v[108:109], v[110:111]
	v_fma_f64 v[118:119], -v[112:113], v[114:115], 1.0
	v_fmac_f64_e32 v[114:115], v[114:115], v[118:119]
	v_fma_f64 v[118:119], -v[112:113], v[114:115], 1.0
	v_fmac_f64_e32 v[114:115], v[114:115], v[118:119]
	v_mul_f64 v[118:119], v[116:117], v[114:115]
	v_fma_f64 v[112:113], -v[112:113], v[118:119], v[116:117]
	v_div_fmas_f64 v[112:113], v[112:113], v[114:115], v[118:119]
	v_div_fixup_f64 v[114:115], v[112:113], v[108:109], v[110:111]
	v_fmac_f64_e32 v[108:109], v[110:111], v[114:115]
	v_div_scale_f64 v[110:111], s[10:11], v[108:109], v[108:109], 1.0
	v_rcp_f64_e32 v[112:113], v[110:111]
	s_nop 0
	v_fma_f64 v[116:117], -v[110:111], v[112:113], 1.0
	v_fmac_f64_e32 v[112:113], v[112:113], v[116:117]
	v_fma_f64 v[116:117], -v[110:111], v[112:113], 1.0
	v_fmac_f64_e32 v[112:113], v[112:113], v[116:117]
	v_div_scale_f64 v[116:117], vcc, 1.0, v[108:109], 1.0
	v_mul_f64 v[118:119], v[116:117], v[112:113]
	v_fma_f64 v[110:111], -v[110:111], v[118:119], v[116:117]
	s_nop 1
	v_div_fmas_f64 v[110:111], v[110:111], v[112:113], v[118:119]
	v_div_fixup_f64 v[112:113], v[110:111], v[108:109], 1.0
	v_mul_f64 v[114:115], v[114:115], -v[112:113]
.LBB51_16:
	s_or_b64 exec, exec, s[2:3]
	ds_write2_b64 v217, v[112:113], v[114:115] offset1:1
.LBB51_17:
	s_or_b64 exec, exec, s[4:5]
	s_waitcnt lgkmcnt(0)
	s_barrier
	ds_read2_b64 v[108:111], v217 offset1:1
	v_cmp_lt_u32_e32 vcc, 1, v216
	s_and_saveexec_b64 s[2:3], vcc
	s_cbranch_execz .LBB51_19
; %bb.18:
	ds_read2_b64 v[114:117], v218 offset0:4 offset1:5
	ds_read2_b64 v[118:121], v218 offset0:6 offset1:7
	s_waitcnt vmcnt(29) lgkmcnt(2)
	v_mul_f64 v[112:113], v[110:111], v[94:95]
	v_mul_f64 v[94:95], v[108:109], v[94:95]
	v_fmac_f64_e32 v[94:95], v[110:111], v[92:93]
	v_fma_f64 v[112:113], v[108:109], v[92:93], -v[112:113]
	s_waitcnt lgkmcnt(1)
	v_mul_f64 v[92:93], v[116:117], v[94:95]
	v_fma_f64 v[92:93], v[114:115], v[112:113], -v[92:93]
	v_mul_f64 v[114:115], v[114:115], v[94:95]
	v_fmac_f64_e32 v[114:115], v[116:117], v[112:113]
	s_waitcnt vmcnt(28)
	v_add_f64 v[88:89], v[88:89], -v[92:93]
	v_add_f64 v[90:91], v[90:91], -v[114:115]
	s_waitcnt lgkmcnt(0)
	v_mul_f64 v[92:93], v[120:121], v[94:95]
	ds_read2_b64 v[114:117], v218 offset0:8 offset1:9
	v_fma_f64 v[92:93], v[118:119], v[112:113], -v[92:93]
	v_mul_f64 v[118:119], v[118:119], v[94:95]
	v_fmac_f64_e32 v[118:119], v[120:121], v[112:113]
	s_waitcnt vmcnt(27)
	v_add_f64 v[86:87], v[86:87], -v[118:119]
	ds_read2_b64 v[118:121], v218 offset0:10 offset1:11
	v_add_f64 v[84:85], v[84:85], -v[92:93]
	s_waitcnt lgkmcnt(1)
	v_mul_f64 v[92:93], v[116:117], v[94:95]
	v_fma_f64 v[92:93], v[114:115], v[112:113], -v[92:93]
	v_mul_f64 v[114:115], v[114:115], v[94:95]
	v_fmac_f64_e32 v[114:115], v[116:117], v[112:113]
	s_waitcnt vmcnt(26)
	v_add_f64 v[80:81], v[80:81], -v[92:93]
	v_add_f64 v[82:83], v[82:83], -v[114:115]
	s_waitcnt lgkmcnt(0)
	v_mul_f64 v[92:93], v[120:121], v[94:95]
	ds_read2_b64 v[114:117], v218 offset0:12 offset1:13
	v_fma_f64 v[92:93], v[118:119], v[112:113], -v[92:93]
	v_mul_f64 v[118:119], v[118:119], v[94:95]
	v_fmac_f64_e32 v[118:119], v[120:121], v[112:113]
	s_waitcnt vmcnt(25)
	v_add_f64 v[78:79], v[78:79], -v[118:119]
	ds_read2_b64 v[118:121], v218 offset0:14 offset1:15
	v_add_f64 v[76:77], v[76:77], -v[92:93]
	;; [unrolled: 18-line block ×11, first 2 shown]
	s_waitcnt lgkmcnt(1)
	v_mul_f64 v[92:93], v[116:117], v[94:95]
	v_fma_f64 v[92:93], v[114:115], v[112:113], -v[92:93]
	v_mul_f64 v[114:115], v[114:115], v[94:95]
	v_fmac_f64_e32 v[114:115], v[116:117], v[112:113]
	v_add_f64 v[0:1], v[0:1], -v[92:93]
	v_add_f64 v[2:3], v[2:3], -v[114:115]
	s_waitcnt lgkmcnt(0)
	v_mul_f64 v[92:93], v[120:121], v[94:95]
	v_mul_f64 v[114:115], v[118:119], v[94:95]
	v_fma_f64 v[92:93], v[118:119], v[112:113], -v[92:93]
	v_fmac_f64_e32 v[114:115], v[120:121], v[112:113]
	s_waitcnt vmcnt(1)
	v_add_f64 v[100:101], v[100:101], -v[92:93]
	v_add_f64 v[102:103], v[102:103], -v[114:115]
	v_mov_b64_e32 v[92:93], v[112:113]
.LBB51_19:
	s_or_b64 exec, exec, s[2:3]
	v_cmp_eq_u32_e32 vcc, 2, v216
	s_waitcnt lgkmcnt(0)
	s_barrier
	s_and_saveexec_b64 s[4:5], vcc
	s_cbranch_execz .LBB51_26
; %bb.20:
	s_waitcnt vmcnt(28)
	ds_write2_b64 v217, v[88:89], v[90:91] offset1:1
	s_waitcnt vmcnt(27)
	ds_write2_b64 v218, v[84:85], v[86:87] offset0:6 offset1:7
	s_waitcnt vmcnt(26)
	ds_write2_b64 v218, v[80:81], v[82:83] offset0:8 offset1:9
	;; [unrolled: 2-line block ×21, first 2 shown]
	ds_write2_b64 v218, v[0:1], v[2:3] offset0:48 offset1:49
	s_waitcnt vmcnt(1)
	ds_write2_b64 v218, v[100:101], v[102:103] offset0:50 offset1:51
	ds_read2_b64 v[112:115], v217 offset1:1
	s_waitcnt lgkmcnt(0)
	v_cmp_neq_f64_e32 vcc, 0, v[112:113]
	v_cmp_neq_f64_e64 s[2:3], 0, v[114:115]
	s_or_b64 s[2:3], vcc, s[2:3]
	s_and_b64 exec, exec, s[2:3]
	s_cbranch_execz .LBB51_26
; %bb.21:
	v_cmp_ngt_f64_e64 s[2:3], |v[112:113]|, |v[114:115]|
                                        ; implicit-def: $vgpr116_vgpr117
	s_and_saveexec_b64 s[10:11], s[2:3]
	s_xor_b64 s[2:3], exec, s[10:11]
                                        ; implicit-def: $vgpr118_vgpr119
	s_cbranch_execz .LBB51_23
; %bb.22:
	v_div_scale_f64 v[116:117], s[10:11], v[114:115], v[114:115], v[112:113]
	v_rcp_f64_e32 v[118:119], v[116:117]
	v_div_scale_f64 v[120:121], vcc, v[112:113], v[114:115], v[112:113]
	v_fma_f64 v[122:123], -v[116:117], v[118:119], 1.0
	v_fmac_f64_e32 v[118:119], v[118:119], v[122:123]
	v_fma_f64 v[122:123], -v[116:117], v[118:119], 1.0
	v_fmac_f64_e32 v[118:119], v[118:119], v[122:123]
	v_mul_f64 v[122:123], v[120:121], v[118:119]
	v_fma_f64 v[116:117], -v[116:117], v[122:123], v[120:121]
	v_div_fmas_f64 v[116:117], v[116:117], v[118:119], v[122:123]
	v_div_fixup_f64 v[116:117], v[116:117], v[114:115], v[112:113]
	v_fmac_f64_e32 v[114:115], v[112:113], v[116:117]
	v_div_scale_f64 v[112:113], s[10:11], v[114:115], v[114:115], 1.0
	v_rcp_f64_e32 v[118:119], v[112:113]
	s_nop 0
	v_fma_f64 v[120:121], -v[112:113], v[118:119], 1.0
	v_fmac_f64_e32 v[118:119], v[118:119], v[120:121]
	v_fma_f64 v[120:121], -v[112:113], v[118:119], 1.0
	v_fmac_f64_e32 v[118:119], v[118:119], v[120:121]
	v_div_scale_f64 v[120:121], vcc, 1.0, v[114:115], 1.0
	v_mul_f64 v[122:123], v[120:121], v[118:119]
	v_fma_f64 v[112:113], -v[112:113], v[122:123], v[120:121]
	s_nop 1
	v_div_fmas_f64 v[112:113], v[112:113], v[118:119], v[122:123]
	v_div_fixup_f64 v[118:119], v[112:113], v[114:115], 1.0
	v_mul_f64 v[116:117], v[116:117], v[118:119]
	v_xor_b32_e32 v119, 0x80000000, v119
                                        ; implicit-def: $vgpr112_vgpr113
.LBB51_23:
	s_andn2_saveexec_b64 s[2:3], s[2:3]
	s_cbranch_execz .LBB51_25
; %bb.24:
	v_div_scale_f64 v[116:117], s[10:11], v[112:113], v[112:113], v[114:115]
	v_rcp_f64_e32 v[118:119], v[116:117]
	v_div_scale_f64 v[120:121], vcc, v[114:115], v[112:113], v[114:115]
	v_fma_f64 v[122:123], -v[116:117], v[118:119], 1.0
	v_fmac_f64_e32 v[118:119], v[118:119], v[122:123]
	v_fma_f64 v[122:123], -v[116:117], v[118:119], 1.0
	v_fmac_f64_e32 v[118:119], v[118:119], v[122:123]
	v_mul_f64 v[122:123], v[120:121], v[118:119]
	v_fma_f64 v[116:117], -v[116:117], v[122:123], v[120:121]
	v_div_fmas_f64 v[116:117], v[116:117], v[118:119], v[122:123]
	v_div_fixup_f64 v[118:119], v[116:117], v[112:113], v[114:115]
	v_fmac_f64_e32 v[112:113], v[114:115], v[118:119]
	v_div_scale_f64 v[114:115], s[10:11], v[112:113], v[112:113], 1.0
	v_rcp_f64_e32 v[116:117], v[114:115]
	s_nop 0
	v_fma_f64 v[120:121], -v[114:115], v[116:117], 1.0
	v_fmac_f64_e32 v[116:117], v[116:117], v[120:121]
	v_fma_f64 v[120:121], -v[114:115], v[116:117], 1.0
	v_fmac_f64_e32 v[116:117], v[116:117], v[120:121]
	v_div_scale_f64 v[120:121], vcc, 1.0, v[112:113], 1.0
	v_mul_f64 v[122:123], v[120:121], v[116:117]
	v_fma_f64 v[114:115], -v[114:115], v[122:123], v[120:121]
	s_nop 1
	v_div_fmas_f64 v[114:115], v[114:115], v[116:117], v[122:123]
	v_div_fixup_f64 v[116:117], v[114:115], v[112:113], 1.0
	v_mul_f64 v[118:119], v[118:119], -v[116:117]
.LBB51_25:
	s_or_b64 exec, exec, s[2:3]
	ds_write2_b64 v217, v[116:117], v[118:119] offset1:1
.LBB51_26:
	s_or_b64 exec, exec, s[4:5]
	s_waitcnt lgkmcnt(0)
	s_barrier
	ds_read2_b64 v[112:115], v217 offset1:1
	v_cmp_lt_u32_e32 vcc, 2, v216
	s_and_saveexec_b64 s[2:3], vcc
	s_cbranch_execz .LBB51_28
; %bb.27:
	ds_read2_b64 v[118:121], v218 offset0:6 offset1:7
	ds_read2_b64 v[122:125], v218 offset0:8 offset1:9
	s_waitcnt vmcnt(28) lgkmcnt(2)
	v_mul_f64 v[116:117], v[114:115], v[90:91]
	v_mul_f64 v[90:91], v[112:113], v[90:91]
	v_fmac_f64_e32 v[90:91], v[114:115], v[88:89]
	v_fma_f64 v[116:117], v[112:113], v[88:89], -v[116:117]
	s_waitcnt lgkmcnt(1)
	v_mul_f64 v[88:89], v[120:121], v[90:91]
	v_fma_f64 v[88:89], v[118:119], v[116:117], -v[88:89]
	v_mul_f64 v[118:119], v[118:119], v[90:91]
	v_fmac_f64_e32 v[118:119], v[120:121], v[116:117]
	s_waitcnt vmcnt(27)
	v_add_f64 v[86:87], v[86:87], -v[118:119]
	ds_read2_b64 v[118:121], v218 offset0:10 offset1:11
	v_add_f64 v[84:85], v[84:85], -v[88:89]
	s_waitcnt lgkmcnt(1)
	v_mul_f64 v[88:89], v[124:125], v[90:91]
	v_fma_f64 v[88:89], v[122:123], v[116:117], -v[88:89]
	v_mul_f64 v[122:123], v[122:123], v[90:91]
	v_fmac_f64_e32 v[122:123], v[124:125], v[116:117]
	s_waitcnt vmcnt(26)
	v_add_f64 v[80:81], v[80:81], -v[88:89]
	v_add_f64 v[82:83], v[82:83], -v[122:123]
	ds_read2_b64 v[122:125], v218 offset0:12 offset1:13
	s_waitcnt lgkmcnt(1)
	v_mul_f64 v[88:89], v[120:121], v[90:91]
	v_fma_f64 v[88:89], v[118:119], v[116:117], -v[88:89]
	v_mul_f64 v[118:119], v[118:119], v[90:91]
	v_fmac_f64_e32 v[118:119], v[120:121], v[116:117]
	s_waitcnt vmcnt(25)
	v_add_f64 v[78:79], v[78:79], -v[118:119]
	ds_read2_b64 v[118:121], v218 offset0:14 offset1:15
	v_add_f64 v[76:77], v[76:77], -v[88:89]
	s_waitcnt lgkmcnt(1)
	v_mul_f64 v[88:89], v[124:125], v[90:91]
	v_fma_f64 v[88:89], v[122:123], v[116:117], -v[88:89]
	v_mul_f64 v[122:123], v[122:123], v[90:91]
	v_fmac_f64_e32 v[122:123], v[124:125], v[116:117]
	s_waitcnt vmcnt(24)
	v_add_f64 v[72:73], v[72:73], -v[88:89]
	v_add_f64 v[74:75], v[74:75], -v[122:123]
	ds_read2_b64 v[122:125], v218 offset0:16 offset1:17
	;; [unrolled: 18-line block ×10, first 2 shown]
	s_waitcnt lgkmcnt(1)
	v_mul_f64 v[88:89], v[120:121], v[90:91]
	v_fma_f64 v[88:89], v[118:119], v[116:117], -v[88:89]
	v_mul_f64 v[118:119], v[118:119], v[90:91]
	v_fmac_f64_e32 v[118:119], v[120:121], v[116:117]
	s_waitcnt vmcnt(3)
	v_add_f64 v[6:7], v[6:7], -v[118:119]
	ds_read2_b64 v[118:121], v218 offset0:50 offset1:51
	v_add_f64 v[4:5], v[4:5], -v[88:89]
	s_waitcnt lgkmcnt(1)
	v_mul_f64 v[88:89], v[124:125], v[90:91]
	v_fma_f64 v[88:89], v[122:123], v[116:117], -v[88:89]
	v_add_f64 v[0:1], v[0:1], -v[88:89]
	s_waitcnt lgkmcnt(0)
	v_mul_f64 v[88:89], v[120:121], v[90:91]
	v_mul_f64 v[122:123], v[122:123], v[90:91]
	v_fma_f64 v[88:89], v[118:119], v[116:117], -v[88:89]
	v_mul_f64 v[118:119], v[118:119], v[90:91]
	v_fmac_f64_e32 v[122:123], v[124:125], v[116:117]
	v_fmac_f64_e32 v[118:119], v[120:121], v[116:117]
	v_add_f64 v[2:3], v[2:3], -v[122:123]
	s_waitcnt vmcnt(1)
	v_add_f64 v[100:101], v[100:101], -v[88:89]
	v_add_f64 v[102:103], v[102:103], -v[118:119]
	v_mov_b64_e32 v[88:89], v[116:117]
.LBB51_28:
	s_or_b64 exec, exec, s[2:3]
	v_cmp_eq_u32_e32 vcc, 3, v216
	s_waitcnt lgkmcnt(0)
	s_barrier
	s_and_saveexec_b64 s[4:5], vcc
	s_cbranch_execz .LBB51_35
; %bb.29:
	s_waitcnt vmcnt(27)
	ds_write2_b64 v217, v[84:85], v[86:87] offset1:1
	s_waitcnt vmcnt(26)
	ds_write2_b64 v218, v[80:81], v[82:83] offset0:8 offset1:9
	s_waitcnt vmcnt(25)
	ds_write2_b64 v218, v[76:77], v[78:79] offset0:10 offset1:11
	;; [unrolled: 2-line block ×20, first 2 shown]
	ds_write2_b64 v218, v[0:1], v[2:3] offset0:48 offset1:49
	s_waitcnt vmcnt(1)
	ds_write2_b64 v218, v[100:101], v[102:103] offset0:50 offset1:51
	ds_read2_b64 v[116:119], v217 offset1:1
	s_waitcnt lgkmcnt(0)
	v_cmp_neq_f64_e32 vcc, 0, v[116:117]
	v_cmp_neq_f64_e64 s[2:3], 0, v[118:119]
	s_or_b64 s[2:3], vcc, s[2:3]
	s_and_b64 exec, exec, s[2:3]
	s_cbranch_execz .LBB51_35
; %bb.30:
	v_cmp_ngt_f64_e64 s[2:3], |v[116:117]|, |v[118:119]|
                                        ; implicit-def: $vgpr120_vgpr121
	s_and_saveexec_b64 s[10:11], s[2:3]
	s_xor_b64 s[2:3], exec, s[10:11]
                                        ; implicit-def: $vgpr122_vgpr123
	s_cbranch_execz .LBB51_32
; %bb.31:
	v_div_scale_f64 v[120:121], s[10:11], v[118:119], v[118:119], v[116:117]
	v_rcp_f64_e32 v[122:123], v[120:121]
	v_div_scale_f64 v[124:125], vcc, v[116:117], v[118:119], v[116:117]
	v_fma_f64 v[126:127], -v[120:121], v[122:123], 1.0
	v_fmac_f64_e32 v[122:123], v[122:123], v[126:127]
	v_fma_f64 v[126:127], -v[120:121], v[122:123], 1.0
	v_fmac_f64_e32 v[122:123], v[122:123], v[126:127]
	v_mul_f64 v[126:127], v[124:125], v[122:123]
	v_fma_f64 v[120:121], -v[120:121], v[126:127], v[124:125]
	v_div_fmas_f64 v[120:121], v[120:121], v[122:123], v[126:127]
	v_div_fixup_f64 v[120:121], v[120:121], v[118:119], v[116:117]
	v_fmac_f64_e32 v[118:119], v[116:117], v[120:121]
	v_div_scale_f64 v[116:117], s[10:11], v[118:119], v[118:119], 1.0
	v_rcp_f64_e32 v[122:123], v[116:117]
	s_nop 0
	v_fma_f64 v[124:125], -v[116:117], v[122:123], 1.0
	v_fmac_f64_e32 v[122:123], v[122:123], v[124:125]
	v_fma_f64 v[124:125], -v[116:117], v[122:123], 1.0
	v_fmac_f64_e32 v[122:123], v[122:123], v[124:125]
	v_div_scale_f64 v[124:125], vcc, 1.0, v[118:119], 1.0
	v_mul_f64 v[126:127], v[124:125], v[122:123]
	v_fma_f64 v[116:117], -v[116:117], v[126:127], v[124:125]
	s_nop 1
	v_div_fmas_f64 v[116:117], v[116:117], v[122:123], v[126:127]
	v_div_fixup_f64 v[122:123], v[116:117], v[118:119], 1.0
	v_mul_f64 v[120:121], v[120:121], v[122:123]
	v_xor_b32_e32 v123, 0x80000000, v123
                                        ; implicit-def: $vgpr116_vgpr117
.LBB51_32:
	s_andn2_saveexec_b64 s[2:3], s[2:3]
	s_cbranch_execz .LBB51_34
; %bb.33:
	v_div_scale_f64 v[120:121], s[10:11], v[116:117], v[116:117], v[118:119]
	v_rcp_f64_e32 v[122:123], v[120:121]
	v_div_scale_f64 v[124:125], vcc, v[118:119], v[116:117], v[118:119]
	v_fma_f64 v[126:127], -v[120:121], v[122:123], 1.0
	v_fmac_f64_e32 v[122:123], v[122:123], v[126:127]
	v_fma_f64 v[126:127], -v[120:121], v[122:123], 1.0
	v_fmac_f64_e32 v[122:123], v[122:123], v[126:127]
	v_mul_f64 v[126:127], v[124:125], v[122:123]
	v_fma_f64 v[120:121], -v[120:121], v[126:127], v[124:125]
	v_div_fmas_f64 v[120:121], v[120:121], v[122:123], v[126:127]
	v_div_fixup_f64 v[122:123], v[120:121], v[116:117], v[118:119]
	v_fmac_f64_e32 v[116:117], v[118:119], v[122:123]
	v_div_scale_f64 v[118:119], s[10:11], v[116:117], v[116:117], 1.0
	v_rcp_f64_e32 v[120:121], v[118:119]
	s_nop 0
	v_fma_f64 v[124:125], -v[118:119], v[120:121], 1.0
	v_fmac_f64_e32 v[120:121], v[120:121], v[124:125]
	v_fma_f64 v[124:125], -v[118:119], v[120:121], 1.0
	v_fmac_f64_e32 v[120:121], v[120:121], v[124:125]
	v_div_scale_f64 v[124:125], vcc, 1.0, v[116:117], 1.0
	v_mul_f64 v[126:127], v[124:125], v[120:121]
	v_fma_f64 v[118:119], -v[118:119], v[126:127], v[124:125]
	s_nop 1
	v_div_fmas_f64 v[118:119], v[118:119], v[120:121], v[126:127]
	v_div_fixup_f64 v[120:121], v[118:119], v[116:117], 1.0
	v_mul_f64 v[122:123], v[122:123], -v[120:121]
.LBB51_34:
	s_or_b64 exec, exec, s[2:3]
	ds_write2_b64 v217, v[120:121], v[122:123] offset1:1
.LBB51_35:
	s_or_b64 exec, exec, s[4:5]
	s_waitcnt lgkmcnt(0)
	s_barrier
	ds_read2_b64 v[116:119], v217 offset1:1
	v_cmp_lt_u32_e32 vcc, 3, v216
	s_and_saveexec_b64 s[2:3], vcc
	s_cbranch_execz .LBB51_37
; %bb.36:
	ds_read2_b64 v[122:125], v218 offset0:8 offset1:9
	ds_read2_b64 v[126:129], v218 offset0:10 offset1:11
	s_waitcnt vmcnt(27) lgkmcnt(2)
	v_mul_f64 v[120:121], v[118:119], v[86:87]
	v_mul_f64 v[86:87], v[116:117], v[86:87]
	v_fmac_f64_e32 v[86:87], v[118:119], v[84:85]
	v_fma_f64 v[120:121], v[116:117], v[84:85], -v[120:121]
	s_waitcnt lgkmcnt(1)
	v_mul_f64 v[84:85], v[124:125], v[86:87]
	v_fma_f64 v[84:85], v[122:123], v[120:121], -v[84:85]
	v_mul_f64 v[122:123], v[122:123], v[86:87]
	v_fmac_f64_e32 v[122:123], v[124:125], v[120:121]
	s_waitcnt vmcnt(26)
	v_add_f64 v[80:81], v[80:81], -v[84:85]
	v_add_f64 v[82:83], v[82:83], -v[122:123]
	s_waitcnt lgkmcnt(0)
	v_mul_f64 v[84:85], v[128:129], v[86:87]
	ds_read2_b64 v[122:125], v218 offset0:12 offset1:13
	v_fma_f64 v[84:85], v[126:127], v[120:121], -v[84:85]
	v_mul_f64 v[126:127], v[126:127], v[86:87]
	v_fmac_f64_e32 v[126:127], v[128:129], v[120:121]
	s_waitcnt vmcnt(25)
	v_add_f64 v[78:79], v[78:79], -v[126:127]
	ds_read2_b64 v[126:129], v218 offset0:14 offset1:15
	v_add_f64 v[76:77], v[76:77], -v[84:85]
	s_waitcnt lgkmcnt(1)
	v_mul_f64 v[84:85], v[124:125], v[86:87]
	v_fma_f64 v[84:85], v[122:123], v[120:121], -v[84:85]
	v_mul_f64 v[122:123], v[122:123], v[86:87]
	v_fmac_f64_e32 v[122:123], v[124:125], v[120:121]
	s_waitcnt vmcnt(24)
	v_add_f64 v[72:73], v[72:73], -v[84:85]
	v_add_f64 v[74:75], v[74:75], -v[122:123]
	s_waitcnt lgkmcnt(0)
	v_mul_f64 v[84:85], v[128:129], v[86:87]
	ds_read2_b64 v[122:125], v218 offset0:16 offset1:17
	v_fma_f64 v[84:85], v[126:127], v[120:121], -v[84:85]
	v_mul_f64 v[126:127], v[126:127], v[86:87]
	v_fmac_f64_e32 v[126:127], v[128:129], v[120:121]
	s_waitcnt vmcnt(23)
	v_add_f64 v[70:71], v[70:71], -v[126:127]
	ds_read2_b64 v[126:129], v218 offset0:18 offset1:19
	v_add_f64 v[68:69], v[68:69], -v[84:85]
	;; [unrolled: 18-line block ×10, first 2 shown]
	s_waitcnt lgkmcnt(1)
	v_mul_f64 v[84:85], v[124:125], v[86:87]
	v_fma_f64 v[84:85], v[122:123], v[120:121], -v[84:85]
	v_mul_f64 v[122:123], v[122:123], v[86:87]
	v_fmac_f64_e32 v[122:123], v[124:125], v[120:121]
	v_add_f64 v[0:1], v[0:1], -v[84:85]
	v_add_f64 v[2:3], v[2:3], -v[122:123]
	s_waitcnt lgkmcnt(0)
	v_mul_f64 v[84:85], v[128:129], v[86:87]
	v_mul_f64 v[122:123], v[126:127], v[86:87]
	v_fma_f64 v[84:85], v[126:127], v[120:121], -v[84:85]
	v_fmac_f64_e32 v[122:123], v[128:129], v[120:121]
	s_waitcnt vmcnt(1)
	v_add_f64 v[100:101], v[100:101], -v[84:85]
	v_add_f64 v[102:103], v[102:103], -v[122:123]
	v_mov_b64_e32 v[84:85], v[120:121]
.LBB51_37:
	s_or_b64 exec, exec, s[2:3]
	v_cmp_eq_u32_e32 vcc, 4, v216
	s_waitcnt lgkmcnt(0)
	s_barrier
	s_and_saveexec_b64 s[4:5], vcc
	s_cbranch_execz .LBB51_44
; %bb.38:
	s_waitcnt vmcnt(26)
	ds_write2_b64 v217, v[80:81], v[82:83] offset1:1
	s_waitcnt vmcnt(25)
	ds_write2_b64 v218, v[76:77], v[78:79] offset0:10 offset1:11
	s_waitcnt vmcnt(24)
	ds_write2_b64 v218, v[72:73], v[74:75] offset0:12 offset1:13
	;; [unrolled: 2-line block ×19, first 2 shown]
	ds_write2_b64 v218, v[0:1], v[2:3] offset0:48 offset1:49
	s_waitcnt vmcnt(1)
	ds_write2_b64 v218, v[100:101], v[102:103] offset0:50 offset1:51
	ds_read2_b64 v[120:123], v217 offset1:1
	s_waitcnt lgkmcnt(0)
	v_cmp_neq_f64_e32 vcc, 0, v[120:121]
	v_cmp_neq_f64_e64 s[2:3], 0, v[122:123]
	s_or_b64 s[2:3], vcc, s[2:3]
	s_and_b64 exec, exec, s[2:3]
	s_cbranch_execz .LBB51_44
; %bb.39:
	v_cmp_ngt_f64_e64 s[2:3], |v[120:121]|, |v[122:123]|
                                        ; implicit-def: $vgpr124_vgpr125
	s_and_saveexec_b64 s[10:11], s[2:3]
	s_xor_b64 s[2:3], exec, s[10:11]
                                        ; implicit-def: $vgpr126_vgpr127
	s_cbranch_execz .LBB51_41
; %bb.40:
	v_div_scale_f64 v[124:125], s[10:11], v[122:123], v[122:123], v[120:121]
	v_rcp_f64_e32 v[126:127], v[124:125]
	v_div_scale_f64 v[128:129], vcc, v[120:121], v[122:123], v[120:121]
	v_fma_f64 v[130:131], -v[124:125], v[126:127], 1.0
	v_fmac_f64_e32 v[126:127], v[126:127], v[130:131]
	v_fma_f64 v[130:131], -v[124:125], v[126:127], 1.0
	v_fmac_f64_e32 v[126:127], v[126:127], v[130:131]
	v_mul_f64 v[130:131], v[128:129], v[126:127]
	v_fma_f64 v[124:125], -v[124:125], v[130:131], v[128:129]
	v_div_fmas_f64 v[124:125], v[124:125], v[126:127], v[130:131]
	v_div_fixup_f64 v[124:125], v[124:125], v[122:123], v[120:121]
	v_fmac_f64_e32 v[122:123], v[120:121], v[124:125]
	v_div_scale_f64 v[120:121], s[10:11], v[122:123], v[122:123], 1.0
	v_rcp_f64_e32 v[126:127], v[120:121]
	s_nop 0
	v_fma_f64 v[128:129], -v[120:121], v[126:127], 1.0
	v_fmac_f64_e32 v[126:127], v[126:127], v[128:129]
	v_fma_f64 v[128:129], -v[120:121], v[126:127], 1.0
	v_fmac_f64_e32 v[126:127], v[126:127], v[128:129]
	v_div_scale_f64 v[128:129], vcc, 1.0, v[122:123], 1.0
	v_mul_f64 v[130:131], v[128:129], v[126:127]
	v_fma_f64 v[120:121], -v[120:121], v[130:131], v[128:129]
	s_nop 1
	v_div_fmas_f64 v[120:121], v[120:121], v[126:127], v[130:131]
	v_div_fixup_f64 v[126:127], v[120:121], v[122:123], 1.0
	v_mul_f64 v[124:125], v[124:125], v[126:127]
	v_xor_b32_e32 v127, 0x80000000, v127
                                        ; implicit-def: $vgpr120_vgpr121
.LBB51_41:
	s_andn2_saveexec_b64 s[2:3], s[2:3]
	s_cbranch_execz .LBB51_43
; %bb.42:
	v_div_scale_f64 v[124:125], s[10:11], v[120:121], v[120:121], v[122:123]
	v_rcp_f64_e32 v[126:127], v[124:125]
	v_div_scale_f64 v[128:129], vcc, v[122:123], v[120:121], v[122:123]
	v_fma_f64 v[130:131], -v[124:125], v[126:127], 1.0
	v_fmac_f64_e32 v[126:127], v[126:127], v[130:131]
	v_fma_f64 v[130:131], -v[124:125], v[126:127], 1.0
	v_fmac_f64_e32 v[126:127], v[126:127], v[130:131]
	v_mul_f64 v[130:131], v[128:129], v[126:127]
	v_fma_f64 v[124:125], -v[124:125], v[130:131], v[128:129]
	v_div_fmas_f64 v[124:125], v[124:125], v[126:127], v[130:131]
	v_div_fixup_f64 v[126:127], v[124:125], v[120:121], v[122:123]
	v_fmac_f64_e32 v[120:121], v[122:123], v[126:127]
	v_div_scale_f64 v[122:123], s[10:11], v[120:121], v[120:121], 1.0
	v_rcp_f64_e32 v[124:125], v[122:123]
	s_nop 0
	v_fma_f64 v[128:129], -v[122:123], v[124:125], 1.0
	v_fmac_f64_e32 v[124:125], v[124:125], v[128:129]
	v_fma_f64 v[128:129], -v[122:123], v[124:125], 1.0
	v_fmac_f64_e32 v[124:125], v[124:125], v[128:129]
	v_div_scale_f64 v[128:129], vcc, 1.0, v[120:121], 1.0
	v_mul_f64 v[130:131], v[128:129], v[124:125]
	v_fma_f64 v[122:123], -v[122:123], v[130:131], v[128:129]
	s_nop 1
	v_div_fmas_f64 v[122:123], v[122:123], v[124:125], v[130:131]
	v_div_fixup_f64 v[124:125], v[122:123], v[120:121], 1.0
	v_mul_f64 v[126:127], v[126:127], -v[124:125]
.LBB51_43:
	s_or_b64 exec, exec, s[2:3]
	ds_write2_b64 v217, v[124:125], v[126:127] offset1:1
.LBB51_44:
	s_or_b64 exec, exec, s[4:5]
	s_waitcnt lgkmcnt(0)
	s_barrier
	ds_read2_b64 v[120:123], v217 offset1:1
	v_cmp_lt_u32_e32 vcc, 4, v216
	s_and_saveexec_b64 s[2:3], vcc
	s_cbranch_execz .LBB51_46
; %bb.45:
	ds_read2_b64 v[126:129], v218 offset0:10 offset1:11
	ds_read2_b64 v[130:133], v218 offset0:12 offset1:13
	s_waitcnt vmcnt(26) lgkmcnt(2)
	v_mul_f64 v[124:125], v[122:123], v[82:83]
	v_mul_f64 v[82:83], v[120:121], v[82:83]
	v_fmac_f64_e32 v[82:83], v[122:123], v[80:81]
	v_fma_f64 v[124:125], v[120:121], v[80:81], -v[124:125]
	s_waitcnt lgkmcnt(1)
	v_mul_f64 v[80:81], v[128:129], v[82:83]
	v_fma_f64 v[80:81], v[126:127], v[124:125], -v[80:81]
	v_mul_f64 v[126:127], v[126:127], v[82:83]
	v_fmac_f64_e32 v[126:127], v[128:129], v[124:125]
	s_waitcnt vmcnt(25)
	v_add_f64 v[78:79], v[78:79], -v[126:127]
	ds_read2_b64 v[126:129], v218 offset0:14 offset1:15
	v_add_f64 v[76:77], v[76:77], -v[80:81]
	s_waitcnt lgkmcnt(1)
	v_mul_f64 v[80:81], v[132:133], v[82:83]
	v_fma_f64 v[80:81], v[130:131], v[124:125], -v[80:81]
	v_mul_f64 v[130:131], v[130:131], v[82:83]
	v_fmac_f64_e32 v[130:131], v[132:133], v[124:125]
	s_waitcnt vmcnt(24)
	v_add_f64 v[72:73], v[72:73], -v[80:81]
	v_add_f64 v[74:75], v[74:75], -v[130:131]
	ds_read2_b64 v[130:133], v218 offset0:16 offset1:17
	s_waitcnt lgkmcnt(1)
	v_mul_f64 v[80:81], v[128:129], v[82:83]
	v_fma_f64 v[80:81], v[126:127], v[124:125], -v[80:81]
	v_mul_f64 v[126:127], v[126:127], v[82:83]
	v_fmac_f64_e32 v[126:127], v[128:129], v[124:125]
	s_waitcnt vmcnt(23)
	v_add_f64 v[70:71], v[70:71], -v[126:127]
	ds_read2_b64 v[126:129], v218 offset0:18 offset1:19
	v_add_f64 v[68:69], v[68:69], -v[80:81]
	s_waitcnt lgkmcnt(1)
	v_mul_f64 v[80:81], v[132:133], v[82:83]
	v_fma_f64 v[80:81], v[130:131], v[124:125], -v[80:81]
	v_mul_f64 v[130:131], v[130:131], v[82:83]
	v_fmac_f64_e32 v[130:131], v[132:133], v[124:125]
	s_waitcnt vmcnt(22)
	v_add_f64 v[64:65], v[64:65], -v[80:81]
	v_add_f64 v[66:67], v[66:67], -v[130:131]
	ds_read2_b64 v[130:133], v218 offset0:20 offset1:21
	;; [unrolled: 18-line block ×9, first 2 shown]
	s_waitcnt lgkmcnt(1)
	v_mul_f64 v[80:81], v[128:129], v[82:83]
	v_fma_f64 v[80:81], v[126:127], v[124:125], -v[80:81]
	v_mul_f64 v[126:127], v[126:127], v[82:83]
	v_fmac_f64_e32 v[126:127], v[128:129], v[124:125]
	s_waitcnt vmcnt(3)
	v_add_f64 v[6:7], v[6:7], -v[126:127]
	ds_read2_b64 v[126:129], v218 offset0:50 offset1:51
	v_add_f64 v[4:5], v[4:5], -v[80:81]
	s_waitcnt lgkmcnt(1)
	v_mul_f64 v[80:81], v[132:133], v[82:83]
	v_fma_f64 v[80:81], v[130:131], v[124:125], -v[80:81]
	v_add_f64 v[0:1], v[0:1], -v[80:81]
	s_waitcnt lgkmcnt(0)
	v_mul_f64 v[80:81], v[128:129], v[82:83]
	v_mul_f64 v[130:131], v[130:131], v[82:83]
	v_fma_f64 v[80:81], v[126:127], v[124:125], -v[80:81]
	v_mul_f64 v[126:127], v[126:127], v[82:83]
	v_fmac_f64_e32 v[130:131], v[132:133], v[124:125]
	v_fmac_f64_e32 v[126:127], v[128:129], v[124:125]
	v_add_f64 v[2:3], v[2:3], -v[130:131]
	s_waitcnt vmcnt(1)
	v_add_f64 v[100:101], v[100:101], -v[80:81]
	v_add_f64 v[102:103], v[102:103], -v[126:127]
	v_mov_b64_e32 v[80:81], v[124:125]
.LBB51_46:
	s_or_b64 exec, exec, s[2:3]
	v_cmp_eq_u32_e32 vcc, 5, v216
	s_waitcnt lgkmcnt(0)
	s_barrier
	s_and_saveexec_b64 s[4:5], vcc
	s_cbranch_execz .LBB51_53
; %bb.47:
	s_waitcnt vmcnt(25)
	ds_write2_b64 v217, v[76:77], v[78:79] offset1:1
	s_waitcnt vmcnt(24)
	ds_write2_b64 v218, v[72:73], v[74:75] offset0:12 offset1:13
	s_waitcnt vmcnt(23)
	ds_write2_b64 v218, v[68:69], v[70:71] offset0:14 offset1:15
	;; [unrolled: 2-line block ×18, first 2 shown]
	ds_write2_b64 v218, v[0:1], v[2:3] offset0:48 offset1:49
	s_waitcnt vmcnt(1)
	ds_write2_b64 v218, v[100:101], v[102:103] offset0:50 offset1:51
	ds_read2_b64 v[124:127], v217 offset1:1
	s_waitcnt lgkmcnt(0)
	v_cmp_neq_f64_e32 vcc, 0, v[124:125]
	v_cmp_neq_f64_e64 s[2:3], 0, v[126:127]
	s_or_b64 s[2:3], vcc, s[2:3]
	s_and_b64 exec, exec, s[2:3]
	s_cbranch_execz .LBB51_53
; %bb.48:
	v_cmp_ngt_f64_e64 s[2:3], |v[124:125]|, |v[126:127]|
                                        ; implicit-def: $vgpr128_vgpr129
	s_and_saveexec_b64 s[10:11], s[2:3]
	s_xor_b64 s[2:3], exec, s[10:11]
                                        ; implicit-def: $vgpr130_vgpr131
	s_cbranch_execz .LBB51_50
; %bb.49:
	v_div_scale_f64 v[128:129], s[10:11], v[126:127], v[126:127], v[124:125]
	v_rcp_f64_e32 v[130:131], v[128:129]
	v_div_scale_f64 v[132:133], vcc, v[124:125], v[126:127], v[124:125]
	v_fma_f64 v[134:135], -v[128:129], v[130:131], 1.0
	v_fmac_f64_e32 v[130:131], v[130:131], v[134:135]
	v_fma_f64 v[134:135], -v[128:129], v[130:131], 1.0
	v_fmac_f64_e32 v[130:131], v[130:131], v[134:135]
	v_mul_f64 v[134:135], v[132:133], v[130:131]
	v_fma_f64 v[128:129], -v[128:129], v[134:135], v[132:133]
	v_div_fmas_f64 v[128:129], v[128:129], v[130:131], v[134:135]
	v_div_fixup_f64 v[128:129], v[128:129], v[126:127], v[124:125]
	v_fmac_f64_e32 v[126:127], v[124:125], v[128:129]
	v_div_scale_f64 v[124:125], s[10:11], v[126:127], v[126:127], 1.0
	v_rcp_f64_e32 v[130:131], v[124:125]
	s_nop 0
	v_fma_f64 v[132:133], -v[124:125], v[130:131], 1.0
	v_fmac_f64_e32 v[130:131], v[130:131], v[132:133]
	v_fma_f64 v[132:133], -v[124:125], v[130:131], 1.0
	v_fmac_f64_e32 v[130:131], v[130:131], v[132:133]
	v_div_scale_f64 v[132:133], vcc, 1.0, v[126:127], 1.0
	v_mul_f64 v[134:135], v[132:133], v[130:131]
	v_fma_f64 v[124:125], -v[124:125], v[134:135], v[132:133]
	s_nop 1
	v_div_fmas_f64 v[124:125], v[124:125], v[130:131], v[134:135]
	v_div_fixup_f64 v[130:131], v[124:125], v[126:127], 1.0
	v_mul_f64 v[128:129], v[128:129], v[130:131]
	v_xor_b32_e32 v131, 0x80000000, v131
                                        ; implicit-def: $vgpr124_vgpr125
.LBB51_50:
	s_andn2_saveexec_b64 s[2:3], s[2:3]
	s_cbranch_execz .LBB51_52
; %bb.51:
	v_div_scale_f64 v[128:129], s[10:11], v[124:125], v[124:125], v[126:127]
	v_rcp_f64_e32 v[130:131], v[128:129]
	v_div_scale_f64 v[132:133], vcc, v[126:127], v[124:125], v[126:127]
	v_fma_f64 v[134:135], -v[128:129], v[130:131], 1.0
	v_fmac_f64_e32 v[130:131], v[130:131], v[134:135]
	v_fma_f64 v[134:135], -v[128:129], v[130:131], 1.0
	v_fmac_f64_e32 v[130:131], v[130:131], v[134:135]
	v_mul_f64 v[134:135], v[132:133], v[130:131]
	v_fma_f64 v[128:129], -v[128:129], v[134:135], v[132:133]
	v_div_fmas_f64 v[128:129], v[128:129], v[130:131], v[134:135]
	v_div_fixup_f64 v[130:131], v[128:129], v[124:125], v[126:127]
	v_fmac_f64_e32 v[124:125], v[126:127], v[130:131]
	v_div_scale_f64 v[126:127], s[10:11], v[124:125], v[124:125], 1.0
	v_rcp_f64_e32 v[128:129], v[126:127]
	s_nop 0
	v_fma_f64 v[132:133], -v[126:127], v[128:129], 1.0
	v_fmac_f64_e32 v[128:129], v[128:129], v[132:133]
	v_fma_f64 v[132:133], -v[126:127], v[128:129], 1.0
	v_fmac_f64_e32 v[128:129], v[128:129], v[132:133]
	v_div_scale_f64 v[132:133], vcc, 1.0, v[124:125], 1.0
	v_mul_f64 v[134:135], v[132:133], v[128:129]
	v_fma_f64 v[126:127], -v[126:127], v[134:135], v[132:133]
	s_nop 1
	v_div_fmas_f64 v[126:127], v[126:127], v[128:129], v[134:135]
	v_div_fixup_f64 v[128:129], v[126:127], v[124:125], 1.0
	v_mul_f64 v[130:131], v[130:131], -v[128:129]
.LBB51_52:
	s_or_b64 exec, exec, s[2:3]
	ds_write2_b64 v217, v[128:129], v[130:131] offset1:1
.LBB51_53:
	s_or_b64 exec, exec, s[4:5]
	s_waitcnt lgkmcnt(0)
	s_barrier
	ds_read2_b64 v[124:127], v217 offset1:1
	v_cmp_lt_u32_e32 vcc, 5, v216
	s_and_saveexec_b64 s[2:3], vcc
	s_cbranch_execz .LBB51_55
; %bb.54:
	ds_read2_b64 v[130:133], v218 offset0:12 offset1:13
	ds_read2_b64 v[134:137], v218 offset0:14 offset1:15
	s_waitcnt vmcnt(25) lgkmcnt(2)
	v_mul_f64 v[128:129], v[126:127], v[78:79]
	v_mul_f64 v[78:79], v[124:125], v[78:79]
	v_fmac_f64_e32 v[78:79], v[126:127], v[76:77]
	v_fma_f64 v[128:129], v[124:125], v[76:77], -v[128:129]
	s_waitcnt lgkmcnt(1)
	v_mul_f64 v[76:77], v[132:133], v[78:79]
	v_fma_f64 v[76:77], v[130:131], v[128:129], -v[76:77]
	v_mul_f64 v[130:131], v[130:131], v[78:79]
	v_fmac_f64_e32 v[130:131], v[132:133], v[128:129]
	s_waitcnt vmcnt(24)
	v_add_f64 v[72:73], v[72:73], -v[76:77]
	v_add_f64 v[74:75], v[74:75], -v[130:131]
	s_waitcnt lgkmcnt(0)
	v_mul_f64 v[76:77], v[136:137], v[78:79]
	ds_read2_b64 v[130:133], v218 offset0:16 offset1:17
	v_fma_f64 v[76:77], v[134:135], v[128:129], -v[76:77]
	v_mul_f64 v[134:135], v[134:135], v[78:79]
	v_fmac_f64_e32 v[134:135], v[136:137], v[128:129]
	s_waitcnt vmcnt(23)
	v_add_f64 v[70:71], v[70:71], -v[134:135]
	ds_read2_b64 v[134:137], v218 offset0:18 offset1:19
	v_add_f64 v[68:69], v[68:69], -v[76:77]
	s_waitcnt lgkmcnt(1)
	v_mul_f64 v[76:77], v[132:133], v[78:79]
	v_fma_f64 v[76:77], v[130:131], v[128:129], -v[76:77]
	v_mul_f64 v[130:131], v[130:131], v[78:79]
	v_fmac_f64_e32 v[130:131], v[132:133], v[128:129]
	s_waitcnt vmcnt(22)
	v_add_f64 v[64:65], v[64:65], -v[76:77]
	v_add_f64 v[66:67], v[66:67], -v[130:131]
	s_waitcnt lgkmcnt(0)
	v_mul_f64 v[76:77], v[136:137], v[78:79]
	ds_read2_b64 v[130:133], v218 offset0:20 offset1:21
	v_fma_f64 v[76:77], v[134:135], v[128:129], -v[76:77]
	v_mul_f64 v[134:135], v[134:135], v[78:79]
	v_fmac_f64_e32 v[134:135], v[136:137], v[128:129]
	s_waitcnt vmcnt(21)
	v_add_f64 v[62:63], v[62:63], -v[134:135]
	ds_read2_b64 v[134:137], v218 offset0:22 offset1:23
	v_add_f64 v[60:61], v[60:61], -v[76:77]
	;; [unrolled: 18-line block ×9, first 2 shown]
	s_waitcnt lgkmcnt(1)
	v_mul_f64 v[76:77], v[132:133], v[78:79]
	v_fma_f64 v[76:77], v[130:131], v[128:129], -v[76:77]
	v_mul_f64 v[130:131], v[130:131], v[78:79]
	v_fmac_f64_e32 v[130:131], v[132:133], v[128:129]
	v_add_f64 v[0:1], v[0:1], -v[76:77]
	v_add_f64 v[2:3], v[2:3], -v[130:131]
	s_waitcnt lgkmcnt(0)
	v_mul_f64 v[76:77], v[136:137], v[78:79]
	v_mul_f64 v[130:131], v[134:135], v[78:79]
	v_fma_f64 v[76:77], v[134:135], v[128:129], -v[76:77]
	v_fmac_f64_e32 v[130:131], v[136:137], v[128:129]
	s_waitcnt vmcnt(1)
	v_add_f64 v[100:101], v[100:101], -v[76:77]
	v_add_f64 v[102:103], v[102:103], -v[130:131]
	v_mov_b64_e32 v[76:77], v[128:129]
.LBB51_55:
	s_or_b64 exec, exec, s[2:3]
	v_cmp_eq_u32_e32 vcc, 6, v216
	s_waitcnt lgkmcnt(0)
	s_barrier
	s_and_saveexec_b64 s[4:5], vcc
	s_cbranch_execz .LBB51_62
; %bb.56:
	s_waitcnt vmcnt(24)
	ds_write2_b64 v217, v[72:73], v[74:75] offset1:1
	s_waitcnt vmcnt(23)
	ds_write2_b64 v218, v[68:69], v[70:71] offset0:14 offset1:15
	s_waitcnt vmcnt(22)
	ds_write2_b64 v218, v[64:65], v[66:67] offset0:16 offset1:17
	;; [unrolled: 2-line block ×17, first 2 shown]
	ds_write2_b64 v218, v[0:1], v[2:3] offset0:48 offset1:49
	s_waitcnt vmcnt(1)
	ds_write2_b64 v218, v[100:101], v[102:103] offset0:50 offset1:51
	ds_read2_b64 v[128:131], v217 offset1:1
	s_waitcnt lgkmcnt(0)
	v_cmp_neq_f64_e32 vcc, 0, v[128:129]
	v_cmp_neq_f64_e64 s[2:3], 0, v[130:131]
	s_or_b64 s[2:3], vcc, s[2:3]
	s_and_b64 exec, exec, s[2:3]
	s_cbranch_execz .LBB51_62
; %bb.57:
	v_cmp_ngt_f64_e64 s[2:3], |v[128:129]|, |v[130:131]|
                                        ; implicit-def: $vgpr132_vgpr133
	s_and_saveexec_b64 s[10:11], s[2:3]
	s_xor_b64 s[2:3], exec, s[10:11]
                                        ; implicit-def: $vgpr134_vgpr135
	s_cbranch_execz .LBB51_59
; %bb.58:
	v_div_scale_f64 v[132:133], s[10:11], v[130:131], v[130:131], v[128:129]
	v_rcp_f64_e32 v[134:135], v[132:133]
	v_div_scale_f64 v[136:137], vcc, v[128:129], v[130:131], v[128:129]
	v_fma_f64 v[138:139], -v[132:133], v[134:135], 1.0
	v_fmac_f64_e32 v[134:135], v[134:135], v[138:139]
	v_fma_f64 v[138:139], -v[132:133], v[134:135], 1.0
	v_fmac_f64_e32 v[134:135], v[134:135], v[138:139]
	v_mul_f64 v[138:139], v[136:137], v[134:135]
	v_fma_f64 v[132:133], -v[132:133], v[138:139], v[136:137]
	v_div_fmas_f64 v[132:133], v[132:133], v[134:135], v[138:139]
	v_div_fixup_f64 v[132:133], v[132:133], v[130:131], v[128:129]
	v_fmac_f64_e32 v[130:131], v[128:129], v[132:133]
	v_div_scale_f64 v[128:129], s[10:11], v[130:131], v[130:131], 1.0
	v_rcp_f64_e32 v[134:135], v[128:129]
	s_nop 0
	v_fma_f64 v[136:137], -v[128:129], v[134:135], 1.0
	v_fmac_f64_e32 v[134:135], v[134:135], v[136:137]
	v_fma_f64 v[136:137], -v[128:129], v[134:135], 1.0
	v_fmac_f64_e32 v[134:135], v[134:135], v[136:137]
	v_div_scale_f64 v[136:137], vcc, 1.0, v[130:131], 1.0
	v_mul_f64 v[138:139], v[136:137], v[134:135]
	v_fma_f64 v[128:129], -v[128:129], v[138:139], v[136:137]
	s_nop 1
	v_div_fmas_f64 v[128:129], v[128:129], v[134:135], v[138:139]
	v_div_fixup_f64 v[134:135], v[128:129], v[130:131], 1.0
	v_mul_f64 v[132:133], v[132:133], v[134:135]
	v_xor_b32_e32 v135, 0x80000000, v135
                                        ; implicit-def: $vgpr128_vgpr129
.LBB51_59:
	s_andn2_saveexec_b64 s[2:3], s[2:3]
	s_cbranch_execz .LBB51_61
; %bb.60:
	v_div_scale_f64 v[132:133], s[10:11], v[128:129], v[128:129], v[130:131]
	v_rcp_f64_e32 v[134:135], v[132:133]
	v_div_scale_f64 v[136:137], vcc, v[130:131], v[128:129], v[130:131]
	v_fma_f64 v[138:139], -v[132:133], v[134:135], 1.0
	v_fmac_f64_e32 v[134:135], v[134:135], v[138:139]
	v_fma_f64 v[138:139], -v[132:133], v[134:135], 1.0
	v_fmac_f64_e32 v[134:135], v[134:135], v[138:139]
	v_mul_f64 v[138:139], v[136:137], v[134:135]
	v_fma_f64 v[132:133], -v[132:133], v[138:139], v[136:137]
	v_div_fmas_f64 v[132:133], v[132:133], v[134:135], v[138:139]
	v_div_fixup_f64 v[134:135], v[132:133], v[128:129], v[130:131]
	v_fmac_f64_e32 v[128:129], v[130:131], v[134:135]
	v_div_scale_f64 v[130:131], s[10:11], v[128:129], v[128:129], 1.0
	v_rcp_f64_e32 v[132:133], v[130:131]
	s_nop 0
	v_fma_f64 v[136:137], -v[130:131], v[132:133], 1.0
	v_fmac_f64_e32 v[132:133], v[132:133], v[136:137]
	v_fma_f64 v[136:137], -v[130:131], v[132:133], 1.0
	v_fmac_f64_e32 v[132:133], v[132:133], v[136:137]
	v_div_scale_f64 v[136:137], vcc, 1.0, v[128:129], 1.0
	v_mul_f64 v[138:139], v[136:137], v[132:133]
	v_fma_f64 v[130:131], -v[130:131], v[138:139], v[136:137]
	s_nop 1
	v_div_fmas_f64 v[130:131], v[130:131], v[132:133], v[138:139]
	v_div_fixup_f64 v[132:133], v[130:131], v[128:129], 1.0
	v_mul_f64 v[134:135], v[134:135], -v[132:133]
.LBB51_61:
	s_or_b64 exec, exec, s[2:3]
	ds_write2_b64 v217, v[132:133], v[134:135] offset1:1
.LBB51_62:
	s_or_b64 exec, exec, s[4:5]
	s_waitcnt lgkmcnt(0)
	s_barrier
	ds_read2_b64 v[128:131], v217 offset1:1
	v_cmp_lt_u32_e32 vcc, 6, v216
	s_and_saveexec_b64 s[2:3], vcc
	s_cbranch_execz .LBB51_64
; %bb.63:
	ds_read2_b64 v[134:137], v218 offset0:14 offset1:15
	ds_read2_b64 v[138:141], v218 offset0:16 offset1:17
	s_waitcnt vmcnt(24) lgkmcnt(2)
	v_mul_f64 v[132:133], v[130:131], v[74:75]
	v_mul_f64 v[74:75], v[128:129], v[74:75]
	v_fmac_f64_e32 v[74:75], v[130:131], v[72:73]
	v_fma_f64 v[132:133], v[128:129], v[72:73], -v[132:133]
	s_waitcnt lgkmcnt(1)
	v_mul_f64 v[72:73], v[136:137], v[74:75]
	v_fma_f64 v[72:73], v[134:135], v[132:133], -v[72:73]
	v_mul_f64 v[134:135], v[134:135], v[74:75]
	v_fmac_f64_e32 v[134:135], v[136:137], v[132:133]
	s_waitcnt vmcnt(23)
	v_add_f64 v[70:71], v[70:71], -v[134:135]
	ds_read2_b64 v[134:137], v218 offset0:18 offset1:19
	v_add_f64 v[68:69], v[68:69], -v[72:73]
	s_waitcnt lgkmcnt(1)
	v_mul_f64 v[72:73], v[140:141], v[74:75]
	v_fma_f64 v[72:73], v[138:139], v[132:133], -v[72:73]
	v_mul_f64 v[138:139], v[138:139], v[74:75]
	v_fmac_f64_e32 v[138:139], v[140:141], v[132:133]
	s_waitcnt vmcnt(22)
	v_add_f64 v[64:65], v[64:65], -v[72:73]
	v_add_f64 v[66:67], v[66:67], -v[138:139]
	ds_read2_b64 v[138:141], v218 offset0:20 offset1:21
	s_waitcnt lgkmcnt(1)
	v_mul_f64 v[72:73], v[136:137], v[74:75]
	v_fma_f64 v[72:73], v[134:135], v[132:133], -v[72:73]
	v_mul_f64 v[134:135], v[134:135], v[74:75]
	v_fmac_f64_e32 v[134:135], v[136:137], v[132:133]
	s_waitcnt vmcnt(21)
	v_add_f64 v[62:63], v[62:63], -v[134:135]
	ds_read2_b64 v[134:137], v218 offset0:22 offset1:23
	v_add_f64 v[60:61], v[60:61], -v[72:73]
	s_waitcnt lgkmcnt(1)
	v_mul_f64 v[72:73], v[140:141], v[74:75]
	v_fma_f64 v[72:73], v[138:139], v[132:133], -v[72:73]
	v_mul_f64 v[138:139], v[138:139], v[74:75]
	v_fmac_f64_e32 v[138:139], v[140:141], v[132:133]
	s_waitcnt vmcnt(20)
	v_add_f64 v[56:57], v[56:57], -v[72:73]
	v_add_f64 v[58:59], v[58:59], -v[138:139]
	ds_read2_b64 v[138:141], v218 offset0:24 offset1:25
	;; [unrolled: 18-line block ×8, first 2 shown]
	s_waitcnt lgkmcnt(1)
	v_mul_f64 v[72:73], v[136:137], v[74:75]
	v_fma_f64 v[72:73], v[134:135], v[132:133], -v[72:73]
	v_mul_f64 v[134:135], v[134:135], v[74:75]
	v_fmac_f64_e32 v[134:135], v[136:137], v[132:133]
	s_waitcnt vmcnt(3)
	v_add_f64 v[6:7], v[6:7], -v[134:135]
	ds_read2_b64 v[134:137], v218 offset0:50 offset1:51
	v_add_f64 v[4:5], v[4:5], -v[72:73]
	s_waitcnt lgkmcnt(1)
	v_mul_f64 v[72:73], v[140:141], v[74:75]
	v_fma_f64 v[72:73], v[138:139], v[132:133], -v[72:73]
	v_add_f64 v[0:1], v[0:1], -v[72:73]
	s_waitcnt lgkmcnt(0)
	v_mul_f64 v[72:73], v[136:137], v[74:75]
	v_mul_f64 v[138:139], v[138:139], v[74:75]
	v_fma_f64 v[72:73], v[134:135], v[132:133], -v[72:73]
	v_mul_f64 v[134:135], v[134:135], v[74:75]
	v_fmac_f64_e32 v[138:139], v[140:141], v[132:133]
	v_fmac_f64_e32 v[134:135], v[136:137], v[132:133]
	v_add_f64 v[2:3], v[2:3], -v[138:139]
	s_waitcnt vmcnt(1)
	v_add_f64 v[100:101], v[100:101], -v[72:73]
	v_add_f64 v[102:103], v[102:103], -v[134:135]
	v_mov_b64_e32 v[72:73], v[132:133]
.LBB51_64:
	s_or_b64 exec, exec, s[2:3]
	v_cmp_eq_u32_e32 vcc, 7, v216
	s_waitcnt lgkmcnt(0)
	s_barrier
	s_and_saveexec_b64 s[4:5], vcc
	s_cbranch_execz .LBB51_71
; %bb.65:
	s_waitcnt vmcnt(23)
	ds_write2_b64 v217, v[68:69], v[70:71] offset1:1
	s_waitcnt vmcnt(22)
	ds_write2_b64 v218, v[64:65], v[66:67] offset0:16 offset1:17
	s_waitcnt vmcnt(21)
	ds_write2_b64 v218, v[60:61], v[62:63] offset0:18 offset1:19
	;; [unrolled: 2-line block ×16, first 2 shown]
	ds_write2_b64 v218, v[0:1], v[2:3] offset0:48 offset1:49
	s_waitcnt vmcnt(1)
	ds_write2_b64 v218, v[100:101], v[102:103] offset0:50 offset1:51
	ds_read2_b64 v[132:135], v217 offset1:1
	s_waitcnt lgkmcnt(0)
	v_cmp_neq_f64_e32 vcc, 0, v[132:133]
	v_cmp_neq_f64_e64 s[2:3], 0, v[134:135]
	s_or_b64 s[2:3], vcc, s[2:3]
	s_and_b64 exec, exec, s[2:3]
	s_cbranch_execz .LBB51_71
; %bb.66:
	v_cmp_ngt_f64_e64 s[2:3], |v[132:133]|, |v[134:135]|
                                        ; implicit-def: $vgpr136_vgpr137
	s_and_saveexec_b64 s[10:11], s[2:3]
	s_xor_b64 s[2:3], exec, s[10:11]
                                        ; implicit-def: $vgpr138_vgpr139
	s_cbranch_execz .LBB51_68
; %bb.67:
	v_div_scale_f64 v[136:137], s[10:11], v[134:135], v[134:135], v[132:133]
	v_rcp_f64_e32 v[138:139], v[136:137]
	v_div_scale_f64 v[140:141], vcc, v[132:133], v[134:135], v[132:133]
	v_fma_f64 v[142:143], -v[136:137], v[138:139], 1.0
	v_fmac_f64_e32 v[138:139], v[138:139], v[142:143]
	v_fma_f64 v[142:143], -v[136:137], v[138:139], 1.0
	v_fmac_f64_e32 v[138:139], v[138:139], v[142:143]
	v_mul_f64 v[142:143], v[140:141], v[138:139]
	v_fma_f64 v[136:137], -v[136:137], v[142:143], v[140:141]
	v_div_fmas_f64 v[136:137], v[136:137], v[138:139], v[142:143]
	v_div_fixup_f64 v[136:137], v[136:137], v[134:135], v[132:133]
	v_fmac_f64_e32 v[134:135], v[132:133], v[136:137]
	v_div_scale_f64 v[132:133], s[10:11], v[134:135], v[134:135], 1.0
	v_rcp_f64_e32 v[138:139], v[132:133]
	s_nop 0
	v_fma_f64 v[140:141], -v[132:133], v[138:139], 1.0
	v_fmac_f64_e32 v[138:139], v[138:139], v[140:141]
	v_fma_f64 v[140:141], -v[132:133], v[138:139], 1.0
	v_fmac_f64_e32 v[138:139], v[138:139], v[140:141]
	v_div_scale_f64 v[140:141], vcc, 1.0, v[134:135], 1.0
	v_mul_f64 v[142:143], v[140:141], v[138:139]
	v_fma_f64 v[132:133], -v[132:133], v[142:143], v[140:141]
	s_nop 1
	v_div_fmas_f64 v[132:133], v[132:133], v[138:139], v[142:143]
	v_div_fixup_f64 v[138:139], v[132:133], v[134:135], 1.0
	v_mul_f64 v[136:137], v[136:137], v[138:139]
	v_xor_b32_e32 v139, 0x80000000, v139
                                        ; implicit-def: $vgpr132_vgpr133
.LBB51_68:
	s_andn2_saveexec_b64 s[2:3], s[2:3]
	s_cbranch_execz .LBB51_70
; %bb.69:
	v_div_scale_f64 v[136:137], s[10:11], v[132:133], v[132:133], v[134:135]
	v_rcp_f64_e32 v[138:139], v[136:137]
	v_div_scale_f64 v[140:141], vcc, v[134:135], v[132:133], v[134:135]
	v_fma_f64 v[142:143], -v[136:137], v[138:139], 1.0
	v_fmac_f64_e32 v[138:139], v[138:139], v[142:143]
	v_fma_f64 v[142:143], -v[136:137], v[138:139], 1.0
	v_fmac_f64_e32 v[138:139], v[138:139], v[142:143]
	v_mul_f64 v[142:143], v[140:141], v[138:139]
	v_fma_f64 v[136:137], -v[136:137], v[142:143], v[140:141]
	v_div_fmas_f64 v[136:137], v[136:137], v[138:139], v[142:143]
	v_div_fixup_f64 v[138:139], v[136:137], v[132:133], v[134:135]
	v_fmac_f64_e32 v[132:133], v[134:135], v[138:139]
	v_div_scale_f64 v[134:135], s[10:11], v[132:133], v[132:133], 1.0
	v_rcp_f64_e32 v[136:137], v[134:135]
	s_nop 0
	v_fma_f64 v[140:141], -v[134:135], v[136:137], 1.0
	v_fmac_f64_e32 v[136:137], v[136:137], v[140:141]
	v_fma_f64 v[140:141], -v[134:135], v[136:137], 1.0
	v_fmac_f64_e32 v[136:137], v[136:137], v[140:141]
	v_div_scale_f64 v[140:141], vcc, 1.0, v[132:133], 1.0
	v_mul_f64 v[142:143], v[140:141], v[136:137]
	v_fma_f64 v[134:135], -v[134:135], v[142:143], v[140:141]
	s_nop 1
	v_div_fmas_f64 v[134:135], v[134:135], v[136:137], v[142:143]
	v_div_fixup_f64 v[136:137], v[134:135], v[132:133], 1.0
	v_mul_f64 v[138:139], v[138:139], -v[136:137]
.LBB51_70:
	s_or_b64 exec, exec, s[2:3]
	ds_write2_b64 v217, v[136:137], v[138:139] offset1:1
.LBB51_71:
	s_or_b64 exec, exec, s[4:5]
	s_waitcnt lgkmcnt(0)
	s_barrier
	ds_read2_b64 v[132:135], v217 offset1:1
	v_cmp_lt_u32_e32 vcc, 7, v216
	s_and_saveexec_b64 s[2:3], vcc
	s_cbranch_execz .LBB51_73
; %bb.72:
	ds_read2_b64 v[138:141], v218 offset0:16 offset1:17
	ds_read2_b64 v[142:145], v218 offset0:18 offset1:19
	s_waitcnt vmcnt(23) lgkmcnt(2)
	v_mul_f64 v[136:137], v[134:135], v[70:71]
	v_mul_f64 v[70:71], v[132:133], v[70:71]
	v_fmac_f64_e32 v[70:71], v[134:135], v[68:69]
	v_fma_f64 v[136:137], v[132:133], v[68:69], -v[136:137]
	s_waitcnt lgkmcnt(1)
	v_mul_f64 v[68:69], v[140:141], v[70:71]
	v_fma_f64 v[68:69], v[138:139], v[136:137], -v[68:69]
	v_mul_f64 v[138:139], v[138:139], v[70:71]
	v_fmac_f64_e32 v[138:139], v[140:141], v[136:137]
	s_waitcnt vmcnt(22)
	v_add_f64 v[64:65], v[64:65], -v[68:69]
	v_add_f64 v[66:67], v[66:67], -v[138:139]
	s_waitcnt lgkmcnt(0)
	v_mul_f64 v[68:69], v[144:145], v[70:71]
	ds_read2_b64 v[138:141], v218 offset0:20 offset1:21
	v_fma_f64 v[68:69], v[142:143], v[136:137], -v[68:69]
	v_mul_f64 v[142:143], v[142:143], v[70:71]
	v_fmac_f64_e32 v[142:143], v[144:145], v[136:137]
	s_waitcnt vmcnt(21)
	v_add_f64 v[62:63], v[62:63], -v[142:143]
	ds_read2_b64 v[142:145], v218 offset0:22 offset1:23
	v_add_f64 v[60:61], v[60:61], -v[68:69]
	s_waitcnt lgkmcnt(1)
	v_mul_f64 v[68:69], v[140:141], v[70:71]
	v_fma_f64 v[68:69], v[138:139], v[136:137], -v[68:69]
	v_mul_f64 v[138:139], v[138:139], v[70:71]
	v_fmac_f64_e32 v[138:139], v[140:141], v[136:137]
	s_waitcnt vmcnt(20)
	v_add_f64 v[56:57], v[56:57], -v[68:69]
	v_add_f64 v[58:59], v[58:59], -v[138:139]
	s_waitcnt lgkmcnt(0)
	v_mul_f64 v[68:69], v[144:145], v[70:71]
	ds_read2_b64 v[138:141], v218 offset0:24 offset1:25
	v_fma_f64 v[68:69], v[142:143], v[136:137], -v[68:69]
	v_mul_f64 v[142:143], v[142:143], v[70:71]
	v_fmac_f64_e32 v[142:143], v[144:145], v[136:137]
	s_waitcnt vmcnt(19)
	v_add_f64 v[54:55], v[54:55], -v[142:143]
	ds_read2_b64 v[142:145], v218 offset0:26 offset1:27
	v_add_f64 v[52:53], v[52:53], -v[68:69]
	;; [unrolled: 18-line block ×8, first 2 shown]
	s_waitcnt lgkmcnt(1)
	v_mul_f64 v[68:69], v[140:141], v[70:71]
	v_fma_f64 v[68:69], v[138:139], v[136:137], -v[68:69]
	v_mul_f64 v[138:139], v[138:139], v[70:71]
	v_fmac_f64_e32 v[138:139], v[140:141], v[136:137]
	v_add_f64 v[0:1], v[0:1], -v[68:69]
	v_add_f64 v[2:3], v[2:3], -v[138:139]
	s_waitcnt lgkmcnt(0)
	v_mul_f64 v[68:69], v[144:145], v[70:71]
	v_mul_f64 v[138:139], v[142:143], v[70:71]
	v_fma_f64 v[68:69], v[142:143], v[136:137], -v[68:69]
	v_fmac_f64_e32 v[138:139], v[144:145], v[136:137]
	s_waitcnt vmcnt(1)
	v_add_f64 v[100:101], v[100:101], -v[68:69]
	v_add_f64 v[102:103], v[102:103], -v[138:139]
	v_mov_b64_e32 v[68:69], v[136:137]
.LBB51_73:
	s_or_b64 exec, exec, s[2:3]
	v_cmp_eq_u32_e32 vcc, 8, v216
	s_waitcnt lgkmcnt(0)
	s_barrier
	s_and_saveexec_b64 s[4:5], vcc
	s_cbranch_execz .LBB51_80
; %bb.74:
	s_waitcnt vmcnt(22)
	ds_write2_b64 v217, v[64:65], v[66:67] offset1:1
	s_waitcnt vmcnt(21)
	ds_write2_b64 v218, v[60:61], v[62:63] offset0:18 offset1:19
	s_waitcnt vmcnt(20)
	ds_write2_b64 v218, v[56:57], v[58:59] offset0:20 offset1:21
	;; [unrolled: 2-line block ×15, first 2 shown]
	ds_write2_b64 v218, v[0:1], v[2:3] offset0:48 offset1:49
	s_waitcnt vmcnt(1)
	ds_write2_b64 v218, v[100:101], v[102:103] offset0:50 offset1:51
	ds_read2_b64 v[136:139], v217 offset1:1
	s_waitcnt lgkmcnt(0)
	v_cmp_neq_f64_e32 vcc, 0, v[136:137]
	v_cmp_neq_f64_e64 s[2:3], 0, v[138:139]
	s_or_b64 s[2:3], vcc, s[2:3]
	s_and_b64 exec, exec, s[2:3]
	s_cbranch_execz .LBB51_80
; %bb.75:
	v_cmp_ngt_f64_e64 s[2:3], |v[136:137]|, |v[138:139]|
                                        ; implicit-def: $vgpr140_vgpr141
	s_and_saveexec_b64 s[10:11], s[2:3]
	s_xor_b64 s[2:3], exec, s[10:11]
                                        ; implicit-def: $vgpr142_vgpr143
	s_cbranch_execz .LBB51_77
; %bb.76:
	v_div_scale_f64 v[140:141], s[10:11], v[138:139], v[138:139], v[136:137]
	v_rcp_f64_e32 v[142:143], v[140:141]
	v_div_scale_f64 v[144:145], vcc, v[136:137], v[138:139], v[136:137]
	v_fma_f64 v[146:147], -v[140:141], v[142:143], 1.0
	v_fmac_f64_e32 v[142:143], v[142:143], v[146:147]
	v_fma_f64 v[146:147], -v[140:141], v[142:143], 1.0
	v_fmac_f64_e32 v[142:143], v[142:143], v[146:147]
	v_mul_f64 v[146:147], v[144:145], v[142:143]
	v_fma_f64 v[140:141], -v[140:141], v[146:147], v[144:145]
	v_div_fmas_f64 v[140:141], v[140:141], v[142:143], v[146:147]
	v_div_fixup_f64 v[140:141], v[140:141], v[138:139], v[136:137]
	v_fmac_f64_e32 v[138:139], v[136:137], v[140:141]
	v_div_scale_f64 v[136:137], s[10:11], v[138:139], v[138:139], 1.0
	v_rcp_f64_e32 v[142:143], v[136:137]
	s_nop 0
	v_fma_f64 v[144:145], -v[136:137], v[142:143], 1.0
	v_fmac_f64_e32 v[142:143], v[142:143], v[144:145]
	v_fma_f64 v[144:145], -v[136:137], v[142:143], 1.0
	v_fmac_f64_e32 v[142:143], v[142:143], v[144:145]
	v_div_scale_f64 v[144:145], vcc, 1.0, v[138:139], 1.0
	v_mul_f64 v[146:147], v[144:145], v[142:143]
	v_fma_f64 v[136:137], -v[136:137], v[146:147], v[144:145]
	s_nop 1
	v_div_fmas_f64 v[136:137], v[136:137], v[142:143], v[146:147]
	v_div_fixup_f64 v[142:143], v[136:137], v[138:139], 1.0
	v_mul_f64 v[140:141], v[140:141], v[142:143]
	v_xor_b32_e32 v143, 0x80000000, v143
                                        ; implicit-def: $vgpr136_vgpr137
.LBB51_77:
	s_andn2_saveexec_b64 s[2:3], s[2:3]
	s_cbranch_execz .LBB51_79
; %bb.78:
	v_div_scale_f64 v[140:141], s[10:11], v[136:137], v[136:137], v[138:139]
	v_rcp_f64_e32 v[142:143], v[140:141]
	v_div_scale_f64 v[144:145], vcc, v[138:139], v[136:137], v[138:139]
	v_fma_f64 v[146:147], -v[140:141], v[142:143], 1.0
	v_fmac_f64_e32 v[142:143], v[142:143], v[146:147]
	v_fma_f64 v[146:147], -v[140:141], v[142:143], 1.0
	v_fmac_f64_e32 v[142:143], v[142:143], v[146:147]
	v_mul_f64 v[146:147], v[144:145], v[142:143]
	v_fma_f64 v[140:141], -v[140:141], v[146:147], v[144:145]
	v_div_fmas_f64 v[140:141], v[140:141], v[142:143], v[146:147]
	v_div_fixup_f64 v[142:143], v[140:141], v[136:137], v[138:139]
	v_fmac_f64_e32 v[136:137], v[138:139], v[142:143]
	v_div_scale_f64 v[138:139], s[10:11], v[136:137], v[136:137], 1.0
	v_rcp_f64_e32 v[140:141], v[138:139]
	s_nop 0
	v_fma_f64 v[144:145], -v[138:139], v[140:141], 1.0
	v_fmac_f64_e32 v[140:141], v[140:141], v[144:145]
	v_fma_f64 v[144:145], -v[138:139], v[140:141], 1.0
	v_fmac_f64_e32 v[140:141], v[140:141], v[144:145]
	v_div_scale_f64 v[144:145], vcc, 1.0, v[136:137], 1.0
	v_mul_f64 v[146:147], v[144:145], v[140:141]
	v_fma_f64 v[138:139], -v[138:139], v[146:147], v[144:145]
	s_nop 1
	v_div_fmas_f64 v[138:139], v[138:139], v[140:141], v[146:147]
	v_div_fixup_f64 v[140:141], v[138:139], v[136:137], 1.0
	v_mul_f64 v[142:143], v[142:143], -v[140:141]
.LBB51_79:
	s_or_b64 exec, exec, s[2:3]
	ds_write2_b64 v217, v[140:141], v[142:143] offset1:1
.LBB51_80:
	s_or_b64 exec, exec, s[4:5]
	s_waitcnt lgkmcnt(0)
	s_barrier
	ds_read2_b64 v[136:139], v217 offset1:1
	v_cmp_lt_u32_e32 vcc, 8, v216
	s_and_saveexec_b64 s[2:3], vcc
	s_cbranch_execz .LBB51_82
; %bb.81:
	ds_read2_b64 v[142:145], v218 offset0:18 offset1:19
	ds_read2_b64 v[146:149], v218 offset0:20 offset1:21
	s_waitcnt vmcnt(22) lgkmcnt(2)
	v_mul_f64 v[140:141], v[138:139], v[66:67]
	v_mul_f64 v[66:67], v[136:137], v[66:67]
	v_fmac_f64_e32 v[66:67], v[138:139], v[64:65]
	v_fma_f64 v[140:141], v[136:137], v[64:65], -v[140:141]
	s_waitcnt lgkmcnt(1)
	v_mul_f64 v[64:65], v[144:145], v[66:67]
	v_fma_f64 v[64:65], v[142:143], v[140:141], -v[64:65]
	v_mul_f64 v[142:143], v[142:143], v[66:67]
	v_fmac_f64_e32 v[142:143], v[144:145], v[140:141]
	s_waitcnt vmcnt(21)
	v_add_f64 v[62:63], v[62:63], -v[142:143]
	ds_read2_b64 v[142:145], v218 offset0:22 offset1:23
	v_add_f64 v[60:61], v[60:61], -v[64:65]
	s_waitcnt lgkmcnt(1)
	v_mul_f64 v[64:65], v[148:149], v[66:67]
	v_fma_f64 v[64:65], v[146:147], v[140:141], -v[64:65]
	v_mul_f64 v[146:147], v[146:147], v[66:67]
	v_fmac_f64_e32 v[146:147], v[148:149], v[140:141]
	s_waitcnt vmcnt(20)
	v_add_f64 v[56:57], v[56:57], -v[64:65]
	v_add_f64 v[58:59], v[58:59], -v[146:147]
	ds_read2_b64 v[146:149], v218 offset0:24 offset1:25
	s_waitcnt lgkmcnt(1)
	v_mul_f64 v[64:65], v[144:145], v[66:67]
	v_fma_f64 v[64:65], v[142:143], v[140:141], -v[64:65]
	v_mul_f64 v[142:143], v[142:143], v[66:67]
	v_fmac_f64_e32 v[142:143], v[144:145], v[140:141]
	s_waitcnt vmcnt(19)
	v_add_f64 v[54:55], v[54:55], -v[142:143]
	ds_read2_b64 v[142:145], v218 offset0:26 offset1:27
	v_add_f64 v[52:53], v[52:53], -v[64:65]
	s_waitcnt lgkmcnt(1)
	v_mul_f64 v[64:65], v[148:149], v[66:67]
	v_fma_f64 v[64:65], v[146:147], v[140:141], -v[64:65]
	v_mul_f64 v[146:147], v[146:147], v[66:67]
	v_fmac_f64_e32 v[146:147], v[148:149], v[140:141]
	s_waitcnt vmcnt(18)
	v_add_f64 v[48:49], v[48:49], -v[64:65]
	v_add_f64 v[50:51], v[50:51], -v[146:147]
	ds_read2_b64 v[146:149], v218 offset0:28 offset1:29
	;; [unrolled: 18-line block ×7, first 2 shown]
	s_waitcnt lgkmcnt(1)
	v_mul_f64 v[64:65], v[144:145], v[66:67]
	v_fma_f64 v[64:65], v[142:143], v[140:141], -v[64:65]
	v_mul_f64 v[142:143], v[142:143], v[66:67]
	v_fmac_f64_e32 v[142:143], v[144:145], v[140:141]
	s_waitcnt vmcnt(3)
	v_add_f64 v[6:7], v[6:7], -v[142:143]
	ds_read2_b64 v[142:145], v218 offset0:50 offset1:51
	v_add_f64 v[4:5], v[4:5], -v[64:65]
	s_waitcnt lgkmcnt(1)
	v_mul_f64 v[64:65], v[148:149], v[66:67]
	v_fma_f64 v[64:65], v[146:147], v[140:141], -v[64:65]
	v_add_f64 v[0:1], v[0:1], -v[64:65]
	s_waitcnt lgkmcnt(0)
	v_mul_f64 v[64:65], v[144:145], v[66:67]
	v_mul_f64 v[146:147], v[146:147], v[66:67]
	v_fma_f64 v[64:65], v[142:143], v[140:141], -v[64:65]
	v_mul_f64 v[142:143], v[142:143], v[66:67]
	v_fmac_f64_e32 v[146:147], v[148:149], v[140:141]
	v_fmac_f64_e32 v[142:143], v[144:145], v[140:141]
	v_add_f64 v[2:3], v[2:3], -v[146:147]
	s_waitcnt vmcnt(1)
	v_add_f64 v[100:101], v[100:101], -v[64:65]
	v_add_f64 v[102:103], v[102:103], -v[142:143]
	v_mov_b64_e32 v[64:65], v[140:141]
.LBB51_82:
	s_or_b64 exec, exec, s[2:3]
	v_cmp_eq_u32_e32 vcc, 9, v216
	s_waitcnt lgkmcnt(0)
	s_barrier
	s_and_saveexec_b64 s[4:5], vcc
	s_cbranch_execz .LBB51_89
; %bb.83:
	s_waitcnt vmcnt(21)
	ds_write2_b64 v217, v[60:61], v[62:63] offset1:1
	s_waitcnt vmcnt(20)
	ds_write2_b64 v218, v[56:57], v[58:59] offset0:20 offset1:21
	s_waitcnt vmcnt(19)
	ds_write2_b64 v218, v[52:53], v[54:55] offset0:22 offset1:23
	;; [unrolled: 2-line block ×14, first 2 shown]
	ds_write2_b64 v218, v[0:1], v[2:3] offset0:48 offset1:49
	s_waitcnt vmcnt(1)
	ds_write2_b64 v218, v[100:101], v[102:103] offset0:50 offset1:51
	ds_read2_b64 v[140:143], v217 offset1:1
	s_waitcnt lgkmcnt(0)
	v_cmp_neq_f64_e32 vcc, 0, v[140:141]
	v_cmp_neq_f64_e64 s[2:3], 0, v[142:143]
	s_or_b64 s[2:3], vcc, s[2:3]
	s_and_b64 exec, exec, s[2:3]
	s_cbranch_execz .LBB51_89
; %bb.84:
	v_cmp_ngt_f64_e64 s[2:3], |v[140:141]|, |v[142:143]|
                                        ; implicit-def: $vgpr144_vgpr145
	s_and_saveexec_b64 s[10:11], s[2:3]
	s_xor_b64 s[2:3], exec, s[10:11]
                                        ; implicit-def: $vgpr146_vgpr147
	s_cbranch_execz .LBB51_86
; %bb.85:
	v_div_scale_f64 v[144:145], s[10:11], v[142:143], v[142:143], v[140:141]
	v_rcp_f64_e32 v[146:147], v[144:145]
	v_div_scale_f64 v[148:149], vcc, v[140:141], v[142:143], v[140:141]
	v_fma_f64 v[150:151], -v[144:145], v[146:147], 1.0
	v_fmac_f64_e32 v[146:147], v[146:147], v[150:151]
	v_fma_f64 v[150:151], -v[144:145], v[146:147], 1.0
	v_fmac_f64_e32 v[146:147], v[146:147], v[150:151]
	v_mul_f64 v[150:151], v[148:149], v[146:147]
	v_fma_f64 v[144:145], -v[144:145], v[150:151], v[148:149]
	v_div_fmas_f64 v[144:145], v[144:145], v[146:147], v[150:151]
	v_div_fixup_f64 v[144:145], v[144:145], v[142:143], v[140:141]
	v_fmac_f64_e32 v[142:143], v[140:141], v[144:145]
	v_div_scale_f64 v[140:141], s[10:11], v[142:143], v[142:143], 1.0
	v_rcp_f64_e32 v[146:147], v[140:141]
	s_nop 0
	v_fma_f64 v[148:149], -v[140:141], v[146:147], 1.0
	v_fmac_f64_e32 v[146:147], v[146:147], v[148:149]
	v_fma_f64 v[148:149], -v[140:141], v[146:147], 1.0
	v_fmac_f64_e32 v[146:147], v[146:147], v[148:149]
	v_div_scale_f64 v[148:149], vcc, 1.0, v[142:143], 1.0
	v_mul_f64 v[150:151], v[148:149], v[146:147]
	v_fma_f64 v[140:141], -v[140:141], v[150:151], v[148:149]
	s_nop 1
	v_div_fmas_f64 v[140:141], v[140:141], v[146:147], v[150:151]
	v_div_fixup_f64 v[146:147], v[140:141], v[142:143], 1.0
	v_mul_f64 v[144:145], v[144:145], v[146:147]
	v_xor_b32_e32 v147, 0x80000000, v147
                                        ; implicit-def: $vgpr140_vgpr141
.LBB51_86:
	s_andn2_saveexec_b64 s[2:3], s[2:3]
	s_cbranch_execz .LBB51_88
; %bb.87:
	v_div_scale_f64 v[144:145], s[10:11], v[140:141], v[140:141], v[142:143]
	v_rcp_f64_e32 v[146:147], v[144:145]
	v_div_scale_f64 v[148:149], vcc, v[142:143], v[140:141], v[142:143]
	v_fma_f64 v[150:151], -v[144:145], v[146:147], 1.0
	v_fmac_f64_e32 v[146:147], v[146:147], v[150:151]
	v_fma_f64 v[150:151], -v[144:145], v[146:147], 1.0
	v_fmac_f64_e32 v[146:147], v[146:147], v[150:151]
	v_mul_f64 v[150:151], v[148:149], v[146:147]
	v_fma_f64 v[144:145], -v[144:145], v[150:151], v[148:149]
	v_div_fmas_f64 v[144:145], v[144:145], v[146:147], v[150:151]
	v_div_fixup_f64 v[146:147], v[144:145], v[140:141], v[142:143]
	v_fmac_f64_e32 v[140:141], v[142:143], v[146:147]
	v_div_scale_f64 v[142:143], s[10:11], v[140:141], v[140:141], 1.0
	v_rcp_f64_e32 v[144:145], v[142:143]
	s_nop 0
	v_fma_f64 v[148:149], -v[142:143], v[144:145], 1.0
	v_fmac_f64_e32 v[144:145], v[144:145], v[148:149]
	v_fma_f64 v[148:149], -v[142:143], v[144:145], 1.0
	v_fmac_f64_e32 v[144:145], v[144:145], v[148:149]
	v_div_scale_f64 v[148:149], vcc, 1.0, v[140:141], 1.0
	v_mul_f64 v[150:151], v[148:149], v[144:145]
	v_fma_f64 v[142:143], -v[142:143], v[150:151], v[148:149]
	s_nop 1
	v_div_fmas_f64 v[142:143], v[142:143], v[144:145], v[150:151]
	v_div_fixup_f64 v[144:145], v[142:143], v[140:141], 1.0
	v_mul_f64 v[146:147], v[146:147], -v[144:145]
.LBB51_88:
	s_or_b64 exec, exec, s[2:3]
	ds_write2_b64 v217, v[144:145], v[146:147] offset1:1
.LBB51_89:
	s_or_b64 exec, exec, s[4:5]
	s_waitcnt lgkmcnt(0)
	s_barrier
	ds_read2_b64 v[140:143], v217 offset1:1
	v_cmp_lt_u32_e32 vcc, 9, v216
	s_and_saveexec_b64 s[2:3], vcc
	s_cbranch_execz .LBB51_91
; %bb.90:
	ds_read2_b64 v[146:149], v218 offset0:20 offset1:21
	ds_read2_b64 v[150:153], v218 offset0:22 offset1:23
	s_waitcnt vmcnt(21) lgkmcnt(2)
	v_mul_f64 v[144:145], v[140:141], v[62:63]
	v_fmac_f64_e32 v[144:145], v[142:143], v[60:61]
	v_mul_f64 v[62:63], v[142:143], v[62:63]
	v_fma_f64 v[60:61], v[140:141], v[60:61], -v[62:63]
	s_waitcnt lgkmcnt(1)
	v_mul_f64 v[62:63], v[148:149], v[144:145]
	v_fma_f64 v[62:63], v[146:147], v[60:61], -v[62:63]
	v_mul_f64 v[146:147], v[146:147], v[144:145]
	v_fmac_f64_e32 v[146:147], v[148:149], v[60:61]
	s_waitcnt vmcnt(20)
	v_add_f64 v[56:57], v[56:57], -v[62:63]
	v_add_f64 v[58:59], v[58:59], -v[146:147]
	s_waitcnt lgkmcnt(0)
	v_mul_f64 v[62:63], v[152:153], v[144:145]
	ds_read2_b64 v[146:149], v218 offset0:24 offset1:25
	v_fma_f64 v[62:63], v[150:151], v[60:61], -v[62:63]
	v_mul_f64 v[150:151], v[150:151], v[144:145]
	v_fmac_f64_e32 v[150:151], v[152:153], v[60:61]
	s_waitcnt vmcnt(19)
	v_add_f64 v[54:55], v[54:55], -v[150:151]
	ds_read2_b64 v[150:153], v218 offset0:26 offset1:27
	v_add_f64 v[52:53], v[52:53], -v[62:63]
	s_waitcnt lgkmcnt(1)
	v_mul_f64 v[62:63], v[148:149], v[144:145]
	v_fma_f64 v[62:63], v[146:147], v[60:61], -v[62:63]
	v_mul_f64 v[146:147], v[146:147], v[144:145]
	v_fmac_f64_e32 v[146:147], v[148:149], v[60:61]
	s_waitcnt vmcnt(18)
	v_add_f64 v[48:49], v[48:49], -v[62:63]
	v_add_f64 v[50:51], v[50:51], -v[146:147]
	s_waitcnt lgkmcnt(0)
	v_mul_f64 v[62:63], v[152:153], v[144:145]
	ds_read2_b64 v[146:149], v218 offset0:28 offset1:29
	v_fma_f64 v[62:63], v[150:151], v[60:61], -v[62:63]
	v_mul_f64 v[150:151], v[150:151], v[144:145]
	v_fmac_f64_e32 v[150:151], v[152:153], v[60:61]
	s_waitcnt vmcnt(17)
	v_add_f64 v[46:47], v[46:47], -v[150:151]
	ds_read2_b64 v[150:153], v218 offset0:30 offset1:31
	v_add_f64 v[44:45], v[44:45], -v[62:63]
	s_waitcnt lgkmcnt(1)
	v_mul_f64 v[62:63], v[148:149], v[144:145]
	v_fma_f64 v[62:63], v[146:147], v[60:61], -v[62:63]
	v_mul_f64 v[146:147], v[146:147], v[144:145]
	v_fmac_f64_e32 v[146:147], v[148:149], v[60:61]
	s_waitcnt vmcnt(16)
	v_add_f64 v[40:41], v[40:41], -v[62:63]
	v_add_f64 v[42:43], v[42:43], -v[146:147]
	s_waitcnt lgkmcnt(0)
	v_mul_f64 v[62:63], v[152:153], v[144:145]
	ds_read2_b64 v[146:149], v218 offset0:32 offset1:33
	v_fma_f64 v[62:63], v[150:151], v[60:61], -v[62:63]
	v_mul_f64 v[150:151], v[150:151], v[144:145]
	v_fmac_f64_e32 v[150:151], v[152:153], v[60:61]
	s_waitcnt vmcnt(15)
	v_add_f64 v[38:39], v[38:39], -v[150:151]
	ds_read2_b64 v[150:153], v218 offset0:34 offset1:35
	v_add_f64 v[36:37], v[36:37], -v[62:63]
	s_waitcnt lgkmcnt(1)
	v_mul_f64 v[62:63], v[148:149], v[144:145]
	v_fma_f64 v[62:63], v[146:147], v[60:61], -v[62:63]
	v_mul_f64 v[146:147], v[146:147], v[144:145]
	v_fmac_f64_e32 v[146:147], v[148:149], v[60:61]
	s_waitcnt vmcnt(14)
	v_add_f64 v[32:33], v[32:33], -v[62:63]
	v_add_f64 v[34:35], v[34:35], -v[146:147]
	s_waitcnt lgkmcnt(0)
	v_mul_f64 v[62:63], v[152:153], v[144:145]
	ds_read2_b64 v[146:149], v218 offset0:36 offset1:37
	v_fma_f64 v[62:63], v[150:151], v[60:61], -v[62:63]
	v_mul_f64 v[150:151], v[150:151], v[144:145]
	v_fmac_f64_e32 v[150:151], v[152:153], v[60:61]
	s_waitcnt vmcnt(13)
	v_add_f64 v[30:31], v[30:31], -v[150:151]
	ds_read2_b64 v[150:153], v218 offset0:38 offset1:39
	v_add_f64 v[28:29], v[28:29], -v[62:63]
	s_waitcnt lgkmcnt(1)
	v_mul_f64 v[62:63], v[148:149], v[144:145]
	v_fma_f64 v[62:63], v[146:147], v[60:61], -v[62:63]
	v_mul_f64 v[146:147], v[146:147], v[144:145]
	v_fmac_f64_e32 v[146:147], v[148:149], v[60:61]
	s_waitcnt vmcnt(12)
	v_add_f64 v[24:25], v[24:25], -v[62:63]
	v_add_f64 v[26:27], v[26:27], -v[146:147]
	s_waitcnt lgkmcnt(0)
	v_mul_f64 v[62:63], v[152:153], v[144:145]
	ds_read2_b64 v[146:149], v218 offset0:40 offset1:41
	v_fma_f64 v[62:63], v[150:151], v[60:61], -v[62:63]
	v_mul_f64 v[150:151], v[150:151], v[144:145]
	v_fmac_f64_e32 v[150:151], v[152:153], v[60:61]
	s_waitcnt vmcnt(11)
	v_add_f64 v[22:23], v[22:23], -v[150:151]
	ds_read2_b64 v[150:153], v218 offset0:42 offset1:43
	v_add_f64 v[20:21], v[20:21], -v[62:63]
	s_waitcnt lgkmcnt(1)
	v_mul_f64 v[62:63], v[148:149], v[144:145]
	v_fma_f64 v[62:63], v[146:147], v[60:61], -v[62:63]
	v_mul_f64 v[146:147], v[146:147], v[144:145]
	v_fmac_f64_e32 v[146:147], v[148:149], v[60:61]
	s_waitcnt vmcnt(10)
	v_add_f64 v[16:17], v[16:17], -v[62:63]
	v_add_f64 v[18:19], v[18:19], -v[146:147]
	s_waitcnt lgkmcnt(0)
	v_mul_f64 v[62:63], v[152:153], v[144:145]
	ds_read2_b64 v[146:149], v218 offset0:44 offset1:45
	v_fma_f64 v[62:63], v[150:151], v[60:61], -v[62:63]
	v_mul_f64 v[150:151], v[150:151], v[144:145]
	v_fmac_f64_e32 v[150:151], v[152:153], v[60:61]
	s_waitcnt vmcnt(8)
	v_add_f64 v[14:15], v[14:15], -v[150:151]
	ds_read2_b64 v[150:153], v218 offset0:46 offset1:47
	v_add_f64 v[12:13], v[12:13], -v[62:63]
	s_waitcnt lgkmcnt(1)
	v_mul_f64 v[62:63], v[148:149], v[144:145]
	v_fma_f64 v[62:63], v[146:147], v[60:61], -v[62:63]
	v_mul_f64 v[146:147], v[146:147], v[144:145]
	v_fmac_f64_e32 v[146:147], v[148:149], v[60:61]
	s_waitcnt vmcnt(7)
	v_add_f64 v[8:9], v[8:9], -v[62:63]
	v_add_f64 v[10:11], v[10:11], -v[146:147]
	s_waitcnt lgkmcnt(0)
	v_mul_f64 v[62:63], v[152:153], v[144:145]
	ds_read2_b64 v[146:149], v218 offset0:48 offset1:49
	v_fma_f64 v[62:63], v[150:151], v[60:61], -v[62:63]
	v_mul_f64 v[150:151], v[150:151], v[144:145]
	v_fmac_f64_e32 v[150:151], v[152:153], v[60:61]
	s_waitcnt vmcnt(3)
	v_add_f64 v[6:7], v[6:7], -v[150:151]
	ds_read2_b64 v[150:153], v218 offset0:50 offset1:51
	v_add_f64 v[4:5], v[4:5], -v[62:63]
	s_waitcnt lgkmcnt(1)
	v_mul_f64 v[62:63], v[148:149], v[144:145]
	v_fma_f64 v[62:63], v[146:147], v[60:61], -v[62:63]
	v_mul_f64 v[146:147], v[146:147], v[144:145]
	v_fmac_f64_e32 v[146:147], v[148:149], v[60:61]
	v_add_f64 v[0:1], v[0:1], -v[62:63]
	v_add_f64 v[2:3], v[2:3], -v[146:147]
	s_waitcnt lgkmcnt(0)
	v_mul_f64 v[62:63], v[152:153], v[144:145]
	v_mul_f64 v[146:147], v[150:151], v[144:145]
	v_fma_f64 v[62:63], v[150:151], v[60:61], -v[62:63]
	v_fmac_f64_e32 v[146:147], v[152:153], v[60:61]
	s_waitcnt vmcnt(1)
	v_add_f64 v[100:101], v[100:101], -v[62:63]
	v_add_f64 v[102:103], v[102:103], -v[146:147]
	v_mov_b64_e32 v[62:63], v[144:145]
.LBB51_91:
	s_or_b64 exec, exec, s[2:3]
	v_cmp_eq_u32_e32 vcc, 10, v216
	s_waitcnt lgkmcnt(0)
	s_barrier
	s_and_saveexec_b64 s[4:5], vcc
	s_cbranch_execz .LBB51_98
; %bb.92:
	s_waitcnt vmcnt(20)
	ds_write2_b64 v217, v[56:57], v[58:59] offset1:1
	s_waitcnt vmcnt(19)
	ds_write2_b64 v218, v[52:53], v[54:55] offset0:22 offset1:23
	s_waitcnt vmcnt(18)
	ds_write2_b64 v218, v[48:49], v[50:51] offset0:24 offset1:25
	;; [unrolled: 2-line block ×13, first 2 shown]
	ds_write2_b64 v218, v[0:1], v[2:3] offset0:48 offset1:49
	s_waitcnt vmcnt(1)
	ds_write2_b64 v218, v[100:101], v[102:103] offset0:50 offset1:51
	ds_read2_b64 v[144:147], v217 offset1:1
	s_waitcnt lgkmcnt(0)
	v_cmp_neq_f64_e32 vcc, 0, v[144:145]
	v_cmp_neq_f64_e64 s[2:3], 0, v[146:147]
	s_or_b64 s[2:3], vcc, s[2:3]
	s_and_b64 exec, exec, s[2:3]
	s_cbranch_execz .LBB51_98
; %bb.93:
	v_cmp_ngt_f64_e64 s[2:3], |v[144:145]|, |v[146:147]|
                                        ; implicit-def: $vgpr148_vgpr149
	s_and_saveexec_b64 s[10:11], s[2:3]
	s_xor_b64 s[2:3], exec, s[10:11]
                                        ; implicit-def: $vgpr150_vgpr151
	s_cbranch_execz .LBB51_95
; %bb.94:
	v_div_scale_f64 v[148:149], s[10:11], v[146:147], v[146:147], v[144:145]
	v_rcp_f64_e32 v[150:151], v[148:149]
	v_div_scale_f64 v[152:153], vcc, v[144:145], v[146:147], v[144:145]
	v_fma_f64 v[154:155], -v[148:149], v[150:151], 1.0
	v_fmac_f64_e32 v[150:151], v[150:151], v[154:155]
	v_fma_f64 v[154:155], -v[148:149], v[150:151], 1.0
	v_fmac_f64_e32 v[150:151], v[150:151], v[154:155]
	v_mul_f64 v[154:155], v[152:153], v[150:151]
	v_fma_f64 v[148:149], -v[148:149], v[154:155], v[152:153]
	v_div_fmas_f64 v[148:149], v[148:149], v[150:151], v[154:155]
	v_div_fixup_f64 v[148:149], v[148:149], v[146:147], v[144:145]
	v_fmac_f64_e32 v[146:147], v[144:145], v[148:149]
	v_div_scale_f64 v[144:145], s[10:11], v[146:147], v[146:147], 1.0
	v_rcp_f64_e32 v[150:151], v[144:145]
	s_nop 0
	v_fma_f64 v[152:153], -v[144:145], v[150:151], 1.0
	v_fmac_f64_e32 v[150:151], v[150:151], v[152:153]
	v_fma_f64 v[152:153], -v[144:145], v[150:151], 1.0
	v_fmac_f64_e32 v[150:151], v[150:151], v[152:153]
	v_div_scale_f64 v[152:153], vcc, 1.0, v[146:147], 1.0
	v_mul_f64 v[154:155], v[152:153], v[150:151]
	v_fma_f64 v[144:145], -v[144:145], v[154:155], v[152:153]
	s_nop 1
	v_div_fmas_f64 v[144:145], v[144:145], v[150:151], v[154:155]
	v_div_fixup_f64 v[150:151], v[144:145], v[146:147], 1.0
	v_mul_f64 v[148:149], v[148:149], v[150:151]
	v_xor_b32_e32 v151, 0x80000000, v151
                                        ; implicit-def: $vgpr144_vgpr145
.LBB51_95:
	s_andn2_saveexec_b64 s[2:3], s[2:3]
	s_cbranch_execz .LBB51_97
; %bb.96:
	v_div_scale_f64 v[148:149], s[10:11], v[144:145], v[144:145], v[146:147]
	v_rcp_f64_e32 v[150:151], v[148:149]
	v_div_scale_f64 v[152:153], vcc, v[146:147], v[144:145], v[146:147]
	v_fma_f64 v[154:155], -v[148:149], v[150:151], 1.0
	v_fmac_f64_e32 v[150:151], v[150:151], v[154:155]
	v_fma_f64 v[154:155], -v[148:149], v[150:151], 1.0
	v_fmac_f64_e32 v[150:151], v[150:151], v[154:155]
	v_mul_f64 v[154:155], v[152:153], v[150:151]
	v_fma_f64 v[148:149], -v[148:149], v[154:155], v[152:153]
	v_div_fmas_f64 v[148:149], v[148:149], v[150:151], v[154:155]
	v_div_fixup_f64 v[150:151], v[148:149], v[144:145], v[146:147]
	v_fmac_f64_e32 v[144:145], v[146:147], v[150:151]
	v_div_scale_f64 v[146:147], s[10:11], v[144:145], v[144:145], 1.0
	v_rcp_f64_e32 v[148:149], v[146:147]
	s_nop 0
	v_fma_f64 v[152:153], -v[146:147], v[148:149], 1.0
	v_fmac_f64_e32 v[148:149], v[148:149], v[152:153]
	v_fma_f64 v[152:153], -v[146:147], v[148:149], 1.0
	v_fmac_f64_e32 v[148:149], v[148:149], v[152:153]
	v_div_scale_f64 v[152:153], vcc, 1.0, v[144:145], 1.0
	v_mul_f64 v[154:155], v[152:153], v[148:149]
	v_fma_f64 v[146:147], -v[146:147], v[154:155], v[152:153]
	s_nop 1
	v_div_fmas_f64 v[146:147], v[146:147], v[148:149], v[154:155]
	v_div_fixup_f64 v[148:149], v[146:147], v[144:145], 1.0
	v_mul_f64 v[150:151], v[150:151], -v[148:149]
.LBB51_97:
	s_or_b64 exec, exec, s[2:3]
	ds_write2_b64 v217, v[148:149], v[150:151] offset1:1
.LBB51_98:
	s_or_b64 exec, exec, s[4:5]
	s_waitcnt lgkmcnt(0)
	s_barrier
	ds_read2_b64 v[144:147], v217 offset1:1
	v_cmp_lt_u32_e32 vcc, 10, v216
	s_and_saveexec_b64 s[2:3], vcc
	s_cbranch_execz .LBB51_100
; %bb.99:
	ds_read2_b64 v[150:153], v218 offset0:22 offset1:23
	ds_read2_b64 v[154:157], v218 offset0:24 offset1:25
	s_waitcnt vmcnt(20) lgkmcnt(2)
	v_mul_f64 v[148:149], v[144:145], v[58:59]
	v_fmac_f64_e32 v[148:149], v[146:147], v[56:57]
	v_mul_f64 v[58:59], v[146:147], v[58:59]
	v_fma_f64 v[56:57], v[144:145], v[56:57], -v[58:59]
	s_waitcnt lgkmcnt(1)
	v_mul_f64 v[58:59], v[152:153], v[148:149]
	v_fma_f64 v[58:59], v[150:151], v[56:57], -v[58:59]
	v_mul_f64 v[150:151], v[150:151], v[148:149]
	v_fmac_f64_e32 v[150:151], v[152:153], v[56:57]
	s_waitcnt vmcnt(19)
	v_add_f64 v[54:55], v[54:55], -v[150:151]
	ds_read2_b64 v[150:153], v218 offset0:26 offset1:27
	v_add_f64 v[52:53], v[52:53], -v[58:59]
	s_waitcnt lgkmcnt(1)
	v_mul_f64 v[58:59], v[156:157], v[148:149]
	v_fma_f64 v[58:59], v[154:155], v[56:57], -v[58:59]
	v_mul_f64 v[154:155], v[154:155], v[148:149]
	v_fmac_f64_e32 v[154:155], v[156:157], v[56:57]
	s_waitcnt vmcnt(18)
	v_add_f64 v[48:49], v[48:49], -v[58:59]
	v_add_f64 v[50:51], v[50:51], -v[154:155]
	ds_read2_b64 v[154:157], v218 offset0:28 offset1:29
	s_waitcnt lgkmcnt(1)
	v_mul_f64 v[58:59], v[152:153], v[148:149]
	v_fma_f64 v[58:59], v[150:151], v[56:57], -v[58:59]
	v_mul_f64 v[150:151], v[150:151], v[148:149]
	v_fmac_f64_e32 v[150:151], v[152:153], v[56:57]
	s_waitcnt vmcnt(17)
	v_add_f64 v[46:47], v[46:47], -v[150:151]
	ds_read2_b64 v[150:153], v218 offset0:30 offset1:31
	v_add_f64 v[44:45], v[44:45], -v[58:59]
	s_waitcnt lgkmcnt(1)
	v_mul_f64 v[58:59], v[156:157], v[148:149]
	v_fma_f64 v[58:59], v[154:155], v[56:57], -v[58:59]
	v_mul_f64 v[154:155], v[154:155], v[148:149]
	v_fmac_f64_e32 v[154:155], v[156:157], v[56:57]
	s_waitcnt vmcnt(16)
	v_add_f64 v[40:41], v[40:41], -v[58:59]
	v_add_f64 v[42:43], v[42:43], -v[154:155]
	ds_read2_b64 v[154:157], v218 offset0:32 offset1:33
	;; [unrolled: 18-line block ×6, first 2 shown]
	s_waitcnt lgkmcnt(1)
	v_mul_f64 v[58:59], v[152:153], v[148:149]
	v_fma_f64 v[58:59], v[150:151], v[56:57], -v[58:59]
	v_mul_f64 v[150:151], v[150:151], v[148:149]
	v_fmac_f64_e32 v[150:151], v[152:153], v[56:57]
	s_waitcnt vmcnt(3)
	v_add_f64 v[6:7], v[6:7], -v[150:151]
	ds_read2_b64 v[150:153], v218 offset0:50 offset1:51
	v_add_f64 v[4:5], v[4:5], -v[58:59]
	s_waitcnt lgkmcnt(1)
	v_mul_f64 v[58:59], v[156:157], v[148:149]
	v_fma_f64 v[58:59], v[154:155], v[56:57], -v[58:59]
	v_add_f64 v[0:1], v[0:1], -v[58:59]
	s_waitcnt lgkmcnt(0)
	v_mul_f64 v[58:59], v[152:153], v[148:149]
	v_mul_f64 v[154:155], v[154:155], v[148:149]
	v_fma_f64 v[58:59], v[150:151], v[56:57], -v[58:59]
	v_mul_f64 v[150:151], v[150:151], v[148:149]
	v_fmac_f64_e32 v[154:155], v[156:157], v[56:57]
	v_fmac_f64_e32 v[150:151], v[152:153], v[56:57]
	v_add_f64 v[2:3], v[2:3], -v[154:155]
	s_waitcnt vmcnt(1)
	v_add_f64 v[100:101], v[100:101], -v[58:59]
	v_add_f64 v[102:103], v[102:103], -v[150:151]
	v_mov_b64_e32 v[58:59], v[148:149]
.LBB51_100:
	s_or_b64 exec, exec, s[2:3]
	v_cmp_eq_u32_e32 vcc, 11, v216
	s_waitcnt lgkmcnt(0)
	s_barrier
	s_and_saveexec_b64 s[4:5], vcc
	s_cbranch_execz .LBB51_107
; %bb.101:
	s_waitcnt vmcnt(19)
	ds_write2_b64 v217, v[52:53], v[54:55] offset1:1
	s_waitcnt vmcnt(18)
	ds_write2_b64 v218, v[48:49], v[50:51] offset0:24 offset1:25
	s_waitcnt vmcnt(17)
	ds_write2_b64 v218, v[44:45], v[46:47] offset0:26 offset1:27
	;; [unrolled: 2-line block ×12, first 2 shown]
	ds_write2_b64 v218, v[0:1], v[2:3] offset0:48 offset1:49
	s_waitcnt vmcnt(1)
	ds_write2_b64 v218, v[100:101], v[102:103] offset0:50 offset1:51
	ds_read2_b64 v[148:151], v217 offset1:1
	s_waitcnt lgkmcnt(0)
	v_cmp_neq_f64_e32 vcc, 0, v[148:149]
	v_cmp_neq_f64_e64 s[2:3], 0, v[150:151]
	s_or_b64 s[2:3], vcc, s[2:3]
	s_and_b64 exec, exec, s[2:3]
	s_cbranch_execz .LBB51_107
; %bb.102:
	v_cmp_ngt_f64_e64 s[2:3], |v[148:149]|, |v[150:151]|
                                        ; implicit-def: $vgpr152_vgpr153
	s_and_saveexec_b64 s[10:11], s[2:3]
	s_xor_b64 s[2:3], exec, s[10:11]
                                        ; implicit-def: $vgpr154_vgpr155
	s_cbranch_execz .LBB51_104
; %bb.103:
	v_div_scale_f64 v[152:153], s[10:11], v[150:151], v[150:151], v[148:149]
	v_rcp_f64_e32 v[154:155], v[152:153]
	v_div_scale_f64 v[156:157], vcc, v[148:149], v[150:151], v[148:149]
	v_fma_f64 v[158:159], -v[152:153], v[154:155], 1.0
	v_fmac_f64_e32 v[154:155], v[154:155], v[158:159]
	v_fma_f64 v[158:159], -v[152:153], v[154:155], 1.0
	v_fmac_f64_e32 v[154:155], v[154:155], v[158:159]
	v_mul_f64 v[158:159], v[156:157], v[154:155]
	v_fma_f64 v[152:153], -v[152:153], v[158:159], v[156:157]
	v_div_fmas_f64 v[152:153], v[152:153], v[154:155], v[158:159]
	v_div_fixup_f64 v[152:153], v[152:153], v[150:151], v[148:149]
	v_fmac_f64_e32 v[150:151], v[148:149], v[152:153]
	v_div_scale_f64 v[148:149], s[10:11], v[150:151], v[150:151], 1.0
	v_rcp_f64_e32 v[154:155], v[148:149]
	s_nop 0
	v_fma_f64 v[156:157], -v[148:149], v[154:155], 1.0
	v_fmac_f64_e32 v[154:155], v[154:155], v[156:157]
	v_fma_f64 v[156:157], -v[148:149], v[154:155], 1.0
	v_fmac_f64_e32 v[154:155], v[154:155], v[156:157]
	v_div_scale_f64 v[156:157], vcc, 1.0, v[150:151], 1.0
	v_mul_f64 v[158:159], v[156:157], v[154:155]
	v_fma_f64 v[148:149], -v[148:149], v[158:159], v[156:157]
	s_nop 1
	v_div_fmas_f64 v[148:149], v[148:149], v[154:155], v[158:159]
	v_div_fixup_f64 v[154:155], v[148:149], v[150:151], 1.0
	v_mul_f64 v[152:153], v[152:153], v[154:155]
	v_xor_b32_e32 v155, 0x80000000, v155
                                        ; implicit-def: $vgpr148_vgpr149
.LBB51_104:
	s_andn2_saveexec_b64 s[2:3], s[2:3]
	s_cbranch_execz .LBB51_106
; %bb.105:
	v_div_scale_f64 v[152:153], s[10:11], v[148:149], v[148:149], v[150:151]
	v_rcp_f64_e32 v[154:155], v[152:153]
	v_div_scale_f64 v[156:157], vcc, v[150:151], v[148:149], v[150:151]
	v_fma_f64 v[158:159], -v[152:153], v[154:155], 1.0
	v_fmac_f64_e32 v[154:155], v[154:155], v[158:159]
	v_fma_f64 v[158:159], -v[152:153], v[154:155], 1.0
	v_fmac_f64_e32 v[154:155], v[154:155], v[158:159]
	v_mul_f64 v[158:159], v[156:157], v[154:155]
	v_fma_f64 v[152:153], -v[152:153], v[158:159], v[156:157]
	v_div_fmas_f64 v[152:153], v[152:153], v[154:155], v[158:159]
	v_div_fixup_f64 v[154:155], v[152:153], v[148:149], v[150:151]
	v_fmac_f64_e32 v[148:149], v[150:151], v[154:155]
	v_div_scale_f64 v[150:151], s[10:11], v[148:149], v[148:149], 1.0
	v_rcp_f64_e32 v[152:153], v[150:151]
	s_nop 0
	v_fma_f64 v[156:157], -v[150:151], v[152:153], 1.0
	v_fmac_f64_e32 v[152:153], v[152:153], v[156:157]
	v_fma_f64 v[156:157], -v[150:151], v[152:153], 1.0
	v_fmac_f64_e32 v[152:153], v[152:153], v[156:157]
	v_div_scale_f64 v[156:157], vcc, 1.0, v[148:149], 1.0
	v_mul_f64 v[158:159], v[156:157], v[152:153]
	v_fma_f64 v[150:151], -v[150:151], v[158:159], v[156:157]
	s_nop 1
	v_div_fmas_f64 v[150:151], v[150:151], v[152:153], v[158:159]
	v_div_fixup_f64 v[152:153], v[150:151], v[148:149], 1.0
	v_mul_f64 v[154:155], v[154:155], -v[152:153]
.LBB51_106:
	s_or_b64 exec, exec, s[2:3]
	ds_write2_b64 v217, v[152:153], v[154:155] offset1:1
.LBB51_107:
	s_or_b64 exec, exec, s[4:5]
	s_waitcnt lgkmcnt(0)
	s_barrier
	ds_read2_b64 v[148:151], v217 offset1:1
	v_cmp_lt_u32_e32 vcc, 11, v216
	s_and_saveexec_b64 s[2:3], vcc
	s_cbranch_execz .LBB51_109
; %bb.108:
	ds_read2_b64 v[154:157], v218 offset0:24 offset1:25
	ds_read2_b64 v[158:161], v218 offset0:26 offset1:27
	s_waitcnt vmcnt(19) lgkmcnt(2)
	v_mul_f64 v[152:153], v[148:149], v[54:55]
	v_fmac_f64_e32 v[152:153], v[150:151], v[52:53]
	v_mul_f64 v[54:55], v[150:151], v[54:55]
	v_fma_f64 v[52:53], v[148:149], v[52:53], -v[54:55]
	s_waitcnt lgkmcnt(1)
	v_mul_f64 v[54:55], v[156:157], v[152:153]
	v_fma_f64 v[54:55], v[154:155], v[52:53], -v[54:55]
	v_mul_f64 v[154:155], v[154:155], v[152:153]
	v_fmac_f64_e32 v[154:155], v[156:157], v[52:53]
	s_waitcnt vmcnt(18)
	v_add_f64 v[48:49], v[48:49], -v[54:55]
	v_add_f64 v[50:51], v[50:51], -v[154:155]
	s_waitcnt lgkmcnt(0)
	v_mul_f64 v[54:55], v[160:161], v[152:153]
	ds_read2_b64 v[154:157], v218 offset0:28 offset1:29
	v_fma_f64 v[54:55], v[158:159], v[52:53], -v[54:55]
	v_mul_f64 v[158:159], v[158:159], v[152:153]
	v_fmac_f64_e32 v[158:159], v[160:161], v[52:53]
	s_waitcnt vmcnt(17)
	v_add_f64 v[46:47], v[46:47], -v[158:159]
	ds_read2_b64 v[158:161], v218 offset0:30 offset1:31
	v_add_f64 v[44:45], v[44:45], -v[54:55]
	s_waitcnt lgkmcnt(1)
	v_mul_f64 v[54:55], v[156:157], v[152:153]
	v_fma_f64 v[54:55], v[154:155], v[52:53], -v[54:55]
	v_mul_f64 v[154:155], v[154:155], v[152:153]
	v_fmac_f64_e32 v[154:155], v[156:157], v[52:53]
	s_waitcnt vmcnt(16)
	v_add_f64 v[40:41], v[40:41], -v[54:55]
	v_add_f64 v[42:43], v[42:43], -v[154:155]
	s_waitcnt lgkmcnt(0)
	v_mul_f64 v[54:55], v[160:161], v[152:153]
	ds_read2_b64 v[154:157], v218 offset0:32 offset1:33
	v_fma_f64 v[54:55], v[158:159], v[52:53], -v[54:55]
	v_mul_f64 v[158:159], v[158:159], v[152:153]
	v_fmac_f64_e32 v[158:159], v[160:161], v[52:53]
	s_waitcnt vmcnt(15)
	v_add_f64 v[38:39], v[38:39], -v[158:159]
	ds_read2_b64 v[158:161], v218 offset0:34 offset1:35
	v_add_f64 v[36:37], v[36:37], -v[54:55]
	;; [unrolled: 18-line block ×6, first 2 shown]
	s_waitcnt lgkmcnt(1)
	v_mul_f64 v[54:55], v[156:157], v[152:153]
	v_fma_f64 v[54:55], v[154:155], v[52:53], -v[54:55]
	v_mul_f64 v[154:155], v[154:155], v[152:153]
	v_fmac_f64_e32 v[154:155], v[156:157], v[52:53]
	v_add_f64 v[0:1], v[0:1], -v[54:55]
	v_add_f64 v[2:3], v[2:3], -v[154:155]
	s_waitcnt lgkmcnt(0)
	v_mul_f64 v[54:55], v[160:161], v[152:153]
	v_mul_f64 v[154:155], v[158:159], v[152:153]
	v_fma_f64 v[54:55], v[158:159], v[52:53], -v[54:55]
	v_fmac_f64_e32 v[154:155], v[160:161], v[52:53]
	s_waitcnt vmcnt(1)
	v_add_f64 v[100:101], v[100:101], -v[54:55]
	v_add_f64 v[102:103], v[102:103], -v[154:155]
	v_mov_b64_e32 v[54:55], v[152:153]
.LBB51_109:
	s_or_b64 exec, exec, s[2:3]
	v_cmp_eq_u32_e32 vcc, 12, v216
	s_waitcnt lgkmcnt(0)
	s_barrier
	s_and_saveexec_b64 s[4:5], vcc
	s_cbranch_execz .LBB51_116
; %bb.110:
	s_waitcnt vmcnt(18)
	ds_write2_b64 v217, v[48:49], v[50:51] offset1:1
	s_waitcnt vmcnt(17)
	ds_write2_b64 v218, v[44:45], v[46:47] offset0:26 offset1:27
	s_waitcnt vmcnt(16)
	ds_write2_b64 v218, v[40:41], v[42:43] offset0:28 offset1:29
	;; [unrolled: 2-line block ×11, first 2 shown]
	ds_write2_b64 v218, v[0:1], v[2:3] offset0:48 offset1:49
	s_waitcnt vmcnt(1)
	ds_write2_b64 v218, v[100:101], v[102:103] offset0:50 offset1:51
	ds_read2_b64 v[152:155], v217 offset1:1
	s_waitcnt lgkmcnt(0)
	v_cmp_neq_f64_e32 vcc, 0, v[152:153]
	v_cmp_neq_f64_e64 s[2:3], 0, v[154:155]
	s_or_b64 s[2:3], vcc, s[2:3]
	s_and_b64 exec, exec, s[2:3]
	s_cbranch_execz .LBB51_116
; %bb.111:
	v_cmp_ngt_f64_e64 s[2:3], |v[152:153]|, |v[154:155]|
                                        ; implicit-def: $vgpr156_vgpr157
	s_and_saveexec_b64 s[10:11], s[2:3]
	s_xor_b64 s[2:3], exec, s[10:11]
                                        ; implicit-def: $vgpr158_vgpr159
	s_cbranch_execz .LBB51_113
; %bb.112:
	v_div_scale_f64 v[156:157], s[10:11], v[154:155], v[154:155], v[152:153]
	v_rcp_f64_e32 v[158:159], v[156:157]
	v_div_scale_f64 v[160:161], vcc, v[152:153], v[154:155], v[152:153]
	v_fma_f64 v[162:163], -v[156:157], v[158:159], 1.0
	v_fmac_f64_e32 v[158:159], v[158:159], v[162:163]
	v_fma_f64 v[162:163], -v[156:157], v[158:159], 1.0
	v_fmac_f64_e32 v[158:159], v[158:159], v[162:163]
	v_mul_f64 v[162:163], v[160:161], v[158:159]
	v_fma_f64 v[156:157], -v[156:157], v[162:163], v[160:161]
	v_div_fmas_f64 v[156:157], v[156:157], v[158:159], v[162:163]
	v_div_fixup_f64 v[156:157], v[156:157], v[154:155], v[152:153]
	v_fmac_f64_e32 v[154:155], v[152:153], v[156:157]
	v_div_scale_f64 v[152:153], s[10:11], v[154:155], v[154:155], 1.0
	v_rcp_f64_e32 v[158:159], v[152:153]
	s_nop 0
	v_fma_f64 v[160:161], -v[152:153], v[158:159], 1.0
	v_fmac_f64_e32 v[158:159], v[158:159], v[160:161]
	v_fma_f64 v[160:161], -v[152:153], v[158:159], 1.0
	v_fmac_f64_e32 v[158:159], v[158:159], v[160:161]
	v_div_scale_f64 v[160:161], vcc, 1.0, v[154:155], 1.0
	v_mul_f64 v[162:163], v[160:161], v[158:159]
	v_fma_f64 v[152:153], -v[152:153], v[162:163], v[160:161]
	s_nop 1
	v_div_fmas_f64 v[152:153], v[152:153], v[158:159], v[162:163]
	v_div_fixup_f64 v[158:159], v[152:153], v[154:155], 1.0
	v_mul_f64 v[156:157], v[156:157], v[158:159]
	v_xor_b32_e32 v159, 0x80000000, v159
                                        ; implicit-def: $vgpr152_vgpr153
.LBB51_113:
	s_andn2_saveexec_b64 s[2:3], s[2:3]
	s_cbranch_execz .LBB51_115
; %bb.114:
	v_div_scale_f64 v[156:157], s[10:11], v[152:153], v[152:153], v[154:155]
	v_rcp_f64_e32 v[158:159], v[156:157]
	v_div_scale_f64 v[160:161], vcc, v[154:155], v[152:153], v[154:155]
	v_fma_f64 v[162:163], -v[156:157], v[158:159], 1.0
	v_fmac_f64_e32 v[158:159], v[158:159], v[162:163]
	v_fma_f64 v[162:163], -v[156:157], v[158:159], 1.0
	v_fmac_f64_e32 v[158:159], v[158:159], v[162:163]
	v_mul_f64 v[162:163], v[160:161], v[158:159]
	v_fma_f64 v[156:157], -v[156:157], v[162:163], v[160:161]
	v_div_fmas_f64 v[156:157], v[156:157], v[158:159], v[162:163]
	v_div_fixup_f64 v[158:159], v[156:157], v[152:153], v[154:155]
	v_fmac_f64_e32 v[152:153], v[154:155], v[158:159]
	v_div_scale_f64 v[154:155], s[10:11], v[152:153], v[152:153], 1.0
	v_rcp_f64_e32 v[156:157], v[154:155]
	s_nop 0
	v_fma_f64 v[160:161], -v[154:155], v[156:157], 1.0
	v_fmac_f64_e32 v[156:157], v[156:157], v[160:161]
	v_fma_f64 v[160:161], -v[154:155], v[156:157], 1.0
	v_fmac_f64_e32 v[156:157], v[156:157], v[160:161]
	v_div_scale_f64 v[160:161], vcc, 1.0, v[152:153], 1.0
	v_mul_f64 v[162:163], v[160:161], v[156:157]
	v_fma_f64 v[154:155], -v[154:155], v[162:163], v[160:161]
	s_nop 1
	v_div_fmas_f64 v[154:155], v[154:155], v[156:157], v[162:163]
	v_div_fixup_f64 v[156:157], v[154:155], v[152:153], 1.0
	v_mul_f64 v[158:159], v[158:159], -v[156:157]
.LBB51_115:
	s_or_b64 exec, exec, s[2:3]
	ds_write2_b64 v217, v[156:157], v[158:159] offset1:1
.LBB51_116:
	s_or_b64 exec, exec, s[4:5]
	s_waitcnt lgkmcnt(0)
	s_barrier
	ds_read2_b64 v[152:155], v217 offset1:1
	v_cmp_lt_u32_e32 vcc, 12, v216
	s_and_saveexec_b64 s[2:3], vcc
	s_cbranch_execz .LBB51_118
; %bb.117:
	ds_read2_b64 v[156:159], v218 offset0:26 offset1:27
	ds_read2_b64 v[160:163], v218 offset0:28 offset1:29
	s_waitcnt vmcnt(18) lgkmcnt(2)
	v_mul_f64 v[164:165], v[152:153], v[50:51]
	v_fmac_f64_e32 v[164:165], v[154:155], v[48:49]
	v_mul_f64 v[50:51], v[154:155], v[50:51]
	v_fma_f64 v[48:49], v[152:153], v[48:49], -v[50:51]
	s_waitcnt lgkmcnt(1)
	v_mul_f64 v[50:51], v[158:159], v[164:165]
	v_fma_f64 v[50:51], v[156:157], v[48:49], -v[50:51]
	v_mul_f64 v[156:157], v[156:157], v[164:165]
	v_fmac_f64_e32 v[156:157], v[158:159], v[48:49]
	s_waitcnt vmcnt(17)
	v_add_f64 v[46:47], v[46:47], -v[156:157]
	ds_read2_b64 v[156:159], v218 offset0:30 offset1:31
	v_add_f64 v[44:45], v[44:45], -v[50:51]
	s_waitcnt lgkmcnt(1)
	v_mul_f64 v[50:51], v[162:163], v[164:165]
	v_fma_f64 v[50:51], v[160:161], v[48:49], -v[50:51]
	v_mul_f64 v[160:161], v[160:161], v[164:165]
	v_fmac_f64_e32 v[160:161], v[162:163], v[48:49]
	s_waitcnt vmcnt(16)
	v_add_f64 v[40:41], v[40:41], -v[50:51]
	v_add_f64 v[42:43], v[42:43], -v[160:161]
	ds_read2_b64 v[160:163], v218 offset0:32 offset1:33
	s_waitcnt lgkmcnt(1)
	v_mul_f64 v[50:51], v[158:159], v[164:165]
	v_fma_f64 v[50:51], v[156:157], v[48:49], -v[50:51]
	v_mul_f64 v[156:157], v[156:157], v[164:165]
	v_fmac_f64_e32 v[156:157], v[158:159], v[48:49]
	s_waitcnt vmcnt(15)
	v_add_f64 v[38:39], v[38:39], -v[156:157]
	ds_read2_b64 v[156:159], v218 offset0:34 offset1:35
	v_add_f64 v[36:37], v[36:37], -v[50:51]
	s_waitcnt lgkmcnt(1)
	v_mul_f64 v[50:51], v[162:163], v[164:165]
	v_fma_f64 v[50:51], v[160:161], v[48:49], -v[50:51]
	v_mul_f64 v[160:161], v[160:161], v[164:165]
	v_fmac_f64_e32 v[160:161], v[162:163], v[48:49]
	s_waitcnt vmcnt(14)
	v_add_f64 v[32:33], v[32:33], -v[50:51]
	v_add_f64 v[34:35], v[34:35], -v[160:161]
	ds_read2_b64 v[160:163], v218 offset0:36 offset1:37
	;; [unrolled: 18-line block ×5, first 2 shown]
	s_waitcnt lgkmcnt(1)
	v_mul_f64 v[50:51], v[158:159], v[164:165]
	v_fma_f64 v[50:51], v[156:157], v[48:49], -v[50:51]
	v_mul_f64 v[156:157], v[156:157], v[164:165]
	v_fmac_f64_e32 v[156:157], v[158:159], v[48:49]
	s_waitcnt vmcnt(3)
	v_add_f64 v[6:7], v[6:7], -v[156:157]
	ds_read2_b64 v[156:159], v218 offset0:50 offset1:51
	v_add_f64 v[4:5], v[4:5], -v[50:51]
	s_waitcnt lgkmcnt(1)
	v_mul_f64 v[50:51], v[162:163], v[164:165]
	v_fma_f64 v[50:51], v[160:161], v[48:49], -v[50:51]
	v_add_f64 v[0:1], v[0:1], -v[50:51]
	s_waitcnt lgkmcnt(0)
	v_mul_f64 v[50:51], v[158:159], v[164:165]
	v_mul_f64 v[160:161], v[160:161], v[164:165]
	v_fma_f64 v[50:51], v[156:157], v[48:49], -v[50:51]
	v_mul_f64 v[156:157], v[156:157], v[164:165]
	v_fmac_f64_e32 v[160:161], v[162:163], v[48:49]
	v_fmac_f64_e32 v[156:157], v[158:159], v[48:49]
	v_add_f64 v[2:3], v[2:3], -v[160:161]
	s_waitcnt vmcnt(1)
	v_add_f64 v[100:101], v[100:101], -v[50:51]
	v_add_f64 v[102:103], v[102:103], -v[156:157]
	v_mov_b64_e32 v[50:51], v[164:165]
.LBB51_118:
	s_or_b64 exec, exec, s[2:3]
	v_cmp_eq_u32_e32 vcc, 13, v216
	s_waitcnt lgkmcnt(0)
	s_barrier
	s_and_saveexec_b64 s[4:5], vcc
	s_cbranch_execz .LBB51_125
; %bb.119:
	s_waitcnt vmcnt(17)
	ds_write2_b64 v217, v[44:45], v[46:47] offset1:1
	s_waitcnt vmcnt(16)
	ds_write2_b64 v218, v[40:41], v[42:43] offset0:28 offset1:29
	s_waitcnt vmcnt(15)
	ds_write2_b64 v218, v[36:37], v[38:39] offset0:30 offset1:31
	s_waitcnt vmcnt(14)
	ds_write2_b64 v218, v[32:33], v[34:35] offset0:32 offset1:33
	s_waitcnt vmcnt(13)
	ds_write2_b64 v218, v[28:29], v[30:31] offset0:34 offset1:35
	s_waitcnt vmcnt(12)
	ds_write2_b64 v218, v[24:25], v[26:27] offset0:36 offset1:37
	s_waitcnt vmcnt(11)
	ds_write2_b64 v218, v[20:21], v[22:23] offset0:38 offset1:39
	s_waitcnt vmcnt(10)
	ds_write2_b64 v218, v[16:17], v[18:19] offset0:40 offset1:41
	s_waitcnt vmcnt(8)
	ds_write2_b64 v218, v[12:13], v[14:15] offset0:42 offset1:43
	s_waitcnt vmcnt(7)
	ds_write2_b64 v218, v[8:9], v[10:11] offset0:44 offset1:45
	s_waitcnt vmcnt(3)
	ds_write2_b64 v218, v[4:5], v[6:7] offset0:46 offset1:47
	ds_write2_b64 v218, v[0:1], v[2:3] offset0:48 offset1:49
	s_waitcnt vmcnt(1)
	ds_write2_b64 v218, v[100:101], v[102:103] offset0:50 offset1:51
	ds_read2_b64 v[156:159], v217 offset1:1
	s_waitcnt lgkmcnt(0)
	v_cmp_neq_f64_e32 vcc, 0, v[156:157]
	v_cmp_neq_f64_e64 s[2:3], 0, v[158:159]
	s_or_b64 s[2:3], vcc, s[2:3]
	s_and_b64 exec, exec, s[2:3]
	s_cbranch_execz .LBB51_125
; %bb.120:
	v_cmp_ngt_f64_e64 s[2:3], |v[156:157]|, |v[158:159]|
                                        ; implicit-def: $vgpr160_vgpr161
	s_and_saveexec_b64 s[10:11], s[2:3]
	s_xor_b64 s[2:3], exec, s[10:11]
                                        ; implicit-def: $vgpr162_vgpr163
	s_cbranch_execz .LBB51_122
; %bb.121:
	v_div_scale_f64 v[160:161], s[10:11], v[158:159], v[158:159], v[156:157]
	v_rcp_f64_e32 v[162:163], v[160:161]
	v_div_scale_f64 v[164:165], vcc, v[156:157], v[158:159], v[156:157]
	v_fma_f64 v[166:167], -v[160:161], v[162:163], 1.0
	v_fmac_f64_e32 v[162:163], v[162:163], v[166:167]
	v_fma_f64 v[166:167], -v[160:161], v[162:163], 1.0
	v_fmac_f64_e32 v[162:163], v[162:163], v[166:167]
	v_mul_f64 v[166:167], v[164:165], v[162:163]
	v_fma_f64 v[160:161], -v[160:161], v[166:167], v[164:165]
	v_div_fmas_f64 v[160:161], v[160:161], v[162:163], v[166:167]
	v_div_fixup_f64 v[160:161], v[160:161], v[158:159], v[156:157]
	v_fmac_f64_e32 v[158:159], v[156:157], v[160:161]
	v_div_scale_f64 v[156:157], s[10:11], v[158:159], v[158:159], 1.0
	v_rcp_f64_e32 v[162:163], v[156:157]
	s_nop 0
	v_fma_f64 v[164:165], -v[156:157], v[162:163], 1.0
	v_fmac_f64_e32 v[162:163], v[162:163], v[164:165]
	v_fma_f64 v[164:165], -v[156:157], v[162:163], 1.0
	v_fmac_f64_e32 v[162:163], v[162:163], v[164:165]
	v_div_scale_f64 v[164:165], vcc, 1.0, v[158:159], 1.0
	v_mul_f64 v[166:167], v[164:165], v[162:163]
	v_fma_f64 v[156:157], -v[156:157], v[166:167], v[164:165]
	s_nop 1
	v_div_fmas_f64 v[156:157], v[156:157], v[162:163], v[166:167]
	v_div_fixup_f64 v[162:163], v[156:157], v[158:159], 1.0
	v_mul_f64 v[160:161], v[160:161], v[162:163]
	v_xor_b32_e32 v163, 0x80000000, v163
                                        ; implicit-def: $vgpr156_vgpr157
.LBB51_122:
	s_andn2_saveexec_b64 s[2:3], s[2:3]
	s_cbranch_execz .LBB51_124
; %bb.123:
	v_div_scale_f64 v[160:161], s[10:11], v[156:157], v[156:157], v[158:159]
	v_rcp_f64_e32 v[162:163], v[160:161]
	v_div_scale_f64 v[164:165], vcc, v[158:159], v[156:157], v[158:159]
	v_fma_f64 v[166:167], -v[160:161], v[162:163], 1.0
	v_fmac_f64_e32 v[162:163], v[162:163], v[166:167]
	v_fma_f64 v[166:167], -v[160:161], v[162:163], 1.0
	v_fmac_f64_e32 v[162:163], v[162:163], v[166:167]
	v_mul_f64 v[166:167], v[164:165], v[162:163]
	v_fma_f64 v[160:161], -v[160:161], v[166:167], v[164:165]
	v_div_fmas_f64 v[160:161], v[160:161], v[162:163], v[166:167]
	v_div_fixup_f64 v[162:163], v[160:161], v[156:157], v[158:159]
	v_fmac_f64_e32 v[156:157], v[158:159], v[162:163]
	v_div_scale_f64 v[158:159], s[10:11], v[156:157], v[156:157], 1.0
	v_rcp_f64_e32 v[160:161], v[158:159]
	s_nop 0
	v_fma_f64 v[164:165], -v[158:159], v[160:161], 1.0
	v_fmac_f64_e32 v[160:161], v[160:161], v[164:165]
	v_fma_f64 v[164:165], -v[158:159], v[160:161], 1.0
	v_fmac_f64_e32 v[160:161], v[160:161], v[164:165]
	v_div_scale_f64 v[164:165], vcc, 1.0, v[156:157], 1.0
	v_mul_f64 v[166:167], v[164:165], v[160:161]
	v_fma_f64 v[158:159], -v[158:159], v[166:167], v[164:165]
	s_nop 1
	v_div_fmas_f64 v[158:159], v[158:159], v[160:161], v[166:167]
	v_div_fixup_f64 v[160:161], v[158:159], v[156:157], 1.0
	v_mul_f64 v[162:163], v[162:163], -v[160:161]
.LBB51_124:
	s_or_b64 exec, exec, s[2:3]
	ds_write2_b64 v217, v[160:161], v[162:163] offset1:1
.LBB51_125:
	s_or_b64 exec, exec, s[4:5]
	s_waitcnt lgkmcnt(0)
	s_barrier
	ds_read2_b64 v[156:159], v217 offset1:1
	v_cmp_lt_u32_e32 vcc, 13, v216
	s_and_saveexec_b64 s[2:3], vcc
	s_cbranch_execz .LBB51_127
; %bb.126:
	ds_read2_b64 v[160:163], v218 offset0:28 offset1:29
	ds_read2_b64 v[164:167], v218 offset0:30 offset1:31
	s_waitcnt vmcnt(17) lgkmcnt(2)
	v_mul_f64 v[168:169], v[156:157], v[46:47]
	v_fmac_f64_e32 v[168:169], v[158:159], v[44:45]
	v_mul_f64 v[46:47], v[158:159], v[46:47]
	v_fma_f64 v[44:45], v[156:157], v[44:45], -v[46:47]
	s_waitcnt lgkmcnt(1)
	v_mul_f64 v[46:47], v[162:163], v[168:169]
	v_fma_f64 v[46:47], v[160:161], v[44:45], -v[46:47]
	v_mul_f64 v[160:161], v[160:161], v[168:169]
	v_fmac_f64_e32 v[160:161], v[162:163], v[44:45]
	s_waitcnt vmcnt(16)
	v_add_f64 v[40:41], v[40:41], -v[46:47]
	v_add_f64 v[42:43], v[42:43], -v[160:161]
	s_waitcnt lgkmcnt(0)
	v_mul_f64 v[46:47], v[166:167], v[168:169]
	ds_read2_b64 v[160:163], v218 offset0:32 offset1:33
	v_fma_f64 v[46:47], v[164:165], v[44:45], -v[46:47]
	v_mul_f64 v[164:165], v[164:165], v[168:169]
	v_fmac_f64_e32 v[164:165], v[166:167], v[44:45]
	s_waitcnt vmcnt(15)
	v_add_f64 v[38:39], v[38:39], -v[164:165]
	ds_read2_b64 v[164:167], v218 offset0:34 offset1:35
	v_add_f64 v[36:37], v[36:37], -v[46:47]
	s_waitcnt lgkmcnt(1)
	v_mul_f64 v[46:47], v[162:163], v[168:169]
	v_fma_f64 v[46:47], v[160:161], v[44:45], -v[46:47]
	v_mul_f64 v[160:161], v[160:161], v[168:169]
	v_fmac_f64_e32 v[160:161], v[162:163], v[44:45]
	s_waitcnt vmcnt(14)
	v_add_f64 v[32:33], v[32:33], -v[46:47]
	v_add_f64 v[34:35], v[34:35], -v[160:161]
	s_waitcnt lgkmcnt(0)
	v_mul_f64 v[46:47], v[166:167], v[168:169]
	ds_read2_b64 v[160:163], v218 offset0:36 offset1:37
	v_fma_f64 v[46:47], v[164:165], v[44:45], -v[46:47]
	v_mul_f64 v[164:165], v[164:165], v[168:169]
	v_fmac_f64_e32 v[164:165], v[166:167], v[44:45]
	s_waitcnt vmcnt(13)
	v_add_f64 v[30:31], v[30:31], -v[164:165]
	ds_read2_b64 v[164:167], v218 offset0:38 offset1:39
	v_add_f64 v[28:29], v[28:29], -v[46:47]
	;; [unrolled: 18-line block ×5, first 2 shown]
	s_waitcnt lgkmcnt(1)
	v_mul_f64 v[46:47], v[162:163], v[168:169]
	v_fma_f64 v[46:47], v[160:161], v[44:45], -v[46:47]
	v_mul_f64 v[160:161], v[160:161], v[168:169]
	v_fmac_f64_e32 v[160:161], v[162:163], v[44:45]
	v_add_f64 v[0:1], v[0:1], -v[46:47]
	v_add_f64 v[2:3], v[2:3], -v[160:161]
	s_waitcnt lgkmcnt(0)
	v_mul_f64 v[46:47], v[166:167], v[168:169]
	v_mul_f64 v[160:161], v[164:165], v[168:169]
	v_fma_f64 v[46:47], v[164:165], v[44:45], -v[46:47]
	v_fmac_f64_e32 v[160:161], v[166:167], v[44:45]
	s_waitcnt vmcnt(1)
	v_add_f64 v[100:101], v[100:101], -v[46:47]
	v_add_f64 v[102:103], v[102:103], -v[160:161]
	v_mov_b64_e32 v[46:47], v[168:169]
.LBB51_127:
	s_or_b64 exec, exec, s[2:3]
	v_cmp_eq_u32_e32 vcc, 14, v216
	s_waitcnt lgkmcnt(0)
	s_barrier
	s_and_saveexec_b64 s[4:5], vcc
	s_cbranch_execz .LBB51_134
; %bb.128:
	s_waitcnt vmcnt(16)
	ds_write2_b64 v217, v[40:41], v[42:43] offset1:1
	s_waitcnt vmcnt(15)
	ds_write2_b64 v218, v[36:37], v[38:39] offset0:30 offset1:31
	s_waitcnt vmcnt(14)
	ds_write2_b64 v218, v[32:33], v[34:35] offset0:32 offset1:33
	;; [unrolled: 2-line block ×9, first 2 shown]
	ds_write2_b64 v218, v[0:1], v[2:3] offset0:48 offset1:49
	s_waitcnt vmcnt(1)
	ds_write2_b64 v218, v[100:101], v[102:103] offset0:50 offset1:51
	ds_read2_b64 v[160:163], v217 offset1:1
	s_waitcnt lgkmcnt(0)
	v_cmp_neq_f64_e32 vcc, 0, v[160:161]
	v_cmp_neq_f64_e64 s[2:3], 0, v[162:163]
	s_or_b64 s[2:3], vcc, s[2:3]
	s_and_b64 exec, exec, s[2:3]
	s_cbranch_execz .LBB51_134
; %bb.129:
	v_cmp_ngt_f64_e64 s[2:3], |v[160:161]|, |v[162:163]|
                                        ; implicit-def: $vgpr164_vgpr165
	s_and_saveexec_b64 s[10:11], s[2:3]
	s_xor_b64 s[2:3], exec, s[10:11]
                                        ; implicit-def: $vgpr166_vgpr167
	s_cbranch_execz .LBB51_131
; %bb.130:
	v_div_scale_f64 v[164:165], s[10:11], v[162:163], v[162:163], v[160:161]
	v_rcp_f64_e32 v[166:167], v[164:165]
	v_div_scale_f64 v[168:169], vcc, v[160:161], v[162:163], v[160:161]
	v_fma_f64 v[170:171], -v[164:165], v[166:167], 1.0
	v_fmac_f64_e32 v[166:167], v[166:167], v[170:171]
	v_fma_f64 v[170:171], -v[164:165], v[166:167], 1.0
	v_fmac_f64_e32 v[166:167], v[166:167], v[170:171]
	v_mul_f64 v[170:171], v[168:169], v[166:167]
	v_fma_f64 v[164:165], -v[164:165], v[170:171], v[168:169]
	v_div_fmas_f64 v[164:165], v[164:165], v[166:167], v[170:171]
	v_div_fixup_f64 v[164:165], v[164:165], v[162:163], v[160:161]
	v_fmac_f64_e32 v[162:163], v[160:161], v[164:165]
	v_div_scale_f64 v[160:161], s[10:11], v[162:163], v[162:163], 1.0
	v_rcp_f64_e32 v[166:167], v[160:161]
	s_nop 0
	v_fma_f64 v[168:169], -v[160:161], v[166:167], 1.0
	v_fmac_f64_e32 v[166:167], v[166:167], v[168:169]
	v_fma_f64 v[168:169], -v[160:161], v[166:167], 1.0
	v_fmac_f64_e32 v[166:167], v[166:167], v[168:169]
	v_div_scale_f64 v[168:169], vcc, 1.0, v[162:163], 1.0
	v_mul_f64 v[170:171], v[168:169], v[166:167]
	v_fma_f64 v[160:161], -v[160:161], v[170:171], v[168:169]
	s_nop 1
	v_div_fmas_f64 v[160:161], v[160:161], v[166:167], v[170:171]
	v_div_fixup_f64 v[166:167], v[160:161], v[162:163], 1.0
	v_mul_f64 v[164:165], v[164:165], v[166:167]
	v_xor_b32_e32 v167, 0x80000000, v167
                                        ; implicit-def: $vgpr160_vgpr161
.LBB51_131:
	s_andn2_saveexec_b64 s[2:3], s[2:3]
	s_cbranch_execz .LBB51_133
; %bb.132:
	v_div_scale_f64 v[164:165], s[10:11], v[160:161], v[160:161], v[162:163]
	v_rcp_f64_e32 v[166:167], v[164:165]
	v_div_scale_f64 v[168:169], vcc, v[162:163], v[160:161], v[162:163]
	v_fma_f64 v[170:171], -v[164:165], v[166:167], 1.0
	v_fmac_f64_e32 v[166:167], v[166:167], v[170:171]
	v_fma_f64 v[170:171], -v[164:165], v[166:167], 1.0
	v_fmac_f64_e32 v[166:167], v[166:167], v[170:171]
	v_mul_f64 v[170:171], v[168:169], v[166:167]
	v_fma_f64 v[164:165], -v[164:165], v[170:171], v[168:169]
	v_div_fmas_f64 v[164:165], v[164:165], v[166:167], v[170:171]
	v_div_fixup_f64 v[166:167], v[164:165], v[160:161], v[162:163]
	v_fmac_f64_e32 v[160:161], v[162:163], v[166:167]
	v_div_scale_f64 v[162:163], s[10:11], v[160:161], v[160:161], 1.0
	v_rcp_f64_e32 v[164:165], v[162:163]
	s_nop 0
	v_fma_f64 v[168:169], -v[162:163], v[164:165], 1.0
	v_fmac_f64_e32 v[164:165], v[164:165], v[168:169]
	v_fma_f64 v[168:169], -v[162:163], v[164:165], 1.0
	v_fmac_f64_e32 v[164:165], v[164:165], v[168:169]
	v_div_scale_f64 v[168:169], vcc, 1.0, v[160:161], 1.0
	v_mul_f64 v[170:171], v[168:169], v[164:165]
	v_fma_f64 v[162:163], -v[162:163], v[170:171], v[168:169]
	s_nop 1
	v_div_fmas_f64 v[162:163], v[162:163], v[164:165], v[170:171]
	v_div_fixup_f64 v[164:165], v[162:163], v[160:161], 1.0
	v_mul_f64 v[166:167], v[166:167], -v[164:165]
.LBB51_133:
	s_or_b64 exec, exec, s[2:3]
	ds_write2_b64 v217, v[164:165], v[166:167] offset1:1
.LBB51_134:
	s_or_b64 exec, exec, s[4:5]
	s_waitcnt lgkmcnt(0)
	s_barrier
	ds_read2_b64 v[160:163], v217 offset1:1
	v_cmp_lt_u32_e32 vcc, 14, v216
	s_and_saveexec_b64 s[2:3], vcc
	s_cbranch_execz .LBB51_136
; %bb.135:
	ds_read2_b64 v[164:167], v218 offset0:30 offset1:31
	ds_read2_b64 v[168:171], v218 offset0:32 offset1:33
	s_waitcnt vmcnt(16) lgkmcnt(2)
	v_mul_f64 v[172:173], v[160:161], v[42:43]
	v_fmac_f64_e32 v[172:173], v[162:163], v[40:41]
	v_mul_f64 v[42:43], v[162:163], v[42:43]
	v_fma_f64 v[40:41], v[160:161], v[40:41], -v[42:43]
	s_waitcnt lgkmcnt(1)
	v_mul_f64 v[42:43], v[166:167], v[172:173]
	v_fma_f64 v[42:43], v[164:165], v[40:41], -v[42:43]
	v_mul_f64 v[164:165], v[164:165], v[172:173]
	v_fmac_f64_e32 v[164:165], v[166:167], v[40:41]
	s_waitcnt vmcnt(15)
	v_add_f64 v[38:39], v[38:39], -v[164:165]
	ds_read2_b64 v[164:167], v218 offset0:34 offset1:35
	v_add_f64 v[36:37], v[36:37], -v[42:43]
	s_waitcnt lgkmcnt(1)
	v_mul_f64 v[42:43], v[170:171], v[172:173]
	v_fma_f64 v[42:43], v[168:169], v[40:41], -v[42:43]
	v_mul_f64 v[168:169], v[168:169], v[172:173]
	v_fmac_f64_e32 v[168:169], v[170:171], v[40:41]
	s_waitcnt vmcnt(14)
	v_add_f64 v[32:33], v[32:33], -v[42:43]
	v_add_f64 v[34:35], v[34:35], -v[168:169]
	ds_read2_b64 v[168:171], v218 offset0:36 offset1:37
	s_waitcnt lgkmcnt(1)
	v_mul_f64 v[42:43], v[166:167], v[172:173]
	v_fma_f64 v[42:43], v[164:165], v[40:41], -v[42:43]
	v_mul_f64 v[164:165], v[164:165], v[172:173]
	v_fmac_f64_e32 v[164:165], v[166:167], v[40:41]
	s_waitcnt vmcnt(13)
	v_add_f64 v[30:31], v[30:31], -v[164:165]
	ds_read2_b64 v[164:167], v218 offset0:38 offset1:39
	v_add_f64 v[28:29], v[28:29], -v[42:43]
	s_waitcnt lgkmcnt(1)
	v_mul_f64 v[42:43], v[170:171], v[172:173]
	v_fma_f64 v[42:43], v[168:169], v[40:41], -v[42:43]
	v_mul_f64 v[168:169], v[168:169], v[172:173]
	v_fmac_f64_e32 v[168:169], v[170:171], v[40:41]
	s_waitcnt vmcnt(12)
	v_add_f64 v[24:25], v[24:25], -v[42:43]
	v_add_f64 v[26:27], v[26:27], -v[168:169]
	ds_read2_b64 v[168:171], v218 offset0:40 offset1:41
	;; [unrolled: 18-line block ×4, first 2 shown]
	s_waitcnt lgkmcnt(1)
	v_mul_f64 v[42:43], v[166:167], v[172:173]
	v_fma_f64 v[42:43], v[164:165], v[40:41], -v[42:43]
	v_mul_f64 v[164:165], v[164:165], v[172:173]
	v_fmac_f64_e32 v[164:165], v[166:167], v[40:41]
	s_waitcnt vmcnt(3)
	v_add_f64 v[6:7], v[6:7], -v[164:165]
	ds_read2_b64 v[164:167], v218 offset0:50 offset1:51
	v_add_f64 v[4:5], v[4:5], -v[42:43]
	s_waitcnt lgkmcnt(1)
	v_mul_f64 v[42:43], v[170:171], v[172:173]
	v_fma_f64 v[42:43], v[168:169], v[40:41], -v[42:43]
	v_add_f64 v[0:1], v[0:1], -v[42:43]
	s_waitcnt lgkmcnt(0)
	v_mul_f64 v[42:43], v[166:167], v[172:173]
	v_mul_f64 v[168:169], v[168:169], v[172:173]
	v_fma_f64 v[42:43], v[164:165], v[40:41], -v[42:43]
	v_mul_f64 v[164:165], v[164:165], v[172:173]
	v_fmac_f64_e32 v[168:169], v[170:171], v[40:41]
	v_fmac_f64_e32 v[164:165], v[166:167], v[40:41]
	v_add_f64 v[2:3], v[2:3], -v[168:169]
	s_waitcnt vmcnt(1)
	v_add_f64 v[100:101], v[100:101], -v[42:43]
	v_add_f64 v[102:103], v[102:103], -v[164:165]
	v_mov_b64_e32 v[42:43], v[172:173]
.LBB51_136:
	s_or_b64 exec, exec, s[2:3]
	v_cmp_eq_u32_e32 vcc, 15, v216
	s_waitcnt lgkmcnt(0)
	s_barrier
	s_and_saveexec_b64 s[4:5], vcc
	s_cbranch_execz .LBB51_143
; %bb.137:
	s_waitcnt vmcnt(15)
	ds_write2_b64 v217, v[36:37], v[38:39] offset1:1
	s_waitcnt vmcnt(14)
	ds_write2_b64 v218, v[32:33], v[34:35] offset0:32 offset1:33
	s_waitcnt vmcnt(13)
	ds_write2_b64 v218, v[28:29], v[30:31] offset0:34 offset1:35
	;; [unrolled: 2-line block ×8, first 2 shown]
	ds_write2_b64 v218, v[0:1], v[2:3] offset0:48 offset1:49
	s_waitcnt vmcnt(1)
	ds_write2_b64 v218, v[100:101], v[102:103] offset0:50 offset1:51
	ds_read2_b64 v[164:167], v217 offset1:1
	s_waitcnt lgkmcnt(0)
	v_cmp_neq_f64_e32 vcc, 0, v[164:165]
	v_cmp_neq_f64_e64 s[2:3], 0, v[166:167]
	s_or_b64 s[2:3], vcc, s[2:3]
	s_and_b64 exec, exec, s[2:3]
	s_cbranch_execz .LBB51_143
; %bb.138:
	v_cmp_ngt_f64_e64 s[2:3], |v[164:165]|, |v[166:167]|
                                        ; implicit-def: $vgpr168_vgpr169
	s_and_saveexec_b64 s[10:11], s[2:3]
	s_xor_b64 s[2:3], exec, s[10:11]
                                        ; implicit-def: $vgpr170_vgpr171
	s_cbranch_execz .LBB51_140
; %bb.139:
	v_div_scale_f64 v[168:169], s[10:11], v[166:167], v[166:167], v[164:165]
	v_rcp_f64_e32 v[170:171], v[168:169]
	v_div_scale_f64 v[172:173], vcc, v[164:165], v[166:167], v[164:165]
	v_fma_f64 v[174:175], -v[168:169], v[170:171], 1.0
	v_fmac_f64_e32 v[170:171], v[170:171], v[174:175]
	v_fma_f64 v[174:175], -v[168:169], v[170:171], 1.0
	v_fmac_f64_e32 v[170:171], v[170:171], v[174:175]
	v_mul_f64 v[174:175], v[172:173], v[170:171]
	v_fma_f64 v[168:169], -v[168:169], v[174:175], v[172:173]
	v_div_fmas_f64 v[168:169], v[168:169], v[170:171], v[174:175]
	v_div_fixup_f64 v[168:169], v[168:169], v[166:167], v[164:165]
	v_fmac_f64_e32 v[166:167], v[164:165], v[168:169]
	v_div_scale_f64 v[164:165], s[10:11], v[166:167], v[166:167], 1.0
	v_rcp_f64_e32 v[170:171], v[164:165]
	s_nop 0
	v_fma_f64 v[172:173], -v[164:165], v[170:171], 1.0
	v_fmac_f64_e32 v[170:171], v[170:171], v[172:173]
	v_fma_f64 v[172:173], -v[164:165], v[170:171], 1.0
	v_fmac_f64_e32 v[170:171], v[170:171], v[172:173]
	v_div_scale_f64 v[172:173], vcc, 1.0, v[166:167], 1.0
	v_mul_f64 v[174:175], v[172:173], v[170:171]
	v_fma_f64 v[164:165], -v[164:165], v[174:175], v[172:173]
	s_nop 1
	v_div_fmas_f64 v[164:165], v[164:165], v[170:171], v[174:175]
	v_div_fixup_f64 v[170:171], v[164:165], v[166:167], 1.0
	v_mul_f64 v[168:169], v[168:169], v[170:171]
	v_xor_b32_e32 v171, 0x80000000, v171
                                        ; implicit-def: $vgpr164_vgpr165
.LBB51_140:
	s_andn2_saveexec_b64 s[2:3], s[2:3]
	s_cbranch_execz .LBB51_142
; %bb.141:
	v_div_scale_f64 v[168:169], s[10:11], v[164:165], v[164:165], v[166:167]
	v_rcp_f64_e32 v[170:171], v[168:169]
	v_div_scale_f64 v[172:173], vcc, v[166:167], v[164:165], v[166:167]
	v_fma_f64 v[174:175], -v[168:169], v[170:171], 1.0
	v_fmac_f64_e32 v[170:171], v[170:171], v[174:175]
	v_fma_f64 v[174:175], -v[168:169], v[170:171], 1.0
	v_fmac_f64_e32 v[170:171], v[170:171], v[174:175]
	v_mul_f64 v[174:175], v[172:173], v[170:171]
	v_fma_f64 v[168:169], -v[168:169], v[174:175], v[172:173]
	v_div_fmas_f64 v[168:169], v[168:169], v[170:171], v[174:175]
	v_div_fixup_f64 v[170:171], v[168:169], v[164:165], v[166:167]
	v_fmac_f64_e32 v[164:165], v[166:167], v[170:171]
	v_div_scale_f64 v[166:167], s[10:11], v[164:165], v[164:165], 1.0
	v_rcp_f64_e32 v[168:169], v[166:167]
	s_nop 0
	v_fma_f64 v[172:173], -v[166:167], v[168:169], 1.0
	v_fmac_f64_e32 v[168:169], v[168:169], v[172:173]
	v_fma_f64 v[172:173], -v[166:167], v[168:169], 1.0
	v_fmac_f64_e32 v[168:169], v[168:169], v[172:173]
	v_div_scale_f64 v[172:173], vcc, 1.0, v[164:165], 1.0
	v_mul_f64 v[174:175], v[172:173], v[168:169]
	v_fma_f64 v[166:167], -v[166:167], v[174:175], v[172:173]
	s_nop 1
	v_div_fmas_f64 v[166:167], v[166:167], v[168:169], v[174:175]
	v_div_fixup_f64 v[168:169], v[166:167], v[164:165], 1.0
	v_mul_f64 v[170:171], v[170:171], -v[168:169]
.LBB51_142:
	s_or_b64 exec, exec, s[2:3]
	ds_write2_b64 v217, v[168:169], v[170:171] offset1:1
.LBB51_143:
	s_or_b64 exec, exec, s[4:5]
	s_waitcnt lgkmcnt(0)
	s_barrier
	ds_read2_b64 v[164:167], v217 offset1:1
	v_cmp_lt_u32_e32 vcc, 15, v216
	s_and_saveexec_b64 s[2:3], vcc
	s_cbranch_execz .LBB51_145
; %bb.144:
	ds_read2_b64 v[168:171], v218 offset0:32 offset1:33
	ds_read2_b64 v[172:175], v218 offset0:34 offset1:35
	s_waitcnt vmcnt(15) lgkmcnt(2)
	v_mul_f64 v[176:177], v[164:165], v[38:39]
	v_fmac_f64_e32 v[176:177], v[166:167], v[36:37]
	v_mul_f64 v[38:39], v[166:167], v[38:39]
	v_fma_f64 v[36:37], v[164:165], v[36:37], -v[38:39]
	s_waitcnt lgkmcnt(1)
	v_mul_f64 v[38:39], v[170:171], v[176:177]
	v_fma_f64 v[38:39], v[168:169], v[36:37], -v[38:39]
	v_mul_f64 v[168:169], v[168:169], v[176:177]
	v_fmac_f64_e32 v[168:169], v[170:171], v[36:37]
	s_waitcnt vmcnt(14)
	v_add_f64 v[32:33], v[32:33], -v[38:39]
	v_add_f64 v[34:35], v[34:35], -v[168:169]
	s_waitcnt lgkmcnt(0)
	v_mul_f64 v[38:39], v[174:175], v[176:177]
	ds_read2_b64 v[168:171], v218 offset0:36 offset1:37
	v_fma_f64 v[38:39], v[172:173], v[36:37], -v[38:39]
	v_mul_f64 v[172:173], v[172:173], v[176:177]
	v_fmac_f64_e32 v[172:173], v[174:175], v[36:37]
	s_waitcnt vmcnt(13)
	v_add_f64 v[30:31], v[30:31], -v[172:173]
	ds_read2_b64 v[172:175], v218 offset0:38 offset1:39
	v_add_f64 v[28:29], v[28:29], -v[38:39]
	s_waitcnt lgkmcnt(1)
	v_mul_f64 v[38:39], v[170:171], v[176:177]
	v_fma_f64 v[38:39], v[168:169], v[36:37], -v[38:39]
	v_mul_f64 v[168:169], v[168:169], v[176:177]
	v_fmac_f64_e32 v[168:169], v[170:171], v[36:37]
	s_waitcnt vmcnt(12)
	v_add_f64 v[24:25], v[24:25], -v[38:39]
	v_add_f64 v[26:27], v[26:27], -v[168:169]
	s_waitcnt lgkmcnt(0)
	v_mul_f64 v[38:39], v[174:175], v[176:177]
	ds_read2_b64 v[168:171], v218 offset0:40 offset1:41
	v_fma_f64 v[38:39], v[172:173], v[36:37], -v[38:39]
	v_mul_f64 v[172:173], v[172:173], v[176:177]
	v_fmac_f64_e32 v[172:173], v[174:175], v[36:37]
	s_waitcnt vmcnt(11)
	v_add_f64 v[22:23], v[22:23], -v[172:173]
	ds_read2_b64 v[172:175], v218 offset0:42 offset1:43
	v_add_f64 v[20:21], v[20:21], -v[38:39]
	;; [unrolled: 18-line block ×4, first 2 shown]
	s_waitcnt lgkmcnt(1)
	v_mul_f64 v[38:39], v[170:171], v[176:177]
	v_fma_f64 v[38:39], v[168:169], v[36:37], -v[38:39]
	v_mul_f64 v[168:169], v[168:169], v[176:177]
	v_fmac_f64_e32 v[168:169], v[170:171], v[36:37]
	v_add_f64 v[0:1], v[0:1], -v[38:39]
	v_add_f64 v[2:3], v[2:3], -v[168:169]
	s_waitcnt lgkmcnt(0)
	v_mul_f64 v[38:39], v[174:175], v[176:177]
	v_mul_f64 v[168:169], v[172:173], v[176:177]
	v_fma_f64 v[38:39], v[172:173], v[36:37], -v[38:39]
	v_fmac_f64_e32 v[168:169], v[174:175], v[36:37]
	s_waitcnt vmcnt(1)
	v_add_f64 v[100:101], v[100:101], -v[38:39]
	v_add_f64 v[102:103], v[102:103], -v[168:169]
	v_mov_b64_e32 v[38:39], v[176:177]
.LBB51_145:
	s_or_b64 exec, exec, s[2:3]
	v_cmp_eq_u32_e32 vcc, 16, v216
	s_waitcnt lgkmcnt(0)
	s_barrier
	s_and_saveexec_b64 s[4:5], vcc
	s_cbranch_execz .LBB51_152
; %bb.146:
	s_waitcnt vmcnt(14)
	ds_write2_b64 v217, v[32:33], v[34:35] offset1:1
	s_waitcnt vmcnt(13)
	ds_write2_b64 v218, v[28:29], v[30:31] offset0:34 offset1:35
	s_waitcnt vmcnt(12)
	ds_write2_b64 v218, v[24:25], v[26:27] offset0:36 offset1:37
	;; [unrolled: 2-line block ×7, first 2 shown]
	ds_write2_b64 v218, v[0:1], v[2:3] offset0:48 offset1:49
	s_waitcnt vmcnt(1)
	ds_write2_b64 v218, v[100:101], v[102:103] offset0:50 offset1:51
	ds_read2_b64 v[168:171], v217 offset1:1
	s_waitcnt lgkmcnt(0)
	v_cmp_neq_f64_e32 vcc, 0, v[168:169]
	v_cmp_neq_f64_e64 s[2:3], 0, v[170:171]
	s_or_b64 s[2:3], vcc, s[2:3]
	s_and_b64 exec, exec, s[2:3]
	s_cbranch_execz .LBB51_152
; %bb.147:
	v_cmp_ngt_f64_e64 s[2:3], |v[168:169]|, |v[170:171]|
                                        ; implicit-def: $vgpr172_vgpr173
	s_and_saveexec_b64 s[10:11], s[2:3]
	s_xor_b64 s[2:3], exec, s[10:11]
                                        ; implicit-def: $vgpr174_vgpr175
	s_cbranch_execz .LBB51_149
; %bb.148:
	v_div_scale_f64 v[172:173], s[10:11], v[170:171], v[170:171], v[168:169]
	v_rcp_f64_e32 v[174:175], v[172:173]
	v_div_scale_f64 v[176:177], vcc, v[168:169], v[170:171], v[168:169]
	v_fma_f64 v[178:179], -v[172:173], v[174:175], 1.0
	v_fmac_f64_e32 v[174:175], v[174:175], v[178:179]
	v_fma_f64 v[178:179], -v[172:173], v[174:175], 1.0
	v_fmac_f64_e32 v[174:175], v[174:175], v[178:179]
	v_mul_f64 v[178:179], v[176:177], v[174:175]
	v_fma_f64 v[172:173], -v[172:173], v[178:179], v[176:177]
	v_div_fmas_f64 v[172:173], v[172:173], v[174:175], v[178:179]
	v_div_fixup_f64 v[172:173], v[172:173], v[170:171], v[168:169]
	v_fmac_f64_e32 v[170:171], v[168:169], v[172:173]
	v_div_scale_f64 v[168:169], s[10:11], v[170:171], v[170:171], 1.0
	v_rcp_f64_e32 v[174:175], v[168:169]
	s_nop 0
	v_fma_f64 v[176:177], -v[168:169], v[174:175], 1.0
	v_fmac_f64_e32 v[174:175], v[174:175], v[176:177]
	v_fma_f64 v[176:177], -v[168:169], v[174:175], 1.0
	v_fmac_f64_e32 v[174:175], v[174:175], v[176:177]
	v_div_scale_f64 v[176:177], vcc, 1.0, v[170:171], 1.0
	v_mul_f64 v[178:179], v[176:177], v[174:175]
	v_fma_f64 v[168:169], -v[168:169], v[178:179], v[176:177]
	s_nop 1
	v_div_fmas_f64 v[168:169], v[168:169], v[174:175], v[178:179]
	v_div_fixup_f64 v[174:175], v[168:169], v[170:171], 1.0
	v_mul_f64 v[172:173], v[172:173], v[174:175]
	v_xor_b32_e32 v175, 0x80000000, v175
                                        ; implicit-def: $vgpr168_vgpr169
.LBB51_149:
	s_andn2_saveexec_b64 s[2:3], s[2:3]
	s_cbranch_execz .LBB51_151
; %bb.150:
	v_div_scale_f64 v[172:173], s[10:11], v[168:169], v[168:169], v[170:171]
	v_rcp_f64_e32 v[174:175], v[172:173]
	v_div_scale_f64 v[176:177], vcc, v[170:171], v[168:169], v[170:171]
	v_fma_f64 v[178:179], -v[172:173], v[174:175], 1.0
	v_fmac_f64_e32 v[174:175], v[174:175], v[178:179]
	v_fma_f64 v[178:179], -v[172:173], v[174:175], 1.0
	v_fmac_f64_e32 v[174:175], v[174:175], v[178:179]
	v_mul_f64 v[178:179], v[176:177], v[174:175]
	v_fma_f64 v[172:173], -v[172:173], v[178:179], v[176:177]
	v_div_fmas_f64 v[172:173], v[172:173], v[174:175], v[178:179]
	v_div_fixup_f64 v[174:175], v[172:173], v[168:169], v[170:171]
	v_fmac_f64_e32 v[168:169], v[170:171], v[174:175]
	v_div_scale_f64 v[170:171], s[10:11], v[168:169], v[168:169], 1.0
	v_rcp_f64_e32 v[172:173], v[170:171]
	s_nop 0
	v_fma_f64 v[176:177], -v[170:171], v[172:173], 1.0
	v_fmac_f64_e32 v[172:173], v[172:173], v[176:177]
	v_fma_f64 v[176:177], -v[170:171], v[172:173], 1.0
	v_fmac_f64_e32 v[172:173], v[172:173], v[176:177]
	v_div_scale_f64 v[176:177], vcc, 1.0, v[168:169], 1.0
	v_mul_f64 v[178:179], v[176:177], v[172:173]
	v_fma_f64 v[170:171], -v[170:171], v[178:179], v[176:177]
	s_nop 1
	v_div_fmas_f64 v[170:171], v[170:171], v[172:173], v[178:179]
	v_div_fixup_f64 v[172:173], v[170:171], v[168:169], 1.0
	v_mul_f64 v[174:175], v[174:175], -v[172:173]
.LBB51_151:
	s_or_b64 exec, exec, s[2:3]
	ds_write2_b64 v217, v[172:173], v[174:175] offset1:1
.LBB51_152:
	s_or_b64 exec, exec, s[4:5]
	s_waitcnt lgkmcnt(0)
	s_barrier
	ds_read2_b64 v[168:171], v217 offset1:1
	v_cmp_lt_u32_e32 vcc, 16, v216
	s_and_saveexec_b64 s[2:3], vcc
	s_cbranch_execz .LBB51_154
; %bb.153:
	ds_read2_b64 v[172:175], v218 offset0:34 offset1:35
	ds_read2_b64 v[176:179], v218 offset0:36 offset1:37
	s_waitcnt vmcnt(14) lgkmcnt(2)
	v_mul_f64 v[180:181], v[168:169], v[34:35]
	v_fmac_f64_e32 v[180:181], v[170:171], v[32:33]
	v_mul_f64 v[34:35], v[170:171], v[34:35]
	v_fma_f64 v[32:33], v[168:169], v[32:33], -v[34:35]
	s_waitcnt lgkmcnt(1)
	v_mul_f64 v[34:35], v[174:175], v[180:181]
	v_fma_f64 v[34:35], v[172:173], v[32:33], -v[34:35]
	v_mul_f64 v[172:173], v[172:173], v[180:181]
	v_fmac_f64_e32 v[172:173], v[174:175], v[32:33]
	s_waitcnt vmcnt(13)
	v_add_f64 v[30:31], v[30:31], -v[172:173]
	ds_read2_b64 v[172:175], v218 offset0:38 offset1:39
	v_add_f64 v[28:29], v[28:29], -v[34:35]
	s_waitcnt lgkmcnt(1)
	v_mul_f64 v[34:35], v[178:179], v[180:181]
	v_fma_f64 v[34:35], v[176:177], v[32:33], -v[34:35]
	v_mul_f64 v[176:177], v[176:177], v[180:181]
	v_fmac_f64_e32 v[176:177], v[178:179], v[32:33]
	s_waitcnt vmcnt(12)
	v_add_f64 v[24:25], v[24:25], -v[34:35]
	v_add_f64 v[26:27], v[26:27], -v[176:177]
	ds_read2_b64 v[176:179], v218 offset0:40 offset1:41
	s_waitcnt lgkmcnt(1)
	v_mul_f64 v[34:35], v[174:175], v[180:181]
	v_fma_f64 v[34:35], v[172:173], v[32:33], -v[34:35]
	v_mul_f64 v[172:173], v[172:173], v[180:181]
	v_fmac_f64_e32 v[172:173], v[174:175], v[32:33]
	s_waitcnt vmcnt(11)
	v_add_f64 v[22:23], v[22:23], -v[172:173]
	ds_read2_b64 v[172:175], v218 offset0:42 offset1:43
	v_add_f64 v[20:21], v[20:21], -v[34:35]
	s_waitcnt lgkmcnt(1)
	v_mul_f64 v[34:35], v[178:179], v[180:181]
	v_fma_f64 v[34:35], v[176:177], v[32:33], -v[34:35]
	v_mul_f64 v[176:177], v[176:177], v[180:181]
	v_fmac_f64_e32 v[176:177], v[178:179], v[32:33]
	s_waitcnt vmcnt(10)
	v_add_f64 v[16:17], v[16:17], -v[34:35]
	v_add_f64 v[18:19], v[18:19], -v[176:177]
	ds_read2_b64 v[176:179], v218 offset0:44 offset1:45
	;; [unrolled: 18-line block ×3, first 2 shown]
	s_waitcnt lgkmcnt(1)
	v_mul_f64 v[34:35], v[174:175], v[180:181]
	v_fma_f64 v[34:35], v[172:173], v[32:33], -v[34:35]
	v_mul_f64 v[172:173], v[172:173], v[180:181]
	v_fmac_f64_e32 v[172:173], v[174:175], v[32:33]
	s_waitcnt vmcnt(3)
	v_add_f64 v[6:7], v[6:7], -v[172:173]
	ds_read2_b64 v[172:175], v218 offset0:50 offset1:51
	v_add_f64 v[4:5], v[4:5], -v[34:35]
	s_waitcnt lgkmcnt(1)
	v_mul_f64 v[34:35], v[178:179], v[180:181]
	v_fma_f64 v[34:35], v[176:177], v[32:33], -v[34:35]
	v_add_f64 v[0:1], v[0:1], -v[34:35]
	s_waitcnt lgkmcnt(0)
	v_mul_f64 v[34:35], v[174:175], v[180:181]
	v_mul_f64 v[176:177], v[176:177], v[180:181]
	v_fma_f64 v[34:35], v[172:173], v[32:33], -v[34:35]
	v_mul_f64 v[172:173], v[172:173], v[180:181]
	v_fmac_f64_e32 v[176:177], v[178:179], v[32:33]
	v_fmac_f64_e32 v[172:173], v[174:175], v[32:33]
	v_add_f64 v[2:3], v[2:3], -v[176:177]
	s_waitcnt vmcnt(1)
	v_add_f64 v[100:101], v[100:101], -v[34:35]
	v_add_f64 v[102:103], v[102:103], -v[172:173]
	v_mov_b64_e32 v[34:35], v[180:181]
.LBB51_154:
	s_or_b64 exec, exec, s[2:3]
	v_cmp_eq_u32_e32 vcc, 17, v216
	s_waitcnt lgkmcnt(0)
	s_barrier
	s_and_saveexec_b64 s[4:5], vcc
	s_cbranch_execz .LBB51_161
; %bb.155:
	s_waitcnt vmcnt(13)
	ds_write2_b64 v217, v[28:29], v[30:31] offset1:1
	s_waitcnt vmcnt(12)
	ds_write2_b64 v218, v[24:25], v[26:27] offset0:36 offset1:37
	s_waitcnt vmcnt(11)
	ds_write2_b64 v218, v[20:21], v[22:23] offset0:38 offset1:39
	;; [unrolled: 2-line block ×6, first 2 shown]
	ds_write2_b64 v218, v[0:1], v[2:3] offset0:48 offset1:49
	s_waitcnt vmcnt(1)
	ds_write2_b64 v218, v[100:101], v[102:103] offset0:50 offset1:51
	ds_read2_b64 v[172:175], v217 offset1:1
	s_waitcnt lgkmcnt(0)
	v_cmp_neq_f64_e32 vcc, 0, v[172:173]
	v_cmp_neq_f64_e64 s[2:3], 0, v[174:175]
	s_or_b64 s[2:3], vcc, s[2:3]
	s_and_b64 exec, exec, s[2:3]
	s_cbranch_execz .LBB51_161
; %bb.156:
	v_cmp_ngt_f64_e64 s[2:3], |v[172:173]|, |v[174:175]|
                                        ; implicit-def: $vgpr176_vgpr177
	s_and_saveexec_b64 s[10:11], s[2:3]
	s_xor_b64 s[2:3], exec, s[10:11]
                                        ; implicit-def: $vgpr178_vgpr179
	s_cbranch_execz .LBB51_158
; %bb.157:
	v_div_scale_f64 v[176:177], s[10:11], v[174:175], v[174:175], v[172:173]
	v_rcp_f64_e32 v[178:179], v[176:177]
	v_div_scale_f64 v[180:181], vcc, v[172:173], v[174:175], v[172:173]
	v_fma_f64 v[182:183], -v[176:177], v[178:179], 1.0
	v_fmac_f64_e32 v[178:179], v[178:179], v[182:183]
	v_fma_f64 v[182:183], -v[176:177], v[178:179], 1.0
	v_fmac_f64_e32 v[178:179], v[178:179], v[182:183]
	v_mul_f64 v[182:183], v[180:181], v[178:179]
	v_fma_f64 v[176:177], -v[176:177], v[182:183], v[180:181]
	v_div_fmas_f64 v[176:177], v[176:177], v[178:179], v[182:183]
	v_div_fixup_f64 v[176:177], v[176:177], v[174:175], v[172:173]
	v_fmac_f64_e32 v[174:175], v[172:173], v[176:177]
	v_div_scale_f64 v[172:173], s[10:11], v[174:175], v[174:175], 1.0
	v_rcp_f64_e32 v[178:179], v[172:173]
	s_nop 0
	v_fma_f64 v[180:181], -v[172:173], v[178:179], 1.0
	v_fmac_f64_e32 v[178:179], v[178:179], v[180:181]
	v_fma_f64 v[180:181], -v[172:173], v[178:179], 1.0
	v_fmac_f64_e32 v[178:179], v[178:179], v[180:181]
	v_div_scale_f64 v[180:181], vcc, 1.0, v[174:175], 1.0
	v_mul_f64 v[182:183], v[180:181], v[178:179]
	v_fma_f64 v[172:173], -v[172:173], v[182:183], v[180:181]
	s_nop 1
	v_div_fmas_f64 v[172:173], v[172:173], v[178:179], v[182:183]
	v_div_fixup_f64 v[178:179], v[172:173], v[174:175], 1.0
	v_mul_f64 v[176:177], v[176:177], v[178:179]
	v_xor_b32_e32 v179, 0x80000000, v179
                                        ; implicit-def: $vgpr172_vgpr173
.LBB51_158:
	s_andn2_saveexec_b64 s[2:3], s[2:3]
	s_cbranch_execz .LBB51_160
; %bb.159:
	v_div_scale_f64 v[176:177], s[10:11], v[172:173], v[172:173], v[174:175]
	v_rcp_f64_e32 v[178:179], v[176:177]
	v_div_scale_f64 v[180:181], vcc, v[174:175], v[172:173], v[174:175]
	v_fma_f64 v[182:183], -v[176:177], v[178:179], 1.0
	v_fmac_f64_e32 v[178:179], v[178:179], v[182:183]
	v_fma_f64 v[182:183], -v[176:177], v[178:179], 1.0
	v_fmac_f64_e32 v[178:179], v[178:179], v[182:183]
	v_mul_f64 v[182:183], v[180:181], v[178:179]
	v_fma_f64 v[176:177], -v[176:177], v[182:183], v[180:181]
	v_div_fmas_f64 v[176:177], v[176:177], v[178:179], v[182:183]
	v_div_fixup_f64 v[178:179], v[176:177], v[172:173], v[174:175]
	v_fmac_f64_e32 v[172:173], v[174:175], v[178:179]
	v_div_scale_f64 v[174:175], s[10:11], v[172:173], v[172:173], 1.0
	v_rcp_f64_e32 v[176:177], v[174:175]
	s_nop 0
	v_fma_f64 v[180:181], -v[174:175], v[176:177], 1.0
	v_fmac_f64_e32 v[176:177], v[176:177], v[180:181]
	v_fma_f64 v[180:181], -v[174:175], v[176:177], 1.0
	v_fmac_f64_e32 v[176:177], v[176:177], v[180:181]
	v_div_scale_f64 v[180:181], vcc, 1.0, v[172:173], 1.0
	v_mul_f64 v[182:183], v[180:181], v[176:177]
	v_fma_f64 v[174:175], -v[174:175], v[182:183], v[180:181]
	s_nop 1
	v_div_fmas_f64 v[174:175], v[174:175], v[176:177], v[182:183]
	v_div_fixup_f64 v[176:177], v[174:175], v[172:173], 1.0
	v_mul_f64 v[178:179], v[178:179], -v[176:177]
.LBB51_160:
	s_or_b64 exec, exec, s[2:3]
	ds_write2_b64 v217, v[176:177], v[178:179] offset1:1
.LBB51_161:
	s_or_b64 exec, exec, s[4:5]
	s_waitcnt lgkmcnt(0)
	s_barrier
	ds_read2_b64 v[172:175], v217 offset1:1
	v_cmp_lt_u32_e32 vcc, 17, v216
	s_and_saveexec_b64 s[2:3], vcc
	s_cbranch_execz .LBB51_163
; %bb.162:
	ds_read2_b64 v[176:179], v218 offset0:36 offset1:37
	ds_read2_b64 v[180:183], v218 offset0:38 offset1:39
	s_waitcnt vmcnt(13) lgkmcnt(2)
	v_mul_f64 v[184:185], v[172:173], v[30:31]
	v_fmac_f64_e32 v[184:185], v[174:175], v[28:29]
	v_mul_f64 v[30:31], v[174:175], v[30:31]
	v_fma_f64 v[28:29], v[172:173], v[28:29], -v[30:31]
	s_waitcnt lgkmcnt(1)
	v_mul_f64 v[30:31], v[178:179], v[184:185]
	v_fma_f64 v[30:31], v[176:177], v[28:29], -v[30:31]
	v_mul_f64 v[176:177], v[176:177], v[184:185]
	v_fmac_f64_e32 v[176:177], v[178:179], v[28:29]
	s_waitcnt vmcnt(12)
	v_add_f64 v[24:25], v[24:25], -v[30:31]
	v_add_f64 v[26:27], v[26:27], -v[176:177]
	s_waitcnt lgkmcnt(0)
	v_mul_f64 v[30:31], v[182:183], v[184:185]
	ds_read2_b64 v[176:179], v218 offset0:40 offset1:41
	v_fma_f64 v[30:31], v[180:181], v[28:29], -v[30:31]
	v_mul_f64 v[180:181], v[180:181], v[184:185]
	v_fmac_f64_e32 v[180:181], v[182:183], v[28:29]
	s_waitcnt vmcnt(11)
	v_add_f64 v[22:23], v[22:23], -v[180:181]
	ds_read2_b64 v[180:183], v218 offset0:42 offset1:43
	v_add_f64 v[20:21], v[20:21], -v[30:31]
	s_waitcnt lgkmcnt(1)
	v_mul_f64 v[30:31], v[178:179], v[184:185]
	v_fma_f64 v[30:31], v[176:177], v[28:29], -v[30:31]
	v_mul_f64 v[176:177], v[176:177], v[184:185]
	v_fmac_f64_e32 v[176:177], v[178:179], v[28:29]
	s_waitcnt vmcnt(10)
	v_add_f64 v[16:17], v[16:17], -v[30:31]
	v_add_f64 v[18:19], v[18:19], -v[176:177]
	s_waitcnt lgkmcnt(0)
	v_mul_f64 v[30:31], v[182:183], v[184:185]
	ds_read2_b64 v[176:179], v218 offset0:44 offset1:45
	v_fma_f64 v[30:31], v[180:181], v[28:29], -v[30:31]
	v_mul_f64 v[180:181], v[180:181], v[184:185]
	v_fmac_f64_e32 v[180:181], v[182:183], v[28:29]
	s_waitcnt vmcnt(8)
	v_add_f64 v[14:15], v[14:15], -v[180:181]
	ds_read2_b64 v[180:183], v218 offset0:46 offset1:47
	v_add_f64 v[12:13], v[12:13], -v[30:31]
	;; [unrolled: 18-line block ×3, first 2 shown]
	s_waitcnt lgkmcnt(1)
	v_mul_f64 v[30:31], v[178:179], v[184:185]
	v_fma_f64 v[30:31], v[176:177], v[28:29], -v[30:31]
	v_mul_f64 v[176:177], v[176:177], v[184:185]
	v_fmac_f64_e32 v[176:177], v[178:179], v[28:29]
	v_add_f64 v[0:1], v[0:1], -v[30:31]
	v_add_f64 v[2:3], v[2:3], -v[176:177]
	s_waitcnt lgkmcnt(0)
	v_mul_f64 v[30:31], v[182:183], v[184:185]
	v_mul_f64 v[176:177], v[180:181], v[184:185]
	v_fma_f64 v[30:31], v[180:181], v[28:29], -v[30:31]
	v_fmac_f64_e32 v[176:177], v[182:183], v[28:29]
	s_waitcnt vmcnt(1)
	v_add_f64 v[100:101], v[100:101], -v[30:31]
	v_add_f64 v[102:103], v[102:103], -v[176:177]
	v_mov_b64_e32 v[30:31], v[184:185]
.LBB51_163:
	s_or_b64 exec, exec, s[2:3]
	v_cmp_eq_u32_e32 vcc, 18, v216
	s_waitcnt lgkmcnt(0)
	s_barrier
	s_and_saveexec_b64 s[4:5], vcc
	s_cbranch_execz .LBB51_170
; %bb.164:
	s_waitcnt vmcnt(12)
	ds_write2_b64 v217, v[24:25], v[26:27] offset1:1
	s_waitcnt vmcnt(11)
	ds_write2_b64 v218, v[20:21], v[22:23] offset0:38 offset1:39
	s_waitcnt vmcnt(10)
	ds_write2_b64 v218, v[16:17], v[18:19] offset0:40 offset1:41
	;; [unrolled: 2-line block ×5, first 2 shown]
	ds_write2_b64 v218, v[0:1], v[2:3] offset0:48 offset1:49
	s_waitcnt vmcnt(1)
	ds_write2_b64 v218, v[100:101], v[102:103] offset0:50 offset1:51
	ds_read2_b64 v[176:179], v217 offset1:1
	s_waitcnt lgkmcnt(0)
	v_cmp_neq_f64_e32 vcc, 0, v[176:177]
	v_cmp_neq_f64_e64 s[2:3], 0, v[178:179]
	s_or_b64 s[2:3], vcc, s[2:3]
	s_and_b64 exec, exec, s[2:3]
	s_cbranch_execz .LBB51_170
; %bb.165:
	v_cmp_ngt_f64_e64 s[2:3], |v[176:177]|, |v[178:179]|
                                        ; implicit-def: $vgpr180_vgpr181
	s_and_saveexec_b64 s[10:11], s[2:3]
	s_xor_b64 s[2:3], exec, s[10:11]
                                        ; implicit-def: $vgpr182_vgpr183
	s_cbranch_execz .LBB51_167
; %bb.166:
	v_div_scale_f64 v[180:181], s[10:11], v[178:179], v[178:179], v[176:177]
	v_rcp_f64_e32 v[182:183], v[180:181]
	v_div_scale_f64 v[184:185], vcc, v[176:177], v[178:179], v[176:177]
	v_fma_f64 v[186:187], -v[180:181], v[182:183], 1.0
	v_fmac_f64_e32 v[182:183], v[182:183], v[186:187]
	v_fma_f64 v[186:187], -v[180:181], v[182:183], 1.0
	v_fmac_f64_e32 v[182:183], v[182:183], v[186:187]
	v_mul_f64 v[186:187], v[184:185], v[182:183]
	v_fma_f64 v[180:181], -v[180:181], v[186:187], v[184:185]
	v_div_fmas_f64 v[180:181], v[180:181], v[182:183], v[186:187]
	v_div_fixup_f64 v[180:181], v[180:181], v[178:179], v[176:177]
	v_fmac_f64_e32 v[178:179], v[176:177], v[180:181]
	v_div_scale_f64 v[176:177], s[10:11], v[178:179], v[178:179], 1.0
	v_rcp_f64_e32 v[182:183], v[176:177]
	s_nop 0
	v_fma_f64 v[184:185], -v[176:177], v[182:183], 1.0
	v_fmac_f64_e32 v[182:183], v[182:183], v[184:185]
	v_fma_f64 v[184:185], -v[176:177], v[182:183], 1.0
	v_fmac_f64_e32 v[182:183], v[182:183], v[184:185]
	v_div_scale_f64 v[184:185], vcc, 1.0, v[178:179], 1.0
	v_mul_f64 v[186:187], v[184:185], v[182:183]
	v_fma_f64 v[176:177], -v[176:177], v[186:187], v[184:185]
	s_nop 1
	v_div_fmas_f64 v[176:177], v[176:177], v[182:183], v[186:187]
	v_div_fixup_f64 v[182:183], v[176:177], v[178:179], 1.0
	v_mul_f64 v[180:181], v[180:181], v[182:183]
	v_xor_b32_e32 v183, 0x80000000, v183
                                        ; implicit-def: $vgpr176_vgpr177
.LBB51_167:
	s_andn2_saveexec_b64 s[2:3], s[2:3]
	s_cbranch_execz .LBB51_169
; %bb.168:
	v_div_scale_f64 v[180:181], s[10:11], v[176:177], v[176:177], v[178:179]
	v_rcp_f64_e32 v[182:183], v[180:181]
	v_div_scale_f64 v[184:185], vcc, v[178:179], v[176:177], v[178:179]
	v_fma_f64 v[186:187], -v[180:181], v[182:183], 1.0
	v_fmac_f64_e32 v[182:183], v[182:183], v[186:187]
	v_fma_f64 v[186:187], -v[180:181], v[182:183], 1.0
	v_fmac_f64_e32 v[182:183], v[182:183], v[186:187]
	v_mul_f64 v[186:187], v[184:185], v[182:183]
	v_fma_f64 v[180:181], -v[180:181], v[186:187], v[184:185]
	v_div_fmas_f64 v[180:181], v[180:181], v[182:183], v[186:187]
	v_div_fixup_f64 v[182:183], v[180:181], v[176:177], v[178:179]
	v_fmac_f64_e32 v[176:177], v[178:179], v[182:183]
	v_div_scale_f64 v[178:179], s[10:11], v[176:177], v[176:177], 1.0
	v_rcp_f64_e32 v[180:181], v[178:179]
	s_nop 0
	v_fma_f64 v[184:185], -v[178:179], v[180:181], 1.0
	v_fmac_f64_e32 v[180:181], v[180:181], v[184:185]
	v_fma_f64 v[184:185], -v[178:179], v[180:181], 1.0
	v_fmac_f64_e32 v[180:181], v[180:181], v[184:185]
	v_div_scale_f64 v[184:185], vcc, 1.0, v[176:177], 1.0
	v_mul_f64 v[186:187], v[184:185], v[180:181]
	v_fma_f64 v[178:179], -v[178:179], v[186:187], v[184:185]
	s_nop 1
	v_div_fmas_f64 v[178:179], v[178:179], v[180:181], v[186:187]
	v_div_fixup_f64 v[180:181], v[178:179], v[176:177], 1.0
	v_mul_f64 v[182:183], v[182:183], -v[180:181]
.LBB51_169:
	s_or_b64 exec, exec, s[2:3]
	ds_write2_b64 v217, v[180:181], v[182:183] offset1:1
.LBB51_170:
	s_or_b64 exec, exec, s[4:5]
	s_waitcnt lgkmcnt(0)
	s_barrier
	ds_read2_b64 v[176:179], v217 offset1:1
	v_cmp_lt_u32_e32 vcc, 18, v216
	s_and_saveexec_b64 s[2:3], vcc
	s_cbranch_execz .LBB51_172
; %bb.171:
	ds_read2_b64 v[180:183], v218 offset0:38 offset1:39
	ds_read2_b64 v[184:187], v218 offset0:40 offset1:41
	s_waitcnt vmcnt(12) lgkmcnt(2)
	v_mul_f64 v[188:189], v[176:177], v[26:27]
	v_fmac_f64_e32 v[188:189], v[178:179], v[24:25]
	v_mul_f64 v[26:27], v[178:179], v[26:27]
	v_fma_f64 v[24:25], v[176:177], v[24:25], -v[26:27]
	s_waitcnt lgkmcnt(1)
	v_mul_f64 v[26:27], v[182:183], v[188:189]
	v_fma_f64 v[26:27], v[180:181], v[24:25], -v[26:27]
	v_mul_f64 v[180:181], v[180:181], v[188:189]
	v_fmac_f64_e32 v[180:181], v[182:183], v[24:25]
	s_waitcnt vmcnt(11)
	v_add_f64 v[22:23], v[22:23], -v[180:181]
	ds_read2_b64 v[180:183], v218 offset0:42 offset1:43
	v_add_f64 v[20:21], v[20:21], -v[26:27]
	s_waitcnt lgkmcnt(1)
	v_mul_f64 v[26:27], v[186:187], v[188:189]
	v_fma_f64 v[26:27], v[184:185], v[24:25], -v[26:27]
	v_mul_f64 v[184:185], v[184:185], v[188:189]
	v_fmac_f64_e32 v[184:185], v[186:187], v[24:25]
	s_waitcnt vmcnt(10)
	v_add_f64 v[16:17], v[16:17], -v[26:27]
	v_add_f64 v[18:19], v[18:19], -v[184:185]
	ds_read2_b64 v[184:187], v218 offset0:44 offset1:45
	s_waitcnt lgkmcnt(1)
	v_mul_f64 v[26:27], v[182:183], v[188:189]
	v_fma_f64 v[26:27], v[180:181], v[24:25], -v[26:27]
	v_mul_f64 v[180:181], v[180:181], v[188:189]
	v_fmac_f64_e32 v[180:181], v[182:183], v[24:25]
	s_waitcnt vmcnt(8)
	v_add_f64 v[14:15], v[14:15], -v[180:181]
	ds_read2_b64 v[180:183], v218 offset0:46 offset1:47
	v_add_f64 v[12:13], v[12:13], -v[26:27]
	s_waitcnt lgkmcnt(1)
	v_mul_f64 v[26:27], v[186:187], v[188:189]
	v_fma_f64 v[26:27], v[184:185], v[24:25], -v[26:27]
	v_mul_f64 v[184:185], v[184:185], v[188:189]
	v_fmac_f64_e32 v[184:185], v[186:187], v[24:25]
	s_waitcnt vmcnt(7)
	v_add_f64 v[8:9], v[8:9], -v[26:27]
	v_add_f64 v[10:11], v[10:11], -v[184:185]
	ds_read2_b64 v[184:187], v218 offset0:48 offset1:49
	s_waitcnt lgkmcnt(1)
	v_mul_f64 v[26:27], v[182:183], v[188:189]
	v_fma_f64 v[26:27], v[180:181], v[24:25], -v[26:27]
	v_mul_f64 v[180:181], v[180:181], v[188:189]
	v_fmac_f64_e32 v[180:181], v[182:183], v[24:25]
	s_waitcnt vmcnt(3)
	v_add_f64 v[6:7], v[6:7], -v[180:181]
	ds_read2_b64 v[180:183], v218 offset0:50 offset1:51
	v_add_f64 v[4:5], v[4:5], -v[26:27]
	s_waitcnt lgkmcnt(1)
	v_mul_f64 v[26:27], v[186:187], v[188:189]
	v_fma_f64 v[26:27], v[184:185], v[24:25], -v[26:27]
	v_add_f64 v[0:1], v[0:1], -v[26:27]
	s_waitcnt lgkmcnt(0)
	v_mul_f64 v[26:27], v[182:183], v[188:189]
	v_mul_f64 v[184:185], v[184:185], v[188:189]
	v_fma_f64 v[26:27], v[180:181], v[24:25], -v[26:27]
	v_mul_f64 v[180:181], v[180:181], v[188:189]
	v_fmac_f64_e32 v[184:185], v[186:187], v[24:25]
	v_fmac_f64_e32 v[180:181], v[182:183], v[24:25]
	v_add_f64 v[2:3], v[2:3], -v[184:185]
	s_waitcnt vmcnt(1)
	v_add_f64 v[100:101], v[100:101], -v[26:27]
	v_add_f64 v[102:103], v[102:103], -v[180:181]
	v_mov_b64_e32 v[26:27], v[188:189]
.LBB51_172:
	s_or_b64 exec, exec, s[2:3]
	v_cmp_eq_u32_e32 vcc, 19, v216
	s_waitcnt lgkmcnt(0)
	s_barrier
	s_and_saveexec_b64 s[4:5], vcc
	s_cbranch_execz .LBB51_179
; %bb.173:
	s_waitcnt vmcnt(11)
	ds_write2_b64 v217, v[20:21], v[22:23] offset1:1
	s_waitcnt vmcnt(10)
	ds_write2_b64 v218, v[16:17], v[18:19] offset0:40 offset1:41
	s_waitcnt vmcnt(8)
	ds_write2_b64 v218, v[12:13], v[14:15] offset0:42 offset1:43
	;; [unrolled: 2-line block ×4, first 2 shown]
	ds_write2_b64 v218, v[0:1], v[2:3] offset0:48 offset1:49
	s_waitcnt vmcnt(1)
	ds_write2_b64 v218, v[100:101], v[102:103] offset0:50 offset1:51
	ds_read2_b64 v[180:183], v217 offset1:1
	s_waitcnt lgkmcnt(0)
	v_cmp_neq_f64_e32 vcc, 0, v[180:181]
	v_cmp_neq_f64_e64 s[2:3], 0, v[182:183]
	s_or_b64 s[2:3], vcc, s[2:3]
	s_and_b64 exec, exec, s[2:3]
	s_cbranch_execz .LBB51_179
; %bb.174:
	v_cmp_ngt_f64_e64 s[2:3], |v[180:181]|, |v[182:183]|
                                        ; implicit-def: $vgpr184_vgpr185
	s_and_saveexec_b64 s[10:11], s[2:3]
	s_xor_b64 s[2:3], exec, s[10:11]
                                        ; implicit-def: $vgpr186_vgpr187
	s_cbranch_execz .LBB51_176
; %bb.175:
	v_div_scale_f64 v[184:185], s[10:11], v[182:183], v[182:183], v[180:181]
	v_rcp_f64_e32 v[186:187], v[184:185]
	v_div_scale_f64 v[188:189], vcc, v[180:181], v[182:183], v[180:181]
	v_fma_f64 v[190:191], -v[184:185], v[186:187], 1.0
	v_fmac_f64_e32 v[186:187], v[186:187], v[190:191]
	v_fma_f64 v[190:191], -v[184:185], v[186:187], 1.0
	v_fmac_f64_e32 v[186:187], v[186:187], v[190:191]
	v_mul_f64 v[190:191], v[188:189], v[186:187]
	v_fma_f64 v[184:185], -v[184:185], v[190:191], v[188:189]
	v_div_fmas_f64 v[184:185], v[184:185], v[186:187], v[190:191]
	v_div_fixup_f64 v[184:185], v[184:185], v[182:183], v[180:181]
	v_fmac_f64_e32 v[182:183], v[180:181], v[184:185]
	v_div_scale_f64 v[180:181], s[10:11], v[182:183], v[182:183], 1.0
	v_rcp_f64_e32 v[186:187], v[180:181]
	s_nop 0
	v_fma_f64 v[188:189], -v[180:181], v[186:187], 1.0
	v_fmac_f64_e32 v[186:187], v[186:187], v[188:189]
	v_fma_f64 v[188:189], -v[180:181], v[186:187], 1.0
	v_fmac_f64_e32 v[186:187], v[186:187], v[188:189]
	v_div_scale_f64 v[188:189], vcc, 1.0, v[182:183], 1.0
	v_mul_f64 v[190:191], v[188:189], v[186:187]
	v_fma_f64 v[180:181], -v[180:181], v[190:191], v[188:189]
	s_nop 1
	v_div_fmas_f64 v[180:181], v[180:181], v[186:187], v[190:191]
	v_div_fixup_f64 v[186:187], v[180:181], v[182:183], 1.0
	v_mul_f64 v[184:185], v[184:185], v[186:187]
	v_xor_b32_e32 v187, 0x80000000, v187
                                        ; implicit-def: $vgpr180_vgpr181
.LBB51_176:
	s_andn2_saveexec_b64 s[2:3], s[2:3]
	s_cbranch_execz .LBB51_178
; %bb.177:
	v_div_scale_f64 v[184:185], s[10:11], v[180:181], v[180:181], v[182:183]
	v_rcp_f64_e32 v[186:187], v[184:185]
	v_div_scale_f64 v[188:189], vcc, v[182:183], v[180:181], v[182:183]
	v_fma_f64 v[190:191], -v[184:185], v[186:187], 1.0
	v_fmac_f64_e32 v[186:187], v[186:187], v[190:191]
	v_fma_f64 v[190:191], -v[184:185], v[186:187], 1.0
	v_fmac_f64_e32 v[186:187], v[186:187], v[190:191]
	v_mul_f64 v[190:191], v[188:189], v[186:187]
	v_fma_f64 v[184:185], -v[184:185], v[190:191], v[188:189]
	v_div_fmas_f64 v[184:185], v[184:185], v[186:187], v[190:191]
	v_div_fixup_f64 v[186:187], v[184:185], v[180:181], v[182:183]
	v_fmac_f64_e32 v[180:181], v[182:183], v[186:187]
	v_div_scale_f64 v[182:183], s[10:11], v[180:181], v[180:181], 1.0
	v_rcp_f64_e32 v[184:185], v[182:183]
	s_nop 0
	v_fma_f64 v[188:189], -v[182:183], v[184:185], 1.0
	v_fmac_f64_e32 v[184:185], v[184:185], v[188:189]
	v_fma_f64 v[188:189], -v[182:183], v[184:185], 1.0
	v_fmac_f64_e32 v[184:185], v[184:185], v[188:189]
	v_div_scale_f64 v[188:189], vcc, 1.0, v[180:181], 1.0
	v_mul_f64 v[190:191], v[188:189], v[184:185]
	v_fma_f64 v[182:183], -v[182:183], v[190:191], v[188:189]
	s_nop 1
	v_div_fmas_f64 v[182:183], v[182:183], v[184:185], v[190:191]
	v_div_fixup_f64 v[184:185], v[182:183], v[180:181], 1.0
	v_mul_f64 v[186:187], v[186:187], -v[184:185]
.LBB51_178:
	s_or_b64 exec, exec, s[2:3]
	ds_write2_b64 v217, v[184:185], v[186:187] offset1:1
.LBB51_179:
	s_or_b64 exec, exec, s[4:5]
	s_waitcnt lgkmcnt(0)
	s_barrier
	ds_read2_b64 v[180:183], v217 offset1:1
	v_cmp_lt_u32_e32 vcc, 19, v216
	s_and_saveexec_b64 s[2:3], vcc
	s_cbranch_execz .LBB51_181
; %bb.180:
	ds_read2_b64 v[184:187], v218 offset0:40 offset1:41
	ds_read2_b64 v[188:191], v218 offset0:42 offset1:43
	s_waitcnt vmcnt(11) lgkmcnt(2)
	v_mul_f64 v[192:193], v[180:181], v[22:23]
	v_fmac_f64_e32 v[192:193], v[182:183], v[20:21]
	v_mul_f64 v[22:23], v[182:183], v[22:23]
	v_fma_f64 v[20:21], v[180:181], v[20:21], -v[22:23]
	s_waitcnt lgkmcnt(1)
	v_mul_f64 v[22:23], v[186:187], v[192:193]
	v_fma_f64 v[22:23], v[184:185], v[20:21], -v[22:23]
	v_mul_f64 v[184:185], v[184:185], v[192:193]
	v_fmac_f64_e32 v[184:185], v[186:187], v[20:21]
	s_waitcnt vmcnt(10)
	v_add_f64 v[16:17], v[16:17], -v[22:23]
	v_add_f64 v[18:19], v[18:19], -v[184:185]
	s_waitcnt lgkmcnt(0)
	v_mul_f64 v[22:23], v[190:191], v[192:193]
	ds_read2_b64 v[184:187], v218 offset0:44 offset1:45
	v_fma_f64 v[22:23], v[188:189], v[20:21], -v[22:23]
	v_mul_f64 v[188:189], v[188:189], v[192:193]
	v_fmac_f64_e32 v[188:189], v[190:191], v[20:21]
	s_waitcnt vmcnt(8)
	v_add_f64 v[14:15], v[14:15], -v[188:189]
	ds_read2_b64 v[188:191], v218 offset0:46 offset1:47
	v_add_f64 v[12:13], v[12:13], -v[22:23]
	s_waitcnt lgkmcnt(1)
	v_mul_f64 v[22:23], v[186:187], v[192:193]
	v_fma_f64 v[22:23], v[184:185], v[20:21], -v[22:23]
	v_mul_f64 v[184:185], v[184:185], v[192:193]
	v_fmac_f64_e32 v[184:185], v[186:187], v[20:21]
	s_waitcnt vmcnt(7)
	v_add_f64 v[8:9], v[8:9], -v[22:23]
	v_add_f64 v[10:11], v[10:11], -v[184:185]
	s_waitcnt lgkmcnt(0)
	v_mul_f64 v[22:23], v[190:191], v[192:193]
	ds_read2_b64 v[184:187], v218 offset0:48 offset1:49
	v_fma_f64 v[22:23], v[188:189], v[20:21], -v[22:23]
	v_mul_f64 v[188:189], v[188:189], v[192:193]
	v_fmac_f64_e32 v[188:189], v[190:191], v[20:21]
	s_waitcnt vmcnt(3)
	v_add_f64 v[6:7], v[6:7], -v[188:189]
	ds_read2_b64 v[188:191], v218 offset0:50 offset1:51
	v_add_f64 v[4:5], v[4:5], -v[22:23]
	s_waitcnt lgkmcnt(1)
	v_mul_f64 v[22:23], v[186:187], v[192:193]
	v_fma_f64 v[22:23], v[184:185], v[20:21], -v[22:23]
	v_mul_f64 v[184:185], v[184:185], v[192:193]
	v_fmac_f64_e32 v[184:185], v[186:187], v[20:21]
	v_add_f64 v[0:1], v[0:1], -v[22:23]
	v_add_f64 v[2:3], v[2:3], -v[184:185]
	s_waitcnt lgkmcnt(0)
	v_mul_f64 v[22:23], v[190:191], v[192:193]
	v_mul_f64 v[184:185], v[188:189], v[192:193]
	v_fma_f64 v[22:23], v[188:189], v[20:21], -v[22:23]
	v_fmac_f64_e32 v[184:185], v[190:191], v[20:21]
	s_waitcnt vmcnt(1)
	v_add_f64 v[100:101], v[100:101], -v[22:23]
	v_add_f64 v[102:103], v[102:103], -v[184:185]
	v_mov_b64_e32 v[22:23], v[192:193]
.LBB51_181:
	s_or_b64 exec, exec, s[2:3]
	v_cmp_eq_u32_e32 vcc, 20, v216
	s_waitcnt lgkmcnt(0)
	s_barrier
	s_and_saveexec_b64 s[4:5], vcc
	s_cbranch_execz .LBB51_188
; %bb.182:
	s_waitcnt vmcnt(10)
	ds_write2_b64 v217, v[16:17], v[18:19] offset1:1
	s_waitcnt vmcnt(8)
	ds_write2_b64 v218, v[12:13], v[14:15] offset0:42 offset1:43
	s_waitcnt vmcnt(7)
	ds_write2_b64 v218, v[8:9], v[10:11] offset0:44 offset1:45
	;; [unrolled: 2-line block ×3, first 2 shown]
	ds_write2_b64 v218, v[0:1], v[2:3] offset0:48 offset1:49
	s_waitcnt vmcnt(1)
	ds_write2_b64 v218, v[100:101], v[102:103] offset0:50 offset1:51
	ds_read2_b64 v[184:187], v217 offset1:1
	s_waitcnt lgkmcnt(0)
	v_cmp_neq_f64_e32 vcc, 0, v[184:185]
	v_cmp_neq_f64_e64 s[2:3], 0, v[186:187]
	s_or_b64 s[2:3], vcc, s[2:3]
	s_and_b64 exec, exec, s[2:3]
	s_cbranch_execz .LBB51_188
; %bb.183:
	v_cmp_ngt_f64_e64 s[2:3], |v[184:185]|, |v[186:187]|
                                        ; implicit-def: $vgpr188_vgpr189
	s_and_saveexec_b64 s[10:11], s[2:3]
	s_xor_b64 s[2:3], exec, s[10:11]
                                        ; implicit-def: $vgpr190_vgpr191
	s_cbranch_execz .LBB51_185
; %bb.184:
	v_div_scale_f64 v[188:189], s[10:11], v[186:187], v[186:187], v[184:185]
	v_rcp_f64_e32 v[190:191], v[188:189]
	v_div_scale_f64 v[192:193], vcc, v[184:185], v[186:187], v[184:185]
	v_fma_f64 v[194:195], -v[188:189], v[190:191], 1.0
	v_fmac_f64_e32 v[190:191], v[190:191], v[194:195]
	v_fma_f64 v[194:195], -v[188:189], v[190:191], 1.0
	v_fmac_f64_e32 v[190:191], v[190:191], v[194:195]
	v_mul_f64 v[194:195], v[192:193], v[190:191]
	v_fma_f64 v[188:189], -v[188:189], v[194:195], v[192:193]
	v_div_fmas_f64 v[188:189], v[188:189], v[190:191], v[194:195]
	v_div_fixup_f64 v[188:189], v[188:189], v[186:187], v[184:185]
	v_fmac_f64_e32 v[186:187], v[184:185], v[188:189]
	v_div_scale_f64 v[184:185], s[10:11], v[186:187], v[186:187], 1.0
	v_rcp_f64_e32 v[190:191], v[184:185]
	s_nop 0
	v_fma_f64 v[192:193], -v[184:185], v[190:191], 1.0
	v_fmac_f64_e32 v[190:191], v[190:191], v[192:193]
	v_fma_f64 v[192:193], -v[184:185], v[190:191], 1.0
	v_fmac_f64_e32 v[190:191], v[190:191], v[192:193]
	v_div_scale_f64 v[192:193], vcc, 1.0, v[186:187], 1.0
	v_mul_f64 v[194:195], v[192:193], v[190:191]
	v_fma_f64 v[184:185], -v[184:185], v[194:195], v[192:193]
	s_nop 1
	v_div_fmas_f64 v[184:185], v[184:185], v[190:191], v[194:195]
	v_div_fixup_f64 v[190:191], v[184:185], v[186:187], 1.0
	v_mul_f64 v[188:189], v[188:189], v[190:191]
	v_xor_b32_e32 v191, 0x80000000, v191
                                        ; implicit-def: $vgpr184_vgpr185
.LBB51_185:
	s_andn2_saveexec_b64 s[2:3], s[2:3]
	s_cbranch_execz .LBB51_187
; %bb.186:
	v_div_scale_f64 v[188:189], s[10:11], v[184:185], v[184:185], v[186:187]
	v_rcp_f64_e32 v[190:191], v[188:189]
	v_div_scale_f64 v[192:193], vcc, v[186:187], v[184:185], v[186:187]
	v_fma_f64 v[194:195], -v[188:189], v[190:191], 1.0
	v_fmac_f64_e32 v[190:191], v[190:191], v[194:195]
	v_fma_f64 v[194:195], -v[188:189], v[190:191], 1.0
	v_fmac_f64_e32 v[190:191], v[190:191], v[194:195]
	v_mul_f64 v[194:195], v[192:193], v[190:191]
	v_fma_f64 v[188:189], -v[188:189], v[194:195], v[192:193]
	v_div_fmas_f64 v[188:189], v[188:189], v[190:191], v[194:195]
	v_div_fixup_f64 v[190:191], v[188:189], v[184:185], v[186:187]
	v_fmac_f64_e32 v[184:185], v[186:187], v[190:191]
	v_div_scale_f64 v[186:187], s[10:11], v[184:185], v[184:185], 1.0
	v_rcp_f64_e32 v[188:189], v[186:187]
	s_nop 0
	v_fma_f64 v[192:193], -v[186:187], v[188:189], 1.0
	v_fmac_f64_e32 v[188:189], v[188:189], v[192:193]
	v_fma_f64 v[192:193], -v[186:187], v[188:189], 1.0
	v_fmac_f64_e32 v[188:189], v[188:189], v[192:193]
	v_div_scale_f64 v[192:193], vcc, 1.0, v[184:185], 1.0
	v_mul_f64 v[194:195], v[192:193], v[188:189]
	v_fma_f64 v[186:187], -v[186:187], v[194:195], v[192:193]
	s_nop 1
	v_div_fmas_f64 v[186:187], v[186:187], v[188:189], v[194:195]
	v_div_fixup_f64 v[188:189], v[186:187], v[184:185], 1.0
	v_mul_f64 v[190:191], v[190:191], -v[188:189]
.LBB51_187:
	s_or_b64 exec, exec, s[2:3]
	ds_write2_b64 v217, v[188:189], v[190:191] offset1:1
.LBB51_188:
	s_or_b64 exec, exec, s[4:5]
	s_waitcnt lgkmcnt(0)
	s_barrier
	ds_read2_b64 v[184:187], v217 offset1:1
	v_cmp_lt_u32_e32 vcc, 20, v216
	s_and_saveexec_b64 s[2:3], vcc
	s_cbranch_execz .LBB51_190
; %bb.189:
	ds_read2_b64 v[188:191], v218 offset0:42 offset1:43
	s_waitcnt vmcnt(10) lgkmcnt(1)
	v_mul_f64 v[192:193], v[184:185], v[18:19]
	v_fmac_f64_e32 v[192:193], v[186:187], v[16:17]
	v_mul_f64 v[18:19], v[186:187], v[18:19]
	v_fma_f64 v[16:17], v[184:185], v[16:17], -v[18:19]
	s_waitcnt lgkmcnt(0)
	v_mul_f64 v[18:19], v[190:191], v[192:193]
	v_fma_f64 v[18:19], v[188:189], v[16:17], -v[18:19]
	v_mul_f64 v[188:189], v[188:189], v[192:193]
	v_fmac_f64_e32 v[188:189], v[190:191], v[16:17]
	s_waitcnt vmcnt(8)
	v_add_f64 v[14:15], v[14:15], -v[188:189]
	ds_read2_b64 v[188:191], v218 offset0:44 offset1:45
	v_add_f64 v[12:13], v[12:13], -v[18:19]
	s_waitcnt lgkmcnt(0)
	v_mul_f64 v[18:19], v[190:191], v[192:193]
	v_fma_f64 v[18:19], v[188:189], v[16:17], -v[18:19]
	v_mul_f64 v[188:189], v[188:189], v[192:193]
	v_fmac_f64_e32 v[188:189], v[190:191], v[16:17]
	s_waitcnt vmcnt(7)
	v_add_f64 v[10:11], v[10:11], -v[188:189]
	ds_read2_b64 v[188:191], v218 offset0:46 offset1:47
	v_add_f64 v[8:9], v[8:9], -v[18:19]
	;; [unrolled: 9-line block ×3, first 2 shown]
	s_waitcnt lgkmcnt(0)
	v_mul_f64 v[18:19], v[190:191], v[192:193]
	v_fma_f64 v[18:19], v[188:189], v[16:17], -v[18:19]
	v_mul_f64 v[188:189], v[188:189], v[192:193]
	v_fmac_f64_e32 v[188:189], v[190:191], v[16:17]
	v_add_f64 v[2:3], v[2:3], -v[188:189]
	ds_read2_b64 v[188:191], v218 offset0:50 offset1:51
	v_add_f64 v[0:1], v[0:1], -v[18:19]
	s_waitcnt lgkmcnt(0)
	v_mul_f64 v[18:19], v[190:191], v[192:193]
	v_fma_f64 v[18:19], v[188:189], v[16:17], -v[18:19]
	v_mul_f64 v[188:189], v[188:189], v[192:193]
	v_fmac_f64_e32 v[188:189], v[190:191], v[16:17]
	s_waitcnt vmcnt(1)
	v_add_f64 v[100:101], v[100:101], -v[18:19]
	v_add_f64 v[102:103], v[102:103], -v[188:189]
	v_mov_b64_e32 v[18:19], v[192:193]
.LBB51_190:
	s_or_b64 exec, exec, s[2:3]
	v_cmp_eq_u32_e32 vcc, 21, v216
	s_waitcnt lgkmcnt(0)
	s_barrier
	s_and_saveexec_b64 s[4:5], vcc
	s_cbranch_execz .LBB51_197
; %bb.191:
	s_waitcnt vmcnt(8)
	ds_write2_b64 v217, v[12:13], v[14:15] offset1:1
	s_waitcnt vmcnt(7)
	ds_write2_b64 v218, v[8:9], v[10:11] offset0:44 offset1:45
	s_waitcnt vmcnt(3)
	ds_write2_b64 v218, v[4:5], v[6:7] offset0:46 offset1:47
	ds_write2_b64 v218, v[0:1], v[2:3] offset0:48 offset1:49
	s_waitcnt vmcnt(1)
	ds_write2_b64 v218, v[100:101], v[102:103] offset0:50 offset1:51
	ds_read2_b64 v[188:191], v217 offset1:1
	s_waitcnt lgkmcnt(0)
	v_cmp_neq_f64_e32 vcc, 0, v[188:189]
	v_cmp_neq_f64_e64 s[2:3], 0, v[190:191]
	s_or_b64 s[2:3], vcc, s[2:3]
	s_and_b64 exec, exec, s[2:3]
	s_cbranch_execz .LBB51_197
; %bb.192:
	v_cmp_ngt_f64_e64 s[2:3], |v[188:189]|, |v[190:191]|
                                        ; implicit-def: $vgpr192_vgpr193
	s_and_saveexec_b64 s[10:11], s[2:3]
	s_xor_b64 s[2:3], exec, s[10:11]
                                        ; implicit-def: $vgpr194_vgpr195
	s_cbranch_execz .LBB51_194
; %bb.193:
	v_div_scale_f64 v[192:193], s[10:11], v[190:191], v[190:191], v[188:189]
	v_rcp_f64_e32 v[194:195], v[192:193]
	v_div_scale_f64 v[196:197], vcc, v[188:189], v[190:191], v[188:189]
	v_fma_f64 v[198:199], -v[192:193], v[194:195], 1.0
	v_fmac_f64_e32 v[194:195], v[194:195], v[198:199]
	v_fma_f64 v[198:199], -v[192:193], v[194:195], 1.0
	v_fmac_f64_e32 v[194:195], v[194:195], v[198:199]
	v_mul_f64 v[198:199], v[196:197], v[194:195]
	v_fma_f64 v[192:193], -v[192:193], v[198:199], v[196:197]
	v_div_fmas_f64 v[192:193], v[192:193], v[194:195], v[198:199]
	v_div_fixup_f64 v[192:193], v[192:193], v[190:191], v[188:189]
	v_fmac_f64_e32 v[190:191], v[188:189], v[192:193]
	v_div_scale_f64 v[188:189], s[10:11], v[190:191], v[190:191], 1.0
	v_rcp_f64_e32 v[194:195], v[188:189]
	s_nop 0
	v_fma_f64 v[196:197], -v[188:189], v[194:195], 1.0
	v_fmac_f64_e32 v[194:195], v[194:195], v[196:197]
	v_fma_f64 v[196:197], -v[188:189], v[194:195], 1.0
	v_fmac_f64_e32 v[194:195], v[194:195], v[196:197]
	v_div_scale_f64 v[196:197], vcc, 1.0, v[190:191], 1.0
	v_mul_f64 v[198:199], v[196:197], v[194:195]
	v_fma_f64 v[188:189], -v[188:189], v[198:199], v[196:197]
	s_nop 1
	v_div_fmas_f64 v[188:189], v[188:189], v[194:195], v[198:199]
	v_div_fixup_f64 v[194:195], v[188:189], v[190:191], 1.0
	v_mul_f64 v[192:193], v[192:193], v[194:195]
	v_xor_b32_e32 v195, 0x80000000, v195
                                        ; implicit-def: $vgpr188_vgpr189
.LBB51_194:
	s_andn2_saveexec_b64 s[2:3], s[2:3]
	s_cbranch_execz .LBB51_196
; %bb.195:
	v_div_scale_f64 v[192:193], s[10:11], v[188:189], v[188:189], v[190:191]
	v_rcp_f64_e32 v[194:195], v[192:193]
	v_div_scale_f64 v[196:197], vcc, v[190:191], v[188:189], v[190:191]
	v_fma_f64 v[198:199], -v[192:193], v[194:195], 1.0
	v_fmac_f64_e32 v[194:195], v[194:195], v[198:199]
	v_fma_f64 v[198:199], -v[192:193], v[194:195], 1.0
	v_fmac_f64_e32 v[194:195], v[194:195], v[198:199]
	v_mul_f64 v[198:199], v[196:197], v[194:195]
	v_fma_f64 v[192:193], -v[192:193], v[198:199], v[196:197]
	v_div_fmas_f64 v[192:193], v[192:193], v[194:195], v[198:199]
	v_div_fixup_f64 v[194:195], v[192:193], v[188:189], v[190:191]
	v_fmac_f64_e32 v[188:189], v[190:191], v[194:195]
	v_div_scale_f64 v[190:191], s[10:11], v[188:189], v[188:189], 1.0
	v_rcp_f64_e32 v[192:193], v[190:191]
	s_nop 0
	v_fma_f64 v[196:197], -v[190:191], v[192:193], 1.0
	v_fmac_f64_e32 v[192:193], v[192:193], v[196:197]
	v_fma_f64 v[196:197], -v[190:191], v[192:193], 1.0
	v_fmac_f64_e32 v[192:193], v[192:193], v[196:197]
	v_div_scale_f64 v[196:197], vcc, 1.0, v[188:189], 1.0
	v_mul_f64 v[198:199], v[196:197], v[192:193]
	v_fma_f64 v[190:191], -v[190:191], v[198:199], v[196:197]
	s_nop 1
	v_div_fmas_f64 v[190:191], v[190:191], v[192:193], v[198:199]
	v_div_fixup_f64 v[192:193], v[190:191], v[188:189], 1.0
	v_mul_f64 v[194:195], v[194:195], -v[192:193]
.LBB51_196:
	s_or_b64 exec, exec, s[2:3]
	ds_write2_b64 v217, v[192:193], v[194:195] offset1:1
.LBB51_197:
	s_or_b64 exec, exec, s[4:5]
	s_waitcnt lgkmcnt(0)
	s_barrier
	ds_read2_b64 v[188:191], v217 offset1:1
	v_cmp_lt_u32_e32 vcc, 21, v216
	s_and_saveexec_b64 s[2:3], vcc
	s_cbranch_execz .LBB51_199
; %bb.198:
	ds_read2_b64 v[192:195], v218 offset0:44 offset1:45
	s_waitcnt vmcnt(8) lgkmcnt(1)
	v_mul_f64 v[196:197], v[188:189], v[14:15]
	v_fmac_f64_e32 v[196:197], v[190:191], v[12:13]
	v_mul_f64 v[14:15], v[190:191], v[14:15]
	v_fma_f64 v[12:13], v[188:189], v[12:13], -v[14:15]
	s_waitcnt lgkmcnt(0)
	v_mul_f64 v[14:15], v[194:195], v[196:197]
	v_fma_f64 v[14:15], v[192:193], v[12:13], -v[14:15]
	v_mul_f64 v[192:193], v[192:193], v[196:197]
	v_fmac_f64_e32 v[192:193], v[194:195], v[12:13]
	s_waitcnt vmcnt(7)
	v_add_f64 v[10:11], v[10:11], -v[192:193]
	ds_read2_b64 v[192:195], v218 offset0:46 offset1:47
	v_add_f64 v[8:9], v[8:9], -v[14:15]
	s_waitcnt lgkmcnt(0)
	v_mul_f64 v[14:15], v[194:195], v[196:197]
	v_fma_f64 v[14:15], v[192:193], v[12:13], -v[14:15]
	v_mul_f64 v[192:193], v[192:193], v[196:197]
	v_fmac_f64_e32 v[192:193], v[194:195], v[12:13]
	s_waitcnt vmcnt(3)
	v_add_f64 v[6:7], v[6:7], -v[192:193]
	ds_read2_b64 v[192:195], v218 offset0:48 offset1:49
	v_add_f64 v[4:5], v[4:5], -v[14:15]
	s_waitcnt lgkmcnt(0)
	v_mul_f64 v[14:15], v[194:195], v[196:197]
	v_fma_f64 v[14:15], v[192:193], v[12:13], -v[14:15]
	v_mul_f64 v[192:193], v[192:193], v[196:197]
	v_fmac_f64_e32 v[192:193], v[194:195], v[12:13]
	v_add_f64 v[2:3], v[2:3], -v[192:193]
	ds_read2_b64 v[192:195], v218 offset0:50 offset1:51
	v_add_f64 v[0:1], v[0:1], -v[14:15]
	s_waitcnt lgkmcnt(0)
	v_mul_f64 v[14:15], v[194:195], v[196:197]
	v_fma_f64 v[14:15], v[192:193], v[12:13], -v[14:15]
	v_mul_f64 v[192:193], v[192:193], v[196:197]
	v_fmac_f64_e32 v[192:193], v[194:195], v[12:13]
	s_waitcnt vmcnt(1)
	v_add_f64 v[100:101], v[100:101], -v[14:15]
	v_add_f64 v[102:103], v[102:103], -v[192:193]
	v_mov_b64_e32 v[14:15], v[196:197]
.LBB51_199:
	s_or_b64 exec, exec, s[2:3]
	v_cmp_eq_u32_e32 vcc, 22, v216
	s_waitcnt lgkmcnt(0)
	s_barrier
	s_and_saveexec_b64 s[4:5], vcc
	s_cbranch_execz .LBB51_206
; %bb.200:
	s_waitcnt vmcnt(7)
	ds_write2_b64 v217, v[8:9], v[10:11] offset1:1
	s_waitcnt vmcnt(3)
	ds_write2_b64 v218, v[4:5], v[6:7] offset0:46 offset1:47
	ds_write2_b64 v218, v[0:1], v[2:3] offset0:48 offset1:49
	s_waitcnt vmcnt(1)
	ds_write2_b64 v218, v[100:101], v[102:103] offset0:50 offset1:51
	ds_read2_b64 v[192:195], v217 offset1:1
	s_waitcnt lgkmcnt(0)
	v_cmp_neq_f64_e32 vcc, 0, v[192:193]
	v_cmp_neq_f64_e64 s[2:3], 0, v[194:195]
	s_or_b64 s[2:3], vcc, s[2:3]
	s_and_b64 exec, exec, s[2:3]
	s_cbranch_execz .LBB51_206
; %bb.201:
	v_cmp_ngt_f64_e64 s[2:3], |v[192:193]|, |v[194:195]|
                                        ; implicit-def: $vgpr196_vgpr197
	s_and_saveexec_b64 s[10:11], s[2:3]
	s_xor_b64 s[2:3], exec, s[10:11]
                                        ; implicit-def: $vgpr198_vgpr199
	s_cbranch_execz .LBB51_203
; %bb.202:
	v_div_scale_f64 v[196:197], s[10:11], v[194:195], v[194:195], v[192:193]
	v_rcp_f64_e32 v[198:199], v[196:197]
	v_div_scale_f64 v[200:201], vcc, v[192:193], v[194:195], v[192:193]
	v_fma_f64 v[202:203], -v[196:197], v[198:199], 1.0
	v_fmac_f64_e32 v[198:199], v[198:199], v[202:203]
	v_fma_f64 v[202:203], -v[196:197], v[198:199], 1.0
	v_fmac_f64_e32 v[198:199], v[198:199], v[202:203]
	v_mul_f64 v[202:203], v[200:201], v[198:199]
	v_fma_f64 v[196:197], -v[196:197], v[202:203], v[200:201]
	v_div_fmas_f64 v[196:197], v[196:197], v[198:199], v[202:203]
	v_div_fixup_f64 v[196:197], v[196:197], v[194:195], v[192:193]
	v_fmac_f64_e32 v[194:195], v[192:193], v[196:197]
	v_div_scale_f64 v[192:193], s[10:11], v[194:195], v[194:195], 1.0
	v_rcp_f64_e32 v[198:199], v[192:193]
	s_nop 0
	v_fma_f64 v[200:201], -v[192:193], v[198:199], 1.0
	v_fmac_f64_e32 v[198:199], v[198:199], v[200:201]
	v_fma_f64 v[200:201], -v[192:193], v[198:199], 1.0
	v_fmac_f64_e32 v[198:199], v[198:199], v[200:201]
	v_div_scale_f64 v[200:201], vcc, 1.0, v[194:195], 1.0
	v_mul_f64 v[202:203], v[200:201], v[198:199]
	v_fma_f64 v[192:193], -v[192:193], v[202:203], v[200:201]
	s_nop 1
	v_div_fmas_f64 v[192:193], v[192:193], v[198:199], v[202:203]
	v_div_fixup_f64 v[198:199], v[192:193], v[194:195], 1.0
	v_mul_f64 v[196:197], v[196:197], v[198:199]
	v_xor_b32_e32 v199, 0x80000000, v199
                                        ; implicit-def: $vgpr192_vgpr193
.LBB51_203:
	s_andn2_saveexec_b64 s[2:3], s[2:3]
	s_cbranch_execz .LBB51_205
; %bb.204:
	v_div_scale_f64 v[196:197], s[10:11], v[192:193], v[192:193], v[194:195]
	v_rcp_f64_e32 v[198:199], v[196:197]
	v_div_scale_f64 v[200:201], vcc, v[194:195], v[192:193], v[194:195]
	v_fma_f64 v[202:203], -v[196:197], v[198:199], 1.0
	v_fmac_f64_e32 v[198:199], v[198:199], v[202:203]
	v_fma_f64 v[202:203], -v[196:197], v[198:199], 1.0
	v_fmac_f64_e32 v[198:199], v[198:199], v[202:203]
	v_mul_f64 v[202:203], v[200:201], v[198:199]
	v_fma_f64 v[196:197], -v[196:197], v[202:203], v[200:201]
	v_div_fmas_f64 v[196:197], v[196:197], v[198:199], v[202:203]
	v_div_fixup_f64 v[198:199], v[196:197], v[192:193], v[194:195]
	v_fmac_f64_e32 v[192:193], v[194:195], v[198:199]
	v_div_scale_f64 v[194:195], s[10:11], v[192:193], v[192:193], 1.0
	v_rcp_f64_e32 v[196:197], v[194:195]
	s_nop 0
	v_fma_f64 v[200:201], -v[194:195], v[196:197], 1.0
	v_fmac_f64_e32 v[196:197], v[196:197], v[200:201]
	v_fma_f64 v[200:201], -v[194:195], v[196:197], 1.0
	v_fmac_f64_e32 v[196:197], v[196:197], v[200:201]
	v_div_scale_f64 v[200:201], vcc, 1.0, v[192:193], 1.0
	v_mul_f64 v[202:203], v[200:201], v[196:197]
	v_fma_f64 v[194:195], -v[194:195], v[202:203], v[200:201]
	s_nop 1
	v_div_fmas_f64 v[194:195], v[194:195], v[196:197], v[202:203]
	v_div_fixup_f64 v[196:197], v[194:195], v[192:193], 1.0
	v_mul_f64 v[198:199], v[198:199], -v[196:197]
.LBB51_205:
	s_or_b64 exec, exec, s[2:3]
	ds_write2_b64 v217, v[196:197], v[198:199] offset1:1
.LBB51_206:
	s_or_b64 exec, exec, s[4:5]
	s_waitcnt lgkmcnt(0)
	s_barrier
	ds_read2_b64 v[192:195], v217 offset1:1
	v_cmp_lt_u32_e32 vcc, 22, v216
	s_and_saveexec_b64 s[2:3], vcc
	s_cbranch_execz .LBB51_208
; %bb.207:
	ds_read2_b64 v[196:199], v218 offset0:46 offset1:47
	s_waitcnt vmcnt(7) lgkmcnt(1)
	v_mul_f64 v[200:201], v[192:193], v[10:11]
	v_fmac_f64_e32 v[200:201], v[194:195], v[8:9]
	v_mul_f64 v[10:11], v[194:195], v[10:11]
	v_fma_f64 v[8:9], v[192:193], v[8:9], -v[10:11]
	s_waitcnt lgkmcnt(0)
	v_mul_f64 v[10:11], v[198:199], v[200:201]
	v_fma_f64 v[10:11], v[196:197], v[8:9], -v[10:11]
	v_mul_f64 v[196:197], v[196:197], v[200:201]
	v_fmac_f64_e32 v[196:197], v[198:199], v[8:9]
	s_waitcnt vmcnt(3)
	v_add_f64 v[6:7], v[6:7], -v[196:197]
	ds_read2_b64 v[196:199], v218 offset0:48 offset1:49
	v_add_f64 v[4:5], v[4:5], -v[10:11]
	s_waitcnt lgkmcnt(0)
	v_mul_f64 v[10:11], v[198:199], v[200:201]
	v_fma_f64 v[10:11], v[196:197], v[8:9], -v[10:11]
	v_mul_f64 v[196:197], v[196:197], v[200:201]
	v_fmac_f64_e32 v[196:197], v[198:199], v[8:9]
	v_add_f64 v[2:3], v[2:3], -v[196:197]
	ds_read2_b64 v[196:199], v218 offset0:50 offset1:51
	v_add_f64 v[0:1], v[0:1], -v[10:11]
	s_waitcnt lgkmcnt(0)
	v_mul_f64 v[10:11], v[198:199], v[200:201]
	v_fma_f64 v[10:11], v[196:197], v[8:9], -v[10:11]
	v_mul_f64 v[196:197], v[196:197], v[200:201]
	v_fmac_f64_e32 v[196:197], v[198:199], v[8:9]
	s_waitcnt vmcnt(1)
	v_add_f64 v[100:101], v[100:101], -v[10:11]
	v_add_f64 v[102:103], v[102:103], -v[196:197]
	v_mov_b64_e32 v[10:11], v[200:201]
.LBB51_208:
	s_or_b64 exec, exec, s[2:3]
	v_cmp_eq_u32_e32 vcc, 23, v216
	s_waitcnt lgkmcnt(0)
	s_barrier
	s_and_saveexec_b64 s[4:5], vcc
	s_cbranch_execz .LBB51_215
; %bb.209:
	s_waitcnt vmcnt(3)
	ds_write2_b64 v217, v[4:5], v[6:7] offset1:1
	ds_write2_b64 v218, v[0:1], v[2:3] offset0:48 offset1:49
	s_waitcnt vmcnt(1)
	ds_write2_b64 v218, v[100:101], v[102:103] offset0:50 offset1:51
	ds_read2_b64 v[196:199], v217 offset1:1
	s_waitcnt lgkmcnt(0)
	v_cmp_neq_f64_e32 vcc, 0, v[196:197]
	v_cmp_neq_f64_e64 s[2:3], 0, v[198:199]
	s_or_b64 s[2:3], vcc, s[2:3]
	s_and_b64 exec, exec, s[2:3]
	s_cbranch_execz .LBB51_215
; %bb.210:
	v_cmp_ngt_f64_e64 s[2:3], |v[196:197]|, |v[198:199]|
                                        ; implicit-def: $vgpr200_vgpr201
	s_and_saveexec_b64 s[10:11], s[2:3]
	s_xor_b64 s[2:3], exec, s[10:11]
                                        ; implicit-def: $vgpr202_vgpr203
	s_cbranch_execz .LBB51_212
; %bb.211:
	v_div_scale_f64 v[200:201], s[10:11], v[198:199], v[198:199], v[196:197]
	v_rcp_f64_e32 v[202:203], v[200:201]
	v_div_scale_f64 v[204:205], vcc, v[196:197], v[198:199], v[196:197]
	v_fma_f64 v[206:207], -v[200:201], v[202:203], 1.0
	v_fmac_f64_e32 v[202:203], v[202:203], v[206:207]
	v_fma_f64 v[206:207], -v[200:201], v[202:203], 1.0
	v_fmac_f64_e32 v[202:203], v[202:203], v[206:207]
	v_mul_f64 v[206:207], v[204:205], v[202:203]
	v_fma_f64 v[200:201], -v[200:201], v[206:207], v[204:205]
	v_div_fmas_f64 v[200:201], v[200:201], v[202:203], v[206:207]
	v_div_fixup_f64 v[200:201], v[200:201], v[198:199], v[196:197]
	v_fmac_f64_e32 v[198:199], v[196:197], v[200:201]
	v_div_scale_f64 v[196:197], s[10:11], v[198:199], v[198:199], 1.0
	v_rcp_f64_e32 v[202:203], v[196:197]
	s_nop 0
	v_fma_f64 v[204:205], -v[196:197], v[202:203], 1.0
	v_fmac_f64_e32 v[202:203], v[202:203], v[204:205]
	v_fma_f64 v[204:205], -v[196:197], v[202:203], 1.0
	v_fmac_f64_e32 v[202:203], v[202:203], v[204:205]
	v_div_scale_f64 v[204:205], vcc, 1.0, v[198:199], 1.0
	v_mul_f64 v[206:207], v[204:205], v[202:203]
	v_fma_f64 v[196:197], -v[196:197], v[206:207], v[204:205]
	s_nop 1
	v_div_fmas_f64 v[196:197], v[196:197], v[202:203], v[206:207]
	v_div_fixup_f64 v[202:203], v[196:197], v[198:199], 1.0
	v_mul_f64 v[200:201], v[200:201], v[202:203]
	v_xor_b32_e32 v203, 0x80000000, v203
                                        ; implicit-def: $vgpr196_vgpr197
.LBB51_212:
	s_andn2_saveexec_b64 s[2:3], s[2:3]
	s_cbranch_execz .LBB51_214
; %bb.213:
	v_div_scale_f64 v[200:201], s[10:11], v[196:197], v[196:197], v[198:199]
	v_rcp_f64_e32 v[202:203], v[200:201]
	v_div_scale_f64 v[204:205], vcc, v[198:199], v[196:197], v[198:199]
	v_fma_f64 v[206:207], -v[200:201], v[202:203], 1.0
	v_fmac_f64_e32 v[202:203], v[202:203], v[206:207]
	v_fma_f64 v[206:207], -v[200:201], v[202:203], 1.0
	v_fmac_f64_e32 v[202:203], v[202:203], v[206:207]
	v_mul_f64 v[206:207], v[204:205], v[202:203]
	v_fma_f64 v[200:201], -v[200:201], v[206:207], v[204:205]
	v_div_fmas_f64 v[200:201], v[200:201], v[202:203], v[206:207]
	v_div_fixup_f64 v[202:203], v[200:201], v[196:197], v[198:199]
	v_fmac_f64_e32 v[196:197], v[198:199], v[202:203]
	v_div_scale_f64 v[198:199], s[10:11], v[196:197], v[196:197], 1.0
	v_rcp_f64_e32 v[200:201], v[198:199]
	s_nop 0
	v_fma_f64 v[204:205], -v[198:199], v[200:201], 1.0
	v_fmac_f64_e32 v[200:201], v[200:201], v[204:205]
	v_fma_f64 v[204:205], -v[198:199], v[200:201], 1.0
	v_fmac_f64_e32 v[200:201], v[200:201], v[204:205]
	v_div_scale_f64 v[204:205], vcc, 1.0, v[196:197], 1.0
	v_mul_f64 v[206:207], v[204:205], v[200:201]
	v_fma_f64 v[198:199], -v[198:199], v[206:207], v[204:205]
	s_nop 1
	v_div_fmas_f64 v[198:199], v[198:199], v[200:201], v[206:207]
	v_div_fixup_f64 v[200:201], v[198:199], v[196:197], 1.0
	v_mul_f64 v[202:203], v[202:203], -v[200:201]
.LBB51_214:
	s_or_b64 exec, exec, s[2:3]
	ds_write2_b64 v217, v[200:201], v[202:203] offset1:1
.LBB51_215:
	s_or_b64 exec, exec, s[4:5]
	s_waitcnt lgkmcnt(0)
	s_barrier
	ds_read2_b64 v[196:199], v217 offset1:1
	v_cmp_lt_u32_e32 vcc, 23, v216
	s_and_saveexec_b64 s[2:3], vcc
	s_cbranch_execz .LBB51_217
; %bb.216:
	ds_read2_b64 v[200:203], v218 offset0:48 offset1:49
	s_waitcnt vmcnt(3) lgkmcnt(1)
	v_mul_f64 v[204:205], v[196:197], v[6:7]
	v_fmac_f64_e32 v[204:205], v[198:199], v[4:5]
	v_mul_f64 v[6:7], v[198:199], v[6:7]
	v_fma_f64 v[4:5], v[196:197], v[4:5], -v[6:7]
	s_waitcnt lgkmcnt(0)
	v_mul_f64 v[6:7], v[202:203], v[204:205]
	v_fma_f64 v[6:7], v[200:201], v[4:5], -v[6:7]
	v_mul_f64 v[200:201], v[200:201], v[204:205]
	v_fmac_f64_e32 v[200:201], v[202:203], v[4:5]
	v_add_f64 v[2:3], v[2:3], -v[200:201]
	ds_read2_b64 v[200:203], v218 offset0:50 offset1:51
	v_add_f64 v[0:1], v[0:1], -v[6:7]
	s_waitcnt lgkmcnt(0)
	v_mul_f64 v[6:7], v[202:203], v[204:205]
	v_fma_f64 v[6:7], v[200:201], v[4:5], -v[6:7]
	v_mul_f64 v[200:201], v[200:201], v[204:205]
	v_fmac_f64_e32 v[200:201], v[202:203], v[4:5]
	s_waitcnt vmcnt(1)
	v_add_f64 v[100:101], v[100:101], -v[6:7]
	v_add_f64 v[102:103], v[102:103], -v[200:201]
	v_mov_b64_e32 v[6:7], v[204:205]
.LBB51_217:
	s_or_b64 exec, exec, s[2:3]
	v_cmp_eq_u32_e32 vcc, 24, v216
	s_waitcnt lgkmcnt(0)
	s_barrier
	s_and_saveexec_b64 s[4:5], vcc
	s_cbranch_execz .LBB51_224
; %bb.218:
	s_waitcnt vmcnt(6)
	ds_write2_b64 v217, v[0:1], v[2:3] offset1:1
	s_waitcnt vmcnt(1)
	ds_write2_b64 v218, v[100:101], v[102:103] offset0:50 offset1:51
	ds_read2_b64 v[200:203], v217 offset1:1
	s_waitcnt lgkmcnt(0)
	v_cmp_neq_f64_e32 vcc, 0, v[200:201]
	v_cmp_neq_f64_e64 s[2:3], 0, v[202:203]
	s_or_b64 s[2:3], vcc, s[2:3]
	s_and_b64 exec, exec, s[2:3]
	s_cbranch_execz .LBB51_224
; %bb.219:
	v_cmp_ngt_f64_e64 s[2:3], |v[200:201]|, |v[202:203]|
                                        ; implicit-def: $vgpr204_vgpr205
	s_and_saveexec_b64 s[10:11], s[2:3]
	s_xor_b64 s[2:3], exec, s[10:11]
                                        ; implicit-def: $vgpr206_vgpr207
	s_cbranch_execz .LBB51_221
; %bb.220:
	v_mov_b64_e32 v[226:227], v[70:71]
	v_mov_b64_e32 v[224:225], v[68:69]
	;; [unrolled: 1-line block ×49, first 2 shown]
	v_div_scale_f64 v[204:205], s[10:11], v[202:203], v[202:203], v[200:201]
	v_mov_b64_e32 v[128:129], v[124:125]
	v_mov_b64_e32 v[126:127], v[122:123]
	v_rcp_f64_e32 v[206:207], v[204:205]
	v_mov_b64_e32 v[124:125], v[120:121]
	v_mov_b64_e32 v[122:123], v[118:119]
	v_mov_b64_e32 v[120:121], v[116:117]
	v_mov_b64_e32 v[118:119], v[114:115]
	v_mov_b64_e32 v[116:117], v[112:113]
	v_mov_b64_e32 v[114:115], v[110:111]
	v_mov_b64_e32 v[112:113], v[108:109]
	v_mov_b64_e32 v[110:111], v[106:107]
	v_mov_b64_e32 v[108:109], v[104:105]
	v_mov_b64_e32 v[106:107], v[222:223]
	v_fma_f64 v[222:223], -v[204:205], v[206:207], 1.0
	v_fmac_f64_e32 v[206:207], v[206:207], v[222:223]
	v_fma_f64 v[222:223], -v[204:205], v[206:207], 1.0
	v_mov_b64_e32 v[104:105], v[220:221]
	v_div_scale_f64 v[220:221], vcc, v[200:201], v[202:203], v[200:201]
	v_fmac_f64_e32 v[206:207], v[206:207], v[222:223]
	v_mul_f64 v[222:223], v[220:221], v[206:207]
	v_fma_f64 v[204:205], -v[204:205], v[222:223], v[220:221]
	s_nop 0
	v_div_fmas_f64 v[204:205], v[204:205], v[206:207], v[222:223]
	v_div_fixup_f64 v[204:205], v[204:205], v[202:203], v[200:201]
	v_fmac_f64_e32 v[202:203], v[200:201], v[204:205]
	v_div_scale_f64 v[200:201], s[10:11], v[202:203], v[202:203], 1.0
	v_rcp_f64_e32 v[206:207], v[200:201]
	s_nop 0
	v_fma_f64 v[220:221], -v[200:201], v[206:207], 1.0
	v_fmac_f64_e32 v[206:207], v[206:207], v[220:221]
	v_fma_f64 v[220:221], -v[200:201], v[206:207], 1.0
	v_fmac_f64_e32 v[206:207], v[206:207], v[220:221]
	v_div_scale_f64 v[220:221], vcc, 1.0, v[202:203], 1.0
	v_mul_f64 v[222:223], v[220:221], v[206:207]
	v_fma_f64 v[200:201], -v[200:201], v[222:223], v[220:221]
	v_mov_b64_e32 v[220:221], v[104:105]
	s_nop 0
	v_div_fmas_f64 v[200:201], v[200:201], v[206:207], v[222:223]
	v_mov_b64_e32 v[222:223], v[106:107]
	v_mov_b64_e32 v[104:105], v[108:109]
	;; [unrolled: 1-line block ×60, first 2 shown]
	v_div_fixup_f64 v[206:207], v[200:201], v[202:203], 1.0
	v_mov_b64_e32 v[70:71], v[226:227]
	v_mul_f64 v[204:205], v[204:205], v[206:207]
	v_xor_b32_e32 v207, 0x80000000, v207
                                        ; implicit-def: $vgpr200_vgpr201
.LBB51_221:
	s_andn2_saveexec_b64 s[2:3], s[2:3]
	s_cbranch_execz .LBB51_223
; %bb.222:
	v_mov_b64_e32 v[226:227], v[70:71]
	v_mov_b64_e32 v[224:225], v[68:69]
	;; [unrolled: 1-line block ×49, first 2 shown]
	v_div_scale_f64 v[204:205], s[10:11], v[200:201], v[200:201], v[202:203]
	v_mov_b64_e32 v[128:129], v[124:125]
	v_mov_b64_e32 v[126:127], v[122:123]
	v_rcp_f64_e32 v[206:207], v[204:205]
	v_mov_b64_e32 v[124:125], v[120:121]
	v_mov_b64_e32 v[122:123], v[118:119]
	;; [unrolled: 1-line block ×10, first 2 shown]
	v_fma_f64 v[222:223], -v[204:205], v[206:207], 1.0
	v_fmac_f64_e32 v[206:207], v[206:207], v[222:223]
	v_fma_f64 v[222:223], -v[204:205], v[206:207], 1.0
	v_mov_b64_e32 v[104:105], v[220:221]
	v_div_scale_f64 v[220:221], vcc, v[202:203], v[200:201], v[202:203]
	v_fmac_f64_e32 v[206:207], v[206:207], v[222:223]
	v_mul_f64 v[222:223], v[220:221], v[206:207]
	v_fma_f64 v[204:205], -v[204:205], v[222:223], v[220:221]
	s_nop 0
	v_div_fmas_f64 v[204:205], v[204:205], v[206:207], v[222:223]
	v_div_fixup_f64 v[206:207], v[204:205], v[200:201], v[202:203]
	v_fmac_f64_e32 v[200:201], v[202:203], v[206:207]
	v_div_scale_f64 v[202:203], s[10:11], v[200:201], v[200:201], 1.0
	v_rcp_f64_e32 v[204:205], v[202:203]
	s_nop 0
	v_fma_f64 v[220:221], -v[202:203], v[204:205], 1.0
	v_fmac_f64_e32 v[204:205], v[204:205], v[220:221]
	v_fma_f64 v[220:221], -v[202:203], v[204:205], 1.0
	v_fmac_f64_e32 v[204:205], v[204:205], v[220:221]
	v_div_scale_f64 v[220:221], vcc, 1.0, v[200:201], 1.0
	v_mul_f64 v[222:223], v[220:221], v[204:205]
	v_fma_f64 v[202:203], -v[202:203], v[222:223], v[220:221]
	v_mov_b64_e32 v[220:221], v[104:105]
	s_nop 0
	v_div_fmas_f64 v[202:203], v[202:203], v[204:205], v[222:223]
	v_mov_b64_e32 v[222:223], v[106:107]
	v_mov_b64_e32 v[104:105], v[108:109]
	;; [unrolled: 1-line block ×60, first 2 shown]
	v_div_fixup_f64 v[204:205], v[202:203], v[200:201], 1.0
	v_mov_b64_e32 v[70:71], v[226:227]
	v_mul_f64 v[206:207], v[206:207], -v[204:205]
.LBB51_223:
	s_or_b64 exec, exec, s[2:3]
	ds_write2_b64 v217, v[204:205], v[206:207] offset1:1
.LBB51_224:
	s_or_b64 exec, exec, s[4:5]
	s_waitcnt lgkmcnt(0)
	s_barrier
	ds_read2_b64 v[200:203], v217 offset1:1
	v_cmp_lt_u32_e32 vcc, 24, v216
	s_and_saveexec_b64 s[2:3], vcc
	s_cbranch_execz .LBB51_226
; %bb.225:
	ds_read2_b64 v[204:207], v218 offset0:50 offset1:51
	s_waitcnt vmcnt(6) lgkmcnt(1)
	v_mul_f64 v[218:219], v[200:201], v[2:3]
	v_mul_f64 v[2:3], v[202:203], v[2:3]
	v_fmac_f64_e32 v[218:219], v[202:203], v[0:1]
	v_fma_f64 v[0:1], v[200:201], v[0:1], -v[2:3]
	s_waitcnt lgkmcnt(0)
	v_mul_f64 v[2:3], v[206:207], v[218:219]
	v_fma_f64 v[2:3], v[204:205], v[0:1], -v[2:3]
	v_mul_f64 v[204:205], v[204:205], v[218:219]
	v_fmac_f64_e32 v[204:205], v[206:207], v[0:1]
	s_waitcnt vmcnt(1)
	v_add_f64 v[100:101], v[100:101], -v[2:3]
	v_add_f64 v[102:103], v[102:103], -v[204:205]
	v_mov_b64_e32 v[2:3], v[218:219]
.LBB51_226:
	s_or_b64 exec, exec, s[2:3]
	v_cmp_eq_u32_e32 vcc, 25, v216
	s_waitcnt lgkmcnt(0)
	s_barrier
	s_and_saveexec_b64 s[4:5], vcc
	s_cbranch_execz .LBB51_233
; %bb.227:
	s_waitcnt vmcnt(1)
	v_cmp_neq_f64_e32 vcc, 0, v[100:101]
	v_cmp_neq_f64_e64 s[2:3], 0, v[102:103]
	s_or_b64 s[2:3], vcc, s[2:3]
	ds_write2_b64 v217, v[100:101], v[102:103] offset1:1
	s_and_b64 exec, exec, s[2:3]
	s_cbranch_execz .LBB51_233
; %bb.228:
	v_cmp_ngt_f64_e64 s[2:3], |v[100:101]|, |v[102:103]|
                                        ; implicit-def: $vgpr204_vgpr205
	s_mov_b64 s[10:11], exec
	s_and_b64 s[12:13], s[10:11], s[2:3]
	s_xor_b64 s[2:3], s[12:13], s[10:11]
                                        ; implicit-def: $vgpr206_vgpr207
	scratch_store_dwordx4 off, v[184:187], off offset:56 ; 16-byte Folded Spill
	scratch_store_dwordx4 off, v[68:71], off offset:72 ; 16-byte Folded Spill
	s_mov_b64 exec, s[12:13]
	s_cbranch_execz .LBB51_230
; %bb.229:
	v_mov_b64_e32 v[68:69], v[188:189]
	v_mov_b64_e32 v[70:71], v[190:191]
	v_mov_b64_e32 v[188:189], v[74:75]
	v_mov_b64_e32 v[186:187], v[72:73]
	v_mov_b64_e32 v[72:73], v[76:77]
	v_mov_b64_e32 v[74:75], v[78:79]
	v_mov_b64_e32 v[76:77], v[80:81]
	v_mov_b64_e32 v[78:79], v[82:83]
	v_mov_b64_e32 v[80:81], v[84:85]
	v_mov_b64_e32 v[82:83], v[86:87]
	v_mov_b64_e32 v[84:85], v[88:89]
	v_mov_b64_e32 v[86:87], v[90:91]
	v_mov_b64_e32 v[88:89], v[92:93]
	v_mov_b64_e32 v[90:91], v[94:95]
	v_mov_b64_e32 v[92:93], v[96:97]
	v_mov_b64_e32 v[94:95], v[98:99]
	v_mov_b64_e32 v[96:97], v[180:181]
	v_mov_b64_e32 v[98:99], v[182:183]
	v_mov_b64_e32 v[184:185], v[178:179]
	v_mov_b64_e32 v[182:183], v[176:177]
	v_mov_b64_e32 v[180:181], v[174:175]
	v_mov_b64_e32 v[178:179], v[172:173]
	v_mov_b64_e32 v[176:177], v[170:171]
	v_mov_b64_e32 v[174:175], v[168:169]
	v_mov_b64_e32 v[172:173], v[166:167]
	v_mov_b64_e32 v[170:171], v[164:165]
	v_mov_b64_e32 v[168:169], v[162:163]
	v_mov_b64_e32 v[166:167], v[160:161]
	v_mov_b64_e32 v[164:165], v[158:159]
	v_mov_b64_e32 v[162:163], v[156:157]
	v_mov_b64_e32 v[160:161], v[154:155]
	v_mov_b64_e32 v[158:159], v[152:153]
	v_mov_b64_e32 v[156:157], v[150:151]
	v_mov_b64_e32 v[154:155], v[148:149]
	v_mov_b64_e32 v[152:153], v[146:147]
	v_mov_b64_e32 v[150:151], v[144:145]
	v_mov_b64_e32 v[148:149], v[142:143]
	v_mov_b64_e32 v[146:147], v[140:141]
	v_mov_b64_e32 v[144:145], v[138:139]
	v_mov_b64_e32 v[142:143], v[136:137]
	v_mov_b64_e32 v[140:141], v[134:135]
	v_mov_b64_e32 v[138:139], v[132:133]
	v_mov_b64_e32 v[136:137], v[130:131]
	v_mov_b64_e32 v[134:135], v[128:129]
	v_mov_b64_e32 v[132:133], v[126:127]
	v_div_scale_f64 v[204:205], s[10:11], v[102:103], v[102:103], v[100:101]
	v_mov_b64_e32 v[130:131], v[124:125]
	v_mov_b64_e32 v[128:129], v[122:123]
	v_rcp_f64_e32 v[206:207], v[204:205]
	v_mov_b64_e32 v[126:127], v[120:121]
	v_mov_b64_e32 v[124:125], v[118:119]
	;; [unrolled: 1-line block ×10, first 2 shown]
	v_fma_f64 v[220:221], -v[204:205], v[206:207], 1.0
	v_fmac_f64_e32 v[206:207], v[206:207], v[220:221]
	v_fma_f64 v[220:221], -v[204:205], v[206:207], 1.0
	v_div_scale_f64 v[218:219], vcc, v[100:101], v[102:103], v[100:101]
	v_fmac_f64_e32 v[206:207], v[206:207], v[220:221]
	v_mul_f64 v[220:221], v[218:219], v[206:207]
	v_fma_f64 v[204:205], -v[204:205], v[220:221], v[218:219]
	s_nop 0
	v_div_fmas_f64 v[204:205], v[204:205], v[206:207], v[220:221]
	v_div_fixup_f64 v[204:205], v[204:205], v[102:103], v[100:101]
	v_fma_f64 v[206:207], v[100:101], v[204:205], v[102:103]
	v_div_scale_f64 v[218:219], s[10:11], v[206:207], v[206:207], 1.0
	v_rcp_f64_e32 v[220:221], v[218:219]
	v_mov_b64_e32 v[108:109], v[222:223]
	v_mov_b64_e32 v[104:105], v[208:209]
	;; [unrolled: 1-line block ×3, first 2 shown]
	v_fma_f64 v[222:223], -v[218:219], v[220:221], 1.0
	v_fmac_f64_e32 v[220:221], v[220:221], v[222:223]
	v_fma_f64 v[222:223], -v[218:219], v[220:221], 1.0
	v_fmac_f64_e32 v[220:221], v[220:221], v[222:223]
	v_div_scale_f64 v[222:223], vcc, 1.0, v[206:207], 1.0
	v_mul_f64 v[224:225], v[222:223], v[220:221]
	v_mov_b64_e32 v[214:215], v[212:213]
	v_mov_b64_e32 v[212:213], v[210:211]
	;; [unrolled: 1-line block ×13, first 2 shown]
	v_fma_f64 v[218:219], -v[218:219], v[224:225], v[222:223]
	v_div_fmas_f64 v[218:219], v[218:219], v[220:221], v[224:225]
	v_mov_b64_e32 v[220:221], v[106:107]
	v_mov_b64_e32 v[234:235], v[236:237]
	;; [unrolled: 1-line block ×73, first 2 shown]
	scratch_load_dwordx4 v[68:71], off, off offset:72 ; 16-byte Folded Reload
	scratch_load_dwordx4 v[184:187], off, off offset:56 ; 16-byte Folded Reload
	v_div_fixup_f64 v[206:207], v[218:219], v[206:207], 1.0
	v_mul_f64 v[204:205], v[204:205], v[206:207]
	v_xor_b32_e32 v207, 0x80000000, v207
.LBB51_230:
	s_andn2_saveexec_b64 s[2:3], s[2:3]
	s_cbranch_execz .LBB51_232
; %bb.231:
	s_waitcnt vmcnt(1)
	v_mov_b64_e32 v[68:69], v[188:189]
	v_mov_b64_e32 v[70:71], v[190:191]
	s_waitcnt vmcnt(0)
	v_mov_b64_e32 v[188:189], v[74:75]
	v_mov_b64_e32 v[186:187], v[72:73]
	;; [unrolled: 1-line block ×43, first 2 shown]
	v_div_scale_f64 v[204:205], s[10:11], v[100:101], v[100:101], v[102:103]
	v_mov_b64_e32 v[130:131], v[124:125]
	v_mov_b64_e32 v[128:129], v[122:123]
	v_rcp_f64_e32 v[206:207], v[204:205]
	v_mov_b64_e32 v[126:127], v[120:121]
	v_mov_b64_e32 v[124:125], v[118:119]
	;; [unrolled: 1-line block ×10, first 2 shown]
	v_fma_f64 v[220:221], -v[204:205], v[206:207], 1.0
	v_fmac_f64_e32 v[206:207], v[206:207], v[220:221]
	v_fma_f64 v[220:221], -v[204:205], v[206:207], 1.0
	v_div_scale_f64 v[218:219], vcc, v[102:103], v[100:101], v[102:103]
	v_fmac_f64_e32 v[206:207], v[206:207], v[220:221]
	v_mul_f64 v[220:221], v[218:219], v[206:207]
	v_fma_f64 v[204:205], -v[204:205], v[220:221], v[218:219]
	s_nop 0
	v_div_fmas_f64 v[204:205], v[204:205], v[206:207], v[220:221]
	v_div_fixup_f64 v[206:207], v[204:205], v[100:101], v[102:103]
	v_fma_f64 v[204:205], v[102:103], v[206:207], v[100:101]
	v_div_scale_f64 v[218:219], s[10:11], v[204:205], v[204:205], 1.0
	v_rcp_f64_e32 v[220:221], v[218:219]
	v_mov_b64_e32 v[108:109], v[222:223]
	v_mov_b64_e32 v[104:105], v[208:209]
	;; [unrolled: 1-line block ×3, first 2 shown]
	v_fma_f64 v[222:223], -v[218:219], v[220:221], 1.0
	v_fmac_f64_e32 v[220:221], v[220:221], v[222:223]
	v_fma_f64 v[222:223], -v[218:219], v[220:221], 1.0
	v_fmac_f64_e32 v[220:221], v[220:221], v[222:223]
	v_div_scale_f64 v[222:223], vcc, 1.0, v[204:205], 1.0
	v_mul_f64 v[224:225], v[222:223], v[220:221]
	v_mov_b64_e32 v[214:215], v[212:213]
	v_mov_b64_e32 v[212:213], v[210:211]
	;; [unrolled: 1-line block ×13, first 2 shown]
	v_fma_f64 v[218:219], -v[218:219], v[224:225], v[222:223]
	v_div_fmas_f64 v[218:219], v[218:219], v[220:221], v[224:225]
	v_mov_b64_e32 v[220:221], v[106:107]
	v_mov_b64_e32 v[234:235], v[236:237]
	;; [unrolled: 1-line block ×73, first 2 shown]
	scratch_load_dwordx4 v[68:71], off, off offset:72 ; 16-byte Folded Reload
	scratch_load_dwordx4 v[184:187], off, off offset:56 ; 16-byte Folded Reload
	v_div_fixup_f64 v[204:205], v[218:219], v[204:205], 1.0
	v_mul_f64 v[206:207], v[206:207], -v[204:205]
.LBB51_232:
	s_or_b64 exec, exec, s[2:3]
	ds_write2_b64 v217, v[204:205], v[206:207] offset1:1
.LBB51_233:
	s_or_b64 exec, exec, s[4:5]
	s_waitcnt lgkmcnt(0)
	s_barrier
	ds_read2_b64 v[204:207], v217 offset1:1
	s_waitcnt lgkmcnt(0)
	s_barrier
	s_and_saveexec_b64 s[2:3], s[0:1]
	s_cbranch_execz .LBB51_236
; %bb.234:
	v_cmp_eq_f64_e32 vcc, 0, v[104:105]
	v_cmp_eq_f64_e64 s[0:1], 0, v[106:107]
	s_and_b64 s[4:5], vcc, s[0:1]
	v_cmp_neq_f64_e32 vcc, 0, v[108:109]
	v_cmp_neq_f64_e64 s[0:1], 0, v[110:111]
	s_or_b64 s[0:1], vcc, s[0:1]
	v_cndmask_b32_e64 v104, 0, 1, s[4:5]
	s_or_b64 vcc, s[0:1], s[4:5]
	v_cndmask_b32_e32 v104, 2, v104, vcc
	v_cmp_eq_f64_e32 vcc, 0, v[112:113]
	v_cmp_eq_f64_e64 s[0:1], 0, v[114:115]
	s_and_b64 s[0:1], vcc, s[0:1]
	v_cmp_eq_u32_e32 vcc, 0, v104
	s_and_b64 s[0:1], s[0:1], vcc
	v_cndmask_b32_e64 v104, v104, 3, s[0:1]
	v_cmp_eq_f64_e32 vcc, 0, v[116:117]
	v_cmp_eq_f64_e64 s[0:1], 0, v[118:119]
	s_and_b64 s[0:1], vcc, s[0:1]
	v_cmp_eq_u32_e32 vcc, 0, v104
	s_and_b64 s[0:1], s[0:1], vcc
	v_cndmask_b32_e64 v104, v104, 4, s[0:1]
	;; [unrolled: 6-line block ×10, first 2 shown]
	v_mov_b32_e32 v104, s6
	v_mov_b32_e32 v105, s7
	v_lshl_add_u64 v[104:105], v[230:231], 2, v[104:105]
	global_load_dword v107, v[104:105], off
	v_cmp_eq_f64_e32 vcc, 0, v[152:153]
	v_cmp_eq_f64_e64 s[0:1], 0, v[154:155]
	s_and_b64 s[0:1], vcc, s[0:1]
	v_cmp_eq_u32_e32 vcc, 0, v106
	s_and_b64 s[0:1], s[0:1], vcc
	v_cndmask_b32_e64 v106, v106, 13, s[0:1]
	v_cmp_eq_f64_e32 vcc, 0, v[156:157]
	v_cmp_eq_f64_e64 s[0:1], 0, v[158:159]
	s_and_b64 s[0:1], vcc, s[0:1]
	v_cmp_eq_u32_e32 vcc, 0, v106
	s_and_b64 s[0:1], s[0:1], vcc
	v_cndmask_b32_e64 v106, v106, 14, s[0:1]
	v_cmp_eq_f64_e32 vcc, 0, v[160:161]
	v_cmp_eq_f64_e64 s[0:1], 0, v[162:163]
	s_and_b64 s[0:1], vcc, s[0:1]
	v_cmp_eq_u32_e32 vcc, 0, v106
	s_and_b64 s[0:1], s[0:1], vcc
	v_cndmask_b32_e64 v106, v106, 15, s[0:1]
	v_cmp_eq_f64_e32 vcc, 0, v[164:165]
	v_cmp_eq_f64_e64 s[0:1], 0, v[166:167]
	s_and_b64 s[0:1], vcc, s[0:1]
	v_cmp_eq_u32_e32 vcc, 0, v106
	s_and_b64 s[0:1], s[0:1], vcc
	v_cndmask_b32_e64 v106, v106, 16, s[0:1]
	v_cmp_eq_f64_e32 vcc, 0, v[168:169]
	v_cmp_eq_f64_e64 s[0:1], 0, v[170:171]
	s_and_b64 s[0:1], vcc, s[0:1]
	v_cmp_eq_u32_e32 vcc, 0, v106
	s_and_b64 s[0:1], s[0:1], vcc
	v_cndmask_b32_e64 v106, v106, 17, s[0:1]
	v_cmp_eq_f64_e32 vcc, 0, v[172:173]
	v_cmp_eq_f64_e64 s[0:1], 0, v[174:175]
	s_and_b64 s[0:1], vcc, s[0:1]
	v_cmp_eq_u32_e32 vcc, 0, v106
	s_and_b64 s[0:1], s[0:1], vcc
	v_cndmask_b32_e64 v106, v106, 18, s[0:1]
	v_cmp_eq_f64_e32 vcc, 0, v[176:177]
	v_cmp_eq_f64_e64 s[0:1], 0, v[178:179]
	s_and_b64 s[0:1], vcc, s[0:1]
	v_cmp_eq_u32_e32 vcc, 0, v106
	s_and_b64 s[0:1], s[0:1], vcc
	v_cndmask_b32_e64 v106, v106, 19, s[0:1]
	v_cmp_eq_f64_e32 vcc, 0, v[180:181]
	v_cmp_eq_f64_e64 s[0:1], 0, v[182:183]
	s_and_b64 s[0:1], vcc, s[0:1]
	v_cmp_eq_u32_e32 vcc, 0, v106
	s_and_b64 s[0:1], s[0:1], vcc
	v_cndmask_b32_e64 v106, v106, 20, s[0:1]
	s_waitcnt vmcnt(1)
	v_cmp_eq_f64_e32 vcc, 0, v[184:185]
	v_cmp_eq_f64_e64 s[0:1], 0, v[186:187]
	s_and_b64 s[0:1], vcc, s[0:1]
	v_cmp_eq_u32_e32 vcc, 0, v106
	s_and_b64 s[0:1], s[0:1], vcc
	v_cndmask_b32_e64 v106, v106, 21, s[0:1]
	v_cmp_eq_f64_e32 vcc, 0, v[188:189]
	v_cmp_eq_f64_e64 s[0:1], 0, v[190:191]
	s_and_b64 s[0:1], vcc, s[0:1]
	v_cmp_eq_u32_e32 vcc, 0, v106
	s_and_b64 s[0:1], s[0:1], vcc
	v_cndmask_b32_e64 v106, v106, 22, s[0:1]
	;; [unrolled: 6-line block ×6, first 2 shown]
	s_waitcnt vmcnt(0)
	v_cmp_eq_u32_e32 vcc, 0, v107
	v_cmp_ne_u32_e64 s[0:1], 0, v106
	s_and_b64 s[0:1], vcc, s[0:1]
	s_and_b64 exec, exec, s[0:1]
	s_cbranch_execz .LBB51_236
; %bb.235:
	v_add_u32_e32 v106, s9, v106
	global_store_dword v[104:105], v106, off
.LBB51_236:
	s_or_b64 exec, exec, s[2:3]
	s_waitcnt vmcnt(30)
	global_store_dwordx4 v[208:209], v[96:99], off
	scratch_load_dwordx2 v[96:97], off, off offset:48 ; 8-byte Folded Reload
	s_waitcnt vmcnt(3)
	v_mul_f64 v[104:105], v[206:207], v[102:103]
	v_mul_f64 v[106:107], v[204:205], v[102:103]
	v_fma_f64 v[104:105], v[204:205], v[100:101], -v[104:105]
	v_fmac_f64_e32 v[106:107], v[206:207], v[100:101]
	v_cmp_lt_u32_e32 vcc, 25, v216
	s_waitcnt vmcnt(0)
	global_store_dwordx4 v[96:97], v[92:95], off
	scratch_load_dwordx2 v[92:93], off, off offset:40 ; 8-byte Folded Reload
	v_cndmask_b32_e32 v103, v103, v107, vcc
	v_cndmask_b32_e32 v102, v102, v106, vcc
	;; [unrolled: 1-line block ×4, first 2 shown]
	s_waitcnt vmcnt(0)
	global_store_dwordx4 v[92:93], v[88:91], off
	global_store_dwordx4 v[228:229], v[84:87], off
	;; [unrolled: 1-line block ×19, first 2 shown]
	scratch_load_dwordx2 v[16:17], off, off ; 8-byte Folded Reload
	s_waitcnt vmcnt(0)
	global_store_dwordx4 v[16:17], v[12:15], off
	scratch_load_dwordx2 v[12:13], off, off offset:8 ; 8-byte Folded Reload
	s_waitcnt vmcnt(0)
	global_store_dwordx4 v[12:13], v[8:11], off
	scratch_load_dwordx2 v[8:9], off, off offset:16 ; 8-byte Folded Reload
	;; [unrolled: 3-line block ×4, first 2 shown]
	s_waitcnt vmcnt(0)
	global_store_dwordx4 v[0:1], v[100:103], off
.LBB51_237:
	s_endpgm
	.section	.rodata,"a",@progbits
	.p2align	6, 0x0
	.amdhsa_kernel _ZN9rocsolver6v33100L23getf2_npvt_small_kernelILi26E19rocblas_complex_numIdEiiPS3_EEvT1_T3_lS5_lPT2_S5_S5_
		.amdhsa_group_segment_fixed_size 0
		.amdhsa_private_segment_fixed_size 92
		.amdhsa_kernarg_size 312
		.amdhsa_user_sgpr_count 2
		.amdhsa_user_sgpr_dispatch_ptr 0
		.amdhsa_user_sgpr_queue_ptr 0
		.amdhsa_user_sgpr_kernarg_segment_ptr 1
		.amdhsa_user_sgpr_dispatch_id 0
		.amdhsa_user_sgpr_kernarg_preload_length 0
		.amdhsa_user_sgpr_kernarg_preload_offset 0
		.amdhsa_user_sgpr_private_segment_size 0
		.amdhsa_uses_dynamic_stack 0
		.amdhsa_enable_private_segment 1
		.amdhsa_system_sgpr_workgroup_id_x 1
		.amdhsa_system_sgpr_workgroup_id_y 1
		.amdhsa_system_sgpr_workgroup_id_z 0
		.amdhsa_system_sgpr_workgroup_info 0
		.amdhsa_system_vgpr_workitem_id 1
		.amdhsa_next_free_vgpr 256
		.amdhsa_next_free_sgpr 16
		.amdhsa_accum_offset 256
		.amdhsa_reserve_vcc 1
		.amdhsa_float_round_mode_32 0
		.amdhsa_float_round_mode_16_64 0
		.amdhsa_float_denorm_mode_32 3
		.amdhsa_float_denorm_mode_16_64 3
		.amdhsa_dx10_clamp 1
		.amdhsa_ieee_mode 1
		.amdhsa_fp16_overflow 0
		.amdhsa_tg_split 0
		.amdhsa_exception_fp_ieee_invalid_op 0
		.amdhsa_exception_fp_denorm_src 0
		.amdhsa_exception_fp_ieee_div_zero 0
		.amdhsa_exception_fp_ieee_overflow 0
		.amdhsa_exception_fp_ieee_underflow 0
		.amdhsa_exception_fp_ieee_inexact 0
		.amdhsa_exception_int_div_zero 0
	.end_amdhsa_kernel
	.section	.text._ZN9rocsolver6v33100L23getf2_npvt_small_kernelILi26E19rocblas_complex_numIdEiiPS3_EEvT1_T3_lS5_lPT2_S5_S5_,"axG",@progbits,_ZN9rocsolver6v33100L23getf2_npvt_small_kernelILi26E19rocblas_complex_numIdEiiPS3_EEvT1_T3_lS5_lPT2_S5_S5_,comdat
.Lfunc_end51:
	.size	_ZN9rocsolver6v33100L23getf2_npvt_small_kernelILi26E19rocblas_complex_numIdEiiPS3_EEvT1_T3_lS5_lPT2_S5_S5_, .Lfunc_end51-_ZN9rocsolver6v33100L23getf2_npvt_small_kernelILi26E19rocblas_complex_numIdEiiPS3_EEvT1_T3_lS5_lPT2_S5_S5_
                                        ; -- End function
	.set _ZN9rocsolver6v33100L23getf2_npvt_small_kernelILi26E19rocblas_complex_numIdEiiPS3_EEvT1_T3_lS5_lPT2_S5_S5_.num_vgpr, 256
	.set _ZN9rocsolver6v33100L23getf2_npvt_small_kernelILi26E19rocblas_complex_numIdEiiPS3_EEvT1_T3_lS5_lPT2_S5_S5_.num_agpr, 0
	.set _ZN9rocsolver6v33100L23getf2_npvt_small_kernelILi26E19rocblas_complex_numIdEiiPS3_EEvT1_T3_lS5_lPT2_S5_S5_.numbered_sgpr, 16
	.set _ZN9rocsolver6v33100L23getf2_npvt_small_kernelILi26E19rocblas_complex_numIdEiiPS3_EEvT1_T3_lS5_lPT2_S5_S5_.num_named_barrier, 0
	.set _ZN9rocsolver6v33100L23getf2_npvt_small_kernelILi26E19rocblas_complex_numIdEiiPS3_EEvT1_T3_lS5_lPT2_S5_S5_.private_seg_size, 92
	.set _ZN9rocsolver6v33100L23getf2_npvt_small_kernelILi26E19rocblas_complex_numIdEiiPS3_EEvT1_T3_lS5_lPT2_S5_S5_.uses_vcc, 1
	.set _ZN9rocsolver6v33100L23getf2_npvt_small_kernelILi26E19rocblas_complex_numIdEiiPS3_EEvT1_T3_lS5_lPT2_S5_S5_.uses_flat_scratch, 0
	.set _ZN9rocsolver6v33100L23getf2_npvt_small_kernelILi26E19rocblas_complex_numIdEiiPS3_EEvT1_T3_lS5_lPT2_S5_S5_.has_dyn_sized_stack, 0
	.set _ZN9rocsolver6v33100L23getf2_npvt_small_kernelILi26E19rocblas_complex_numIdEiiPS3_EEvT1_T3_lS5_lPT2_S5_S5_.has_recursion, 0
	.set _ZN9rocsolver6v33100L23getf2_npvt_small_kernelILi26E19rocblas_complex_numIdEiiPS3_EEvT1_T3_lS5_lPT2_S5_S5_.has_indirect_call, 0
	.section	.AMDGPU.csdata,"",@progbits
; Kernel info:
; codeLenInByte = 41320
; TotalNumSgprs: 22
; NumVgprs: 256
; NumAgprs: 0
; TotalNumVgprs: 256
; ScratchSize: 92
; MemoryBound: 1
; FloatMode: 240
; IeeeMode: 1
; LDSByteSize: 0 bytes/workgroup (compile time only)
; SGPRBlocks: 2
; VGPRBlocks: 31
; NumSGPRsForWavesPerEU: 22
; NumVGPRsForWavesPerEU: 256
; AccumOffset: 256
; Occupancy: 2
; WaveLimiterHint : 0
; COMPUTE_PGM_RSRC2:SCRATCH_EN: 1
; COMPUTE_PGM_RSRC2:USER_SGPR: 2
; COMPUTE_PGM_RSRC2:TRAP_HANDLER: 0
; COMPUTE_PGM_RSRC2:TGID_X_EN: 1
; COMPUTE_PGM_RSRC2:TGID_Y_EN: 1
; COMPUTE_PGM_RSRC2:TGID_Z_EN: 0
; COMPUTE_PGM_RSRC2:TIDIG_COMP_CNT: 1
; COMPUTE_PGM_RSRC3_GFX90A:ACCUM_OFFSET: 63
; COMPUTE_PGM_RSRC3_GFX90A:TG_SPLIT: 0
	.section	.text._ZN9rocsolver6v33100L18getf2_small_kernelILi27E19rocblas_complex_numIdEiiPS3_EEvT1_T3_lS5_lPS5_llPT2_S5_S5_S7_l,"axG",@progbits,_ZN9rocsolver6v33100L18getf2_small_kernelILi27E19rocblas_complex_numIdEiiPS3_EEvT1_T3_lS5_lPS5_llPT2_S5_S5_S7_l,comdat
	.globl	_ZN9rocsolver6v33100L18getf2_small_kernelILi27E19rocblas_complex_numIdEiiPS3_EEvT1_T3_lS5_lPS5_llPT2_S5_S5_S7_l ; -- Begin function _ZN9rocsolver6v33100L18getf2_small_kernelILi27E19rocblas_complex_numIdEiiPS3_EEvT1_T3_lS5_lPS5_llPT2_S5_S5_S7_l
	.p2align	8
	.type	_ZN9rocsolver6v33100L18getf2_small_kernelILi27E19rocblas_complex_numIdEiiPS3_EEvT1_T3_lS5_lPS5_llPT2_S5_S5_S7_l,@function
_ZN9rocsolver6v33100L18getf2_small_kernelILi27E19rocblas_complex_numIdEiiPS3_EEvT1_T3_lS5_lPS5_llPT2_S5_S5_S7_l: ; @_ZN9rocsolver6v33100L18getf2_small_kernelILi27E19rocblas_complex_numIdEiiPS3_EEvT1_T3_lS5_lPS5_llPT2_S5_S5_S7_l
; %bb.0:
	s_load_dword s2, s[0:1], 0x6c
	s_load_dwordx2 s[12:13], s[0:1], 0x48
	v_bfe_u32 v108, v0, 10, 10
	s_waitcnt lgkmcnt(0)
	s_lshr_b32 s2, s2, 16
	s_mul_i32 s3, s3, s2
	v_add_u32_e32 v114, s3, v108
	v_cmp_gt_i32_e32 vcc, s12, v114
	s_and_saveexec_b64 s[2:3], vcc
	s_cbranch_execz .LBB52_568
; %bb.1:
	s_load_dwordx4 s[4:7], s[0:1], 0x50
	v_ashrrev_i32_e32 v115, 31, v114
	v_mov_b64_e32 v[116:117], 0
	s_waitcnt lgkmcnt(0)
	s_cmp_eq_u64 s[4:5], 0
	s_cselect_b64 s[14:15], -1, 0
	s_and_b64 vcc, exec, s[14:15]
	s_cbranch_vccnz .LBB52_3
; %bb.2:
	v_mul_lo_u32 v1, s7, v114
	v_mul_lo_u32 v4, s6, v115
	v_mad_u64_u32 v[2:3], s[2:3], s6, v114, 0
	v_add3_u32 v3, v3, v4, v1
	v_lshl_add_u64 v[116:117], v[2:3], 2, s[4:5]
.LBB52_3:
	s_load_dwordx4 s[16:19], s[0:1], 0x8
	s_load_dwordx8 s[4:11], s[0:1], 0x20
	s_load_dword s2, s[0:1], 0x18
	s_load_dword s20, s[0:1], 0x0
	v_and_b32_e32 v122, 0x3ff, v0
	s_waitcnt lgkmcnt(0)
	v_mov_b32_e32 v2, s16
	v_mul_lo_u32 v1, s5, v114
	v_mul_lo_u32 v6, s4, v115
	v_mad_u64_u32 v[4:5], s[4:5], s4, v114, 0
	v_mov_b32_e32 v3, s17
	v_add3_u32 v5, v5, v6, v1
	v_lshl_add_u64 v[2:3], v[4:5], 4, v[2:3]
	s_add_i32 s12, s2, s2
	v_lshl_add_u64 v[112:113], s[18:19], 4, v[2:3]
	v_add_u32_e32 v2, s12, v122
	v_add_u32_e32 v4, s2, v2
	;; [unrolled: 1-line block ×3, first 2 shown]
	v_lshlrev_b32_e32 v118, 4, v122
	v_mov_b32_e32 v119, 0
	v_add_u32_e32 v8, s2, v6
	v_lshl_add_u64 v[0:1], v[112:113], 0, v[118:119]
	s_ashr_i32 s3, s2, 31
	v_ashrrev_i32_e32 v9, 31, v8
	v_add_u32_e32 v12, s2, v8
	v_lshl_add_u64 v[10:11], s[2:3], 4, v[0:1]
	global_load_dwordx4 v[76:79], v[0:1], off
	global_load_dwordx4 v[68:71], v[10:11], off
	v_lshl_add_u64 v[0:1], v[8:9], 4, v[112:113]
	v_ashrrev_i32_e32 v13, 31, v12
	v_add_u32_e32 v8, s2, v12
	v_lshl_add_u64 v[10:11], v[12:13], 4, v[112:113]
	v_add_u32_e32 v12, s2, v8
	v_add_u32_e32 v14, s2, v12
	;; [unrolled: 1-line block ×10, first 2 shown]
	v_ashrrev_i32_e32 v31, 31, v30
	v_add_u32_e32 v32, s2, v30
	v_lshl_add_u64 v[104:105], v[30:31], 4, v[112:113]
	v_ashrrev_i32_e32 v33, 31, v32
	v_add_u32_e32 v30, s2, v32
	v_lshl_add_u64 v[106:107], v[32:33], 4, v[112:113]
	;; [unrolled: 3-line block ×5, first 2 shown]
	v_add_u32_e32 v30, s2, v32
	v_ashrrev_i32_e32 v31, 31, v30
	v_lshl_add_u64 v[128:129], v[30:31], 4, v[112:113]
	v_add_u32_e32 v30, s2, v30
	v_ashrrev_i32_e32 v31, 31, v30
	v_lshl_add_u64 v[130:131], v[30:31], 4, v[112:113]
	v_add_u32_e32 v30, s2, v30
	v_ashrrev_i32_e32 v31, 31, v30
	v_ashrrev_i32_e32 v3, 31, v2
	;; [unrolled: 1-line block ×14, first 2 shown]
	v_lshl_add_u64 v[132:133], v[30:31], 4, v[112:113]
	v_add_u32_e32 v30, s2, v30
	v_lshl_add_u64 v[2:3], v[2:3], 4, v[112:113]
	v_lshl_add_u64 v[4:5], v[4:5], 4, v[112:113]
	;; [unrolled: 1-line block ×13, first 2 shown]
	v_ashrrev_i32_e32 v33, 31, v32
	v_ashrrev_i32_e32 v31, 31, v30
	v_lshl_add_u64 v[126:127], v[32:33], 4, v[112:113]
	v_lshl_add_u64 v[134:135], v[30:31], 4, v[112:113]
	global_load_dwordx4 v[100:103], v[2:3], off
	global_load_dwordx4 v[96:99], v[4:5], off
	;; [unrolled: 1-line block ×15, first 2 shown]
                                        ; kill: killed $vgpr18_vgpr19
                                        ; kill: killed $vgpr2_vgpr3
                                        ; kill: killed $vgpr20_vgpr21
                                        ; kill: killed $vgpr4_vgpr5
                                        ; kill: killed $vgpr22_vgpr23
                                        ; kill: killed $vgpr6_vgpr7
                                        ; kill: killed $vgpr24_vgpr25
                                        ; kill: killed $vgpr0_vgpr1
                                        ; kill: killed $vgpr26_vgpr27
                                        ; kill: killed $vgpr10_vgpr11
                                        ; kill: killed $vgpr28_vgpr29
                                        ; kill: killed $vgpr8_vgpr9
                                        ; kill: killed $vgpr12_vgpr13
                                        ; kill: killed $vgpr14_vgpr15
                                        ; kill: killed $vgpr16_vgpr17
	global_load_dwordx4 v[36:39], v[104:105], off
	s_nop 0
	global_load_dwordx4 v[28:31], v[106:107], off
	global_load_dwordx4 v[24:27], v[110:111], off
	;; [unrolled: 1-line block ×6, first 2 shown]
                                        ; kill: killed $vgpr124_vgpr125
                                        ; kill: killed $vgpr126_vgpr127
                                        ; kill: killed $vgpr128_vgpr129
                                        ; kill: killed $vgpr104_vgpr105
                                        ; kill: killed $vgpr106_vgpr107
                                        ; kill: killed $vgpr110_vgpr111
                                        ; kill: killed $vgpr120_vgpr121
	global_load_dwordx4 v[4:7], v[130:131], off
	global_load_dwordx4 v[0:3], v[132:133], off
	;; [unrolled: 1-line block ×3, first 2 shown]
	s_load_dwordx2 s[4:5], s[0:1], 0x40
	s_max_i32 s0, s20, 27
	v_mul_lo_u32 v121, s0, v108
	v_lshl_add_u32 v120, v121, 4, 0
	v_add_u32_e32 v108, v120, v118
	s_cmp_lt_i32 s20, 2
	v_lshlrev_b32_e32 v124, 4, v121
	s_waitcnt vmcnt(26)
	ds_write2_b64 v108, v[76:77], v[78:79] offset1:1
	s_waitcnt lgkmcnt(0)
	s_barrier
	ds_read2_b64 v[108:111], v120 offset1:1
	s_cbranch_scc1 .LBB52_6
; %bb.4:
	v_add3_u32 v118, v124, 0, 16
	s_mov_b32 s16, 1
	v_mov_b32_e32 v119, 0
.LBB52_5:                               ; =>This Inner Loop Header: Depth=1
	ds_read2_b64 v[126:129], v118 offset1:1
	s_waitcnt lgkmcnt(1)
	v_xor_b32_e32 v121, 0x80000000, v109
	v_xor_b32_e32 v123, 0x80000000, v111
	v_cmp_gt_f64_e32 vcc, 0, v[110:111]
	v_cmp_gt_f64_e64 s[0:1], 0, v[108:109]
	v_mov_b32_e32 v130, v108
	v_mov_b32_e32 v132, v110
	v_cndmask_b32_e64 v131, v109, v121, s[0:1]
	v_cndmask_b32_e32 v133, v111, v123, vcc
	s_waitcnt lgkmcnt(0)
	v_xor_b32_e32 v121, 0x80000000, v127
	v_xor_b32_e32 v123, 0x80000000, v129
	v_cmp_gt_f64_e32 vcc, 0, v[128:129]
	v_cmp_gt_f64_e64 s[0:1], 0, v[126:127]
	v_add_f64 v[130:131], v[130:131], v[132:133]
	v_mov_b32_e32 v132, v126
	v_mov_b32_e32 v134, v128
	v_cndmask_b32_e64 v133, v127, v121, s[0:1]
	v_cndmask_b32_e32 v135, v129, v123, vcc
	v_add_f64 v[132:133], v[132:133], v[134:135]
	v_mov_b32_e32 v125, s16
	s_add_i32 s16, s16, 1
	v_cmp_lt_f64_e32 vcc, v[130:131], v[132:133]
	v_add_u32_e32 v118, 16, v118
	s_cmp_eq_u32 s20, s16
	v_cndmask_b32_e32 v109, v109, v127, vcc
	v_cndmask_b32_e32 v108, v108, v126, vcc
	;; [unrolled: 1-line block ×5, first 2 shown]
	s_cbranch_scc0 .LBB52_5
.LBB52_6:
	s_waitcnt lgkmcnt(0)
	v_cmp_neq_f64_e32 vcc, 0, v[108:109]
	v_cmp_neq_f64_e64 s[0:1], 0, v[110:111]
	s_or_b64 s[16:17], vcc, s[0:1]
	v_mov_b32_e32 v123, 1
	v_mov_b32_e32 v125, 1
	s_and_saveexec_b64 s[0:1], s[16:17]
	s_cbranch_execz .LBB52_12
; %bb.7:
	v_cmp_ngt_f64_e64 s[16:17], |v[108:109]|, |v[110:111]|
	s_and_saveexec_b64 s[18:19], s[16:17]
	s_xor_b64 s[16:17], exec, s[18:19]
	s_cbranch_execz .LBB52_9
; %bb.8:
	v_div_scale_f64 v[126:127], s[18:19], v[110:111], v[110:111], v[108:109]
	v_rcp_f64_e32 v[128:129], v[126:127]
	v_div_scale_f64 v[130:131], vcc, v[108:109], v[110:111], v[108:109]
	v_fma_f64 v[132:133], -v[126:127], v[128:129], 1.0
	v_fmac_f64_e32 v[128:129], v[128:129], v[132:133]
	v_fma_f64 v[132:133], -v[126:127], v[128:129], 1.0
	v_fmac_f64_e32 v[128:129], v[128:129], v[132:133]
	v_mul_f64 v[132:133], v[130:131], v[128:129]
	v_fma_f64 v[126:127], -v[126:127], v[132:133], v[130:131]
	v_div_fmas_f64 v[126:127], v[126:127], v[128:129], v[132:133]
	v_div_fixup_f64 v[126:127], v[126:127], v[110:111], v[108:109]
	v_fmac_f64_e32 v[110:111], v[108:109], v[126:127]
	v_div_scale_f64 v[108:109], s[18:19], v[110:111], v[110:111], 1.0
	v_rcp_f64_e32 v[128:129], v[108:109]
	s_nop 0
	v_fma_f64 v[130:131], -v[108:109], v[128:129], 1.0
	v_fmac_f64_e32 v[128:129], v[128:129], v[130:131]
	v_fma_f64 v[130:131], -v[108:109], v[128:129], 1.0
	v_fmac_f64_e32 v[128:129], v[128:129], v[130:131]
	v_div_scale_f64 v[130:131], vcc, 1.0, v[110:111], 1.0
	v_mul_f64 v[132:133], v[130:131], v[128:129]
	v_fma_f64 v[108:109], -v[108:109], v[132:133], v[130:131]
	s_nop 1
	v_div_fmas_f64 v[108:109], v[108:109], v[128:129], v[132:133]
	v_div_fixup_f64 v[110:111], v[108:109], v[110:111], 1.0
	v_mul_f64 v[108:109], v[126:127], v[110:111]
	v_xor_b32_e32 v111, 0x80000000, v111
.LBB52_9:
	s_andn2_saveexec_b64 s[16:17], s[16:17]
	s_cbranch_execz .LBB52_11
; %bb.10:
	v_div_scale_f64 v[126:127], s[18:19], v[108:109], v[108:109], v[110:111]
	v_rcp_f64_e32 v[128:129], v[126:127]
	v_div_scale_f64 v[130:131], vcc, v[110:111], v[108:109], v[110:111]
	v_fma_f64 v[132:133], -v[126:127], v[128:129], 1.0
	v_fmac_f64_e32 v[128:129], v[128:129], v[132:133]
	v_fma_f64 v[132:133], -v[126:127], v[128:129], 1.0
	v_fmac_f64_e32 v[128:129], v[128:129], v[132:133]
	v_mul_f64 v[132:133], v[130:131], v[128:129]
	v_fma_f64 v[126:127], -v[126:127], v[132:133], v[130:131]
	v_div_fmas_f64 v[126:127], v[126:127], v[128:129], v[132:133]
	v_div_fixup_f64 v[126:127], v[126:127], v[108:109], v[110:111]
	v_fmac_f64_e32 v[108:109], v[110:111], v[126:127]
	v_div_scale_f64 v[110:111], s[18:19], v[108:109], v[108:109], 1.0
	v_rcp_f64_e32 v[128:129], v[110:111]
	s_nop 0
	v_fma_f64 v[130:131], -v[110:111], v[128:129], 1.0
	v_fmac_f64_e32 v[128:129], v[128:129], v[130:131]
	v_fma_f64 v[130:131], -v[110:111], v[128:129], 1.0
	v_fmac_f64_e32 v[128:129], v[128:129], v[130:131]
	v_div_scale_f64 v[130:131], vcc, 1.0, v[108:109], 1.0
	v_mul_f64 v[132:133], v[130:131], v[128:129]
	v_fma_f64 v[110:111], -v[110:111], v[132:133], v[130:131]
	s_nop 1
	v_div_fmas_f64 v[110:111], v[110:111], v[128:129], v[132:133]
	v_div_fixup_f64 v[108:109], v[110:111], v[108:109], 1.0
	v_mul_f64 v[110:111], v[126:127], -v[108:109]
.LBB52_11:
	s_or_b64 exec, exec, s[16:17]
	v_mov_b32_e32 v125, 0
	v_mov_b32_e32 v123, 2
.LBB52_12:
	s_or_b64 exec, exec, s[0:1]
	v_cmp_ne_u32_e32 vcc, v122, v119
	s_and_saveexec_b64 s[0:1], vcc
	s_xor_b64 s[0:1], exec, s[0:1]
	s_cbranch_execz .LBB52_18
; %bb.13:
	v_cmp_eq_u32_e32 vcc, 0, v122
	s_and_saveexec_b64 s[16:17], vcc
	s_cbranch_execz .LBB52_17
; %bb.14:
	v_cmp_ne_u32_e32 vcc, 0, v119
	s_xor_b64 s[18:19], s[14:15], -1
	s_and_b64 s[22:23], s[18:19], vcc
	s_and_saveexec_b64 s[18:19], s[22:23]
	s_cbranch_execz .LBB52_16
; %bb.15:
	v_ashrrev_i32_e32 v127, 31, v119
	v_mov_b32_e32 v126, v119
	v_lshl_add_u64 v[126:127], v[126:127], 2, v[116:117]
	global_load_dword v118, v[126:127], off
	global_load_dword v121, v[116:117], off
	s_waitcnt vmcnt(1)
	global_store_dword v[116:117], v118, off
	s_waitcnt vmcnt(1)
	global_store_dword v[126:127], v121, off
.LBB52_16:
	s_or_b64 exec, exec, s[18:19]
	v_mov_b32_e32 v122, v119
.LBB52_17:
	s_or_b64 exec, exec, s[16:17]
.LBB52_18:
	s_or_saveexec_b64 s[0:1], s[0:1]
	v_mov_b32_e32 v121, v122
	s_xor_b64 exec, exec, s[0:1]
	s_cbranch_execz .LBB52_20
; %bb.19:
	v_mov_b32_e32 v121, 0
	s_waitcnt vmcnt(25)
	ds_write2_b64 v120, v[68:69], v[70:71] offset0:2 offset1:3
	s_waitcnt vmcnt(24)
	ds_write2_b64 v120, v[100:101], v[102:103] offset0:4 offset1:5
	;; [unrolled: 2-line block ×26, first 2 shown]
.LBB52_20:
	s_or_b64 exec, exec, s[0:1]
	v_cmp_lt_i32_e32 vcc, 0, v121
	s_waitcnt lgkmcnt(0)
	s_barrier
	s_and_saveexec_b64 s[0:1], vcc
	s_cbranch_execz .LBB52_22
; %bb.21:
	ds_read2_b64 v[126:129], v120 offset0:2 offset1:3
	v_mul_f64 v[118:119], v[110:111], v[78:79]
	v_mul_f64 v[78:79], v[108:109], v[78:79]
	v_fma_f64 v[118:119], v[108:109], v[76:77], -v[118:119]
	v_fmac_f64_e32 v[78:79], v[110:111], v[76:77]
	ds_read2_b64 v[108:111], v120 offset0:4 offset1:5
	s_waitcnt lgkmcnt(1)
	v_mul_f64 v[76:77], v[128:129], v[78:79]
	v_fma_f64 v[76:77], v[126:127], v[118:119], -v[76:77]
	v_mul_f64 v[126:127], v[126:127], v[78:79]
	v_fmac_f64_e32 v[126:127], v[128:129], v[118:119]
	s_waitcnt vmcnt(25)
	v_add_f64 v[68:69], v[68:69], -v[76:77]
	s_waitcnt lgkmcnt(0)
	v_mul_f64 v[76:77], v[110:111], v[78:79]
	v_add_f64 v[70:71], v[70:71], -v[126:127]
	v_fma_f64 v[76:77], v[108:109], v[118:119], -v[76:77]
	v_mul_f64 v[108:109], v[108:109], v[78:79]
	ds_read2_b64 v[126:129], v120 offset0:6 offset1:7
	v_fmac_f64_e32 v[108:109], v[110:111], v[118:119]
	s_waitcnt vmcnt(24)
	v_add_f64 v[102:103], v[102:103], -v[108:109]
	ds_read2_b64 v[108:111], v120 offset0:8 offset1:9
	v_add_f64 v[100:101], v[100:101], -v[76:77]
	s_waitcnt lgkmcnt(1)
	v_mul_f64 v[76:77], v[128:129], v[78:79]
	v_fma_f64 v[76:77], v[126:127], v[118:119], -v[76:77]
	v_mul_f64 v[126:127], v[126:127], v[78:79]
	v_fmac_f64_e32 v[126:127], v[128:129], v[118:119]
	s_waitcnt vmcnt(23)
	v_add_f64 v[96:97], v[96:97], -v[76:77]
	s_waitcnt lgkmcnt(0)
	v_mul_f64 v[76:77], v[110:111], v[78:79]
	v_add_f64 v[98:99], v[98:99], -v[126:127]
	v_fma_f64 v[76:77], v[108:109], v[118:119], -v[76:77]
	v_mul_f64 v[108:109], v[108:109], v[78:79]
	ds_read2_b64 v[126:129], v120 offset0:10 offset1:11
	v_fmac_f64_e32 v[108:109], v[110:111], v[118:119]
	s_waitcnt vmcnt(22)
	v_add_f64 v[94:95], v[94:95], -v[108:109]
	ds_read2_b64 v[108:111], v120 offset0:12 offset1:13
	v_add_f64 v[92:93], v[92:93], -v[76:77]
	;; [unrolled: 18-line block ×12, first 2 shown]
	s_waitcnt lgkmcnt(1)
	v_mul_f64 v[76:77], v[128:129], v[78:79]
	v_fma_f64 v[76:77], v[126:127], v[118:119], -v[76:77]
	s_waitcnt vmcnt(1)
	v_add_f64 v[0:1], v[0:1], -v[76:77]
	s_waitcnt lgkmcnt(0)
	v_mul_f64 v[76:77], v[110:111], v[78:79]
	v_mul_f64 v[126:127], v[126:127], v[78:79]
	v_fma_f64 v[76:77], v[108:109], v[118:119], -v[76:77]
	v_mul_f64 v[108:109], v[108:109], v[78:79]
	v_fmac_f64_e32 v[126:127], v[128:129], v[118:119]
	v_fmac_f64_e32 v[108:109], v[110:111], v[118:119]
	v_add_f64 v[2:3], v[2:3], -v[126:127]
	s_waitcnt vmcnt(0)
	v_add_f64 v[104:105], v[104:105], -v[76:77]
	v_add_f64 v[106:107], v[106:107], -v[108:109]
	v_mov_b64_e32 v[76:77], v[118:119]
.LBB52_22:
	s_or_b64 exec, exec, s[0:1]
	v_lshl_add_u32 v108, v121, 4, v120
	s_barrier
	s_waitcnt vmcnt(25)
	ds_write2_b64 v108, v[68:69], v[70:71] offset1:1
	s_waitcnt lgkmcnt(0)
	s_barrier
	ds_read2_b64 v[108:111], v120 offset0:2 offset1:3
	s_cmp_lt_i32 s20, 3
	v_mov_b32_e32 v118, 1
	s_cbranch_scc1 .LBB52_25
; %bb.23:
	v_add3_u32 v119, v124, 0, 32
	s_mov_b32 s16, 2
	v_mov_b32_e32 v118, 1
.LBB52_24:                              ; =>This Inner Loop Header: Depth=1
	ds_read2_b64 v[126:129], v119 offset1:1
	s_waitcnt lgkmcnt(1)
	v_xor_b32_e32 v131, 0x80000000, v109
	v_xor_b32_e32 v133, 0x80000000, v111
	v_cmp_gt_f64_e32 vcc, 0, v[110:111]
	v_cmp_gt_f64_e64 s[0:1], 0, v[108:109]
	v_mov_b32_e32 v130, v108
	v_mov_b32_e32 v132, v110
	v_cndmask_b32_e64 v131, v109, v131, s[0:1]
	v_cndmask_b32_e32 v133, v111, v133, vcc
	v_add_f64 v[130:131], v[130:131], v[132:133]
	s_waitcnt lgkmcnt(0)
	v_xor_b32_e32 v133, 0x80000000, v127
	v_xor_b32_e32 v135, 0x80000000, v129
	v_cmp_gt_f64_e32 vcc, 0, v[128:129]
	v_cmp_gt_f64_e64 s[0:1], 0, v[126:127]
	v_mov_b32_e32 v132, v126
	v_mov_b32_e32 v134, v128
	v_cndmask_b32_e64 v133, v127, v133, s[0:1]
	v_cndmask_b32_e32 v135, v129, v135, vcc
	v_add_f64 v[132:133], v[132:133], v[134:135]
	v_mov_b32_e32 v136, s16
	s_add_i32 s16, s16, 1
	v_cmp_lt_f64_e32 vcc, v[130:131], v[132:133]
	v_add_u32_e32 v119, 16, v119
	s_cmp_lg_u32 s20, s16
	v_cndmask_b32_e32 v109, v109, v127, vcc
	v_cndmask_b32_e32 v108, v108, v126, vcc
	v_cndmask_b32_e32 v111, v111, v129, vcc
	v_cndmask_b32_e32 v110, v110, v128, vcc
	v_cndmask_b32_e32 v118, v118, v136, vcc
	s_cbranch_scc1 .LBB52_24
.LBB52_25:
	s_waitcnt lgkmcnt(0)
	v_cmp_neq_f64_e32 vcc, 0, v[108:109]
	v_cmp_neq_f64_e64 s[0:1], 0, v[110:111]
	s_or_b64 s[16:17], vcc, s[0:1]
	s_and_saveexec_b64 s[0:1], s[16:17]
	s_cbranch_execz .LBB52_31
; %bb.26:
	v_cmp_ngt_f64_e64 s[16:17], |v[108:109]|, |v[110:111]|
	s_and_saveexec_b64 s[18:19], s[16:17]
	s_xor_b64 s[16:17], exec, s[18:19]
	s_cbranch_execz .LBB52_28
; %bb.27:
	v_div_scale_f64 v[126:127], s[18:19], v[110:111], v[110:111], v[108:109]
	v_rcp_f64_e32 v[128:129], v[126:127]
	v_div_scale_f64 v[130:131], vcc, v[108:109], v[110:111], v[108:109]
	v_fma_f64 v[132:133], -v[126:127], v[128:129], 1.0
	v_fmac_f64_e32 v[128:129], v[128:129], v[132:133]
	v_fma_f64 v[132:133], -v[126:127], v[128:129], 1.0
	v_fmac_f64_e32 v[128:129], v[128:129], v[132:133]
	v_mul_f64 v[132:133], v[130:131], v[128:129]
	v_fma_f64 v[126:127], -v[126:127], v[132:133], v[130:131]
	v_div_fmas_f64 v[126:127], v[126:127], v[128:129], v[132:133]
	v_div_fixup_f64 v[126:127], v[126:127], v[110:111], v[108:109]
	v_fmac_f64_e32 v[110:111], v[108:109], v[126:127]
	v_div_scale_f64 v[108:109], s[18:19], v[110:111], v[110:111], 1.0
	v_rcp_f64_e32 v[128:129], v[108:109]
	s_nop 0
	v_fma_f64 v[130:131], -v[108:109], v[128:129], 1.0
	v_fmac_f64_e32 v[128:129], v[128:129], v[130:131]
	v_fma_f64 v[130:131], -v[108:109], v[128:129], 1.0
	v_fmac_f64_e32 v[128:129], v[128:129], v[130:131]
	v_div_scale_f64 v[130:131], vcc, 1.0, v[110:111], 1.0
	v_mul_f64 v[132:133], v[130:131], v[128:129]
	v_fma_f64 v[108:109], -v[108:109], v[132:133], v[130:131]
	s_nop 1
	v_div_fmas_f64 v[108:109], v[108:109], v[128:129], v[132:133]
	v_div_fixup_f64 v[110:111], v[108:109], v[110:111], 1.0
	v_mul_f64 v[108:109], v[126:127], v[110:111]
	v_xor_b32_e32 v111, 0x80000000, v111
.LBB52_28:
	s_andn2_saveexec_b64 s[16:17], s[16:17]
	s_cbranch_execz .LBB52_30
; %bb.29:
	v_div_scale_f64 v[126:127], s[18:19], v[108:109], v[108:109], v[110:111]
	v_rcp_f64_e32 v[128:129], v[126:127]
	v_div_scale_f64 v[130:131], vcc, v[110:111], v[108:109], v[110:111]
	v_fma_f64 v[132:133], -v[126:127], v[128:129], 1.0
	v_fmac_f64_e32 v[128:129], v[128:129], v[132:133]
	v_fma_f64 v[132:133], -v[126:127], v[128:129], 1.0
	v_fmac_f64_e32 v[128:129], v[128:129], v[132:133]
	v_mul_f64 v[132:133], v[130:131], v[128:129]
	v_fma_f64 v[126:127], -v[126:127], v[132:133], v[130:131]
	v_div_fmas_f64 v[126:127], v[126:127], v[128:129], v[132:133]
	v_div_fixup_f64 v[126:127], v[126:127], v[108:109], v[110:111]
	v_fmac_f64_e32 v[108:109], v[110:111], v[126:127]
	v_div_scale_f64 v[110:111], s[18:19], v[108:109], v[108:109], 1.0
	v_rcp_f64_e32 v[128:129], v[110:111]
	s_nop 0
	v_fma_f64 v[130:131], -v[110:111], v[128:129], 1.0
	v_fmac_f64_e32 v[128:129], v[128:129], v[130:131]
	v_fma_f64 v[130:131], -v[110:111], v[128:129], 1.0
	v_fmac_f64_e32 v[128:129], v[128:129], v[130:131]
	v_div_scale_f64 v[130:131], vcc, 1.0, v[108:109], 1.0
	v_mul_f64 v[132:133], v[130:131], v[128:129]
	v_fma_f64 v[110:111], -v[110:111], v[132:133], v[130:131]
	s_nop 1
	v_div_fmas_f64 v[110:111], v[110:111], v[128:129], v[132:133]
	v_div_fixup_f64 v[108:109], v[110:111], v[108:109], 1.0
	v_mul_f64 v[110:111], v[126:127], -v[108:109]
.LBB52_30:
	s_or_b64 exec, exec, s[16:17]
	v_mov_b32_e32 v123, v125
.LBB52_31:
	s_or_b64 exec, exec, s[0:1]
	v_cmp_ne_u32_e32 vcc, v121, v118
	s_and_saveexec_b64 s[0:1], vcc
	s_xor_b64 s[0:1], exec, s[0:1]
	s_cbranch_execz .LBB52_37
; %bb.32:
	v_cmp_eq_u32_e32 vcc, 1, v121
	s_and_saveexec_b64 s[16:17], vcc
	s_cbranch_execz .LBB52_36
; %bb.33:
	v_cmp_ne_u32_e32 vcc, 1, v118
	s_xor_b64 s[18:19], s[14:15], -1
	s_and_b64 s[22:23], s[18:19], vcc
	s_and_saveexec_b64 s[18:19], s[22:23]
	s_cbranch_execz .LBB52_35
; %bb.34:
	v_ashrrev_i32_e32 v119, 31, v118
	v_lshl_add_u64 v[126:127], v[118:119], 2, v[116:117]
	global_load_dword v119, v[126:127], off
	global_load_dword v121, v[116:117], off offset:4
	s_waitcnt vmcnt(1)
	global_store_dword v[116:117], v119, off offset:4
	s_waitcnt vmcnt(1)
	global_store_dword v[126:127], v121, off
.LBB52_35:
	s_or_b64 exec, exec, s[18:19]
	v_mov_b32_e32 v121, v118
	v_mov_b32_e32 v122, v118
.LBB52_36:
	s_or_b64 exec, exec, s[16:17]
.LBB52_37:
	s_andn2_saveexec_b64 s[0:1], s[0:1]
	s_cbranch_execz .LBB52_39
; %bb.38:
	v_mov_b32_e32 v121, 1
	s_waitcnt vmcnt(24)
	ds_write2_b64 v120, v[100:101], v[102:103] offset0:4 offset1:5
	s_waitcnt vmcnt(23)
	ds_write2_b64 v120, v[96:97], v[98:99] offset0:6 offset1:7
	;; [unrolled: 2-line block ×25, first 2 shown]
.LBB52_39:
	s_or_b64 exec, exec, s[0:1]
	v_cmp_lt_i32_e32 vcc, 1, v121
	s_waitcnt lgkmcnt(0)
	s_barrier
	s_and_saveexec_b64 s[0:1], vcc
	s_cbranch_execz .LBB52_41
; %bb.40:
	ds_read2_b64 v[126:129], v120 offset0:4 offset1:5
	v_mul_f64 v[118:119], v[110:111], v[70:71]
	v_mul_f64 v[70:71], v[108:109], v[70:71]
	v_fmac_f64_e32 v[70:71], v[110:111], v[68:69]
	v_fma_f64 v[118:119], v[108:109], v[68:69], -v[118:119]
	ds_read2_b64 v[108:111], v120 offset0:6 offset1:7
	s_waitcnt lgkmcnt(1)
	v_mul_f64 v[68:69], v[128:129], v[70:71]
	v_fma_f64 v[68:69], v[126:127], v[118:119], -v[68:69]
	v_mul_f64 v[126:127], v[126:127], v[70:71]
	v_fmac_f64_e32 v[126:127], v[128:129], v[118:119]
	s_waitcnt vmcnt(24)
	v_add_f64 v[102:103], v[102:103], -v[126:127]
	ds_read2_b64 v[126:129], v120 offset0:8 offset1:9
	v_add_f64 v[100:101], v[100:101], -v[68:69]
	s_waitcnt lgkmcnt(1)
	v_mul_f64 v[68:69], v[110:111], v[70:71]
	v_fma_f64 v[68:69], v[108:109], v[118:119], -v[68:69]
	v_mul_f64 v[108:109], v[108:109], v[70:71]
	v_fmac_f64_e32 v[108:109], v[110:111], v[118:119]
	s_waitcnt vmcnt(23)
	v_add_f64 v[96:97], v[96:97], -v[68:69]
	v_add_f64 v[98:99], v[98:99], -v[108:109]
	ds_read2_b64 v[108:111], v120 offset0:10 offset1:11
	s_waitcnt lgkmcnt(1)
	v_mul_f64 v[68:69], v[128:129], v[70:71]
	v_fma_f64 v[68:69], v[126:127], v[118:119], -v[68:69]
	v_mul_f64 v[126:127], v[126:127], v[70:71]
	v_fmac_f64_e32 v[126:127], v[128:129], v[118:119]
	s_waitcnt vmcnt(22)
	v_add_f64 v[94:95], v[94:95], -v[126:127]
	ds_read2_b64 v[126:129], v120 offset0:12 offset1:13
	v_add_f64 v[92:93], v[92:93], -v[68:69]
	s_waitcnt lgkmcnt(1)
	v_mul_f64 v[68:69], v[110:111], v[70:71]
	v_fma_f64 v[68:69], v[108:109], v[118:119], -v[68:69]
	v_mul_f64 v[108:109], v[108:109], v[70:71]
	v_fmac_f64_e32 v[108:109], v[110:111], v[118:119]
	s_waitcnt vmcnt(21)
	v_add_f64 v[88:89], v[88:89], -v[68:69]
	v_add_f64 v[90:91], v[90:91], -v[108:109]
	;; [unrolled: 18-line block ×12, first 2 shown]
	s_waitcnt lgkmcnt(0)
	v_mul_f64 v[68:69], v[128:129], v[70:71]
	v_mul_f64 v[108:109], v[126:127], v[70:71]
	v_fma_f64 v[68:69], v[126:127], v[118:119], -v[68:69]
	v_fmac_f64_e32 v[108:109], v[128:129], v[118:119]
	s_waitcnt vmcnt(0)
	v_add_f64 v[104:105], v[104:105], -v[68:69]
	v_add_f64 v[106:107], v[106:107], -v[108:109]
	v_mov_b64_e32 v[68:69], v[118:119]
.LBB52_41:
	s_or_b64 exec, exec, s[0:1]
	v_lshl_add_u32 v108, v121, 4, v120
	s_barrier
	s_waitcnt vmcnt(24)
	ds_write2_b64 v108, v[100:101], v[102:103] offset1:1
	s_waitcnt lgkmcnt(0)
	s_barrier
	ds_read2_b64 v[108:111], v120 offset0:4 offset1:5
	s_cmp_lt_i32 s20, 4
	v_mov_b32_e32 v118, 2
	s_cbranch_scc1 .LBB52_44
; %bb.42:
	v_add3_u32 v119, v124, 0, 48
	s_mov_b32 s16, 3
	v_mov_b32_e32 v118, 2
.LBB52_43:                              ; =>This Inner Loop Header: Depth=1
	ds_read2_b64 v[126:129], v119 offset1:1
	s_waitcnt lgkmcnt(1)
	v_xor_b32_e32 v125, 0x80000000, v109
	v_xor_b32_e32 v133, 0x80000000, v111
	v_cmp_gt_f64_e32 vcc, 0, v[110:111]
	v_cmp_gt_f64_e64 s[0:1], 0, v[108:109]
	v_mov_b32_e32 v130, v108
	v_mov_b32_e32 v132, v110
	v_cndmask_b32_e64 v131, v109, v125, s[0:1]
	v_cndmask_b32_e32 v133, v111, v133, vcc
	s_waitcnt lgkmcnt(0)
	v_xor_b32_e32 v125, 0x80000000, v127
	v_xor_b32_e32 v135, 0x80000000, v129
	v_cmp_gt_f64_e32 vcc, 0, v[128:129]
	v_cmp_gt_f64_e64 s[0:1], 0, v[126:127]
	v_add_f64 v[130:131], v[130:131], v[132:133]
	v_mov_b32_e32 v132, v126
	v_mov_b32_e32 v134, v128
	v_cndmask_b32_e64 v133, v127, v125, s[0:1]
	v_cndmask_b32_e32 v135, v129, v135, vcc
	v_add_f64 v[132:133], v[132:133], v[134:135]
	v_mov_b32_e32 v136, s16
	s_add_i32 s16, s16, 1
	v_cmp_lt_f64_e32 vcc, v[130:131], v[132:133]
	v_add_u32_e32 v119, 16, v119
	s_cmp_lg_u32 s20, s16
	v_cndmask_b32_e32 v109, v109, v127, vcc
	v_cndmask_b32_e32 v108, v108, v126, vcc
	;; [unrolled: 1-line block ×5, first 2 shown]
	s_cbranch_scc1 .LBB52_43
.LBB52_44:
	s_waitcnt lgkmcnt(0)
	v_cmp_eq_f64_e32 vcc, 0, v[108:109]
	v_cmp_eq_f64_e64 s[0:1], 0, v[110:111]
	s_and_b64 s[0:1], vcc, s[0:1]
	s_and_saveexec_b64 s[16:17], s[0:1]
	s_xor_b64 s[0:1], exec, s[16:17]
; %bb.45:
	v_cmp_ne_u32_e32 vcc, 0, v123
	s_nop 1
	v_cndmask_b32_e32 v123, 3, v123, vcc
; %bb.46:
	s_andn2_saveexec_b64 s[0:1], s[0:1]
	s_cbranch_execz .LBB52_52
; %bb.47:
	v_cmp_ngt_f64_e64 s[16:17], |v[108:109]|, |v[110:111]|
	s_and_saveexec_b64 s[18:19], s[16:17]
	s_xor_b64 s[16:17], exec, s[18:19]
	s_cbranch_execz .LBB52_49
; %bb.48:
	v_div_scale_f64 v[126:127], s[18:19], v[110:111], v[110:111], v[108:109]
	v_rcp_f64_e32 v[128:129], v[126:127]
	v_div_scale_f64 v[130:131], vcc, v[108:109], v[110:111], v[108:109]
	v_fma_f64 v[132:133], -v[126:127], v[128:129], 1.0
	v_fmac_f64_e32 v[128:129], v[128:129], v[132:133]
	v_fma_f64 v[132:133], -v[126:127], v[128:129], 1.0
	v_fmac_f64_e32 v[128:129], v[128:129], v[132:133]
	v_mul_f64 v[132:133], v[130:131], v[128:129]
	v_fma_f64 v[126:127], -v[126:127], v[132:133], v[130:131]
	v_div_fmas_f64 v[126:127], v[126:127], v[128:129], v[132:133]
	v_div_fixup_f64 v[126:127], v[126:127], v[110:111], v[108:109]
	v_fmac_f64_e32 v[110:111], v[108:109], v[126:127]
	v_div_scale_f64 v[108:109], s[18:19], v[110:111], v[110:111], 1.0
	v_rcp_f64_e32 v[128:129], v[108:109]
	s_nop 0
	v_fma_f64 v[130:131], -v[108:109], v[128:129], 1.0
	v_fmac_f64_e32 v[128:129], v[128:129], v[130:131]
	v_fma_f64 v[130:131], -v[108:109], v[128:129], 1.0
	v_fmac_f64_e32 v[128:129], v[128:129], v[130:131]
	v_div_scale_f64 v[130:131], vcc, 1.0, v[110:111], 1.0
	v_mul_f64 v[132:133], v[130:131], v[128:129]
	v_fma_f64 v[108:109], -v[108:109], v[132:133], v[130:131]
	s_nop 1
	v_div_fmas_f64 v[108:109], v[108:109], v[128:129], v[132:133]
	v_div_fixup_f64 v[110:111], v[108:109], v[110:111], 1.0
	v_mul_f64 v[108:109], v[126:127], v[110:111]
	v_xor_b32_e32 v111, 0x80000000, v111
.LBB52_49:
	s_andn2_saveexec_b64 s[16:17], s[16:17]
	s_cbranch_execz .LBB52_51
; %bb.50:
	v_div_scale_f64 v[126:127], s[18:19], v[108:109], v[108:109], v[110:111]
	v_rcp_f64_e32 v[128:129], v[126:127]
	v_div_scale_f64 v[130:131], vcc, v[110:111], v[108:109], v[110:111]
	v_fma_f64 v[132:133], -v[126:127], v[128:129], 1.0
	v_fmac_f64_e32 v[128:129], v[128:129], v[132:133]
	v_fma_f64 v[132:133], -v[126:127], v[128:129], 1.0
	v_fmac_f64_e32 v[128:129], v[128:129], v[132:133]
	v_mul_f64 v[132:133], v[130:131], v[128:129]
	v_fma_f64 v[126:127], -v[126:127], v[132:133], v[130:131]
	v_div_fmas_f64 v[126:127], v[126:127], v[128:129], v[132:133]
	v_div_fixup_f64 v[126:127], v[126:127], v[108:109], v[110:111]
	v_fmac_f64_e32 v[108:109], v[110:111], v[126:127]
	v_div_scale_f64 v[110:111], s[18:19], v[108:109], v[108:109], 1.0
	v_rcp_f64_e32 v[128:129], v[110:111]
	s_nop 0
	v_fma_f64 v[130:131], -v[110:111], v[128:129], 1.0
	v_fmac_f64_e32 v[128:129], v[128:129], v[130:131]
	v_fma_f64 v[130:131], -v[110:111], v[128:129], 1.0
	v_fmac_f64_e32 v[128:129], v[128:129], v[130:131]
	v_div_scale_f64 v[130:131], vcc, 1.0, v[108:109], 1.0
	v_mul_f64 v[132:133], v[130:131], v[128:129]
	v_fma_f64 v[110:111], -v[110:111], v[132:133], v[130:131]
	s_nop 1
	v_div_fmas_f64 v[110:111], v[110:111], v[128:129], v[132:133]
	v_div_fixup_f64 v[108:109], v[110:111], v[108:109], 1.0
	v_mul_f64 v[110:111], v[126:127], -v[108:109]
.LBB52_51:
	s_or_b64 exec, exec, s[16:17]
.LBB52_52:
	s_or_b64 exec, exec, s[0:1]
	v_cmp_ne_u32_e32 vcc, v121, v118
	s_and_saveexec_b64 s[0:1], vcc
	s_xor_b64 s[0:1], exec, s[0:1]
	s_cbranch_execz .LBB52_58
; %bb.53:
	v_cmp_eq_u32_e32 vcc, 2, v121
	s_and_saveexec_b64 s[16:17], vcc
	s_cbranch_execz .LBB52_57
; %bb.54:
	v_cmp_ne_u32_e32 vcc, 2, v118
	s_xor_b64 s[18:19], s[14:15], -1
	s_and_b64 s[22:23], s[18:19], vcc
	s_and_saveexec_b64 s[18:19], s[22:23]
	s_cbranch_execz .LBB52_56
; %bb.55:
	v_ashrrev_i32_e32 v119, 31, v118
	v_lshl_add_u64 v[126:127], v[118:119], 2, v[116:117]
	global_load_dword v119, v[126:127], off
	global_load_dword v121, v[116:117], off offset:8
	s_waitcnt vmcnt(1)
	global_store_dword v[116:117], v119, off offset:8
	s_waitcnt vmcnt(1)
	global_store_dword v[126:127], v121, off
.LBB52_56:
	s_or_b64 exec, exec, s[18:19]
	v_mov_b32_e32 v121, v118
	v_mov_b32_e32 v122, v118
.LBB52_57:
	s_or_b64 exec, exec, s[16:17]
.LBB52_58:
	s_andn2_saveexec_b64 s[0:1], s[0:1]
	s_cbranch_execz .LBB52_60
; %bb.59:
	v_mov_b32_e32 v121, 2
	s_waitcnt vmcnt(23)
	ds_write2_b64 v120, v[96:97], v[98:99] offset0:6 offset1:7
	s_waitcnt vmcnt(22)
	ds_write2_b64 v120, v[92:93], v[94:95] offset0:8 offset1:9
	;; [unrolled: 2-line block ×24, first 2 shown]
.LBB52_60:
	s_or_b64 exec, exec, s[0:1]
	v_cmp_lt_i32_e32 vcc, 2, v121
	s_waitcnt lgkmcnt(0)
	s_barrier
	s_and_saveexec_b64 s[0:1], vcc
	s_cbranch_execz .LBB52_62
; %bb.61:
	ds_read2_b64 v[126:129], v120 offset0:6 offset1:7
	v_mul_f64 v[118:119], v[110:111], v[102:103]
	v_mul_f64 v[102:103], v[108:109], v[102:103]
	v_fma_f64 v[118:119], v[108:109], v[100:101], -v[118:119]
	v_fmac_f64_e32 v[102:103], v[110:111], v[100:101]
	ds_read2_b64 v[108:111], v120 offset0:8 offset1:9
	s_waitcnt lgkmcnt(1)
	v_mul_f64 v[100:101], v[128:129], v[102:103]
	v_fma_f64 v[100:101], v[126:127], v[118:119], -v[100:101]
	v_mul_f64 v[126:127], v[126:127], v[102:103]
	v_fmac_f64_e32 v[126:127], v[128:129], v[118:119]
	s_waitcnt vmcnt(23)
	v_add_f64 v[96:97], v[96:97], -v[100:101]
	s_waitcnt lgkmcnt(0)
	v_mul_f64 v[100:101], v[110:111], v[102:103]
	v_add_f64 v[98:99], v[98:99], -v[126:127]
	v_fma_f64 v[100:101], v[108:109], v[118:119], -v[100:101]
	v_mul_f64 v[108:109], v[108:109], v[102:103]
	ds_read2_b64 v[126:129], v120 offset0:10 offset1:11
	v_fmac_f64_e32 v[108:109], v[110:111], v[118:119]
	s_waitcnt vmcnt(22)
	v_add_f64 v[94:95], v[94:95], -v[108:109]
	ds_read2_b64 v[108:111], v120 offset0:12 offset1:13
	v_add_f64 v[92:93], v[92:93], -v[100:101]
	s_waitcnt lgkmcnt(1)
	v_mul_f64 v[100:101], v[128:129], v[102:103]
	v_fma_f64 v[100:101], v[126:127], v[118:119], -v[100:101]
	v_mul_f64 v[126:127], v[126:127], v[102:103]
	v_fmac_f64_e32 v[126:127], v[128:129], v[118:119]
	s_waitcnt vmcnt(21)
	v_add_f64 v[88:89], v[88:89], -v[100:101]
	s_waitcnt lgkmcnt(0)
	v_mul_f64 v[100:101], v[110:111], v[102:103]
	v_add_f64 v[90:91], v[90:91], -v[126:127]
	v_fma_f64 v[100:101], v[108:109], v[118:119], -v[100:101]
	v_mul_f64 v[108:109], v[108:109], v[102:103]
	ds_read2_b64 v[126:129], v120 offset0:14 offset1:15
	v_fmac_f64_e32 v[108:109], v[110:111], v[118:119]
	s_waitcnt vmcnt(20)
	v_add_f64 v[86:87], v[86:87], -v[108:109]
	ds_read2_b64 v[108:111], v120 offset0:16 offset1:17
	v_add_f64 v[84:85], v[84:85], -v[100:101]
	s_waitcnt lgkmcnt(1)
	v_mul_f64 v[100:101], v[128:129], v[102:103]
	v_fma_f64 v[100:101], v[126:127], v[118:119], -v[100:101]
	v_mul_f64 v[126:127], v[126:127], v[102:103]
	v_fmac_f64_e32 v[126:127], v[128:129], v[118:119]
	s_waitcnt vmcnt(19)
	v_add_f64 v[80:81], v[80:81], -v[100:101]
	s_waitcnt lgkmcnt(0)
	v_mul_f64 v[100:101], v[110:111], v[102:103]
	v_add_f64 v[82:83], v[82:83], -v[126:127]
	v_fma_f64 v[100:101], v[108:109], v[118:119], -v[100:101]
	v_mul_f64 v[108:109], v[108:109], v[102:103]
	ds_read2_b64 v[126:129], v120 offset0:18 offset1:19
	v_fmac_f64_e32 v[108:109], v[110:111], v[118:119]
	s_waitcnt vmcnt(18)
	v_add_f64 v[74:75], v[74:75], -v[108:109]
	ds_read2_b64 v[108:111], v120 offset0:20 offset1:21
	v_add_f64 v[72:73], v[72:73], -v[100:101]
	s_waitcnt lgkmcnt(1)
	v_mul_f64 v[100:101], v[128:129], v[102:103]
	v_fma_f64 v[100:101], v[126:127], v[118:119], -v[100:101]
	v_mul_f64 v[126:127], v[126:127], v[102:103]
	v_fmac_f64_e32 v[126:127], v[128:129], v[118:119]
	s_waitcnt vmcnt(17)
	v_add_f64 v[64:65], v[64:65], -v[100:101]
	s_waitcnt lgkmcnt(0)
	v_mul_f64 v[100:101], v[110:111], v[102:103]
	v_add_f64 v[66:67], v[66:67], -v[126:127]
	v_fma_f64 v[100:101], v[108:109], v[118:119], -v[100:101]
	v_mul_f64 v[108:109], v[108:109], v[102:103]
	ds_read2_b64 v[126:129], v120 offset0:22 offset1:23
	v_fmac_f64_e32 v[108:109], v[110:111], v[118:119]
	s_waitcnt vmcnt(16)
	v_add_f64 v[62:63], v[62:63], -v[108:109]
	ds_read2_b64 v[108:111], v120 offset0:24 offset1:25
	v_add_f64 v[60:61], v[60:61], -v[100:101]
	s_waitcnt lgkmcnt(1)
	v_mul_f64 v[100:101], v[128:129], v[102:103]
	v_fma_f64 v[100:101], v[126:127], v[118:119], -v[100:101]
	v_mul_f64 v[126:127], v[126:127], v[102:103]
	v_fmac_f64_e32 v[126:127], v[128:129], v[118:119]
	s_waitcnt vmcnt(15)
	v_add_f64 v[56:57], v[56:57], -v[100:101]
	s_waitcnt lgkmcnt(0)
	v_mul_f64 v[100:101], v[110:111], v[102:103]
	v_add_f64 v[58:59], v[58:59], -v[126:127]
	v_fma_f64 v[100:101], v[108:109], v[118:119], -v[100:101]
	v_mul_f64 v[108:109], v[108:109], v[102:103]
	ds_read2_b64 v[126:129], v120 offset0:26 offset1:27
	v_fmac_f64_e32 v[108:109], v[110:111], v[118:119]
	s_waitcnt vmcnt(14)
	v_add_f64 v[54:55], v[54:55], -v[108:109]
	ds_read2_b64 v[108:111], v120 offset0:28 offset1:29
	v_add_f64 v[52:53], v[52:53], -v[100:101]
	s_waitcnt lgkmcnt(1)
	v_mul_f64 v[100:101], v[128:129], v[102:103]
	v_fma_f64 v[100:101], v[126:127], v[118:119], -v[100:101]
	v_mul_f64 v[126:127], v[126:127], v[102:103]
	v_fmac_f64_e32 v[126:127], v[128:129], v[118:119]
	s_waitcnt vmcnt(13)
	v_add_f64 v[48:49], v[48:49], -v[100:101]
	s_waitcnt lgkmcnt(0)
	v_mul_f64 v[100:101], v[110:111], v[102:103]
	v_add_f64 v[50:51], v[50:51], -v[126:127]
	v_fma_f64 v[100:101], v[108:109], v[118:119], -v[100:101]
	v_mul_f64 v[108:109], v[108:109], v[102:103]
	ds_read2_b64 v[126:129], v120 offset0:30 offset1:31
	v_fmac_f64_e32 v[108:109], v[110:111], v[118:119]
	s_waitcnt vmcnt(12)
	v_add_f64 v[46:47], v[46:47], -v[108:109]
	ds_read2_b64 v[108:111], v120 offset0:32 offset1:33
	v_add_f64 v[44:45], v[44:45], -v[100:101]
	s_waitcnt lgkmcnt(1)
	v_mul_f64 v[100:101], v[128:129], v[102:103]
	v_fma_f64 v[100:101], v[126:127], v[118:119], -v[100:101]
	v_mul_f64 v[126:127], v[126:127], v[102:103]
	v_fmac_f64_e32 v[126:127], v[128:129], v[118:119]
	s_waitcnt vmcnt(11)
	v_add_f64 v[40:41], v[40:41], -v[100:101]
	s_waitcnt lgkmcnt(0)
	v_mul_f64 v[100:101], v[110:111], v[102:103]
	v_add_f64 v[42:43], v[42:43], -v[126:127]
	v_fma_f64 v[100:101], v[108:109], v[118:119], -v[100:101]
	v_mul_f64 v[108:109], v[108:109], v[102:103]
	ds_read2_b64 v[126:129], v120 offset0:34 offset1:35
	v_fmac_f64_e32 v[108:109], v[110:111], v[118:119]
	s_waitcnt vmcnt(10)
	v_add_f64 v[34:35], v[34:35], -v[108:109]
	ds_read2_b64 v[108:111], v120 offset0:36 offset1:37
	v_add_f64 v[32:33], v[32:33], -v[100:101]
	s_waitcnt lgkmcnt(1)
	v_mul_f64 v[100:101], v[128:129], v[102:103]
	v_fma_f64 v[100:101], v[126:127], v[118:119], -v[100:101]
	v_mul_f64 v[126:127], v[126:127], v[102:103]
	v_fmac_f64_e32 v[126:127], v[128:129], v[118:119]
	s_waitcnt vmcnt(9)
	v_add_f64 v[36:37], v[36:37], -v[100:101]
	s_waitcnt lgkmcnt(0)
	v_mul_f64 v[100:101], v[110:111], v[102:103]
	v_add_f64 v[38:39], v[38:39], -v[126:127]
	v_fma_f64 v[100:101], v[108:109], v[118:119], -v[100:101]
	v_mul_f64 v[108:109], v[108:109], v[102:103]
	ds_read2_b64 v[126:129], v120 offset0:38 offset1:39
	v_fmac_f64_e32 v[108:109], v[110:111], v[118:119]
	s_waitcnt vmcnt(8)
	v_add_f64 v[30:31], v[30:31], -v[108:109]
	ds_read2_b64 v[108:111], v120 offset0:40 offset1:41
	v_add_f64 v[28:29], v[28:29], -v[100:101]
	s_waitcnt lgkmcnt(1)
	v_mul_f64 v[100:101], v[128:129], v[102:103]
	v_fma_f64 v[100:101], v[126:127], v[118:119], -v[100:101]
	v_mul_f64 v[126:127], v[126:127], v[102:103]
	v_fmac_f64_e32 v[126:127], v[128:129], v[118:119]
	s_waitcnt vmcnt(7)
	v_add_f64 v[24:25], v[24:25], -v[100:101]
	s_waitcnt lgkmcnt(0)
	v_mul_f64 v[100:101], v[110:111], v[102:103]
	v_add_f64 v[26:27], v[26:27], -v[126:127]
	v_fma_f64 v[100:101], v[108:109], v[118:119], -v[100:101]
	v_mul_f64 v[108:109], v[108:109], v[102:103]
	ds_read2_b64 v[126:129], v120 offset0:42 offset1:43
	v_fmac_f64_e32 v[108:109], v[110:111], v[118:119]
	s_waitcnt vmcnt(6)
	v_add_f64 v[22:23], v[22:23], -v[108:109]
	ds_read2_b64 v[108:111], v120 offset0:44 offset1:45
	v_add_f64 v[20:21], v[20:21], -v[100:101]
	s_waitcnt lgkmcnt(1)
	v_mul_f64 v[100:101], v[128:129], v[102:103]
	v_fma_f64 v[100:101], v[126:127], v[118:119], -v[100:101]
	v_mul_f64 v[126:127], v[126:127], v[102:103]
	v_fmac_f64_e32 v[126:127], v[128:129], v[118:119]
	s_waitcnt vmcnt(5)
	v_add_f64 v[16:17], v[16:17], -v[100:101]
	s_waitcnt lgkmcnt(0)
	v_mul_f64 v[100:101], v[110:111], v[102:103]
	v_add_f64 v[18:19], v[18:19], -v[126:127]
	v_fma_f64 v[100:101], v[108:109], v[118:119], -v[100:101]
	v_mul_f64 v[108:109], v[108:109], v[102:103]
	ds_read2_b64 v[126:129], v120 offset0:46 offset1:47
	v_fmac_f64_e32 v[108:109], v[110:111], v[118:119]
	s_waitcnt vmcnt(4)
	v_add_f64 v[14:15], v[14:15], -v[108:109]
	ds_read2_b64 v[108:111], v120 offset0:48 offset1:49
	v_add_f64 v[12:13], v[12:13], -v[100:101]
	s_waitcnt lgkmcnt(1)
	v_mul_f64 v[100:101], v[128:129], v[102:103]
	v_fma_f64 v[100:101], v[126:127], v[118:119], -v[100:101]
	v_mul_f64 v[126:127], v[126:127], v[102:103]
	v_fmac_f64_e32 v[126:127], v[128:129], v[118:119]
	s_waitcnt vmcnt(3)
	v_add_f64 v[8:9], v[8:9], -v[100:101]
	s_waitcnt lgkmcnt(0)
	v_mul_f64 v[100:101], v[110:111], v[102:103]
	v_add_f64 v[10:11], v[10:11], -v[126:127]
	v_fma_f64 v[100:101], v[108:109], v[118:119], -v[100:101]
	v_mul_f64 v[108:109], v[108:109], v[102:103]
	ds_read2_b64 v[126:129], v120 offset0:50 offset1:51
	v_fmac_f64_e32 v[108:109], v[110:111], v[118:119]
	s_waitcnt vmcnt(2)
	v_add_f64 v[6:7], v[6:7], -v[108:109]
	ds_read2_b64 v[108:111], v120 offset0:52 offset1:53
	v_add_f64 v[4:5], v[4:5], -v[100:101]
	s_waitcnt lgkmcnt(1)
	v_mul_f64 v[100:101], v[128:129], v[102:103]
	v_fma_f64 v[100:101], v[126:127], v[118:119], -v[100:101]
	s_waitcnt vmcnt(1)
	v_add_f64 v[0:1], v[0:1], -v[100:101]
	s_waitcnt lgkmcnt(0)
	v_mul_f64 v[100:101], v[110:111], v[102:103]
	v_mul_f64 v[126:127], v[126:127], v[102:103]
	v_fma_f64 v[100:101], v[108:109], v[118:119], -v[100:101]
	v_mul_f64 v[108:109], v[108:109], v[102:103]
	v_fmac_f64_e32 v[126:127], v[128:129], v[118:119]
	v_fmac_f64_e32 v[108:109], v[110:111], v[118:119]
	v_add_f64 v[2:3], v[2:3], -v[126:127]
	s_waitcnt vmcnt(0)
	v_add_f64 v[104:105], v[104:105], -v[100:101]
	v_add_f64 v[106:107], v[106:107], -v[108:109]
	v_mov_b64_e32 v[100:101], v[118:119]
.LBB52_62:
	s_or_b64 exec, exec, s[0:1]
	v_lshl_add_u32 v108, v121, 4, v120
	s_barrier
	s_waitcnt vmcnt(23)
	ds_write2_b64 v108, v[96:97], v[98:99] offset1:1
	s_waitcnt lgkmcnt(0)
	s_barrier
	ds_read2_b64 v[108:111], v120 offset0:6 offset1:7
	s_mov_b32 s16, 4
	s_cmp_lt_i32 s20, 5
	v_mov_b32_e32 v118, 3
	s_cbranch_scc1 .LBB52_65
; %bb.63:
	v_add3_u32 v119, v124, 0, 64
	v_mov_b32_e32 v118, 3
.LBB52_64:                              ; =>This Inner Loop Header: Depth=1
	ds_read2_b64 v[124:127], v119 offset1:1
	s_waitcnt lgkmcnt(1)
	v_xor_b32_e32 v129, 0x80000000, v109
	v_xor_b32_e32 v131, 0x80000000, v111
	v_cmp_gt_f64_e32 vcc, 0, v[110:111]
	v_cmp_gt_f64_e64 s[0:1], 0, v[108:109]
	v_mov_b32_e32 v128, v108
	v_mov_b32_e32 v130, v110
	v_cndmask_b32_e64 v129, v109, v129, s[0:1]
	v_cndmask_b32_e32 v131, v111, v131, vcc
	v_add_f64 v[128:129], v[128:129], v[130:131]
	s_waitcnt lgkmcnt(0)
	v_xor_b32_e32 v131, 0x80000000, v125
	v_xor_b32_e32 v133, 0x80000000, v127
	v_cmp_gt_f64_e32 vcc, 0, v[126:127]
	v_cmp_gt_f64_e64 s[0:1], 0, v[124:125]
	v_mov_b32_e32 v130, v124
	v_mov_b32_e32 v132, v126
	v_cndmask_b32_e64 v131, v125, v131, s[0:1]
	v_cndmask_b32_e32 v133, v127, v133, vcc
	v_add_f64 v[130:131], v[130:131], v[132:133]
	v_mov_b32_e32 v134, s16
	s_add_i32 s16, s16, 1
	v_cmp_lt_f64_e32 vcc, v[128:129], v[130:131]
	v_add_u32_e32 v119, 16, v119
	s_cmp_lg_u32 s20, s16
	v_cndmask_b32_e32 v109, v109, v125, vcc
	v_cndmask_b32_e32 v108, v108, v124, vcc
	;; [unrolled: 1-line block ×5, first 2 shown]
	s_cbranch_scc1 .LBB52_64
.LBB52_65:
	s_waitcnt lgkmcnt(0)
	v_cmp_eq_f64_e32 vcc, 0, v[108:109]
	v_cmp_eq_f64_e64 s[0:1], 0, v[110:111]
	s_and_b64 s[0:1], vcc, s[0:1]
	s_and_saveexec_b64 s[16:17], s[0:1]
	s_xor_b64 s[0:1], exec, s[16:17]
; %bb.66:
	v_cmp_ne_u32_e32 vcc, 0, v123
	s_nop 1
	v_cndmask_b32_e32 v123, 4, v123, vcc
; %bb.67:
	s_andn2_saveexec_b64 s[0:1], s[0:1]
	s_cbranch_execz .LBB52_73
; %bb.68:
	v_cmp_ngt_f64_e64 s[16:17], |v[108:109]|, |v[110:111]|
	s_and_saveexec_b64 s[18:19], s[16:17]
	s_xor_b64 s[16:17], exec, s[18:19]
	s_cbranch_execz .LBB52_70
; %bb.69:
	v_div_scale_f64 v[124:125], s[18:19], v[110:111], v[110:111], v[108:109]
	v_rcp_f64_e32 v[126:127], v[124:125]
	v_div_scale_f64 v[128:129], vcc, v[108:109], v[110:111], v[108:109]
	v_fma_f64 v[130:131], -v[124:125], v[126:127], 1.0
	v_fmac_f64_e32 v[126:127], v[126:127], v[130:131]
	v_fma_f64 v[130:131], -v[124:125], v[126:127], 1.0
	v_fmac_f64_e32 v[126:127], v[126:127], v[130:131]
	v_mul_f64 v[130:131], v[128:129], v[126:127]
	v_fma_f64 v[124:125], -v[124:125], v[130:131], v[128:129]
	v_div_fmas_f64 v[124:125], v[124:125], v[126:127], v[130:131]
	v_div_fixup_f64 v[124:125], v[124:125], v[110:111], v[108:109]
	v_fmac_f64_e32 v[110:111], v[108:109], v[124:125]
	v_div_scale_f64 v[108:109], s[18:19], v[110:111], v[110:111], 1.0
	v_rcp_f64_e32 v[126:127], v[108:109]
	s_nop 0
	v_fma_f64 v[128:129], -v[108:109], v[126:127], 1.0
	v_fmac_f64_e32 v[126:127], v[126:127], v[128:129]
	v_fma_f64 v[128:129], -v[108:109], v[126:127], 1.0
	v_fmac_f64_e32 v[126:127], v[126:127], v[128:129]
	v_div_scale_f64 v[128:129], vcc, 1.0, v[110:111], 1.0
	v_mul_f64 v[130:131], v[128:129], v[126:127]
	v_fma_f64 v[108:109], -v[108:109], v[130:131], v[128:129]
	s_nop 1
	v_div_fmas_f64 v[108:109], v[108:109], v[126:127], v[130:131]
	v_div_fixup_f64 v[110:111], v[108:109], v[110:111], 1.0
	v_mul_f64 v[108:109], v[124:125], v[110:111]
	v_xor_b32_e32 v111, 0x80000000, v111
.LBB52_70:
	s_andn2_saveexec_b64 s[16:17], s[16:17]
	s_cbranch_execz .LBB52_72
; %bb.71:
	v_div_scale_f64 v[124:125], s[18:19], v[108:109], v[108:109], v[110:111]
	v_rcp_f64_e32 v[126:127], v[124:125]
	v_div_scale_f64 v[128:129], vcc, v[110:111], v[108:109], v[110:111]
	v_fma_f64 v[130:131], -v[124:125], v[126:127], 1.0
	v_fmac_f64_e32 v[126:127], v[126:127], v[130:131]
	v_fma_f64 v[130:131], -v[124:125], v[126:127], 1.0
	v_fmac_f64_e32 v[126:127], v[126:127], v[130:131]
	v_mul_f64 v[130:131], v[128:129], v[126:127]
	v_fma_f64 v[124:125], -v[124:125], v[130:131], v[128:129]
	v_div_fmas_f64 v[124:125], v[124:125], v[126:127], v[130:131]
	v_div_fixup_f64 v[124:125], v[124:125], v[108:109], v[110:111]
	v_fmac_f64_e32 v[108:109], v[110:111], v[124:125]
	v_div_scale_f64 v[110:111], s[18:19], v[108:109], v[108:109], 1.0
	v_rcp_f64_e32 v[126:127], v[110:111]
	s_nop 0
	v_fma_f64 v[128:129], -v[110:111], v[126:127], 1.0
	v_fmac_f64_e32 v[126:127], v[126:127], v[128:129]
	v_fma_f64 v[128:129], -v[110:111], v[126:127], 1.0
	v_fmac_f64_e32 v[126:127], v[126:127], v[128:129]
	v_div_scale_f64 v[128:129], vcc, 1.0, v[108:109], 1.0
	v_mul_f64 v[130:131], v[128:129], v[126:127]
	v_fma_f64 v[110:111], -v[110:111], v[130:131], v[128:129]
	s_nop 1
	v_div_fmas_f64 v[110:111], v[110:111], v[126:127], v[130:131]
	v_div_fixup_f64 v[108:109], v[110:111], v[108:109], 1.0
	v_mul_f64 v[110:111], v[124:125], -v[108:109]
.LBB52_72:
	s_or_b64 exec, exec, s[16:17]
.LBB52_73:
	s_or_b64 exec, exec, s[0:1]
	v_cmp_ne_u32_e32 vcc, v121, v118
	s_and_saveexec_b64 s[0:1], vcc
	s_xor_b64 s[0:1], exec, s[0:1]
	s_cbranch_execz .LBB52_79
; %bb.74:
	v_cmp_eq_u32_e32 vcc, 3, v121
	s_and_saveexec_b64 s[16:17], vcc
	s_cbranch_execz .LBB52_78
; %bb.75:
	v_cmp_ne_u32_e32 vcc, 3, v118
	s_xor_b64 s[18:19], s[14:15], -1
	s_and_b64 s[22:23], s[18:19], vcc
	s_and_saveexec_b64 s[18:19], s[22:23]
	s_cbranch_execz .LBB52_77
; %bb.76:
	v_ashrrev_i32_e32 v119, 31, v118
	v_lshl_add_u64 v[124:125], v[118:119], 2, v[116:117]
	global_load_dword v119, v[124:125], off
	global_load_dword v121, v[116:117], off offset:12
	s_waitcnt vmcnt(1)
	global_store_dword v[116:117], v119, off offset:12
	s_waitcnt vmcnt(1)
	global_store_dword v[124:125], v121, off
.LBB52_77:
	s_or_b64 exec, exec, s[18:19]
	v_mov_b32_e32 v121, v118
	v_mov_b32_e32 v122, v118
.LBB52_78:
	s_or_b64 exec, exec, s[16:17]
.LBB52_79:
	s_andn2_saveexec_b64 s[0:1], s[0:1]
	s_cbranch_execz .LBB52_81
; %bb.80:
	v_mov_b32_e32 v121, 3
	s_waitcnt vmcnt(22)
	ds_write2_b64 v120, v[92:93], v[94:95] offset0:8 offset1:9
	s_waitcnt vmcnt(21)
	ds_write2_b64 v120, v[88:89], v[90:91] offset0:10 offset1:11
	;; [unrolled: 2-line block ×23, first 2 shown]
.LBB52_81:
	s_or_b64 exec, exec, s[0:1]
	v_cmp_lt_i32_e32 vcc, 3, v121
	s_waitcnt lgkmcnt(0)
	s_barrier
	s_and_saveexec_b64 s[0:1], vcc
	s_cbranch_execz .LBB52_83
; %bb.82:
	ds_read2_b64 v[124:127], v120 offset0:8 offset1:9
	v_mul_f64 v[118:119], v[110:111], v[98:99]
	v_mul_f64 v[98:99], v[108:109], v[98:99]
	v_fmac_f64_e32 v[98:99], v[110:111], v[96:97]
	v_fma_f64 v[118:119], v[108:109], v[96:97], -v[118:119]
	ds_read2_b64 v[108:111], v120 offset0:10 offset1:11
	s_waitcnt lgkmcnt(1)
	v_mul_f64 v[96:97], v[126:127], v[98:99]
	v_fma_f64 v[96:97], v[124:125], v[118:119], -v[96:97]
	v_mul_f64 v[124:125], v[124:125], v[98:99]
	v_fmac_f64_e32 v[124:125], v[126:127], v[118:119]
	s_waitcnt vmcnt(22)
	v_add_f64 v[94:95], v[94:95], -v[124:125]
	ds_read2_b64 v[124:127], v120 offset0:12 offset1:13
	v_add_f64 v[92:93], v[92:93], -v[96:97]
	s_waitcnt lgkmcnt(1)
	v_mul_f64 v[96:97], v[110:111], v[98:99]
	v_fma_f64 v[96:97], v[108:109], v[118:119], -v[96:97]
	v_mul_f64 v[108:109], v[108:109], v[98:99]
	v_fmac_f64_e32 v[108:109], v[110:111], v[118:119]
	s_waitcnt vmcnt(21)
	v_add_f64 v[88:89], v[88:89], -v[96:97]
	v_add_f64 v[90:91], v[90:91], -v[108:109]
	ds_read2_b64 v[108:111], v120 offset0:14 offset1:15
	s_waitcnt lgkmcnt(1)
	v_mul_f64 v[96:97], v[126:127], v[98:99]
	v_fma_f64 v[96:97], v[124:125], v[118:119], -v[96:97]
	v_mul_f64 v[124:125], v[124:125], v[98:99]
	v_fmac_f64_e32 v[124:125], v[126:127], v[118:119]
	s_waitcnt vmcnt(20)
	v_add_f64 v[86:87], v[86:87], -v[124:125]
	ds_read2_b64 v[124:127], v120 offset0:16 offset1:17
	v_add_f64 v[84:85], v[84:85], -v[96:97]
	s_waitcnt lgkmcnt(1)
	v_mul_f64 v[96:97], v[110:111], v[98:99]
	v_fma_f64 v[96:97], v[108:109], v[118:119], -v[96:97]
	v_mul_f64 v[108:109], v[108:109], v[98:99]
	v_fmac_f64_e32 v[108:109], v[110:111], v[118:119]
	s_waitcnt vmcnt(19)
	v_add_f64 v[80:81], v[80:81], -v[96:97]
	v_add_f64 v[82:83], v[82:83], -v[108:109]
	;; [unrolled: 18-line block ×11, first 2 shown]
	s_waitcnt lgkmcnt(0)
	v_mul_f64 v[96:97], v[126:127], v[98:99]
	v_mul_f64 v[108:109], v[124:125], v[98:99]
	v_fma_f64 v[96:97], v[124:125], v[118:119], -v[96:97]
	v_fmac_f64_e32 v[108:109], v[126:127], v[118:119]
	s_waitcnt vmcnt(0)
	v_add_f64 v[104:105], v[104:105], -v[96:97]
	v_add_f64 v[106:107], v[106:107], -v[108:109]
	v_mov_b64_e32 v[96:97], v[118:119]
.LBB52_83:
	s_or_b64 exec, exec, s[0:1]
	v_lshl_add_u32 v108, v121, 4, v120
	s_barrier
	s_waitcnt vmcnt(22)
	ds_write2_b64 v108, v[92:93], v[94:95] offset1:1
	s_waitcnt lgkmcnt(0)
	s_barrier
	ds_read2_b64 v[108:111], v120 offset0:8 offset1:9
	s_cmp_lt_i32 s20, 6
	v_mov_b32_e32 v118, 4
	s_cbranch_scc1 .LBB52_86
; %bb.84:
	v_mov_b32_e32 v118, 4
	v_add_u32_e32 v119, 0x50, v120
	s_mov_b32 s16, 5
.LBB52_85:                              ; =>This Inner Loop Header: Depth=1
	ds_read2_b64 v[124:127], v119 offset1:1
	s_waitcnt lgkmcnt(1)
	v_xor_b32_e32 v129, 0x80000000, v109
	v_xor_b32_e32 v131, 0x80000000, v111
	v_cmp_gt_f64_e32 vcc, 0, v[110:111]
	v_cmp_gt_f64_e64 s[0:1], 0, v[108:109]
	v_mov_b32_e32 v128, v108
	v_mov_b32_e32 v130, v110
	v_cndmask_b32_e64 v129, v109, v129, s[0:1]
	v_cndmask_b32_e32 v131, v111, v131, vcc
	v_add_f64 v[128:129], v[128:129], v[130:131]
	s_waitcnt lgkmcnt(0)
	v_xor_b32_e32 v131, 0x80000000, v125
	v_xor_b32_e32 v133, 0x80000000, v127
	v_cmp_gt_f64_e32 vcc, 0, v[126:127]
	v_cmp_gt_f64_e64 s[0:1], 0, v[124:125]
	v_mov_b32_e32 v130, v124
	v_mov_b32_e32 v132, v126
	v_cndmask_b32_e64 v131, v125, v131, s[0:1]
	v_cndmask_b32_e32 v133, v127, v133, vcc
	v_add_f64 v[130:131], v[130:131], v[132:133]
	v_mov_b32_e32 v134, s16
	s_add_i32 s16, s16, 1
	v_cmp_lt_f64_e32 vcc, v[128:129], v[130:131]
	v_add_u32_e32 v119, 16, v119
	s_cmp_lg_u32 s20, s16
	v_cndmask_b32_e32 v109, v109, v125, vcc
	v_cndmask_b32_e32 v108, v108, v124, vcc
	;; [unrolled: 1-line block ×5, first 2 shown]
	s_cbranch_scc1 .LBB52_85
.LBB52_86:
	s_waitcnt lgkmcnt(0)
	v_cmp_eq_f64_e32 vcc, 0, v[108:109]
	v_cmp_eq_f64_e64 s[0:1], 0, v[110:111]
	s_and_b64 s[0:1], vcc, s[0:1]
	s_and_saveexec_b64 s[16:17], s[0:1]
	s_xor_b64 s[0:1], exec, s[16:17]
; %bb.87:
	v_cmp_ne_u32_e32 vcc, 0, v123
	s_nop 1
	v_cndmask_b32_e32 v123, 5, v123, vcc
; %bb.88:
	s_andn2_saveexec_b64 s[0:1], s[0:1]
	s_cbranch_execz .LBB52_94
; %bb.89:
	v_cmp_ngt_f64_e64 s[16:17], |v[108:109]|, |v[110:111]|
	s_and_saveexec_b64 s[18:19], s[16:17]
	s_xor_b64 s[16:17], exec, s[18:19]
	s_cbranch_execz .LBB52_91
; %bb.90:
	v_div_scale_f64 v[124:125], s[18:19], v[110:111], v[110:111], v[108:109]
	v_rcp_f64_e32 v[126:127], v[124:125]
	v_div_scale_f64 v[128:129], vcc, v[108:109], v[110:111], v[108:109]
	v_fma_f64 v[130:131], -v[124:125], v[126:127], 1.0
	v_fmac_f64_e32 v[126:127], v[126:127], v[130:131]
	v_fma_f64 v[130:131], -v[124:125], v[126:127], 1.0
	v_fmac_f64_e32 v[126:127], v[126:127], v[130:131]
	v_mul_f64 v[130:131], v[128:129], v[126:127]
	v_fma_f64 v[124:125], -v[124:125], v[130:131], v[128:129]
	v_div_fmas_f64 v[124:125], v[124:125], v[126:127], v[130:131]
	v_div_fixup_f64 v[124:125], v[124:125], v[110:111], v[108:109]
	v_fmac_f64_e32 v[110:111], v[108:109], v[124:125]
	v_div_scale_f64 v[108:109], s[18:19], v[110:111], v[110:111], 1.0
	v_rcp_f64_e32 v[126:127], v[108:109]
	s_nop 0
	v_fma_f64 v[128:129], -v[108:109], v[126:127], 1.0
	v_fmac_f64_e32 v[126:127], v[126:127], v[128:129]
	v_fma_f64 v[128:129], -v[108:109], v[126:127], 1.0
	v_fmac_f64_e32 v[126:127], v[126:127], v[128:129]
	v_div_scale_f64 v[128:129], vcc, 1.0, v[110:111], 1.0
	v_mul_f64 v[130:131], v[128:129], v[126:127]
	v_fma_f64 v[108:109], -v[108:109], v[130:131], v[128:129]
	s_nop 1
	v_div_fmas_f64 v[108:109], v[108:109], v[126:127], v[130:131]
	v_div_fixup_f64 v[110:111], v[108:109], v[110:111], 1.0
	v_mul_f64 v[108:109], v[124:125], v[110:111]
	v_xor_b32_e32 v111, 0x80000000, v111
.LBB52_91:
	s_andn2_saveexec_b64 s[16:17], s[16:17]
	s_cbranch_execz .LBB52_93
; %bb.92:
	v_div_scale_f64 v[124:125], s[18:19], v[108:109], v[108:109], v[110:111]
	v_rcp_f64_e32 v[126:127], v[124:125]
	v_div_scale_f64 v[128:129], vcc, v[110:111], v[108:109], v[110:111]
	v_fma_f64 v[130:131], -v[124:125], v[126:127], 1.0
	v_fmac_f64_e32 v[126:127], v[126:127], v[130:131]
	v_fma_f64 v[130:131], -v[124:125], v[126:127], 1.0
	v_fmac_f64_e32 v[126:127], v[126:127], v[130:131]
	v_mul_f64 v[130:131], v[128:129], v[126:127]
	v_fma_f64 v[124:125], -v[124:125], v[130:131], v[128:129]
	v_div_fmas_f64 v[124:125], v[124:125], v[126:127], v[130:131]
	v_div_fixup_f64 v[124:125], v[124:125], v[108:109], v[110:111]
	v_fmac_f64_e32 v[108:109], v[110:111], v[124:125]
	v_div_scale_f64 v[110:111], s[18:19], v[108:109], v[108:109], 1.0
	v_rcp_f64_e32 v[126:127], v[110:111]
	s_nop 0
	v_fma_f64 v[128:129], -v[110:111], v[126:127], 1.0
	v_fmac_f64_e32 v[126:127], v[126:127], v[128:129]
	v_fma_f64 v[128:129], -v[110:111], v[126:127], 1.0
	v_fmac_f64_e32 v[126:127], v[126:127], v[128:129]
	v_div_scale_f64 v[128:129], vcc, 1.0, v[108:109], 1.0
	v_mul_f64 v[130:131], v[128:129], v[126:127]
	v_fma_f64 v[110:111], -v[110:111], v[130:131], v[128:129]
	s_nop 1
	v_div_fmas_f64 v[110:111], v[110:111], v[126:127], v[130:131]
	v_div_fixup_f64 v[108:109], v[110:111], v[108:109], 1.0
	v_mul_f64 v[110:111], v[124:125], -v[108:109]
.LBB52_93:
	s_or_b64 exec, exec, s[16:17]
.LBB52_94:
	s_or_b64 exec, exec, s[0:1]
	v_cmp_ne_u32_e32 vcc, v121, v118
	s_and_saveexec_b64 s[0:1], vcc
	s_xor_b64 s[0:1], exec, s[0:1]
	s_cbranch_execz .LBB52_100
; %bb.95:
	v_cmp_eq_u32_e32 vcc, 4, v121
	s_and_saveexec_b64 s[16:17], vcc
	s_cbranch_execz .LBB52_99
; %bb.96:
	v_cmp_ne_u32_e32 vcc, 4, v118
	s_xor_b64 s[18:19], s[14:15], -1
	s_and_b64 s[22:23], s[18:19], vcc
	s_and_saveexec_b64 s[18:19], s[22:23]
	s_cbranch_execz .LBB52_98
; %bb.97:
	v_ashrrev_i32_e32 v119, 31, v118
	v_lshl_add_u64 v[124:125], v[118:119], 2, v[116:117]
	global_load_dword v119, v[124:125], off
	global_load_dword v121, v[116:117], off offset:16
	s_waitcnt vmcnt(1)
	global_store_dword v[116:117], v119, off offset:16
	s_waitcnt vmcnt(1)
	global_store_dword v[124:125], v121, off
.LBB52_98:
	s_or_b64 exec, exec, s[18:19]
	v_mov_b32_e32 v121, v118
	v_mov_b32_e32 v122, v118
.LBB52_99:
	s_or_b64 exec, exec, s[16:17]
.LBB52_100:
	s_andn2_saveexec_b64 s[0:1], s[0:1]
	s_cbranch_execz .LBB52_102
; %bb.101:
	v_mov_b32_e32 v121, 4
	s_waitcnt vmcnt(21)
	ds_write2_b64 v120, v[88:89], v[90:91] offset0:10 offset1:11
	s_waitcnt vmcnt(20)
	ds_write2_b64 v120, v[84:85], v[86:87] offset0:12 offset1:13
	s_waitcnt vmcnt(19)
	ds_write2_b64 v120, v[80:81], v[82:83] offset0:14 offset1:15
	s_waitcnt vmcnt(18)
	ds_write2_b64 v120, v[72:73], v[74:75] offset0:16 offset1:17
	s_waitcnt vmcnt(17)
	ds_write2_b64 v120, v[64:65], v[66:67] offset0:18 offset1:19
	s_waitcnt vmcnt(16)
	ds_write2_b64 v120, v[60:61], v[62:63] offset0:20 offset1:21
	s_waitcnt vmcnt(15)
	ds_write2_b64 v120, v[56:57], v[58:59] offset0:22 offset1:23
	s_waitcnt vmcnt(14)
	ds_write2_b64 v120, v[52:53], v[54:55] offset0:24 offset1:25
	s_waitcnt vmcnt(13)
	ds_write2_b64 v120, v[48:49], v[50:51] offset0:26 offset1:27
	s_waitcnt vmcnt(12)
	ds_write2_b64 v120, v[44:45], v[46:47] offset0:28 offset1:29
	s_waitcnt vmcnt(11)
	ds_write2_b64 v120, v[40:41], v[42:43] offset0:30 offset1:31
	s_waitcnt vmcnt(10)
	ds_write2_b64 v120, v[32:33], v[34:35] offset0:32 offset1:33
	s_waitcnt vmcnt(9)
	ds_write2_b64 v120, v[36:37], v[38:39] offset0:34 offset1:35
	s_waitcnt vmcnt(8)
	ds_write2_b64 v120, v[28:29], v[30:31] offset0:36 offset1:37
	s_waitcnt vmcnt(7)
	ds_write2_b64 v120, v[24:25], v[26:27] offset0:38 offset1:39
	s_waitcnt vmcnt(6)
	ds_write2_b64 v120, v[20:21], v[22:23] offset0:40 offset1:41
	s_waitcnt vmcnt(5)
	ds_write2_b64 v120, v[16:17], v[18:19] offset0:42 offset1:43
	s_waitcnt vmcnt(4)
	ds_write2_b64 v120, v[12:13], v[14:15] offset0:44 offset1:45
	s_waitcnt vmcnt(3)
	ds_write2_b64 v120, v[8:9], v[10:11] offset0:46 offset1:47
	s_waitcnt vmcnt(2)
	ds_write2_b64 v120, v[4:5], v[6:7] offset0:48 offset1:49
	s_waitcnt vmcnt(1)
	ds_write2_b64 v120, v[0:1], v[2:3] offset0:50 offset1:51
	s_waitcnt vmcnt(0)
	ds_write2_b64 v120, v[104:105], v[106:107] offset0:52 offset1:53
.LBB52_102:
	s_or_b64 exec, exec, s[0:1]
	v_cmp_lt_i32_e32 vcc, 4, v121
	s_waitcnt lgkmcnt(0)
	s_barrier
	s_and_saveexec_b64 s[0:1], vcc
	s_cbranch_execz .LBB52_104
; %bb.103:
	ds_read2_b64 v[124:127], v120 offset0:10 offset1:11
	v_mul_f64 v[118:119], v[110:111], v[94:95]
	v_mul_f64 v[94:95], v[108:109], v[94:95]
	v_fma_f64 v[118:119], v[108:109], v[92:93], -v[118:119]
	v_fmac_f64_e32 v[94:95], v[110:111], v[92:93]
	ds_read2_b64 v[108:111], v120 offset0:12 offset1:13
	s_waitcnt lgkmcnt(1)
	v_mul_f64 v[92:93], v[126:127], v[94:95]
	v_fma_f64 v[92:93], v[124:125], v[118:119], -v[92:93]
	v_mul_f64 v[124:125], v[124:125], v[94:95]
	v_fmac_f64_e32 v[124:125], v[126:127], v[118:119]
	s_waitcnt vmcnt(21)
	v_add_f64 v[88:89], v[88:89], -v[92:93]
	s_waitcnt lgkmcnt(0)
	v_mul_f64 v[92:93], v[110:111], v[94:95]
	v_add_f64 v[90:91], v[90:91], -v[124:125]
	v_fma_f64 v[92:93], v[108:109], v[118:119], -v[92:93]
	v_mul_f64 v[108:109], v[108:109], v[94:95]
	ds_read2_b64 v[124:127], v120 offset0:14 offset1:15
	v_fmac_f64_e32 v[108:109], v[110:111], v[118:119]
	s_waitcnt vmcnt(20)
	v_add_f64 v[86:87], v[86:87], -v[108:109]
	ds_read2_b64 v[108:111], v120 offset0:16 offset1:17
	v_add_f64 v[84:85], v[84:85], -v[92:93]
	s_waitcnt lgkmcnt(1)
	v_mul_f64 v[92:93], v[126:127], v[94:95]
	v_fma_f64 v[92:93], v[124:125], v[118:119], -v[92:93]
	v_mul_f64 v[124:125], v[124:125], v[94:95]
	v_fmac_f64_e32 v[124:125], v[126:127], v[118:119]
	s_waitcnt vmcnt(19)
	v_add_f64 v[80:81], v[80:81], -v[92:93]
	s_waitcnt lgkmcnt(0)
	v_mul_f64 v[92:93], v[110:111], v[94:95]
	v_add_f64 v[82:83], v[82:83], -v[124:125]
	v_fma_f64 v[92:93], v[108:109], v[118:119], -v[92:93]
	v_mul_f64 v[108:109], v[108:109], v[94:95]
	ds_read2_b64 v[124:127], v120 offset0:18 offset1:19
	v_fmac_f64_e32 v[108:109], v[110:111], v[118:119]
	s_waitcnt vmcnt(18)
	v_add_f64 v[74:75], v[74:75], -v[108:109]
	ds_read2_b64 v[108:111], v120 offset0:20 offset1:21
	v_add_f64 v[72:73], v[72:73], -v[92:93]
	;; [unrolled: 18-line block ×10, first 2 shown]
	s_waitcnt lgkmcnt(1)
	v_mul_f64 v[92:93], v[126:127], v[94:95]
	v_fma_f64 v[92:93], v[124:125], v[118:119], -v[92:93]
	s_waitcnt vmcnt(1)
	v_add_f64 v[0:1], v[0:1], -v[92:93]
	s_waitcnt lgkmcnt(0)
	v_mul_f64 v[92:93], v[110:111], v[94:95]
	v_mul_f64 v[124:125], v[124:125], v[94:95]
	v_fma_f64 v[92:93], v[108:109], v[118:119], -v[92:93]
	v_mul_f64 v[108:109], v[108:109], v[94:95]
	v_fmac_f64_e32 v[124:125], v[126:127], v[118:119]
	v_fmac_f64_e32 v[108:109], v[110:111], v[118:119]
	v_add_f64 v[2:3], v[2:3], -v[124:125]
	s_waitcnt vmcnt(0)
	v_add_f64 v[104:105], v[104:105], -v[92:93]
	v_add_f64 v[106:107], v[106:107], -v[108:109]
	v_mov_b64_e32 v[92:93], v[118:119]
.LBB52_104:
	s_or_b64 exec, exec, s[0:1]
	v_lshl_add_u32 v108, v121, 4, v120
	s_barrier
	s_waitcnt vmcnt(21)
	ds_write2_b64 v108, v[88:89], v[90:91] offset1:1
	s_waitcnt lgkmcnt(0)
	s_barrier
	ds_read2_b64 v[108:111], v120 offset0:10 offset1:11
	s_cmp_lt_i32 s20, 7
	v_mov_b32_e32 v118, 5
	s_cbranch_scc1 .LBB52_107
; %bb.105:
	v_add_u32_e32 v119, 0x60, v120
	s_mov_b32 s16, 6
	v_mov_b32_e32 v118, 5
.LBB52_106:                             ; =>This Inner Loop Header: Depth=1
	ds_read2_b64 v[124:127], v119 offset1:1
	s_waitcnt lgkmcnt(1)
	v_xor_b32_e32 v129, 0x80000000, v109
	v_xor_b32_e32 v131, 0x80000000, v111
	v_cmp_gt_f64_e32 vcc, 0, v[110:111]
	v_cmp_gt_f64_e64 s[0:1], 0, v[108:109]
	v_mov_b32_e32 v128, v108
	v_mov_b32_e32 v130, v110
	v_cndmask_b32_e64 v129, v109, v129, s[0:1]
	v_cndmask_b32_e32 v131, v111, v131, vcc
	v_add_f64 v[128:129], v[128:129], v[130:131]
	s_waitcnt lgkmcnt(0)
	v_xor_b32_e32 v131, 0x80000000, v125
	v_xor_b32_e32 v133, 0x80000000, v127
	v_cmp_gt_f64_e32 vcc, 0, v[126:127]
	v_cmp_gt_f64_e64 s[0:1], 0, v[124:125]
	v_mov_b32_e32 v130, v124
	v_mov_b32_e32 v132, v126
	v_cndmask_b32_e64 v131, v125, v131, s[0:1]
	v_cndmask_b32_e32 v133, v127, v133, vcc
	v_add_f64 v[130:131], v[130:131], v[132:133]
	v_mov_b32_e32 v134, s16
	s_add_i32 s16, s16, 1
	v_cmp_lt_f64_e32 vcc, v[128:129], v[130:131]
	v_add_u32_e32 v119, 16, v119
	s_cmp_lg_u32 s20, s16
	v_cndmask_b32_e32 v109, v109, v125, vcc
	v_cndmask_b32_e32 v108, v108, v124, vcc
	;; [unrolled: 1-line block ×5, first 2 shown]
	s_cbranch_scc1 .LBB52_106
.LBB52_107:
	s_waitcnt lgkmcnt(0)
	v_cmp_eq_f64_e32 vcc, 0, v[108:109]
	v_cmp_eq_f64_e64 s[0:1], 0, v[110:111]
	s_and_b64 s[0:1], vcc, s[0:1]
	s_and_saveexec_b64 s[16:17], s[0:1]
	s_xor_b64 s[0:1], exec, s[16:17]
; %bb.108:
	v_cmp_ne_u32_e32 vcc, 0, v123
	s_nop 1
	v_cndmask_b32_e32 v123, 6, v123, vcc
; %bb.109:
	s_andn2_saveexec_b64 s[0:1], s[0:1]
	s_cbranch_execz .LBB52_115
; %bb.110:
	v_cmp_ngt_f64_e64 s[16:17], |v[108:109]|, |v[110:111]|
	s_and_saveexec_b64 s[18:19], s[16:17]
	s_xor_b64 s[16:17], exec, s[18:19]
	s_cbranch_execz .LBB52_112
; %bb.111:
	v_div_scale_f64 v[124:125], s[18:19], v[110:111], v[110:111], v[108:109]
	v_rcp_f64_e32 v[126:127], v[124:125]
	v_div_scale_f64 v[128:129], vcc, v[108:109], v[110:111], v[108:109]
	v_fma_f64 v[130:131], -v[124:125], v[126:127], 1.0
	v_fmac_f64_e32 v[126:127], v[126:127], v[130:131]
	v_fma_f64 v[130:131], -v[124:125], v[126:127], 1.0
	v_fmac_f64_e32 v[126:127], v[126:127], v[130:131]
	v_mul_f64 v[130:131], v[128:129], v[126:127]
	v_fma_f64 v[124:125], -v[124:125], v[130:131], v[128:129]
	v_div_fmas_f64 v[124:125], v[124:125], v[126:127], v[130:131]
	v_div_fixup_f64 v[124:125], v[124:125], v[110:111], v[108:109]
	v_fmac_f64_e32 v[110:111], v[108:109], v[124:125]
	v_div_scale_f64 v[108:109], s[18:19], v[110:111], v[110:111], 1.0
	v_rcp_f64_e32 v[126:127], v[108:109]
	s_nop 0
	v_fma_f64 v[128:129], -v[108:109], v[126:127], 1.0
	v_fmac_f64_e32 v[126:127], v[126:127], v[128:129]
	v_fma_f64 v[128:129], -v[108:109], v[126:127], 1.0
	v_fmac_f64_e32 v[126:127], v[126:127], v[128:129]
	v_div_scale_f64 v[128:129], vcc, 1.0, v[110:111], 1.0
	v_mul_f64 v[130:131], v[128:129], v[126:127]
	v_fma_f64 v[108:109], -v[108:109], v[130:131], v[128:129]
	s_nop 1
	v_div_fmas_f64 v[108:109], v[108:109], v[126:127], v[130:131]
	v_div_fixup_f64 v[110:111], v[108:109], v[110:111], 1.0
	v_mul_f64 v[108:109], v[124:125], v[110:111]
	v_xor_b32_e32 v111, 0x80000000, v111
.LBB52_112:
	s_andn2_saveexec_b64 s[16:17], s[16:17]
	s_cbranch_execz .LBB52_114
; %bb.113:
	v_div_scale_f64 v[124:125], s[18:19], v[108:109], v[108:109], v[110:111]
	v_rcp_f64_e32 v[126:127], v[124:125]
	v_div_scale_f64 v[128:129], vcc, v[110:111], v[108:109], v[110:111]
	v_fma_f64 v[130:131], -v[124:125], v[126:127], 1.0
	v_fmac_f64_e32 v[126:127], v[126:127], v[130:131]
	v_fma_f64 v[130:131], -v[124:125], v[126:127], 1.0
	v_fmac_f64_e32 v[126:127], v[126:127], v[130:131]
	v_mul_f64 v[130:131], v[128:129], v[126:127]
	v_fma_f64 v[124:125], -v[124:125], v[130:131], v[128:129]
	v_div_fmas_f64 v[124:125], v[124:125], v[126:127], v[130:131]
	v_div_fixup_f64 v[124:125], v[124:125], v[108:109], v[110:111]
	v_fmac_f64_e32 v[108:109], v[110:111], v[124:125]
	v_div_scale_f64 v[110:111], s[18:19], v[108:109], v[108:109], 1.0
	v_rcp_f64_e32 v[126:127], v[110:111]
	s_nop 0
	v_fma_f64 v[128:129], -v[110:111], v[126:127], 1.0
	v_fmac_f64_e32 v[126:127], v[126:127], v[128:129]
	v_fma_f64 v[128:129], -v[110:111], v[126:127], 1.0
	v_fmac_f64_e32 v[126:127], v[126:127], v[128:129]
	v_div_scale_f64 v[128:129], vcc, 1.0, v[108:109], 1.0
	v_mul_f64 v[130:131], v[128:129], v[126:127]
	v_fma_f64 v[110:111], -v[110:111], v[130:131], v[128:129]
	s_nop 1
	v_div_fmas_f64 v[110:111], v[110:111], v[126:127], v[130:131]
	v_div_fixup_f64 v[108:109], v[110:111], v[108:109], 1.0
	v_mul_f64 v[110:111], v[124:125], -v[108:109]
.LBB52_114:
	s_or_b64 exec, exec, s[16:17]
.LBB52_115:
	s_or_b64 exec, exec, s[0:1]
	v_cmp_ne_u32_e32 vcc, v121, v118
	s_and_saveexec_b64 s[0:1], vcc
	s_xor_b64 s[0:1], exec, s[0:1]
	s_cbranch_execz .LBB52_121
; %bb.116:
	v_cmp_eq_u32_e32 vcc, 5, v121
	s_and_saveexec_b64 s[16:17], vcc
	s_cbranch_execz .LBB52_120
; %bb.117:
	v_cmp_ne_u32_e32 vcc, 5, v118
	s_xor_b64 s[18:19], s[14:15], -1
	s_and_b64 s[22:23], s[18:19], vcc
	s_and_saveexec_b64 s[18:19], s[22:23]
	s_cbranch_execz .LBB52_119
; %bb.118:
	v_ashrrev_i32_e32 v119, 31, v118
	v_lshl_add_u64 v[124:125], v[118:119], 2, v[116:117]
	global_load_dword v119, v[124:125], off
	global_load_dword v121, v[116:117], off offset:20
	s_waitcnt vmcnt(1)
	global_store_dword v[116:117], v119, off offset:20
	s_waitcnt vmcnt(1)
	global_store_dword v[124:125], v121, off
.LBB52_119:
	s_or_b64 exec, exec, s[18:19]
	v_mov_b32_e32 v121, v118
	v_mov_b32_e32 v122, v118
.LBB52_120:
	s_or_b64 exec, exec, s[16:17]
.LBB52_121:
	s_andn2_saveexec_b64 s[0:1], s[0:1]
	s_cbranch_execz .LBB52_123
; %bb.122:
	v_mov_b32_e32 v121, 5
	s_waitcnt vmcnt(20)
	ds_write2_b64 v120, v[84:85], v[86:87] offset0:12 offset1:13
	s_waitcnt vmcnt(19)
	ds_write2_b64 v120, v[80:81], v[82:83] offset0:14 offset1:15
	;; [unrolled: 2-line block ×21, first 2 shown]
.LBB52_123:
	s_or_b64 exec, exec, s[0:1]
	v_cmp_lt_i32_e32 vcc, 5, v121
	s_waitcnt lgkmcnt(0)
	s_barrier
	s_and_saveexec_b64 s[0:1], vcc
	s_cbranch_execz .LBB52_125
; %bb.124:
	ds_read2_b64 v[124:127], v120 offset0:12 offset1:13
	v_mul_f64 v[118:119], v[110:111], v[90:91]
	v_mul_f64 v[90:91], v[108:109], v[90:91]
	v_fmac_f64_e32 v[90:91], v[110:111], v[88:89]
	v_fma_f64 v[118:119], v[108:109], v[88:89], -v[118:119]
	ds_read2_b64 v[108:111], v120 offset0:14 offset1:15
	s_waitcnt lgkmcnt(1)
	v_mul_f64 v[88:89], v[126:127], v[90:91]
	v_fma_f64 v[88:89], v[124:125], v[118:119], -v[88:89]
	v_mul_f64 v[124:125], v[124:125], v[90:91]
	v_fmac_f64_e32 v[124:125], v[126:127], v[118:119]
	s_waitcnt vmcnt(20)
	v_add_f64 v[86:87], v[86:87], -v[124:125]
	ds_read2_b64 v[124:127], v120 offset0:16 offset1:17
	v_add_f64 v[84:85], v[84:85], -v[88:89]
	s_waitcnt lgkmcnt(1)
	v_mul_f64 v[88:89], v[110:111], v[90:91]
	v_fma_f64 v[88:89], v[108:109], v[118:119], -v[88:89]
	v_mul_f64 v[108:109], v[108:109], v[90:91]
	v_fmac_f64_e32 v[108:109], v[110:111], v[118:119]
	s_waitcnt vmcnt(19)
	v_add_f64 v[80:81], v[80:81], -v[88:89]
	v_add_f64 v[82:83], v[82:83], -v[108:109]
	ds_read2_b64 v[108:111], v120 offset0:18 offset1:19
	s_waitcnt lgkmcnt(1)
	v_mul_f64 v[88:89], v[126:127], v[90:91]
	v_fma_f64 v[88:89], v[124:125], v[118:119], -v[88:89]
	v_mul_f64 v[124:125], v[124:125], v[90:91]
	v_fmac_f64_e32 v[124:125], v[126:127], v[118:119]
	s_waitcnt vmcnt(18)
	v_add_f64 v[74:75], v[74:75], -v[124:125]
	ds_read2_b64 v[124:127], v120 offset0:20 offset1:21
	v_add_f64 v[72:73], v[72:73], -v[88:89]
	s_waitcnt lgkmcnt(1)
	v_mul_f64 v[88:89], v[110:111], v[90:91]
	v_fma_f64 v[88:89], v[108:109], v[118:119], -v[88:89]
	v_mul_f64 v[108:109], v[108:109], v[90:91]
	v_fmac_f64_e32 v[108:109], v[110:111], v[118:119]
	s_waitcnt vmcnt(17)
	v_add_f64 v[64:65], v[64:65], -v[88:89]
	v_add_f64 v[66:67], v[66:67], -v[108:109]
	;; [unrolled: 18-line block ×10, first 2 shown]
	s_waitcnt lgkmcnt(0)
	v_mul_f64 v[88:89], v[126:127], v[90:91]
	v_mul_f64 v[108:109], v[124:125], v[90:91]
	v_fma_f64 v[88:89], v[124:125], v[118:119], -v[88:89]
	v_fmac_f64_e32 v[108:109], v[126:127], v[118:119]
	s_waitcnt vmcnt(0)
	v_add_f64 v[104:105], v[104:105], -v[88:89]
	v_add_f64 v[106:107], v[106:107], -v[108:109]
	v_mov_b64_e32 v[88:89], v[118:119]
.LBB52_125:
	s_or_b64 exec, exec, s[0:1]
	v_lshl_add_u32 v108, v121, 4, v120
	s_barrier
	s_waitcnt vmcnt(20)
	ds_write2_b64 v108, v[84:85], v[86:87] offset1:1
	s_waitcnt lgkmcnt(0)
	s_barrier
	ds_read2_b64 v[108:111], v120 offset0:12 offset1:13
	s_cmp_lt_i32 s20, 8
	v_mov_b32_e32 v118, 6
	s_cbranch_scc1 .LBB52_128
; %bb.126:
	v_add_u32_e32 v119, 0x70, v120
	s_mov_b32 s16, 7
	v_mov_b32_e32 v118, 6
.LBB52_127:                             ; =>This Inner Loop Header: Depth=1
	ds_read2_b64 v[124:127], v119 offset1:1
	s_waitcnt lgkmcnt(1)
	v_xor_b32_e32 v129, 0x80000000, v109
	v_xor_b32_e32 v131, 0x80000000, v111
	v_cmp_gt_f64_e32 vcc, 0, v[110:111]
	v_cmp_gt_f64_e64 s[0:1], 0, v[108:109]
	v_mov_b32_e32 v128, v108
	v_mov_b32_e32 v130, v110
	v_cndmask_b32_e64 v129, v109, v129, s[0:1]
	v_cndmask_b32_e32 v131, v111, v131, vcc
	v_add_f64 v[128:129], v[128:129], v[130:131]
	s_waitcnt lgkmcnt(0)
	v_xor_b32_e32 v131, 0x80000000, v125
	v_xor_b32_e32 v133, 0x80000000, v127
	v_cmp_gt_f64_e32 vcc, 0, v[126:127]
	v_cmp_gt_f64_e64 s[0:1], 0, v[124:125]
	v_mov_b32_e32 v130, v124
	v_mov_b32_e32 v132, v126
	v_cndmask_b32_e64 v131, v125, v131, s[0:1]
	v_cndmask_b32_e32 v133, v127, v133, vcc
	v_add_f64 v[130:131], v[130:131], v[132:133]
	v_mov_b32_e32 v134, s16
	s_add_i32 s16, s16, 1
	v_cmp_lt_f64_e32 vcc, v[128:129], v[130:131]
	v_add_u32_e32 v119, 16, v119
	s_cmp_lg_u32 s20, s16
	v_cndmask_b32_e32 v109, v109, v125, vcc
	v_cndmask_b32_e32 v108, v108, v124, vcc
	;; [unrolled: 1-line block ×5, first 2 shown]
	s_cbranch_scc1 .LBB52_127
.LBB52_128:
	s_waitcnt lgkmcnt(0)
	v_cmp_eq_f64_e32 vcc, 0, v[108:109]
	v_cmp_eq_f64_e64 s[0:1], 0, v[110:111]
	s_and_b64 s[0:1], vcc, s[0:1]
	s_and_saveexec_b64 s[16:17], s[0:1]
	s_xor_b64 s[0:1], exec, s[16:17]
; %bb.129:
	v_cmp_ne_u32_e32 vcc, 0, v123
	s_nop 1
	v_cndmask_b32_e32 v123, 7, v123, vcc
; %bb.130:
	s_andn2_saveexec_b64 s[0:1], s[0:1]
	s_cbranch_execz .LBB52_136
; %bb.131:
	v_cmp_ngt_f64_e64 s[16:17], |v[108:109]|, |v[110:111]|
	s_and_saveexec_b64 s[18:19], s[16:17]
	s_xor_b64 s[16:17], exec, s[18:19]
	s_cbranch_execz .LBB52_133
; %bb.132:
	v_div_scale_f64 v[124:125], s[18:19], v[110:111], v[110:111], v[108:109]
	v_rcp_f64_e32 v[126:127], v[124:125]
	v_div_scale_f64 v[128:129], vcc, v[108:109], v[110:111], v[108:109]
	v_fma_f64 v[130:131], -v[124:125], v[126:127], 1.0
	v_fmac_f64_e32 v[126:127], v[126:127], v[130:131]
	v_fma_f64 v[130:131], -v[124:125], v[126:127], 1.0
	v_fmac_f64_e32 v[126:127], v[126:127], v[130:131]
	v_mul_f64 v[130:131], v[128:129], v[126:127]
	v_fma_f64 v[124:125], -v[124:125], v[130:131], v[128:129]
	v_div_fmas_f64 v[124:125], v[124:125], v[126:127], v[130:131]
	v_div_fixup_f64 v[124:125], v[124:125], v[110:111], v[108:109]
	v_fmac_f64_e32 v[110:111], v[108:109], v[124:125]
	v_div_scale_f64 v[108:109], s[18:19], v[110:111], v[110:111], 1.0
	v_rcp_f64_e32 v[126:127], v[108:109]
	s_nop 0
	v_fma_f64 v[128:129], -v[108:109], v[126:127], 1.0
	v_fmac_f64_e32 v[126:127], v[126:127], v[128:129]
	v_fma_f64 v[128:129], -v[108:109], v[126:127], 1.0
	v_fmac_f64_e32 v[126:127], v[126:127], v[128:129]
	v_div_scale_f64 v[128:129], vcc, 1.0, v[110:111], 1.0
	v_mul_f64 v[130:131], v[128:129], v[126:127]
	v_fma_f64 v[108:109], -v[108:109], v[130:131], v[128:129]
	s_nop 1
	v_div_fmas_f64 v[108:109], v[108:109], v[126:127], v[130:131]
	v_div_fixup_f64 v[110:111], v[108:109], v[110:111], 1.0
	v_mul_f64 v[108:109], v[124:125], v[110:111]
	v_xor_b32_e32 v111, 0x80000000, v111
.LBB52_133:
	s_andn2_saveexec_b64 s[16:17], s[16:17]
	s_cbranch_execz .LBB52_135
; %bb.134:
	v_div_scale_f64 v[124:125], s[18:19], v[108:109], v[108:109], v[110:111]
	v_rcp_f64_e32 v[126:127], v[124:125]
	v_div_scale_f64 v[128:129], vcc, v[110:111], v[108:109], v[110:111]
	v_fma_f64 v[130:131], -v[124:125], v[126:127], 1.0
	v_fmac_f64_e32 v[126:127], v[126:127], v[130:131]
	v_fma_f64 v[130:131], -v[124:125], v[126:127], 1.0
	v_fmac_f64_e32 v[126:127], v[126:127], v[130:131]
	v_mul_f64 v[130:131], v[128:129], v[126:127]
	v_fma_f64 v[124:125], -v[124:125], v[130:131], v[128:129]
	v_div_fmas_f64 v[124:125], v[124:125], v[126:127], v[130:131]
	v_div_fixup_f64 v[124:125], v[124:125], v[108:109], v[110:111]
	v_fmac_f64_e32 v[108:109], v[110:111], v[124:125]
	v_div_scale_f64 v[110:111], s[18:19], v[108:109], v[108:109], 1.0
	v_rcp_f64_e32 v[126:127], v[110:111]
	s_nop 0
	v_fma_f64 v[128:129], -v[110:111], v[126:127], 1.0
	v_fmac_f64_e32 v[126:127], v[126:127], v[128:129]
	v_fma_f64 v[128:129], -v[110:111], v[126:127], 1.0
	v_fmac_f64_e32 v[126:127], v[126:127], v[128:129]
	v_div_scale_f64 v[128:129], vcc, 1.0, v[108:109], 1.0
	v_mul_f64 v[130:131], v[128:129], v[126:127]
	v_fma_f64 v[110:111], -v[110:111], v[130:131], v[128:129]
	s_nop 1
	v_div_fmas_f64 v[110:111], v[110:111], v[126:127], v[130:131]
	v_div_fixup_f64 v[108:109], v[110:111], v[108:109], 1.0
	v_mul_f64 v[110:111], v[124:125], -v[108:109]
.LBB52_135:
	s_or_b64 exec, exec, s[16:17]
.LBB52_136:
	s_or_b64 exec, exec, s[0:1]
	v_cmp_ne_u32_e32 vcc, v121, v118
	s_and_saveexec_b64 s[0:1], vcc
	s_xor_b64 s[0:1], exec, s[0:1]
	s_cbranch_execz .LBB52_142
; %bb.137:
	v_cmp_eq_u32_e32 vcc, 6, v121
	s_and_saveexec_b64 s[16:17], vcc
	s_cbranch_execz .LBB52_141
; %bb.138:
	v_cmp_ne_u32_e32 vcc, 6, v118
	s_xor_b64 s[18:19], s[14:15], -1
	s_and_b64 s[22:23], s[18:19], vcc
	s_and_saveexec_b64 s[18:19], s[22:23]
	s_cbranch_execz .LBB52_140
; %bb.139:
	v_ashrrev_i32_e32 v119, 31, v118
	v_lshl_add_u64 v[124:125], v[118:119], 2, v[116:117]
	global_load_dword v119, v[124:125], off
	global_load_dword v121, v[116:117], off offset:24
	s_waitcnt vmcnt(1)
	global_store_dword v[116:117], v119, off offset:24
	s_waitcnt vmcnt(1)
	global_store_dword v[124:125], v121, off
.LBB52_140:
	s_or_b64 exec, exec, s[18:19]
	v_mov_b32_e32 v121, v118
	v_mov_b32_e32 v122, v118
.LBB52_141:
	s_or_b64 exec, exec, s[16:17]
.LBB52_142:
	s_andn2_saveexec_b64 s[0:1], s[0:1]
	s_cbranch_execz .LBB52_144
; %bb.143:
	v_mov_b32_e32 v121, 6
	s_waitcnt vmcnt(19)
	ds_write2_b64 v120, v[80:81], v[82:83] offset0:14 offset1:15
	s_waitcnt vmcnt(18)
	ds_write2_b64 v120, v[72:73], v[74:75] offset0:16 offset1:17
	;; [unrolled: 2-line block ×20, first 2 shown]
.LBB52_144:
	s_or_b64 exec, exec, s[0:1]
	v_cmp_lt_i32_e32 vcc, 6, v121
	s_waitcnt lgkmcnt(0)
	s_barrier
	s_and_saveexec_b64 s[0:1], vcc
	s_cbranch_execz .LBB52_146
; %bb.145:
	ds_read2_b64 v[124:127], v120 offset0:14 offset1:15
	v_mul_f64 v[118:119], v[110:111], v[86:87]
	v_mul_f64 v[86:87], v[108:109], v[86:87]
	v_fma_f64 v[118:119], v[108:109], v[84:85], -v[118:119]
	v_fmac_f64_e32 v[86:87], v[110:111], v[84:85]
	ds_read2_b64 v[108:111], v120 offset0:16 offset1:17
	s_waitcnt lgkmcnt(1)
	v_mul_f64 v[84:85], v[126:127], v[86:87]
	v_fma_f64 v[84:85], v[124:125], v[118:119], -v[84:85]
	v_mul_f64 v[124:125], v[124:125], v[86:87]
	v_fmac_f64_e32 v[124:125], v[126:127], v[118:119]
	s_waitcnt vmcnt(19)
	v_add_f64 v[80:81], v[80:81], -v[84:85]
	s_waitcnt lgkmcnt(0)
	v_mul_f64 v[84:85], v[110:111], v[86:87]
	v_add_f64 v[82:83], v[82:83], -v[124:125]
	v_fma_f64 v[84:85], v[108:109], v[118:119], -v[84:85]
	v_mul_f64 v[108:109], v[108:109], v[86:87]
	ds_read2_b64 v[124:127], v120 offset0:18 offset1:19
	v_fmac_f64_e32 v[108:109], v[110:111], v[118:119]
	s_waitcnt vmcnt(18)
	v_add_f64 v[74:75], v[74:75], -v[108:109]
	ds_read2_b64 v[108:111], v120 offset0:20 offset1:21
	v_add_f64 v[72:73], v[72:73], -v[84:85]
	s_waitcnt lgkmcnt(1)
	v_mul_f64 v[84:85], v[126:127], v[86:87]
	v_fma_f64 v[84:85], v[124:125], v[118:119], -v[84:85]
	v_mul_f64 v[124:125], v[124:125], v[86:87]
	v_fmac_f64_e32 v[124:125], v[126:127], v[118:119]
	s_waitcnt vmcnt(17)
	v_add_f64 v[64:65], v[64:65], -v[84:85]
	s_waitcnt lgkmcnt(0)
	v_mul_f64 v[84:85], v[110:111], v[86:87]
	v_add_f64 v[66:67], v[66:67], -v[124:125]
	v_fma_f64 v[84:85], v[108:109], v[118:119], -v[84:85]
	v_mul_f64 v[108:109], v[108:109], v[86:87]
	ds_read2_b64 v[124:127], v120 offset0:22 offset1:23
	v_fmac_f64_e32 v[108:109], v[110:111], v[118:119]
	s_waitcnt vmcnt(16)
	v_add_f64 v[62:63], v[62:63], -v[108:109]
	ds_read2_b64 v[108:111], v120 offset0:24 offset1:25
	v_add_f64 v[60:61], v[60:61], -v[84:85]
	;; [unrolled: 18-line block ×9, first 2 shown]
	s_waitcnt lgkmcnt(1)
	v_mul_f64 v[84:85], v[126:127], v[86:87]
	v_fma_f64 v[84:85], v[124:125], v[118:119], -v[84:85]
	s_waitcnt vmcnt(1)
	v_add_f64 v[0:1], v[0:1], -v[84:85]
	s_waitcnt lgkmcnt(0)
	v_mul_f64 v[84:85], v[110:111], v[86:87]
	v_mul_f64 v[124:125], v[124:125], v[86:87]
	v_fma_f64 v[84:85], v[108:109], v[118:119], -v[84:85]
	v_mul_f64 v[108:109], v[108:109], v[86:87]
	v_fmac_f64_e32 v[124:125], v[126:127], v[118:119]
	v_fmac_f64_e32 v[108:109], v[110:111], v[118:119]
	v_add_f64 v[2:3], v[2:3], -v[124:125]
	s_waitcnt vmcnt(0)
	v_add_f64 v[104:105], v[104:105], -v[84:85]
	v_add_f64 v[106:107], v[106:107], -v[108:109]
	v_mov_b64_e32 v[84:85], v[118:119]
.LBB52_146:
	s_or_b64 exec, exec, s[0:1]
	v_lshl_add_u32 v108, v121, 4, v120
	s_barrier
	s_waitcnt vmcnt(19)
	ds_write2_b64 v108, v[80:81], v[82:83] offset1:1
	s_waitcnt lgkmcnt(0)
	s_barrier
	ds_read2_b64 v[108:111], v120 offset0:14 offset1:15
	s_cmp_lt_i32 s20, 9
	v_mov_b32_e32 v118, 7
	s_cbranch_scc1 .LBB52_149
; %bb.147:
	v_add_u32_e32 v119, 0x80, v120
	s_mov_b32 s16, 8
	v_mov_b32_e32 v118, 7
.LBB52_148:                             ; =>This Inner Loop Header: Depth=1
	ds_read2_b64 v[124:127], v119 offset1:1
	s_waitcnt lgkmcnt(1)
	v_xor_b32_e32 v129, 0x80000000, v109
	v_xor_b32_e32 v131, 0x80000000, v111
	v_cmp_gt_f64_e32 vcc, 0, v[110:111]
	v_cmp_gt_f64_e64 s[0:1], 0, v[108:109]
	v_mov_b32_e32 v128, v108
	v_mov_b32_e32 v130, v110
	v_cndmask_b32_e64 v129, v109, v129, s[0:1]
	v_cndmask_b32_e32 v131, v111, v131, vcc
	v_add_f64 v[128:129], v[128:129], v[130:131]
	s_waitcnt lgkmcnt(0)
	v_xor_b32_e32 v131, 0x80000000, v125
	v_xor_b32_e32 v133, 0x80000000, v127
	v_cmp_gt_f64_e32 vcc, 0, v[126:127]
	v_cmp_gt_f64_e64 s[0:1], 0, v[124:125]
	v_mov_b32_e32 v130, v124
	v_mov_b32_e32 v132, v126
	v_cndmask_b32_e64 v131, v125, v131, s[0:1]
	v_cndmask_b32_e32 v133, v127, v133, vcc
	v_add_f64 v[130:131], v[130:131], v[132:133]
	v_mov_b32_e32 v134, s16
	s_add_i32 s16, s16, 1
	v_cmp_lt_f64_e32 vcc, v[128:129], v[130:131]
	v_add_u32_e32 v119, 16, v119
	s_cmp_lg_u32 s20, s16
	v_cndmask_b32_e32 v109, v109, v125, vcc
	v_cndmask_b32_e32 v108, v108, v124, vcc
	;; [unrolled: 1-line block ×5, first 2 shown]
	s_cbranch_scc1 .LBB52_148
.LBB52_149:
	s_waitcnt lgkmcnt(0)
	v_cmp_eq_f64_e32 vcc, 0, v[108:109]
	v_cmp_eq_f64_e64 s[0:1], 0, v[110:111]
	s_and_b64 s[0:1], vcc, s[0:1]
	s_and_saveexec_b64 s[16:17], s[0:1]
	s_xor_b64 s[0:1], exec, s[16:17]
; %bb.150:
	v_cmp_ne_u32_e32 vcc, 0, v123
	s_nop 1
	v_cndmask_b32_e32 v123, 8, v123, vcc
; %bb.151:
	s_andn2_saveexec_b64 s[0:1], s[0:1]
	s_cbranch_execz .LBB52_157
; %bb.152:
	v_cmp_ngt_f64_e64 s[16:17], |v[108:109]|, |v[110:111]|
	s_and_saveexec_b64 s[18:19], s[16:17]
	s_xor_b64 s[16:17], exec, s[18:19]
	s_cbranch_execz .LBB52_154
; %bb.153:
	v_div_scale_f64 v[124:125], s[18:19], v[110:111], v[110:111], v[108:109]
	v_rcp_f64_e32 v[126:127], v[124:125]
	v_div_scale_f64 v[128:129], vcc, v[108:109], v[110:111], v[108:109]
	v_fma_f64 v[130:131], -v[124:125], v[126:127], 1.0
	v_fmac_f64_e32 v[126:127], v[126:127], v[130:131]
	v_fma_f64 v[130:131], -v[124:125], v[126:127], 1.0
	v_fmac_f64_e32 v[126:127], v[126:127], v[130:131]
	v_mul_f64 v[130:131], v[128:129], v[126:127]
	v_fma_f64 v[124:125], -v[124:125], v[130:131], v[128:129]
	v_div_fmas_f64 v[124:125], v[124:125], v[126:127], v[130:131]
	v_div_fixup_f64 v[124:125], v[124:125], v[110:111], v[108:109]
	v_fmac_f64_e32 v[110:111], v[108:109], v[124:125]
	v_div_scale_f64 v[108:109], s[18:19], v[110:111], v[110:111], 1.0
	v_rcp_f64_e32 v[126:127], v[108:109]
	s_nop 0
	v_fma_f64 v[128:129], -v[108:109], v[126:127], 1.0
	v_fmac_f64_e32 v[126:127], v[126:127], v[128:129]
	v_fma_f64 v[128:129], -v[108:109], v[126:127], 1.0
	v_fmac_f64_e32 v[126:127], v[126:127], v[128:129]
	v_div_scale_f64 v[128:129], vcc, 1.0, v[110:111], 1.0
	v_mul_f64 v[130:131], v[128:129], v[126:127]
	v_fma_f64 v[108:109], -v[108:109], v[130:131], v[128:129]
	s_nop 1
	v_div_fmas_f64 v[108:109], v[108:109], v[126:127], v[130:131]
	v_div_fixup_f64 v[110:111], v[108:109], v[110:111], 1.0
	v_mul_f64 v[108:109], v[124:125], v[110:111]
	v_xor_b32_e32 v111, 0x80000000, v111
.LBB52_154:
	s_andn2_saveexec_b64 s[16:17], s[16:17]
	s_cbranch_execz .LBB52_156
; %bb.155:
	v_div_scale_f64 v[124:125], s[18:19], v[108:109], v[108:109], v[110:111]
	v_rcp_f64_e32 v[126:127], v[124:125]
	v_div_scale_f64 v[128:129], vcc, v[110:111], v[108:109], v[110:111]
	v_fma_f64 v[130:131], -v[124:125], v[126:127], 1.0
	v_fmac_f64_e32 v[126:127], v[126:127], v[130:131]
	v_fma_f64 v[130:131], -v[124:125], v[126:127], 1.0
	v_fmac_f64_e32 v[126:127], v[126:127], v[130:131]
	v_mul_f64 v[130:131], v[128:129], v[126:127]
	v_fma_f64 v[124:125], -v[124:125], v[130:131], v[128:129]
	v_div_fmas_f64 v[124:125], v[124:125], v[126:127], v[130:131]
	v_div_fixup_f64 v[124:125], v[124:125], v[108:109], v[110:111]
	v_fmac_f64_e32 v[108:109], v[110:111], v[124:125]
	v_div_scale_f64 v[110:111], s[18:19], v[108:109], v[108:109], 1.0
	v_rcp_f64_e32 v[126:127], v[110:111]
	s_nop 0
	v_fma_f64 v[128:129], -v[110:111], v[126:127], 1.0
	v_fmac_f64_e32 v[126:127], v[126:127], v[128:129]
	v_fma_f64 v[128:129], -v[110:111], v[126:127], 1.0
	v_fmac_f64_e32 v[126:127], v[126:127], v[128:129]
	v_div_scale_f64 v[128:129], vcc, 1.0, v[108:109], 1.0
	v_mul_f64 v[130:131], v[128:129], v[126:127]
	v_fma_f64 v[110:111], -v[110:111], v[130:131], v[128:129]
	s_nop 1
	v_div_fmas_f64 v[110:111], v[110:111], v[126:127], v[130:131]
	v_div_fixup_f64 v[108:109], v[110:111], v[108:109], 1.0
	v_mul_f64 v[110:111], v[124:125], -v[108:109]
.LBB52_156:
	s_or_b64 exec, exec, s[16:17]
.LBB52_157:
	s_or_b64 exec, exec, s[0:1]
	v_cmp_ne_u32_e32 vcc, v121, v118
	s_and_saveexec_b64 s[0:1], vcc
	s_xor_b64 s[0:1], exec, s[0:1]
	s_cbranch_execz .LBB52_163
; %bb.158:
	v_cmp_eq_u32_e32 vcc, 7, v121
	s_and_saveexec_b64 s[16:17], vcc
	s_cbranch_execz .LBB52_162
; %bb.159:
	v_cmp_ne_u32_e32 vcc, 7, v118
	s_xor_b64 s[18:19], s[14:15], -1
	s_and_b64 s[22:23], s[18:19], vcc
	s_and_saveexec_b64 s[18:19], s[22:23]
	s_cbranch_execz .LBB52_161
; %bb.160:
	v_ashrrev_i32_e32 v119, 31, v118
	v_lshl_add_u64 v[124:125], v[118:119], 2, v[116:117]
	global_load_dword v119, v[124:125], off
	global_load_dword v121, v[116:117], off offset:28
	s_waitcnt vmcnt(1)
	global_store_dword v[116:117], v119, off offset:28
	s_waitcnt vmcnt(1)
	global_store_dword v[124:125], v121, off
.LBB52_161:
	s_or_b64 exec, exec, s[18:19]
	v_mov_b32_e32 v121, v118
	v_mov_b32_e32 v122, v118
.LBB52_162:
	s_or_b64 exec, exec, s[16:17]
.LBB52_163:
	s_andn2_saveexec_b64 s[0:1], s[0:1]
	s_cbranch_execz .LBB52_165
; %bb.164:
	v_mov_b32_e32 v121, 7
	s_waitcnt vmcnt(18)
	ds_write2_b64 v120, v[72:73], v[74:75] offset0:16 offset1:17
	s_waitcnt vmcnt(17)
	ds_write2_b64 v120, v[64:65], v[66:67] offset0:18 offset1:19
	;; [unrolled: 2-line block ×19, first 2 shown]
.LBB52_165:
	s_or_b64 exec, exec, s[0:1]
	v_cmp_lt_i32_e32 vcc, 7, v121
	s_waitcnt lgkmcnt(0)
	s_barrier
	s_and_saveexec_b64 s[0:1], vcc
	s_cbranch_execz .LBB52_167
; %bb.166:
	ds_read2_b64 v[124:127], v120 offset0:16 offset1:17
	v_mul_f64 v[118:119], v[110:111], v[82:83]
	v_mul_f64 v[82:83], v[108:109], v[82:83]
	v_fmac_f64_e32 v[82:83], v[110:111], v[80:81]
	v_fma_f64 v[118:119], v[108:109], v[80:81], -v[118:119]
	ds_read2_b64 v[108:111], v120 offset0:18 offset1:19
	s_waitcnt lgkmcnt(1)
	v_mul_f64 v[80:81], v[126:127], v[82:83]
	v_fma_f64 v[80:81], v[124:125], v[118:119], -v[80:81]
	v_mul_f64 v[124:125], v[124:125], v[82:83]
	v_fmac_f64_e32 v[124:125], v[126:127], v[118:119]
	s_waitcnt vmcnt(18)
	v_add_f64 v[74:75], v[74:75], -v[124:125]
	ds_read2_b64 v[124:127], v120 offset0:20 offset1:21
	v_add_f64 v[72:73], v[72:73], -v[80:81]
	s_waitcnt lgkmcnt(1)
	v_mul_f64 v[80:81], v[110:111], v[82:83]
	v_fma_f64 v[80:81], v[108:109], v[118:119], -v[80:81]
	v_mul_f64 v[108:109], v[108:109], v[82:83]
	v_fmac_f64_e32 v[108:109], v[110:111], v[118:119]
	s_waitcnt vmcnt(17)
	v_add_f64 v[64:65], v[64:65], -v[80:81]
	v_add_f64 v[66:67], v[66:67], -v[108:109]
	ds_read2_b64 v[108:111], v120 offset0:22 offset1:23
	s_waitcnt lgkmcnt(1)
	v_mul_f64 v[80:81], v[126:127], v[82:83]
	v_fma_f64 v[80:81], v[124:125], v[118:119], -v[80:81]
	v_mul_f64 v[124:125], v[124:125], v[82:83]
	v_fmac_f64_e32 v[124:125], v[126:127], v[118:119]
	s_waitcnt vmcnt(16)
	v_add_f64 v[62:63], v[62:63], -v[124:125]
	ds_read2_b64 v[124:127], v120 offset0:24 offset1:25
	v_add_f64 v[60:61], v[60:61], -v[80:81]
	s_waitcnt lgkmcnt(1)
	v_mul_f64 v[80:81], v[110:111], v[82:83]
	v_fma_f64 v[80:81], v[108:109], v[118:119], -v[80:81]
	v_mul_f64 v[108:109], v[108:109], v[82:83]
	v_fmac_f64_e32 v[108:109], v[110:111], v[118:119]
	s_waitcnt vmcnt(15)
	v_add_f64 v[56:57], v[56:57], -v[80:81]
	v_add_f64 v[58:59], v[58:59], -v[108:109]
	;; [unrolled: 18-line block ×9, first 2 shown]
	s_waitcnt lgkmcnt(0)
	v_mul_f64 v[80:81], v[126:127], v[82:83]
	v_mul_f64 v[108:109], v[124:125], v[82:83]
	v_fma_f64 v[80:81], v[124:125], v[118:119], -v[80:81]
	v_fmac_f64_e32 v[108:109], v[126:127], v[118:119]
	s_waitcnt vmcnt(0)
	v_add_f64 v[104:105], v[104:105], -v[80:81]
	v_add_f64 v[106:107], v[106:107], -v[108:109]
	v_mov_b64_e32 v[80:81], v[118:119]
.LBB52_167:
	s_or_b64 exec, exec, s[0:1]
	v_lshl_add_u32 v108, v121, 4, v120
	s_barrier
	s_waitcnt vmcnt(18)
	ds_write2_b64 v108, v[72:73], v[74:75] offset1:1
	s_waitcnt lgkmcnt(0)
	s_barrier
	ds_read2_b64 v[108:111], v120 offset0:16 offset1:17
	s_cmp_lt_i32 s20, 10
	v_mov_b32_e32 v118, 8
	s_cbranch_scc1 .LBB52_170
; %bb.168:
	v_add_u32_e32 v119, 0x90, v120
	s_mov_b32 s16, 9
	v_mov_b32_e32 v118, 8
.LBB52_169:                             ; =>This Inner Loop Header: Depth=1
	ds_read2_b64 v[124:127], v119 offset1:1
	s_waitcnt lgkmcnt(1)
	v_xor_b32_e32 v129, 0x80000000, v109
	v_xor_b32_e32 v131, 0x80000000, v111
	v_cmp_gt_f64_e32 vcc, 0, v[110:111]
	v_cmp_gt_f64_e64 s[0:1], 0, v[108:109]
	v_mov_b32_e32 v128, v108
	v_mov_b32_e32 v130, v110
	v_cndmask_b32_e64 v129, v109, v129, s[0:1]
	v_cndmask_b32_e32 v131, v111, v131, vcc
	v_add_f64 v[128:129], v[128:129], v[130:131]
	s_waitcnt lgkmcnt(0)
	v_xor_b32_e32 v131, 0x80000000, v125
	v_xor_b32_e32 v133, 0x80000000, v127
	v_cmp_gt_f64_e32 vcc, 0, v[126:127]
	v_cmp_gt_f64_e64 s[0:1], 0, v[124:125]
	v_mov_b32_e32 v130, v124
	v_mov_b32_e32 v132, v126
	v_cndmask_b32_e64 v131, v125, v131, s[0:1]
	v_cndmask_b32_e32 v133, v127, v133, vcc
	v_add_f64 v[130:131], v[130:131], v[132:133]
	v_mov_b32_e32 v134, s16
	s_add_i32 s16, s16, 1
	v_cmp_lt_f64_e32 vcc, v[128:129], v[130:131]
	v_add_u32_e32 v119, 16, v119
	s_cmp_lg_u32 s20, s16
	v_cndmask_b32_e32 v109, v109, v125, vcc
	v_cndmask_b32_e32 v108, v108, v124, vcc
	;; [unrolled: 1-line block ×5, first 2 shown]
	s_cbranch_scc1 .LBB52_169
.LBB52_170:
	s_waitcnt lgkmcnt(0)
	v_cmp_eq_f64_e32 vcc, 0, v[108:109]
	v_cmp_eq_f64_e64 s[0:1], 0, v[110:111]
	s_and_b64 s[0:1], vcc, s[0:1]
	s_and_saveexec_b64 s[16:17], s[0:1]
	s_xor_b64 s[0:1], exec, s[16:17]
; %bb.171:
	v_cmp_ne_u32_e32 vcc, 0, v123
	s_nop 1
	v_cndmask_b32_e32 v123, 9, v123, vcc
; %bb.172:
	s_andn2_saveexec_b64 s[0:1], s[0:1]
	s_cbranch_execz .LBB52_178
; %bb.173:
	v_cmp_ngt_f64_e64 s[16:17], |v[108:109]|, |v[110:111]|
	s_and_saveexec_b64 s[18:19], s[16:17]
	s_xor_b64 s[16:17], exec, s[18:19]
	s_cbranch_execz .LBB52_175
; %bb.174:
	v_div_scale_f64 v[124:125], s[18:19], v[110:111], v[110:111], v[108:109]
	v_rcp_f64_e32 v[126:127], v[124:125]
	v_div_scale_f64 v[128:129], vcc, v[108:109], v[110:111], v[108:109]
	v_fma_f64 v[130:131], -v[124:125], v[126:127], 1.0
	v_fmac_f64_e32 v[126:127], v[126:127], v[130:131]
	v_fma_f64 v[130:131], -v[124:125], v[126:127], 1.0
	v_fmac_f64_e32 v[126:127], v[126:127], v[130:131]
	v_mul_f64 v[130:131], v[128:129], v[126:127]
	v_fma_f64 v[124:125], -v[124:125], v[130:131], v[128:129]
	v_div_fmas_f64 v[124:125], v[124:125], v[126:127], v[130:131]
	v_div_fixup_f64 v[124:125], v[124:125], v[110:111], v[108:109]
	v_fmac_f64_e32 v[110:111], v[108:109], v[124:125]
	v_div_scale_f64 v[108:109], s[18:19], v[110:111], v[110:111], 1.0
	v_rcp_f64_e32 v[126:127], v[108:109]
	s_nop 0
	v_fma_f64 v[128:129], -v[108:109], v[126:127], 1.0
	v_fmac_f64_e32 v[126:127], v[126:127], v[128:129]
	v_fma_f64 v[128:129], -v[108:109], v[126:127], 1.0
	v_fmac_f64_e32 v[126:127], v[126:127], v[128:129]
	v_div_scale_f64 v[128:129], vcc, 1.0, v[110:111], 1.0
	v_mul_f64 v[130:131], v[128:129], v[126:127]
	v_fma_f64 v[108:109], -v[108:109], v[130:131], v[128:129]
	s_nop 1
	v_div_fmas_f64 v[108:109], v[108:109], v[126:127], v[130:131]
	v_div_fixup_f64 v[110:111], v[108:109], v[110:111], 1.0
	v_mul_f64 v[108:109], v[124:125], v[110:111]
	v_xor_b32_e32 v111, 0x80000000, v111
.LBB52_175:
	s_andn2_saveexec_b64 s[16:17], s[16:17]
	s_cbranch_execz .LBB52_177
; %bb.176:
	v_div_scale_f64 v[124:125], s[18:19], v[108:109], v[108:109], v[110:111]
	v_rcp_f64_e32 v[126:127], v[124:125]
	v_div_scale_f64 v[128:129], vcc, v[110:111], v[108:109], v[110:111]
	v_fma_f64 v[130:131], -v[124:125], v[126:127], 1.0
	v_fmac_f64_e32 v[126:127], v[126:127], v[130:131]
	v_fma_f64 v[130:131], -v[124:125], v[126:127], 1.0
	v_fmac_f64_e32 v[126:127], v[126:127], v[130:131]
	v_mul_f64 v[130:131], v[128:129], v[126:127]
	v_fma_f64 v[124:125], -v[124:125], v[130:131], v[128:129]
	v_div_fmas_f64 v[124:125], v[124:125], v[126:127], v[130:131]
	v_div_fixup_f64 v[124:125], v[124:125], v[108:109], v[110:111]
	v_fmac_f64_e32 v[108:109], v[110:111], v[124:125]
	v_div_scale_f64 v[110:111], s[18:19], v[108:109], v[108:109], 1.0
	v_rcp_f64_e32 v[126:127], v[110:111]
	s_nop 0
	v_fma_f64 v[128:129], -v[110:111], v[126:127], 1.0
	v_fmac_f64_e32 v[126:127], v[126:127], v[128:129]
	v_fma_f64 v[128:129], -v[110:111], v[126:127], 1.0
	v_fmac_f64_e32 v[126:127], v[126:127], v[128:129]
	v_div_scale_f64 v[128:129], vcc, 1.0, v[108:109], 1.0
	v_mul_f64 v[130:131], v[128:129], v[126:127]
	v_fma_f64 v[110:111], -v[110:111], v[130:131], v[128:129]
	s_nop 1
	v_div_fmas_f64 v[110:111], v[110:111], v[126:127], v[130:131]
	v_div_fixup_f64 v[108:109], v[110:111], v[108:109], 1.0
	v_mul_f64 v[110:111], v[124:125], -v[108:109]
.LBB52_177:
	s_or_b64 exec, exec, s[16:17]
.LBB52_178:
	s_or_b64 exec, exec, s[0:1]
	v_cmp_ne_u32_e32 vcc, v121, v118
	s_and_saveexec_b64 s[0:1], vcc
	s_xor_b64 s[0:1], exec, s[0:1]
	s_cbranch_execz .LBB52_184
; %bb.179:
	v_cmp_eq_u32_e32 vcc, 8, v121
	s_and_saveexec_b64 s[16:17], vcc
	s_cbranch_execz .LBB52_183
; %bb.180:
	v_cmp_ne_u32_e32 vcc, 8, v118
	s_xor_b64 s[18:19], s[14:15], -1
	s_and_b64 s[22:23], s[18:19], vcc
	s_and_saveexec_b64 s[18:19], s[22:23]
	s_cbranch_execz .LBB52_182
; %bb.181:
	v_ashrrev_i32_e32 v119, 31, v118
	v_lshl_add_u64 v[124:125], v[118:119], 2, v[116:117]
	global_load_dword v119, v[124:125], off
	global_load_dword v121, v[116:117], off offset:32
	s_waitcnt vmcnt(1)
	global_store_dword v[116:117], v119, off offset:32
	s_waitcnt vmcnt(1)
	global_store_dword v[124:125], v121, off
.LBB52_182:
	s_or_b64 exec, exec, s[18:19]
	v_mov_b32_e32 v121, v118
	v_mov_b32_e32 v122, v118
.LBB52_183:
	s_or_b64 exec, exec, s[16:17]
.LBB52_184:
	s_andn2_saveexec_b64 s[0:1], s[0:1]
	s_cbranch_execz .LBB52_186
; %bb.185:
	v_mov_b32_e32 v121, 8
	s_waitcnt vmcnt(17)
	ds_write2_b64 v120, v[64:65], v[66:67] offset0:18 offset1:19
	s_waitcnt vmcnt(16)
	ds_write2_b64 v120, v[60:61], v[62:63] offset0:20 offset1:21
	;; [unrolled: 2-line block ×18, first 2 shown]
.LBB52_186:
	s_or_b64 exec, exec, s[0:1]
	v_cmp_lt_i32_e32 vcc, 8, v121
	s_waitcnt lgkmcnt(0)
	s_barrier
	s_and_saveexec_b64 s[0:1], vcc
	s_cbranch_execz .LBB52_188
; %bb.187:
	ds_read2_b64 v[124:127], v120 offset0:18 offset1:19
	v_mul_f64 v[118:119], v[110:111], v[74:75]
	v_mul_f64 v[74:75], v[108:109], v[74:75]
	v_fma_f64 v[118:119], v[108:109], v[72:73], -v[118:119]
	v_fmac_f64_e32 v[74:75], v[110:111], v[72:73]
	ds_read2_b64 v[108:111], v120 offset0:20 offset1:21
	s_waitcnt lgkmcnt(1)
	v_mul_f64 v[72:73], v[126:127], v[74:75]
	v_fma_f64 v[72:73], v[124:125], v[118:119], -v[72:73]
	v_mul_f64 v[124:125], v[124:125], v[74:75]
	v_fmac_f64_e32 v[124:125], v[126:127], v[118:119]
	s_waitcnt vmcnt(17)
	v_add_f64 v[64:65], v[64:65], -v[72:73]
	s_waitcnt lgkmcnt(0)
	v_mul_f64 v[72:73], v[110:111], v[74:75]
	v_add_f64 v[66:67], v[66:67], -v[124:125]
	v_fma_f64 v[72:73], v[108:109], v[118:119], -v[72:73]
	v_mul_f64 v[108:109], v[108:109], v[74:75]
	ds_read2_b64 v[124:127], v120 offset0:22 offset1:23
	v_fmac_f64_e32 v[108:109], v[110:111], v[118:119]
	s_waitcnt vmcnt(16)
	v_add_f64 v[62:63], v[62:63], -v[108:109]
	ds_read2_b64 v[108:111], v120 offset0:24 offset1:25
	v_add_f64 v[60:61], v[60:61], -v[72:73]
	s_waitcnt lgkmcnt(1)
	v_mul_f64 v[72:73], v[126:127], v[74:75]
	v_fma_f64 v[72:73], v[124:125], v[118:119], -v[72:73]
	v_mul_f64 v[124:125], v[124:125], v[74:75]
	v_fmac_f64_e32 v[124:125], v[126:127], v[118:119]
	s_waitcnt vmcnt(15)
	v_add_f64 v[56:57], v[56:57], -v[72:73]
	s_waitcnt lgkmcnt(0)
	v_mul_f64 v[72:73], v[110:111], v[74:75]
	v_add_f64 v[58:59], v[58:59], -v[124:125]
	v_fma_f64 v[72:73], v[108:109], v[118:119], -v[72:73]
	v_mul_f64 v[108:109], v[108:109], v[74:75]
	ds_read2_b64 v[124:127], v120 offset0:26 offset1:27
	v_fmac_f64_e32 v[108:109], v[110:111], v[118:119]
	s_waitcnt vmcnt(14)
	v_add_f64 v[54:55], v[54:55], -v[108:109]
	ds_read2_b64 v[108:111], v120 offset0:28 offset1:29
	v_add_f64 v[52:53], v[52:53], -v[72:73]
	s_waitcnt lgkmcnt(1)
	v_mul_f64 v[72:73], v[126:127], v[74:75]
	v_fma_f64 v[72:73], v[124:125], v[118:119], -v[72:73]
	v_mul_f64 v[124:125], v[124:125], v[74:75]
	v_fmac_f64_e32 v[124:125], v[126:127], v[118:119]
	s_waitcnt vmcnt(13)
	v_add_f64 v[48:49], v[48:49], -v[72:73]
	s_waitcnt lgkmcnt(0)
	v_mul_f64 v[72:73], v[110:111], v[74:75]
	v_add_f64 v[50:51], v[50:51], -v[124:125]
	v_fma_f64 v[72:73], v[108:109], v[118:119], -v[72:73]
	v_mul_f64 v[108:109], v[108:109], v[74:75]
	ds_read2_b64 v[124:127], v120 offset0:30 offset1:31
	v_fmac_f64_e32 v[108:109], v[110:111], v[118:119]
	s_waitcnt vmcnt(12)
	v_add_f64 v[46:47], v[46:47], -v[108:109]
	ds_read2_b64 v[108:111], v120 offset0:32 offset1:33
	v_add_f64 v[44:45], v[44:45], -v[72:73]
	s_waitcnt lgkmcnt(1)
	v_mul_f64 v[72:73], v[126:127], v[74:75]
	v_fma_f64 v[72:73], v[124:125], v[118:119], -v[72:73]
	v_mul_f64 v[124:125], v[124:125], v[74:75]
	v_fmac_f64_e32 v[124:125], v[126:127], v[118:119]
	s_waitcnt vmcnt(11)
	v_add_f64 v[40:41], v[40:41], -v[72:73]
	s_waitcnt lgkmcnt(0)
	v_mul_f64 v[72:73], v[110:111], v[74:75]
	v_add_f64 v[42:43], v[42:43], -v[124:125]
	v_fma_f64 v[72:73], v[108:109], v[118:119], -v[72:73]
	v_mul_f64 v[108:109], v[108:109], v[74:75]
	ds_read2_b64 v[124:127], v120 offset0:34 offset1:35
	v_fmac_f64_e32 v[108:109], v[110:111], v[118:119]
	s_waitcnt vmcnt(10)
	v_add_f64 v[34:35], v[34:35], -v[108:109]
	ds_read2_b64 v[108:111], v120 offset0:36 offset1:37
	v_add_f64 v[32:33], v[32:33], -v[72:73]
	s_waitcnt lgkmcnt(1)
	v_mul_f64 v[72:73], v[126:127], v[74:75]
	v_fma_f64 v[72:73], v[124:125], v[118:119], -v[72:73]
	v_mul_f64 v[124:125], v[124:125], v[74:75]
	v_fmac_f64_e32 v[124:125], v[126:127], v[118:119]
	s_waitcnt vmcnt(9)
	v_add_f64 v[36:37], v[36:37], -v[72:73]
	s_waitcnt lgkmcnt(0)
	v_mul_f64 v[72:73], v[110:111], v[74:75]
	v_add_f64 v[38:39], v[38:39], -v[124:125]
	v_fma_f64 v[72:73], v[108:109], v[118:119], -v[72:73]
	v_mul_f64 v[108:109], v[108:109], v[74:75]
	ds_read2_b64 v[124:127], v120 offset0:38 offset1:39
	v_fmac_f64_e32 v[108:109], v[110:111], v[118:119]
	s_waitcnt vmcnt(8)
	v_add_f64 v[30:31], v[30:31], -v[108:109]
	ds_read2_b64 v[108:111], v120 offset0:40 offset1:41
	v_add_f64 v[28:29], v[28:29], -v[72:73]
	s_waitcnt lgkmcnt(1)
	v_mul_f64 v[72:73], v[126:127], v[74:75]
	v_fma_f64 v[72:73], v[124:125], v[118:119], -v[72:73]
	v_mul_f64 v[124:125], v[124:125], v[74:75]
	v_fmac_f64_e32 v[124:125], v[126:127], v[118:119]
	s_waitcnt vmcnt(7)
	v_add_f64 v[24:25], v[24:25], -v[72:73]
	s_waitcnt lgkmcnt(0)
	v_mul_f64 v[72:73], v[110:111], v[74:75]
	v_add_f64 v[26:27], v[26:27], -v[124:125]
	v_fma_f64 v[72:73], v[108:109], v[118:119], -v[72:73]
	v_mul_f64 v[108:109], v[108:109], v[74:75]
	ds_read2_b64 v[124:127], v120 offset0:42 offset1:43
	v_fmac_f64_e32 v[108:109], v[110:111], v[118:119]
	s_waitcnt vmcnt(6)
	v_add_f64 v[22:23], v[22:23], -v[108:109]
	ds_read2_b64 v[108:111], v120 offset0:44 offset1:45
	v_add_f64 v[20:21], v[20:21], -v[72:73]
	s_waitcnt lgkmcnt(1)
	v_mul_f64 v[72:73], v[126:127], v[74:75]
	v_fma_f64 v[72:73], v[124:125], v[118:119], -v[72:73]
	v_mul_f64 v[124:125], v[124:125], v[74:75]
	v_fmac_f64_e32 v[124:125], v[126:127], v[118:119]
	s_waitcnt vmcnt(5)
	v_add_f64 v[16:17], v[16:17], -v[72:73]
	s_waitcnt lgkmcnt(0)
	v_mul_f64 v[72:73], v[110:111], v[74:75]
	v_add_f64 v[18:19], v[18:19], -v[124:125]
	v_fma_f64 v[72:73], v[108:109], v[118:119], -v[72:73]
	v_mul_f64 v[108:109], v[108:109], v[74:75]
	ds_read2_b64 v[124:127], v120 offset0:46 offset1:47
	v_fmac_f64_e32 v[108:109], v[110:111], v[118:119]
	s_waitcnt vmcnt(4)
	v_add_f64 v[14:15], v[14:15], -v[108:109]
	ds_read2_b64 v[108:111], v120 offset0:48 offset1:49
	v_add_f64 v[12:13], v[12:13], -v[72:73]
	s_waitcnt lgkmcnt(1)
	v_mul_f64 v[72:73], v[126:127], v[74:75]
	v_fma_f64 v[72:73], v[124:125], v[118:119], -v[72:73]
	v_mul_f64 v[124:125], v[124:125], v[74:75]
	v_fmac_f64_e32 v[124:125], v[126:127], v[118:119]
	s_waitcnt vmcnt(3)
	v_add_f64 v[8:9], v[8:9], -v[72:73]
	s_waitcnt lgkmcnt(0)
	v_mul_f64 v[72:73], v[110:111], v[74:75]
	v_add_f64 v[10:11], v[10:11], -v[124:125]
	v_fma_f64 v[72:73], v[108:109], v[118:119], -v[72:73]
	v_mul_f64 v[108:109], v[108:109], v[74:75]
	ds_read2_b64 v[124:127], v120 offset0:50 offset1:51
	v_fmac_f64_e32 v[108:109], v[110:111], v[118:119]
	s_waitcnt vmcnt(2)
	v_add_f64 v[6:7], v[6:7], -v[108:109]
	ds_read2_b64 v[108:111], v120 offset0:52 offset1:53
	v_add_f64 v[4:5], v[4:5], -v[72:73]
	s_waitcnt lgkmcnt(1)
	v_mul_f64 v[72:73], v[126:127], v[74:75]
	v_fma_f64 v[72:73], v[124:125], v[118:119], -v[72:73]
	s_waitcnt vmcnt(1)
	v_add_f64 v[0:1], v[0:1], -v[72:73]
	s_waitcnt lgkmcnt(0)
	v_mul_f64 v[72:73], v[110:111], v[74:75]
	v_mul_f64 v[124:125], v[124:125], v[74:75]
	v_fma_f64 v[72:73], v[108:109], v[118:119], -v[72:73]
	v_mul_f64 v[108:109], v[108:109], v[74:75]
	v_fmac_f64_e32 v[124:125], v[126:127], v[118:119]
	v_fmac_f64_e32 v[108:109], v[110:111], v[118:119]
	v_add_f64 v[2:3], v[2:3], -v[124:125]
	s_waitcnt vmcnt(0)
	v_add_f64 v[104:105], v[104:105], -v[72:73]
	v_add_f64 v[106:107], v[106:107], -v[108:109]
	v_mov_b64_e32 v[72:73], v[118:119]
.LBB52_188:
	s_or_b64 exec, exec, s[0:1]
	v_lshl_add_u32 v108, v121, 4, v120
	s_barrier
	s_waitcnt vmcnt(17)
	ds_write2_b64 v108, v[64:65], v[66:67] offset1:1
	s_waitcnt lgkmcnt(0)
	s_barrier
	ds_read2_b64 v[108:111], v120 offset0:18 offset1:19
	s_cmp_lt_i32 s20, 11
	v_mov_b32_e32 v118, 9
	s_cbranch_scc1 .LBB52_191
; %bb.189:
	v_add_u32_e32 v119, 0xa0, v120
	s_mov_b32 s16, 10
	v_mov_b32_e32 v118, 9
.LBB52_190:                             ; =>This Inner Loop Header: Depth=1
	ds_read2_b64 v[124:127], v119 offset1:1
	s_waitcnt lgkmcnt(1)
	v_xor_b32_e32 v129, 0x80000000, v109
	v_xor_b32_e32 v131, 0x80000000, v111
	v_cmp_gt_f64_e32 vcc, 0, v[110:111]
	v_cmp_gt_f64_e64 s[0:1], 0, v[108:109]
	v_mov_b32_e32 v128, v108
	v_mov_b32_e32 v130, v110
	v_cndmask_b32_e64 v129, v109, v129, s[0:1]
	v_cndmask_b32_e32 v131, v111, v131, vcc
	v_add_f64 v[128:129], v[128:129], v[130:131]
	s_waitcnt lgkmcnt(0)
	v_xor_b32_e32 v131, 0x80000000, v125
	v_xor_b32_e32 v133, 0x80000000, v127
	v_cmp_gt_f64_e32 vcc, 0, v[126:127]
	v_cmp_gt_f64_e64 s[0:1], 0, v[124:125]
	v_mov_b32_e32 v130, v124
	v_mov_b32_e32 v132, v126
	v_cndmask_b32_e64 v131, v125, v131, s[0:1]
	v_cndmask_b32_e32 v133, v127, v133, vcc
	v_add_f64 v[130:131], v[130:131], v[132:133]
	v_mov_b32_e32 v134, s16
	s_add_i32 s16, s16, 1
	v_cmp_lt_f64_e32 vcc, v[128:129], v[130:131]
	v_add_u32_e32 v119, 16, v119
	s_cmp_lg_u32 s20, s16
	v_cndmask_b32_e32 v109, v109, v125, vcc
	v_cndmask_b32_e32 v108, v108, v124, vcc
	;; [unrolled: 1-line block ×5, first 2 shown]
	s_cbranch_scc1 .LBB52_190
.LBB52_191:
	s_waitcnt lgkmcnt(0)
	v_cmp_eq_f64_e32 vcc, 0, v[108:109]
	v_cmp_eq_f64_e64 s[0:1], 0, v[110:111]
	s_and_b64 s[0:1], vcc, s[0:1]
	s_and_saveexec_b64 s[16:17], s[0:1]
	s_xor_b64 s[0:1], exec, s[16:17]
; %bb.192:
	v_cmp_ne_u32_e32 vcc, 0, v123
	s_nop 1
	v_cndmask_b32_e32 v123, 10, v123, vcc
; %bb.193:
	s_andn2_saveexec_b64 s[0:1], s[0:1]
	s_cbranch_execz .LBB52_199
; %bb.194:
	v_cmp_ngt_f64_e64 s[16:17], |v[108:109]|, |v[110:111]|
	s_and_saveexec_b64 s[18:19], s[16:17]
	s_xor_b64 s[16:17], exec, s[18:19]
	s_cbranch_execz .LBB52_196
; %bb.195:
	v_div_scale_f64 v[124:125], s[18:19], v[110:111], v[110:111], v[108:109]
	v_rcp_f64_e32 v[126:127], v[124:125]
	v_div_scale_f64 v[128:129], vcc, v[108:109], v[110:111], v[108:109]
	v_fma_f64 v[130:131], -v[124:125], v[126:127], 1.0
	v_fmac_f64_e32 v[126:127], v[126:127], v[130:131]
	v_fma_f64 v[130:131], -v[124:125], v[126:127], 1.0
	v_fmac_f64_e32 v[126:127], v[126:127], v[130:131]
	v_mul_f64 v[130:131], v[128:129], v[126:127]
	v_fma_f64 v[124:125], -v[124:125], v[130:131], v[128:129]
	v_div_fmas_f64 v[124:125], v[124:125], v[126:127], v[130:131]
	v_div_fixup_f64 v[124:125], v[124:125], v[110:111], v[108:109]
	v_fmac_f64_e32 v[110:111], v[108:109], v[124:125]
	v_div_scale_f64 v[108:109], s[18:19], v[110:111], v[110:111], 1.0
	v_rcp_f64_e32 v[126:127], v[108:109]
	s_nop 0
	v_fma_f64 v[128:129], -v[108:109], v[126:127], 1.0
	v_fmac_f64_e32 v[126:127], v[126:127], v[128:129]
	v_fma_f64 v[128:129], -v[108:109], v[126:127], 1.0
	v_fmac_f64_e32 v[126:127], v[126:127], v[128:129]
	v_div_scale_f64 v[128:129], vcc, 1.0, v[110:111], 1.0
	v_mul_f64 v[130:131], v[128:129], v[126:127]
	v_fma_f64 v[108:109], -v[108:109], v[130:131], v[128:129]
	s_nop 1
	v_div_fmas_f64 v[108:109], v[108:109], v[126:127], v[130:131]
	v_div_fixup_f64 v[110:111], v[108:109], v[110:111], 1.0
	v_mul_f64 v[108:109], v[124:125], v[110:111]
	v_xor_b32_e32 v111, 0x80000000, v111
.LBB52_196:
	s_andn2_saveexec_b64 s[16:17], s[16:17]
	s_cbranch_execz .LBB52_198
; %bb.197:
	v_div_scale_f64 v[124:125], s[18:19], v[108:109], v[108:109], v[110:111]
	v_rcp_f64_e32 v[126:127], v[124:125]
	v_div_scale_f64 v[128:129], vcc, v[110:111], v[108:109], v[110:111]
	v_fma_f64 v[130:131], -v[124:125], v[126:127], 1.0
	v_fmac_f64_e32 v[126:127], v[126:127], v[130:131]
	v_fma_f64 v[130:131], -v[124:125], v[126:127], 1.0
	v_fmac_f64_e32 v[126:127], v[126:127], v[130:131]
	v_mul_f64 v[130:131], v[128:129], v[126:127]
	v_fma_f64 v[124:125], -v[124:125], v[130:131], v[128:129]
	v_div_fmas_f64 v[124:125], v[124:125], v[126:127], v[130:131]
	v_div_fixup_f64 v[124:125], v[124:125], v[108:109], v[110:111]
	v_fmac_f64_e32 v[108:109], v[110:111], v[124:125]
	v_div_scale_f64 v[110:111], s[18:19], v[108:109], v[108:109], 1.0
	v_rcp_f64_e32 v[126:127], v[110:111]
	s_nop 0
	v_fma_f64 v[128:129], -v[110:111], v[126:127], 1.0
	v_fmac_f64_e32 v[126:127], v[126:127], v[128:129]
	v_fma_f64 v[128:129], -v[110:111], v[126:127], 1.0
	v_fmac_f64_e32 v[126:127], v[126:127], v[128:129]
	v_div_scale_f64 v[128:129], vcc, 1.0, v[108:109], 1.0
	v_mul_f64 v[130:131], v[128:129], v[126:127]
	v_fma_f64 v[110:111], -v[110:111], v[130:131], v[128:129]
	s_nop 1
	v_div_fmas_f64 v[110:111], v[110:111], v[126:127], v[130:131]
	v_div_fixup_f64 v[108:109], v[110:111], v[108:109], 1.0
	v_mul_f64 v[110:111], v[124:125], -v[108:109]
.LBB52_198:
	s_or_b64 exec, exec, s[16:17]
.LBB52_199:
	s_or_b64 exec, exec, s[0:1]
	v_cmp_ne_u32_e32 vcc, v121, v118
	s_and_saveexec_b64 s[0:1], vcc
	s_xor_b64 s[0:1], exec, s[0:1]
	s_cbranch_execz .LBB52_205
; %bb.200:
	v_cmp_eq_u32_e32 vcc, 9, v121
	s_and_saveexec_b64 s[16:17], vcc
	s_cbranch_execz .LBB52_204
; %bb.201:
	v_cmp_ne_u32_e32 vcc, 9, v118
	s_xor_b64 s[18:19], s[14:15], -1
	s_and_b64 s[22:23], s[18:19], vcc
	s_and_saveexec_b64 s[18:19], s[22:23]
	s_cbranch_execz .LBB52_203
; %bb.202:
	v_ashrrev_i32_e32 v119, 31, v118
	v_lshl_add_u64 v[124:125], v[118:119], 2, v[116:117]
	global_load_dword v119, v[124:125], off
	global_load_dword v121, v[116:117], off offset:36
	s_waitcnt vmcnt(1)
	global_store_dword v[116:117], v119, off offset:36
	s_waitcnt vmcnt(1)
	global_store_dword v[124:125], v121, off
.LBB52_203:
	s_or_b64 exec, exec, s[18:19]
	v_mov_b32_e32 v121, v118
	v_mov_b32_e32 v122, v118
.LBB52_204:
	s_or_b64 exec, exec, s[16:17]
.LBB52_205:
	s_andn2_saveexec_b64 s[0:1], s[0:1]
	s_cbranch_execz .LBB52_207
; %bb.206:
	v_mov_b32_e32 v121, 9
	s_waitcnt vmcnt(16)
	ds_write2_b64 v120, v[60:61], v[62:63] offset0:20 offset1:21
	s_waitcnt vmcnt(15)
	ds_write2_b64 v120, v[56:57], v[58:59] offset0:22 offset1:23
	;; [unrolled: 2-line block ×17, first 2 shown]
.LBB52_207:
	s_or_b64 exec, exec, s[0:1]
	v_cmp_lt_i32_e32 vcc, 9, v121
	s_waitcnt lgkmcnt(0)
	s_barrier
	s_and_saveexec_b64 s[0:1], vcc
	s_cbranch_execz .LBB52_209
; %bb.208:
	ds_read2_b64 v[124:127], v120 offset0:20 offset1:21
	v_mul_f64 v[118:119], v[110:111], v[66:67]
	v_mul_f64 v[66:67], v[108:109], v[66:67]
	v_fmac_f64_e32 v[66:67], v[110:111], v[64:65]
	v_fma_f64 v[118:119], v[108:109], v[64:65], -v[118:119]
	ds_read2_b64 v[108:111], v120 offset0:22 offset1:23
	s_waitcnt lgkmcnt(1)
	v_mul_f64 v[64:65], v[126:127], v[66:67]
	v_fma_f64 v[64:65], v[124:125], v[118:119], -v[64:65]
	v_mul_f64 v[124:125], v[124:125], v[66:67]
	v_fmac_f64_e32 v[124:125], v[126:127], v[118:119]
	s_waitcnt vmcnt(16)
	v_add_f64 v[62:63], v[62:63], -v[124:125]
	ds_read2_b64 v[124:127], v120 offset0:24 offset1:25
	v_add_f64 v[60:61], v[60:61], -v[64:65]
	s_waitcnt lgkmcnt(1)
	v_mul_f64 v[64:65], v[110:111], v[66:67]
	v_fma_f64 v[64:65], v[108:109], v[118:119], -v[64:65]
	v_mul_f64 v[108:109], v[108:109], v[66:67]
	v_fmac_f64_e32 v[108:109], v[110:111], v[118:119]
	s_waitcnt vmcnt(15)
	v_add_f64 v[56:57], v[56:57], -v[64:65]
	v_add_f64 v[58:59], v[58:59], -v[108:109]
	ds_read2_b64 v[108:111], v120 offset0:26 offset1:27
	s_waitcnt lgkmcnt(1)
	v_mul_f64 v[64:65], v[126:127], v[66:67]
	v_fma_f64 v[64:65], v[124:125], v[118:119], -v[64:65]
	v_mul_f64 v[124:125], v[124:125], v[66:67]
	v_fmac_f64_e32 v[124:125], v[126:127], v[118:119]
	s_waitcnt vmcnt(14)
	v_add_f64 v[54:55], v[54:55], -v[124:125]
	ds_read2_b64 v[124:127], v120 offset0:28 offset1:29
	v_add_f64 v[52:53], v[52:53], -v[64:65]
	s_waitcnt lgkmcnt(1)
	v_mul_f64 v[64:65], v[110:111], v[66:67]
	v_fma_f64 v[64:65], v[108:109], v[118:119], -v[64:65]
	v_mul_f64 v[108:109], v[108:109], v[66:67]
	v_fmac_f64_e32 v[108:109], v[110:111], v[118:119]
	s_waitcnt vmcnt(13)
	v_add_f64 v[48:49], v[48:49], -v[64:65]
	v_add_f64 v[50:51], v[50:51], -v[108:109]
	;; [unrolled: 18-line block ×8, first 2 shown]
	s_waitcnt lgkmcnt(0)
	v_mul_f64 v[64:65], v[126:127], v[66:67]
	v_mul_f64 v[108:109], v[124:125], v[66:67]
	v_fma_f64 v[64:65], v[124:125], v[118:119], -v[64:65]
	v_fmac_f64_e32 v[108:109], v[126:127], v[118:119]
	s_waitcnt vmcnt(0)
	v_add_f64 v[104:105], v[104:105], -v[64:65]
	v_add_f64 v[106:107], v[106:107], -v[108:109]
	v_mov_b64_e32 v[64:65], v[118:119]
.LBB52_209:
	s_or_b64 exec, exec, s[0:1]
	v_lshl_add_u32 v108, v121, 4, v120
	s_barrier
	s_waitcnt vmcnt(16)
	ds_write2_b64 v108, v[60:61], v[62:63] offset1:1
	s_waitcnt lgkmcnt(0)
	s_barrier
	ds_read2_b64 v[108:111], v120 offset0:20 offset1:21
	s_cmp_lt_i32 s20, 12
	v_mov_b32_e32 v118, 10
	s_cbranch_scc1 .LBB52_212
; %bb.210:
	v_add_u32_e32 v119, 0xb0, v120
	s_mov_b32 s16, 11
	v_mov_b32_e32 v118, 10
.LBB52_211:                             ; =>This Inner Loop Header: Depth=1
	ds_read2_b64 v[124:127], v119 offset1:1
	s_waitcnt lgkmcnt(1)
	v_xor_b32_e32 v129, 0x80000000, v109
	v_xor_b32_e32 v131, 0x80000000, v111
	v_cmp_gt_f64_e32 vcc, 0, v[110:111]
	v_cmp_gt_f64_e64 s[0:1], 0, v[108:109]
	v_mov_b32_e32 v128, v108
	v_mov_b32_e32 v130, v110
	v_cndmask_b32_e64 v129, v109, v129, s[0:1]
	v_cndmask_b32_e32 v131, v111, v131, vcc
	v_add_f64 v[128:129], v[128:129], v[130:131]
	s_waitcnt lgkmcnt(0)
	v_xor_b32_e32 v131, 0x80000000, v125
	v_xor_b32_e32 v133, 0x80000000, v127
	v_cmp_gt_f64_e32 vcc, 0, v[126:127]
	v_cmp_gt_f64_e64 s[0:1], 0, v[124:125]
	v_mov_b32_e32 v130, v124
	v_mov_b32_e32 v132, v126
	v_cndmask_b32_e64 v131, v125, v131, s[0:1]
	v_cndmask_b32_e32 v133, v127, v133, vcc
	v_add_f64 v[130:131], v[130:131], v[132:133]
	v_mov_b32_e32 v134, s16
	s_add_i32 s16, s16, 1
	v_cmp_lt_f64_e32 vcc, v[128:129], v[130:131]
	v_add_u32_e32 v119, 16, v119
	s_cmp_lg_u32 s20, s16
	v_cndmask_b32_e32 v109, v109, v125, vcc
	v_cndmask_b32_e32 v108, v108, v124, vcc
	v_cndmask_b32_e32 v111, v111, v127, vcc
	v_cndmask_b32_e32 v110, v110, v126, vcc
	v_cndmask_b32_e32 v118, v118, v134, vcc
	s_cbranch_scc1 .LBB52_211
.LBB52_212:
	s_waitcnt lgkmcnt(0)
	v_cmp_eq_f64_e32 vcc, 0, v[108:109]
	v_cmp_eq_f64_e64 s[0:1], 0, v[110:111]
	s_and_b64 s[0:1], vcc, s[0:1]
	s_and_saveexec_b64 s[16:17], s[0:1]
	s_xor_b64 s[0:1], exec, s[16:17]
; %bb.213:
	v_cmp_ne_u32_e32 vcc, 0, v123
	s_nop 1
	v_cndmask_b32_e32 v123, 11, v123, vcc
; %bb.214:
	s_andn2_saveexec_b64 s[0:1], s[0:1]
	s_cbranch_execz .LBB52_220
; %bb.215:
	v_cmp_ngt_f64_e64 s[16:17], |v[108:109]|, |v[110:111]|
	s_and_saveexec_b64 s[18:19], s[16:17]
	s_xor_b64 s[16:17], exec, s[18:19]
	s_cbranch_execz .LBB52_217
; %bb.216:
	v_div_scale_f64 v[124:125], s[18:19], v[110:111], v[110:111], v[108:109]
	v_rcp_f64_e32 v[126:127], v[124:125]
	v_div_scale_f64 v[128:129], vcc, v[108:109], v[110:111], v[108:109]
	v_fma_f64 v[130:131], -v[124:125], v[126:127], 1.0
	v_fmac_f64_e32 v[126:127], v[126:127], v[130:131]
	v_fma_f64 v[130:131], -v[124:125], v[126:127], 1.0
	v_fmac_f64_e32 v[126:127], v[126:127], v[130:131]
	v_mul_f64 v[130:131], v[128:129], v[126:127]
	v_fma_f64 v[124:125], -v[124:125], v[130:131], v[128:129]
	v_div_fmas_f64 v[124:125], v[124:125], v[126:127], v[130:131]
	v_div_fixup_f64 v[124:125], v[124:125], v[110:111], v[108:109]
	v_fmac_f64_e32 v[110:111], v[108:109], v[124:125]
	v_div_scale_f64 v[108:109], s[18:19], v[110:111], v[110:111], 1.0
	v_rcp_f64_e32 v[126:127], v[108:109]
	s_nop 0
	v_fma_f64 v[128:129], -v[108:109], v[126:127], 1.0
	v_fmac_f64_e32 v[126:127], v[126:127], v[128:129]
	v_fma_f64 v[128:129], -v[108:109], v[126:127], 1.0
	v_fmac_f64_e32 v[126:127], v[126:127], v[128:129]
	v_div_scale_f64 v[128:129], vcc, 1.0, v[110:111], 1.0
	v_mul_f64 v[130:131], v[128:129], v[126:127]
	v_fma_f64 v[108:109], -v[108:109], v[130:131], v[128:129]
	s_nop 1
	v_div_fmas_f64 v[108:109], v[108:109], v[126:127], v[130:131]
	v_div_fixup_f64 v[110:111], v[108:109], v[110:111], 1.0
	v_mul_f64 v[108:109], v[124:125], v[110:111]
	v_xor_b32_e32 v111, 0x80000000, v111
.LBB52_217:
	s_andn2_saveexec_b64 s[16:17], s[16:17]
	s_cbranch_execz .LBB52_219
; %bb.218:
	v_div_scale_f64 v[124:125], s[18:19], v[108:109], v[108:109], v[110:111]
	v_rcp_f64_e32 v[126:127], v[124:125]
	v_div_scale_f64 v[128:129], vcc, v[110:111], v[108:109], v[110:111]
	v_fma_f64 v[130:131], -v[124:125], v[126:127], 1.0
	v_fmac_f64_e32 v[126:127], v[126:127], v[130:131]
	v_fma_f64 v[130:131], -v[124:125], v[126:127], 1.0
	v_fmac_f64_e32 v[126:127], v[126:127], v[130:131]
	v_mul_f64 v[130:131], v[128:129], v[126:127]
	v_fma_f64 v[124:125], -v[124:125], v[130:131], v[128:129]
	v_div_fmas_f64 v[124:125], v[124:125], v[126:127], v[130:131]
	v_div_fixup_f64 v[124:125], v[124:125], v[108:109], v[110:111]
	v_fmac_f64_e32 v[108:109], v[110:111], v[124:125]
	v_div_scale_f64 v[110:111], s[18:19], v[108:109], v[108:109], 1.0
	v_rcp_f64_e32 v[126:127], v[110:111]
	s_nop 0
	v_fma_f64 v[128:129], -v[110:111], v[126:127], 1.0
	v_fmac_f64_e32 v[126:127], v[126:127], v[128:129]
	v_fma_f64 v[128:129], -v[110:111], v[126:127], 1.0
	v_fmac_f64_e32 v[126:127], v[126:127], v[128:129]
	v_div_scale_f64 v[128:129], vcc, 1.0, v[108:109], 1.0
	v_mul_f64 v[130:131], v[128:129], v[126:127]
	v_fma_f64 v[110:111], -v[110:111], v[130:131], v[128:129]
	s_nop 1
	v_div_fmas_f64 v[110:111], v[110:111], v[126:127], v[130:131]
	v_div_fixup_f64 v[108:109], v[110:111], v[108:109], 1.0
	v_mul_f64 v[110:111], v[124:125], -v[108:109]
.LBB52_219:
	s_or_b64 exec, exec, s[16:17]
.LBB52_220:
	s_or_b64 exec, exec, s[0:1]
	v_cmp_ne_u32_e32 vcc, v121, v118
	s_and_saveexec_b64 s[0:1], vcc
	s_xor_b64 s[0:1], exec, s[0:1]
	s_cbranch_execz .LBB52_226
; %bb.221:
	v_cmp_eq_u32_e32 vcc, 10, v121
	s_and_saveexec_b64 s[16:17], vcc
	s_cbranch_execz .LBB52_225
; %bb.222:
	v_cmp_ne_u32_e32 vcc, 10, v118
	s_xor_b64 s[18:19], s[14:15], -1
	s_and_b64 s[22:23], s[18:19], vcc
	s_and_saveexec_b64 s[18:19], s[22:23]
	s_cbranch_execz .LBB52_224
; %bb.223:
	v_ashrrev_i32_e32 v119, 31, v118
	v_lshl_add_u64 v[124:125], v[118:119], 2, v[116:117]
	global_load_dword v119, v[124:125], off
	global_load_dword v121, v[116:117], off offset:40
	s_waitcnt vmcnt(1)
	global_store_dword v[116:117], v119, off offset:40
	s_waitcnt vmcnt(1)
	global_store_dword v[124:125], v121, off
.LBB52_224:
	s_or_b64 exec, exec, s[18:19]
	v_mov_b32_e32 v121, v118
	v_mov_b32_e32 v122, v118
.LBB52_225:
	s_or_b64 exec, exec, s[16:17]
.LBB52_226:
	s_andn2_saveexec_b64 s[0:1], s[0:1]
	s_cbranch_execz .LBB52_228
; %bb.227:
	v_mov_b32_e32 v121, 10
	s_waitcnt vmcnt(15)
	ds_write2_b64 v120, v[56:57], v[58:59] offset0:22 offset1:23
	s_waitcnt vmcnt(14)
	ds_write2_b64 v120, v[52:53], v[54:55] offset0:24 offset1:25
	;; [unrolled: 2-line block ×16, first 2 shown]
.LBB52_228:
	s_or_b64 exec, exec, s[0:1]
	v_cmp_lt_i32_e32 vcc, 10, v121
	s_waitcnt lgkmcnt(0)
	s_barrier
	s_and_saveexec_b64 s[0:1], vcc
	s_cbranch_execz .LBB52_230
; %bb.229:
	ds_read2_b64 v[124:127], v120 offset0:22 offset1:23
	v_mul_f64 v[118:119], v[108:109], v[62:63]
	v_mul_f64 v[62:63], v[110:111], v[62:63]
	v_fmac_f64_e32 v[118:119], v[110:111], v[60:61]
	v_fma_f64 v[60:61], v[108:109], v[60:61], -v[62:63]
	ds_read2_b64 v[108:111], v120 offset0:24 offset1:25
	s_waitcnt lgkmcnt(1)
	v_mul_f64 v[62:63], v[126:127], v[118:119]
	v_fma_f64 v[62:63], v[124:125], v[60:61], -v[62:63]
	v_mul_f64 v[124:125], v[124:125], v[118:119]
	v_fmac_f64_e32 v[124:125], v[126:127], v[60:61]
	s_waitcnt vmcnt(15)
	v_add_f64 v[56:57], v[56:57], -v[62:63]
	s_waitcnt lgkmcnt(0)
	v_mul_f64 v[62:63], v[110:111], v[118:119]
	v_add_f64 v[58:59], v[58:59], -v[124:125]
	v_fma_f64 v[62:63], v[108:109], v[60:61], -v[62:63]
	v_mul_f64 v[108:109], v[108:109], v[118:119]
	ds_read2_b64 v[124:127], v120 offset0:26 offset1:27
	v_fmac_f64_e32 v[108:109], v[110:111], v[60:61]
	s_waitcnt vmcnt(14)
	v_add_f64 v[54:55], v[54:55], -v[108:109]
	ds_read2_b64 v[108:111], v120 offset0:28 offset1:29
	v_add_f64 v[52:53], v[52:53], -v[62:63]
	s_waitcnt lgkmcnt(1)
	v_mul_f64 v[62:63], v[126:127], v[118:119]
	v_fma_f64 v[62:63], v[124:125], v[60:61], -v[62:63]
	v_mul_f64 v[124:125], v[124:125], v[118:119]
	v_fmac_f64_e32 v[124:125], v[126:127], v[60:61]
	s_waitcnt vmcnt(13)
	v_add_f64 v[48:49], v[48:49], -v[62:63]
	s_waitcnt lgkmcnt(0)
	v_mul_f64 v[62:63], v[110:111], v[118:119]
	v_add_f64 v[50:51], v[50:51], -v[124:125]
	v_fma_f64 v[62:63], v[108:109], v[60:61], -v[62:63]
	v_mul_f64 v[108:109], v[108:109], v[118:119]
	ds_read2_b64 v[124:127], v120 offset0:30 offset1:31
	v_fmac_f64_e32 v[108:109], v[110:111], v[60:61]
	s_waitcnt vmcnt(12)
	v_add_f64 v[46:47], v[46:47], -v[108:109]
	ds_read2_b64 v[108:111], v120 offset0:32 offset1:33
	v_add_f64 v[44:45], v[44:45], -v[62:63]
	;; [unrolled: 18-line block ×7, first 2 shown]
	s_waitcnt lgkmcnt(1)
	v_mul_f64 v[62:63], v[126:127], v[118:119]
	v_fma_f64 v[62:63], v[124:125], v[60:61], -v[62:63]
	s_waitcnt vmcnt(1)
	v_add_f64 v[0:1], v[0:1], -v[62:63]
	s_waitcnt lgkmcnt(0)
	v_mul_f64 v[62:63], v[110:111], v[118:119]
	v_mul_f64 v[124:125], v[124:125], v[118:119]
	v_fma_f64 v[62:63], v[108:109], v[60:61], -v[62:63]
	v_mul_f64 v[108:109], v[108:109], v[118:119]
	v_fmac_f64_e32 v[124:125], v[126:127], v[60:61]
	v_fmac_f64_e32 v[108:109], v[110:111], v[60:61]
	v_add_f64 v[2:3], v[2:3], -v[124:125]
	s_waitcnt vmcnt(0)
	v_add_f64 v[104:105], v[104:105], -v[62:63]
	v_add_f64 v[106:107], v[106:107], -v[108:109]
	v_mov_b64_e32 v[62:63], v[118:119]
.LBB52_230:
	s_or_b64 exec, exec, s[0:1]
	v_lshl_add_u32 v108, v121, 4, v120
	s_barrier
	s_waitcnt vmcnt(15)
	ds_write2_b64 v108, v[56:57], v[58:59] offset1:1
	s_waitcnt lgkmcnt(0)
	s_barrier
	ds_read2_b64 v[108:111], v120 offset0:22 offset1:23
	s_cmp_lt_i32 s20, 13
	v_mov_b32_e32 v118, 11
	s_cbranch_scc1 .LBB52_233
; %bb.231:
	v_add_u32_e32 v119, 0xc0, v120
	s_mov_b32 s16, 12
	v_mov_b32_e32 v118, 11
.LBB52_232:                             ; =>This Inner Loop Header: Depth=1
	ds_read2_b64 v[124:127], v119 offset1:1
	s_waitcnt lgkmcnt(1)
	v_xor_b32_e32 v129, 0x80000000, v109
	v_xor_b32_e32 v131, 0x80000000, v111
	v_cmp_gt_f64_e32 vcc, 0, v[110:111]
	v_cmp_gt_f64_e64 s[0:1], 0, v[108:109]
	v_mov_b32_e32 v128, v108
	v_mov_b32_e32 v130, v110
	v_cndmask_b32_e64 v129, v109, v129, s[0:1]
	v_cndmask_b32_e32 v131, v111, v131, vcc
	v_add_f64 v[128:129], v[128:129], v[130:131]
	s_waitcnt lgkmcnt(0)
	v_xor_b32_e32 v131, 0x80000000, v125
	v_xor_b32_e32 v133, 0x80000000, v127
	v_cmp_gt_f64_e32 vcc, 0, v[126:127]
	v_cmp_gt_f64_e64 s[0:1], 0, v[124:125]
	v_mov_b32_e32 v130, v124
	v_mov_b32_e32 v132, v126
	v_cndmask_b32_e64 v131, v125, v131, s[0:1]
	v_cndmask_b32_e32 v133, v127, v133, vcc
	v_add_f64 v[130:131], v[130:131], v[132:133]
	v_mov_b32_e32 v134, s16
	s_add_i32 s16, s16, 1
	v_cmp_lt_f64_e32 vcc, v[128:129], v[130:131]
	v_add_u32_e32 v119, 16, v119
	s_cmp_lg_u32 s20, s16
	v_cndmask_b32_e32 v109, v109, v125, vcc
	v_cndmask_b32_e32 v108, v108, v124, vcc
	;; [unrolled: 1-line block ×5, first 2 shown]
	s_cbranch_scc1 .LBB52_232
.LBB52_233:
	s_waitcnt lgkmcnt(0)
	v_cmp_eq_f64_e32 vcc, 0, v[108:109]
	v_cmp_eq_f64_e64 s[0:1], 0, v[110:111]
	s_and_b64 s[0:1], vcc, s[0:1]
	s_and_saveexec_b64 s[16:17], s[0:1]
	s_xor_b64 s[0:1], exec, s[16:17]
; %bb.234:
	v_cmp_ne_u32_e32 vcc, 0, v123
	s_nop 1
	v_cndmask_b32_e32 v123, 12, v123, vcc
; %bb.235:
	s_andn2_saveexec_b64 s[0:1], s[0:1]
	s_cbranch_execz .LBB52_241
; %bb.236:
	v_cmp_ngt_f64_e64 s[16:17], |v[108:109]|, |v[110:111]|
	s_and_saveexec_b64 s[18:19], s[16:17]
	s_xor_b64 s[16:17], exec, s[18:19]
	s_cbranch_execz .LBB52_238
; %bb.237:
	v_div_scale_f64 v[124:125], s[18:19], v[110:111], v[110:111], v[108:109]
	v_rcp_f64_e32 v[126:127], v[124:125]
	v_div_scale_f64 v[128:129], vcc, v[108:109], v[110:111], v[108:109]
	v_fma_f64 v[130:131], -v[124:125], v[126:127], 1.0
	v_fmac_f64_e32 v[126:127], v[126:127], v[130:131]
	v_fma_f64 v[130:131], -v[124:125], v[126:127], 1.0
	v_fmac_f64_e32 v[126:127], v[126:127], v[130:131]
	v_mul_f64 v[130:131], v[128:129], v[126:127]
	v_fma_f64 v[124:125], -v[124:125], v[130:131], v[128:129]
	v_div_fmas_f64 v[124:125], v[124:125], v[126:127], v[130:131]
	v_div_fixup_f64 v[124:125], v[124:125], v[110:111], v[108:109]
	v_fmac_f64_e32 v[110:111], v[108:109], v[124:125]
	v_div_scale_f64 v[108:109], s[18:19], v[110:111], v[110:111], 1.0
	v_rcp_f64_e32 v[126:127], v[108:109]
	s_nop 0
	v_fma_f64 v[128:129], -v[108:109], v[126:127], 1.0
	v_fmac_f64_e32 v[126:127], v[126:127], v[128:129]
	v_fma_f64 v[128:129], -v[108:109], v[126:127], 1.0
	v_fmac_f64_e32 v[126:127], v[126:127], v[128:129]
	v_div_scale_f64 v[128:129], vcc, 1.0, v[110:111], 1.0
	v_mul_f64 v[130:131], v[128:129], v[126:127]
	v_fma_f64 v[108:109], -v[108:109], v[130:131], v[128:129]
	s_nop 1
	v_div_fmas_f64 v[108:109], v[108:109], v[126:127], v[130:131]
	v_div_fixup_f64 v[110:111], v[108:109], v[110:111], 1.0
	v_mul_f64 v[108:109], v[124:125], v[110:111]
	v_xor_b32_e32 v111, 0x80000000, v111
.LBB52_238:
	s_andn2_saveexec_b64 s[16:17], s[16:17]
	s_cbranch_execz .LBB52_240
; %bb.239:
	v_div_scale_f64 v[124:125], s[18:19], v[108:109], v[108:109], v[110:111]
	v_rcp_f64_e32 v[126:127], v[124:125]
	v_div_scale_f64 v[128:129], vcc, v[110:111], v[108:109], v[110:111]
	v_fma_f64 v[130:131], -v[124:125], v[126:127], 1.0
	v_fmac_f64_e32 v[126:127], v[126:127], v[130:131]
	v_fma_f64 v[130:131], -v[124:125], v[126:127], 1.0
	v_fmac_f64_e32 v[126:127], v[126:127], v[130:131]
	v_mul_f64 v[130:131], v[128:129], v[126:127]
	v_fma_f64 v[124:125], -v[124:125], v[130:131], v[128:129]
	v_div_fmas_f64 v[124:125], v[124:125], v[126:127], v[130:131]
	v_div_fixup_f64 v[124:125], v[124:125], v[108:109], v[110:111]
	v_fmac_f64_e32 v[108:109], v[110:111], v[124:125]
	v_div_scale_f64 v[110:111], s[18:19], v[108:109], v[108:109], 1.0
	v_rcp_f64_e32 v[126:127], v[110:111]
	s_nop 0
	v_fma_f64 v[128:129], -v[110:111], v[126:127], 1.0
	v_fmac_f64_e32 v[126:127], v[126:127], v[128:129]
	v_fma_f64 v[128:129], -v[110:111], v[126:127], 1.0
	v_fmac_f64_e32 v[126:127], v[126:127], v[128:129]
	v_div_scale_f64 v[128:129], vcc, 1.0, v[108:109], 1.0
	v_mul_f64 v[130:131], v[128:129], v[126:127]
	v_fma_f64 v[110:111], -v[110:111], v[130:131], v[128:129]
	s_nop 1
	v_div_fmas_f64 v[110:111], v[110:111], v[126:127], v[130:131]
	v_div_fixup_f64 v[108:109], v[110:111], v[108:109], 1.0
	v_mul_f64 v[110:111], v[124:125], -v[108:109]
.LBB52_240:
	s_or_b64 exec, exec, s[16:17]
.LBB52_241:
	s_or_b64 exec, exec, s[0:1]
	v_cmp_ne_u32_e32 vcc, v121, v118
	s_and_saveexec_b64 s[0:1], vcc
	s_xor_b64 s[0:1], exec, s[0:1]
	s_cbranch_execz .LBB52_247
; %bb.242:
	v_cmp_eq_u32_e32 vcc, 11, v121
	s_and_saveexec_b64 s[16:17], vcc
	s_cbranch_execz .LBB52_246
; %bb.243:
	v_cmp_ne_u32_e32 vcc, 11, v118
	s_xor_b64 s[18:19], s[14:15], -1
	s_and_b64 s[22:23], s[18:19], vcc
	s_and_saveexec_b64 s[18:19], s[22:23]
	s_cbranch_execz .LBB52_245
; %bb.244:
	v_ashrrev_i32_e32 v119, 31, v118
	v_lshl_add_u64 v[124:125], v[118:119], 2, v[116:117]
	global_load_dword v119, v[124:125], off
	global_load_dword v121, v[116:117], off offset:44
	s_waitcnt vmcnt(1)
	global_store_dword v[116:117], v119, off offset:44
	s_waitcnt vmcnt(1)
	global_store_dword v[124:125], v121, off
.LBB52_245:
	s_or_b64 exec, exec, s[18:19]
	v_mov_b32_e32 v121, v118
	v_mov_b32_e32 v122, v118
.LBB52_246:
	s_or_b64 exec, exec, s[16:17]
.LBB52_247:
	s_andn2_saveexec_b64 s[0:1], s[0:1]
	s_cbranch_execz .LBB52_249
; %bb.248:
	v_mov_b32_e32 v121, 11
	s_waitcnt vmcnt(14)
	ds_write2_b64 v120, v[52:53], v[54:55] offset0:24 offset1:25
	s_waitcnt vmcnt(13)
	ds_write2_b64 v120, v[48:49], v[50:51] offset0:26 offset1:27
	s_waitcnt vmcnt(12)
	ds_write2_b64 v120, v[44:45], v[46:47] offset0:28 offset1:29
	s_waitcnt vmcnt(11)
	ds_write2_b64 v120, v[40:41], v[42:43] offset0:30 offset1:31
	s_waitcnt vmcnt(10)
	ds_write2_b64 v120, v[32:33], v[34:35] offset0:32 offset1:33
	s_waitcnt vmcnt(9)
	ds_write2_b64 v120, v[36:37], v[38:39] offset0:34 offset1:35
	s_waitcnt vmcnt(8)
	ds_write2_b64 v120, v[28:29], v[30:31] offset0:36 offset1:37
	s_waitcnt vmcnt(7)
	ds_write2_b64 v120, v[24:25], v[26:27] offset0:38 offset1:39
	s_waitcnt vmcnt(6)
	ds_write2_b64 v120, v[20:21], v[22:23] offset0:40 offset1:41
	s_waitcnt vmcnt(5)
	ds_write2_b64 v120, v[16:17], v[18:19] offset0:42 offset1:43
	s_waitcnt vmcnt(4)
	ds_write2_b64 v120, v[12:13], v[14:15] offset0:44 offset1:45
	s_waitcnt vmcnt(3)
	ds_write2_b64 v120, v[8:9], v[10:11] offset0:46 offset1:47
	s_waitcnt vmcnt(2)
	ds_write2_b64 v120, v[4:5], v[6:7] offset0:48 offset1:49
	s_waitcnt vmcnt(1)
	ds_write2_b64 v120, v[0:1], v[2:3] offset0:50 offset1:51
	s_waitcnt vmcnt(0)
	ds_write2_b64 v120, v[104:105], v[106:107] offset0:52 offset1:53
.LBB52_249:
	s_or_b64 exec, exec, s[0:1]
	v_cmp_lt_i32_e32 vcc, 11, v121
	s_waitcnt lgkmcnt(0)
	s_barrier
	s_and_saveexec_b64 s[0:1], vcc
	s_cbranch_execz .LBB52_251
; %bb.250:
	ds_read2_b64 v[124:127], v120 offset0:24 offset1:25
	v_mul_f64 v[118:119], v[108:109], v[58:59]
	v_fmac_f64_e32 v[118:119], v[110:111], v[56:57]
	v_mul_f64 v[58:59], v[110:111], v[58:59]
	v_fma_f64 v[56:57], v[108:109], v[56:57], -v[58:59]
	ds_read2_b64 v[108:111], v120 offset0:26 offset1:27
	s_waitcnt lgkmcnt(1)
	v_mul_f64 v[58:59], v[126:127], v[118:119]
	v_fma_f64 v[58:59], v[124:125], v[56:57], -v[58:59]
	v_mul_f64 v[124:125], v[124:125], v[118:119]
	v_fmac_f64_e32 v[124:125], v[126:127], v[56:57]
	s_waitcnt vmcnt(14)
	v_add_f64 v[54:55], v[54:55], -v[124:125]
	ds_read2_b64 v[124:127], v120 offset0:28 offset1:29
	v_add_f64 v[52:53], v[52:53], -v[58:59]
	s_waitcnt lgkmcnt(1)
	v_mul_f64 v[58:59], v[110:111], v[118:119]
	v_fma_f64 v[58:59], v[108:109], v[56:57], -v[58:59]
	v_mul_f64 v[108:109], v[108:109], v[118:119]
	v_fmac_f64_e32 v[108:109], v[110:111], v[56:57]
	s_waitcnt vmcnt(13)
	v_add_f64 v[48:49], v[48:49], -v[58:59]
	v_add_f64 v[50:51], v[50:51], -v[108:109]
	ds_read2_b64 v[108:111], v120 offset0:30 offset1:31
	s_waitcnt lgkmcnt(1)
	v_mul_f64 v[58:59], v[126:127], v[118:119]
	v_fma_f64 v[58:59], v[124:125], v[56:57], -v[58:59]
	v_mul_f64 v[124:125], v[124:125], v[118:119]
	v_fmac_f64_e32 v[124:125], v[126:127], v[56:57]
	s_waitcnt vmcnt(12)
	v_add_f64 v[46:47], v[46:47], -v[124:125]
	ds_read2_b64 v[124:127], v120 offset0:32 offset1:33
	v_add_f64 v[44:45], v[44:45], -v[58:59]
	s_waitcnt lgkmcnt(1)
	v_mul_f64 v[58:59], v[110:111], v[118:119]
	v_fma_f64 v[58:59], v[108:109], v[56:57], -v[58:59]
	v_mul_f64 v[108:109], v[108:109], v[118:119]
	v_fmac_f64_e32 v[108:109], v[110:111], v[56:57]
	s_waitcnt vmcnt(11)
	v_add_f64 v[40:41], v[40:41], -v[58:59]
	v_add_f64 v[42:43], v[42:43], -v[108:109]
	;; [unrolled: 18-line block ×7, first 2 shown]
	s_waitcnt lgkmcnt(0)
	v_mul_f64 v[58:59], v[126:127], v[118:119]
	v_mul_f64 v[108:109], v[124:125], v[118:119]
	v_fma_f64 v[58:59], v[124:125], v[56:57], -v[58:59]
	v_fmac_f64_e32 v[108:109], v[126:127], v[56:57]
	s_waitcnt vmcnt(0)
	v_add_f64 v[104:105], v[104:105], -v[58:59]
	v_add_f64 v[106:107], v[106:107], -v[108:109]
	v_mov_b64_e32 v[58:59], v[118:119]
.LBB52_251:
	s_or_b64 exec, exec, s[0:1]
	v_lshl_add_u32 v108, v121, 4, v120
	s_barrier
	s_waitcnt vmcnt(14)
	ds_write2_b64 v108, v[52:53], v[54:55] offset1:1
	s_waitcnt lgkmcnt(0)
	s_barrier
	ds_read2_b64 v[108:111], v120 offset0:24 offset1:25
	s_cmp_lt_i32 s20, 14
	v_mov_b32_e32 v118, 12
	s_cbranch_scc1 .LBB52_254
; %bb.252:
	v_add_u32_e32 v119, 0xd0, v120
	s_mov_b32 s16, 13
	v_mov_b32_e32 v118, 12
.LBB52_253:                             ; =>This Inner Loop Header: Depth=1
	ds_read2_b64 v[124:127], v119 offset1:1
	s_waitcnt lgkmcnt(1)
	v_xor_b32_e32 v129, 0x80000000, v109
	v_xor_b32_e32 v131, 0x80000000, v111
	v_cmp_gt_f64_e32 vcc, 0, v[110:111]
	v_cmp_gt_f64_e64 s[0:1], 0, v[108:109]
	v_mov_b32_e32 v128, v108
	v_mov_b32_e32 v130, v110
	v_cndmask_b32_e64 v129, v109, v129, s[0:1]
	v_cndmask_b32_e32 v131, v111, v131, vcc
	v_add_f64 v[128:129], v[128:129], v[130:131]
	s_waitcnt lgkmcnt(0)
	v_xor_b32_e32 v131, 0x80000000, v125
	v_xor_b32_e32 v133, 0x80000000, v127
	v_cmp_gt_f64_e32 vcc, 0, v[126:127]
	v_cmp_gt_f64_e64 s[0:1], 0, v[124:125]
	v_mov_b32_e32 v130, v124
	v_mov_b32_e32 v132, v126
	v_cndmask_b32_e64 v131, v125, v131, s[0:1]
	v_cndmask_b32_e32 v133, v127, v133, vcc
	v_add_f64 v[130:131], v[130:131], v[132:133]
	v_mov_b32_e32 v134, s16
	s_add_i32 s16, s16, 1
	v_cmp_lt_f64_e32 vcc, v[128:129], v[130:131]
	v_add_u32_e32 v119, 16, v119
	s_cmp_lg_u32 s20, s16
	v_cndmask_b32_e32 v109, v109, v125, vcc
	v_cndmask_b32_e32 v108, v108, v124, vcc
	;; [unrolled: 1-line block ×5, first 2 shown]
	s_cbranch_scc1 .LBB52_253
.LBB52_254:
	s_waitcnt lgkmcnt(0)
	v_cmp_eq_f64_e32 vcc, 0, v[108:109]
	v_cmp_eq_f64_e64 s[0:1], 0, v[110:111]
	s_and_b64 s[0:1], vcc, s[0:1]
	s_and_saveexec_b64 s[16:17], s[0:1]
	s_xor_b64 s[0:1], exec, s[16:17]
; %bb.255:
	v_cmp_ne_u32_e32 vcc, 0, v123
	s_nop 1
	v_cndmask_b32_e32 v123, 13, v123, vcc
; %bb.256:
	s_andn2_saveexec_b64 s[0:1], s[0:1]
	s_cbranch_execz .LBB52_262
; %bb.257:
	v_cmp_ngt_f64_e64 s[16:17], |v[108:109]|, |v[110:111]|
	s_and_saveexec_b64 s[18:19], s[16:17]
	s_xor_b64 s[16:17], exec, s[18:19]
	s_cbranch_execz .LBB52_259
; %bb.258:
	v_div_scale_f64 v[124:125], s[18:19], v[110:111], v[110:111], v[108:109]
	v_rcp_f64_e32 v[126:127], v[124:125]
	v_div_scale_f64 v[128:129], vcc, v[108:109], v[110:111], v[108:109]
	v_fma_f64 v[130:131], -v[124:125], v[126:127], 1.0
	v_fmac_f64_e32 v[126:127], v[126:127], v[130:131]
	v_fma_f64 v[130:131], -v[124:125], v[126:127], 1.0
	v_fmac_f64_e32 v[126:127], v[126:127], v[130:131]
	v_mul_f64 v[130:131], v[128:129], v[126:127]
	v_fma_f64 v[124:125], -v[124:125], v[130:131], v[128:129]
	v_div_fmas_f64 v[124:125], v[124:125], v[126:127], v[130:131]
	v_div_fixup_f64 v[124:125], v[124:125], v[110:111], v[108:109]
	v_fmac_f64_e32 v[110:111], v[108:109], v[124:125]
	v_div_scale_f64 v[108:109], s[18:19], v[110:111], v[110:111], 1.0
	v_rcp_f64_e32 v[126:127], v[108:109]
	s_nop 0
	v_fma_f64 v[128:129], -v[108:109], v[126:127], 1.0
	v_fmac_f64_e32 v[126:127], v[126:127], v[128:129]
	v_fma_f64 v[128:129], -v[108:109], v[126:127], 1.0
	v_fmac_f64_e32 v[126:127], v[126:127], v[128:129]
	v_div_scale_f64 v[128:129], vcc, 1.0, v[110:111], 1.0
	v_mul_f64 v[130:131], v[128:129], v[126:127]
	v_fma_f64 v[108:109], -v[108:109], v[130:131], v[128:129]
	s_nop 1
	v_div_fmas_f64 v[108:109], v[108:109], v[126:127], v[130:131]
	v_div_fixup_f64 v[110:111], v[108:109], v[110:111], 1.0
	v_mul_f64 v[108:109], v[124:125], v[110:111]
	v_xor_b32_e32 v111, 0x80000000, v111
.LBB52_259:
	s_andn2_saveexec_b64 s[16:17], s[16:17]
	s_cbranch_execz .LBB52_261
; %bb.260:
	v_div_scale_f64 v[124:125], s[18:19], v[108:109], v[108:109], v[110:111]
	v_rcp_f64_e32 v[126:127], v[124:125]
	v_div_scale_f64 v[128:129], vcc, v[110:111], v[108:109], v[110:111]
	v_fma_f64 v[130:131], -v[124:125], v[126:127], 1.0
	v_fmac_f64_e32 v[126:127], v[126:127], v[130:131]
	v_fma_f64 v[130:131], -v[124:125], v[126:127], 1.0
	v_fmac_f64_e32 v[126:127], v[126:127], v[130:131]
	v_mul_f64 v[130:131], v[128:129], v[126:127]
	v_fma_f64 v[124:125], -v[124:125], v[130:131], v[128:129]
	v_div_fmas_f64 v[124:125], v[124:125], v[126:127], v[130:131]
	v_div_fixup_f64 v[124:125], v[124:125], v[108:109], v[110:111]
	v_fmac_f64_e32 v[108:109], v[110:111], v[124:125]
	v_div_scale_f64 v[110:111], s[18:19], v[108:109], v[108:109], 1.0
	v_rcp_f64_e32 v[126:127], v[110:111]
	s_nop 0
	v_fma_f64 v[128:129], -v[110:111], v[126:127], 1.0
	v_fmac_f64_e32 v[126:127], v[126:127], v[128:129]
	v_fma_f64 v[128:129], -v[110:111], v[126:127], 1.0
	v_fmac_f64_e32 v[126:127], v[126:127], v[128:129]
	v_div_scale_f64 v[128:129], vcc, 1.0, v[108:109], 1.0
	v_mul_f64 v[130:131], v[128:129], v[126:127]
	v_fma_f64 v[110:111], -v[110:111], v[130:131], v[128:129]
	s_nop 1
	v_div_fmas_f64 v[110:111], v[110:111], v[126:127], v[130:131]
	v_div_fixup_f64 v[108:109], v[110:111], v[108:109], 1.0
	v_mul_f64 v[110:111], v[124:125], -v[108:109]
.LBB52_261:
	s_or_b64 exec, exec, s[16:17]
.LBB52_262:
	s_or_b64 exec, exec, s[0:1]
	v_cmp_ne_u32_e32 vcc, v121, v118
	s_and_saveexec_b64 s[0:1], vcc
	s_xor_b64 s[0:1], exec, s[0:1]
	s_cbranch_execz .LBB52_268
; %bb.263:
	v_cmp_eq_u32_e32 vcc, 12, v121
	s_and_saveexec_b64 s[16:17], vcc
	s_cbranch_execz .LBB52_267
; %bb.264:
	v_cmp_ne_u32_e32 vcc, 12, v118
	s_xor_b64 s[18:19], s[14:15], -1
	s_and_b64 s[22:23], s[18:19], vcc
	s_and_saveexec_b64 s[18:19], s[22:23]
	s_cbranch_execz .LBB52_266
; %bb.265:
	v_ashrrev_i32_e32 v119, 31, v118
	v_lshl_add_u64 v[124:125], v[118:119], 2, v[116:117]
	global_load_dword v119, v[124:125], off
	global_load_dword v121, v[116:117], off offset:48
	s_waitcnt vmcnt(1)
	global_store_dword v[116:117], v119, off offset:48
	s_waitcnt vmcnt(1)
	global_store_dword v[124:125], v121, off
.LBB52_266:
	s_or_b64 exec, exec, s[18:19]
	v_mov_b32_e32 v121, v118
	v_mov_b32_e32 v122, v118
.LBB52_267:
	s_or_b64 exec, exec, s[16:17]
.LBB52_268:
	s_andn2_saveexec_b64 s[0:1], s[0:1]
	s_cbranch_execz .LBB52_270
; %bb.269:
	v_mov_b32_e32 v121, 12
	s_waitcnt vmcnt(13)
	ds_write2_b64 v120, v[48:49], v[50:51] offset0:26 offset1:27
	s_waitcnt vmcnt(12)
	ds_write2_b64 v120, v[44:45], v[46:47] offset0:28 offset1:29
	;; [unrolled: 2-line block ×14, first 2 shown]
.LBB52_270:
	s_or_b64 exec, exec, s[0:1]
	v_cmp_lt_i32_e32 vcc, 12, v121
	s_waitcnt lgkmcnt(0)
	s_barrier
	s_and_saveexec_b64 s[0:1], vcc
	s_cbranch_execz .LBB52_272
; %bb.271:
	ds_read2_b64 v[124:127], v120 offset0:26 offset1:27
	v_mul_f64 v[118:119], v[108:109], v[54:55]
	v_mul_f64 v[54:55], v[110:111], v[54:55]
	v_fmac_f64_e32 v[118:119], v[110:111], v[52:53]
	v_fma_f64 v[52:53], v[108:109], v[52:53], -v[54:55]
	ds_read2_b64 v[108:111], v120 offset0:28 offset1:29
	s_waitcnt lgkmcnt(1)
	v_mul_f64 v[54:55], v[126:127], v[118:119]
	v_fma_f64 v[54:55], v[124:125], v[52:53], -v[54:55]
	v_mul_f64 v[124:125], v[124:125], v[118:119]
	v_fmac_f64_e32 v[124:125], v[126:127], v[52:53]
	s_waitcnt vmcnt(13)
	v_add_f64 v[48:49], v[48:49], -v[54:55]
	s_waitcnt lgkmcnt(0)
	v_mul_f64 v[54:55], v[110:111], v[118:119]
	v_add_f64 v[50:51], v[50:51], -v[124:125]
	v_fma_f64 v[54:55], v[108:109], v[52:53], -v[54:55]
	v_mul_f64 v[108:109], v[108:109], v[118:119]
	ds_read2_b64 v[124:127], v120 offset0:30 offset1:31
	v_fmac_f64_e32 v[108:109], v[110:111], v[52:53]
	s_waitcnt vmcnt(12)
	v_add_f64 v[46:47], v[46:47], -v[108:109]
	ds_read2_b64 v[108:111], v120 offset0:32 offset1:33
	v_add_f64 v[44:45], v[44:45], -v[54:55]
	s_waitcnt lgkmcnt(1)
	v_mul_f64 v[54:55], v[126:127], v[118:119]
	v_fma_f64 v[54:55], v[124:125], v[52:53], -v[54:55]
	v_mul_f64 v[124:125], v[124:125], v[118:119]
	v_fmac_f64_e32 v[124:125], v[126:127], v[52:53]
	s_waitcnt vmcnt(11)
	v_add_f64 v[40:41], v[40:41], -v[54:55]
	s_waitcnt lgkmcnt(0)
	v_mul_f64 v[54:55], v[110:111], v[118:119]
	v_add_f64 v[42:43], v[42:43], -v[124:125]
	v_fma_f64 v[54:55], v[108:109], v[52:53], -v[54:55]
	v_mul_f64 v[108:109], v[108:109], v[118:119]
	ds_read2_b64 v[124:127], v120 offset0:34 offset1:35
	v_fmac_f64_e32 v[108:109], v[110:111], v[52:53]
	s_waitcnt vmcnt(10)
	v_add_f64 v[34:35], v[34:35], -v[108:109]
	ds_read2_b64 v[108:111], v120 offset0:36 offset1:37
	v_add_f64 v[32:33], v[32:33], -v[54:55]
	;; [unrolled: 18-line block ×6, first 2 shown]
	s_waitcnt lgkmcnt(1)
	v_mul_f64 v[54:55], v[126:127], v[118:119]
	v_fma_f64 v[54:55], v[124:125], v[52:53], -v[54:55]
	s_waitcnt vmcnt(1)
	v_add_f64 v[0:1], v[0:1], -v[54:55]
	s_waitcnt lgkmcnt(0)
	v_mul_f64 v[54:55], v[110:111], v[118:119]
	v_mul_f64 v[124:125], v[124:125], v[118:119]
	v_fma_f64 v[54:55], v[108:109], v[52:53], -v[54:55]
	v_mul_f64 v[108:109], v[108:109], v[118:119]
	v_fmac_f64_e32 v[124:125], v[126:127], v[52:53]
	v_fmac_f64_e32 v[108:109], v[110:111], v[52:53]
	v_add_f64 v[2:3], v[2:3], -v[124:125]
	s_waitcnt vmcnt(0)
	v_add_f64 v[104:105], v[104:105], -v[54:55]
	v_add_f64 v[106:107], v[106:107], -v[108:109]
	v_mov_b64_e32 v[54:55], v[118:119]
.LBB52_272:
	s_or_b64 exec, exec, s[0:1]
	v_lshl_add_u32 v108, v121, 4, v120
	s_barrier
	s_waitcnt vmcnt(13)
	ds_write2_b64 v108, v[48:49], v[50:51] offset1:1
	s_waitcnt lgkmcnt(0)
	s_barrier
	ds_read2_b64 v[108:111], v120 offset0:26 offset1:27
	s_cmp_lt_i32 s20, 15
	v_mov_b32_e32 v118, 13
	s_cbranch_scc1 .LBB52_275
; %bb.273:
	v_add_u32_e32 v119, 0xe0, v120
	s_mov_b32 s16, 14
	v_mov_b32_e32 v118, 13
.LBB52_274:                             ; =>This Inner Loop Header: Depth=1
	ds_read2_b64 v[124:127], v119 offset1:1
	s_waitcnt lgkmcnt(1)
	v_xor_b32_e32 v129, 0x80000000, v109
	v_xor_b32_e32 v131, 0x80000000, v111
	v_cmp_gt_f64_e32 vcc, 0, v[110:111]
	v_cmp_gt_f64_e64 s[0:1], 0, v[108:109]
	v_mov_b32_e32 v128, v108
	v_mov_b32_e32 v130, v110
	v_cndmask_b32_e64 v129, v109, v129, s[0:1]
	v_cndmask_b32_e32 v131, v111, v131, vcc
	v_add_f64 v[128:129], v[128:129], v[130:131]
	s_waitcnt lgkmcnt(0)
	v_xor_b32_e32 v131, 0x80000000, v125
	v_xor_b32_e32 v133, 0x80000000, v127
	v_cmp_gt_f64_e32 vcc, 0, v[126:127]
	v_cmp_gt_f64_e64 s[0:1], 0, v[124:125]
	v_mov_b32_e32 v130, v124
	v_mov_b32_e32 v132, v126
	v_cndmask_b32_e64 v131, v125, v131, s[0:1]
	v_cndmask_b32_e32 v133, v127, v133, vcc
	v_add_f64 v[130:131], v[130:131], v[132:133]
	v_mov_b32_e32 v134, s16
	s_add_i32 s16, s16, 1
	v_cmp_lt_f64_e32 vcc, v[128:129], v[130:131]
	v_add_u32_e32 v119, 16, v119
	s_cmp_lg_u32 s20, s16
	v_cndmask_b32_e32 v109, v109, v125, vcc
	v_cndmask_b32_e32 v108, v108, v124, vcc
	;; [unrolled: 1-line block ×5, first 2 shown]
	s_cbranch_scc1 .LBB52_274
.LBB52_275:
	s_waitcnt lgkmcnt(0)
	v_cmp_eq_f64_e32 vcc, 0, v[108:109]
	v_cmp_eq_f64_e64 s[0:1], 0, v[110:111]
	s_and_b64 s[0:1], vcc, s[0:1]
	s_and_saveexec_b64 s[16:17], s[0:1]
	s_xor_b64 s[0:1], exec, s[16:17]
; %bb.276:
	v_cmp_ne_u32_e32 vcc, 0, v123
	s_nop 1
	v_cndmask_b32_e32 v123, 14, v123, vcc
; %bb.277:
	s_andn2_saveexec_b64 s[0:1], s[0:1]
	s_cbranch_execz .LBB52_283
; %bb.278:
	v_cmp_ngt_f64_e64 s[16:17], |v[108:109]|, |v[110:111]|
	s_and_saveexec_b64 s[18:19], s[16:17]
	s_xor_b64 s[16:17], exec, s[18:19]
	s_cbranch_execz .LBB52_280
; %bb.279:
	v_div_scale_f64 v[124:125], s[18:19], v[110:111], v[110:111], v[108:109]
	v_rcp_f64_e32 v[126:127], v[124:125]
	v_div_scale_f64 v[128:129], vcc, v[108:109], v[110:111], v[108:109]
	v_fma_f64 v[130:131], -v[124:125], v[126:127], 1.0
	v_fmac_f64_e32 v[126:127], v[126:127], v[130:131]
	v_fma_f64 v[130:131], -v[124:125], v[126:127], 1.0
	v_fmac_f64_e32 v[126:127], v[126:127], v[130:131]
	v_mul_f64 v[130:131], v[128:129], v[126:127]
	v_fma_f64 v[124:125], -v[124:125], v[130:131], v[128:129]
	v_div_fmas_f64 v[124:125], v[124:125], v[126:127], v[130:131]
	v_div_fixup_f64 v[124:125], v[124:125], v[110:111], v[108:109]
	v_fmac_f64_e32 v[110:111], v[108:109], v[124:125]
	v_div_scale_f64 v[108:109], s[18:19], v[110:111], v[110:111], 1.0
	v_rcp_f64_e32 v[126:127], v[108:109]
	s_nop 0
	v_fma_f64 v[128:129], -v[108:109], v[126:127], 1.0
	v_fmac_f64_e32 v[126:127], v[126:127], v[128:129]
	v_fma_f64 v[128:129], -v[108:109], v[126:127], 1.0
	v_fmac_f64_e32 v[126:127], v[126:127], v[128:129]
	v_div_scale_f64 v[128:129], vcc, 1.0, v[110:111], 1.0
	v_mul_f64 v[130:131], v[128:129], v[126:127]
	v_fma_f64 v[108:109], -v[108:109], v[130:131], v[128:129]
	s_nop 1
	v_div_fmas_f64 v[108:109], v[108:109], v[126:127], v[130:131]
	v_div_fixup_f64 v[110:111], v[108:109], v[110:111], 1.0
	v_mul_f64 v[108:109], v[124:125], v[110:111]
	v_xor_b32_e32 v111, 0x80000000, v111
.LBB52_280:
	s_andn2_saveexec_b64 s[16:17], s[16:17]
	s_cbranch_execz .LBB52_282
; %bb.281:
	v_div_scale_f64 v[124:125], s[18:19], v[108:109], v[108:109], v[110:111]
	v_rcp_f64_e32 v[126:127], v[124:125]
	v_div_scale_f64 v[128:129], vcc, v[110:111], v[108:109], v[110:111]
	v_fma_f64 v[130:131], -v[124:125], v[126:127], 1.0
	v_fmac_f64_e32 v[126:127], v[126:127], v[130:131]
	v_fma_f64 v[130:131], -v[124:125], v[126:127], 1.0
	v_fmac_f64_e32 v[126:127], v[126:127], v[130:131]
	v_mul_f64 v[130:131], v[128:129], v[126:127]
	v_fma_f64 v[124:125], -v[124:125], v[130:131], v[128:129]
	v_div_fmas_f64 v[124:125], v[124:125], v[126:127], v[130:131]
	v_div_fixup_f64 v[124:125], v[124:125], v[108:109], v[110:111]
	v_fmac_f64_e32 v[108:109], v[110:111], v[124:125]
	v_div_scale_f64 v[110:111], s[18:19], v[108:109], v[108:109], 1.0
	v_rcp_f64_e32 v[126:127], v[110:111]
	s_nop 0
	v_fma_f64 v[128:129], -v[110:111], v[126:127], 1.0
	v_fmac_f64_e32 v[126:127], v[126:127], v[128:129]
	v_fma_f64 v[128:129], -v[110:111], v[126:127], 1.0
	v_fmac_f64_e32 v[126:127], v[126:127], v[128:129]
	v_div_scale_f64 v[128:129], vcc, 1.0, v[108:109], 1.0
	v_mul_f64 v[130:131], v[128:129], v[126:127]
	v_fma_f64 v[110:111], -v[110:111], v[130:131], v[128:129]
	s_nop 1
	v_div_fmas_f64 v[110:111], v[110:111], v[126:127], v[130:131]
	v_div_fixup_f64 v[108:109], v[110:111], v[108:109], 1.0
	v_mul_f64 v[110:111], v[124:125], -v[108:109]
.LBB52_282:
	s_or_b64 exec, exec, s[16:17]
.LBB52_283:
	s_or_b64 exec, exec, s[0:1]
	v_cmp_ne_u32_e32 vcc, v121, v118
	s_and_saveexec_b64 s[0:1], vcc
	s_xor_b64 s[0:1], exec, s[0:1]
	s_cbranch_execz .LBB52_289
; %bb.284:
	v_cmp_eq_u32_e32 vcc, 13, v121
	s_and_saveexec_b64 s[16:17], vcc
	s_cbranch_execz .LBB52_288
; %bb.285:
	v_cmp_ne_u32_e32 vcc, 13, v118
	s_xor_b64 s[18:19], s[14:15], -1
	s_and_b64 s[22:23], s[18:19], vcc
	s_and_saveexec_b64 s[18:19], s[22:23]
	s_cbranch_execz .LBB52_287
; %bb.286:
	v_ashrrev_i32_e32 v119, 31, v118
	v_lshl_add_u64 v[124:125], v[118:119], 2, v[116:117]
	global_load_dword v119, v[124:125], off
	global_load_dword v121, v[116:117], off offset:52
	s_waitcnt vmcnt(1)
	global_store_dword v[116:117], v119, off offset:52
	s_waitcnt vmcnt(1)
	global_store_dword v[124:125], v121, off
.LBB52_287:
	s_or_b64 exec, exec, s[18:19]
	v_mov_b32_e32 v121, v118
	v_mov_b32_e32 v122, v118
.LBB52_288:
	s_or_b64 exec, exec, s[16:17]
.LBB52_289:
	s_andn2_saveexec_b64 s[0:1], s[0:1]
	s_cbranch_execz .LBB52_291
; %bb.290:
	v_mov_b32_e32 v121, 13
	s_waitcnt vmcnt(12)
	ds_write2_b64 v120, v[44:45], v[46:47] offset0:28 offset1:29
	s_waitcnt vmcnt(11)
	ds_write2_b64 v120, v[40:41], v[42:43] offset0:30 offset1:31
	;; [unrolled: 2-line block ×13, first 2 shown]
.LBB52_291:
	s_or_b64 exec, exec, s[0:1]
	v_cmp_lt_i32_e32 vcc, 13, v121
	s_waitcnt lgkmcnt(0)
	s_barrier
	s_and_saveexec_b64 s[0:1], vcc
	s_cbranch_execz .LBB52_293
; %bb.292:
	ds_read2_b64 v[124:127], v120 offset0:28 offset1:29
	v_mul_f64 v[118:119], v[108:109], v[50:51]
	v_fmac_f64_e32 v[118:119], v[110:111], v[48:49]
	v_mul_f64 v[50:51], v[110:111], v[50:51]
	v_fma_f64 v[48:49], v[108:109], v[48:49], -v[50:51]
	ds_read2_b64 v[108:111], v120 offset0:30 offset1:31
	s_waitcnt lgkmcnt(1)
	v_mul_f64 v[50:51], v[126:127], v[118:119]
	v_fma_f64 v[50:51], v[124:125], v[48:49], -v[50:51]
	v_mul_f64 v[124:125], v[124:125], v[118:119]
	v_fmac_f64_e32 v[124:125], v[126:127], v[48:49]
	s_waitcnt vmcnt(12)
	v_add_f64 v[46:47], v[46:47], -v[124:125]
	ds_read2_b64 v[124:127], v120 offset0:32 offset1:33
	v_add_f64 v[44:45], v[44:45], -v[50:51]
	s_waitcnt lgkmcnt(1)
	v_mul_f64 v[50:51], v[110:111], v[118:119]
	v_fma_f64 v[50:51], v[108:109], v[48:49], -v[50:51]
	v_mul_f64 v[108:109], v[108:109], v[118:119]
	v_fmac_f64_e32 v[108:109], v[110:111], v[48:49]
	s_waitcnt vmcnt(11)
	v_add_f64 v[40:41], v[40:41], -v[50:51]
	v_add_f64 v[42:43], v[42:43], -v[108:109]
	ds_read2_b64 v[108:111], v120 offset0:34 offset1:35
	s_waitcnt lgkmcnt(1)
	v_mul_f64 v[50:51], v[126:127], v[118:119]
	v_fma_f64 v[50:51], v[124:125], v[48:49], -v[50:51]
	v_mul_f64 v[124:125], v[124:125], v[118:119]
	v_fmac_f64_e32 v[124:125], v[126:127], v[48:49]
	s_waitcnt vmcnt(10)
	v_add_f64 v[34:35], v[34:35], -v[124:125]
	ds_read2_b64 v[124:127], v120 offset0:36 offset1:37
	v_add_f64 v[32:33], v[32:33], -v[50:51]
	s_waitcnt lgkmcnt(1)
	v_mul_f64 v[50:51], v[110:111], v[118:119]
	v_fma_f64 v[50:51], v[108:109], v[48:49], -v[50:51]
	v_mul_f64 v[108:109], v[108:109], v[118:119]
	v_fmac_f64_e32 v[108:109], v[110:111], v[48:49]
	s_waitcnt vmcnt(9)
	v_add_f64 v[36:37], v[36:37], -v[50:51]
	v_add_f64 v[38:39], v[38:39], -v[108:109]
	;; [unrolled: 18-line block ×6, first 2 shown]
	s_waitcnt lgkmcnt(0)
	v_mul_f64 v[50:51], v[126:127], v[118:119]
	v_mul_f64 v[108:109], v[124:125], v[118:119]
	v_fma_f64 v[50:51], v[124:125], v[48:49], -v[50:51]
	v_fmac_f64_e32 v[108:109], v[126:127], v[48:49]
	s_waitcnt vmcnt(0)
	v_add_f64 v[104:105], v[104:105], -v[50:51]
	v_add_f64 v[106:107], v[106:107], -v[108:109]
	v_mov_b64_e32 v[50:51], v[118:119]
.LBB52_293:
	s_or_b64 exec, exec, s[0:1]
	v_lshl_add_u32 v108, v121, 4, v120
	s_barrier
	s_waitcnt vmcnt(12)
	ds_write2_b64 v108, v[44:45], v[46:47] offset1:1
	s_waitcnt lgkmcnt(0)
	s_barrier
	ds_read2_b64 v[108:111], v120 offset0:28 offset1:29
	s_cmp_lt_i32 s20, 16
	v_mov_b32_e32 v118, 14
	s_cbranch_scc1 .LBB52_296
; %bb.294:
	v_add_u32_e32 v119, 0xf0, v120
	s_mov_b32 s16, 15
	v_mov_b32_e32 v118, 14
.LBB52_295:                             ; =>This Inner Loop Header: Depth=1
	ds_read2_b64 v[124:127], v119 offset1:1
	s_waitcnt lgkmcnt(1)
	v_xor_b32_e32 v129, 0x80000000, v109
	v_xor_b32_e32 v131, 0x80000000, v111
	v_cmp_gt_f64_e32 vcc, 0, v[110:111]
	v_cmp_gt_f64_e64 s[0:1], 0, v[108:109]
	v_mov_b32_e32 v128, v108
	v_mov_b32_e32 v130, v110
	v_cndmask_b32_e64 v129, v109, v129, s[0:1]
	v_cndmask_b32_e32 v131, v111, v131, vcc
	v_add_f64 v[128:129], v[128:129], v[130:131]
	s_waitcnt lgkmcnt(0)
	v_xor_b32_e32 v131, 0x80000000, v125
	v_xor_b32_e32 v133, 0x80000000, v127
	v_cmp_gt_f64_e32 vcc, 0, v[126:127]
	v_cmp_gt_f64_e64 s[0:1], 0, v[124:125]
	v_mov_b32_e32 v130, v124
	v_mov_b32_e32 v132, v126
	v_cndmask_b32_e64 v131, v125, v131, s[0:1]
	v_cndmask_b32_e32 v133, v127, v133, vcc
	v_add_f64 v[130:131], v[130:131], v[132:133]
	v_mov_b32_e32 v134, s16
	s_add_i32 s16, s16, 1
	v_cmp_lt_f64_e32 vcc, v[128:129], v[130:131]
	v_add_u32_e32 v119, 16, v119
	s_cmp_lg_u32 s20, s16
	v_cndmask_b32_e32 v109, v109, v125, vcc
	v_cndmask_b32_e32 v108, v108, v124, vcc
	;; [unrolled: 1-line block ×5, first 2 shown]
	s_cbranch_scc1 .LBB52_295
.LBB52_296:
	s_waitcnt lgkmcnt(0)
	v_cmp_eq_f64_e32 vcc, 0, v[108:109]
	v_cmp_eq_f64_e64 s[0:1], 0, v[110:111]
	s_and_b64 s[0:1], vcc, s[0:1]
	s_and_saveexec_b64 s[16:17], s[0:1]
	s_xor_b64 s[0:1], exec, s[16:17]
; %bb.297:
	v_cmp_ne_u32_e32 vcc, 0, v123
	s_nop 1
	v_cndmask_b32_e32 v123, 15, v123, vcc
; %bb.298:
	s_andn2_saveexec_b64 s[0:1], s[0:1]
	s_cbranch_execz .LBB52_304
; %bb.299:
	v_cmp_ngt_f64_e64 s[16:17], |v[108:109]|, |v[110:111]|
	s_and_saveexec_b64 s[18:19], s[16:17]
	s_xor_b64 s[16:17], exec, s[18:19]
	s_cbranch_execz .LBB52_301
; %bb.300:
	v_div_scale_f64 v[124:125], s[18:19], v[110:111], v[110:111], v[108:109]
	v_rcp_f64_e32 v[126:127], v[124:125]
	v_div_scale_f64 v[128:129], vcc, v[108:109], v[110:111], v[108:109]
	v_fma_f64 v[130:131], -v[124:125], v[126:127], 1.0
	v_fmac_f64_e32 v[126:127], v[126:127], v[130:131]
	v_fma_f64 v[130:131], -v[124:125], v[126:127], 1.0
	v_fmac_f64_e32 v[126:127], v[126:127], v[130:131]
	v_mul_f64 v[130:131], v[128:129], v[126:127]
	v_fma_f64 v[124:125], -v[124:125], v[130:131], v[128:129]
	v_div_fmas_f64 v[124:125], v[124:125], v[126:127], v[130:131]
	v_div_fixup_f64 v[124:125], v[124:125], v[110:111], v[108:109]
	v_fmac_f64_e32 v[110:111], v[108:109], v[124:125]
	v_div_scale_f64 v[108:109], s[18:19], v[110:111], v[110:111], 1.0
	v_rcp_f64_e32 v[126:127], v[108:109]
	s_nop 0
	v_fma_f64 v[128:129], -v[108:109], v[126:127], 1.0
	v_fmac_f64_e32 v[126:127], v[126:127], v[128:129]
	v_fma_f64 v[128:129], -v[108:109], v[126:127], 1.0
	v_fmac_f64_e32 v[126:127], v[126:127], v[128:129]
	v_div_scale_f64 v[128:129], vcc, 1.0, v[110:111], 1.0
	v_mul_f64 v[130:131], v[128:129], v[126:127]
	v_fma_f64 v[108:109], -v[108:109], v[130:131], v[128:129]
	s_nop 1
	v_div_fmas_f64 v[108:109], v[108:109], v[126:127], v[130:131]
	v_div_fixup_f64 v[110:111], v[108:109], v[110:111], 1.0
	v_mul_f64 v[108:109], v[124:125], v[110:111]
	v_xor_b32_e32 v111, 0x80000000, v111
.LBB52_301:
	s_andn2_saveexec_b64 s[16:17], s[16:17]
	s_cbranch_execz .LBB52_303
; %bb.302:
	v_div_scale_f64 v[124:125], s[18:19], v[108:109], v[108:109], v[110:111]
	v_rcp_f64_e32 v[126:127], v[124:125]
	v_div_scale_f64 v[128:129], vcc, v[110:111], v[108:109], v[110:111]
	v_fma_f64 v[130:131], -v[124:125], v[126:127], 1.0
	v_fmac_f64_e32 v[126:127], v[126:127], v[130:131]
	v_fma_f64 v[130:131], -v[124:125], v[126:127], 1.0
	v_fmac_f64_e32 v[126:127], v[126:127], v[130:131]
	v_mul_f64 v[130:131], v[128:129], v[126:127]
	v_fma_f64 v[124:125], -v[124:125], v[130:131], v[128:129]
	v_div_fmas_f64 v[124:125], v[124:125], v[126:127], v[130:131]
	v_div_fixup_f64 v[124:125], v[124:125], v[108:109], v[110:111]
	v_fmac_f64_e32 v[108:109], v[110:111], v[124:125]
	v_div_scale_f64 v[110:111], s[18:19], v[108:109], v[108:109], 1.0
	v_rcp_f64_e32 v[126:127], v[110:111]
	s_nop 0
	v_fma_f64 v[128:129], -v[110:111], v[126:127], 1.0
	v_fmac_f64_e32 v[126:127], v[126:127], v[128:129]
	v_fma_f64 v[128:129], -v[110:111], v[126:127], 1.0
	v_fmac_f64_e32 v[126:127], v[126:127], v[128:129]
	v_div_scale_f64 v[128:129], vcc, 1.0, v[108:109], 1.0
	v_mul_f64 v[130:131], v[128:129], v[126:127]
	v_fma_f64 v[110:111], -v[110:111], v[130:131], v[128:129]
	s_nop 1
	v_div_fmas_f64 v[110:111], v[110:111], v[126:127], v[130:131]
	v_div_fixup_f64 v[108:109], v[110:111], v[108:109], 1.0
	v_mul_f64 v[110:111], v[124:125], -v[108:109]
.LBB52_303:
	s_or_b64 exec, exec, s[16:17]
.LBB52_304:
	s_or_b64 exec, exec, s[0:1]
	v_cmp_ne_u32_e32 vcc, v121, v118
	s_and_saveexec_b64 s[0:1], vcc
	s_xor_b64 s[0:1], exec, s[0:1]
	s_cbranch_execz .LBB52_310
; %bb.305:
	v_cmp_eq_u32_e32 vcc, 14, v121
	s_and_saveexec_b64 s[16:17], vcc
	s_cbranch_execz .LBB52_309
; %bb.306:
	v_cmp_ne_u32_e32 vcc, 14, v118
	s_xor_b64 s[18:19], s[14:15], -1
	s_and_b64 s[22:23], s[18:19], vcc
	s_and_saveexec_b64 s[18:19], s[22:23]
	s_cbranch_execz .LBB52_308
; %bb.307:
	v_ashrrev_i32_e32 v119, 31, v118
	v_lshl_add_u64 v[124:125], v[118:119], 2, v[116:117]
	global_load_dword v119, v[124:125], off
	global_load_dword v121, v[116:117], off offset:56
	s_waitcnt vmcnt(1)
	global_store_dword v[116:117], v119, off offset:56
	s_waitcnt vmcnt(1)
	global_store_dword v[124:125], v121, off
.LBB52_308:
	s_or_b64 exec, exec, s[18:19]
	v_mov_b32_e32 v121, v118
	v_mov_b32_e32 v122, v118
.LBB52_309:
	s_or_b64 exec, exec, s[16:17]
.LBB52_310:
	s_andn2_saveexec_b64 s[0:1], s[0:1]
	s_cbranch_execz .LBB52_312
; %bb.311:
	v_mov_b32_e32 v121, 14
	s_waitcnt vmcnt(11)
	ds_write2_b64 v120, v[40:41], v[42:43] offset0:30 offset1:31
	s_waitcnt vmcnt(10)
	ds_write2_b64 v120, v[32:33], v[34:35] offset0:32 offset1:33
	;; [unrolled: 2-line block ×12, first 2 shown]
.LBB52_312:
	s_or_b64 exec, exec, s[0:1]
	v_cmp_lt_i32_e32 vcc, 14, v121
	s_waitcnt lgkmcnt(0)
	s_barrier
	s_and_saveexec_b64 s[0:1], vcc
	s_cbranch_execz .LBB52_314
; %bb.313:
	ds_read2_b64 v[124:127], v120 offset0:30 offset1:31
	v_mul_f64 v[118:119], v[108:109], v[46:47]
	v_mul_f64 v[46:47], v[110:111], v[46:47]
	v_fmac_f64_e32 v[118:119], v[110:111], v[44:45]
	v_fma_f64 v[44:45], v[108:109], v[44:45], -v[46:47]
	ds_read2_b64 v[108:111], v120 offset0:32 offset1:33
	s_waitcnt lgkmcnt(1)
	v_mul_f64 v[46:47], v[126:127], v[118:119]
	v_fma_f64 v[46:47], v[124:125], v[44:45], -v[46:47]
	v_mul_f64 v[124:125], v[124:125], v[118:119]
	v_fmac_f64_e32 v[124:125], v[126:127], v[44:45]
	s_waitcnt vmcnt(11)
	v_add_f64 v[40:41], v[40:41], -v[46:47]
	s_waitcnt lgkmcnt(0)
	v_mul_f64 v[46:47], v[110:111], v[118:119]
	v_add_f64 v[42:43], v[42:43], -v[124:125]
	v_fma_f64 v[46:47], v[108:109], v[44:45], -v[46:47]
	v_mul_f64 v[108:109], v[108:109], v[118:119]
	ds_read2_b64 v[124:127], v120 offset0:34 offset1:35
	v_fmac_f64_e32 v[108:109], v[110:111], v[44:45]
	s_waitcnt vmcnt(10)
	v_add_f64 v[34:35], v[34:35], -v[108:109]
	ds_read2_b64 v[108:111], v120 offset0:36 offset1:37
	v_add_f64 v[32:33], v[32:33], -v[46:47]
	s_waitcnt lgkmcnt(1)
	v_mul_f64 v[46:47], v[126:127], v[118:119]
	v_fma_f64 v[46:47], v[124:125], v[44:45], -v[46:47]
	v_mul_f64 v[124:125], v[124:125], v[118:119]
	v_fmac_f64_e32 v[124:125], v[126:127], v[44:45]
	s_waitcnt vmcnt(9)
	v_add_f64 v[36:37], v[36:37], -v[46:47]
	s_waitcnt lgkmcnt(0)
	v_mul_f64 v[46:47], v[110:111], v[118:119]
	v_add_f64 v[38:39], v[38:39], -v[124:125]
	v_fma_f64 v[46:47], v[108:109], v[44:45], -v[46:47]
	v_mul_f64 v[108:109], v[108:109], v[118:119]
	ds_read2_b64 v[124:127], v120 offset0:38 offset1:39
	v_fmac_f64_e32 v[108:109], v[110:111], v[44:45]
	s_waitcnt vmcnt(8)
	v_add_f64 v[30:31], v[30:31], -v[108:109]
	ds_read2_b64 v[108:111], v120 offset0:40 offset1:41
	v_add_f64 v[28:29], v[28:29], -v[46:47]
	;; [unrolled: 18-line block ×5, first 2 shown]
	s_waitcnt lgkmcnt(1)
	v_mul_f64 v[46:47], v[126:127], v[118:119]
	v_fma_f64 v[46:47], v[124:125], v[44:45], -v[46:47]
	s_waitcnt vmcnt(1)
	v_add_f64 v[0:1], v[0:1], -v[46:47]
	s_waitcnt lgkmcnt(0)
	v_mul_f64 v[46:47], v[110:111], v[118:119]
	v_mul_f64 v[124:125], v[124:125], v[118:119]
	v_fma_f64 v[46:47], v[108:109], v[44:45], -v[46:47]
	v_mul_f64 v[108:109], v[108:109], v[118:119]
	v_fmac_f64_e32 v[124:125], v[126:127], v[44:45]
	v_fmac_f64_e32 v[108:109], v[110:111], v[44:45]
	v_add_f64 v[2:3], v[2:3], -v[124:125]
	s_waitcnt vmcnt(0)
	v_add_f64 v[104:105], v[104:105], -v[46:47]
	v_add_f64 v[106:107], v[106:107], -v[108:109]
	v_mov_b64_e32 v[46:47], v[118:119]
.LBB52_314:
	s_or_b64 exec, exec, s[0:1]
	v_lshl_add_u32 v108, v121, 4, v120
	s_barrier
	s_waitcnt vmcnt(11)
	ds_write2_b64 v108, v[40:41], v[42:43] offset1:1
	s_waitcnt lgkmcnt(0)
	s_barrier
	ds_read2_b64 v[108:111], v120 offset0:30 offset1:31
	s_cmp_lt_i32 s20, 17
	v_mov_b32_e32 v118, 15
	s_cbranch_scc1 .LBB52_317
; %bb.315:
	v_add_u32_e32 v119, 0x100, v120
	s_mov_b32 s16, 16
	v_mov_b32_e32 v118, 15
.LBB52_316:                             ; =>This Inner Loop Header: Depth=1
	ds_read2_b64 v[124:127], v119 offset1:1
	s_waitcnt lgkmcnt(1)
	v_xor_b32_e32 v129, 0x80000000, v109
	v_xor_b32_e32 v131, 0x80000000, v111
	v_cmp_gt_f64_e32 vcc, 0, v[110:111]
	v_cmp_gt_f64_e64 s[0:1], 0, v[108:109]
	v_mov_b32_e32 v128, v108
	v_mov_b32_e32 v130, v110
	v_cndmask_b32_e64 v129, v109, v129, s[0:1]
	v_cndmask_b32_e32 v131, v111, v131, vcc
	v_add_f64 v[128:129], v[128:129], v[130:131]
	s_waitcnt lgkmcnt(0)
	v_xor_b32_e32 v131, 0x80000000, v125
	v_xor_b32_e32 v133, 0x80000000, v127
	v_cmp_gt_f64_e32 vcc, 0, v[126:127]
	v_cmp_gt_f64_e64 s[0:1], 0, v[124:125]
	v_mov_b32_e32 v130, v124
	v_mov_b32_e32 v132, v126
	v_cndmask_b32_e64 v131, v125, v131, s[0:1]
	v_cndmask_b32_e32 v133, v127, v133, vcc
	v_add_f64 v[130:131], v[130:131], v[132:133]
	v_mov_b32_e32 v134, s16
	s_add_i32 s16, s16, 1
	v_cmp_lt_f64_e32 vcc, v[128:129], v[130:131]
	v_add_u32_e32 v119, 16, v119
	s_cmp_lg_u32 s20, s16
	v_cndmask_b32_e32 v109, v109, v125, vcc
	v_cndmask_b32_e32 v108, v108, v124, vcc
	;; [unrolled: 1-line block ×5, first 2 shown]
	s_cbranch_scc1 .LBB52_316
.LBB52_317:
	s_waitcnt lgkmcnt(0)
	v_cmp_eq_f64_e32 vcc, 0, v[108:109]
	v_cmp_eq_f64_e64 s[0:1], 0, v[110:111]
	s_and_b64 s[0:1], vcc, s[0:1]
	s_and_saveexec_b64 s[16:17], s[0:1]
	s_xor_b64 s[0:1], exec, s[16:17]
; %bb.318:
	v_cmp_ne_u32_e32 vcc, 0, v123
	s_nop 1
	v_cndmask_b32_e32 v123, 16, v123, vcc
; %bb.319:
	s_andn2_saveexec_b64 s[0:1], s[0:1]
	s_cbranch_execz .LBB52_325
; %bb.320:
	v_cmp_ngt_f64_e64 s[16:17], |v[108:109]|, |v[110:111]|
	s_and_saveexec_b64 s[18:19], s[16:17]
	s_xor_b64 s[16:17], exec, s[18:19]
	s_cbranch_execz .LBB52_322
; %bb.321:
	v_div_scale_f64 v[124:125], s[18:19], v[110:111], v[110:111], v[108:109]
	v_rcp_f64_e32 v[126:127], v[124:125]
	v_div_scale_f64 v[128:129], vcc, v[108:109], v[110:111], v[108:109]
	v_fma_f64 v[130:131], -v[124:125], v[126:127], 1.0
	v_fmac_f64_e32 v[126:127], v[126:127], v[130:131]
	v_fma_f64 v[130:131], -v[124:125], v[126:127], 1.0
	v_fmac_f64_e32 v[126:127], v[126:127], v[130:131]
	v_mul_f64 v[130:131], v[128:129], v[126:127]
	v_fma_f64 v[124:125], -v[124:125], v[130:131], v[128:129]
	v_div_fmas_f64 v[124:125], v[124:125], v[126:127], v[130:131]
	v_div_fixup_f64 v[124:125], v[124:125], v[110:111], v[108:109]
	v_fmac_f64_e32 v[110:111], v[108:109], v[124:125]
	v_div_scale_f64 v[108:109], s[18:19], v[110:111], v[110:111], 1.0
	v_rcp_f64_e32 v[126:127], v[108:109]
	s_nop 0
	v_fma_f64 v[128:129], -v[108:109], v[126:127], 1.0
	v_fmac_f64_e32 v[126:127], v[126:127], v[128:129]
	v_fma_f64 v[128:129], -v[108:109], v[126:127], 1.0
	v_fmac_f64_e32 v[126:127], v[126:127], v[128:129]
	v_div_scale_f64 v[128:129], vcc, 1.0, v[110:111], 1.0
	v_mul_f64 v[130:131], v[128:129], v[126:127]
	v_fma_f64 v[108:109], -v[108:109], v[130:131], v[128:129]
	s_nop 1
	v_div_fmas_f64 v[108:109], v[108:109], v[126:127], v[130:131]
	v_div_fixup_f64 v[110:111], v[108:109], v[110:111], 1.0
	v_mul_f64 v[108:109], v[124:125], v[110:111]
	v_xor_b32_e32 v111, 0x80000000, v111
.LBB52_322:
	s_andn2_saveexec_b64 s[16:17], s[16:17]
	s_cbranch_execz .LBB52_324
; %bb.323:
	v_div_scale_f64 v[124:125], s[18:19], v[108:109], v[108:109], v[110:111]
	v_rcp_f64_e32 v[126:127], v[124:125]
	v_div_scale_f64 v[128:129], vcc, v[110:111], v[108:109], v[110:111]
	v_fma_f64 v[130:131], -v[124:125], v[126:127], 1.0
	v_fmac_f64_e32 v[126:127], v[126:127], v[130:131]
	v_fma_f64 v[130:131], -v[124:125], v[126:127], 1.0
	v_fmac_f64_e32 v[126:127], v[126:127], v[130:131]
	v_mul_f64 v[130:131], v[128:129], v[126:127]
	v_fma_f64 v[124:125], -v[124:125], v[130:131], v[128:129]
	v_div_fmas_f64 v[124:125], v[124:125], v[126:127], v[130:131]
	v_div_fixup_f64 v[124:125], v[124:125], v[108:109], v[110:111]
	v_fmac_f64_e32 v[108:109], v[110:111], v[124:125]
	v_div_scale_f64 v[110:111], s[18:19], v[108:109], v[108:109], 1.0
	v_rcp_f64_e32 v[126:127], v[110:111]
	s_nop 0
	v_fma_f64 v[128:129], -v[110:111], v[126:127], 1.0
	v_fmac_f64_e32 v[126:127], v[126:127], v[128:129]
	v_fma_f64 v[128:129], -v[110:111], v[126:127], 1.0
	v_fmac_f64_e32 v[126:127], v[126:127], v[128:129]
	v_div_scale_f64 v[128:129], vcc, 1.0, v[108:109], 1.0
	v_mul_f64 v[130:131], v[128:129], v[126:127]
	v_fma_f64 v[110:111], -v[110:111], v[130:131], v[128:129]
	s_nop 1
	v_div_fmas_f64 v[110:111], v[110:111], v[126:127], v[130:131]
	v_div_fixup_f64 v[108:109], v[110:111], v[108:109], 1.0
	v_mul_f64 v[110:111], v[124:125], -v[108:109]
.LBB52_324:
	s_or_b64 exec, exec, s[16:17]
.LBB52_325:
	s_or_b64 exec, exec, s[0:1]
	v_cmp_ne_u32_e32 vcc, v121, v118
	s_and_saveexec_b64 s[0:1], vcc
	s_xor_b64 s[0:1], exec, s[0:1]
	s_cbranch_execz .LBB52_331
; %bb.326:
	v_cmp_eq_u32_e32 vcc, 15, v121
	s_and_saveexec_b64 s[16:17], vcc
	s_cbranch_execz .LBB52_330
; %bb.327:
	v_cmp_ne_u32_e32 vcc, 15, v118
	s_xor_b64 s[18:19], s[14:15], -1
	s_and_b64 s[22:23], s[18:19], vcc
	s_and_saveexec_b64 s[18:19], s[22:23]
	s_cbranch_execz .LBB52_329
; %bb.328:
	v_ashrrev_i32_e32 v119, 31, v118
	v_lshl_add_u64 v[124:125], v[118:119], 2, v[116:117]
	global_load_dword v119, v[124:125], off
	global_load_dword v121, v[116:117], off offset:60
	s_waitcnt vmcnt(1)
	global_store_dword v[116:117], v119, off offset:60
	s_waitcnt vmcnt(1)
	global_store_dword v[124:125], v121, off
.LBB52_329:
	s_or_b64 exec, exec, s[18:19]
	v_mov_b32_e32 v121, v118
	v_mov_b32_e32 v122, v118
.LBB52_330:
	s_or_b64 exec, exec, s[16:17]
.LBB52_331:
	s_andn2_saveexec_b64 s[0:1], s[0:1]
	s_cbranch_execz .LBB52_333
; %bb.332:
	v_mov_b32_e32 v121, 15
	s_waitcnt vmcnt(10)
	ds_write2_b64 v120, v[32:33], v[34:35] offset0:32 offset1:33
	s_waitcnt vmcnt(9)
	ds_write2_b64 v120, v[36:37], v[38:39] offset0:34 offset1:35
	;; [unrolled: 2-line block ×11, first 2 shown]
.LBB52_333:
	s_or_b64 exec, exec, s[0:1]
	v_cmp_lt_i32_e32 vcc, 15, v121
	s_waitcnt lgkmcnt(0)
	s_barrier
	s_and_saveexec_b64 s[0:1], vcc
	s_cbranch_execz .LBB52_335
; %bb.334:
	ds_read2_b64 v[124:127], v120 offset0:32 offset1:33
	v_mul_f64 v[118:119], v[108:109], v[42:43]
	v_fmac_f64_e32 v[118:119], v[110:111], v[40:41]
	v_mul_f64 v[42:43], v[110:111], v[42:43]
	v_fma_f64 v[40:41], v[108:109], v[40:41], -v[42:43]
	ds_read2_b64 v[108:111], v120 offset0:34 offset1:35
	s_waitcnt lgkmcnt(1)
	v_mul_f64 v[42:43], v[126:127], v[118:119]
	v_fma_f64 v[42:43], v[124:125], v[40:41], -v[42:43]
	v_mul_f64 v[124:125], v[124:125], v[118:119]
	v_fmac_f64_e32 v[124:125], v[126:127], v[40:41]
	s_waitcnt vmcnt(10)
	v_add_f64 v[34:35], v[34:35], -v[124:125]
	ds_read2_b64 v[124:127], v120 offset0:36 offset1:37
	v_add_f64 v[32:33], v[32:33], -v[42:43]
	s_waitcnt lgkmcnt(1)
	v_mul_f64 v[42:43], v[110:111], v[118:119]
	v_fma_f64 v[42:43], v[108:109], v[40:41], -v[42:43]
	v_mul_f64 v[108:109], v[108:109], v[118:119]
	v_fmac_f64_e32 v[108:109], v[110:111], v[40:41]
	s_waitcnt vmcnt(9)
	v_add_f64 v[36:37], v[36:37], -v[42:43]
	v_add_f64 v[38:39], v[38:39], -v[108:109]
	ds_read2_b64 v[108:111], v120 offset0:38 offset1:39
	s_waitcnt lgkmcnt(1)
	v_mul_f64 v[42:43], v[126:127], v[118:119]
	v_fma_f64 v[42:43], v[124:125], v[40:41], -v[42:43]
	v_mul_f64 v[124:125], v[124:125], v[118:119]
	v_fmac_f64_e32 v[124:125], v[126:127], v[40:41]
	s_waitcnt vmcnt(8)
	v_add_f64 v[30:31], v[30:31], -v[124:125]
	ds_read2_b64 v[124:127], v120 offset0:40 offset1:41
	v_add_f64 v[28:29], v[28:29], -v[42:43]
	s_waitcnt lgkmcnt(1)
	v_mul_f64 v[42:43], v[110:111], v[118:119]
	v_fma_f64 v[42:43], v[108:109], v[40:41], -v[42:43]
	v_mul_f64 v[108:109], v[108:109], v[118:119]
	v_fmac_f64_e32 v[108:109], v[110:111], v[40:41]
	s_waitcnt vmcnt(7)
	v_add_f64 v[24:25], v[24:25], -v[42:43]
	v_add_f64 v[26:27], v[26:27], -v[108:109]
	;; [unrolled: 18-line block ×5, first 2 shown]
	s_waitcnt lgkmcnt(0)
	v_mul_f64 v[42:43], v[126:127], v[118:119]
	v_mul_f64 v[108:109], v[124:125], v[118:119]
	v_fma_f64 v[42:43], v[124:125], v[40:41], -v[42:43]
	v_fmac_f64_e32 v[108:109], v[126:127], v[40:41]
	s_waitcnt vmcnt(0)
	v_add_f64 v[104:105], v[104:105], -v[42:43]
	v_add_f64 v[106:107], v[106:107], -v[108:109]
	v_mov_b64_e32 v[42:43], v[118:119]
.LBB52_335:
	s_or_b64 exec, exec, s[0:1]
	v_lshl_add_u32 v108, v121, 4, v120
	s_barrier
	s_waitcnt vmcnt(10)
	ds_write2_b64 v108, v[32:33], v[34:35] offset1:1
	s_waitcnt lgkmcnt(0)
	s_barrier
	ds_read2_b64 v[108:111], v120 offset0:32 offset1:33
	s_cmp_lt_i32 s20, 18
	v_mov_b32_e32 v118, 16
	s_cbranch_scc1 .LBB52_338
; %bb.336:
	v_add_u32_e32 v119, 0x110, v120
	s_mov_b32 s16, 17
	v_mov_b32_e32 v118, 16
.LBB52_337:                             ; =>This Inner Loop Header: Depth=1
	ds_read2_b64 v[124:127], v119 offset1:1
	s_waitcnt lgkmcnt(1)
	v_xor_b32_e32 v129, 0x80000000, v109
	v_xor_b32_e32 v131, 0x80000000, v111
	v_cmp_gt_f64_e32 vcc, 0, v[110:111]
	v_cmp_gt_f64_e64 s[0:1], 0, v[108:109]
	v_mov_b32_e32 v128, v108
	v_mov_b32_e32 v130, v110
	v_cndmask_b32_e64 v129, v109, v129, s[0:1]
	v_cndmask_b32_e32 v131, v111, v131, vcc
	v_add_f64 v[128:129], v[128:129], v[130:131]
	s_waitcnt lgkmcnt(0)
	v_xor_b32_e32 v131, 0x80000000, v125
	v_xor_b32_e32 v133, 0x80000000, v127
	v_cmp_gt_f64_e32 vcc, 0, v[126:127]
	v_cmp_gt_f64_e64 s[0:1], 0, v[124:125]
	v_mov_b32_e32 v130, v124
	v_mov_b32_e32 v132, v126
	v_cndmask_b32_e64 v131, v125, v131, s[0:1]
	v_cndmask_b32_e32 v133, v127, v133, vcc
	v_add_f64 v[130:131], v[130:131], v[132:133]
	v_mov_b32_e32 v134, s16
	s_add_i32 s16, s16, 1
	v_cmp_lt_f64_e32 vcc, v[128:129], v[130:131]
	v_add_u32_e32 v119, 16, v119
	s_cmp_lg_u32 s20, s16
	v_cndmask_b32_e32 v109, v109, v125, vcc
	v_cndmask_b32_e32 v108, v108, v124, vcc
	;; [unrolled: 1-line block ×5, first 2 shown]
	s_cbranch_scc1 .LBB52_337
.LBB52_338:
	s_waitcnt lgkmcnt(0)
	v_cmp_eq_f64_e32 vcc, 0, v[108:109]
	v_cmp_eq_f64_e64 s[0:1], 0, v[110:111]
	s_and_b64 s[0:1], vcc, s[0:1]
	s_and_saveexec_b64 s[16:17], s[0:1]
	s_xor_b64 s[0:1], exec, s[16:17]
; %bb.339:
	v_cmp_ne_u32_e32 vcc, 0, v123
	s_nop 1
	v_cndmask_b32_e32 v123, 17, v123, vcc
; %bb.340:
	s_andn2_saveexec_b64 s[0:1], s[0:1]
	s_cbranch_execz .LBB52_346
; %bb.341:
	v_cmp_ngt_f64_e64 s[16:17], |v[108:109]|, |v[110:111]|
	s_and_saveexec_b64 s[18:19], s[16:17]
	s_xor_b64 s[16:17], exec, s[18:19]
	s_cbranch_execz .LBB52_343
; %bb.342:
	v_div_scale_f64 v[124:125], s[18:19], v[110:111], v[110:111], v[108:109]
	v_rcp_f64_e32 v[126:127], v[124:125]
	v_div_scale_f64 v[128:129], vcc, v[108:109], v[110:111], v[108:109]
	v_fma_f64 v[130:131], -v[124:125], v[126:127], 1.0
	v_fmac_f64_e32 v[126:127], v[126:127], v[130:131]
	v_fma_f64 v[130:131], -v[124:125], v[126:127], 1.0
	v_fmac_f64_e32 v[126:127], v[126:127], v[130:131]
	v_mul_f64 v[130:131], v[128:129], v[126:127]
	v_fma_f64 v[124:125], -v[124:125], v[130:131], v[128:129]
	v_div_fmas_f64 v[124:125], v[124:125], v[126:127], v[130:131]
	v_div_fixup_f64 v[124:125], v[124:125], v[110:111], v[108:109]
	v_fmac_f64_e32 v[110:111], v[108:109], v[124:125]
	v_div_scale_f64 v[108:109], s[18:19], v[110:111], v[110:111], 1.0
	v_rcp_f64_e32 v[126:127], v[108:109]
	s_nop 0
	v_fma_f64 v[128:129], -v[108:109], v[126:127], 1.0
	v_fmac_f64_e32 v[126:127], v[126:127], v[128:129]
	v_fma_f64 v[128:129], -v[108:109], v[126:127], 1.0
	v_fmac_f64_e32 v[126:127], v[126:127], v[128:129]
	v_div_scale_f64 v[128:129], vcc, 1.0, v[110:111], 1.0
	v_mul_f64 v[130:131], v[128:129], v[126:127]
	v_fma_f64 v[108:109], -v[108:109], v[130:131], v[128:129]
	s_nop 1
	v_div_fmas_f64 v[108:109], v[108:109], v[126:127], v[130:131]
	v_div_fixup_f64 v[110:111], v[108:109], v[110:111], 1.0
	v_mul_f64 v[108:109], v[124:125], v[110:111]
	v_xor_b32_e32 v111, 0x80000000, v111
.LBB52_343:
	s_andn2_saveexec_b64 s[16:17], s[16:17]
	s_cbranch_execz .LBB52_345
; %bb.344:
	v_div_scale_f64 v[124:125], s[18:19], v[108:109], v[108:109], v[110:111]
	v_rcp_f64_e32 v[126:127], v[124:125]
	v_div_scale_f64 v[128:129], vcc, v[110:111], v[108:109], v[110:111]
	v_fma_f64 v[130:131], -v[124:125], v[126:127], 1.0
	v_fmac_f64_e32 v[126:127], v[126:127], v[130:131]
	v_fma_f64 v[130:131], -v[124:125], v[126:127], 1.0
	v_fmac_f64_e32 v[126:127], v[126:127], v[130:131]
	v_mul_f64 v[130:131], v[128:129], v[126:127]
	v_fma_f64 v[124:125], -v[124:125], v[130:131], v[128:129]
	v_div_fmas_f64 v[124:125], v[124:125], v[126:127], v[130:131]
	v_div_fixup_f64 v[124:125], v[124:125], v[108:109], v[110:111]
	v_fmac_f64_e32 v[108:109], v[110:111], v[124:125]
	v_div_scale_f64 v[110:111], s[18:19], v[108:109], v[108:109], 1.0
	v_rcp_f64_e32 v[126:127], v[110:111]
	s_nop 0
	v_fma_f64 v[128:129], -v[110:111], v[126:127], 1.0
	v_fmac_f64_e32 v[126:127], v[126:127], v[128:129]
	v_fma_f64 v[128:129], -v[110:111], v[126:127], 1.0
	v_fmac_f64_e32 v[126:127], v[126:127], v[128:129]
	v_div_scale_f64 v[128:129], vcc, 1.0, v[108:109], 1.0
	v_mul_f64 v[130:131], v[128:129], v[126:127]
	v_fma_f64 v[110:111], -v[110:111], v[130:131], v[128:129]
	s_nop 1
	v_div_fmas_f64 v[110:111], v[110:111], v[126:127], v[130:131]
	v_div_fixup_f64 v[108:109], v[110:111], v[108:109], 1.0
	v_mul_f64 v[110:111], v[124:125], -v[108:109]
.LBB52_345:
	s_or_b64 exec, exec, s[16:17]
.LBB52_346:
	s_or_b64 exec, exec, s[0:1]
	v_cmp_ne_u32_e32 vcc, v121, v118
	s_and_saveexec_b64 s[0:1], vcc
	s_xor_b64 s[0:1], exec, s[0:1]
	s_cbranch_execz .LBB52_352
; %bb.347:
	v_cmp_eq_u32_e32 vcc, 16, v121
	s_and_saveexec_b64 s[16:17], vcc
	s_cbranch_execz .LBB52_351
; %bb.348:
	v_cmp_ne_u32_e32 vcc, 16, v118
	s_xor_b64 s[18:19], s[14:15], -1
	s_and_b64 s[22:23], s[18:19], vcc
	s_and_saveexec_b64 s[18:19], s[22:23]
	s_cbranch_execz .LBB52_350
; %bb.349:
	v_ashrrev_i32_e32 v119, 31, v118
	v_lshl_add_u64 v[124:125], v[118:119], 2, v[116:117]
	global_load_dword v119, v[124:125], off
	global_load_dword v121, v[116:117], off offset:64
	s_waitcnt vmcnt(1)
	global_store_dword v[116:117], v119, off offset:64
	s_waitcnt vmcnt(1)
	global_store_dword v[124:125], v121, off
.LBB52_350:
	s_or_b64 exec, exec, s[18:19]
	v_mov_b32_e32 v121, v118
	v_mov_b32_e32 v122, v118
.LBB52_351:
	s_or_b64 exec, exec, s[16:17]
.LBB52_352:
	s_andn2_saveexec_b64 s[0:1], s[0:1]
	s_cbranch_execz .LBB52_354
; %bb.353:
	v_mov_b32_e32 v121, 16
	s_waitcnt vmcnt(9)
	ds_write2_b64 v120, v[36:37], v[38:39] offset0:34 offset1:35
	s_waitcnt vmcnt(8)
	ds_write2_b64 v120, v[28:29], v[30:31] offset0:36 offset1:37
	;; [unrolled: 2-line block ×10, first 2 shown]
.LBB52_354:
	s_or_b64 exec, exec, s[0:1]
	v_cmp_lt_i32_e32 vcc, 16, v121
	s_waitcnt lgkmcnt(0)
	s_barrier
	s_and_saveexec_b64 s[0:1], vcc
	s_cbranch_execz .LBB52_356
; %bb.355:
	ds_read2_b64 v[124:127], v120 offset0:34 offset1:35
	v_mul_f64 v[118:119], v[108:109], v[34:35]
	v_mul_f64 v[34:35], v[110:111], v[34:35]
	v_fmac_f64_e32 v[118:119], v[110:111], v[32:33]
	v_fma_f64 v[32:33], v[108:109], v[32:33], -v[34:35]
	ds_read2_b64 v[108:111], v120 offset0:36 offset1:37
	s_waitcnt lgkmcnt(1)
	v_mul_f64 v[34:35], v[126:127], v[118:119]
	v_fma_f64 v[34:35], v[124:125], v[32:33], -v[34:35]
	v_mul_f64 v[124:125], v[124:125], v[118:119]
	v_fmac_f64_e32 v[124:125], v[126:127], v[32:33]
	s_waitcnt vmcnt(9)
	v_add_f64 v[36:37], v[36:37], -v[34:35]
	s_waitcnt lgkmcnt(0)
	v_mul_f64 v[34:35], v[110:111], v[118:119]
	v_add_f64 v[38:39], v[38:39], -v[124:125]
	v_fma_f64 v[34:35], v[108:109], v[32:33], -v[34:35]
	v_mul_f64 v[108:109], v[108:109], v[118:119]
	ds_read2_b64 v[124:127], v120 offset0:38 offset1:39
	v_fmac_f64_e32 v[108:109], v[110:111], v[32:33]
	s_waitcnt vmcnt(8)
	v_add_f64 v[30:31], v[30:31], -v[108:109]
	ds_read2_b64 v[108:111], v120 offset0:40 offset1:41
	v_add_f64 v[28:29], v[28:29], -v[34:35]
	s_waitcnt lgkmcnt(1)
	v_mul_f64 v[34:35], v[126:127], v[118:119]
	v_fma_f64 v[34:35], v[124:125], v[32:33], -v[34:35]
	v_mul_f64 v[124:125], v[124:125], v[118:119]
	v_fmac_f64_e32 v[124:125], v[126:127], v[32:33]
	s_waitcnt vmcnt(7)
	v_add_f64 v[24:25], v[24:25], -v[34:35]
	s_waitcnt lgkmcnt(0)
	v_mul_f64 v[34:35], v[110:111], v[118:119]
	v_add_f64 v[26:27], v[26:27], -v[124:125]
	v_fma_f64 v[34:35], v[108:109], v[32:33], -v[34:35]
	v_mul_f64 v[108:109], v[108:109], v[118:119]
	ds_read2_b64 v[124:127], v120 offset0:42 offset1:43
	v_fmac_f64_e32 v[108:109], v[110:111], v[32:33]
	s_waitcnt vmcnt(6)
	v_add_f64 v[22:23], v[22:23], -v[108:109]
	ds_read2_b64 v[108:111], v120 offset0:44 offset1:45
	v_add_f64 v[20:21], v[20:21], -v[34:35]
	;; [unrolled: 18-line block ×4, first 2 shown]
	s_waitcnt lgkmcnt(1)
	v_mul_f64 v[34:35], v[126:127], v[118:119]
	v_fma_f64 v[34:35], v[124:125], v[32:33], -v[34:35]
	s_waitcnt vmcnt(1)
	v_add_f64 v[0:1], v[0:1], -v[34:35]
	s_waitcnt lgkmcnt(0)
	v_mul_f64 v[34:35], v[110:111], v[118:119]
	v_mul_f64 v[124:125], v[124:125], v[118:119]
	v_fma_f64 v[34:35], v[108:109], v[32:33], -v[34:35]
	v_mul_f64 v[108:109], v[108:109], v[118:119]
	v_fmac_f64_e32 v[124:125], v[126:127], v[32:33]
	v_fmac_f64_e32 v[108:109], v[110:111], v[32:33]
	v_add_f64 v[2:3], v[2:3], -v[124:125]
	s_waitcnt vmcnt(0)
	v_add_f64 v[104:105], v[104:105], -v[34:35]
	v_add_f64 v[106:107], v[106:107], -v[108:109]
	v_mov_b64_e32 v[34:35], v[118:119]
.LBB52_356:
	s_or_b64 exec, exec, s[0:1]
	v_lshl_add_u32 v108, v121, 4, v120
	s_barrier
	s_waitcnt vmcnt(9)
	ds_write2_b64 v108, v[36:37], v[38:39] offset1:1
	s_waitcnt lgkmcnt(0)
	s_barrier
	ds_read2_b64 v[108:111], v120 offset0:34 offset1:35
	s_cmp_lt_i32 s20, 19
	v_mov_b32_e32 v118, 17
	s_cbranch_scc1 .LBB52_359
; %bb.357:
	v_add_u32_e32 v119, 0x120, v120
	s_mov_b32 s16, 18
	v_mov_b32_e32 v118, 17
.LBB52_358:                             ; =>This Inner Loop Header: Depth=1
	ds_read2_b64 v[124:127], v119 offset1:1
	s_waitcnt lgkmcnt(1)
	v_xor_b32_e32 v129, 0x80000000, v109
	v_xor_b32_e32 v131, 0x80000000, v111
	v_cmp_gt_f64_e32 vcc, 0, v[110:111]
	v_cmp_gt_f64_e64 s[0:1], 0, v[108:109]
	v_mov_b32_e32 v128, v108
	v_mov_b32_e32 v130, v110
	v_cndmask_b32_e64 v129, v109, v129, s[0:1]
	v_cndmask_b32_e32 v131, v111, v131, vcc
	v_add_f64 v[128:129], v[128:129], v[130:131]
	s_waitcnt lgkmcnt(0)
	v_xor_b32_e32 v131, 0x80000000, v125
	v_xor_b32_e32 v133, 0x80000000, v127
	v_cmp_gt_f64_e32 vcc, 0, v[126:127]
	v_cmp_gt_f64_e64 s[0:1], 0, v[124:125]
	v_mov_b32_e32 v130, v124
	v_mov_b32_e32 v132, v126
	v_cndmask_b32_e64 v131, v125, v131, s[0:1]
	v_cndmask_b32_e32 v133, v127, v133, vcc
	v_add_f64 v[130:131], v[130:131], v[132:133]
	v_mov_b32_e32 v134, s16
	s_add_i32 s16, s16, 1
	v_cmp_lt_f64_e32 vcc, v[128:129], v[130:131]
	v_add_u32_e32 v119, 16, v119
	s_cmp_lg_u32 s20, s16
	v_cndmask_b32_e32 v109, v109, v125, vcc
	v_cndmask_b32_e32 v108, v108, v124, vcc
	;; [unrolled: 1-line block ×5, first 2 shown]
	s_cbranch_scc1 .LBB52_358
.LBB52_359:
	s_waitcnt lgkmcnt(0)
	v_cmp_eq_f64_e32 vcc, 0, v[108:109]
	v_cmp_eq_f64_e64 s[0:1], 0, v[110:111]
	s_and_b64 s[0:1], vcc, s[0:1]
	s_and_saveexec_b64 s[16:17], s[0:1]
	s_xor_b64 s[0:1], exec, s[16:17]
; %bb.360:
	v_cmp_ne_u32_e32 vcc, 0, v123
	s_nop 1
	v_cndmask_b32_e32 v123, 18, v123, vcc
; %bb.361:
	s_andn2_saveexec_b64 s[0:1], s[0:1]
	s_cbranch_execz .LBB52_367
; %bb.362:
	v_cmp_ngt_f64_e64 s[16:17], |v[108:109]|, |v[110:111]|
	s_and_saveexec_b64 s[18:19], s[16:17]
	s_xor_b64 s[16:17], exec, s[18:19]
	s_cbranch_execz .LBB52_364
; %bb.363:
	v_div_scale_f64 v[124:125], s[18:19], v[110:111], v[110:111], v[108:109]
	v_rcp_f64_e32 v[126:127], v[124:125]
	v_div_scale_f64 v[128:129], vcc, v[108:109], v[110:111], v[108:109]
	v_fma_f64 v[130:131], -v[124:125], v[126:127], 1.0
	v_fmac_f64_e32 v[126:127], v[126:127], v[130:131]
	v_fma_f64 v[130:131], -v[124:125], v[126:127], 1.0
	v_fmac_f64_e32 v[126:127], v[126:127], v[130:131]
	v_mul_f64 v[130:131], v[128:129], v[126:127]
	v_fma_f64 v[124:125], -v[124:125], v[130:131], v[128:129]
	v_div_fmas_f64 v[124:125], v[124:125], v[126:127], v[130:131]
	v_div_fixup_f64 v[124:125], v[124:125], v[110:111], v[108:109]
	v_fmac_f64_e32 v[110:111], v[108:109], v[124:125]
	v_div_scale_f64 v[108:109], s[18:19], v[110:111], v[110:111], 1.0
	v_rcp_f64_e32 v[126:127], v[108:109]
	s_nop 0
	v_fma_f64 v[128:129], -v[108:109], v[126:127], 1.0
	v_fmac_f64_e32 v[126:127], v[126:127], v[128:129]
	v_fma_f64 v[128:129], -v[108:109], v[126:127], 1.0
	v_fmac_f64_e32 v[126:127], v[126:127], v[128:129]
	v_div_scale_f64 v[128:129], vcc, 1.0, v[110:111], 1.0
	v_mul_f64 v[130:131], v[128:129], v[126:127]
	v_fma_f64 v[108:109], -v[108:109], v[130:131], v[128:129]
	s_nop 1
	v_div_fmas_f64 v[108:109], v[108:109], v[126:127], v[130:131]
	v_div_fixup_f64 v[110:111], v[108:109], v[110:111], 1.0
	v_mul_f64 v[108:109], v[124:125], v[110:111]
	v_xor_b32_e32 v111, 0x80000000, v111
.LBB52_364:
	s_andn2_saveexec_b64 s[16:17], s[16:17]
	s_cbranch_execz .LBB52_366
; %bb.365:
	v_div_scale_f64 v[124:125], s[18:19], v[108:109], v[108:109], v[110:111]
	v_rcp_f64_e32 v[126:127], v[124:125]
	v_div_scale_f64 v[128:129], vcc, v[110:111], v[108:109], v[110:111]
	v_fma_f64 v[130:131], -v[124:125], v[126:127], 1.0
	v_fmac_f64_e32 v[126:127], v[126:127], v[130:131]
	v_fma_f64 v[130:131], -v[124:125], v[126:127], 1.0
	v_fmac_f64_e32 v[126:127], v[126:127], v[130:131]
	v_mul_f64 v[130:131], v[128:129], v[126:127]
	v_fma_f64 v[124:125], -v[124:125], v[130:131], v[128:129]
	v_div_fmas_f64 v[124:125], v[124:125], v[126:127], v[130:131]
	v_div_fixup_f64 v[124:125], v[124:125], v[108:109], v[110:111]
	v_fmac_f64_e32 v[108:109], v[110:111], v[124:125]
	v_div_scale_f64 v[110:111], s[18:19], v[108:109], v[108:109], 1.0
	v_rcp_f64_e32 v[126:127], v[110:111]
	s_nop 0
	v_fma_f64 v[128:129], -v[110:111], v[126:127], 1.0
	v_fmac_f64_e32 v[126:127], v[126:127], v[128:129]
	v_fma_f64 v[128:129], -v[110:111], v[126:127], 1.0
	v_fmac_f64_e32 v[126:127], v[126:127], v[128:129]
	v_div_scale_f64 v[128:129], vcc, 1.0, v[108:109], 1.0
	v_mul_f64 v[130:131], v[128:129], v[126:127]
	v_fma_f64 v[110:111], -v[110:111], v[130:131], v[128:129]
	s_nop 1
	v_div_fmas_f64 v[110:111], v[110:111], v[126:127], v[130:131]
	v_div_fixup_f64 v[108:109], v[110:111], v[108:109], 1.0
	v_mul_f64 v[110:111], v[124:125], -v[108:109]
.LBB52_366:
	s_or_b64 exec, exec, s[16:17]
.LBB52_367:
	s_or_b64 exec, exec, s[0:1]
	v_cmp_ne_u32_e32 vcc, v121, v118
	s_and_saveexec_b64 s[0:1], vcc
	s_xor_b64 s[0:1], exec, s[0:1]
	s_cbranch_execz .LBB52_373
; %bb.368:
	v_cmp_eq_u32_e32 vcc, 17, v121
	s_and_saveexec_b64 s[16:17], vcc
	s_cbranch_execz .LBB52_372
; %bb.369:
	v_cmp_ne_u32_e32 vcc, 17, v118
	s_xor_b64 s[18:19], s[14:15], -1
	s_and_b64 s[22:23], s[18:19], vcc
	s_and_saveexec_b64 s[18:19], s[22:23]
	s_cbranch_execz .LBB52_371
; %bb.370:
	v_ashrrev_i32_e32 v119, 31, v118
	v_lshl_add_u64 v[124:125], v[118:119], 2, v[116:117]
	global_load_dword v119, v[124:125], off
	global_load_dword v121, v[116:117], off offset:68
	s_waitcnt vmcnt(1)
	global_store_dword v[116:117], v119, off offset:68
	s_waitcnt vmcnt(1)
	global_store_dword v[124:125], v121, off
.LBB52_371:
	s_or_b64 exec, exec, s[18:19]
	v_mov_b32_e32 v121, v118
	v_mov_b32_e32 v122, v118
.LBB52_372:
	s_or_b64 exec, exec, s[16:17]
.LBB52_373:
	s_andn2_saveexec_b64 s[0:1], s[0:1]
	s_cbranch_execz .LBB52_375
; %bb.374:
	v_mov_b32_e32 v121, 17
	s_waitcnt vmcnt(8)
	ds_write2_b64 v120, v[28:29], v[30:31] offset0:36 offset1:37
	s_waitcnt vmcnt(7)
	ds_write2_b64 v120, v[24:25], v[26:27] offset0:38 offset1:39
	s_waitcnt vmcnt(6)
	ds_write2_b64 v120, v[20:21], v[22:23] offset0:40 offset1:41
	s_waitcnt vmcnt(5)
	ds_write2_b64 v120, v[16:17], v[18:19] offset0:42 offset1:43
	s_waitcnt vmcnt(4)
	ds_write2_b64 v120, v[12:13], v[14:15] offset0:44 offset1:45
	s_waitcnt vmcnt(3)
	ds_write2_b64 v120, v[8:9], v[10:11] offset0:46 offset1:47
	s_waitcnt vmcnt(2)
	ds_write2_b64 v120, v[4:5], v[6:7] offset0:48 offset1:49
	s_waitcnt vmcnt(1)
	ds_write2_b64 v120, v[0:1], v[2:3] offset0:50 offset1:51
	s_waitcnt vmcnt(0)
	ds_write2_b64 v120, v[104:105], v[106:107] offset0:52 offset1:53
.LBB52_375:
	s_or_b64 exec, exec, s[0:1]
	v_cmp_lt_i32_e32 vcc, 17, v121
	s_waitcnt lgkmcnt(0)
	s_barrier
	s_and_saveexec_b64 s[0:1], vcc
	s_cbranch_execz .LBB52_377
; %bb.376:
	ds_read2_b64 v[124:127], v120 offset0:36 offset1:37
	v_mul_f64 v[118:119], v[108:109], v[38:39]
	v_fmac_f64_e32 v[118:119], v[110:111], v[36:37]
	v_mul_f64 v[38:39], v[110:111], v[38:39]
	v_fma_f64 v[36:37], v[108:109], v[36:37], -v[38:39]
	ds_read2_b64 v[108:111], v120 offset0:38 offset1:39
	s_waitcnt lgkmcnt(1)
	v_mul_f64 v[38:39], v[126:127], v[118:119]
	v_fma_f64 v[38:39], v[124:125], v[36:37], -v[38:39]
	v_mul_f64 v[124:125], v[124:125], v[118:119]
	v_fmac_f64_e32 v[124:125], v[126:127], v[36:37]
	s_waitcnt vmcnt(8)
	v_add_f64 v[30:31], v[30:31], -v[124:125]
	ds_read2_b64 v[124:127], v120 offset0:40 offset1:41
	v_add_f64 v[28:29], v[28:29], -v[38:39]
	s_waitcnt lgkmcnt(1)
	v_mul_f64 v[38:39], v[110:111], v[118:119]
	v_fma_f64 v[38:39], v[108:109], v[36:37], -v[38:39]
	v_mul_f64 v[108:109], v[108:109], v[118:119]
	v_fmac_f64_e32 v[108:109], v[110:111], v[36:37]
	s_waitcnt vmcnt(7)
	v_add_f64 v[24:25], v[24:25], -v[38:39]
	v_add_f64 v[26:27], v[26:27], -v[108:109]
	ds_read2_b64 v[108:111], v120 offset0:42 offset1:43
	s_waitcnt lgkmcnt(1)
	v_mul_f64 v[38:39], v[126:127], v[118:119]
	v_fma_f64 v[38:39], v[124:125], v[36:37], -v[38:39]
	v_mul_f64 v[124:125], v[124:125], v[118:119]
	v_fmac_f64_e32 v[124:125], v[126:127], v[36:37]
	s_waitcnt vmcnt(6)
	v_add_f64 v[22:23], v[22:23], -v[124:125]
	ds_read2_b64 v[124:127], v120 offset0:44 offset1:45
	v_add_f64 v[20:21], v[20:21], -v[38:39]
	s_waitcnt lgkmcnt(1)
	v_mul_f64 v[38:39], v[110:111], v[118:119]
	v_fma_f64 v[38:39], v[108:109], v[36:37], -v[38:39]
	v_mul_f64 v[108:109], v[108:109], v[118:119]
	v_fmac_f64_e32 v[108:109], v[110:111], v[36:37]
	s_waitcnt vmcnt(5)
	v_add_f64 v[16:17], v[16:17], -v[38:39]
	v_add_f64 v[18:19], v[18:19], -v[108:109]
	;; [unrolled: 18-line block ×4, first 2 shown]
	s_waitcnt lgkmcnt(0)
	v_mul_f64 v[38:39], v[126:127], v[118:119]
	v_mul_f64 v[108:109], v[124:125], v[118:119]
	v_fma_f64 v[38:39], v[124:125], v[36:37], -v[38:39]
	v_fmac_f64_e32 v[108:109], v[126:127], v[36:37]
	s_waitcnt vmcnt(0)
	v_add_f64 v[104:105], v[104:105], -v[38:39]
	v_add_f64 v[106:107], v[106:107], -v[108:109]
	v_mov_b64_e32 v[38:39], v[118:119]
.LBB52_377:
	s_or_b64 exec, exec, s[0:1]
	v_lshl_add_u32 v108, v121, 4, v120
	s_barrier
	s_waitcnt vmcnt(8)
	ds_write2_b64 v108, v[28:29], v[30:31] offset1:1
	s_waitcnt lgkmcnt(0)
	s_barrier
	ds_read2_b64 v[108:111], v120 offset0:36 offset1:37
	s_cmp_lt_i32 s20, 20
	v_mov_b32_e32 v118, 18
	s_cbranch_scc1 .LBB52_380
; %bb.378:
	v_add_u32_e32 v119, 0x130, v120
	s_mov_b32 s16, 19
	v_mov_b32_e32 v118, 18
.LBB52_379:                             ; =>This Inner Loop Header: Depth=1
	ds_read2_b64 v[124:127], v119 offset1:1
	s_waitcnt lgkmcnt(1)
	v_xor_b32_e32 v129, 0x80000000, v109
	v_xor_b32_e32 v131, 0x80000000, v111
	v_cmp_gt_f64_e32 vcc, 0, v[110:111]
	v_cmp_gt_f64_e64 s[0:1], 0, v[108:109]
	v_mov_b32_e32 v128, v108
	v_mov_b32_e32 v130, v110
	v_cndmask_b32_e64 v129, v109, v129, s[0:1]
	v_cndmask_b32_e32 v131, v111, v131, vcc
	v_add_f64 v[128:129], v[128:129], v[130:131]
	s_waitcnt lgkmcnt(0)
	v_xor_b32_e32 v131, 0x80000000, v125
	v_xor_b32_e32 v133, 0x80000000, v127
	v_cmp_gt_f64_e32 vcc, 0, v[126:127]
	v_cmp_gt_f64_e64 s[0:1], 0, v[124:125]
	v_mov_b32_e32 v130, v124
	v_mov_b32_e32 v132, v126
	v_cndmask_b32_e64 v131, v125, v131, s[0:1]
	v_cndmask_b32_e32 v133, v127, v133, vcc
	v_add_f64 v[130:131], v[130:131], v[132:133]
	v_mov_b32_e32 v134, s16
	s_add_i32 s16, s16, 1
	v_cmp_lt_f64_e32 vcc, v[128:129], v[130:131]
	v_add_u32_e32 v119, 16, v119
	s_cmp_lg_u32 s20, s16
	v_cndmask_b32_e32 v109, v109, v125, vcc
	v_cndmask_b32_e32 v108, v108, v124, vcc
	;; [unrolled: 1-line block ×5, first 2 shown]
	s_cbranch_scc1 .LBB52_379
.LBB52_380:
	s_waitcnt lgkmcnt(0)
	v_cmp_eq_f64_e32 vcc, 0, v[108:109]
	v_cmp_eq_f64_e64 s[0:1], 0, v[110:111]
	s_and_b64 s[0:1], vcc, s[0:1]
	s_and_saveexec_b64 s[16:17], s[0:1]
	s_xor_b64 s[0:1], exec, s[16:17]
; %bb.381:
	v_cmp_ne_u32_e32 vcc, 0, v123
	s_nop 1
	v_cndmask_b32_e32 v123, 19, v123, vcc
; %bb.382:
	s_andn2_saveexec_b64 s[0:1], s[0:1]
	s_cbranch_execz .LBB52_388
; %bb.383:
	v_cmp_ngt_f64_e64 s[16:17], |v[108:109]|, |v[110:111]|
	s_and_saveexec_b64 s[18:19], s[16:17]
	s_xor_b64 s[16:17], exec, s[18:19]
	s_cbranch_execz .LBB52_385
; %bb.384:
	v_div_scale_f64 v[124:125], s[18:19], v[110:111], v[110:111], v[108:109]
	v_rcp_f64_e32 v[126:127], v[124:125]
	v_div_scale_f64 v[128:129], vcc, v[108:109], v[110:111], v[108:109]
	v_fma_f64 v[130:131], -v[124:125], v[126:127], 1.0
	v_fmac_f64_e32 v[126:127], v[126:127], v[130:131]
	v_fma_f64 v[130:131], -v[124:125], v[126:127], 1.0
	v_fmac_f64_e32 v[126:127], v[126:127], v[130:131]
	v_mul_f64 v[130:131], v[128:129], v[126:127]
	v_fma_f64 v[124:125], -v[124:125], v[130:131], v[128:129]
	v_div_fmas_f64 v[124:125], v[124:125], v[126:127], v[130:131]
	v_div_fixup_f64 v[124:125], v[124:125], v[110:111], v[108:109]
	v_fmac_f64_e32 v[110:111], v[108:109], v[124:125]
	v_div_scale_f64 v[108:109], s[18:19], v[110:111], v[110:111], 1.0
	v_rcp_f64_e32 v[126:127], v[108:109]
	s_nop 0
	v_fma_f64 v[128:129], -v[108:109], v[126:127], 1.0
	v_fmac_f64_e32 v[126:127], v[126:127], v[128:129]
	v_fma_f64 v[128:129], -v[108:109], v[126:127], 1.0
	v_fmac_f64_e32 v[126:127], v[126:127], v[128:129]
	v_div_scale_f64 v[128:129], vcc, 1.0, v[110:111], 1.0
	v_mul_f64 v[130:131], v[128:129], v[126:127]
	v_fma_f64 v[108:109], -v[108:109], v[130:131], v[128:129]
	s_nop 1
	v_div_fmas_f64 v[108:109], v[108:109], v[126:127], v[130:131]
	v_div_fixup_f64 v[110:111], v[108:109], v[110:111], 1.0
	v_mul_f64 v[108:109], v[124:125], v[110:111]
	v_xor_b32_e32 v111, 0x80000000, v111
.LBB52_385:
	s_andn2_saveexec_b64 s[16:17], s[16:17]
	s_cbranch_execz .LBB52_387
; %bb.386:
	v_div_scale_f64 v[124:125], s[18:19], v[108:109], v[108:109], v[110:111]
	v_rcp_f64_e32 v[126:127], v[124:125]
	v_div_scale_f64 v[128:129], vcc, v[110:111], v[108:109], v[110:111]
	v_fma_f64 v[130:131], -v[124:125], v[126:127], 1.0
	v_fmac_f64_e32 v[126:127], v[126:127], v[130:131]
	v_fma_f64 v[130:131], -v[124:125], v[126:127], 1.0
	v_fmac_f64_e32 v[126:127], v[126:127], v[130:131]
	v_mul_f64 v[130:131], v[128:129], v[126:127]
	v_fma_f64 v[124:125], -v[124:125], v[130:131], v[128:129]
	v_div_fmas_f64 v[124:125], v[124:125], v[126:127], v[130:131]
	v_div_fixup_f64 v[124:125], v[124:125], v[108:109], v[110:111]
	v_fmac_f64_e32 v[108:109], v[110:111], v[124:125]
	v_div_scale_f64 v[110:111], s[18:19], v[108:109], v[108:109], 1.0
	v_rcp_f64_e32 v[126:127], v[110:111]
	s_nop 0
	v_fma_f64 v[128:129], -v[110:111], v[126:127], 1.0
	v_fmac_f64_e32 v[126:127], v[126:127], v[128:129]
	v_fma_f64 v[128:129], -v[110:111], v[126:127], 1.0
	v_fmac_f64_e32 v[126:127], v[126:127], v[128:129]
	v_div_scale_f64 v[128:129], vcc, 1.0, v[108:109], 1.0
	v_mul_f64 v[130:131], v[128:129], v[126:127]
	v_fma_f64 v[110:111], -v[110:111], v[130:131], v[128:129]
	s_nop 1
	v_div_fmas_f64 v[110:111], v[110:111], v[126:127], v[130:131]
	v_div_fixup_f64 v[108:109], v[110:111], v[108:109], 1.0
	v_mul_f64 v[110:111], v[124:125], -v[108:109]
.LBB52_387:
	s_or_b64 exec, exec, s[16:17]
.LBB52_388:
	s_or_b64 exec, exec, s[0:1]
	v_cmp_ne_u32_e32 vcc, v121, v118
	s_and_saveexec_b64 s[0:1], vcc
	s_xor_b64 s[0:1], exec, s[0:1]
	s_cbranch_execz .LBB52_394
; %bb.389:
	v_cmp_eq_u32_e32 vcc, 18, v121
	s_and_saveexec_b64 s[16:17], vcc
	s_cbranch_execz .LBB52_393
; %bb.390:
	v_cmp_ne_u32_e32 vcc, 18, v118
	s_xor_b64 s[18:19], s[14:15], -1
	s_and_b64 s[22:23], s[18:19], vcc
	s_and_saveexec_b64 s[18:19], s[22:23]
	s_cbranch_execz .LBB52_392
; %bb.391:
	v_ashrrev_i32_e32 v119, 31, v118
	v_lshl_add_u64 v[124:125], v[118:119], 2, v[116:117]
	global_load_dword v119, v[124:125], off
	global_load_dword v121, v[116:117], off offset:72
	s_waitcnt vmcnt(1)
	global_store_dword v[116:117], v119, off offset:72
	s_waitcnt vmcnt(1)
	global_store_dword v[124:125], v121, off
.LBB52_392:
	s_or_b64 exec, exec, s[18:19]
	v_mov_b32_e32 v121, v118
	v_mov_b32_e32 v122, v118
.LBB52_393:
	s_or_b64 exec, exec, s[16:17]
.LBB52_394:
	s_andn2_saveexec_b64 s[0:1], s[0:1]
	s_cbranch_execz .LBB52_396
; %bb.395:
	v_mov_b32_e32 v121, 18
	s_waitcnt vmcnt(7)
	ds_write2_b64 v120, v[24:25], v[26:27] offset0:38 offset1:39
	s_waitcnt vmcnt(6)
	ds_write2_b64 v120, v[20:21], v[22:23] offset0:40 offset1:41
	;; [unrolled: 2-line block ×8, first 2 shown]
.LBB52_396:
	s_or_b64 exec, exec, s[0:1]
	v_cmp_lt_i32_e32 vcc, 18, v121
	s_waitcnt lgkmcnt(0)
	s_barrier
	s_and_saveexec_b64 s[0:1], vcc
	s_cbranch_execz .LBB52_398
; %bb.397:
	ds_read2_b64 v[124:127], v120 offset0:38 offset1:39
	v_mul_f64 v[118:119], v[108:109], v[30:31]
	v_mul_f64 v[30:31], v[110:111], v[30:31]
	v_fmac_f64_e32 v[118:119], v[110:111], v[28:29]
	v_fma_f64 v[28:29], v[108:109], v[28:29], -v[30:31]
	ds_read2_b64 v[108:111], v120 offset0:40 offset1:41
	s_waitcnt lgkmcnt(1)
	v_mul_f64 v[30:31], v[126:127], v[118:119]
	v_fma_f64 v[30:31], v[124:125], v[28:29], -v[30:31]
	v_mul_f64 v[124:125], v[124:125], v[118:119]
	v_fmac_f64_e32 v[124:125], v[126:127], v[28:29]
	s_waitcnt vmcnt(7)
	v_add_f64 v[24:25], v[24:25], -v[30:31]
	s_waitcnt lgkmcnt(0)
	v_mul_f64 v[30:31], v[110:111], v[118:119]
	v_add_f64 v[26:27], v[26:27], -v[124:125]
	v_fma_f64 v[30:31], v[108:109], v[28:29], -v[30:31]
	v_mul_f64 v[108:109], v[108:109], v[118:119]
	ds_read2_b64 v[124:127], v120 offset0:42 offset1:43
	v_fmac_f64_e32 v[108:109], v[110:111], v[28:29]
	s_waitcnt vmcnt(6)
	v_add_f64 v[22:23], v[22:23], -v[108:109]
	ds_read2_b64 v[108:111], v120 offset0:44 offset1:45
	v_add_f64 v[20:21], v[20:21], -v[30:31]
	s_waitcnt lgkmcnt(1)
	v_mul_f64 v[30:31], v[126:127], v[118:119]
	v_fma_f64 v[30:31], v[124:125], v[28:29], -v[30:31]
	v_mul_f64 v[124:125], v[124:125], v[118:119]
	v_fmac_f64_e32 v[124:125], v[126:127], v[28:29]
	s_waitcnt vmcnt(5)
	v_add_f64 v[16:17], v[16:17], -v[30:31]
	s_waitcnt lgkmcnt(0)
	v_mul_f64 v[30:31], v[110:111], v[118:119]
	v_add_f64 v[18:19], v[18:19], -v[124:125]
	v_fma_f64 v[30:31], v[108:109], v[28:29], -v[30:31]
	v_mul_f64 v[108:109], v[108:109], v[118:119]
	ds_read2_b64 v[124:127], v120 offset0:46 offset1:47
	v_fmac_f64_e32 v[108:109], v[110:111], v[28:29]
	s_waitcnt vmcnt(4)
	v_add_f64 v[14:15], v[14:15], -v[108:109]
	ds_read2_b64 v[108:111], v120 offset0:48 offset1:49
	v_add_f64 v[12:13], v[12:13], -v[30:31]
	;; [unrolled: 18-line block ×3, first 2 shown]
	s_waitcnt lgkmcnt(1)
	v_mul_f64 v[30:31], v[126:127], v[118:119]
	v_fma_f64 v[30:31], v[124:125], v[28:29], -v[30:31]
	s_waitcnt vmcnt(1)
	v_add_f64 v[0:1], v[0:1], -v[30:31]
	s_waitcnt lgkmcnt(0)
	v_mul_f64 v[30:31], v[110:111], v[118:119]
	v_mul_f64 v[124:125], v[124:125], v[118:119]
	v_fma_f64 v[30:31], v[108:109], v[28:29], -v[30:31]
	v_mul_f64 v[108:109], v[108:109], v[118:119]
	v_fmac_f64_e32 v[124:125], v[126:127], v[28:29]
	v_fmac_f64_e32 v[108:109], v[110:111], v[28:29]
	v_add_f64 v[2:3], v[2:3], -v[124:125]
	s_waitcnt vmcnt(0)
	v_add_f64 v[104:105], v[104:105], -v[30:31]
	v_add_f64 v[106:107], v[106:107], -v[108:109]
	v_mov_b64_e32 v[30:31], v[118:119]
.LBB52_398:
	s_or_b64 exec, exec, s[0:1]
	v_lshl_add_u32 v108, v121, 4, v120
	s_barrier
	s_waitcnt vmcnt(7)
	ds_write2_b64 v108, v[24:25], v[26:27] offset1:1
	s_waitcnt lgkmcnt(0)
	s_barrier
	ds_read2_b64 v[108:111], v120 offset0:38 offset1:39
	s_cmp_lt_i32 s20, 21
	v_mov_b32_e32 v118, 19
	s_cbranch_scc1 .LBB52_401
; %bb.399:
	v_add_u32_e32 v119, 0x140, v120
	s_mov_b32 s16, 20
	v_mov_b32_e32 v118, 19
.LBB52_400:                             ; =>This Inner Loop Header: Depth=1
	ds_read2_b64 v[124:127], v119 offset1:1
	s_waitcnt lgkmcnt(1)
	v_xor_b32_e32 v129, 0x80000000, v109
	v_xor_b32_e32 v131, 0x80000000, v111
	v_cmp_gt_f64_e32 vcc, 0, v[110:111]
	v_cmp_gt_f64_e64 s[0:1], 0, v[108:109]
	v_mov_b32_e32 v128, v108
	v_mov_b32_e32 v130, v110
	v_cndmask_b32_e64 v129, v109, v129, s[0:1]
	v_cndmask_b32_e32 v131, v111, v131, vcc
	v_add_f64 v[128:129], v[128:129], v[130:131]
	s_waitcnt lgkmcnt(0)
	v_xor_b32_e32 v131, 0x80000000, v125
	v_xor_b32_e32 v133, 0x80000000, v127
	v_cmp_gt_f64_e32 vcc, 0, v[126:127]
	v_cmp_gt_f64_e64 s[0:1], 0, v[124:125]
	v_mov_b32_e32 v130, v124
	v_mov_b32_e32 v132, v126
	v_cndmask_b32_e64 v131, v125, v131, s[0:1]
	v_cndmask_b32_e32 v133, v127, v133, vcc
	v_add_f64 v[130:131], v[130:131], v[132:133]
	v_mov_b32_e32 v134, s16
	s_add_i32 s16, s16, 1
	v_cmp_lt_f64_e32 vcc, v[128:129], v[130:131]
	v_add_u32_e32 v119, 16, v119
	s_cmp_lg_u32 s20, s16
	v_cndmask_b32_e32 v109, v109, v125, vcc
	v_cndmask_b32_e32 v108, v108, v124, vcc
	;; [unrolled: 1-line block ×5, first 2 shown]
	s_cbranch_scc1 .LBB52_400
.LBB52_401:
	s_waitcnt lgkmcnt(0)
	v_cmp_eq_f64_e32 vcc, 0, v[108:109]
	v_cmp_eq_f64_e64 s[0:1], 0, v[110:111]
	s_and_b64 s[0:1], vcc, s[0:1]
	s_and_saveexec_b64 s[16:17], s[0:1]
	s_xor_b64 s[0:1], exec, s[16:17]
; %bb.402:
	v_cmp_ne_u32_e32 vcc, 0, v123
	s_nop 1
	v_cndmask_b32_e32 v123, 20, v123, vcc
; %bb.403:
	s_andn2_saveexec_b64 s[0:1], s[0:1]
	s_cbranch_execz .LBB52_409
; %bb.404:
	v_cmp_ngt_f64_e64 s[16:17], |v[108:109]|, |v[110:111]|
	s_and_saveexec_b64 s[18:19], s[16:17]
	s_xor_b64 s[16:17], exec, s[18:19]
	s_cbranch_execz .LBB52_406
; %bb.405:
	v_div_scale_f64 v[124:125], s[18:19], v[110:111], v[110:111], v[108:109]
	v_rcp_f64_e32 v[126:127], v[124:125]
	v_div_scale_f64 v[128:129], vcc, v[108:109], v[110:111], v[108:109]
	v_fma_f64 v[130:131], -v[124:125], v[126:127], 1.0
	v_fmac_f64_e32 v[126:127], v[126:127], v[130:131]
	v_fma_f64 v[130:131], -v[124:125], v[126:127], 1.0
	v_fmac_f64_e32 v[126:127], v[126:127], v[130:131]
	v_mul_f64 v[130:131], v[128:129], v[126:127]
	v_fma_f64 v[124:125], -v[124:125], v[130:131], v[128:129]
	v_div_fmas_f64 v[124:125], v[124:125], v[126:127], v[130:131]
	v_div_fixup_f64 v[124:125], v[124:125], v[110:111], v[108:109]
	v_fmac_f64_e32 v[110:111], v[108:109], v[124:125]
	v_div_scale_f64 v[108:109], s[18:19], v[110:111], v[110:111], 1.0
	v_rcp_f64_e32 v[126:127], v[108:109]
	s_nop 0
	v_fma_f64 v[128:129], -v[108:109], v[126:127], 1.0
	v_fmac_f64_e32 v[126:127], v[126:127], v[128:129]
	v_fma_f64 v[128:129], -v[108:109], v[126:127], 1.0
	v_fmac_f64_e32 v[126:127], v[126:127], v[128:129]
	v_div_scale_f64 v[128:129], vcc, 1.0, v[110:111], 1.0
	v_mul_f64 v[130:131], v[128:129], v[126:127]
	v_fma_f64 v[108:109], -v[108:109], v[130:131], v[128:129]
	s_nop 1
	v_div_fmas_f64 v[108:109], v[108:109], v[126:127], v[130:131]
	v_div_fixup_f64 v[110:111], v[108:109], v[110:111], 1.0
	v_mul_f64 v[108:109], v[124:125], v[110:111]
	v_xor_b32_e32 v111, 0x80000000, v111
.LBB52_406:
	s_andn2_saveexec_b64 s[16:17], s[16:17]
	s_cbranch_execz .LBB52_408
; %bb.407:
	v_div_scale_f64 v[124:125], s[18:19], v[108:109], v[108:109], v[110:111]
	v_rcp_f64_e32 v[126:127], v[124:125]
	v_div_scale_f64 v[128:129], vcc, v[110:111], v[108:109], v[110:111]
	v_fma_f64 v[130:131], -v[124:125], v[126:127], 1.0
	v_fmac_f64_e32 v[126:127], v[126:127], v[130:131]
	v_fma_f64 v[130:131], -v[124:125], v[126:127], 1.0
	v_fmac_f64_e32 v[126:127], v[126:127], v[130:131]
	v_mul_f64 v[130:131], v[128:129], v[126:127]
	v_fma_f64 v[124:125], -v[124:125], v[130:131], v[128:129]
	v_div_fmas_f64 v[124:125], v[124:125], v[126:127], v[130:131]
	v_div_fixup_f64 v[124:125], v[124:125], v[108:109], v[110:111]
	v_fmac_f64_e32 v[108:109], v[110:111], v[124:125]
	v_div_scale_f64 v[110:111], s[18:19], v[108:109], v[108:109], 1.0
	v_rcp_f64_e32 v[126:127], v[110:111]
	s_nop 0
	v_fma_f64 v[128:129], -v[110:111], v[126:127], 1.0
	v_fmac_f64_e32 v[126:127], v[126:127], v[128:129]
	v_fma_f64 v[128:129], -v[110:111], v[126:127], 1.0
	v_fmac_f64_e32 v[126:127], v[126:127], v[128:129]
	v_div_scale_f64 v[128:129], vcc, 1.0, v[108:109], 1.0
	v_mul_f64 v[130:131], v[128:129], v[126:127]
	v_fma_f64 v[110:111], -v[110:111], v[130:131], v[128:129]
	s_nop 1
	v_div_fmas_f64 v[110:111], v[110:111], v[126:127], v[130:131]
	v_div_fixup_f64 v[108:109], v[110:111], v[108:109], 1.0
	v_mul_f64 v[110:111], v[124:125], -v[108:109]
.LBB52_408:
	s_or_b64 exec, exec, s[16:17]
.LBB52_409:
	s_or_b64 exec, exec, s[0:1]
	v_cmp_ne_u32_e32 vcc, v121, v118
	s_and_saveexec_b64 s[0:1], vcc
	s_xor_b64 s[0:1], exec, s[0:1]
	s_cbranch_execz .LBB52_415
; %bb.410:
	v_cmp_eq_u32_e32 vcc, 19, v121
	s_and_saveexec_b64 s[16:17], vcc
	s_cbranch_execz .LBB52_414
; %bb.411:
	v_cmp_ne_u32_e32 vcc, 19, v118
	s_xor_b64 s[18:19], s[14:15], -1
	s_and_b64 s[22:23], s[18:19], vcc
	s_and_saveexec_b64 s[18:19], s[22:23]
	s_cbranch_execz .LBB52_413
; %bb.412:
	v_ashrrev_i32_e32 v119, 31, v118
	v_lshl_add_u64 v[124:125], v[118:119], 2, v[116:117]
	global_load_dword v119, v[124:125], off
	global_load_dword v121, v[116:117], off offset:76
	s_waitcnt vmcnt(1)
	global_store_dword v[116:117], v119, off offset:76
	s_waitcnt vmcnt(1)
	global_store_dword v[124:125], v121, off
.LBB52_413:
	s_or_b64 exec, exec, s[18:19]
	v_mov_b32_e32 v121, v118
	v_mov_b32_e32 v122, v118
.LBB52_414:
	s_or_b64 exec, exec, s[16:17]
.LBB52_415:
	s_andn2_saveexec_b64 s[0:1], s[0:1]
	s_cbranch_execz .LBB52_417
; %bb.416:
	v_mov_b32_e32 v121, 19
	s_waitcnt vmcnt(6)
	ds_write2_b64 v120, v[20:21], v[22:23] offset0:40 offset1:41
	s_waitcnt vmcnt(5)
	ds_write2_b64 v120, v[16:17], v[18:19] offset0:42 offset1:43
	;; [unrolled: 2-line block ×7, first 2 shown]
.LBB52_417:
	s_or_b64 exec, exec, s[0:1]
	v_cmp_lt_i32_e32 vcc, 19, v121
	s_waitcnt lgkmcnt(0)
	s_barrier
	s_and_saveexec_b64 s[0:1], vcc
	s_cbranch_execz .LBB52_419
; %bb.418:
	ds_read2_b64 v[124:127], v120 offset0:40 offset1:41
	v_mul_f64 v[118:119], v[108:109], v[26:27]
	v_fmac_f64_e32 v[118:119], v[110:111], v[24:25]
	v_mul_f64 v[26:27], v[110:111], v[26:27]
	v_fma_f64 v[24:25], v[108:109], v[24:25], -v[26:27]
	ds_read2_b64 v[108:111], v120 offset0:42 offset1:43
	s_waitcnt lgkmcnt(1)
	v_mul_f64 v[26:27], v[126:127], v[118:119]
	v_fma_f64 v[26:27], v[124:125], v[24:25], -v[26:27]
	v_mul_f64 v[124:125], v[124:125], v[118:119]
	v_fmac_f64_e32 v[124:125], v[126:127], v[24:25]
	s_waitcnt vmcnt(6)
	v_add_f64 v[22:23], v[22:23], -v[124:125]
	ds_read2_b64 v[124:127], v120 offset0:44 offset1:45
	v_add_f64 v[20:21], v[20:21], -v[26:27]
	s_waitcnt lgkmcnt(1)
	v_mul_f64 v[26:27], v[110:111], v[118:119]
	v_fma_f64 v[26:27], v[108:109], v[24:25], -v[26:27]
	v_mul_f64 v[108:109], v[108:109], v[118:119]
	v_fmac_f64_e32 v[108:109], v[110:111], v[24:25]
	s_waitcnt vmcnt(5)
	v_add_f64 v[16:17], v[16:17], -v[26:27]
	v_add_f64 v[18:19], v[18:19], -v[108:109]
	ds_read2_b64 v[108:111], v120 offset0:46 offset1:47
	s_waitcnt lgkmcnt(1)
	v_mul_f64 v[26:27], v[126:127], v[118:119]
	v_fma_f64 v[26:27], v[124:125], v[24:25], -v[26:27]
	v_mul_f64 v[124:125], v[124:125], v[118:119]
	v_fmac_f64_e32 v[124:125], v[126:127], v[24:25]
	s_waitcnt vmcnt(4)
	v_add_f64 v[14:15], v[14:15], -v[124:125]
	ds_read2_b64 v[124:127], v120 offset0:48 offset1:49
	v_add_f64 v[12:13], v[12:13], -v[26:27]
	s_waitcnt lgkmcnt(1)
	v_mul_f64 v[26:27], v[110:111], v[118:119]
	v_fma_f64 v[26:27], v[108:109], v[24:25], -v[26:27]
	v_mul_f64 v[108:109], v[108:109], v[118:119]
	v_fmac_f64_e32 v[108:109], v[110:111], v[24:25]
	s_waitcnt vmcnt(3)
	v_add_f64 v[8:9], v[8:9], -v[26:27]
	v_add_f64 v[10:11], v[10:11], -v[108:109]
	;; [unrolled: 18-line block ×3, first 2 shown]
	s_waitcnt lgkmcnt(0)
	v_mul_f64 v[26:27], v[126:127], v[118:119]
	v_mul_f64 v[108:109], v[124:125], v[118:119]
	v_fma_f64 v[26:27], v[124:125], v[24:25], -v[26:27]
	v_fmac_f64_e32 v[108:109], v[126:127], v[24:25]
	s_waitcnt vmcnt(0)
	v_add_f64 v[104:105], v[104:105], -v[26:27]
	v_add_f64 v[106:107], v[106:107], -v[108:109]
	v_mov_b64_e32 v[26:27], v[118:119]
.LBB52_419:
	s_or_b64 exec, exec, s[0:1]
	v_lshl_add_u32 v108, v121, 4, v120
	s_barrier
	s_waitcnt vmcnt(6)
	ds_write2_b64 v108, v[20:21], v[22:23] offset1:1
	s_waitcnt lgkmcnt(0)
	s_barrier
	ds_read2_b64 v[108:111], v120 offset0:40 offset1:41
	s_cmp_lt_i32 s20, 22
	v_mov_b32_e32 v118, 20
	s_cbranch_scc1 .LBB52_422
; %bb.420:
	v_add_u32_e32 v119, 0x150, v120
	s_mov_b32 s16, 21
	v_mov_b32_e32 v118, 20
.LBB52_421:                             ; =>This Inner Loop Header: Depth=1
	ds_read2_b64 v[124:127], v119 offset1:1
	s_waitcnt lgkmcnt(1)
	v_xor_b32_e32 v129, 0x80000000, v109
	v_xor_b32_e32 v131, 0x80000000, v111
	v_cmp_gt_f64_e32 vcc, 0, v[110:111]
	v_cmp_gt_f64_e64 s[0:1], 0, v[108:109]
	v_mov_b32_e32 v128, v108
	v_mov_b32_e32 v130, v110
	v_cndmask_b32_e64 v129, v109, v129, s[0:1]
	v_cndmask_b32_e32 v131, v111, v131, vcc
	v_add_f64 v[128:129], v[128:129], v[130:131]
	s_waitcnt lgkmcnt(0)
	v_xor_b32_e32 v131, 0x80000000, v125
	v_xor_b32_e32 v133, 0x80000000, v127
	v_cmp_gt_f64_e32 vcc, 0, v[126:127]
	v_cmp_gt_f64_e64 s[0:1], 0, v[124:125]
	v_mov_b32_e32 v130, v124
	v_mov_b32_e32 v132, v126
	v_cndmask_b32_e64 v131, v125, v131, s[0:1]
	v_cndmask_b32_e32 v133, v127, v133, vcc
	v_add_f64 v[130:131], v[130:131], v[132:133]
	v_mov_b32_e32 v134, s16
	s_add_i32 s16, s16, 1
	v_cmp_lt_f64_e32 vcc, v[128:129], v[130:131]
	v_add_u32_e32 v119, 16, v119
	s_cmp_lg_u32 s20, s16
	v_cndmask_b32_e32 v109, v109, v125, vcc
	v_cndmask_b32_e32 v108, v108, v124, vcc
	v_cndmask_b32_e32 v111, v111, v127, vcc
	v_cndmask_b32_e32 v110, v110, v126, vcc
	v_cndmask_b32_e32 v118, v118, v134, vcc
	s_cbranch_scc1 .LBB52_421
.LBB52_422:
	s_waitcnt lgkmcnt(0)
	v_cmp_eq_f64_e32 vcc, 0, v[108:109]
	v_cmp_eq_f64_e64 s[0:1], 0, v[110:111]
	s_and_b64 s[0:1], vcc, s[0:1]
	s_and_saveexec_b64 s[16:17], s[0:1]
	s_xor_b64 s[0:1], exec, s[16:17]
; %bb.423:
	v_cmp_ne_u32_e32 vcc, 0, v123
	s_nop 1
	v_cndmask_b32_e32 v123, 21, v123, vcc
; %bb.424:
	s_andn2_saveexec_b64 s[0:1], s[0:1]
	s_cbranch_execz .LBB52_430
; %bb.425:
	v_cmp_ngt_f64_e64 s[16:17], |v[108:109]|, |v[110:111]|
	s_and_saveexec_b64 s[18:19], s[16:17]
	s_xor_b64 s[16:17], exec, s[18:19]
	s_cbranch_execz .LBB52_427
; %bb.426:
	v_div_scale_f64 v[124:125], s[18:19], v[110:111], v[110:111], v[108:109]
	v_rcp_f64_e32 v[126:127], v[124:125]
	v_div_scale_f64 v[128:129], vcc, v[108:109], v[110:111], v[108:109]
	v_fma_f64 v[130:131], -v[124:125], v[126:127], 1.0
	v_fmac_f64_e32 v[126:127], v[126:127], v[130:131]
	v_fma_f64 v[130:131], -v[124:125], v[126:127], 1.0
	v_fmac_f64_e32 v[126:127], v[126:127], v[130:131]
	v_mul_f64 v[130:131], v[128:129], v[126:127]
	v_fma_f64 v[124:125], -v[124:125], v[130:131], v[128:129]
	v_div_fmas_f64 v[124:125], v[124:125], v[126:127], v[130:131]
	v_div_fixup_f64 v[124:125], v[124:125], v[110:111], v[108:109]
	v_fmac_f64_e32 v[110:111], v[108:109], v[124:125]
	v_div_scale_f64 v[108:109], s[18:19], v[110:111], v[110:111], 1.0
	v_rcp_f64_e32 v[126:127], v[108:109]
	s_nop 0
	v_fma_f64 v[128:129], -v[108:109], v[126:127], 1.0
	v_fmac_f64_e32 v[126:127], v[126:127], v[128:129]
	v_fma_f64 v[128:129], -v[108:109], v[126:127], 1.0
	v_fmac_f64_e32 v[126:127], v[126:127], v[128:129]
	v_div_scale_f64 v[128:129], vcc, 1.0, v[110:111], 1.0
	v_mul_f64 v[130:131], v[128:129], v[126:127]
	v_fma_f64 v[108:109], -v[108:109], v[130:131], v[128:129]
	s_nop 1
	v_div_fmas_f64 v[108:109], v[108:109], v[126:127], v[130:131]
	v_div_fixup_f64 v[110:111], v[108:109], v[110:111], 1.0
	v_mul_f64 v[108:109], v[124:125], v[110:111]
	v_xor_b32_e32 v111, 0x80000000, v111
.LBB52_427:
	s_andn2_saveexec_b64 s[16:17], s[16:17]
	s_cbranch_execz .LBB52_429
; %bb.428:
	v_div_scale_f64 v[124:125], s[18:19], v[108:109], v[108:109], v[110:111]
	v_rcp_f64_e32 v[126:127], v[124:125]
	v_div_scale_f64 v[128:129], vcc, v[110:111], v[108:109], v[110:111]
	v_fma_f64 v[130:131], -v[124:125], v[126:127], 1.0
	v_fmac_f64_e32 v[126:127], v[126:127], v[130:131]
	v_fma_f64 v[130:131], -v[124:125], v[126:127], 1.0
	v_fmac_f64_e32 v[126:127], v[126:127], v[130:131]
	v_mul_f64 v[130:131], v[128:129], v[126:127]
	v_fma_f64 v[124:125], -v[124:125], v[130:131], v[128:129]
	v_div_fmas_f64 v[124:125], v[124:125], v[126:127], v[130:131]
	v_div_fixup_f64 v[124:125], v[124:125], v[108:109], v[110:111]
	v_fmac_f64_e32 v[108:109], v[110:111], v[124:125]
	v_div_scale_f64 v[110:111], s[18:19], v[108:109], v[108:109], 1.0
	v_rcp_f64_e32 v[126:127], v[110:111]
	s_nop 0
	v_fma_f64 v[128:129], -v[110:111], v[126:127], 1.0
	v_fmac_f64_e32 v[126:127], v[126:127], v[128:129]
	v_fma_f64 v[128:129], -v[110:111], v[126:127], 1.0
	v_fmac_f64_e32 v[126:127], v[126:127], v[128:129]
	v_div_scale_f64 v[128:129], vcc, 1.0, v[108:109], 1.0
	v_mul_f64 v[130:131], v[128:129], v[126:127]
	v_fma_f64 v[110:111], -v[110:111], v[130:131], v[128:129]
	s_nop 1
	v_div_fmas_f64 v[110:111], v[110:111], v[126:127], v[130:131]
	v_div_fixup_f64 v[108:109], v[110:111], v[108:109], 1.0
	v_mul_f64 v[110:111], v[124:125], -v[108:109]
.LBB52_429:
	s_or_b64 exec, exec, s[16:17]
.LBB52_430:
	s_or_b64 exec, exec, s[0:1]
	v_cmp_ne_u32_e32 vcc, v121, v118
	s_and_saveexec_b64 s[0:1], vcc
	s_xor_b64 s[0:1], exec, s[0:1]
	s_cbranch_execz .LBB52_436
; %bb.431:
	v_cmp_eq_u32_e32 vcc, 20, v121
	s_and_saveexec_b64 s[16:17], vcc
	s_cbranch_execz .LBB52_435
; %bb.432:
	v_cmp_ne_u32_e32 vcc, 20, v118
	s_xor_b64 s[18:19], s[14:15], -1
	s_and_b64 s[22:23], s[18:19], vcc
	s_and_saveexec_b64 s[18:19], s[22:23]
	s_cbranch_execz .LBB52_434
; %bb.433:
	v_ashrrev_i32_e32 v119, 31, v118
	v_lshl_add_u64 v[124:125], v[118:119], 2, v[116:117]
	global_load_dword v119, v[124:125], off
	global_load_dword v121, v[116:117], off offset:80
	s_waitcnt vmcnt(1)
	global_store_dword v[116:117], v119, off offset:80
	s_waitcnt vmcnt(1)
	global_store_dword v[124:125], v121, off
.LBB52_434:
	s_or_b64 exec, exec, s[18:19]
	v_mov_b32_e32 v121, v118
	v_mov_b32_e32 v122, v118
.LBB52_435:
	s_or_b64 exec, exec, s[16:17]
.LBB52_436:
	s_andn2_saveexec_b64 s[0:1], s[0:1]
	s_cbranch_execz .LBB52_438
; %bb.437:
	v_mov_b32_e32 v121, 20
	s_waitcnt vmcnt(5)
	ds_write2_b64 v120, v[16:17], v[18:19] offset0:42 offset1:43
	s_waitcnt vmcnt(4)
	ds_write2_b64 v120, v[12:13], v[14:15] offset0:44 offset1:45
	;; [unrolled: 2-line block ×6, first 2 shown]
.LBB52_438:
	s_or_b64 exec, exec, s[0:1]
	v_cmp_lt_i32_e32 vcc, 20, v121
	s_waitcnt lgkmcnt(0)
	s_barrier
	s_and_saveexec_b64 s[0:1], vcc
	s_cbranch_execz .LBB52_440
; %bb.439:
	ds_read2_b64 v[124:127], v120 offset0:42 offset1:43
	v_mul_f64 v[118:119], v[108:109], v[22:23]
	v_mul_f64 v[22:23], v[110:111], v[22:23]
	v_fmac_f64_e32 v[118:119], v[110:111], v[20:21]
	v_fma_f64 v[20:21], v[108:109], v[20:21], -v[22:23]
	ds_read2_b64 v[108:111], v120 offset0:44 offset1:45
	s_waitcnt lgkmcnt(1)
	v_mul_f64 v[22:23], v[126:127], v[118:119]
	v_fma_f64 v[22:23], v[124:125], v[20:21], -v[22:23]
	v_mul_f64 v[124:125], v[124:125], v[118:119]
	v_fmac_f64_e32 v[124:125], v[126:127], v[20:21]
	s_waitcnt vmcnt(5)
	v_add_f64 v[16:17], v[16:17], -v[22:23]
	s_waitcnt lgkmcnt(0)
	v_mul_f64 v[22:23], v[110:111], v[118:119]
	v_add_f64 v[18:19], v[18:19], -v[124:125]
	v_fma_f64 v[22:23], v[108:109], v[20:21], -v[22:23]
	v_mul_f64 v[108:109], v[108:109], v[118:119]
	ds_read2_b64 v[124:127], v120 offset0:46 offset1:47
	v_fmac_f64_e32 v[108:109], v[110:111], v[20:21]
	s_waitcnt vmcnt(4)
	v_add_f64 v[14:15], v[14:15], -v[108:109]
	ds_read2_b64 v[108:111], v120 offset0:48 offset1:49
	v_add_f64 v[12:13], v[12:13], -v[22:23]
	s_waitcnt lgkmcnt(1)
	v_mul_f64 v[22:23], v[126:127], v[118:119]
	v_fma_f64 v[22:23], v[124:125], v[20:21], -v[22:23]
	v_mul_f64 v[124:125], v[124:125], v[118:119]
	v_fmac_f64_e32 v[124:125], v[126:127], v[20:21]
	s_waitcnt vmcnt(3)
	v_add_f64 v[8:9], v[8:9], -v[22:23]
	s_waitcnt lgkmcnt(0)
	v_mul_f64 v[22:23], v[110:111], v[118:119]
	v_add_f64 v[10:11], v[10:11], -v[124:125]
	v_fma_f64 v[22:23], v[108:109], v[20:21], -v[22:23]
	v_mul_f64 v[108:109], v[108:109], v[118:119]
	ds_read2_b64 v[124:127], v120 offset0:50 offset1:51
	v_fmac_f64_e32 v[108:109], v[110:111], v[20:21]
	s_waitcnt vmcnt(2)
	v_add_f64 v[6:7], v[6:7], -v[108:109]
	ds_read2_b64 v[108:111], v120 offset0:52 offset1:53
	v_add_f64 v[4:5], v[4:5], -v[22:23]
	s_waitcnt lgkmcnt(1)
	v_mul_f64 v[22:23], v[126:127], v[118:119]
	v_fma_f64 v[22:23], v[124:125], v[20:21], -v[22:23]
	s_waitcnt vmcnt(1)
	v_add_f64 v[0:1], v[0:1], -v[22:23]
	s_waitcnt lgkmcnt(0)
	v_mul_f64 v[22:23], v[110:111], v[118:119]
	v_mul_f64 v[124:125], v[124:125], v[118:119]
	v_fma_f64 v[22:23], v[108:109], v[20:21], -v[22:23]
	v_mul_f64 v[108:109], v[108:109], v[118:119]
	v_fmac_f64_e32 v[124:125], v[126:127], v[20:21]
	v_fmac_f64_e32 v[108:109], v[110:111], v[20:21]
	v_add_f64 v[2:3], v[2:3], -v[124:125]
	s_waitcnt vmcnt(0)
	v_add_f64 v[104:105], v[104:105], -v[22:23]
	v_add_f64 v[106:107], v[106:107], -v[108:109]
	v_mov_b64_e32 v[22:23], v[118:119]
.LBB52_440:
	s_or_b64 exec, exec, s[0:1]
	v_lshl_add_u32 v108, v121, 4, v120
	s_barrier
	s_waitcnt vmcnt(5)
	ds_write2_b64 v108, v[16:17], v[18:19] offset1:1
	s_waitcnt lgkmcnt(0)
	s_barrier
	ds_read2_b64 v[108:111], v120 offset0:42 offset1:43
	s_cmp_lt_i32 s20, 23
	v_mov_b32_e32 v118, 21
	s_cbranch_scc1 .LBB52_443
; %bb.441:
	v_add_u32_e32 v119, 0x160, v120
	s_mov_b32 s16, 22
	v_mov_b32_e32 v118, 21
.LBB52_442:                             ; =>This Inner Loop Header: Depth=1
	ds_read2_b64 v[124:127], v119 offset1:1
	s_waitcnt lgkmcnt(1)
	v_xor_b32_e32 v129, 0x80000000, v109
	v_xor_b32_e32 v131, 0x80000000, v111
	v_cmp_gt_f64_e32 vcc, 0, v[110:111]
	v_cmp_gt_f64_e64 s[0:1], 0, v[108:109]
	v_mov_b32_e32 v128, v108
	v_mov_b32_e32 v130, v110
	v_cndmask_b32_e64 v129, v109, v129, s[0:1]
	v_cndmask_b32_e32 v131, v111, v131, vcc
	v_add_f64 v[128:129], v[128:129], v[130:131]
	s_waitcnt lgkmcnt(0)
	v_xor_b32_e32 v131, 0x80000000, v125
	v_xor_b32_e32 v133, 0x80000000, v127
	v_cmp_gt_f64_e32 vcc, 0, v[126:127]
	v_cmp_gt_f64_e64 s[0:1], 0, v[124:125]
	v_mov_b32_e32 v130, v124
	v_mov_b32_e32 v132, v126
	v_cndmask_b32_e64 v131, v125, v131, s[0:1]
	v_cndmask_b32_e32 v133, v127, v133, vcc
	v_add_f64 v[130:131], v[130:131], v[132:133]
	v_mov_b32_e32 v134, s16
	s_add_i32 s16, s16, 1
	v_cmp_lt_f64_e32 vcc, v[128:129], v[130:131]
	v_add_u32_e32 v119, 16, v119
	s_cmp_lg_u32 s20, s16
	v_cndmask_b32_e32 v109, v109, v125, vcc
	v_cndmask_b32_e32 v108, v108, v124, vcc
	;; [unrolled: 1-line block ×5, first 2 shown]
	s_cbranch_scc1 .LBB52_442
.LBB52_443:
	s_waitcnt lgkmcnt(0)
	v_cmp_eq_f64_e32 vcc, 0, v[108:109]
	v_cmp_eq_f64_e64 s[0:1], 0, v[110:111]
	s_and_b64 s[0:1], vcc, s[0:1]
	s_and_saveexec_b64 s[16:17], s[0:1]
	s_xor_b64 s[0:1], exec, s[16:17]
; %bb.444:
	v_cmp_ne_u32_e32 vcc, 0, v123
	s_nop 1
	v_cndmask_b32_e32 v123, 22, v123, vcc
; %bb.445:
	s_andn2_saveexec_b64 s[0:1], s[0:1]
	s_cbranch_execz .LBB52_451
; %bb.446:
	v_cmp_ngt_f64_e64 s[16:17], |v[108:109]|, |v[110:111]|
	s_and_saveexec_b64 s[18:19], s[16:17]
	s_xor_b64 s[16:17], exec, s[18:19]
	s_cbranch_execz .LBB52_448
; %bb.447:
	v_div_scale_f64 v[124:125], s[18:19], v[110:111], v[110:111], v[108:109]
	v_rcp_f64_e32 v[126:127], v[124:125]
	v_div_scale_f64 v[128:129], vcc, v[108:109], v[110:111], v[108:109]
	v_fma_f64 v[130:131], -v[124:125], v[126:127], 1.0
	v_fmac_f64_e32 v[126:127], v[126:127], v[130:131]
	v_fma_f64 v[130:131], -v[124:125], v[126:127], 1.0
	v_fmac_f64_e32 v[126:127], v[126:127], v[130:131]
	v_mul_f64 v[130:131], v[128:129], v[126:127]
	v_fma_f64 v[124:125], -v[124:125], v[130:131], v[128:129]
	v_div_fmas_f64 v[124:125], v[124:125], v[126:127], v[130:131]
	v_div_fixup_f64 v[124:125], v[124:125], v[110:111], v[108:109]
	v_fmac_f64_e32 v[110:111], v[108:109], v[124:125]
	v_div_scale_f64 v[108:109], s[18:19], v[110:111], v[110:111], 1.0
	v_rcp_f64_e32 v[126:127], v[108:109]
	s_nop 0
	v_fma_f64 v[128:129], -v[108:109], v[126:127], 1.0
	v_fmac_f64_e32 v[126:127], v[126:127], v[128:129]
	v_fma_f64 v[128:129], -v[108:109], v[126:127], 1.0
	v_fmac_f64_e32 v[126:127], v[126:127], v[128:129]
	v_div_scale_f64 v[128:129], vcc, 1.0, v[110:111], 1.0
	v_mul_f64 v[130:131], v[128:129], v[126:127]
	v_fma_f64 v[108:109], -v[108:109], v[130:131], v[128:129]
	s_nop 1
	v_div_fmas_f64 v[108:109], v[108:109], v[126:127], v[130:131]
	v_div_fixup_f64 v[110:111], v[108:109], v[110:111], 1.0
	v_mul_f64 v[108:109], v[124:125], v[110:111]
	v_xor_b32_e32 v111, 0x80000000, v111
.LBB52_448:
	s_andn2_saveexec_b64 s[16:17], s[16:17]
	s_cbranch_execz .LBB52_450
; %bb.449:
	v_div_scale_f64 v[124:125], s[18:19], v[108:109], v[108:109], v[110:111]
	v_rcp_f64_e32 v[126:127], v[124:125]
	v_div_scale_f64 v[128:129], vcc, v[110:111], v[108:109], v[110:111]
	v_fma_f64 v[130:131], -v[124:125], v[126:127], 1.0
	v_fmac_f64_e32 v[126:127], v[126:127], v[130:131]
	v_fma_f64 v[130:131], -v[124:125], v[126:127], 1.0
	v_fmac_f64_e32 v[126:127], v[126:127], v[130:131]
	v_mul_f64 v[130:131], v[128:129], v[126:127]
	v_fma_f64 v[124:125], -v[124:125], v[130:131], v[128:129]
	v_div_fmas_f64 v[124:125], v[124:125], v[126:127], v[130:131]
	v_div_fixup_f64 v[124:125], v[124:125], v[108:109], v[110:111]
	v_fmac_f64_e32 v[108:109], v[110:111], v[124:125]
	v_div_scale_f64 v[110:111], s[18:19], v[108:109], v[108:109], 1.0
	v_rcp_f64_e32 v[126:127], v[110:111]
	s_nop 0
	v_fma_f64 v[128:129], -v[110:111], v[126:127], 1.0
	v_fmac_f64_e32 v[126:127], v[126:127], v[128:129]
	v_fma_f64 v[128:129], -v[110:111], v[126:127], 1.0
	v_fmac_f64_e32 v[126:127], v[126:127], v[128:129]
	v_div_scale_f64 v[128:129], vcc, 1.0, v[108:109], 1.0
	v_mul_f64 v[130:131], v[128:129], v[126:127]
	v_fma_f64 v[110:111], -v[110:111], v[130:131], v[128:129]
	s_nop 1
	v_div_fmas_f64 v[110:111], v[110:111], v[126:127], v[130:131]
	v_div_fixup_f64 v[108:109], v[110:111], v[108:109], 1.0
	v_mul_f64 v[110:111], v[124:125], -v[108:109]
.LBB52_450:
	s_or_b64 exec, exec, s[16:17]
.LBB52_451:
	s_or_b64 exec, exec, s[0:1]
	v_cmp_ne_u32_e32 vcc, v121, v118
	s_and_saveexec_b64 s[0:1], vcc
	s_xor_b64 s[0:1], exec, s[0:1]
	s_cbranch_execz .LBB52_457
; %bb.452:
	v_cmp_eq_u32_e32 vcc, 21, v121
	s_and_saveexec_b64 s[16:17], vcc
	s_cbranch_execz .LBB52_456
; %bb.453:
	v_cmp_ne_u32_e32 vcc, 21, v118
	s_xor_b64 s[18:19], s[14:15], -1
	s_and_b64 s[22:23], s[18:19], vcc
	s_and_saveexec_b64 s[18:19], s[22:23]
	s_cbranch_execz .LBB52_455
; %bb.454:
	v_ashrrev_i32_e32 v119, 31, v118
	v_lshl_add_u64 v[124:125], v[118:119], 2, v[116:117]
	global_load_dword v119, v[124:125], off
	global_load_dword v121, v[116:117], off offset:84
	s_waitcnt vmcnt(1)
	global_store_dword v[116:117], v119, off offset:84
	s_waitcnt vmcnt(1)
	global_store_dword v[124:125], v121, off
.LBB52_455:
	s_or_b64 exec, exec, s[18:19]
	v_mov_b32_e32 v121, v118
	v_mov_b32_e32 v122, v118
.LBB52_456:
	s_or_b64 exec, exec, s[16:17]
.LBB52_457:
	s_andn2_saveexec_b64 s[0:1], s[0:1]
	s_cbranch_execz .LBB52_459
; %bb.458:
	v_mov_b32_e32 v121, 21
	s_waitcnt vmcnt(4)
	ds_write2_b64 v120, v[12:13], v[14:15] offset0:44 offset1:45
	s_waitcnt vmcnt(3)
	ds_write2_b64 v120, v[8:9], v[10:11] offset0:46 offset1:47
	;; [unrolled: 2-line block ×5, first 2 shown]
.LBB52_459:
	s_or_b64 exec, exec, s[0:1]
	v_cmp_lt_i32_e32 vcc, 21, v121
	s_waitcnt lgkmcnt(0)
	s_barrier
	s_and_saveexec_b64 s[0:1], vcc
	s_cbranch_execz .LBB52_461
; %bb.460:
	ds_read2_b64 v[124:127], v120 offset0:44 offset1:45
	v_mul_f64 v[118:119], v[108:109], v[18:19]
	v_fmac_f64_e32 v[118:119], v[110:111], v[16:17]
	v_mul_f64 v[18:19], v[110:111], v[18:19]
	v_fma_f64 v[16:17], v[108:109], v[16:17], -v[18:19]
	ds_read2_b64 v[108:111], v120 offset0:46 offset1:47
	s_waitcnt lgkmcnt(1)
	v_mul_f64 v[18:19], v[126:127], v[118:119]
	v_fma_f64 v[18:19], v[124:125], v[16:17], -v[18:19]
	v_mul_f64 v[124:125], v[124:125], v[118:119]
	v_fmac_f64_e32 v[124:125], v[126:127], v[16:17]
	s_waitcnt vmcnt(4)
	v_add_f64 v[14:15], v[14:15], -v[124:125]
	ds_read2_b64 v[124:127], v120 offset0:48 offset1:49
	v_add_f64 v[12:13], v[12:13], -v[18:19]
	s_waitcnt lgkmcnt(1)
	v_mul_f64 v[18:19], v[110:111], v[118:119]
	v_fma_f64 v[18:19], v[108:109], v[16:17], -v[18:19]
	v_mul_f64 v[108:109], v[108:109], v[118:119]
	v_fmac_f64_e32 v[108:109], v[110:111], v[16:17]
	s_waitcnt vmcnt(3)
	v_add_f64 v[8:9], v[8:9], -v[18:19]
	v_add_f64 v[10:11], v[10:11], -v[108:109]
	ds_read2_b64 v[108:111], v120 offset0:50 offset1:51
	s_waitcnt lgkmcnt(1)
	v_mul_f64 v[18:19], v[126:127], v[118:119]
	v_fma_f64 v[18:19], v[124:125], v[16:17], -v[18:19]
	v_mul_f64 v[124:125], v[124:125], v[118:119]
	v_fmac_f64_e32 v[124:125], v[126:127], v[16:17]
	s_waitcnt vmcnt(2)
	v_add_f64 v[6:7], v[6:7], -v[124:125]
	ds_read2_b64 v[124:127], v120 offset0:52 offset1:53
	v_add_f64 v[4:5], v[4:5], -v[18:19]
	s_waitcnt lgkmcnt(1)
	v_mul_f64 v[18:19], v[110:111], v[118:119]
	v_fma_f64 v[18:19], v[108:109], v[16:17], -v[18:19]
	v_mul_f64 v[108:109], v[108:109], v[118:119]
	v_fmac_f64_e32 v[108:109], v[110:111], v[16:17]
	s_waitcnt vmcnt(1)
	v_add_f64 v[0:1], v[0:1], -v[18:19]
	v_add_f64 v[2:3], v[2:3], -v[108:109]
	s_waitcnt lgkmcnt(0)
	v_mul_f64 v[18:19], v[126:127], v[118:119]
	v_mul_f64 v[108:109], v[124:125], v[118:119]
	v_fma_f64 v[18:19], v[124:125], v[16:17], -v[18:19]
	v_fmac_f64_e32 v[108:109], v[126:127], v[16:17]
	s_waitcnt vmcnt(0)
	v_add_f64 v[104:105], v[104:105], -v[18:19]
	v_add_f64 v[106:107], v[106:107], -v[108:109]
	v_mov_b64_e32 v[18:19], v[118:119]
.LBB52_461:
	s_or_b64 exec, exec, s[0:1]
	v_lshl_add_u32 v108, v121, 4, v120
	s_barrier
	s_waitcnt vmcnt(4)
	ds_write2_b64 v108, v[12:13], v[14:15] offset1:1
	s_waitcnt lgkmcnt(0)
	s_barrier
	ds_read2_b64 v[108:111], v120 offset0:44 offset1:45
	s_cmp_lt_i32 s20, 24
	v_mov_b32_e32 v118, 22
	s_cbranch_scc1 .LBB52_464
; %bb.462:
	v_add_u32_e32 v119, 0x170, v120
	s_mov_b32 s16, 23
	v_mov_b32_e32 v118, 22
.LBB52_463:                             ; =>This Inner Loop Header: Depth=1
	ds_read2_b64 v[124:127], v119 offset1:1
	s_waitcnt lgkmcnt(1)
	v_xor_b32_e32 v129, 0x80000000, v109
	v_xor_b32_e32 v131, 0x80000000, v111
	v_cmp_gt_f64_e32 vcc, 0, v[110:111]
	v_cmp_gt_f64_e64 s[0:1], 0, v[108:109]
	v_mov_b32_e32 v128, v108
	v_mov_b32_e32 v130, v110
	v_cndmask_b32_e64 v129, v109, v129, s[0:1]
	v_cndmask_b32_e32 v131, v111, v131, vcc
	v_add_f64 v[128:129], v[128:129], v[130:131]
	s_waitcnt lgkmcnt(0)
	v_xor_b32_e32 v131, 0x80000000, v125
	v_xor_b32_e32 v133, 0x80000000, v127
	v_cmp_gt_f64_e32 vcc, 0, v[126:127]
	v_cmp_gt_f64_e64 s[0:1], 0, v[124:125]
	v_mov_b32_e32 v130, v124
	v_mov_b32_e32 v132, v126
	v_cndmask_b32_e64 v131, v125, v131, s[0:1]
	v_cndmask_b32_e32 v133, v127, v133, vcc
	v_add_f64 v[130:131], v[130:131], v[132:133]
	v_mov_b32_e32 v134, s16
	s_add_i32 s16, s16, 1
	v_cmp_lt_f64_e32 vcc, v[128:129], v[130:131]
	v_add_u32_e32 v119, 16, v119
	s_cmp_lg_u32 s20, s16
	v_cndmask_b32_e32 v109, v109, v125, vcc
	v_cndmask_b32_e32 v108, v108, v124, vcc
	;; [unrolled: 1-line block ×5, first 2 shown]
	s_cbranch_scc1 .LBB52_463
.LBB52_464:
	s_waitcnt lgkmcnt(0)
	v_cmp_eq_f64_e32 vcc, 0, v[108:109]
	v_cmp_eq_f64_e64 s[0:1], 0, v[110:111]
	s_and_b64 s[0:1], vcc, s[0:1]
	s_and_saveexec_b64 s[16:17], s[0:1]
	s_xor_b64 s[0:1], exec, s[16:17]
; %bb.465:
	v_cmp_ne_u32_e32 vcc, 0, v123
	s_nop 1
	v_cndmask_b32_e32 v123, 23, v123, vcc
; %bb.466:
	s_andn2_saveexec_b64 s[0:1], s[0:1]
	s_cbranch_execz .LBB52_472
; %bb.467:
	v_cmp_ngt_f64_e64 s[16:17], |v[108:109]|, |v[110:111]|
	s_and_saveexec_b64 s[18:19], s[16:17]
	s_xor_b64 s[16:17], exec, s[18:19]
	s_cbranch_execz .LBB52_469
; %bb.468:
	v_div_scale_f64 v[124:125], s[18:19], v[110:111], v[110:111], v[108:109]
	v_rcp_f64_e32 v[126:127], v[124:125]
	v_div_scale_f64 v[128:129], vcc, v[108:109], v[110:111], v[108:109]
	v_fma_f64 v[130:131], -v[124:125], v[126:127], 1.0
	v_fmac_f64_e32 v[126:127], v[126:127], v[130:131]
	v_fma_f64 v[130:131], -v[124:125], v[126:127], 1.0
	v_fmac_f64_e32 v[126:127], v[126:127], v[130:131]
	v_mul_f64 v[130:131], v[128:129], v[126:127]
	v_fma_f64 v[124:125], -v[124:125], v[130:131], v[128:129]
	v_div_fmas_f64 v[124:125], v[124:125], v[126:127], v[130:131]
	v_div_fixup_f64 v[124:125], v[124:125], v[110:111], v[108:109]
	v_fmac_f64_e32 v[110:111], v[108:109], v[124:125]
	v_div_scale_f64 v[108:109], s[18:19], v[110:111], v[110:111], 1.0
	v_rcp_f64_e32 v[126:127], v[108:109]
	s_nop 0
	v_fma_f64 v[128:129], -v[108:109], v[126:127], 1.0
	v_fmac_f64_e32 v[126:127], v[126:127], v[128:129]
	v_fma_f64 v[128:129], -v[108:109], v[126:127], 1.0
	v_fmac_f64_e32 v[126:127], v[126:127], v[128:129]
	v_div_scale_f64 v[128:129], vcc, 1.0, v[110:111], 1.0
	v_mul_f64 v[130:131], v[128:129], v[126:127]
	v_fma_f64 v[108:109], -v[108:109], v[130:131], v[128:129]
	s_nop 1
	v_div_fmas_f64 v[108:109], v[108:109], v[126:127], v[130:131]
	v_div_fixup_f64 v[110:111], v[108:109], v[110:111], 1.0
	v_mul_f64 v[108:109], v[124:125], v[110:111]
	v_xor_b32_e32 v111, 0x80000000, v111
.LBB52_469:
	s_andn2_saveexec_b64 s[16:17], s[16:17]
	s_cbranch_execz .LBB52_471
; %bb.470:
	v_div_scale_f64 v[124:125], s[18:19], v[108:109], v[108:109], v[110:111]
	v_rcp_f64_e32 v[126:127], v[124:125]
	v_div_scale_f64 v[128:129], vcc, v[110:111], v[108:109], v[110:111]
	v_fma_f64 v[130:131], -v[124:125], v[126:127], 1.0
	v_fmac_f64_e32 v[126:127], v[126:127], v[130:131]
	v_fma_f64 v[130:131], -v[124:125], v[126:127], 1.0
	v_fmac_f64_e32 v[126:127], v[126:127], v[130:131]
	v_mul_f64 v[130:131], v[128:129], v[126:127]
	v_fma_f64 v[124:125], -v[124:125], v[130:131], v[128:129]
	v_div_fmas_f64 v[124:125], v[124:125], v[126:127], v[130:131]
	v_div_fixup_f64 v[124:125], v[124:125], v[108:109], v[110:111]
	v_fmac_f64_e32 v[108:109], v[110:111], v[124:125]
	v_div_scale_f64 v[110:111], s[18:19], v[108:109], v[108:109], 1.0
	v_rcp_f64_e32 v[126:127], v[110:111]
	s_nop 0
	v_fma_f64 v[128:129], -v[110:111], v[126:127], 1.0
	v_fmac_f64_e32 v[126:127], v[126:127], v[128:129]
	v_fma_f64 v[128:129], -v[110:111], v[126:127], 1.0
	v_fmac_f64_e32 v[126:127], v[126:127], v[128:129]
	v_div_scale_f64 v[128:129], vcc, 1.0, v[108:109], 1.0
	v_mul_f64 v[130:131], v[128:129], v[126:127]
	v_fma_f64 v[110:111], -v[110:111], v[130:131], v[128:129]
	s_nop 1
	v_div_fmas_f64 v[110:111], v[110:111], v[126:127], v[130:131]
	v_div_fixup_f64 v[108:109], v[110:111], v[108:109], 1.0
	v_mul_f64 v[110:111], v[124:125], -v[108:109]
.LBB52_471:
	s_or_b64 exec, exec, s[16:17]
.LBB52_472:
	s_or_b64 exec, exec, s[0:1]
	v_cmp_ne_u32_e32 vcc, v121, v118
	s_and_saveexec_b64 s[0:1], vcc
	s_xor_b64 s[0:1], exec, s[0:1]
	s_cbranch_execz .LBB52_478
; %bb.473:
	v_cmp_eq_u32_e32 vcc, 22, v121
	s_and_saveexec_b64 s[16:17], vcc
	s_cbranch_execz .LBB52_477
; %bb.474:
	v_cmp_ne_u32_e32 vcc, 22, v118
	s_xor_b64 s[18:19], s[14:15], -1
	s_and_b64 s[22:23], s[18:19], vcc
	s_and_saveexec_b64 s[18:19], s[22:23]
	s_cbranch_execz .LBB52_476
; %bb.475:
	v_ashrrev_i32_e32 v119, 31, v118
	v_lshl_add_u64 v[124:125], v[118:119], 2, v[116:117]
	global_load_dword v119, v[124:125], off
	global_load_dword v121, v[116:117], off offset:88
	s_waitcnt vmcnt(1)
	global_store_dword v[116:117], v119, off offset:88
	s_waitcnt vmcnt(1)
	global_store_dword v[124:125], v121, off
.LBB52_476:
	s_or_b64 exec, exec, s[18:19]
	v_mov_b32_e32 v121, v118
	v_mov_b32_e32 v122, v118
.LBB52_477:
	s_or_b64 exec, exec, s[16:17]
.LBB52_478:
	s_andn2_saveexec_b64 s[0:1], s[0:1]
	s_cbranch_execz .LBB52_480
; %bb.479:
	v_mov_b32_e32 v121, 22
	s_waitcnt vmcnt(3)
	ds_write2_b64 v120, v[8:9], v[10:11] offset0:46 offset1:47
	s_waitcnt vmcnt(2)
	ds_write2_b64 v120, v[4:5], v[6:7] offset0:48 offset1:49
	;; [unrolled: 2-line block ×4, first 2 shown]
.LBB52_480:
	s_or_b64 exec, exec, s[0:1]
	v_cmp_lt_i32_e32 vcc, 22, v121
	s_waitcnt lgkmcnt(0)
	s_barrier
	s_and_saveexec_b64 s[0:1], vcc
	s_cbranch_execz .LBB52_482
; %bb.481:
	ds_read2_b64 v[124:127], v120 offset0:46 offset1:47
	v_mul_f64 v[118:119], v[108:109], v[14:15]
	v_mul_f64 v[14:15], v[110:111], v[14:15]
	v_fmac_f64_e32 v[118:119], v[110:111], v[12:13]
	v_fma_f64 v[12:13], v[108:109], v[12:13], -v[14:15]
	ds_read2_b64 v[108:111], v120 offset0:48 offset1:49
	s_waitcnt lgkmcnt(1)
	v_mul_f64 v[14:15], v[126:127], v[118:119]
	v_fma_f64 v[14:15], v[124:125], v[12:13], -v[14:15]
	v_mul_f64 v[124:125], v[124:125], v[118:119]
	v_fmac_f64_e32 v[124:125], v[126:127], v[12:13]
	s_waitcnt vmcnt(3)
	v_add_f64 v[8:9], v[8:9], -v[14:15]
	s_waitcnt lgkmcnt(0)
	v_mul_f64 v[14:15], v[110:111], v[118:119]
	v_add_f64 v[10:11], v[10:11], -v[124:125]
	v_fma_f64 v[14:15], v[108:109], v[12:13], -v[14:15]
	v_mul_f64 v[108:109], v[108:109], v[118:119]
	ds_read2_b64 v[124:127], v120 offset0:50 offset1:51
	v_fmac_f64_e32 v[108:109], v[110:111], v[12:13]
	s_waitcnt vmcnt(2)
	v_add_f64 v[6:7], v[6:7], -v[108:109]
	ds_read2_b64 v[108:111], v120 offset0:52 offset1:53
	v_add_f64 v[4:5], v[4:5], -v[14:15]
	s_waitcnt lgkmcnt(1)
	v_mul_f64 v[14:15], v[126:127], v[118:119]
	v_fma_f64 v[14:15], v[124:125], v[12:13], -v[14:15]
	s_waitcnt vmcnt(1)
	v_add_f64 v[0:1], v[0:1], -v[14:15]
	s_waitcnt lgkmcnt(0)
	v_mul_f64 v[14:15], v[110:111], v[118:119]
	v_mul_f64 v[124:125], v[124:125], v[118:119]
	v_fma_f64 v[14:15], v[108:109], v[12:13], -v[14:15]
	v_mul_f64 v[108:109], v[108:109], v[118:119]
	v_fmac_f64_e32 v[124:125], v[126:127], v[12:13]
	v_fmac_f64_e32 v[108:109], v[110:111], v[12:13]
	v_add_f64 v[2:3], v[2:3], -v[124:125]
	s_waitcnt vmcnt(0)
	v_add_f64 v[104:105], v[104:105], -v[14:15]
	v_add_f64 v[106:107], v[106:107], -v[108:109]
	v_mov_b64_e32 v[14:15], v[118:119]
.LBB52_482:
	s_or_b64 exec, exec, s[0:1]
	v_lshl_add_u32 v108, v121, 4, v120
	s_barrier
	s_waitcnt vmcnt(3)
	ds_write2_b64 v108, v[8:9], v[10:11] offset1:1
	s_waitcnt lgkmcnt(0)
	s_barrier
	ds_read2_b64 v[108:111], v120 offset0:46 offset1:47
	s_cmp_lt_i32 s20, 25
	v_mov_b32_e32 v118, 23
	s_cbranch_scc1 .LBB52_485
; %bb.483:
	v_add_u32_e32 v119, 0x180, v120
	s_mov_b32 s16, 24
	v_mov_b32_e32 v118, 23
.LBB52_484:                             ; =>This Inner Loop Header: Depth=1
	ds_read2_b64 v[124:127], v119 offset1:1
	s_waitcnt lgkmcnt(1)
	v_xor_b32_e32 v129, 0x80000000, v109
	v_xor_b32_e32 v131, 0x80000000, v111
	v_cmp_gt_f64_e32 vcc, 0, v[110:111]
	v_cmp_gt_f64_e64 s[0:1], 0, v[108:109]
	v_mov_b32_e32 v128, v108
	v_mov_b32_e32 v130, v110
	v_cndmask_b32_e64 v129, v109, v129, s[0:1]
	v_cndmask_b32_e32 v131, v111, v131, vcc
	v_add_f64 v[128:129], v[128:129], v[130:131]
	s_waitcnt lgkmcnt(0)
	v_xor_b32_e32 v131, 0x80000000, v125
	v_xor_b32_e32 v133, 0x80000000, v127
	v_cmp_gt_f64_e32 vcc, 0, v[126:127]
	v_cmp_gt_f64_e64 s[0:1], 0, v[124:125]
	v_mov_b32_e32 v130, v124
	v_mov_b32_e32 v132, v126
	v_cndmask_b32_e64 v131, v125, v131, s[0:1]
	v_cndmask_b32_e32 v133, v127, v133, vcc
	v_add_f64 v[130:131], v[130:131], v[132:133]
	v_mov_b32_e32 v134, s16
	s_add_i32 s16, s16, 1
	v_cmp_lt_f64_e32 vcc, v[128:129], v[130:131]
	v_add_u32_e32 v119, 16, v119
	s_cmp_lg_u32 s20, s16
	v_cndmask_b32_e32 v109, v109, v125, vcc
	v_cndmask_b32_e32 v108, v108, v124, vcc
	;; [unrolled: 1-line block ×5, first 2 shown]
	s_cbranch_scc1 .LBB52_484
.LBB52_485:
	s_waitcnt lgkmcnt(0)
	v_cmp_eq_f64_e32 vcc, 0, v[108:109]
	v_cmp_eq_f64_e64 s[0:1], 0, v[110:111]
	s_and_b64 s[0:1], vcc, s[0:1]
	s_and_saveexec_b64 s[16:17], s[0:1]
	s_xor_b64 s[0:1], exec, s[16:17]
; %bb.486:
	v_cmp_ne_u32_e32 vcc, 0, v123
	s_nop 1
	v_cndmask_b32_e32 v123, 24, v123, vcc
; %bb.487:
	s_andn2_saveexec_b64 s[0:1], s[0:1]
	s_cbranch_execz .LBB52_493
; %bb.488:
	v_cmp_ngt_f64_e64 s[16:17], |v[108:109]|, |v[110:111]|
	s_and_saveexec_b64 s[18:19], s[16:17]
	s_xor_b64 s[16:17], exec, s[18:19]
	s_cbranch_execz .LBB52_490
; %bb.489:
	v_div_scale_f64 v[124:125], s[18:19], v[110:111], v[110:111], v[108:109]
	v_rcp_f64_e32 v[126:127], v[124:125]
	v_div_scale_f64 v[128:129], vcc, v[108:109], v[110:111], v[108:109]
	v_fma_f64 v[130:131], -v[124:125], v[126:127], 1.0
	v_fmac_f64_e32 v[126:127], v[126:127], v[130:131]
	v_fma_f64 v[130:131], -v[124:125], v[126:127], 1.0
	v_fmac_f64_e32 v[126:127], v[126:127], v[130:131]
	v_mul_f64 v[130:131], v[128:129], v[126:127]
	v_fma_f64 v[124:125], -v[124:125], v[130:131], v[128:129]
	v_div_fmas_f64 v[124:125], v[124:125], v[126:127], v[130:131]
	v_div_fixup_f64 v[124:125], v[124:125], v[110:111], v[108:109]
	v_fmac_f64_e32 v[110:111], v[108:109], v[124:125]
	v_div_scale_f64 v[108:109], s[18:19], v[110:111], v[110:111], 1.0
	v_rcp_f64_e32 v[126:127], v[108:109]
	s_nop 0
	v_fma_f64 v[128:129], -v[108:109], v[126:127], 1.0
	v_fmac_f64_e32 v[126:127], v[126:127], v[128:129]
	v_fma_f64 v[128:129], -v[108:109], v[126:127], 1.0
	v_fmac_f64_e32 v[126:127], v[126:127], v[128:129]
	v_div_scale_f64 v[128:129], vcc, 1.0, v[110:111], 1.0
	v_mul_f64 v[130:131], v[128:129], v[126:127]
	v_fma_f64 v[108:109], -v[108:109], v[130:131], v[128:129]
	s_nop 1
	v_div_fmas_f64 v[108:109], v[108:109], v[126:127], v[130:131]
	v_div_fixup_f64 v[110:111], v[108:109], v[110:111], 1.0
	v_mul_f64 v[108:109], v[124:125], v[110:111]
	v_xor_b32_e32 v111, 0x80000000, v111
.LBB52_490:
	s_andn2_saveexec_b64 s[16:17], s[16:17]
	s_cbranch_execz .LBB52_492
; %bb.491:
	v_div_scale_f64 v[124:125], s[18:19], v[108:109], v[108:109], v[110:111]
	v_rcp_f64_e32 v[126:127], v[124:125]
	v_div_scale_f64 v[128:129], vcc, v[110:111], v[108:109], v[110:111]
	v_fma_f64 v[130:131], -v[124:125], v[126:127], 1.0
	v_fmac_f64_e32 v[126:127], v[126:127], v[130:131]
	v_fma_f64 v[130:131], -v[124:125], v[126:127], 1.0
	v_fmac_f64_e32 v[126:127], v[126:127], v[130:131]
	v_mul_f64 v[130:131], v[128:129], v[126:127]
	v_fma_f64 v[124:125], -v[124:125], v[130:131], v[128:129]
	v_div_fmas_f64 v[124:125], v[124:125], v[126:127], v[130:131]
	v_div_fixup_f64 v[124:125], v[124:125], v[108:109], v[110:111]
	v_fmac_f64_e32 v[108:109], v[110:111], v[124:125]
	v_div_scale_f64 v[110:111], s[18:19], v[108:109], v[108:109], 1.0
	v_rcp_f64_e32 v[126:127], v[110:111]
	s_nop 0
	v_fma_f64 v[128:129], -v[110:111], v[126:127], 1.0
	v_fmac_f64_e32 v[126:127], v[126:127], v[128:129]
	v_fma_f64 v[128:129], -v[110:111], v[126:127], 1.0
	v_fmac_f64_e32 v[126:127], v[126:127], v[128:129]
	v_div_scale_f64 v[128:129], vcc, 1.0, v[108:109], 1.0
	v_mul_f64 v[130:131], v[128:129], v[126:127]
	v_fma_f64 v[110:111], -v[110:111], v[130:131], v[128:129]
	s_nop 1
	v_div_fmas_f64 v[110:111], v[110:111], v[126:127], v[130:131]
	v_div_fixup_f64 v[108:109], v[110:111], v[108:109], 1.0
	v_mul_f64 v[110:111], v[124:125], -v[108:109]
.LBB52_492:
	s_or_b64 exec, exec, s[16:17]
.LBB52_493:
	s_or_b64 exec, exec, s[0:1]
	v_cmp_ne_u32_e32 vcc, v121, v118
	s_and_saveexec_b64 s[0:1], vcc
	s_xor_b64 s[0:1], exec, s[0:1]
	s_cbranch_execz .LBB52_499
; %bb.494:
	v_cmp_eq_u32_e32 vcc, 23, v121
	s_and_saveexec_b64 s[16:17], vcc
	s_cbranch_execz .LBB52_498
; %bb.495:
	v_cmp_ne_u32_e32 vcc, 23, v118
	s_xor_b64 s[18:19], s[14:15], -1
	s_and_b64 s[22:23], s[18:19], vcc
	s_and_saveexec_b64 s[18:19], s[22:23]
	s_cbranch_execz .LBB52_497
; %bb.496:
	v_ashrrev_i32_e32 v119, 31, v118
	v_lshl_add_u64 v[124:125], v[118:119], 2, v[116:117]
	global_load_dword v119, v[124:125], off
	global_load_dword v121, v[116:117], off offset:92
	s_waitcnt vmcnt(1)
	global_store_dword v[116:117], v119, off offset:92
	s_waitcnt vmcnt(1)
	global_store_dword v[124:125], v121, off
.LBB52_497:
	s_or_b64 exec, exec, s[18:19]
	v_mov_b32_e32 v121, v118
	v_mov_b32_e32 v122, v118
.LBB52_498:
	s_or_b64 exec, exec, s[16:17]
.LBB52_499:
	s_andn2_saveexec_b64 s[0:1], s[0:1]
	s_cbranch_execz .LBB52_501
; %bb.500:
	v_mov_b32_e32 v121, 23
	s_waitcnt vmcnt(2)
	ds_write2_b64 v120, v[4:5], v[6:7] offset0:48 offset1:49
	s_waitcnt vmcnt(1)
	ds_write2_b64 v120, v[0:1], v[2:3] offset0:50 offset1:51
	;; [unrolled: 2-line block ×3, first 2 shown]
.LBB52_501:
	s_or_b64 exec, exec, s[0:1]
	v_cmp_lt_i32_e32 vcc, 23, v121
	s_waitcnt lgkmcnt(0)
	s_barrier
	s_and_saveexec_b64 s[0:1], vcc
	s_cbranch_execz .LBB52_503
; %bb.502:
	ds_read2_b64 v[124:127], v120 offset0:48 offset1:49
	v_mul_f64 v[118:119], v[108:109], v[10:11]
	v_fmac_f64_e32 v[118:119], v[110:111], v[8:9]
	v_mul_f64 v[10:11], v[110:111], v[10:11]
	v_fma_f64 v[8:9], v[108:109], v[8:9], -v[10:11]
	ds_read2_b64 v[108:111], v120 offset0:50 offset1:51
	s_waitcnt lgkmcnt(1)
	v_mul_f64 v[10:11], v[126:127], v[118:119]
	v_fma_f64 v[10:11], v[124:125], v[8:9], -v[10:11]
	v_mul_f64 v[124:125], v[124:125], v[118:119]
	v_fmac_f64_e32 v[124:125], v[126:127], v[8:9]
	s_waitcnt vmcnt(2)
	v_add_f64 v[6:7], v[6:7], -v[124:125]
	ds_read2_b64 v[124:127], v120 offset0:52 offset1:53
	v_add_f64 v[4:5], v[4:5], -v[10:11]
	s_waitcnt lgkmcnt(1)
	v_mul_f64 v[10:11], v[110:111], v[118:119]
	v_fma_f64 v[10:11], v[108:109], v[8:9], -v[10:11]
	v_mul_f64 v[108:109], v[108:109], v[118:119]
	v_fmac_f64_e32 v[108:109], v[110:111], v[8:9]
	s_waitcnt vmcnt(1)
	v_add_f64 v[0:1], v[0:1], -v[10:11]
	v_add_f64 v[2:3], v[2:3], -v[108:109]
	s_waitcnt lgkmcnt(0)
	v_mul_f64 v[10:11], v[126:127], v[118:119]
	v_mul_f64 v[108:109], v[124:125], v[118:119]
	v_fma_f64 v[10:11], v[124:125], v[8:9], -v[10:11]
	v_fmac_f64_e32 v[108:109], v[126:127], v[8:9]
	s_waitcnt vmcnt(0)
	v_add_f64 v[104:105], v[104:105], -v[10:11]
	v_add_f64 v[106:107], v[106:107], -v[108:109]
	v_mov_b64_e32 v[10:11], v[118:119]
.LBB52_503:
	s_or_b64 exec, exec, s[0:1]
	v_lshl_add_u32 v108, v121, 4, v120
	s_barrier
	s_waitcnt vmcnt(2)
	ds_write2_b64 v108, v[4:5], v[6:7] offset1:1
	s_waitcnt lgkmcnt(0)
	s_barrier
	ds_read2_b64 v[108:111], v120 offset0:48 offset1:49
	s_cmp_lt_i32 s20, 26
	v_mov_b32_e32 v118, 24
	s_cbranch_scc1 .LBB52_506
; %bb.504:
	v_add_u32_e32 v119, 0x190, v120
	s_mov_b32 s16, 25
	v_mov_b32_e32 v118, 24
.LBB52_505:                             ; =>This Inner Loop Header: Depth=1
	ds_read2_b64 v[124:127], v119 offset1:1
	s_waitcnt lgkmcnt(1)
	v_xor_b32_e32 v129, 0x80000000, v109
	v_xor_b32_e32 v131, 0x80000000, v111
	v_cmp_gt_f64_e32 vcc, 0, v[110:111]
	v_cmp_gt_f64_e64 s[0:1], 0, v[108:109]
	v_mov_b32_e32 v128, v108
	v_mov_b32_e32 v130, v110
	v_cndmask_b32_e64 v129, v109, v129, s[0:1]
	v_cndmask_b32_e32 v131, v111, v131, vcc
	v_add_f64 v[128:129], v[128:129], v[130:131]
	s_waitcnt lgkmcnt(0)
	v_xor_b32_e32 v131, 0x80000000, v125
	v_xor_b32_e32 v133, 0x80000000, v127
	v_cmp_gt_f64_e32 vcc, 0, v[126:127]
	v_cmp_gt_f64_e64 s[0:1], 0, v[124:125]
	v_mov_b32_e32 v130, v124
	v_mov_b32_e32 v132, v126
	v_cndmask_b32_e64 v131, v125, v131, s[0:1]
	v_cndmask_b32_e32 v133, v127, v133, vcc
	v_add_f64 v[130:131], v[130:131], v[132:133]
	v_mov_b32_e32 v134, s16
	s_add_i32 s16, s16, 1
	v_cmp_lt_f64_e32 vcc, v[128:129], v[130:131]
	v_add_u32_e32 v119, 16, v119
	s_cmp_lg_u32 s20, s16
	v_cndmask_b32_e32 v109, v109, v125, vcc
	v_cndmask_b32_e32 v108, v108, v124, vcc
	;; [unrolled: 1-line block ×5, first 2 shown]
	s_cbranch_scc1 .LBB52_505
.LBB52_506:
	s_waitcnt lgkmcnt(0)
	v_cmp_eq_f64_e32 vcc, 0, v[108:109]
	v_cmp_eq_f64_e64 s[0:1], 0, v[110:111]
	s_and_b64 s[0:1], vcc, s[0:1]
	s_and_saveexec_b64 s[16:17], s[0:1]
	s_xor_b64 s[0:1], exec, s[16:17]
; %bb.507:
	v_cmp_ne_u32_e32 vcc, 0, v123
	s_nop 1
	v_cndmask_b32_e32 v123, 25, v123, vcc
; %bb.508:
	s_andn2_saveexec_b64 s[0:1], s[0:1]
	s_cbranch_execz .LBB52_514
; %bb.509:
	v_cmp_ngt_f64_e64 s[16:17], |v[108:109]|, |v[110:111]|
	s_and_saveexec_b64 s[18:19], s[16:17]
	s_xor_b64 s[16:17], exec, s[18:19]
	s_cbranch_execz .LBB52_511
; %bb.510:
	v_div_scale_f64 v[124:125], s[18:19], v[110:111], v[110:111], v[108:109]
	v_rcp_f64_e32 v[126:127], v[124:125]
	v_div_scale_f64 v[128:129], vcc, v[108:109], v[110:111], v[108:109]
	v_fma_f64 v[130:131], -v[124:125], v[126:127], 1.0
	v_fmac_f64_e32 v[126:127], v[126:127], v[130:131]
	v_fma_f64 v[130:131], -v[124:125], v[126:127], 1.0
	v_fmac_f64_e32 v[126:127], v[126:127], v[130:131]
	v_mul_f64 v[130:131], v[128:129], v[126:127]
	v_fma_f64 v[124:125], -v[124:125], v[130:131], v[128:129]
	v_div_fmas_f64 v[124:125], v[124:125], v[126:127], v[130:131]
	v_div_fixup_f64 v[124:125], v[124:125], v[110:111], v[108:109]
	v_fmac_f64_e32 v[110:111], v[108:109], v[124:125]
	v_div_scale_f64 v[108:109], s[18:19], v[110:111], v[110:111], 1.0
	v_rcp_f64_e32 v[126:127], v[108:109]
	s_nop 0
	v_fma_f64 v[128:129], -v[108:109], v[126:127], 1.0
	v_fmac_f64_e32 v[126:127], v[126:127], v[128:129]
	v_fma_f64 v[128:129], -v[108:109], v[126:127], 1.0
	v_fmac_f64_e32 v[126:127], v[126:127], v[128:129]
	v_div_scale_f64 v[128:129], vcc, 1.0, v[110:111], 1.0
	v_mul_f64 v[130:131], v[128:129], v[126:127]
	v_fma_f64 v[108:109], -v[108:109], v[130:131], v[128:129]
	s_nop 1
	v_div_fmas_f64 v[108:109], v[108:109], v[126:127], v[130:131]
	v_div_fixup_f64 v[110:111], v[108:109], v[110:111], 1.0
	v_mul_f64 v[108:109], v[124:125], v[110:111]
	v_xor_b32_e32 v111, 0x80000000, v111
.LBB52_511:
	s_andn2_saveexec_b64 s[16:17], s[16:17]
	s_cbranch_execz .LBB52_513
; %bb.512:
	v_div_scale_f64 v[124:125], s[18:19], v[108:109], v[108:109], v[110:111]
	v_rcp_f64_e32 v[126:127], v[124:125]
	v_div_scale_f64 v[128:129], vcc, v[110:111], v[108:109], v[110:111]
	v_fma_f64 v[130:131], -v[124:125], v[126:127], 1.0
	v_fmac_f64_e32 v[126:127], v[126:127], v[130:131]
	v_fma_f64 v[130:131], -v[124:125], v[126:127], 1.0
	v_fmac_f64_e32 v[126:127], v[126:127], v[130:131]
	v_mul_f64 v[130:131], v[128:129], v[126:127]
	v_fma_f64 v[124:125], -v[124:125], v[130:131], v[128:129]
	v_div_fmas_f64 v[124:125], v[124:125], v[126:127], v[130:131]
	v_div_fixup_f64 v[124:125], v[124:125], v[108:109], v[110:111]
	v_fmac_f64_e32 v[108:109], v[110:111], v[124:125]
	v_div_scale_f64 v[110:111], s[18:19], v[108:109], v[108:109], 1.0
	v_rcp_f64_e32 v[126:127], v[110:111]
	s_nop 0
	v_fma_f64 v[128:129], -v[110:111], v[126:127], 1.0
	v_fmac_f64_e32 v[126:127], v[126:127], v[128:129]
	v_fma_f64 v[128:129], -v[110:111], v[126:127], 1.0
	v_fmac_f64_e32 v[126:127], v[126:127], v[128:129]
	v_div_scale_f64 v[128:129], vcc, 1.0, v[108:109], 1.0
	v_mul_f64 v[130:131], v[128:129], v[126:127]
	v_fma_f64 v[110:111], -v[110:111], v[130:131], v[128:129]
	s_nop 1
	v_div_fmas_f64 v[110:111], v[110:111], v[126:127], v[130:131]
	v_div_fixup_f64 v[108:109], v[110:111], v[108:109], 1.0
	v_mul_f64 v[110:111], v[124:125], -v[108:109]
.LBB52_513:
	s_or_b64 exec, exec, s[16:17]
.LBB52_514:
	s_or_b64 exec, exec, s[0:1]
	v_cmp_ne_u32_e32 vcc, v121, v118
	s_and_saveexec_b64 s[0:1], vcc
	s_xor_b64 s[0:1], exec, s[0:1]
	s_cbranch_execz .LBB52_520
; %bb.515:
	v_cmp_eq_u32_e32 vcc, 24, v121
	s_and_saveexec_b64 s[16:17], vcc
	s_cbranch_execz .LBB52_519
; %bb.516:
	v_cmp_ne_u32_e32 vcc, 24, v118
	s_xor_b64 s[18:19], s[14:15], -1
	s_and_b64 s[22:23], s[18:19], vcc
	s_and_saveexec_b64 s[18:19], s[22:23]
	s_cbranch_execz .LBB52_518
; %bb.517:
	v_ashrrev_i32_e32 v119, 31, v118
	v_lshl_add_u64 v[124:125], v[118:119], 2, v[116:117]
	global_load_dword v119, v[124:125], off
	global_load_dword v121, v[116:117], off offset:96
	s_waitcnt vmcnt(1)
	global_store_dword v[116:117], v119, off offset:96
	s_waitcnt vmcnt(1)
	global_store_dword v[124:125], v121, off
.LBB52_518:
	s_or_b64 exec, exec, s[18:19]
	v_mov_b32_e32 v121, v118
	v_mov_b32_e32 v122, v118
.LBB52_519:
	s_or_b64 exec, exec, s[16:17]
.LBB52_520:
	s_andn2_saveexec_b64 s[0:1], s[0:1]
	s_cbranch_execz .LBB52_522
; %bb.521:
	v_mov_b32_e32 v121, 24
	s_waitcnt vmcnt(1)
	ds_write2_b64 v120, v[0:1], v[2:3] offset0:50 offset1:51
	s_waitcnt vmcnt(0)
	ds_write2_b64 v120, v[104:105], v[106:107] offset0:52 offset1:53
.LBB52_522:
	s_or_b64 exec, exec, s[0:1]
	v_cmp_lt_i32_e32 vcc, 24, v121
	s_waitcnt lgkmcnt(0)
	s_barrier
	s_and_saveexec_b64 s[0:1], vcc
	s_cbranch_execz .LBB52_524
; %bb.523:
	ds_read2_b64 v[124:127], v120 offset0:50 offset1:51
	v_mul_f64 v[118:119], v[108:109], v[6:7]
	v_mul_f64 v[6:7], v[110:111], v[6:7]
	v_fmac_f64_e32 v[118:119], v[110:111], v[4:5]
	v_fma_f64 v[4:5], v[108:109], v[4:5], -v[6:7]
	ds_read2_b64 v[108:111], v120 offset0:52 offset1:53
	s_waitcnt lgkmcnt(1)
	v_mul_f64 v[6:7], v[126:127], v[118:119]
	v_fma_f64 v[6:7], v[124:125], v[4:5], -v[6:7]
	s_waitcnt vmcnt(1)
	v_add_f64 v[0:1], v[0:1], -v[6:7]
	v_mul_f64 v[124:125], v[124:125], v[118:119]
	s_waitcnt lgkmcnt(0)
	v_mul_f64 v[6:7], v[110:111], v[118:119]
	v_fma_f64 v[6:7], v[108:109], v[4:5], -v[6:7]
	v_mul_f64 v[108:109], v[108:109], v[118:119]
	v_fmac_f64_e32 v[124:125], v[126:127], v[4:5]
	v_fmac_f64_e32 v[108:109], v[110:111], v[4:5]
	v_add_f64 v[2:3], v[2:3], -v[124:125]
	s_waitcnt vmcnt(0)
	v_add_f64 v[104:105], v[104:105], -v[6:7]
	v_add_f64 v[106:107], v[106:107], -v[108:109]
	v_mov_b64_e32 v[6:7], v[118:119]
.LBB52_524:
	s_or_b64 exec, exec, s[0:1]
	v_lshl_add_u32 v108, v121, 4, v120
	s_barrier
	s_waitcnt vmcnt(1)
	ds_write2_b64 v108, v[0:1], v[2:3] offset1:1
	s_waitcnt lgkmcnt(0)
	s_barrier
	ds_read2_b64 v[108:111], v120 offset0:50 offset1:51
	s_cmp_lt_i32 s20, 27
	v_mov_b32_e32 v118, 25
	s_cbranch_scc1 .LBB52_527
; %bb.525:
	v_add_u32_e32 v119, 0x1a0, v120
	s_mov_b32 s16, 26
	v_mov_b32_e32 v118, 25
.LBB52_526:                             ; =>This Inner Loop Header: Depth=1
	ds_read2_b64 v[124:127], v119 offset1:1
	s_waitcnt lgkmcnt(1)
	v_xor_b32_e32 v129, 0x80000000, v109
	v_xor_b32_e32 v131, 0x80000000, v111
	v_cmp_gt_f64_e32 vcc, 0, v[110:111]
	v_cmp_gt_f64_e64 s[0:1], 0, v[108:109]
	v_mov_b32_e32 v128, v108
	v_mov_b32_e32 v130, v110
	v_cndmask_b32_e64 v129, v109, v129, s[0:1]
	v_cndmask_b32_e32 v131, v111, v131, vcc
	v_add_f64 v[128:129], v[128:129], v[130:131]
	s_waitcnt lgkmcnt(0)
	v_xor_b32_e32 v131, 0x80000000, v125
	v_xor_b32_e32 v133, 0x80000000, v127
	v_cmp_gt_f64_e32 vcc, 0, v[126:127]
	v_cmp_gt_f64_e64 s[0:1], 0, v[124:125]
	v_mov_b32_e32 v130, v124
	v_mov_b32_e32 v132, v126
	v_cndmask_b32_e64 v131, v125, v131, s[0:1]
	v_cndmask_b32_e32 v133, v127, v133, vcc
	v_add_f64 v[130:131], v[130:131], v[132:133]
	v_mov_b32_e32 v134, s16
	s_add_i32 s16, s16, 1
	v_cmp_lt_f64_e32 vcc, v[128:129], v[130:131]
	v_add_u32_e32 v119, 16, v119
	s_cmp_lg_u32 s20, s16
	v_cndmask_b32_e32 v109, v109, v125, vcc
	v_cndmask_b32_e32 v108, v108, v124, vcc
	;; [unrolled: 1-line block ×5, first 2 shown]
	s_cbranch_scc1 .LBB52_526
.LBB52_527:
	s_waitcnt lgkmcnt(0)
	v_cmp_eq_f64_e32 vcc, 0, v[108:109]
	v_cmp_eq_f64_e64 s[0:1], 0, v[110:111]
	s_and_b64 s[0:1], vcc, s[0:1]
	s_and_saveexec_b64 s[16:17], s[0:1]
	s_xor_b64 s[0:1], exec, s[16:17]
; %bb.528:
	v_cmp_ne_u32_e32 vcc, 0, v123
	s_nop 1
	v_cndmask_b32_e32 v123, 26, v123, vcc
; %bb.529:
	s_andn2_saveexec_b64 s[0:1], s[0:1]
	s_cbranch_execz .LBB52_535
; %bb.530:
	v_cmp_ngt_f64_e64 s[16:17], |v[108:109]|, |v[110:111]|
	s_and_saveexec_b64 s[18:19], s[16:17]
	s_xor_b64 s[16:17], exec, s[18:19]
	s_cbranch_execz .LBB52_532
; %bb.531:
	v_div_scale_f64 v[124:125], s[18:19], v[110:111], v[110:111], v[108:109]
	v_rcp_f64_e32 v[126:127], v[124:125]
	v_div_scale_f64 v[128:129], vcc, v[108:109], v[110:111], v[108:109]
	v_fma_f64 v[130:131], -v[124:125], v[126:127], 1.0
	v_fmac_f64_e32 v[126:127], v[126:127], v[130:131]
	v_fma_f64 v[130:131], -v[124:125], v[126:127], 1.0
	v_fmac_f64_e32 v[126:127], v[126:127], v[130:131]
	v_mul_f64 v[130:131], v[128:129], v[126:127]
	v_fma_f64 v[124:125], -v[124:125], v[130:131], v[128:129]
	v_div_fmas_f64 v[124:125], v[124:125], v[126:127], v[130:131]
	v_div_fixup_f64 v[124:125], v[124:125], v[110:111], v[108:109]
	v_fmac_f64_e32 v[110:111], v[108:109], v[124:125]
	v_div_scale_f64 v[108:109], s[18:19], v[110:111], v[110:111], 1.0
	v_rcp_f64_e32 v[126:127], v[108:109]
	s_nop 0
	v_fma_f64 v[128:129], -v[108:109], v[126:127], 1.0
	v_fmac_f64_e32 v[126:127], v[126:127], v[128:129]
	v_fma_f64 v[128:129], -v[108:109], v[126:127], 1.0
	v_fmac_f64_e32 v[126:127], v[126:127], v[128:129]
	v_div_scale_f64 v[128:129], vcc, 1.0, v[110:111], 1.0
	v_mul_f64 v[130:131], v[128:129], v[126:127]
	v_fma_f64 v[108:109], -v[108:109], v[130:131], v[128:129]
	s_nop 1
	v_div_fmas_f64 v[108:109], v[108:109], v[126:127], v[130:131]
	v_div_fixup_f64 v[110:111], v[108:109], v[110:111], 1.0
	v_mul_f64 v[108:109], v[124:125], v[110:111]
	v_xor_b32_e32 v111, 0x80000000, v111
.LBB52_532:
	s_andn2_saveexec_b64 s[16:17], s[16:17]
	s_cbranch_execz .LBB52_534
; %bb.533:
	v_div_scale_f64 v[124:125], s[18:19], v[108:109], v[108:109], v[110:111]
	v_rcp_f64_e32 v[126:127], v[124:125]
	v_div_scale_f64 v[128:129], vcc, v[110:111], v[108:109], v[110:111]
	v_fma_f64 v[130:131], -v[124:125], v[126:127], 1.0
	v_fmac_f64_e32 v[126:127], v[126:127], v[130:131]
	v_fma_f64 v[130:131], -v[124:125], v[126:127], 1.0
	v_fmac_f64_e32 v[126:127], v[126:127], v[130:131]
	v_mul_f64 v[130:131], v[128:129], v[126:127]
	v_fma_f64 v[124:125], -v[124:125], v[130:131], v[128:129]
	v_div_fmas_f64 v[124:125], v[124:125], v[126:127], v[130:131]
	v_div_fixup_f64 v[124:125], v[124:125], v[108:109], v[110:111]
	v_fmac_f64_e32 v[108:109], v[110:111], v[124:125]
	v_div_scale_f64 v[110:111], s[18:19], v[108:109], v[108:109], 1.0
	v_rcp_f64_e32 v[126:127], v[110:111]
	s_nop 0
	v_fma_f64 v[128:129], -v[110:111], v[126:127], 1.0
	v_fmac_f64_e32 v[126:127], v[126:127], v[128:129]
	v_fma_f64 v[128:129], -v[110:111], v[126:127], 1.0
	v_fmac_f64_e32 v[126:127], v[126:127], v[128:129]
	v_div_scale_f64 v[128:129], vcc, 1.0, v[108:109], 1.0
	v_mul_f64 v[130:131], v[128:129], v[126:127]
	v_fma_f64 v[110:111], -v[110:111], v[130:131], v[128:129]
	s_nop 1
	v_div_fmas_f64 v[110:111], v[110:111], v[126:127], v[130:131]
	v_div_fixup_f64 v[108:109], v[110:111], v[108:109], 1.0
	v_mul_f64 v[110:111], v[124:125], -v[108:109]
.LBB52_534:
	s_or_b64 exec, exec, s[16:17]
.LBB52_535:
	s_or_b64 exec, exec, s[0:1]
	v_cmp_ne_u32_e32 vcc, v121, v118
	s_and_saveexec_b64 s[0:1], vcc
	s_xor_b64 s[0:1], exec, s[0:1]
	s_cbranch_execz .LBB52_541
; %bb.536:
	v_cmp_eq_u32_e32 vcc, 25, v121
	s_and_saveexec_b64 s[16:17], vcc
	s_cbranch_execz .LBB52_540
; %bb.537:
	v_cmp_ne_u32_e32 vcc, 25, v118
	s_xor_b64 s[18:19], s[14:15], -1
	s_and_b64 s[22:23], s[18:19], vcc
	s_and_saveexec_b64 s[18:19], s[22:23]
	s_cbranch_execz .LBB52_539
; %bb.538:
	v_ashrrev_i32_e32 v119, 31, v118
	v_lshl_add_u64 v[124:125], v[118:119], 2, v[116:117]
	global_load_dword v119, v[124:125], off
	global_load_dword v121, v[116:117], off offset:100
	s_waitcnt vmcnt(1)
	global_store_dword v[116:117], v119, off offset:100
	s_waitcnt vmcnt(1)
	global_store_dword v[124:125], v121, off
.LBB52_539:
	s_or_b64 exec, exec, s[18:19]
	v_mov_b32_e32 v121, v118
	v_mov_b32_e32 v122, v118
.LBB52_540:
	s_or_b64 exec, exec, s[16:17]
.LBB52_541:
	s_andn2_saveexec_b64 s[0:1], s[0:1]
	s_cbranch_execz .LBB52_543
; %bb.542:
	v_mov_b32_e32 v121, 25
	s_waitcnt vmcnt(0)
	ds_write2_b64 v120, v[104:105], v[106:107] offset0:52 offset1:53
.LBB52_543:
	s_or_b64 exec, exec, s[0:1]
	v_cmp_lt_i32_e32 vcc, 25, v121
	s_waitcnt lgkmcnt(0)
	s_barrier
	s_and_saveexec_b64 s[0:1], vcc
	s_cbranch_execz .LBB52_545
; %bb.544:
	ds_read2_b64 v[124:127], v120 offset0:52 offset1:53
	v_mul_f64 v[118:119], v[108:109], v[2:3]
	v_mul_f64 v[2:3], v[110:111], v[2:3]
	v_fmac_f64_e32 v[118:119], v[110:111], v[0:1]
	v_fma_f64 v[0:1], v[108:109], v[0:1], -v[2:3]
	s_waitcnt lgkmcnt(0)
	v_mul_f64 v[2:3], v[126:127], v[118:119]
	v_mul_f64 v[108:109], v[124:125], v[118:119]
	v_fma_f64 v[2:3], v[124:125], v[0:1], -v[2:3]
	v_fmac_f64_e32 v[108:109], v[126:127], v[0:1]
	s_waitcnt vmcnt(0)
	v_add_f64 v[104:105], v[104:105], -v[2:3]
	v_add_f64 v[106:107], v[106:107], -v[108:109]
	v_mov_b64_e32 v[2:3], v[118:119]
.LBB52_545:
	s_or_b64 exec, exec, s[0:1]
	v_lshl_add_u32 v108, v121, 4, v120
	s_barrier
	s_waitcnt vmcnt(0)
	ds_write2_b64 v108, v[104:105], v[106:107] offset1:1
	s_waitcnt lgkmcnt(0)
	s_barrier
	ds_read2_b64 v[108:111], v120 offset0:52 offset1:53
	s_cmp_lt_i32 s20, 28
	v_mov_b32_e32 v118, 26
	s_cbranch_scc1 .LBB52_548
; %bb.546:
	v_add_u32_e32 v119, 0x1b0, v120
	s_mov_b32 s16, 27
	v_mov_b32_e32 v118, 26
.LBB52_547:                             ; =>This Inner Loop Header: Depth=1
	ds_read2_b64 v[124:127], v119 offset1:1
	s_waitcnt lgkmcnt(1)
	v_xor_b32_e32 v120, 0x80000000, v109
	v_xor_b32_e32 v131, 0x80000000, v111
	v_cmp_gt_f64_e32 vcc, 0, v[110:111]
	v_cmp_gt_f64_e64 s[0:1], 0, v[108:109]
	v_mov_b32_e32 v128, v108
	v_mov_b32_e32 v130, v110
	v_cndmask_b32_e64 v129, v109, v120, s[0:1]
	v_cndmask_b32_e32 v131, v111, v131, vcc
	s_waitcnt lgkmcnt(0)
	v_xor_b32_e32 v120, 0x80000000, v125
	v_xor_b32_e32 v133, 0x80000000, v127
	v_cmp_gt_f64_e32 vcc, 0, v[126:127]
	v_cmp_gt_f64_e64 s[0:1], 0, v[124:125]
	v_add_f64 v[128:129], v[128:129], v[130:131]
	v_mov_b32_e32 v130, v124
	v_mov_b32_e32 v132, v126
	v_cndmask_b32_e64 v131, v125, v120, s[0:1]
	v_cndmask_b32_e32 v133, v127, v133, vcc
	v_add_f64 v[130:131], v[130:131], v[132:133]
	v_mov_b32_e32 v134, s16
	s_add_i32 s16, s16, 1
	v_cmp_lt_f64_e32 vcc, v[128:129], v[130:131]
	v_add_u32_e32 v119, 16, v119
	s_cmp_lg_u32 s20, s16
	v_cndmask_b32_e32 v109, v109, v125, vcc
	v_cndmask_b32_e32 v108, v108, v124, vcc
	v_cndmask_b32_e32 v111, v111, v127, vcc
	v_cndmask_b32_e32 v110, v110, v126, vcc
	v_cndmask_b32_e32 v118, v118, v134, vcc
	s_cbranch_scc1 .LBB52_547
.LBB52_548:
	s_waitcnt lgkmcnt(0)
	v_cmp_eq_f64_e32 vcc, 0, v[108:109]
	v_cmp_eq_f64_e64 s[0:1], 0, v[110:111]
	s_and_b64 s[0:1], vcc, s[0:1]
	s_and_saveexec_b64 s[16:17], s[0:1]
	s_xor_b64 s[0:1], exec, s[16:17]
; %bb.549:
	v_cmp_ne_u32_e32 vcc, 0, v123
	s_nop 1
	v_cndmask_b32_e32 v123, 27, v123, vcc
; %bb.550:
	s_andn2_saveexec_b64 s[0:1], s[0:1]
	s_cbranch_execz .LBB52_556
; %bb.551:
	v_cmp_ngt_f64_e64 s[16:17], |v[108:109]|, |v[110:111]|
	s_and_saveexec_b64 s[18:19], s[16:17]
	s_xor_b64 s[16:17], exec, s[18:19]
	s_cbranch_execz .LBB52_553
; %bb.552:
	v_div_scale_f64 v[124:125], s[18:19], v[110:111], v[110:111], v[108:109]
	v_rcp_f64_e32 v[126:127], v[124:125]
	v_div_scale_f64 v[128:129], vcc, v[108:109], v[110:111], v[108:109]
	v_fma_f64 v[130:131], -v[124:125], v[126:127], 1.0
	v_fmac_f64_e32 v[126:127], v[126:127], v[130:131]
	v_fma_f64 v[130:131], -v[124:125], v[126:127], 1.0
	v_fmac_f64_e32 v[126:127], v[126:127], v[130:131]
	v_mul_f64 v[130:131], v[128:129], v[126:127]
	v_fma_f64 v[124:125], -v[124:125], v[130:131], v[128:129]
	v_div_fmas_f64 v[124:125], v[124:125], v[126:127], v[130:131]
	v_div_fixup_f64 v[124:125], v[124:125], v[110:111], v[108:109]
	v_fmac_f64_e32 v[110:111], v[108:109], v[124:125]
	v_div_scale_f64 v[108:109], s[18:19], v[110:111], v[110:111], 1.0
	v_rcp_f64_e32 v[126:127], v[108:109]
	s_nop 0
	v_fma_f64 v[128:129], -v[108:109], v[126:127], 1.0
	v_fmac_f64_e32 v[126:127], v[126:127], v[128:129]
	v_fma_f64 v[128:129], -v[108:109], v[126:127], 1.0
	v_fmac_f64_e32 v[126:127], v[126:127], v[128:129]
	v_div_scale_f64 v[128:129], vcc, 1.0, v[110:111], 1.0
	v_mul_f64 v[130:131], v[128:129], v[126:127]
	v_fma_f64 v[108:109], -v[108:109], v[130:131], v[128:129]
	s_nop 1
	v_div_fmas_f64 v[108:109], v[108:109], v[126:127], v[130:131]
	v_div_fixup_f64 v[110:111], v[108:109], v[110:111], 1.0
	v_mul_f64 v[108:109], v[124:125], v[110:111]
	v_xor_b32_e32 v111, 0x80000000, v111
.LBB52_553:
	s_andn2_saveexec_b64 s[16:17], s[16:17]
	s_cbranch_execz .LBB52_555
; %bb.554:
	v_div_scale_f64 v[124:125], s[18:19], v[108:109], v[108:109], v[110:111]
	v_rcp_f64_e32 v[126:127], v[124:125]
	v_div_scale_f64 v[128:129], vcc, v[110:111], v[108:109], v[110:111]
	v_fma_f64 v[130:131], -v[124:125], v[126:127], 1.0
	v_fmac_f64_e32 v[126:127], v[126:127], v[130:131]
	v_fma_f64 v[130:131], -v[124:125], v[126:127], 1.0
	v_fmac_f64_e32 v[126:127], v[126:127], v[130:131]
	v_mul_f64 v[130:131], v[128:129], v[126:127]
	v_fma_f64 v[124:125], -v[124:125], v[130:131], v[128:129]
	v_div_fmas_f64 v[124:125], v[124:125], v[126:127], v[130:131]
	v_div_fixup_f64 v[124:125], v[124:125], v[108:109], v[110:111]
	v_fmac_f64_e32 v[108:109], v[110:111], v[124:125]
	v_div_scale_f64 v[110:111], s[18:19], v[108:109], v[108:109], 1.0
	v_rcp_f64_e32 v[126:127], v[110:111]
	s_nop 0
	v_fma_f64 v[128:129], -v[110:111], v[126:127], 1.0
	v_fmac_f64_e32 v[126:127], v[126:127], v[128:129]
	v_fma_f64 v[128:129], -v[110:111], v[126:127], 1.0
	v_fmac_f64_e32 v[126:127], v[126:127], v[128:129]
	v_div_scale_f64 v[128:129], vcc, 1.0, v[108:109], 1.0
	v_mul_f64 v[130:131], v[128:129], v[126:127]
	v_fma_f64 v[110:111], -v[110:111], v[130:131], v[128:129]
	s_nop 1
	v_div_fmas_f64 v[110:111], v[110:111], v[126:127], v[130:131]
	v_div_fixup_f64 v[108:109], v[110:111], v[108:109], 1.0
	v_mul_f64 v[110:111], v[124:125], -v[108:109]
.LBB52_555:
	s_or_b64 exec, exec, s[16:17]
.LBB52_556:
	s_or_b64 exec, exec, s[0:1]
	v_cmp_ne_u32_e32 vcc, v121, v118
	v_mov_b32_e32 v120, 26
	s_and_saveexec_b64 s[0:1], vcc
	s_cbranch_execz .LBB52_562
; %bb.557:
	v_cmp_eq_u32_e32 vcc, 26, v121
	s_and_saveexec_b64 s[16:17], vcc
	s_cbranch_execz .LBB52_561
; %bb.558:
	v_cmp_ne_u32_e32 vcc, 26, v118
	s_xor_b64 s[14:15], s[14:15], -1
	s_and_b64 s[18:19], s[14:15], vcc
	s_and_saveexec_b64 s[14:15], s[18:19]
	s_cbranch_execz .LBB52_560
; %bb.559:
	v_ashrrev_i32_e32 v119, 31, v118
	v_lshl_add_u64 v[120:121], v[118:119], 2, v[116:117]
	global_load_dword v119, v[120:121], off
	global_load_dword v122, v[116:117], off offset:104
	s_waitcnt vmcnt(1)
	global_store_dword v[116:117], v119, off offset:104
	s_waitcnt vmcnt(1)
	global_store_dword v[120:121], v122, off
.LBB52_560:
	s_or_b64 exec, exec, s[14:15]
	v_mov_b32_e32 v121, v118
	v_mov_b32_e32 v122, v118
.LBB52_561:
	s_or_b64 exec, exec, s[16:17]
	v_mov_b32_e32 v120, v121
.LBB52_562:
	s_or_b64 exec, exec, s[0:1]
	v_cmp_gt_i32_e32 vcc, 27, v120
	v_ashrrev_i32_e32 v121, 31, v120
	s_barrier
	s_barrier
	s_and_saveexec_b64 s[0:1], vcc
	s_cbranch_execz .LBB52_564
; %bb.563:
	v_mov_b32_e32 v116, s6
	v_mov_b32_e32 v117, s7
	v_mul_lo_u32 v124, s11, v114
	v_mul_lo_u32 v125, s10, v115
	v_mad_u64_u32 v[118:119], s[6:7], s10, v114, 0
	v_add3_u32 v119, v119, v125, v124
	v_lshl_add_u64 v[116:117], v[118:119], 2, v[116:117]
	v_lshl_add_u64 v[116:117], s[8:9], 2, v[116:117]
	;; [unrolled: 1-line block ×3, first 2 shown]
	v_add3_u32 v118, v122, s13, 1
	global_store_dword v[116:117], v118, off
.LBB52_564:
	s_or_b64 exec, exec, s[0:1]
	v_cmp_eq_u32_e32 vcc, 0, v120
	s_and_saveexec_b64 s[6:7], vcc
	s_cbranch_execz .LBB52_567
; %bb.565:
	v_mov_b32_e32 v116, s4
	v_mov_b32_e32 v117, s5
	v_lshl_add_u64 v[114:115], v[114:115], 2, v[116:117]
	global_load_dword v116, v[114:115], off
	v_cmp_ne_u32_e64 s[0:1], 0, v123
	s_waitcnt vmcnt(0)
	v_cmp_eq_u32_e32 vcc, 0, v116
	s_and_b64 s[0:1], vcc, s[0:1]
	s_and_b64 exec, exec, s[0:1]
	s_cbranch_execz .LBB52_567
; %bb.566:
	v_add_u32_e32 v116, s13, v123
	global_store_dword v[114:115], v116, off
.LBB52_567:
	s_or_b64 exec, exec, s[6:7]
	v_mul_f64 v[114:115], v[110:111], v[106:107]
	v_fma_f64 v[114:115], v[108:109], v[104:105], -v[114:115]
	v_mul_f64 v[108:109], v[108:109], v[106:107]
	v_fmac_f64_e32 v[108:109], v[110:111], v[104:105]
	v_cmp_lt_i32_e32 vcc, 26, v120
	s_nop 1
	v_cndmask_b32_e32 v107, v107, v109, vcc
	v_cndmask_b32_e32 v106, v106, v108, vcc
	v_lshl_add_u64 v[108:109], v[120:121], 4, v[112:113]
	global_store_dwordx4 v[108:109], v[76:79], off
	v_cndmask_b32_e32 v105, v105, v115, vcc
	v_cndmask_b32_e32 v104, v104, v114, vcc
	v_lshl_add_u64 v[76:77], s[2:3], 4, v[108:109]
	global_store_dwordx4 v[76:77], v[68:71], off
	s_nop 1
	v_add_u32_e32 v68, s12, v120
	v_ashrrev_i32_e32 v69, 31, v68
	v_lshl_add_u64 v[70:71], v[68:69], 4, v[112:113]
	v_add_u32_e32 v68, s2, v68
	v_ashrrev_i32_e32 v69, 31, v68
	global_store_dwordx4 v[70:71], v[100:103], off
	v_lshl_add_u64 v[70:71], v[68:69], 4, v[112:113]
	v_add_u32_e32 v68, s2, v68
	v_ashrrev_i32_e32 v69, 31, v68
	global_store_dwordx4 v[70:71], v[96:99], off
	;; [unrolled: 4-line block ×7, first 2 shown]
	v_lshl_add_u64 v[70:71], v[68:69], 4, v[112:113]
	global_store_dwordx4 v[70:71], v[64:67], off
	s_nop 1
	v_add_u32_e32 v64, s2, v68
	v_ashrrev_i32_e32 v65, 31, v64
	v_lshl_add_u64 v[66:67], v[64:65], 4, v[112:113]
	global_store_dwordx4 v[66:67], v[60:63], off
	s_nop 1
	v_add_u32_e32 v60, s2, v64
	v_ashrrev_i32_e32 v61, 31, v60
	;; [unrolled: 5-line block ×8, first 2 shown]
	v_lshl_add_u64 v[34:35], v[32:33], 4, v[112:113]
	v_add_u32_e32 v32, s2, v32
	v_ashrrev_i32_e32 v33, 31, v32
	global_store_dwordx4 v[34:35], v[36:39], off
	v_lshl_add_u64 v[34:35], v[32:33], 4, v[112:113]
	global_store_dwordx4 v[34:35], v[28:31], off
	s_nop 1
	v_add_u32_e32 v28, s2, v32
	v_ashrrev_i32_e32 v29, 31, v28
	v_lshl_add_u64 v[30:31], v[28:29], 4, v[112:113]
	global_store_dwordx4 v[30:31], v[24:27], off
	s_nop 1
	v_add_u32_e32 v24, s2, v28
	v_ashrrev_i32_e32 v25, 31, v24
	;; [unrolled: 5-line block ×8, first 2 shown]
	v_lshl_add_u64 v[0:1], v[0:1], 4, v[112:113]
	global_store_dwordx4 v[0:1], v[104:107], off
.LBB52_568:
	s_endpgm
	.section	.rodata,"a",@progbits
	.p2align	6, 0x0
	.amdhsa_kernel _ZN9rocsolver6v33100L18getf2_small_kernelILi27E19rocblas_complex_numIdEiiPS3_EEvT1_T3_lS5_lPS5_llPT2_S5_S5_S7_l
		.amdhsa_group_segment_fixed_size 0
		.amdhsa_private_segment_fixed_size 0
		.amdhsa_kernarg_size 352
		.amdhsa_user_sgpr_count 2
		.amdhsa_user_sgpr_dispatch_ptr 0
		.amdhsa_user_sgpr_queue_ptr 0
		.amdhsa_user_sgpr_kernarg_segment_ptr 1
		.amdhsa_user_sgpr_dispatch_id 0
		.amdhsa_user_sgpr_kernarg_preload_length 0
		.amdhsa_user_sgpr_kernarg_preload_offset 0
		.amdhsa_user_sgpr_private_segment_size 0
		.amdhsa_uses_dynamic_stack 0
		.amdhsa_enable_private_segment 0
		.amdhsa_system_sgpr_workgroup_id_x 1
		.amdhsa_system_sgpr_workgroup_id_y 1
		.amdhsa_system_sgpr_workgroup_id_z 0
		.amdhsa_system_sgpr_workgroup_info 0
		.amdhsa_system_vgpr_workitem_id 1
		.amdhsa_next_free_vgpr 137
		.amdhsa_next_free_sgpr 24
		.amdhsa_accum_offset 140
		.amdhsa_reserve_vcc 1
		.amdhsa_float_round_mode_32 0
		.amdhsa_float_round_mode_16_64 0
		.amdhsa_float_denorm_mode_32 3
		.amdhsa_float_denorm_mode_16_64 3
		.amdhsa_dx10_clamp 1
		.amdhsa_ieee_mode 1
		.amdhsa_fp16_overflow 0
		.amdhsa_tg_split 0
		.amdhsa_exception_fp_ieee_invalid_op 0
		.amdhsa_exception_fp_denorm_src 0
		.amdhsa_exception_fp_ieee_div_zero 0
		.amdhsa_exception_fp_ieee_overflow 0
		.amdhsa_exception_fp_ieee_underflow 0
		.amdhsa_exception_fp_ieee_inexact 0
		.amdhsa_exception_int_div_zero 0
	.end_amdhsa_kernel
	.section	.text._ZN9rocsolver6v33100L18getf2_small_kernelILi27E19rocblas_complex_numIdEiiPS3_EEvT1_T3_lS5_lPS5_llPT2_S5_S5_S7_l,"axG",@progbits,_ZN9rocsolver6v33100L18getf2_small_kernelILi27E19rocblas_complex_numIdEiiPS3_EEvT1_T3_lS5_lPS5_llPT2_S5_S5_S7_l,comdat
.Lfunc_end52:
	.size	_ZN9rocsolver6v33100L18getf2_small_kernelILi27E19rocblas_complex_numIdEiiPS3_EEvT1_T3_lS5_lPS5_llPT2_S5_S5_S7_l, .Lfunc_end52-_ZN9rocsolver6v33100L18getf2_small_kernelILi27E19rocblas_complex_numIdEiiPS3_EEvT1_T3_lS5_lPS5_llPT2_S5_S5_S7_l
                                        ; -- End function
	.set _ZN9rocsolver6v33100L18getf2_small_kernelILi27E19rocblas_complex_numIdEiiPS3_EEvT1_T3_lS5_lPS5_llPT2_S5_S5_S7_l.num_vgpr, 137
	.set _ZN9rocsolver6v33100L18getf2_small_kernelILi27E19rocblas_complex_numIdEiiPS3_EEvT1_T3_lS5_lPS5_llPT2_S5_S5_S7_l.num_agpr, 0
	.set _ZN9rocsolver6v33100L18getf2_small_kernelILi27E19rocblas_complex_numIdEiiPS3_EEvT1_T3_lS5_lPS5_llPT2_S5_S5_S7_l.numbered_sgpr, 24
	.set _ZN9rocsolver6v33100L18getf2_small_kernelILi27E19rocblas_complex_numIdEiiPS3_EEvT1_T3_lS5_lPS5_llPT2_S5_S5_S7_l.num_named_barrier, 0
	.set _ZN9rocsolver6v33100L18getf2_small_kernelILi27E19rocblas_complex_numIdEiiPS3_EEvT1_T3_lS5_lPS5_llPT2_S5_S5_S7_l.private_seg_size, 0
	.set _ZN9rocsolver6v33100L18getf2_small_kernelILi27E19rocblas_complex_numIdEiiPS3_EEvT1_T3_lS5_lPS5_llPT2_S5_S5_S7_l.uses_vcc, 1
	.set _ZN9rocsolver6v33100L18getf2_small_kernelILi27E19rocblas_complex_numIdEiiPS3_EEvT1_T3_lS5_lPS5_llPT2_S5_S5_S7_l.uses_flat_scratch, 0
	.set _ZN9rocsolver6v33100L18getf2_small_kernelILi27E19rocblas_complex_numIdEiiPS3_EEvT1_T3_lS5_lPS5_llPT2_S5_S5_S7_l.has_dyn_sized_stack, 0
	.set _ZN9rocsolver6v33100L18getf2_small_kernelILi27E19rocblas_complex_numIdEiiPS3_EEvT1_T3_lS5_lPS5_llPT2_S5_S5_S7_l.has_recursion, 0
	.set _ZN9rocsolver6v33100L18getf2_small_kernelILi27E19rocblas_complex_numIdEiiPS3_EEvT1_T3_lS5_lPS5_llPT2_S5_S5_S7_l.has_indirect_call, 0
	.section	.AMDGPU.csdata,"",@progbits
; Kernel info:
; codeLenInByte = 50368
; TotalNumSgprs: 30
; NumVgprs: 137
; NumAgprs: 0
; TotalNumVgprs: 137
; ScratchSize: 0
; MemoryBound: 0
; FloatMode: 240
; IeeeMode: 1
; LDSByteSize: 0 bytes/workgroup (compile time only)
; SGPRBlocks: 3
; VGPRBlocks: 17
; NumSGPRsForWavesPerEU: 30
; NumVGPRsForWavesPerEU: 137
; AccumOffset: 140
; Occupancy: 3
; WaveLimiterHint : 0
; COMPUTE_PGM_RSRC2:SCRATCH_EN: 0
; COMPUTE_PGM_RSRC2:USER_SGPR: 2
; COMPUTE_PGM_RSRC2:TRAP_HANDLER: 0
; COMPUTE_PGM_RSRC2:TGID_X_EN: 1
; COMPUTE_PGM_RSRC2:TGID_Y_EN: 1
; COMPUTE_PGM_RSRC2:TGID_Z_EN: 0
; COMPUTE_PGM_RSRC2:TIDIG_COMP_CNT: 1
; COMPUTE_PGM_RSRC3_GFX90A:ACCUM_OFFSET: 34
; COMPUTE_PGM_RSRC3_GFX90A:TG_SPLIT: 0
	.section	.text._ZN9rocsolver6v33100L23getf2_npvt_small_kernelILi27E19rocblas_complex_numIdEiiPS3_EEvT1_T3_lS5_lPT2_S5_S5_,"axG",@progbits,_ZN9rocsolver6v33100L23getf2_npvt_small_kernelILi27E19rocblas_complex_numIdEiiPS3_EEvT1_T3_lS5_lPT2_S5_S5_,comdat
	.globl	_ZN9rocsolver6v33100L23getf2_npvt_small_kernelILi27E19rocblas_complex_numIdEiiPS3_EEvT1_T3_lS5_lPT2_S5_S5_ ; -- Begin function _ZN9rocsolver6v33100L23getf2_npvt_small_kernelILi27E19rocblas_complex_numIdEiiPS3_EEvT1_T3_lS5_lPT2_S5_S5_
	.p2align	8
	.type	_ZN9rocsolver6v33100L23getf2_npvt_small_kernelILi27E19rocblas_complex_numIdEiiPS3_EEvT1_T3_lS5_lPT2_S5_S5_,@function
_ZN9rocsolver6v33100L23getf2_npvt_small_kernelILi27E19rocblas_complex_numIdEiiPS3_EEvT1_T3_lS5_lPT2_S5_S5_: ; @_ZN9rocsolver6v33100L23getf2_npvt_small_kernelILi27E19rocblas_complex_numIdEiiPS3_EEvT1_T3_lS5_lPT2_S5_S5_
; %bb.0:
	s_load_dword s2, s[0:1], 0x44
	s_load_dwordx2 s[8:9], s[0:1], 0x30
	v_bfe_u32 v108, v0, 10, 10
	s_waitcnt lgkmcnt(0)
	s_lshr_b32 s10, s2, 16
	s_mul_i32 s3, s3, s10
	v_add_u32_e32 v238, s3, v108
	v_cmp_gt_i32_e32 vcc, s8, v238
	s_and_saveexec_b64 s[2:3], vcc
	s_cbranch_execz .LBB53_246
; %bb.1:
	s_load_dwordx4 s[12:15], s[0:1], 0x8
	s_load_dword s2, s[0:1], 0x18
	s_load_dwordx4 s[4:7], s[0:1], 0x20
	v_ashrrev_i32_e32 v239, 31, v238
	v_and_b32_e32 v234, 0x3ff, v0
	s_waitcnt lgkmcnt(0)
	v_mov_b32_e32 v2, s12
	v_mov_b32_e32 v3, s13
	v_mul_lo_u32 v4, s5, v238
	v_mul_lo_u32 v5, s4, v239
	v_mad_u64_u32 v[0:1], s[0:1], s4, v238, 0
	v_add3_u32 v1, v1, v5, v4
	v_lshl_add_u64 v[0:1], v[0:1], 4, v[2:3]
	v_lshl_add_u64 v[0:1], s[14:15], 4, v[0:1]
	v_lshlrev_b32_e32 v2, 4, v234
	v_mov_b32_e32 v3, 0
	s_add_i32 s0, s2, s2
	v_lshl_add_u64 v[216:217], v[0:1], 0, v[2:3]
	v_add_u32_e32 v2, s0, v234
	v_ashrrev_i32_e32 v3, 31, v2
	v_lshl_add_u64 v[18:19], v[2:3], 4, v[0:1]
	v_add_u32_e32 v2, s2, v2
	v_ashrrev_i32_e32 v3, 31, v2
	;; [unrolled: 3-line block ×17, first 2 shown]
	v_lshl_add_u64 v[6:7], v[2:3], 4, v[0:1]
	v_add_u32_e32 v2, s2, v2
	s_ashr_i32 s3, s2, 31
	v_ashrrev_i32_e32 v3, 31, v2
	v_lshl_add_u64 v[16:17], s[2:3], 4, v[216:217]
	v_lshl_add_u64 v[8:9], v[2:3], 4, v[0:1]
	v_add_u32_e32 v2, s2, v2
	v_ashrrev_i32_e32 v3, 31, v2
	scratch_store_dwordx2 off, v[16:17], off offset:88 ; 8-byte Folded Spill
	scratch_store_dwordx2 off, v[18:19], off offset:80 ; 8-byte Folded Spill
	v_lshl_add_u64 v[10:11], v[2:3], 4, v[0:1]
	v_add_u32_e32 v2, s2, v2
	global_load_dwordx4 v[100:103], v[216:217], off
	global_load_dwordx4 v[96:99], v[16:17], off
	;; [unrolled: 1-line block ×17, first 2 shown]
	v_ashrrev_i32_e32 v3, 31, v2
	v_lshl_add_u64 v[12:13], v[2:3], 4, v[0:1]
	v_add_u32_e32 v2, s2, v2
	v_ashrrev_i32_e32 v3, 31, v2
	v_lshl_add_u64 v[14:15], v[2:3], 4, v[0:1]
	v_add_u32_e32 v2, s2, v2
	v_ashrrev_i32_e32 v3, 31, v2
	v_lshl_add_u64 v[104:105], v[2:3], 4, v[0:1]
	v_add_u32_e32 v2, s2, v2
	v_ashrrev_i32_e32 v3, 31, v2
	v_lshl_add_u64 v[106:107], v[2:3], 4, v[0:1]
	v_add_u32_e32 v2, s2, v2
	v_ashrrev_i32_e32 v3, 31, v2
	v_lshl_add_u64 v[110:111], v[2:3], 4, v[0:1]
	v_add_u32_e32 v2, s2, v2
	v_ashrrev_i32_e32 v3, 31, v2
	v_lshl_add_u64 v[112:113], v[2:3], 4, v[0:1]
	scratch_store_dwordx2 off, v[4:5], off  ; 8-byte Folded Spill
	global_load_dwordx4 v[32:35], v[4:5], off
	global_load_dwordx4 v[28:31], v[6:7], off
	;; [unrolled: 1-line block ×6, first 2 shown]
	s_mulk_i32 s10, 0x1b0
	scratch_store_dwordx2 off, v[6:7], off offset:8 ; 8-byte Folded Spill
	scratch_store_dwordx2 off, v[8:9], off offset:16 ; 8-byte Folded Spill
	;; [unrolled: 1-line block ×6, first 2 shown]
	global_load_dwordx4 v[8:11], v[104:105], off
	s_movk_i32 s0, 0x1b0
	global_load_dwordx4 v[12:15], v[14:15], off
	s_add_i32 s1, s10, 0
	scratch_store_dwordx2 off, v[106:107], off offset:56 ; 8-byte Folded Spill
	global_load_dwordx4 v[4:7], v[106:107], off
	v_mad_u32_u24 v236, v108, s0, 0
	global_load_dwordx4 v[104:107], v[112:113], off
	v_lshl_add_u32 v235, v108, 4, s1
	v_cmp_ne_u32_e64 s[2:3], 0, v234
	v_cmp_eq_u32_e64 s[0:1], 0, v234
	scratch_store_dwordx2 off, v[110:111], off offset:64 ; 8-byte Folded Spill
	scratch_store_dwordx2 off, v[112:113], off offset:72 ; 8-byte Folded Spill
	s_and_saveexec_b64 s[10:11], s[0:1]
	s_cbranch_execz .LBB53_8
; %bb.2:
	s_waitcnt vmcnt(36)
	ds_write2_b64 v235, v[100:101], v[102:103] offset1:1
	s_waitcnt vmcnt(35)
	ds_write2_b64 v236, v[96:97], v[98:99] offset0:2 offset1:3
	s_waitcnt vmcnt(34)
	ds_write2_b64 v236, v[92:93], v[94:95] offset0:4 offset1:5
	;; [unrolled: 2-line block ×22, first 2 shown]
	ds_write2_b64 v236, v[8:9], v[10:11] offset0:46 offset1:47
	s_waitcnt vmcnt(3)
	ds_write2_b64 v236, v[4:5], v[6:7] offset0:48 offset1:49
	ds_write2_b64 v236, v[0:1], v[2:3] offset0:50 offset1:51
	s_waitcnt vmcnt(2)
	ds_write2_b64 v236, v[104:105], v[106:107] offset0:52 offset1:53
	ds_read2_b64 v[108:111], v235 offset1:1
	s_waitcnt lgkmcnt(0)
	v_cmp_neq_f64_e32 vcc, 0, v[108:109]
	v_cmp_neq_f64_e64 s[4:5], 0, v[110:111]
	s_or_b64 s[4:5], vcc, s[4:5]
	s_and_b64 exec, exec, s[4:5]
	s_cbranch_execz .LBB53_8
; %bb.3:
	v_cmp_ngt_f64_e64 s[4:5], |v[108:109]|, |v[110:111]|
                                        ; implicit-def: $vgpr112_vgpr113
	s_and_saveexec_b64 s[12:13], s[4:5]
	s_xor_b64 s[4:5], exec, s[12:13]
                                        ; implicit-def: $vgpr114_vgpr115
	s_cbranch_execz .LBB53_5
; %bb.4:
	v_div_scale_f64 v[112:113], s[12:13], v[110:111], v[110:111], v[108:109]
	v_rcp_f64_e32 v[114:115], v[112:113]
	v_div_scale_f64 v[116:117], vcc, v[108:109], v[110:111], v[108:109]
	v_fma_f64 v[118:119], -v[112:113], v[114:115], 1.0
	v_fmac_f64_e32 v[114:115], v[114:115], v[118:119]
	v_fma_f64 v[118:119], -v[112:113], v[114:115], 1.0
	v_fmac_f64_e32 v[114:115], v[114:115], v[118:119]
	v_mul_f64 v[118:119], v[116:117], v[114:115]
	v_fma_f64 v[112:113], -v[112:113], v[118:119], v[116:117]
	v_div_fmas_f64 v[112:113], v[112:113], v[114:115], v[118:119]
	v_div_fixup_f64 v[112:113], v[112:113], v[110:111], v[108:109]
	v_fmac_f64_e32 v[110:111], v[108:109], v[112:113]
	v_div_scale_f64 v[108:109], s[12:13], v[110:111], v[110:111], 1.0
	v_rcp_f64_e32 v[114:115], v[108:109]
	s_nop 0
	v_fma_f64 v[116:117], -v[108:109], v[114:115], 1.0
	v_fmac_f64_e32 v[114:115], v[114:115], v[116:117]
	v_fma_f64 v[116:117], -v[108:109], v[114:115], 1.0
	v_fmac_f64_e32 v[114:115], v[114:115], v[116:117]
	v_div_scale_f64 v[116:117], vcc, 1.0, v[110:111], 1.0
	v_mul_f64 v[118:119], v[116:117], v[114:115]
	v_fma_f64 v[108:109], -v[108:109], v[118:119], v[116:117]
	s_nop 1
	v_div_fmas_f64 v[108:109], v[108:109], v[114:115], v[118:119]
	v_div_fixup_f64 v[114:115], v[108:109], v[110:111], 1.0
	v_mul_f64 v[112:113], v[112:113], v[114:115]
	v_xor_b32_e32 v115, 0x80000000, v115
                                        ; implicit-def: $vgpr108_vgpr109
.LBB53_5:
	s_andn2_saveexec_b64 s[4:5], s[4:5]
	s_cbranch_execz .LBB53_7
; %bb.6:
	v_div_scale_f64 v[112:113], s[12:13], v[108:109], v[108:109], v[110:111]
	v_rcp_f64_e32 v[114:115], v[112:113]
	v_div_scale_f64 v[116:117], vcc, v[110:111], v[108:109], v[110:111]
	v_fma_f64 v[118:119], -v[112:113], v[114:115], 1.0
	v_fmac_f64_e32 v[114:115], v[114:115], v[118:119]
	v_fma_f64 v[118:119], -v[112:113], v[114:115], 1.0
	v_fmac_f64_e32 v[114:115], v[114:115], v[118:119]
	v_mul_f64 v[118:119], v[116:117], v[114:115]
	v_fma_f64 v[112:113], -v[112:113], v[118:119], v[116:117]
	v_div_fmas_f64 v[112:113], v[112:113], v[114:115], v[118:119]
	v_div_fixup_f64 v[114:115], v[112:113], v[108:109], v[110:111]
	v_fmac_f64_e32 v[108:109], v[110:111], v[114:115]
	v_div_scale_f64 v[110:111], s[12:13], v[108:109], v[108:109], 1.0
	v_rcp_f64_e32 v[112:113], v[110:111]
	s_nop 0
	v_fma_f64 v[116:117], -v[110:111], v[112:113], 1.0
	v_fmac_f64_e32 v[112:113], v[112:113], v[116:117]
	v_fma_f64 v[116:117], -v[110:111], v[112:113], 1.0
	v_fmac_f64_e32 v[112:113], v[112:113], v[116:117]
	v_div_scale_f64 v[116:117], vcc, 1.0, v[108:109], 1.0
	v_mul_f64 v[118:119], v[116:117], v[112:113]
	v_fma_f64 v[110:111], -v[110:111], v[118:119], v[116:117]
	s_nop 1
	v_div_fmas_f64 v[110:111], v[110:111], v[112:113], v[118:119]
	v_div_fixup_f64 v[112:113], v[110:111], v[108:109], 1.0
	v_mul_f64 v[114:115], v[114:115], -v[112:113]
.LBB53_7:
	s_or_b64 exec, exec, s[4:5]
	ds_write2_b64 v235, v[112:113], v[114:115] offset1:1
.LBB53_8:
	s_or_b64 exec, exec, s[10:11]
	s_waitcnt lgkmcnt(0)
	s_barrier
	ds_read2_b64 v[108:111], v235 offset1:1
	s_and_saveexec_b64 s[4:5], s[2:3]
	s_cbranch_execz .LBB53_10
; %bb.9:
	ds_read2_b64 v[114:117], v236 offset0:2 offset1:3
	ds_read2_b64 v[118:121], v236 offset0:4 offset1:5
	s_waitcnt vmcnt(36) lgkmcnt(2)
	v_mul_f64 v[112:113], v[110:111], v[102:103]
	v_mul_f64 v[102:103], v[108:109], v[102:103]
	v_fmac_f64_e32 v[102:103], v[110:111], v[100:101]
	v_fma_f64 v[112:113], v[108:109], v[100:101], -v[112:113]
	s_waitcnt lgkmcnt(1)
	v_mul_f64 v[100:101], v[116:117], v[102:103]
	v_fma_f64 v[100:101], v[114:115], v[112:113], -v[100:101]
	v_mul_f64 v[114:115], v[114:115], v[102:103]
	v_fmac_f64_e32 v[114:115], v[116:117], v[112:113]
	s_waitcnt vmcnt(35)
	v_add_f64 v[96:97], v[96:97], -v[100:101]
	v_add_f64 v[98:99], v[98:99], -v[114:115]
	s_waitcnt lgkmcnt(0)
	v_mul_f64 v[100:101], v[120:121], v[102:103]
	ds_read2_b64 v[114:117], v236 offset0:6 offset1:7
	v_fma_f64 v[100:101], v[118:119], v[112:113], -v[100:101]
	v_mul_f64 v[118:119], v[118:119], v[102:103]
	v_fmac_f64_e32 v[118:119], v[120:121], v[112:113]
	s_waitcnt vmcnt(34)
	v_add_f64 v[94:95], v[94:95], -v[118:119]
	ds_read2_b64 v[118:121], v236 offset0:8 offset1:9
	v_add_f64 v[92:93], v[92:93], -v[100:101]
	s_waitcnt lgkmcnt(1)
	v_mul_f64 v[100:101], v[116:117], v[102:103]
	v_fma_f64 v[100:101], v[114:115], v[112:113], -v[100:101]
	v_mul_f64 v[114:115], v[114:115], v[102:103]
	v_fmac_f64_e32 v[114:115], v[116:117], v[112:113]
	s_waitcnt vmcnt(33)
	v_add_f64 v[88:89], v[88:89], -v[100:101]
	v_add_f64 v[90:91], v[90:91], -v[114:115]
	s_waitcnt lgkmcnt(0)
	v_mul_f64 v[100:101], v[120:121], v[102:103]
	ds_read2_b64 v[114:117], v236 offset0:10 offset1:11
	v_fma_f64 v[100:101], v[118:119], v[112:113], -v[100:101]
	v_mul_f64 v[118:119], v[118:119], v[102:103]
	v_fmac_f64_e32 v[118:119], v[120:121], v[112:113]
	s_waitcnt vmcnt(32)
	v_add_f64 v[86:87], v[86:87], -v[118:119]
	ds_read2_b64 v[118:121], v236 offset0:12 offset1:13
	v_add_f64 v[84:85], v[84:85], -v[100:101]
	;; [unrolled: 18-line block ×11, first 2 shown]
	s_waitcnt lgkmcnt(1)
	v_mul_f64 v[100:101], v[116:117], v[102:103]
	v_fma_f64 v[100:101], v[114:115], v[112:113], -v[100:101]
	v_mul_f64 v[114:115], v[114:115], v[102:103]
	v_fmac_f64_e32 v[114:115], v[116:117], v[112:113]
	v_add_f64 v[8:9], v[8:9], -v[100:101]
	v_add_f64 v[10:11], v[10:11], -v[114:115]
	s_waitcnt lgkmcnt(0)
	v_mul_f64 v[100:101], v[120:121], v[102:103]
	ds_read2_b64 v[114:117], v236 offset0:50 offset1:51
	v_fma_f64 v[100:101], v[118:119], v[112:113], -v[100:101]
	v_mul_f64 v[118:119], v[118:119], v[102:103]
	v_fmac_f64_e32 v[118:119], v[120:121], v[112:113]
	s_waitcnt vmcnt(3)
	v_add_f64 v[6:7], v[6:7], -v[118:119]
	ds_read2_b64 v[118:121], v236 offset0:52 offset1:53
	v_add_f64 v[4:5], v[4:5], -v[100:101]
	s_waitcnt lgkmcnt(1)
	v_mul_f64 v[100:101], v[116:117], v[102:103]
	v_fma_f64 v[100:101], v[114:115], v[112:113], -v[100:101]
	v_mul_f64 v[114:115], v[114:115], v[102:103]
	v_fmac_f64_e32 v[114:115], v[116:117], v[112:113]
	v_add_f64 v[0:1], v[0:1], -v[100:101]
	v_add_f64 v[2:3], v[2:3], -v[114:115]
	s_waitcnt lgkmcnt(0)
	v_mul_f64 v[100:101], v[120:121], v[102:103]
	v_mul_f64 v[114:115], v[118:119], v[102:103]
	v_fma_f64 v[100:101], v[118:119], v[112:113], -v[100:101]
	v_fmac_f64_e32 v[114:115], v[120:121], v[112:113]
	s_waitcnt vmcnt(2)
	v_add_f64 v[104:105], v[104:105], -v[100:101]
	v_add_f64 v[106:107], v[106:107], -v[114:115]
	v_mov_b64_e32 v[100:101], v[112:113]
.LBB53_10:
	s_or_b64 exec, exec, s[4:5]
	v_cmp_eq_u32_e32 vcc, 1, v234
	s_waitcnt lgkmcnt(0)
	s_barrier
	s_and_saveexec_b64 s[4:5], vcc
	s_cbranch_execz .LBB53_17
; %bb.11:
	s_waitcnt vmcnt(35)
	ds_write2_b64 v235, v[96:97], v[98:99] offset1:1
	s_waitcnt vmcnt(34)
	ds_write2_b64 v236, v[92:93], v[94:95] offset0:4 offset1:5
	s_waitcnt vmcnt(33)
	ds_write2_b64 v236, v[88:89], v[90:91] offset0:6 offset1:7
	;; [unrolled: 2-line block ×21, first 2 shown]
	ds_write2_b64 v236, v[8:9], v[10:11] offset0:46 offset1:47
	s_waitcnt vmcnt(3)
	ds_write2_b64 v236, v[4:5], v[6:7] offset0:48 offset1:49
	ds_write2_b64 v236, v[0:1], v[2:3] offset0:50 offset1:51
	s_waitcnt vmcnt(2)
	ds_write2_b64 v236, v[104:105], v[106:107] offset0:52 offset1:53
	ds_read2_b64 v[112:115], v235 offset1:1
	s_waitcnt lgkmcnt(0)
	v_cmp_neq_f64_e32 vcc, 0, v[112:113]
	v_cmp_neq_f64_e64 s[2:3], 0, v[114:115]
	s_or_b64 s[2:3], vcc, s[2:3]
	s_and_b64 exec, exec, s[2:3]
	s_cbranch_execz .LBB53_17
; %bb.12:
	v_cmp_ngt_f64_e64 s[2:3], |v[112:113]|, |v[114:115]|
                                        ; implicit-def: $vgpr116_vgpr117
	s_and_saveexec_b64 s[10:11], s[2:3]
	s_xor_b64 s[2:3], exec, s[10:11]
                                        ; implicit-def: $vgpr118_vgpr119
	s_cbranch_execz .LBB53_14
; %bb.13:
	v_div_scale_f64 v[116:117], s[10:11], v[114:115], v[114:115], v[112:113]
	v_rcp_f64_e32 v[118:119], v[116:117]
	v_div_scale_f64 v[120:121], vcc, v[112:113], v[114:115], v[112:113]
	v_fma_f64 v[122:123], -v[116:117], v[118:119], 1.0
	v_fmac_f64_e32 v[118:119], v[118:119], v[122:123]
	v_fma_f64 v[122:123], -v[116:117], v[118:119], 1.0
	v_fmac_f64_e32 v[118:119], v[118:119], v[122:123]
	v_mul_f64 v[122:123], v[120:121], v[118:119]
	v_fma_f64 v[116:117], -v[116:117], v[122:123], v[120:121]
	v_div_fmas_f64 v[116:117], v[116:117], v[118:119], v[122:123]
	v_div_fixup_f64 v[116:117], v[116:117], v[114:115], v[112:113]
	v_fmac_f64_e32 v[114:115], v[112:113], v[116:117]
	v_div_scale_f64 v[112:113], s[10:11], v[114:115], v[114:115], 1.0
	v_rcp_f64_e32 v[118:119], v[112:113]
	s_nop 0
	v_fma_f64 v[120:121], -v[112:113], v[118:119], 1.0
	v_fmac_f64_e32 v[118:119], v[118:119], v[120:121]
	v_fma_f64 v[120:121], -v[112:113], v[118:119], 1.0
	v_fmac_f64_e32 v[118:119], v[118:119], v[120:121]
	v_div_scale_f64 v[120:121], vcc, 1.0, v[114:115], 1.0
	v_mul_f64 v[122:123], v[120:121], v[118:119]
	v_fma_f64 v[112:113], -v[112:113], v[122:123], v[120:121]
	s_nop 1
	v_div_fmas_f64 v[112:113], v[112:113], v[118:119], v[122:123]
	v_div_fixup_f64 v[118:119], v[112:113], v[114:115], 1.0
	v_mul_f64 v[116:117], v[116:117], v[118:119]
	v_xor_b32_e32 v119, 0x80000000, v119
                                        ; implicit-def: $vgpr112_vgpr113
.LBB53_14:
	s_andn2_saveexec_b64 s[2:3], s[2:3]
	s_cbranch_execz .LBB53_16
; %bb.15:
	v_div_scale_f64 v[116:117], s[10:11], v[112:113], v[112:113], v[114:115]
	v_rcp_f64_e32 v[118:119], v[116:117]
	v_div_scale_f64 v[120:121], vcc, v[114:115], v[112:113], v[114:115]
	v_fma_f64 v[122:123], -v[116:117], v[118:119], 1.0
	v_fmac_f64_e32 v[118:119], v[118:119], v[122:123]
	v_fma_f64 v[122:123], -v[116:117], v[118:119], 1.0
	v_fmac_f64_e32 v[118:119], v[118:119], v[122:123]
	v_mul_f64 v[122:123], v[120:121], v[118:119]
	v_fma_f64 v[116:117], -v[116:117], v[122:123], v[120:121]
	v_div_fmas_f64 v[116:117], v[116:117], v[118:119], v[122:123]
	v_div_fixup_f64 v[118:119], v[116:117], v[112:113], v[114:115]
	v_fmac_f64_e32 v[112:113], v[114:115], v[118:119]
	v_div_scale_f64 v[114:115], s[10:11], v[112:113], v[112:113], 1.0
	v_rcp_f64_e32 v[116:117], v[114:115]
	s_nop 0
	v_fma_f64 v[120:121], -v[114:115], v[116:117], 1.0
	v_fmac_f64_e32 v[116:117], v[116:117], v[120:121]
	v_fma_f64 v[120:121], -v[114:115], v[116:117], 1.0
	v_fmac_f64_e32 v[116:117], v[116:117], v[120:121]
	v_div_scale_f64 v[120:121], vcc, 1.0, v[112:113], 1.0
	v_mul_f64 v[122:123], v[120:121], v[116:117]
	v_fma_f64 v[114:115], -v[114:115], v[122:123], v[120:121]
	s_nop 1
	v_div_fmas_f64 v[114:115], v[114:115], v[116:117], v[122:123]
	v_div_fixup_f64 v[116:117], v[114:115], v[112:113], 1.0
	v_mul_f64 v[118:119], v[118:119], -v[116:117]
.LBB53_16:
	s_or_b64 exec, exec, s[2:3]
	ds_write2_b64 v235, v[116:117], v[118:119] offset1:1
.LBB53_17:
	s_or_b64 exec, exec, s[4:5]
	s_waitcnt lgkmcnt(0)
	s_barrier
	ds_read2_b64 v[112:115], v235 offset1:1
	v_cmp_lt_u32_e32 vcc, 1, v234
	s_and_saveexec_b64 s[2:3], vcc
	s_cbranch_execz .LBB53_19
; %bb.18:
	ds_read2_b64 v[118:121], v236 offset0:4 offset1:5
	ds_read2_b64 v[122:125], v236 offset0:6 offset1:7
	s_waitcnt vmcnt(35) lgkmcnt(2)
	v_mul_f64 v[116:117], v[114:115], v[98:99]
	v_mul_f64 v[98:99], v[112:113], v[98:99]
	v_fmac_f64_e32 v[98:99], v[114:115], v[96:97]
	v_fma_f64 v[116:117], v[112:113], v[96:97], -v[116:117]
	s_waitcnt lgkmcnt(1)
	v_mul_f64 v[96:97], v[120:121], v[98:99]
	v_fma_f64 v[96:97], v[118:119], v[116:117], -v[96:97]
	v_mul_f64 v[118:119], v[118:119], v[98:99]
	v_fmac_f64_e32 v[118:119], v[120:121], v[116:117]
	s_waitcnt vmcnt(34)
	v_add_f64 v[94:95], v[94:95], -v[118:119]
	ds_read2_b64 v[118:121], v236 offset0:8 offset1:9
	v_add_f64 v[92:93], v[92:93], -v[96:97]
	s_waitcnt lgkmcnt(1)
	v_mul_f64 v[96:97], v[124:125], v[98:99]
	v_fma_f64 v[96:97], v[122:123], v[116:117], -v[96:97]
	v_mul_f64 v[122:123], v[122:123], v[98:99]
	v_fmac_f64_e32 v[122:123], v[124:125], v[116:117]
	s_waitcnt vmcnt(33)
	v_add_f64 v[88:89], v[88:89], -v[96:97]
	v_add_f64 v[90:91], v[90:91], -v[122:123]
	ds_read2_b64 v[122:125], v236 offset0:10 offset1:11
	s_waitcnt lgkmcnt(1)
	v_mul_f64 v[96:97], v[120:121], v[98:99]
	v_fma_f64 v[96:97], v[118:119], v[116:117], -v[96:97]
	v_mul_f64 v[118:119], v[118:119], v[98:99]
	v_fmac_f64_e32 v[118:119], v[120:121], v[116:117]
	s_waitcnt vmcnt(32)
	v_add_f64 v[86:87], v[86:87], -v[118:119]
	ds_read2_b64 v[118:121], v236 offset0:12 offset1:13
	v_add_f64 v[84:85], v[84:85], -v[96:97]
	s_waitcnt lgkmcnt(1)
	v_mul_f64 v[96:97], v[124:125], v[98:99]
	v_fma_f64 v[96:97], v[122:123], v[116:117], -v[96:97]
	v_mul_f64 v[122:123], v[122:123], v[98:99]
	v_fmac_f64_e32 v[122:123], v[124:125], v[116:117]
	s_waitcnt vmcnt(31)
	v_add_f64 v[80:81], v[80:81], -v[96:97]
	v_add_f64 v[82:83], v[82:83], -v[122:123]
	ds_read2_b64 v[122:125], v236 offset0:14 offset1:15
	;; [unrolled: 18-line block ×10, first 2 shown]
	s_waitcnt lgkmcnt(1)
	v_mul_f64 v[96:97], v[120:121], v[98:99]
	v_fma_f64 v[96:97], v[118:119], v[116:117], -v[96:97]
	v_mul_f64 v[118:119], v[118:119], v[98:99]
	v_fmac_f64_e32 v[118:119], v[120:121], v[116:117]
	s_waitcnt vmcnt(5)
	v_add_f64 v[14:15], v[14:15], -v[118:119]
	ds_read2_b64 v[118:121], v236 offset0:48 offset1:49
	v_add_f64 v[12:13], v[12:13], -v[96:97]
	s_waitcnt lgkmcnt(1)
	v_mul_f64 v[96:97], v[124:125], v[98:99]
	v_fma_f64 v[96:97], v[122:123], v[116:117], -v[96:97]
	v_mul_f64 v[122:123], v[122:123], v[98:99]
	v_fmac_f64_e32 v[122:123], v[124:125], v[116:117]
	v_add_f64 v[8:9], v[8:9], -v[96:97]
	v_add_f64 v[10:11], v[10:11], -v[122:123]
	ds_read2_b64 v[122:125], v236 offset0:50 offset1:51
	s_waitcnt lgkmcnt(1)
	v_mul_f64 v[96:97], v[120:121], v[98:99]
	v_fma_f64 v[96:97], v[118:119], v[116:117], -v[96:97]
	v_mul_f64 v[118:119], v[118:119], v[98:99]
	v_fmac_f64_e32 v[118:119], v[120:121], v[116:117]
	s_waitcnt vmcnt(3)
	v_add_f64 v[6:7], v[6:7], -v[118:119]
	ds_read2_b64 v[118:121], v236 offset0:52 offset1:53
	v_add_f64 v[4:5], v[4:5], -v[96:97]
	s_waitcnt lgkmcnt(1)
	v_mul_f64 v[96:97], v[124:125], v[98:99]
	v_fma_f64 v[96:97], v[122:123], v[116:117], -v[96:97]
	v_add_f64 v[0:1], v[0:1], -v[96:97]
	s_waitcnt lgkmcnt(0)
	v_mul_f64 v[96:97], v[120:121], v[98:99]
	v_mul_f64 v[122:123], v[122:123], v[98:99]
	v_fma_f64 v[96:97], v[118:119], v[116:117], -v[96:97]
	v_mul_f64 v[118:119], v[118:119], v[98:99]
	v_fmac_f64_e32 v[122:123], v[124:125], v[116:117]
	v_fmac_f64_e32 v[118:119], v[120:121], v[116:117]
	v_add_f64 v[2:3], v[2:3], -v[122:123]
	s_waitcnt vmcnt(2)
	v_add_f64 v[104:105], v[104:105], -v[96:97]
	v_add_f64 v[106:107], v[106:107], -v[118:119]
	v_mov_b64_e32 v[96:97], v[116:117]
.LBB53_19:
	s_or_b64 exec, exec, s[2:3]
	v_cmp_eq_u32_e32 vcc, 2, v234
	s_waitcnt lgkmcnt(0)
	s_barrier
	s_and_saveexec_b64 s[4:5], vcc
	s_cbranch_execz .LBB53_26
; %bb.20:
	s_waitcnt vmcnt(34)
	ds_write2_b64 v235, v[92:93], v[94:95] offset1:1
	s_waitcnt vmcnt(33)
	ds_write2_b64 v236, v[88:89], v[90:91] offset0:6 offset1:7
	s_waitcnt vmcnt(32)
	ds_write2_b64 v236, v[84:85], v[86:87] offset0:8 offset1:9
	;; [unrolled: 2-line block ×20, first 2 shown]
	ds_write2_b64 v236, v[8:9], v[10:11] offset0:46 offset1:47
	s_waitcnt vmcnt(3)
	ds_write2_b64 v236, v[4:5], v[6:7] offset0:48 offset1:49
	ds_write2_b64 v236, v[0:1], v[2:3] offset0:50 offset1:51
	s_waitcnt vmcnt(2)
	ds_write2_b64 v236, v[104:105], v[106:107] offset0:52 offset1:53
	ds_read2_b64 v[116:119], v235 offset1:1
	s_waitcnt lgkmcnt(0)
	v_cmp_neq_f64_e32 vcc, 0, v[116:117]
	v_cmp_neq_f64_e64 s[2:3], 0, v[118:119]
	s_or_b64 s[2:3], vcc, s[2:3]
	s_and_b64 exec, exec, s[2:3]
	s_cbranch_execz .LBB53_26
; %bb.21:
	v_cmp_ngt_f64_e64 s[2:3], |v[116:117]|, |v[118:119]|
                                        ; implicit-def: $vgpr120_vgpr121
	s_and_saveexec_b64 s[10:11], s[2:3]
	s_xor_b64 s[2:3], exec, s[10:11]
                                        ; implicit-def: $vgpr122_vgpr123
	s_cbranch_execz .LBB53_23
; %bb.22:
	v_div_scale_f64 v[120:121], s[10:11], v[118:119], v[118:119], v[116:117]
	v_rcp_f64_e32 v[122:123], v[120:121]
	v_div_scale_f64 v[124:125], vcc, v[116:117], v[118:119], v[116:117]
	v_fma_f64 v[126:127], -v[120:121], v[122:123], 1.0
	v_fmac_f64_e32 v[122:123], v[122:123], v[126:127]
	v_fma_f64 v[126:127], -v[120:121], v[122:123], 1.0
	v_fmac_f64_e32 v[122:123], v[122:123], v[126:127]
	v_mul_f64 v[126:127], v[124:125], v[122:123]
	v_fma_f64 v[120:121], -v[120:121], v[126:127], v[124:125]
	v_div_fmas_f64 v[120:121], v[120:121], v[122:123], v[126:127]
	v_div_fixup_f64 v[120:121], v[120:121], v[118:119], v[116:117]
	v_fmac_f64_e32 v[118:119], v[116:117], v[120:121]
	v_div_scale_f64 v[116:117], s[10:11], v[118:119], v[118:119], 1.0
	v_rcp_f64_e32 v[122:123], v[116:117]
	s_nop 0
	v_fma_f64 v[124:125], -v[116:117], v[122:123], 1.0
	v_fmac_f64_e32 v[122:123], v[122:123], v[124:125]
	v_fma_f64 v[124:125], -v[116:117], v[122:123], 1.0
	v_fmac_f64_e32 v[122:123], v[122:123], v[124:125]
	v_div_scale_f64 v[124:125], vcc, 1.0, v[118:119], 1.0
	v_mul_f64 v[126:127], v[124:125], v[122:123]
	v_fma_f64 v[116:117], -v[116:117], v[126:127], v[124:125]
	s_nop 1
	v_div_fmas_f64 v[116:117], v[116:117], v[122:123], v[126:127]
	v_div_fixup_f64 v[122:123], v[116:117], v[118:119], 1.0
	v_mul_f64 v[120:121], v[120:121], v[122:123]
	v_xor_b32_e32 v123, 0x80000000, v123
                                        ; implicit-def: $vgpr116_vgpr117
.LBB53_23:
	s_andn2_saveexec_b64 s[2:3], s[2:3]
	s_cbranch_execz .LBB53_25
; %bb.24:
	v_div_scale_f64 v[120:121], s[10:11], v[116:117], v[116:117], v[118:119]
	v_rcp_f64_e32 v[122:123], v[120:121]
	v_div_scale_f64 v[124:125], vcc, v[118:119], v[116:117], v[118:119]
	v_fma_f64 v[126:127], -v[120:121], v[122:123], 1.0
	v_fmac_f64_e32 v[122:123], v[122:123], v[126:127]
	v_fma_f64 v[126:127], -v[120:121], v[122:123], 1.0
	v_fmac_f64_e32 v[122:123], v[122:123], v[126:127]
	v_mul_f64 v[126:127], v[124:125], v[122:123]
	v_fma_f64 v[120:121], -v[120:121], v[126:127], v[124:125]
	v_div_fmas_f64 v[120:121], v[120:121], v[122:123], v[126:127]
	v_div_fixup_f64 v[122:123], v[120:121], v[116:117], v[118:119]
	v_fmac_f64_e32 v[116:117], v[118:119], v[122:123]
	v_div_scale_f64 v[118:119], s[10:11], v[116:117], v[116:117], 1.0
	v_rcp_f64_e32 v[120:121], v[118:119]
	s_nop 0
	v_fma_f64 v[124:125], -v[118:119], v[120:121], 1.0
	v_fmac_f64_e32 v[120:121], v[120:121], v[124:125]
	v_fma_f64 v[124:125], -v[118:119], v[120:121], 1.0
	v_fmac_f64_e32 v[120:121], v[120:121], v[124:125]
	v_div_scale_f64 v[124:125], vcc, 1.0, v[116:117], 1.0
	v_mul_f64 v[126:127], v[124:125], v[120:121]
	v_fma_f64 v[118:119], -v[118:119], v[126:127], v[124:125]
	s_nop 1
	v_div_fmas_f64 v[118:119], v[118:119], v[120:121], v[126:127]
	v_div_fixup_f64 v[120:121], v[118:119], v[116:117], 1.0
	v_mul_f64 v[122:123], v[122:123], -v[120:121]
.LBB53_25:
	s_or_b64 exec, exec, s[2:3]
	ds_write2_b64 v235, v[120:121], v[122:123] offset1:1
.LBB53_26:
	s_or_b64 exec, exec, s[4:5]
	s_waitcnt lgkmcnt(0)
	s_barrier
	ds_read2_b64 v[116:119], v235 offset1:1
	v_cmp_lt_u32_e32 vcc, 2, v234
	s_and_saveexec_b64 s[2:3], vcc
	s_cbranch_execz .LBB53_28
; %bb.27:
	ds_read2_b64 v[122:125], v236 offset0:6 offset1:7
	ds_read2_b64 v[126:129], v236 offset0:8 offset1:9
	s_waitcnt vmcnt(34) lgkmcnt(2)
	v_mul_f64 v[120:121], v[118:119], v[94:95]
	v_mul_f64 v[94:95], v[116:117], v[94:95]
	v_fmac_f64_e32 v[94:95], v[118:119], v[92:93]
	v_fma_f64 v[120:121], v[116:117], v[92:93], -v[120:121]
	s_waitcnt lgkmcnt(1)
	v_mul_f64 v[92:93], v[124:125], v[94:95]
	v_fma_f64 v[92:93], v[122:123], v[120:121], -v[92:93]
	v_mul_f64 v[122:123], v[122:123], v[94:95]
	v_fmac_f64_e32 v[122:123], v[124:125], v[120:121]
	s_waitcnt vmcnt(33)
	v_add_f64 v[88:89], v[88:89], -v[92:93]
	v_add_f64 v[90:91], v[90:91], -v[122:123]
	s_waitcnt lgkmcnt(0)
	v_mul_f64 v[92:93], v[128:129], v[94:95]
	ds_read2_b64 v[122:125], v236 offset0:10 offset1:11
	v_fma_f64 v[92:93], v[126:127], v[120:121], -v[92:93]
	v_mul_f64 v[126:127], v[126:127], v[94:95]
	v_fmac_f64_e32 v[126:127], v[128:129], v[120:121]
	s_waitcnt vmcnt(32)
	v_add_f64 v[86:87], v[86:87], -v[126:127]
	ds_read2_b64 v[126:129], v236 offset0:12 offset1:13
	v_add_f64 v[84:85], v[84:85], -v[92:93]
	s_waitcnt lgkmcnt(1)
	v_mul_f64 v[92:93], v[124:125], v[94:95]
	v_fma_f64 v[92:93], v[122:123], v[120:121], -v[92:93]
	v_mul_f64 v[122:123], v[122:123], v[94:95]
	v_fmac_f64_e32 v[122:123], v[124:125], v[120:121]
	s_waitcnt vmcnt(31)
	v_add_f64 v[80:81], v[80:81], -v[92:93]
	v_add_f64 v[82:83], v[82:83], -v[122:123]
	s_waitcnt lgkmcnt(0)
	v_mul_f64 v[92:93], v[128:129], v[94:95]
	ds_read2_b64 v[122:125], v236 offset0:14 offset1:15
	v_fma_f64 v[92:93], v[126:127], v[120:121], -v[92:93]
	v_mul_f64 v[126:127], v[126:127], v[94:95]
	v_fmac_f64_e32 v[126:127], v[128:129], v[120:121]
	s_waitcnt vmcnt(30)
	v_add_f64 v[78:79], v[78:79], -v[126:127]
	ds_read2_b64 v[126:129], v236 offset0:16 offset1:17
	v_add_f64 v[76:77], v[76:77], -v[92:93]
	;; [unrolled: 18-line block ×10, first 2 shown]
	s_waitcnt lgkmcnt(1)
	v_mul_f64 v[92:93], v[124:125], v[94:95]
	v_fma_f64 v[92:93], v[122:123], v[120:121], -v[92:93]
	v_mul_f64 v[122:123], v[122:123], v[94:95]
	v_fmac_f64_e32 v[122:123], v[124:125], v[120:121]
	v_add_f64 v[8:9], v[8:9], -v[92:93]
	v_add_f64 v[10:11], v[10:11], -v[122:123]
	s_waitcnt lgkmcnt(0)
	v_mul_f64 v[92:93], v[128:129], v[94:95]
	ds_read2_b64 v[122:125], v236 offset0:50 offset1:51
	v_fma_f64 v[92:93], v[126:127], v[120:121], -v[92:93]
	v_mul_f64 v[126:127], v[126:127], v[94:95]
	v_fmac_f64_e32 v[126:127], v[128:129], v[120:121]
	s_waitcnt vmcnt(3)
	v_add_f64 v[6:7], v[6:7], -v[126:127]
	ds_read2_b64 v[126:129], v236 offset0:52 offset1:53
	v_add_f64 v[4:5], v[4:5], -v[92:93]
	s_waitcnt lgkmcnt(1)
	v_mul_f64 v[92:93], v[124:125], v[94:95]
	v_fma_f64 v[92:93], v[122:123], v[120:121], -v[92:93]
	v_mul_f64 v[122:123], v[122:123], v[94:95]
	v_fmac_f64_e32 v[122:123], v[124:125], v[120:121]
	v_add_f64 v[0:1], v[0:1], -v[92:93]
	v_add_f64 v[2:3], v[2:3], -v[122:123]
	s_waitcnt lgkmcnt(0)
	v_mul_f64 v[92:93], v[128:129], v[94:95]
	v_mul_f64 v[122:123], v[126:127], v[94:95]
	v_fma_f64 v[92:93], v[126:127], v[120:121], -v[92:93]
	v_fmac_f64_e32 v[122:123], v[128:129], v[120:121]
	s_waitcnt vmcnt(2)
	v_add_f64 v[104:105], v[104:105], -v[92:93]
	v_add_f64 v[106:107], v[106:107], -v[122:123]
	v_mov_b64_e32 v[92:93], v[120:121]
.LBB53_28:
	s_or_b64 exec, exec, s[2:3]
	v_cmp_eq_u32_e32 vcc, 3, v234
	s_waitcnt lgkmcnt(0)
	s_barrier
	s_and_saveexec_b64 s[4:5], vcc
	s_cbranch_execz .LBB53_35
; %bb.29:
	s_waitcnt vmcnt(33)
	ds_write2_b64 v235, v[88:89], v[90:91] offset1:1
	s_waitcnt vmcnt(32)
	ds_write2_b64 v236, v[84:85], v[86:87] offset0:8 offset1:9
	s_waitcnt vmcnt(31)
	ds_write2_b64 v236, v[80:81], v[82:83] offset0:10 offset1:11
	;; [unrolled: 2-line block ×19, first 2 shown]
	ds_write2_b64 v236, v[8:9], v[10:11] offset0:46 offset1:47
	s_waitcnt vmcnt(3)
	ds_write2_b64 v236, v[4:5], v[6:7] offset0:48 offset1:49
	ds_write2_b64 v236, v[0:1], v[2:3] offset0:50 offset1:51
	s_waitcnt vmcnt(2)
	ds_write2_b64 v236, v[104:105], v[106:107] offset0:52 offset1:53
	ds_read2_b64 v[120:123], v235 offset1:1
	s_waitcnt lgkmcnt(0)
	v_cmp_neq_f64_e32 vcc, 0, v[120:121]
	v_cmp_neq_f64_e64 s[2:3], 0, v[122:123]
	s_or_b64 s[2:3], vcc, s[2:3]
	s_and_b64 exec, exec, s[2:3]
	s_cbranch_execz .LBB53_35
; %bb.30:
	v_cmp_ngt_f64_e64 s[2:3], |v[120:121]|, |v[122:123]|
                                        ; implicit-def: $vgpr124_vgpr125
	s_and_saveexec_b64 s[10:11], s[2:3]
	s_xor_b64 s[2:3], exec, s[10:11]
                                        ; implicit-def: $vgpr126_vgpr127
	s_cbranch_execz .LBB53_32
; %bb.31:
	v_div_scale_f64 v[124:125], s[10:11], v[122:123], v[122:123], v[120:121]
	v_rcp_f64_e32 v[126:127], v[124:125]
	v_div_scale_f64 v[128:129], vcc, v[120:121], v[122:123], v[120:121]
	v_fma_f64 v[130:131], -v[124:125], v[126:127], 1.0
	v_fmac_f64_e32 v[126:127], v[126:127], v[130:131]
	v_fma_f64 v[130:131], -v[124:125], v[126:127], 1.0
	v_fmac_f64_e32 v[126:127], v[126:127], v[130:131]
	v_mul_f64 v[130:131], v[128:129], v[126:127]
	v_fma_f64 v[124:125], -v[124:125], v[130:131], v[128:129]
	v_div_fmas_f64 v[124:125], v[124:125], v[126:127], v[130:131]
	v_div_fixup_f64 v[124:125], v[124:125], v[122:123], v[120:121]
	v_fmac_f64_e32 v[122:123], v[120:121], v[124:125]
	v_div_scale_f64 v[120:121], s[10:11], v[122:123], v[122:123], 1.0
	v_rcp_f64_e32 v[126:127], v[120:121]
	s_nop 0
	v_fma_f64 v[128:129], -v[120:121], v[126:127], 1.0
	v_fmac_f64_e32 v[126:127], v[126:127], v[128:129]
	v_fma_f64 v[128:129], -v[120:121], v[126:127], 1.0
	v_fmac_f64_e32 v[126:127], v[126:127], v[128:129]
	v_div_scale_f64 v[128:129], vcc, 1.0, v[122:123], 1.0
	v_mul_f64 v[130:131], v[128:129], v[126:127]
	v_fma_f64 v[120:121], -v[120:121], v[130:131], v[128:129]
	s_nop 1
	v_div_fmas_f64 v[120:121], v[120:121], v[126:127], v[130:131]
	v_div_fixup_f64 v[126:127], v[120:121], v[122:123], 1.0
	v_mul_f64 v[124:125], v[124:125], v[126:127]
	v_xor_b32_e32 v127, 0x80000000, v127
                                        ; implicit-def: $vgpr120_vgpr121
.LBB53_32:
	s_andn2_saveexec_b64 s[2:3], s[2:3]
	s_cbranch_execz .LBB53_34
; %bb.33:
	v_div_scale_f64 v[124:125], s[10:11], v[120:121], v[120:121], v[122:123]
	v_rcp_f64_e32 v[126:127], v[124:125]
	v_div_scale_f64 v[128:129], vcc, v[122:123], v[120:121], v[122:123]
	v_fma_f64 v[130:131], -v[124:125], v[126:127], 1.0
	v_fmac_f64_e32 v[126:127], v[126:127], v[130:131]
	v_fma_f64 v[130:131], -v[124:125], v[126:127], 1.0
	v_fmac_f64_e32 v[126:127], v[126:127], v[130:131]
	v_mul_f64 v[130:131], v[128:129], v[126:127]
	v_fma_f64 v[124:125], -v[124:125], v[130:131], v[128:129]
	v_div_fmas_f64 v[124:125], v[124:125], v[126:127], v[130:131]
	v_div_fixup_f64 v[126:127], v[124:125], v[120:121], v[122:123]
	v_fmac_f64_e32 v[120:121], v[122:123], v[126:127]
	v_div_scale_f64 v[122:123], s[10:11], v[120:121], v[120:121], 1.0
	v_rcp_f64_e32 v[124:125], v[122:123]
	s_nop 0
	v_fma_f64 v[128:129], -v[122:123], v[124:125], 1.0
	v_fmac_f64_e32 v[124:125], v[124:125], v[128:129]
	v_fma_f64 v[128:129], -v[122:123], v[124:125], 1.0
	v_fmac_f64_e32 v[124:125], v[124:125], v[128:129]
	v_div_scale_f64 v[128:129], vcc, 1.0, v[120:121], 1.0
	v_mul_f64 v[130:131], v[128:129], v[124:125]
	v_fma_f64 v[122:123], -v[122:123], v[130:131], v[128:129]
	s_nop 1
	v_div_fmas_f64 v[122:123], v[122:123], v[124:125], v[130:131]
	v_div_fixup_f64 v[124:125], v[122:123], v[120:121], 1.0
	v_mul_f64 v[126:127], v[126:127], -v[124:125]
.LBB53_34:
	s_or_b64 exec, exec, s[2:3]
	ds_write2_b64 v235, v[124:125], v[126:127] offset1:1
.LBB53_35:
	s_or_b64 exec, exec, s[4:5]
	s_waitcnt lgkmcnt(0)
	s_barrier
	ds_read2_b64 v[120:123], v235 offset1:1
	v_cmp_lt_u32_e32 vcc, 3, v234
	s_and_saveexec_b64 s[2:3], vcc
	s_cbranch_execz .LBB53_37
; %bb.36:
	ds_read2_b64 v[126:129], v236 offset0:8 offset1:9
	ds_read2_b64 v[130:133], v236 offset0:10 offset1:11
	s_waitcnt vmcnt(33) lgkmcnt(2)
	v_mul_f64 v[124:125], v[122:123], v[90:91]
	v_mul_f64 v[90:91], v[120:121], v[90:91]
	v_fmac_f64_e32 v[90:91], v[122:123], v[88:89]
	v_fma_f64 v[124:125], v[120:121], v[88:89], -v[124:125]
	s_waitcnt lgkmcnt(1)
	v_mul_f64 v[88:89], v[128:129], v[90:91]
	v_fma_f64 v[88:89], v[126:127], v[124:125], -v[88:89]
	v_mul_f64 v[126:127], v[126:127], v[90:91]
	v_fmac_f64_e32 v[126:127], v[128:129], v[124:125]
	s_waitcnt vmcnt(32)
	v_add_f64 v[86:87], v[86:87], -v[126:127]
	ds_read2_b64 v[126:129], v236 offset0:12 offset1:13
	v_add_f64 v[84:85], v[84:85], -v[88:89]
	s_waitcnt lgkmcnt(1)
	v_mul_f64 v[88:89], v[132:133], v[90:91]
	v_fma_f64 v[88:89], v[130:131], v[124:125], -v[88:89]
	v_mul_f64 v[130:131], v[130:131], v[90:91]
	v_fmac_f64_e32 v[130:131], v[132:133], v[124:125]
	s_waitcnt vmcnt(31)
	v_add_f64 v[80:81], v[80:81], -v[88:89]
	v_add_f64 v[82:83], v[82:83], -v[130:131]
	ds_read2_b64 v[130:133], v236 offset0:14 offset1:15
	s_waitcnt lgkmcnt(1)
	v_mul_f64 v[88:89], v[128:129], v[90:91]
	v_fma_f64 v[88:89], v[126:127], v[124:125], -v[88:89]
	v_mul_f64 v[126:127], v[126:127], v[90:91]
	v_fmac_f64_e32 v[126:127], v[128:129], v[124:125]
	s_waitcnt vmcnt(30)
	v_add_f64 v[78:79], v[78:79], -v[126:127]
	ds_read2_b64 v[126:129], v236 offset0:16 offset1:17
	v_add_f64 v[76:77], v[76:77], -v[88:89]
	s_waitcnt lgkmcnt(1)
	v_mul_f64 v[88:89], v[132:133], v[90:91]
	v_fma_f64 v[88:89], v[130:131], v[124:125], -v[88:89]
	v_mul_f64 v[130:131], v[130:131], v[90:91]
	v_fmac_f64_e32 v[130:131], v[132:133], v[124:125]
	s_waitcnt vmcnt(29)
	v_add_f64 v[72:73], v[72:73], -v[88:89]
	v_add_f64 v[74:75], v[74:75], -v[130:131]
	ds_read2_b64 v[130:133], v236 offset0:18 offset1:19
	s_waitcnt lgkmcnt(1)
	v_mul_f64 v[88:89], v[128:129], v[90:91]
	v_fma_f64 v[88:89], v[126:127], v[124:125], -v[88:89]
	v_mul_f64 v[126:127], v[126:127], v[90:91]
	v_fmac_f64_e32 v[126:127], v[128:129], v[124:125]
	s_waitcnt vmcnt(28)
	v_add_f64 v[70:71], v[70:71], -v[126:127]
	ds_read2_b64 v[126:129], v236 offset0:20 offset1:21
	v_add_f64 v[68:69], v[68:69], -v[88:89]
	s_waitcnt lgkmcnt(1)
	v_mul_f64 v[88:89], v[132:133], v[90:91]
	v_fma_f64 v[88:89], v[130:131], v[124:125], -v[88:89]
	v_mul_f64 v[130:131], v[130:131], v[90:91]
	v_fmac_f64_e32 v[130:131], v[132:133], v[124:125]
	s_waitcnt vmcnt(27)
	v_add_f64 v[64:65], v[64:65], -v[88:89]
	v_add_f64 v[66:67], v[66:67], -v[130:131]
	ds_read2_b64 v[130:133], v236 offset0:22 offset1:23
	s_waitcnt lgkmcnt(1)
	v_mul_f64 v[88:89], v[128:129], v[90:91]
	v_fma_f64 v[88:89], v[126:127], v[124:125], -v[88:89]
	v_mul_f64 v[126:127], v[126:127], v[90:91]
	v_fmac_f64_e32 v[126:127], v[128:129], v[124:125]
	s_waitcnt vmcnt(26)
	v_add_f64 v[62:63], v[62:63], -v[126:127]
	ds_read2_b64 v[126:129], v236 offset0:24 offset1:25
	v_add_f64 v[60:61], v[60:61], -v[88:89]
	s_waitcnt lgkmcnt(1)
	v_mul_f64 v[88:89], v[132:133], v[90:91]
	v_fma_f64 v[88:89], v[130:131], v[124:125], -v[88:89]
	v_mul_f64 v[130:131], v[130:131], v[90:91]
	v_fmac_f64_e32 v[130:131], v[132:133], v[124:125]
	s_waitcnt vmcnt(25)
	v_add_f64 v[56:57], v[56:57], -v[88:89]
	v_add_f64 v[58:59], v[58:59], -v[130:131]
	ds_read2_b64 v[130:133], v236 offset0:26 offset1:27
	s_waitcnt lgkmcnt(1)
	v_mul_f64 v[88:89], v[128:129], v[90:91]
	v_fma_f64 v[88:89], v[126:127], v[124:125], -v[88:89]
	v_mul_f64 v[126:127], v[126:127], v[90:91]
	v_fmac_f64_e32 v[126:127], v[128:129], v[124:125]
	s_waitcnt vmcnt(24)
	v_add_f64 v[54:55], v[54:55], -v[126:127]
	ds_read2_b64 v[126:129], v236 offset0:28 offset1:29
	v_add_f64 v[52:53], v[52:53], -v[88:89]
	s_waitcnt lgkmcnt(1)
	v_mul_f64 v[88:89], v[132:133], v[90:91]
	v_fma_f64 v[88:89], v[130:131], v[124:125], -v[88:89]
	v_mul_f64 v[130:131], v[130:131], v[90:91]
	v_fmac_f64_e32 v[130:131], v[132:133], v[124:125]
	s_waitcnt vmcnt(23)
	v_add_f64 v[48:49], v[48:49], -v[88:89]
	v_add_f64 v[50:51], v[50:51], -v[130:131]
	ds_read2_b64 v[130:133], v236 offset0:30 offset1:31
	s_waitcnt lgkmcnt(1)
	v_mul_f64 v[88:89], v[128:129], v[90:91]
	v_fma_f64 v[88:89], v[126:127], v[124:125], -v[88:89]
	v_mul_f64 v[126:127], v[126:127], v[90:91]
	v_fmac_f64_e32 v[126:127], v[128:129], v[124:125]
	s_waitcnt vmcnt(22)
	v_add_f64 v[46:47], v[46:47], -v[126:127]
	ds_read2_b64 v[126:129], v236 offset0:32 offset1:33
	v_add_f64 v[44:45], v[44:45], -v[88:89]
	s_waitcnt lgkmcnt(1)
	v_mul_f64 v[88:89], v[132:133], v[90:91]
	v_fma_f64 v[88:89], v[130:131], v[124:125], -v[88:89]
	v_mul_f64 v[130:131], v[130:131], v[90:91]
	v_fmac_f64_e32 v[130:131], v[132:133], v[124:125]
	s_waitcnt vmcnt(21)
	v_add_f64 v[40:41], v[40:41], -v[88:89]
	v_add_f64 v[42:43], v[42:43], -v[130:131]
	ds_read2_b64 v[130:133], v236 offset0:34 offset1:35
	s_waitcnt lgkmcnt(1)
	v_mul_f64 v[88:89], v[128:129], v[90:91]
	v_fma_f64 v[88:89], v[126:127], v[124:125], -v[88:89]
	v_mul_f64 v[126:127], v[126:127], v[90:91]
	v_fmac_f64_e32 v[126:127], v[128:129], v[124:125]
	s_waitcnt vmcnt(20)
	v_add_f64 v[38:39], v[38:39], -v[126:127]
	ds_read2_b64 v[126:129], v236 offset0:36 offset1:37
	v_add_f64 v[36:37], v[36:37], -v[88:89]
	s_waitcnt lgkmcnt(1)
	v_mul_f64 v[88:89], v[132:133], v[90:91]
	v_fma_f64 v[88:89], v[130:131], v[124:125], -v[88:89]
	v_mul_f64 v[130:131], v[130:131], v[90:91]
	v_fmac_f64_e32 v[130:131], v[132:133], v[124:125]
	s_waitcnt vmcnt(18)
	v_add_f64 v[32:33], v[32:33], -v[88:89]
	v_add_f64 v[34:35], v[34:35], -v[130:131]
	ds_read2_b64 v[130:133], v236 offset0:38 offset1:39
	s_waitcnt lgkmcnt(1)
	v_mul_f64 v[88:89], v[128:129], v[90:91]
	v_fma_f64 v[88:89], v[126:127], v[124:125], -v[88:89]
	v_mul_f64 v[126:127], v[126:127], v[90:91]
	v_fmac_f64_e32 v[126:127], v[128:129], v[124:125]
	s_waitcnt vmcnt(17)
	v_add_f64 v[30:31], v[30:31], -v[126:127]
	ds_read2_b64 v[126:129], v236 offset0:40 offset1:41
	v_add_f64 v[28:29], v[28:29], -v[88:89]
	s_waitcnt lgkmcnt(1)
	v_mul_f64 v[88:89], v[132:133], v[90:91]
	v_fma_f64 v[88:89], v[130:131], v[124:125], -v[88:89]
	v_mul_f64 v[130:131], v[130:131], v[90:91]
	v_fmac_f64_e32 v[130:131], v[132:133], v[124:125]
	s_waitcnt vmcnt(16)
	v_add_f64 v[24:25], v[24:25], -v[88:89]
	v_add_f64 v[26:27], v[26:27], -v[130:131]
	ds_read2_b64 v[130:133], v236 offset0:42 offset1:43
	s_waitcnt lgkmcnt(1)
	v_mul_f64 v[88:89], v[128:129], v[90:91]
	v_fma_f64 v[88:89], v[126:127], v[124:125], -v[88:89]
	v_mul_f64 v[126:127], v[126:127], v[90:91]
	v_fmac_f64_e32 v[126:127], v[128:129], v[124:125]
	s_waitcnt vmcnt(15)
	v_add_f64 v[22:23], v[22:23], -v[126:127]
	ds_read2_b64 v[126:129], v236 offset0:44 offset1:45
	v_add_f64 v[20:21], v[20:21], -v[88:89]
	s_waitcnt lgkmcnt(1)
	v_mul_f64 v[88:89], v[132:133], v[90:91]
	v_fma_f64 v[88:89], v[130:131], v[124:125], -v[88:89]
	v_mul_f64 v[130:131], v[130:131], v[90:91]
	v_fmac_f64_e32 v[130:131], v[132:133], v[124:125]
	s_waitcnt vmcnt(14)
	v_add_f64 v[16:17], v[16:17], -v[88:89]
	v_add_f64 v[18:19], v[18:19], -v[130:131]
	ds_read2_b64 v[130:133], v236 offset0:46 offset1:47
	s_waitcnt lgkmcnt(1)
	v_mul_f64 v[88:89], v[128:129], v[90:91]
	v_fma_f64 v[88:89], v[126:127], v[124:125], -v[88:89]
	v_mul_f64 v[126:127], v[126:127], v[90:91]
	v_fmac_f64_e32 v[126:127], v[128:129], v[124:125]
	s_waitcnt vmcnt(5)
	v_add_f64 v[14:15], v[14:15], -v[126:127]
	ds_read2_b64 v[126:129], v236 offset0:48 offset1:49
	v_add_f64 v[12:13], v[12:13], -v[88:89]
	s_waitcnt lgkmcnt(1)
	v_mul_f64 v[88:89], v[132:133], v[90:91]
	v_fma_f64 v[88:89], v[130:131], v[124:125], -v[88:89]
	v_mul_f64 v[130:131], v[130:131], v[90:91]
	v_fmac_f64_e32 v[130:131], v[132:133], v[124:125]
	v_add_f64 v[8:9], v[8:9], -v[88:89]
	v_add_f64 v[10:11], v[10:11], -v[130:131]
	ds_read2_b64 v[130:133], v236 offset0:50 offset1:51
	s_waitcnt lgkmcnt(1)
	v_mul_f64 v[88:89], v[128:129], v[90:91]
	v_fma_f64 v[88:89], v[126:127], v[124:125], -v[88:89]
	v_mul_f64 v[126:127], v[126:127], v[90:91]
	v_fmac_f64_e32 v[126:127], v[128:129], v[124:125]
	s_waitcnt vmcnt(3)
	v_add_f64 v[6:7], v[6:7], -v[126:127]
	ds_read2_b64 v[126:129], v236 offset0:52 offset1:53
	v_add_f64 v[4:5], v[4:5], -v[88:89]
	s_waitcnt lgkmcnt(1)
	v_mul_f64 v[88:89], v[132:133], v[90:91]
	v_fma_f64 v[88:89], v[130:131], v[124:125], -v[88:89]
	v_add_f64 v[0:1], v[0:1], -v[88:89]
	s_waitcnt lgkmcnt(0)
	v_mul_f64 v[88:89], v[128:129], v[90:91]
	v_mul_f64 v[130:131], v[130:131], v[90:91]
	v_fma_f64 v[88:89], v[126:127], v[124:125], -v[88:89]
	v_mul_f64 v[126:127], v[126:127], v[90:91]
	v_fmac_f64_e32 v[130:131], v[132:133], v[124:125]
	v_fmac_f64_e32 v[126:127], v[128:129], v[124:125]
	v_add_f64 v[2:3], v[2:3], -v[130:131]
	s_waitcnt vmcnt(2)
	v_add_f64 v[104:105], v[104:105], -v[88:89]
	v_add_f64 v[106:107], v[106:107], -v[126:127]
	v_mov_b64_e32 v[88:89], v[124:125]
.LBB53_37:
	s_or_b64 exec, exec, s[2:3]
	v_cmp_eq_u32_e32 vcc, 4, v234
	s_waitcnt lgkmcnt(0)
	s_barrier
	s_and_saveexec_b64 s[4:5], vcc
	s_cbranch_execz .LBB53_44
; %bb.38:
	s_waitcnt vmcnt(32)
	ds_write2_b64 v235, v[84:85], v[86:87] offset1:1
	s_waitcnt vmcnt(31)
	ds_write2_b64 v236, v[80:81], v[82:83] offset0:10 offset1:11
	s_waitcnt vmcnt(30)
	ds_write2_b64 v236, v[76:77], v[78:79] offset0:12 offset1:13
	;; [unrolled: 2-line block ×18, first 2 shown]
	ds_write2_b64 v236, v[8:9], v[10:11] offset0:46 offset1:47
	s_waitcnt vmcnt(3)
	ds_write2_b64 v236, v[4:5], v[6:7] offset0:48 offset1:49
	ds_write2_b64 v236, v[0:1], v[2:3] offset0:50 offset1:51
	s_waitcnt vmcnt(2)
	ds_write2_b64 v236, v[104:105], v[106:107] offset0:52 offset1:53
	ds_read2_b64 v[124:127], v235 offset1:1
	s_waitcnt lgkmcnt(0)
	v_cmp_neq_f64_e32 vcc, 0, v[124:125]
	v_cmp_neq_f64_e64 s[2:3], 0, v[126:127]
	s_or_b64 s[2:3], vcc, s[2:3]
	s_and_b64 exec, exec, s[2:3]
	s_cbranch_execz .LBB53_44
; %bb.39:
	v_cmp_ngt_f64_e64 s[2:3], |v[124:125]|, |v[126:127]|
                                        ; implicit-def: $vgpr128_vgpr129
	s_and_saveexec_b64 s[10:11], s[2:3]
	s_xor_b64 s[2:3], exec, s[10:11]
                                        ; implicit-def: $vgpr130_vgpr131
	s_cbranch_execz .LBB53_41
; %bb.40:
	v_div_scale_f64 v[128:129], s[10:11], v[126:127], v[126:127], v[124:125]
	v_rcp_f64_e32 v[130:131], v[128:129]
	v_div_scale_f64 v[132:133], vcc, v[124:125], v[126:127], v[124:125]
	v_fma_f64 v[134:135], -v[128:129], v[130:131], 1.0
	v_fmac_f64_e32 v[130:131], v[130:131], v[134:135]
	v_fma_f64 v[134:135], -v[128:129], v[130:131], 1.0
	v_fmac_f64_e32 v[130:131], v[130:131], v[134:135]
	v_mul_f64 v[134:135], v[132:133], v[130:131]
	v_fma_f64 v[128:129], -v[128:129], v[134:135], v[132:133]
	v_div_fmas_f64 v[128:129], v[128:129], v[130:131], v[134:135]
	v_div_fixup_f64 v[128:129], v[128:129], v[126:127], v[124:125]
	v_fmac_f64_e32 v[126:127], v[124:125], v[128:129]
	v_div_scale_f64 v[124:125], s[10:11], v[126:127], v[126:127], 1.0
	v_rcp_f64_e32 v[130:131], v[124:125]
	s_nop 0
	v_fma_f64 v[132:133], -v[124:125], v[130:131], 1.0
	v_fmac_f64_e32 v[130:131], v[130:131], v[132:133]
	v_fma_f64 v[132:133], -v[124:125], v[130:131], 1.0
	v_fmac_f64_e32 v[130:131], v[130:131], v[132:133]
	v_div_scale_f64 v[132:133], vcc, 1.0, v[126:127], 1.0
	v_mul_f64 v[134:135], v[132:133], v[130:131]
	v_fma_f64 v[124:125], -v[124:125], v[134:135], v[132:133]
	s_nop 1
	v_div_fmas_f64 v[124:125], v[124:125], v[130:131], v[134:135]
	v_div_fixup_f64 v[130:131], v[124:125], v[126:127], 1.0
	v_mul_f64 v[128:129], v[128:129], v[130:131]
	v_xor_b32_e32 v131, 0x80000000, v131
                                        ; implicit-def: $vgpr124_vgpr125
.LBB53_41:
	s_andn2_saveexec_b64 s[2:3], s[2:3]
	s_cbranch_execz .LBB53_43
; %bb.42:
	v_div_scale_f64 v[128:129], s[10:11], v[124:125], v[124:125], v[126:127]
	v_rcp_f64_e32 v[130:131], v[128:129]
	v_div_scale_f64 v[132:133], vcc, v[126:127], v[124:125], v[126:127]
	v_fma_f64 v[134:135], -v[128:129], v[130:131], 1.0
	v_fmac_f64_e32 v[130:131], v[130:131], v[134:135]
	v_fma_f64 v[134:135], -v[128:129], v[130:131], 1.0
	v_fmac_f64_e32 v[130:131], v[130:131], v[134:135]
	v_mul_f64 v[134:135], v[132:133], v[130:131]
	v_fma_f64 v[128:129], -v[128:129], v[134:135], v[132:133]
	v_div_fmas_f64 v[128:129], v[128:129], v[130:131], v[134:135]
	v_div_fixup_f64 v[130:131], v[128:129], v[124:125], v[126:127]
	v_fmac_f64_e32 v[124:125], v[126:127], v[130:131]
	v_div_scale_f64 v[126:127], s[10:11], v[124:125], v[124:125], 1.0
	v_rcp_f64_e32 v[128:129], v[126:127]
	s_nop 0
	v_fma_f64 v[132:133], -v[126:127], v[128:129], 1.0
	v_fmac_f64_e32 v[128:129], v[128:129], v[132:133]
	v_fma_f64 v[132:133], -v[126:127], v[128:129], 1.0
	v_fmac_f64_e32 v[128:129], v[128:129], v[132:133]
	v_div_scale_f64 v[132:133], vcc, 1.0, v[124:125], 1.0
	v_mul_f64 v[134:135], v[132:133], v[128:129]
	v_fma_f64 v[126:127], -v[126:127], v[134:135], v[132:133]
	s_nop 1
	v_div_fmas_f64 v[126:127], v[126:127], v[128:129], v[134:135]
	v_div_fixup_f64 v[128:129], v[126:127], v[124:125], 1.0
	v_mul_f64 v[130:131], v[130:131], -v[128:129]
.LBB53_43:
	s_or_b64 exec, exec, s[2:3]
	ds_write2_b64 v235, v[128:129], v[130:131] offset1:1
.LBB53_44:
	s_or_b64 exec, exec, s[4:5]
	s_waitcnt lgkmcnt(0)
	s_barrier
	ds_read2_b64 v[124:127], v235 offset1:1
	v_cmp_lt_u32_e32 vcc, 4, v234
	s_and_saveexec_b64 s[2:3], vcc
	s_cbranch_execz .LBB53_46
; %bb.45:
	ds_read2_b64 v[130:133], v236 offset0:10 offset1:11
	ds_read2_b64 v[134:137], v236 offset0:12 offset1:13
	s_waitcnt vmcnt(32) lgkmcnt(2)
	v_mul_f64 v[128:129], v[126:127], v[86:87]
	v_mul_f64 v[86:87], v[124:125], v[86:87]
	v_fmac_f64_e32 v[86:87], v[126:127], v[84:85]
	v_fma_f64 v[128:129], v[124:125], v[84:85], -v[128:129]
	s_waitcnt lgkmcnt(1)
	v_mul_f64 v[84:85], v[132:133], v[86:87]
	v_fma_f64 v[84:85], v[130:131], v[128:129], -v[84:85]
	v_mul_f64 v[130:131], v[130:131], v[86:87]
	v_fmac_f64_e32 v[130:131], v[132:133], v[128:129]
	s_waitcnt vmcnt(31)
	v_add_f64 v[80:81], v[80:81], -v[84:85]
	v_add_f64 v[82:83], v[82:83], -v[130:131]
	s_waitcnt lgkmcnt(0)
	v_mul_f64 v[84:85], v[136:137], v[86:87]
	ds_read2_b64 v[130:133], v236 offset0:14 offset1:15
	v_fma_f64 v[84:85], v[134:135], v[128:129], -v[84:85]
	v_mul_f64 v[134:135], v[134:135], v[86:87]
	v_fmac_f64_e32 v[134:135], v[136:137], v[128:129]
	s_waitcnt vmcnt(30)
	v_add_f64 v[78:79], v[78:79], -v[134:135]
	ds_read2_b64 v[134:137], v236 offset0:16 offset1:17
	v_add_f64 v[76:77], v[76:77], -v[84:85]
	s_waitcnt lgkmcnt(1)
	v_mul_f64 v[84:85], v[132:133], v[86:87]
	v_fma_f64 v[84:85], v[130:131], v[128:129], -v[84:85]
	v_mul_f64 v[130:131], v[130:131], v[86:87]
	v_fmac_f64_e32 v[130:131], v[132:133], v[128:129]
	s_waitcnt vmcnt(29)
	v_add_f64 v[72:73], v[72:73], -v[84:85]
	v_add_f64 v[74:75], v[74:75], -v[130:131]
	s_waitcnt lgkmcnt(0)
	v_mul_f64 v[84:85], v[136:137], v[86:87]
	ds_read2_b64 v[130:133], v236 offset0:18 offset1:19
	v_fma_f64 v[84:85], v[134:135], v[128:129], -v[84:85]
	v_mul_f64 v[134:135], v[134:135], v[86:87]
	v_fmac_f64_e32 v[134:135], v[136:137], v[128:129]
	s_waitcnt vmcnt(28)
	v_add_f64 v[70:71], v[70:71], -v[134:135]
	ds_read2_b64 v[134:137], v236 offset0:20 offset1:21
	v_add_f64 v[68:69], v[68:69], -v[84:85]
	;; [unrolled: 18-line block ×9, first 2 shown]
	s_waitcnt lgkmcnt(1)
	v_mul_f64 v[84:85], v[132:133], v[86:87]
	v_fma_f64 v[84:85], v[130:131], v[128:129], -v[84:85]
	v_mul_f64 v[130:131], v[130:131], v[86:87]
	v_fmac_f64_e32 v[130:131], v[132:133], v[128:129]
	v_add_f64 v[8:9], v[8:9], -v[84:85]
	v_add_f64 v[10:11], v[10:11], -v[130:131]
	s_waitcnt lgkmcnt(0)
	v_mul_f64 v[84:85], v[136:137], v[86:87]
	ds_read2_b64 v[130:133], v236 offset0:50 offset1:51
	v_fma_f64 v[84:85], v[134:135], v[128:129], -v[84:85]
	v_mul_f64 v[134:135], v[134:135], v[86:87]
	v_fmac_f64_e32 v[134:135], v[136:137], v[128:129]
	s_waitcnt vmcnt(3)
	v_add_f64 v[6:7], v[6:7], -v[134:135]
	ds_read2_b64 v[134:137], v236 offset0:52 offset1:53
	v_add_f64 v[4:5], v[4:5], -v[84:85]
	s_waitcnt lgkmcnt(1)
	v_mul_f64 v[84:85], v[132:133], v[86:87]
	v_fma_f64 v[84:85], v[130:131], v[128:129], -v[84:85]
	v_mul_f64 v[130:131], v[130:131], v[86:87]
	v_fmac_f64_e32 v[130:131], v[132:133], v[128:129]
	v_add_f64 v[0:1], v[0:1], -v[84:85]
	v_add_f64 v[2:3], v[2:3], -v[130:131]
	s_waitcnt lgkmcnt(0)
	v_mul_f64 v[84:85], v[136:137], v[86:87]
	v_mul_f64 v[130:131], v[134:135], v[86:87]
	v_fma_f64 v[84:85], v[134:135], v[128:129], -v[84:85]
	v_fmac_f64_e32 v[130:131], v[136:137], v[128:129]
	s_waitcnt vmcnt(2)
	v_add_f64 v[104:105], v[104:105], -v[84:85]
	v_add_f64 v[106:107], v[106:107], -v[130:131]
	v_mov_b64_e32 v[84:85], v[128:129]
.LBB53_46:
	s_or_b64 exec, exec, s[2:3]
	v_cmp_eq_u32_e32 vcc, 5, v234
	s_waitcnt lgkmcnt(0)
	s_barrier
	s_and_saveexec_b64 s[4:5], vcc
	s_cbranch_execz .LBB53_53
; %bb.47:
	s_waitcnt vmcnt(31)
	ds_write2_b64 v235, v[80:81], v[82:83] offset1:1
	s_waitcnt vmcnt(30)
	ds_write2_b64 v236, v[76:77], v[78:79] offset0:12 offset1:13
	s_waitcnt vmcnt(29)
	ds_write2_b64 v236, v[72:73], v[74:75] offset0:14 offset1:15
	;; [unrolled: 2-line block ×17, first 2 shown]
	ds_write2_b64 v236, v[8:9], v[10:11] offset0:46 offset1:47
	s_waitcnt vmcnt(3)
	ds_write2_b64 v236, v[4:5], v[6:7] offset0:48 offset1:49
	ds_write2_b64 v236, v[0:1], v[2:3] offset0:50 offset1:51
	s_waitcnt vmcnt(2)
	ds_write2_b64 v236, v[104:105], v[106:107] offset0:52 offset1:53
	ds_read2_b64 v[128:131], v235 offset1:1
	s_waitcnt lgkmcnt(0)
	v_cmp_neq_f64_e32 vcc, 0, v[128:129]
	v_cmp_neq_f64_e64 s[2:3], 0, v[130:131]
	s_or_b64 s[2:3], vcc, s[2:3]
	s_and_b64 exec, exec, s[2:3]
	s_cbranch_execz .LBB53_53
; %bb.48:
	v_cmp_ngt_f64_e64 s[2:3], |v[128:129]|, |v[130:131]|
                                        ; implicit-def: $vgpr132_vgpr133
	s_and_saveexec_b64 s[10:11], s[2:3]
	s_xor_b64 s[2:3], exec, s[10:11]
                                        ; implicit-def: $vgpr134_vgpr135
	s_cbranch_execz .LBB53_50
; %bb.49:
	v_div_scale_f64 v[132:133], s[10:11], v[130:131], v[130:131], v[128:129]
	v_rcp_f64_e32 v[134:135], v[132:133]
	v_div_scale_f64 v[136:137], vcc, v[128:129], v[130:131], v[128:129]
	v_fma_f64 v[138:139], -v[132:133], v[134:135], 1.0
	v_fmac_f64_e32 v[134:135], v[134:135], v[138:139]
	v_fma_f64 v[138:139], -v[132:133], v[134:135], 1.0
	v_fmac_f64_e32 v[134:135], v[134:135], v[138:139]
	v_mul_f64 v[138:139], v[136:137], v[134:135]
	v_fma_f64 v[132:133], -v[132:133], v[138:139], v[136:137]
	v_div_fmas_f64 v[132:133], v[132:133], v[134:135], v[138:139]
	v_div_fixup_f64 v[132:133], v[132:133], v[130:131], v[128:129]
	v_fmac_f64_e32 v[130:131], v[128:129], v[132:133]
	v_div_scale_f64 v[128:129], s[10:11], v[130:131], v[130:131], 1.0
	v_rcp_f64_e32 v[134:135], v[128:129]
	s_nop 0
	v_fma_f64 v[136:137], -v[128:129], v[134:135], 1.0
	v_fmac_f64_e32 v[134:135], v[134:135], v[136:137]
	v_fma_f64 v[136:137], -v[128:129], v[134:135], 1.0
	v_fmac_f64_e32 v[134:135], v[134:135], v[136:137]
	v_div_scale_f64 v[136:137], vcc, 1.0, v[130:131], 1.0
	v_mul_f64 v[138:139], v[136:137], v[134:135]
	v_fma_f64 v[128:129], -v[128:129], v[138:139], v[136:137]
	s_nop 1
	v_div_fmas_f64 v[128:129], v[128:129], v[134:135], v[138:139]
	v_div_fixup_f64 v[134:135], v[128:129], v[130:131], 1.0
	v_mul_f64 v[132:133], v[132:133], v[134:135]
	v_xor_b32_e32 v135, 0x80000000, v135
                                        ; implicit-def: $vgpr128_vgpr129
.LBB53_50:
	s_andn2_saveexec_b64 s[2:3], s[2:3]
	s_cbranch_execz .LBB53_52
; %bb.51:
	v_div_scale_f64 v[132:133], s[10:11], v[128:129], v[128:129], v[130:131]
	v_rcp_f64_e32 v[134:135], v[132:133]
	v_div_scale_f64 v[136:137], vcc, v[130:131], v[128:129], v[130:131]
	v_fma_f64 v[138:139], -v[132:133], v[134:135], 1.0
	v_fmac_f64_e32 v[134:135], v[134:135], v[138:139]
	v_fma_f64 v[138:139], -v[132:133], v[134:135], 1.0
	v_fmac_f64_e32 v[134:135], v[134:135], v[138:139]
	v_mul_f64 v[138:139], v[136:137], v[134:135]
	v_fma_f64 v[132:133], -v[132:133], v[138:139], v[136:137]
	v_div_fmas_f64 v[132:133], v[132:133], v[134:135], v[138:139]
	v_div_fixup_f64 v[134:135], v[132:133], v[128:129], v[130:131]
	v_fmac_f64_e32 v[128:129], v[130:131], v[134:135]
	v_div_scale_f64 v[130:131], s[10:11], v[128:129], v[128:129], 1.0
	v_rcp_f64_e32 v[132:133], v[130:131]
	s_nop 0
	v_fma_f64 v[136:137], -v[130:131], v[132:133], 1.0
	v_fmac_f64_e32 v[132:133], v[132:133], v[136:137]
	v_fma_f64 v[136:137], -v[130:131], v[132:133], 1.0
	v_fmac_f64_e32 v[132:133], v[132:133], v[136:137]
	v_div_scale_f64 v[136:137], vcc, 1.0, v[128:129], 1.0
	v_mul_f64 v[138:139], v[136:137], v[132:133]
	v_fma_f64 v[130:131], -v[130:131], v[138:139], v[136:137]
	s_nop 1
	v_div_fmas_f64 v[130:131], v[130:131], v[132:133], v[138:139]
	v_div_fixup_f64 v[132:133], v[130:131], v[128:129], 1.0
	v_mul_f64 v[134:135], v[134:135], -v[132:133]
.LBB53_52:
	s_or_b64 exec, exec, s[2:3]
	ds_write2_b64 v235, v[132:133], v[134:135] offset1:1
.LBB53_53:
	s_or_b64 exec, exec, s[4:5]
	s_waitcnt lgkmcnt(0)
	s_barrier
	ds_read2_b64 v[128:131], v235 offset1:1
	v_cmp_lt_u32_e32 vcc, 5, v234
	s_and_saveexec_b64 s[2:3], vcc
	s_cbranch_execz .LBB53_55
; %bb.54:
	ds_read2_b64 v[134:137], v236 offset0:12 offset1:13
	ds_read2_b64 v[138:141], v236 offset0:14 offset1:15
	s_waitcnt vmcnt(31) lgkmcnt(2)
	v_mul_f64 v[132:133], v[130:131], v[82:83]
	v_mul_f64 v[82:83], v[128:129], v[82:83]
	v_fmac_f64_e32 v[82:83], v[130:131], v[80:81]
	v_fma_f64 v[132:133], v[128:129], v[80:81], -v[132:133]
	s_waitcnt lgkmcnt(1)
	v_mul_f64 v[80:81], v[136:137], v[82:83]
	v_fma_f64 v[80:81], v[134:135], v[132:133], -v[80:81]
	v_mul_f64 v[134:135], v[134:135], v[82:83]
	v_fmac_f64_e32 v[134:135], v[136:137], v[132:133]
	s_waitcnt vmcnt(30)
	v_add_f64 v[78:79], v[78:79], -v[134:135]
	ds_read2_b64 v[134:137], v236 offset0:16 offset1:17
	v_add_f64 v[76:77], v[76:77], -v[80:81]
	s_waitcnt lgkmcnt(1)
	v_mul_f64 v[80:81], v[140:141], v[82:83]
	v_fma_f64 v[80:81], v[138:139], v[132:133], -v[80:81]
	v_mul_f64 v[138:139], v[138:139], v[82:83]
	v_fmac_f64_e32 v[138:139], v[140:141], v[132:133]
	s_waitcnt vmcnt(29)
	v_add_f64 v[72:73], v[72:73], -v[80:81]
	v_add_f64 v[74:75], v[74:75], -v[138:139]
	ds_read2_b64 v[138:141], v236 offset0:18 offset1:19
	s_waitcnt lgkmcnt(1)
	v_mul_f64 v[80:81], v[136:137], v[82:83]
	v_fma_f64 v[80:81], v[134:135], v[132:133], -v[80:81]
	v_mul_f64 v[134:135], v[134:135], v[82:83]
	v_fmac_f64_e32 v[134:135], v[136:137], v[132:133]
	s_waitcnt vmcnt(28)
	v_add_f64 v[70:71], v[70:71], -v[134:135]
	ds_read2_b64 v[134:137], v236 offset0:20 offset1:21
	v_add_f64 v[68:69], v[68:69], -v[80:81]
	s_waitcnt lgkmcnt(1)
	v_mul_f64 v[80:81], v[140:141], v[82:83]
	v_fma_f64 v[80:81], v[138:139], v[132:133], -v[80:81]
	v_mul_f64 v[138:139], v[138:139], v[82:83]
	v_fmac_f64_e32 v[138:139], v[140:141], v[132:133]
	s_waitcnt vmcnt(27)
	v_add_f64 v[64:65], v[64:65], -v[80:81]
	v_add_f64 v[66:67], v[66:67], -v[138:139]
	ds_read2_b64 v[138:141], v236 offset0:22 offset1:23
	;; [unrolled: 18-line block ×8, first 2 shown]
	s_waitcnt lgkmcnt(1)
	v_mul_f64 v[80:81], v[136:137], v[82:83]
	v_fma_f64 v[80:81], v[134:135], v[132:133], -v[80:81]
	v_mul_f64 v[134:135], v[134:135], v[82:83]
	v_fmac_f64_e32 v[134:135], v[136:137], v[132:133]
	s_waitcnt vmcnt(5)
	v_add_f64 v[14:15], v[14:15], -v[134:135]
	ds_read2_b64 v[134:137], v236 offset0:48 offset1:49
	v_add_f64 v[12:13], v[12:13], -v[80:81]
	s_waitcnt lgkmcnt(1)
	v_mul_f64 v[80:81], v[140:141], v[82:83]
	v_fma_f64 v[80:81], v[138:139], v[132:133], -v[80:81]
	v_mul_f64 v[138:139], v[138:139], v[82:83]
	v_fmac_f64_e32 v[138:139], v[140:141], v[132:133]
	v_add_f64 v[8:9], v[8:9], -v[80:81]
	v_add_f64 v[10:11], v[10:11], -v[138:139]
	ds_read2_b64 v[138:141], v236 offset0:50 offset1:51
	s_waitcnt lgkmcnt(1)
	v_mul_f64 v[80:81], v[136:137], v[82:83]
	v_fma_f64 v[80:81], v[134:135], v[132:133], -v[80:81]
	v_mul_f64 v[134:135], v[134:135], v[82:83]
	v_fmac_f64_e32 v[134:135], v[136:137], v[132:133]
	s_waitcnt vmcnt(3)
	v_add_f64 v[6:7], v[6:7], -v[134:135]
	ds_read2_b64 v[134:137], v236 offset0:52 offset1:53
	v_add_f64 v[4:5], v[4:5], -v[80:81]
	s_waitcnt lgkmcnt(1)
	v_mul_f64 v[80:81], v[140:141], v[82:83]
	v_fma_f64 v[80:81], v[138:139], v[132:133], -v[80:81]
	v_add_f64 v[0:1], v[0:1], -v[80:81]
	s_waitcnt lgkmcnt(0)
	v_mul_f64 v[80:81], v[136:137], v[82:83]
	v_mul_f64 v[138:139], v[138:139], v[82:83]
	v_fma_f64 v[80:81], v[134:135], v[132:133], -v[80:81]
	v_mul_f64 v[134:135], v[134:135], v[82:83]
	v_fmac_f64_e32 v[138:139], v[140:141], v[132:133]
	v_fmac_f64_e32 v[134:135], v[136:137], v[132:133]
	v_add_f64 v[2:3], v[2:3], -v[138:139]
	s_waitcnt vmcnt(2)
	v_add_f64 v[104:105], v[104:105], -v[80:81]
	v_add_f64 v[106:107], v[106:107], -v[134:135]
	v_mov_b64_e32 v[80:81], v[132:133]
.LBB53_55:
	s_or_b64 exec, exec, s[2:3]
	v_cmp_eq_u32_e32 vcc, 6, v234
	s_waitcnt lgkmcnt(0)
	s_barrier
	s_and_saveexec_b64 s[4:5], vcc
	s_cbranch_execz .LBB53_62
; %bb.56:
	s_waitcnt vmcnt(30)
	ds_write2_b64 v235, v[76:77], v[78:79] offset1:1
	s_waitcnt vmcnt(29)
	ds_write2_b64 v236, v[72:73], v[74:75] offset0:14 offset1:15
	s_waitcnt vmcnt(28)
	ds_write2_b64 v236, v[68:69], v[70:71] offset0:16 offset1:17
	;; [unrolled: 2-line block ×16, first 2 shown]
	ds_write2_b64 v236, v[8:9], v[10:11] offset0:46 offset1:47
	s_waitcnt vmcnt(3)
	ds_write2_b64 v236, v[4:5], v[6:7] offset0:48 offset1:49
	ds_write2_b64 v236, v[0:1], v[2:3] offset0:50 offset1:51
	s_waitcnt vmcnt(2)
	ds_write2_b64 v236, v[104:105], v[106:107] offset0:52 offset1:53
	ds_read2_b64 v[132:135], v235 offset1:1
	s_waitcnt lgkmcnt(0)
	v_cmp_neq_f64_e32 vcc, 0, v[132:133]
	v_cmp_neq_f64_e64 s[2:3], 0, v[134:135]
	s_or_b64 s[2:3], vcc, s[2:3]
	s_and_b64 exec, exec, s[2:3]
	s_cbranch_execz .LBB53_62
; %bb.57:
	v_cmp_ngt_f64_e64 s[2:3], |v[132:133]|, |v[134:135]|
                                        ; implicit-def: $vgpr136_vgpr137
	s_and_saveexec_b64 s[10:11], s[2:3]
	s_xor_b64 s[2:3], exec, s[10:11]
                                        ; implicit-def: $vgpr138_vgpr139
	s_cbranch_execz .LBB53_59
; %bb.58:
	v_div_scale_f64 v[136:137], s[10:11], v[134:135], v[134:135], v[132:133]
	v_rcp_f64_e32 v[138:139], v[136:137]
	v_div_scale_f64 v[140:141], vcc, v[132:133], v[134:135], v[132:133]
	v_fma_f64 v[142:143], -v[136:137], v[138:139], 1.0
	v_fmac_f64_e32 v[138:139], v[138:139], v[142:143]
	v_fma_f64 v[142:143], -v[136:137], v[138:139], 1.0
	v_fmac_f64_e32 v[138:139], v[138:139], v[142:143]
	v_mul_f64 v[142:143], v[140:141], v[138:139]
	v_fma_f64 v[136:137], -v[136:137], v[142:143], v[140:141]
	v_div_fmas_f64 v[136:137], v[136:137], v[138:139], v[142:143]
	v_div_fixup_f64 v[136:137], v[136:137], v[134:135], v[132:133]
	v_fmac_f64_e32 v[134:135], v[132:133], v[136:137]
	v_div_scale_f64 v[132:133], s[10:11], v[134:135], v[134:135], 1.0
	v_rcp_f64_e32 v[138:139], v[132:133]
	s_nop 0
	v_fma_f64 v[140:141], -v[132:133], v[138:139], 1.0
	v_fmac_f64_e32 v[138:139], v[138:139], v[140:141]
	v_fma_f64 v[140:141], -v[132:133], v[138:139], 1.0
	v_fmac_f64_e32 v[138:139], v[138:139], v[140:141]
	v_div_scale_f64 v[140:141], vcc, 1.0, v[134:135], 1.0
	v_mul_f64 v[142:143], v[140:141], v[138:139]
	v_fma_f64 v[132:133], -v[132:133], v[142:143], v[140:141]
	s_nop 1
	v_div_fmas_f64 v[132:133], v[132:133], v[138:139], v[142:143]
	v_div_fixup_f64 v[138:139], v[132:133], v[134:135], 1.0
	v_mul_f64 v[136:137], v[136:137], v[138:139]
	v_xor_b32_e32 v139, 0x80000000, v139
                                        ; implicit-def: $vgpr132_vgpr133
.LBB53_59:
	s_andn2_saveexec_b64 s[2:3], s[2:3]
	s_cbranch_execz .LBB53_61
; %bb.60:
	v_div_scale_f64 v[136:137], s[10:11], v[132:133], v[132:133], v[134:135]
	v_rcp_f64_e32 v[138:139], v[136:137]
	v_div_scale_f64 v[140:141], vcc, v[134:135], v[132:133], v[134:135]
	v_fma_f64 v[142:143], -v[136:137], v[138:139], 1.0
	v_fmac_f64_e32 v[138:139], v[138:139], v[142:143]
	v_fma_f64 v[142:143], -v[136:137], v[138:139], 1.0
	v_fmac_f64_e32 v[138:139], v[138:139], v[142:143]
	v_mul_f64 v[142:143], v[140:141], v[138:139]
	v_fma_f64 v[136:137], -v[136:137], v[142:143], v[140:141]
	v_div_fmas_f64 v[136:137], v[136:137], v[138:139], v[142:143]
	v_div_fixup_f64 v[138:139], v[136:137], v[132:133], v[134:135]
	v_fmac_f64_e32 v[132:133], v[134:135], v[138:139]
	v_div_scale_f64 v[134:135], s[10:11], v[132:133], v[132:133], 1.0
	v_rcp_f64_e32 v[136:137], v[134:135]
	s_nop 0
	v_fma_f64 v[140:141], -v[134:135], v[136:137], 1.0
	v_fmac_f64_e32 v[136:137], v[136:137], v[140:141]
	v_fma_f64 v[140:141], -v[134:135], v[136:137], 1.0
	v_fmac_f64_e32 v[136:137], v[136:137], v[140:141]
	v_div_scale_f64 v[140:141], vcc, 1.0, v[132:133], 1.0
	v_mul_f64 v[142:143], v[140:141], v[136:137]
	v_fma_f64 v[134:135], -v[134:135], v[142:143], v[140:141]
	s_nop 1
	v_div_fmas_f64 v[134:135], v[134:135], v[136:137], v[142:143]
	v_div_fixup_f64 v[136:137], v[134:135], v[132:133], 1.0
	v_mul_f64 v[138:139], v[138:139], -v[136:137]
.LBB53_61:
	s_or_b64 exec, exec, s[2:3]
	ds_write2_b64 v235, v[136:137], v[138:139] offset1:1
.LBB53_62:
	s_or_b64 exec, exec, s[4:5]
	s_waitcnt lgkmcnt(0)
	s_barrier
	ds_read2_b64 v[132:135], v235 offset1:1
	v_cmp_lt_u32_e32 vcc, 6, v234
	s_and_saveexec_b64 s[2:3], vcc
	s_cbranch_execz .LBB53_64
; %bb.63:
	ds_read2_b64 v[138:141], v236 offset0:14 offset1:15
	ds_read2_b64 v[142:145], v236 offset0:16 offset1:17
	s_waitcnt vmcnt(30) lgkmcnt(2)
	v_mul_f64 v[136:137], v[134:135], v[78:79]
	v_mul_f64 v[78:79], v[132:133], v[78:79]
	v_fmac_f64_e32 v[78:79], v[134:135], v[76:77]
	v_fma_f64 v[136:137], v[132:133], v[76:77], -v[136:137]
	s_waitcnt lgkmcnt(1)
	v_mul_f64 v[76:77], v[140:141], v[78:79]
	v_fma_f64 v[76:77], v[138:139], v[136:137], -v[76:77]
	v_mul_f64 v[138:139], v[138:139], v[78:79]
	v_fmac_f64_e32 v[138:139], v[140:141], v[136:137]
	s_waitcnt vmcnt(29)
	v_add_f64 v[72:73], v[72:73], -v[76:77]
	v_add_f64 v[74:75], v[74:75], -v[138:139]
	s_waitcnt lgkmcnt(0)
	v_mul_f64 v[76:77], v[144:145], v[78:79]
	ds_read2_b64 v[138:141], v236 offset0:18 offset1:19
	v_fma_f64 v[76:77], v[142:143], v[136:137], -v[76:77]
	v_mul_f64 v[142:143], v[142:143], v[78:79]
	v_fmac_f64_e32 v[142:143], v[144:145], v[136:137]
	s_waitcnt vmcnt(28)
	v_add_f64 v[70:71], v[70:71], -v[142:143]
	ds_read2_b64 v[142:145], v236 offset0:20 offset1:21
	v_add_f64 v[68:69], v[68:69], -v[76:77]
	s_waitcnt lgkmcnt(1)
	v_mul_f64 v[76:77], v[140:141], v[78:79]
	v_fma_f64 v[76:77], v[138:139], v[136:137], -v[76:77]
	v_mul_f64 v[138:139], v[138:139], v[78:79]
	v_fmac_f64_e32 v[138:139], v[140:141], v[136:137]
	s_waitcnt vmcnt(27)
	v_add_f64 v[64:65], v[64:65], -v[76:77]
	v_add_f64 v[66:67], v[66:67], -v[138:139]
	s_waitcnt lgkmcnt(0)
	v_mul_f64 v[76:77], v[144:145], v[78:79]
	ds_read2_b64 v[138:141], v236 offset0:22 offset1:23
	v_fma_f64 v[76:77], v[142:143], v[136:137], -v[76:77]
	v_mul_f64 v[142:143], v[142:143], v[78:79]
	v_fmac_f64_e32 v[142:143], v[144:145], v[136:137]
	s_waitcnt vmcnt(26)
	v_add_f64 v[62:63], v[62:63], -v[142:143]
	ds_read2_b64 v[142:145], v236 offset0:24 offset1:25
	v_add_f64 v[60:61], v[60:61], -v[76:77]
	;; [unrolled: 18-line block ×8, first 2 shown]
	s_waitcnt lgkmcnt(1)
	v_mul_f64 v[76:77], v[140:141], v[78:79]
	v_fma_f64 v[76:77], v[138:139], v[136:137], -v[76:77]
	v_mul_f64 v[138:139], v[138:139], v[78:79]
	v_fmac_f64_e32 v[138:139], v[140:141], v[136:137]
	v_add_f64 v[8:9], v[8:9], -v[76:77]
	v_add_f64 v[10:11], v[10:11], -v[138:139]
	s_waitcnt lgkmcnt(0)
	v_mul_f64 v[76:77], v[144:145], v[78:79]
	ds_read2_b64 v[138:141], v236 offset0:50 offset1:51
	v_fma_f64 v[76:77], v[142:143], v[136:137], -v[76:77]
	v_mul_f64 v[142:143], v[142:143], v[78:79]
	v_fmac_f64_e32 v[142:143], v[144:145], v[136:137]
	s_waitcnt vmcnt(3)
	v_add_f64 v[6:7], v[6:7], -v[142:143]
	ds_read2_b64 v[142:145], v236 offset0:52 offset1:53
	v_add_f64 v[4:5], v[4:5], -v[76:77]
	s_waitcnt lgkmcnt(1)
	v_mul_f64 v[76:77], v[140:141], v[78:79]
	v_fma_f64 v[76:77], v[138:139], v[136:137], -v[76:77]
	v_mul_f64 v[138:139], v[138:139], v[78:79]
	v_fmac_f64_e32 v[138:139], v[140:141], v[136:137]
	v_add_f64 v[0:1], v[0:1], -v[76:77]
	v_add_f64 v[2:3], v[2:3], -v[138:139]
	s_waitcnt lgkmcnt(0)
	v_mul_f64 v[76:77], v[144:145], v[78:79]
	v_mul_f64 v[138:139], v[142:143], v[78:79]
	v_fma_f64 v[76:77], v[142:143], v[136:137], -v[76:77]
	v_fmac_f64_e32 v[138:139], v[144:145], v[136:137]
	s_waitcnt vmcnt(2)
	v_add_f64 v[104:105], v[104:105], -v[76:77]
	v_add_f64 v[106:107], v[106:107], -v[138:139]
	v_mov_b64_e32 v[76:77], v[136:137]
.LBB53_64:
	s_or_b64 exec, exec, s[2:3]
	v_cmp_eq_u32_e32 vcc, 7, v234
	s_waitcnt lgkmcnt(0)
	s_barrier
	s_and_saveexec_b64 s[4:5], vcc
	s_cbranch_execz .LBB53_71
; %bb.65:
	s_waitcnt vmcnt(29)
	ds_write2_b64 v235, v[72:73], v[74:75] offset1:1
	s_waitcnt vmcnt(28)
	ds_write2_b64 v236, v[68:69], v[70:71] offset0:16 offset1:17
	s_waitcnt vmcnt(27)
	ds_write2_b64 v236, v[64:65], v[66:67] offset0:18 offset1:19
	;; [unrolled: 2-line block ×15, first 2 shown]
	ds_write2_b64 v236, v[8:9], v[10:11] offset0:46 offset1:47
	s_waitcnt vmcnt(3)
	ds_write2_b64 v236, v[4:5], v[6:7] offset0:48 offset1:49
	ds_write2_b64 v236, v[0:1], v[2:3] offset0:50 offset1:51
	s_waitcnt vmcnt(2)
	ds_write2_b64 v236, v[104:105], v[106:107] offset0:52 offset1:53
	ds_read2_b64 v[136:139], v235 offset1:1
	s_waitcnt lgkmcnt(0)
	v_cmp_neq_f64_e32 vcc, 0, v[136:137]
	v_cmp_neq_f64_e64 s[2:3], 0, v[138:139]
	s_or_b64 s[2:3], vcc, s[2:3]
	s_and_b64 exec, exec, s[2:3]
	s_cbranch_execz .LBB53_71
; %bb.66:
	v_cmp_ngt_f64_e64 s[2:3], |v[136:137]|, |v[138:139]|
                                        ; implicit-def: $vgpr140_vgpr141
	s_and_saveexec_b64 s[10:11], s[2:3]
	s_xor_b64 s[2:3], exec, s[10:11]
                                        ; implicit-def: $vgpr142_vgpr143
	s_cbranch_execz .LBB53_68
; %bb.67:
	v_div_scale_f64 v[140:141], s[10:11], v[138:139], v[138:139], v[136:137]
	v_rcp_f64_e32 v[142:143], v[140:141]
	v_div_scale_f64 v[144:145], vcc, v[136:137], v[138:139], v[136:137]
	v_fma_f64 v[146:147], -v[140:141], v[142:143], 1.0
	v_fmac_f64_e32 v[142:143], v[142:143], v[146:147]
	v_fma_f64 v[146:147], -v[140:141], v[142:143], 1.0
	v_fmac_f64_e32 v[142:143], v[142:143], v[146:147]
	v_mul_f64 v[146:147], v[144:145], v[142:143]
	v_fma_f64 v[140:141], -v[140:141], v[146:147], v[144:145]
	v_div_fmas_f64 v[140:141], v[140:141], v[142:143], v[146:147]
	v_div_fixup_f64 v[140:141], v[140:141], v[138:139], v[136:137]
	v_fmac_f64_e32 v[138:139], v[136:137], v[140:141]
	v_div_scale_f64 v[136:137], s[10:11], v[138:139], v[138:139], 1.0
	v_rcp_f64_e32 v[142:143], v[136:137]
	s_nop 0
	v_fma_f64 v[144:145], -v[136:137], v[142:143], 1.0
	v_fmac_f64_e32 v[142:143], v[142:143], v[144:145]
	v_fma_f64 v[144:145], -v[136:137], v[142:143], 1.0
	v_fmac_f64_e32 v[142:143], v[142:143], v[144:145]
	v_div_scale_f64 v[144:145], vcc, 1.0, v[138:139], 1.0
	v_mul_f64 v[146:147], v[144:145], v[142:143]
	v_fma_f64 v[136:137], -v[136:137], v[146:147], v[144:145]
	s_nop 1
	v_div_fmas_f64 v[136:137], v[136:137], v[142:143], v[146:147]
	v_div_fixup_f64 v[142:143], v[136:137], v[138:139], 1.0
	v_mul_f64 v[140:141], v[140:141], v[142:143]
	v_xor_b32_e32 v143, 0x80000000, v143
                                        ; implicit-def: $vgpr136_vgpr137
.LBB53_68:
	s_andn2_saveexec_b64 s[2:3], s[2:3]
	s_cbranch_execz .LBB53_70
; %bb.69:
	v_div_scale_f64 v[140:141], s[10:11], v[136:137], v[136:137], v[138:139]
	v_rcp_f64_e32 v[142:143], v[140:141]
	v_div_scale_f64 v[144:145], vcc, v[138:139], v[136:137], v[138:139]
	v_fma_f64 v[146:147], -v[140:141], v[142:143], 1.0
	v_fmac_f64_e32 v[142:143], v[142:143], v[146:147]
	v_fma_f64 v[146:147], -v[140:141], v[142:143], 1.0
	v_fmac_f64_e32 v[142:143], v[142:143], v[146:147]
	v_mul_f64 v[146:147], v[144:145], v[142:143]
	v_fma_f64 v[140:141], -v[140:141], v[146:147], v[144:145]
	v_div_fmas_f64 v[140:141], v[140:141], v[142:143], v[146:147]
	v_div_fixup_f64 v[142:143], v[140:141], v[136:137], v[138:139]
	v_fmac_f64_e32 v[136:137], v[138:139], v[142:143]
	v_div_scale_f64 v[138:139], s[10:11], v[136:137], v[136:137], 1.0
	v_rcp_f64_e32 v[140:141], v[138:139]
	s_nop 0
	v_fma_f64 v[144:145], -v[138:139], v[140:141], 1.0
	v_fmac_f64_e32 v[140:141], v[140:141], v[144:145]
	v_fma_f64 v[144:145], -v[138:139], v[140:141], 1.0
	v_fmac_f64_e32 v[140:141], v[140:141], v[144:145]
	v_div_scale_f64 v[144:145], vcc, 1.0, v[136:137], 1.0
	v_mul_f64 v[146:147], v[144:145], v[140:141]
	v_fma_f64 v[138:139], -v[138:139], v[146:147], v[144:145]
	s_nop 1
	v_div_fmas_f64 v[138:139], v[138:139], v[140:141], v[146:147]
	v_div_fixup_f64 v[140:141], v[138:139], v[136:137], 1.0
	v_mul_f64 v[142:143], v[142:143], -v[140:141]
.LBB53_70:
	s_or_b64 exec, exec, s[2:3]
	ds_write2_b64 v235, v[140:141], v[142:143] offset1:1
.LBB53_71:
	s_or_b64 exec, exec, s[4:5]
	s_waitcnt lgkmcnt(0)
	s_barrier
	ds_read2_b64 v[136:139], v235 offset1:1
	v_cmp_lt_u32_e32 vcc, 7, v234
	s_and_saveexec_b64 s[2:3], vcc
	s_cbranch_execz .LBB53_73
; %bb.72:
	ds_read2_b64 v[142:145], v236 offset0:16 offset1:17
	ds_read2_b64 v[146:149], v236 offset0:18 offset1:19
	s_waitcnt vmcnt(29) lgkmcnt(2)
	v_mul_f64 v[140:141], v[138:139], v[74:75]
	v_mul_f64 v[74:75], v[136:137], v[74:75]
	v_fmac_f64_e32 v[74:75], v[138:139], v[72:73]
	v_fma_f64 v[140:141], v[136:137], v[72:73], -v[140:141]
	s_waitcnt lgkmcnt(1)
	v_mul_f64 v[72:73], v[144:145], v[74:75]
	v_fma_f64 v[72:73], v[142:143], v[140:141], -v[72:73]
	v_mul_f64 v[142:143], v[142:143], v[74:75]
	v_fmac_f64_e32 v[142:143], v[144:145], v[140:141]
	s_waitcnt vmcnt(28)
	v_add_f64 v[70:71], v[70:71], -v[142:143]
	ds_read2_b64 v[142:145], v236 offset0:20 offset1:21
	v_add_f64 v[68:69], v[68:69], -v[72:73]
	s_waitcnt lgkmcnt(1)
	v_mul_f64 v[72:73], v[148:149], v[74:75]
	v_fma_f64 v[72:73], v[146:147], v[140:141], -v[72:73]
	v_mul_f64 v[146:147], v[146:147], v[74:75]
	v_fmac_f64_e32 v[146:147], v[148:149], v[140:141]
	s_waitcnt vmcnt(27)
	v_add_f64 v[64:65], v[64:65], -v[72:73]
	v_add_f64 v[66:67], v[66:67], -v[146:147]
	ds_read2_b64 v[146:149], v236 offset0:22 offset1:23
	s_waitcnt lgkmcnt(1)
	v_mul_f64 v[72:73], v[144:145], v[74:75]
	v_fma_f64 v[72:73], v[142:143], v[140:141], -v[72:73]
	v_mul_f64 v[142:143], v[142:143], v[74:75]
	v_fmac_f64_e32 v[142:143], v[144:145], v[140:141]
	s_waitcnt vmcnt(26)
	v_add_f64 v[62:63], v[62:63], -v[142:143]
	ds_read2_b64 v[142:145], v236 offset0:24 offset1:25
	v_add_f64 v[60:61], v[60:61], -v[72:73]
	s_waitcnt lgkmcnt(1)
	v_mul_f64 v[72:73], v[148:149], v[74:75]
	v_fma_f64 v[72:73], v[146:147], v[140:141], -v[72:73]
	v_mul_f64 v[146:147], v[146:147], v[74:75]
	v_fmac_f64_e32 v[146:147], v[148:149], v[140:141]
	s_waitcnt vmcnt(25)
	v_add_f64 v[56:57], v[56:57], -v[72:73]
	v_add_f64 v[58:59], v[58:59], -v[146:147]
	ds_read2_b64 v[146:149], v236 offset0:26 offset1:27
	;; [unrolled: 18-line block ×7, first 2 shown]
	s_waitcnt lgkmcnt(1)
	v_mul_f64 v[72:73], v[144:145], v[74:75]
	v_fma_f64 v[72:73], v[142:143], v[140:141], -v[72:73]
	v_mul_f64 v[142:143], v[142:143], v[74:75]
	v_fmac_f64_e32 v[142:143], v[144:145], v[140:141]
	s_waitcnt vmcnt(5)
	v_add_f64 v[14:15], v[14:15], -v[142:143]
	ds_read2_b64 v[142:145], v236 offset0:48 offset1:49
	v_add_f64 v[12:13], v[12:13], -v[72:73]
	s_waitcnt lgkmcnt(1)
	v_mul_f64 v[72:73], v[148:149], v[74:75]
	v_fma_f64 v[72:73], v[146:147], v[140:141], -v[72:73]
	v_mul_f64 v[146:147], v[146:147], v[74:75]
	v_fmac_f64_e32 v[146:147], v[148:149], v[140:141]
	v_add_f64 v[8:9], v[8:9], -v[72:73]
	v_add_f64 v[10:11], v[10:11], -v[146:147]
	ds_read2_b64 v[146:149], v236 offset0:50 offset1:51
	s_waitcnt lgkmcnt(1)
	v_mul_f64 v[72:73], v[144:145], v[74:75]
	v_fma_f64 v[72:73], v[142:143], v[140:141], -v[72:73]
	v_mul_f64 v[142:143], v[142:143], v[74:75]
	v_fmac_f64_e32 v[142:143], v[144:145], v[140:141]
	s_waitcnt vmcnt(3)
	v_add_f64 v[6:7], v[6:7], -v[142:143]
	ds_read2_b64 v[142:145], v236 offset0:52 offset1:53
	v_add_f64 v[4:5], v[4:5], -v[72:73]
	s_waitcnt lgkmcnt(1)
	v_mul_f64 v[72:73], v[148:149], v[74:75]
	v_fma_f64 v[72:73], v[146:147], v[140:141], -v[72:73]
	v_add_f64 v[0:1], v[0:1], -v[72:73]
	s_waitcnt lgkmcnt(0)
	v_mul_f64 v[72:73], v[144:145], v[74:75]
	v_mul_f64 v[146:147], v[146:147], v[74:75]
	v_fma_f64 v[72:73], v[142:143], v[140:141], -v[72:73]
	v_mul_f64 v[142:143], v[142:143], v[74:75]
	v_fmac_f64_e32 v[146:147], v[148:149], v[140:141]
	v_fmac_f64_e32 v[142:143], v[144:145], v[140:141]
	v_add_f64 v[2:3], v[2:3], -v[146:147]
	s_waitcnt vmcnt(2)
	v_add_f64 v[104:105], v[104:105], -v[72:73]
	v_add_f64 v[106:107], v[106:107], -v[142:143]
	v_mov_b64_e32 v[72:73], v[140:141]
.LBB53_73:
	s_or_b64 exec, exec, s[2:3]
	v_cmp_eq_u32_e32 vcc, 8, v234
	s_waitcnt lgkmcnt(0)
	s_barrier
	s_and_saveexec_b64 s[4:5], vcc
	s_cbranch_execz .LBB53_80
; %bb.74:
	s_waitcnt vmcnt(28)
	ds_write2_b64 v235, v[68:69], v[70:71] offset1:1
	s_waitcnt vmcnt(27)
	ds_write2_b64 v236, v[64:65], v[66:67] offset0:18 offset1:19
	s_waitcnt vmcnt(26)
	ds_write2_b64 v236, v[60:61], v[62:63] offset0:20 offset1:21
	s_waitcnt vmcnt(25)
	ds_write2_b64 v236, v[56:57], v[58:59] offset0:22 offset1:23
	s_waitcnt vmcnt(24)
	ds_write2_b64 v236, v[52:53], v[54:55] offset0:24 offset1:25
	s_waitcnt vmcnt(23)
	ds_write2_b64 v236, v[48:49], v[50:51] offset0:26 offset1:27
	s_waitcnt vmcnt(22)
	ds_write2_b64 v236, v[44:45], v[46:47] offset0:28 offset1:29
	s_waitcnt vmcnt(21)
	ds_write2_b64 v236, v[40:41], v[42:43] offset0:30 offset1:31
	s_waitcnt vmcnt(20)
	ds_write2_b64 v236, v[36:37], v[38:39] offset0:32 offset1:33
	s_waitcnt vmcnt(18)
	ds_write2_b64 v236, v[32:33], v[34:35] offset0:34 offset1:35
	s_waitcnt vmcnt(17)
	ds_write2_b64 v236, v[28:29], v[30:31] offset0:36 offset1:37
	s_waitcnt vmcnt(16)
	ds_write2_b64 v236, v[24:25], v[26:27] offset0:38 offset1:39
	s_waitcnt vmcnt(15)
	ds_write2_b64 v236, v[20:21], v[22:23] offset0:40 offset1:41
	s_waitcnt vmcnt(14)
	ds_write2_b64 v236, v[16:17], v[18:19] offset0:42 offset1:43
	s_waitcnt vmcnt(5)
	ds_write2_b64 v236, v[12:13], v[14:15] offset0:44 offset1:45
	ds_write2_b64 v236, v[8:9], v[10:11] offset0:46 offset1:47
	s_waitcnt vmcnt(3)
	ds_write2_b64 v236, v[4:5], v[6:7] offset0:48 offset1:49
	ds_write2_b64 v236, v[0:1], v[2:3] offset0:50 offset1:51
	s_waitcnt vmcnt(2)
	ds_write2_b64 v236, v[104:105], v[106:107] offset0:52 offset1:53
	ds_read2_b64 v[140:143], v235 offset1:1
	s_waitcnt lgkmcnt(0)
	v_cmp_neq_f64_e32 vcc, 0, v[140:141]
	v_cmp_neq_f64_e64 s[2:3], 0, v[142:143]
	s_or_b64 s[2:3], vcc, s[2:3]
	s_and_b64 exec, exec, s[2:3]
	s_cbranch_execz .LBB53_80
; %bb.75:
	v_cmp_ngt_f64_e64 s[2:3], |v[140:141]|, |v[142:143]|
                                        ; implicit-def: $vgpr144_vgpr145
	s_and_saveexec_b64 s[10:11], s[2:3]
	s_xor_b64 s[2:3], exec, s[10:11]
                                        ; implicit-def: $vgpr146_vgpr147
	s_cbranch_execz .LBB53_77
; %bb.76:
	v_div_scale_f64 v[144:145], s[10:11], v[142:143], v[142:143], v[140:141]
	v_rcp_f64_e32 v[146:147], v[144:145]
	v_div_scale_f64 v[148:149], vcc, v[140:141], v[142:143], v[140:141]
	v_fma_f64 v[150:151], -v[144:145], v[146:147], 1.0
	v_fmac_f64_e32 v[146:147], v[146:147], v[150:151]
	v_fma_f64 v[150:151], -v[144:145], v[146:147], 1.0
	v_fmac_f64_e32 v[146:147], v[146:147], v[150:151]
	v_mul_f64 v[150:151], v[148:149], v[146:147]
	v_fma_f64 v[144:145], -v[144:145], v[150:151], v[148:149]
	v_div_fmas_f64 v[144:145], v[144:145], v[146:147], v[150:151]
	v_div_fixup_f64 v[144:145], v[144:145], v[142:143], v[140:141]
	v_fmac_f64_e32 v[142:143], v[140:141], v[144:145]
	v_div_scale_f64 v[140:141], s[10:11], v[142:143], v[142:143], 1.0
	v_rcp_f64_e32 v[146:147], v[140:141]
	s_nop 0
	v_fma_f64 v[148:149], -v[140:141], v[146:147], 1.0
	v_fmac_f64_e32 v[146:147], v[146:147], v[148:149]
	v_fma_f64 v[148:149], -v[140:141], v[146:147], 1.0
	v_fmac_f64_e32 v[146:147], v[146:147], v[148:149]
	v_div_scale_f64 v[148:149], vcc, 1.0, v[142:143], 1.0
	v_mul_f64 v[150:151], v[148:149], v[146:147]
	v_fma_f64 v[140:141], -v[140:141], v[150:151], v[148:149]
	s_nop 1
	v_div_fmas_f64 v[140:141], v[140:141], v[146:147], v[150:151]
	v_div_fixup_f64 v[146:147], v[140:141], v[142:143], 1.0
	v_mul_f64 v[144:145], v[144:145], v[146:147]
	v_xor_b32_e32 v147, 0x80000000, v147
                                        ; implicit-def: $vgpr140_vgpr141
.LBB53_77:
	s_andn2_saveexec_b64 s[2:3], s[2:3]
	s_cbranch_execz .LBB53_79
; %bb.78:
	v_div_scale_f64 v[144:145], s[10:11], v[140:141], v[140:141], v[142:143]
	v_rcp_f64_e32 v[146:147], v[144:145]
	v_div_scale_f64 v[148:149], vcc, v[142:143], v[140:141], v[142:143]
	v_fma_f64 v[150:151], -v[144:145], v[146:147], 1.0
	v_fmac_f64_e32 v[146:147], v[146:147], v[150:151]
	v_fma_f64 v[150:151], -v[144:145], v[146:147], 1.0
	v_fmac_f64_e32 v[146:147], v[146:147], v[150:151]
	v_mul_f64 v[150:151], v[148:149], v[146:147]
	v_fma_f64 v[144:145], -v[144:145], v[150:151], v[148:149]
	v_div_fmas_f64 v[144:145], v[144:145], v[146:147], v[150:151]
	v_div_fixup_f64 v[146:147], v[144:145], v[140:141], v[142:143]
	v_fmac_f64_e32 v[140:141], v[142:143], v[146:147]
	v_div_scale_f64 v[142:143], s[10:11], v[140:141], v[140:141], 1.0
	v_rcp_f64_e32 v[144:145], v[142:143]
	s_nop 0
	v_fma_f64 v[148:149], -v[142:143], v[144:145], 1.0
	v_fmac_f64_e32 v[144:145], v[144:145], v[148:149]
	v_fma_f64 v[148:149], -v[142:143], v[144:145], 1.0
	v_fmac_f64_e32 v[144:145], v[144:145], v[148:149]
	v_div_scale_f64 v[148:149], vcc, 1.0, v[140:141], 1.0
	v_mul_f64 v[150:151], v[148:149], v[144:145]
	v_fma_f64 v[142:143], -v[142:143], v[150:151], v[148:149]
	s_nop 1
	v_div_fmas_f64 v[142:143], v[142:143], v[144:145], v[150:151]
	v_div_fixup_f64 v[144:145], v[142:143], v[140:141], 1.0
	v_mul_f64 v[146:147], v[146:147], -v[144:145]
.LBB53_79:
	s_or_b64 exec, exec, s[2:3]
	ds_write2_b64 v235, v[144:145], v[146:147] offset1:1
.LBB53_80:
	s_or_b64 exec, exec, s[4:5]
	s_waitcnt lgkmcnt(0)
	s_barrier
	ds_read2_b64 v[140:143], v235 offset1:1
	v_cmp_lt_u32_e32 vcc, 8, v234
	s_and_saveexec_b64 s[2:3], vcc
	s_cbranch_execz .LBB53_82
; %bb.81:
	ds_read2_b64 v[146:149], v236 offset0:18 offset1:19
	ds_read2_b64 v[150:153], v236 offset0:20 offset1:21
	s_waitcnt vmcnt(28) lgkmcnt(2)
	v_mul_f64 v[144:145], v[142:143], v[70:71]
	v_mul_f64 v[70:71], v[140:141], v[70:71]
	v_fmac_f64_e32 v[70:71], v[142:143], v[68:69]
	v_fma_f64 v[144:145], v[140:141], v[68:69], -v[144:145]
	s_waitcnt lgkmcnt(1)
	v_mul_f64 v[68:69], v[148:149], v[70:71]
	v_fma_f64 v[68:69], v[146:147], v[144:145], -v[68:69]
	v_mul_f64 v[146:147], v[146:147], v[70:71]
	v_fmac_f64_e32 v[146:147], v[148:149], v[144:145]
	s_waitcnt vmcnt(27)
	v_add_f64 v[64:65], v[64:65], -v[68:69]
	v_add_f64 v[66:67], v[66:67], -v[146:147]
	s_waitcnt lgkmcnt(0)
	v_mul_f64 v[68:69], v[152:153], v[70:71]
	ds_read2_b64 v[146:149], v236 offset0:22 offset1:23
	v_fma_f64 v[68:69], v[150:151], v[144:145], -v[68:69]
	v_mul_f64 v[150:151], v[150:151], v[70:71]
	v_fmac_f64_e32 v[150:151], v[152:153], v[144:145]
	s_waitcnt vmcnt(26)
	v_add_f64 v[62:63], v[62:63], -v[150:151]
	ds_read2_b64 v[150:153], v236 offset0:24 offset1:25
	v_add_f64 v[60:61], v[60:61], -v[68:69]
	s_waitcnt lgkmcnt(1)
	v_mul_f64 v[68:69], v[148:149], v[70:71]
	v_fma_f64 v[68:69], v[146:147], v[144:145], -v[68:69]
	v_mul_f64 v[146:147], v[146:147], v[70:71]
	v_fmac_f64_e32 v[146:147], v[148:149], v[144:145]
	s_waitcnt vmcnt(25)
	v_add_f64 v[56:57], v[56:57], -v[68:69]
	v_add_f64 v[58:59], v[58:59], -v[146:147]
	s_waitcnt lgkmcnt(0)
	v_mul_f64 v[68:69], v[152:153], v[70:71]
	ds_read2_b64 v[146:149], v236 offset0:26 offset1:27
	v_fma_f64 v[68:69], v[150:151], v[144:145], -v[68:69]
	v_mul_f64 v[150:151], v[150:151], v[70:71]
	v_fmac_f64_e32 v[150:151], v[152:153], v[144:145]
	s_waitcnt vmcnt(24)
	v_add_f64 v[54:55], v[54:55], -v[150:151]
	ds_read2_b64 v[150:153], v236 offset0:28 offset1:29
	v_add_f64 v[52:53], v[52:53], -v[68:69]
	;; [unrolled: 18-line block ×7, first 2 shown]
	s_waitcnt lgkmcnt(1)
	v_mul_f64 v[68:69], v[148:149], v[70:71]
	v_fma_f64 v[68:69], v[146:147], v[144:145], -v[68:69]
	v_mul_f64 v[146:147], v[146:147], v[70:71]
	v_fmac_f64_e32 v[146:147], v[148:149], v[144:145]
	v_add_f64 v[8:9], v[8:9], -v[68:69]
	v_add_f64 v[10:11], v[10:11], -v[146:147]
	s_waitcnt lgkmcnt(0)
	v_mul_f64 v[68:69], v[152:153], v[70:71]
	ds_read2_b64 v[146:149], v236 offset0:50 offset1:51
	v_fma_f64 v[68:69], v[150:151], v[144:145], -v[68:69]
	v_mul_f64 v[150:151], v[150:151], v[70:71]
	v_fmac_f64_e32 v[150:151], v[152:153], v[144:145]
	s_waitcnt vmcnt(3)
	v_add_f64 v[6:7], v[6:7], -v[150:151]
	ds_read2_b64 v[150:153], v236 offset0:52 offset1:53
	v_add_f64 v[4:5], v[4:5], -v[68:69]
	s_waitcnt lgkmcnt(1)
	v_mul_f64 v[68:69], v[148:149], v[70:71]
	v_fma_f64 v[68:69], v[146:147], v[144:145], -v[68:69]
	v_mul_f64 v[146:147], v[146:147], v[70:71]
	v_fmac_f64_e32 v[146:147], v[148:149], v[144:145]
	v_add_f64 v[0:1], v[0:1], -v[68:69]
	v_add_f64 v[2:3], v[2:3], -v[146:147]
	s_waitcnt lgkmcnt(0)
	v_mul_f64 v[68:69], v[152:153], v[70:71]
	v_mul_f64 v[146:147], v[150:151], v[70:71]
	v_fma_f64 v[68:69], v[150:151], v[144:145], -v[68:69]
	v_fmac_f64_e32 v[146:147], v[152:153], v[144:145]
	s_waitcnt vmcnt(2)
	v_add_f64 v[104:105], v[104:105], -v[68:69]
	v_add_f64 v[106:107], v[106:107], -v[146:147]
	v_mov_b64_e32 v[68:69], v[144:145]
.LBB53_82:
	s_or_b64 exec, exec, s[2:3]
	v_cmp_eq_u32_e32 vcc, 9, v234
	s_waitcnt lgkmcnt(0)
	s_barrier
	s_and_saveexec_b64 s[4:5], vcc
	s_cbranch_execz .LBB53_89
; %bb.83:
	s_waitcnt vmcnt(27)
	ds_write2_b64 v235, v[64:65], v[66:67] offset1:1
	s_waitcnt vmcnt(26)
	ds_write2_b64 v236, v[60:61], v[62:63] offset0:20 offset1:21
	s_waitcnt vmcnt(25)
	ds_write2_b64 v236, v[56:57], v[58:59] offset0:22 offset1:23
	;; [unrolled: 2-line block ×13, first 2 shown]
	ds_write2_b64 v236, v[8:9], v[10:11] offset0:46 offset1:47
	s_waitcnt vmcnt(3)
	ds_write2_b64 v236, v[4:5], v[6:7] offset0:48 offset1:49
	ds_write2_b64 v236, v[0:1], v[2:3] offset0:50 offset1:51
	s_waitcnt vmcnt(2)
	ds_write2_b64 v236, v[104:105], v[106:107] offset0:52 offset1:53
	ds_read2_b64 v[144:147], v235 offset1:1
	s_waitcnt lgkmcnt(0)
	v_cmp_neq_f64_e32 vcc, 0, v[144:145]
	v_cmp_neq_f64_e64 s[2:3], 0, v[146:147]
	s_or_b64 s[2:3], vcc, s[2:3]
	s_and_b64 exec, exec, s[2:3]
	s_cbranch_execz .LBB53_89
; %bb.84:
	v_cmp_ngt_f64_e64 s[2:3], |v[144:145]|, |v[146:147]|
                                        ; implicit-def: $vgpr148_vgpr149
	s_and_saveexec_b64 s[10:11], s[2:3]
	s_xor_b64 s[2:3], exec, s[10:11]
                                        ; implicit-def: $vgpr150_vgpr151
	s_cbranch_execz .LBB53_86
; %bb.85:
	v_div_scale_f64 v[148:149], s[10:11], v[146:147], v[146:147], v[144:145]
	v_rcp_f64_e32 v[150:151], v[148:149]
	v_div_scale_f64 v[152:153], vcc, v[144:145], v[146:147], v[144:145]
	v_fma_f64 v[154:155], -v[148:149], v[150:151], 1.0
	v_fmac_f64_e32 v[150:151], v[150:151], v[154:155]
	v_fma_f64 v[154:155], -v[148:149], v[150:151], 1.0
	v_fmac_f64_e32 v[150:151], v[150:151], v[154:155]
	v_mul_f64 v[154:155], v[152:153], v[150:151]
	v_fma_f64 v[148:149], -v[148:149], v[154:155], v[152:153]
	v_div_fmas_f64 v[148:149], v[148:149], v[150:151], v[154:155]
	v_div_fixup_f64 v[148:149], v[148:149], v[146:147], v[144:145]
	v_fmac_f64_e32 v[146:147], v[144:145], v[148:149]
	v_div_scale_f64 v[144:145], s[10:11], v[146:147], v[146:147], 1.0
	v_rcp_f64_e32 v[150:151], v[144:145]
	s_nop 0
	v_fma_f64 v[152:153], -v[144:145], v[150:151], 1.0
	v_fmac_f64_e32 v[150:151], v[150:151], v[152:153]
	v_fma_f64 v[152:153], -v[144:145], v[150:151], 1.0
	v_fmac_f64_e32 v[150:151], v[150:151], v[152:153]
	v_div_scale_f64 v[152:153], vcc, 1.0, v[146:147], 1.0
	v_mul_f64 v[154:155], v[152:153], v[150:151]
	v_fma_f64 v[144:145], -v[144:145], v[154:155], v[152:153]
	s_nop 1
	v_div_fmas_f64 v[144:145], v[144:145], v[150:151], v[154:155]
	v_div_fixup_f64 v[150:151], v[144:145], v[146:147], 1.0
	v_mul_f64 v[148:149], v[148:149], v[150:151]
	v_xor_b32_e32 v151, 0x80000000, v151
                                        ; implicit-def: $vgpr144_vgpr145
.LBB53_86:
	s_andn2_saveexec_b64 s[2:3], s[2:3]
	s_cbranch_execz .LBB53_88
; %bb.87:
	v_div_scale_f64 v[148:149], s[10:11], v[144:145], v[144:145], v[146:147]
	v_rcp_f64_e32 v[150:151], v[148:149]
	v_div_scale_f64 v[152:153], vcc, v[146:147], v[144:145], v[146:147]
	v_fma_f64 v[154:155], -v[148:149], v[150:151], 1.0
	v_fmac_f64_e32 v[150:151], v[150:151], v[154:155]
	v_fma_f64 v[154:155], -v[148:149], v[150:151], 1.0
	v_fmac_f64_e32 v[150:151], v[150:151], v[154:155]
	v_mul_f64 v[154:155], v[152:153], v[150:151]
	v_fma_f64 v[148:149], -v[148:149], v[154:155], v[152:153]
	v_div_fmas_f64 v[148:149], v[148:149], v[150:151], v[154:155]
	v_div_fixup_f64 v[150:151], v[148:149], v[144:145], v[146:147]
	v_fmac_f64_e32 v[144:145], v[146:147], v[150:151]
	v_div_scale_f64 v[146:147], s[10:11], v[144:145], v[144:145], 1.0
	v_rcp_f64_e32 v[148:149], v[146:147]
	s_nop 0
	v_fma_f64 v[152:153], -v[146:147], v[148:149], 1.0
	v_fmac_f64_e32 v[148:149], v[148:149], v[152:153]
	v_fma_f64 v[152:153], -v[146:147], v[148:149], 1.0
	v_fmac_f64_e32 v[148:149], v[148:149], v[152:153]
	v_div_scale_f64 v[152:153], vcc, 1.0, v[144:145], 1.0
	v_mul_f64 v[154:155], v[152:153], v[148:149]
	v_fma_f64 v[146:147], -v[146:147], v[154:155], v[152:153]
	s_nop 1
	v_div_fmas_f64 v[146:147], v[146:147], v[148:149], v[154:155]
	v_div_fixup_f64 v[148:149], v[146:147], v[144:145], 1.0
	v_mul_f64 v[150:151], v[150:151], -v[148:149]
.LBB53_88:
	s_or_b64 exec, exec, s[2:3]
	ds_write2_b64 v235, v[148:149], v[150:151] offset1:1
.LBB53_89:
	s_or_b64 exec, exec, s[4:5]
	s_waitcnt lgkmcnt(0)
	s_barrier
	ds_read2_b64 v[144:147], v235 offset1:1
	v_cmp_lt_u32_e32 vcc, 9, v234
	s_and_saveexec_b64 s[2:3], vcc
	s_cbranch_execz .LBB53_91
; %bb.90:
	ds_read2_b64 v[150:153], v236 offset0:20 offset1:21
	ds_read2_b64 v[154:157], v236 offset0:22 offset1:23
	s_waitcnt vmcnt(27) lgkmcnt(2)
	v_mul_f64 v[148:149], v[146:147], v[66:67]
	v_mul_f64 v[66:67], v[144:145], v[66:67]
	v_fmac_f64_e32 v[66:67], v[146:147], v[64:65]
	v_fma_f64 v[148:149], v[144:145], v[64:65], -v[148:149]
	s_waitcnt lgkmcnt(1)
	v_mul_f64 v[64:65], v[152:153], v[66:67]
	v_fma_f64 v[64:65], v[150:151], v[148:149], -v[64:65]
	v_mul_f64 v[150:151], v[150:151], v[66:67]
	v_fmac_f64_e32 v[150:151], v[152:153], v[148:149]
	s_waitcnt vmcnt(26)
	v_add_f64 v[62:63], v[62:63], -v[150:151]
	ds_read2_b64 v[150:153], v236 offset0:24 offset1:25
	v_add_f64 v[60:61], v[60:61], -v[64:65]
	s_waitcnt lgkmcnt(1)
	v_mul_f64 v[64:65], v[156:157], v[66:67]
	v_fma_f64 v[64:65], v[154:155], v[148:149], -v[64:65]
	v_mul_f64 v[154:155], v[154:155], v[66:67]
	v_fmac_f64_e32 v[154:155], v[156:157], v[148:149]
	s_waitcnt vmcnt(25)
	v_add_f64 v[56:57], v[56:57], -v[64:65]
	v_add_f64 v[58:59], v[58:59], -v[154:155]
	ds_read2_b64 v[154:157], v236 offset0:26 offset1:27
	s_waitcnt lgkmcnt(1)
	v_mul_f64 v[64:65], v[152:153], v[66:67]
	v_fma_f64 v[64:65], v[150:151], v[148:149], -v[64:65]
	v_mul_f64 v[150:151], v[150:151], v[66:67]
	v_fmac_f64_e32 v[150:151], v[152:153], v[148:149]
	s_waitcnt vmcnt(24)
	v_add_f64 v[54:55], v[54:55], -v[150:151]
	ds_read2_b64 v[150:153], v236 offset0:28 offset1:29
	v_add_f64 v[52:53], v[52:53], -v[64:65]
	s_waitcnt lgkmcnt(1)
	v_mul_f64 v[64:65], v[156:157], v[66:67]
	v_fma_f64 v[64:65], v[154:155], v[148:149], -v[64:65]
	v_mul_f64 v[154:155], v[154:155], v[66:67]
	v_fmac_f64_e32 v[154:155], v[156:157], v[148:149]
	s_waitcnt vmcnt(23)
	v_add_f64 v[48:49], v[48:49], -v[64:65]
	v_add_f64 v[50:51], v[50:51], -v[154:155]
	ds_read2_b64 v[154:157], v236 offset0:30 offset1:31
	;; [unrolled: 18-line block ×6, first 2 shown]
	s_waitcnt lgkmcnt(1)
	v_mul_f64 v[64:65], v[152:153], v[66:67]
	v_fma_f64 v[64:65], v[150:151], v[148:149], -v[64:65]
	v_mul_f64 v[150:151], v[150:151], v[66:67]
	v_fmac_f64_e32 v[150:151], v[152:153], v[148:149]
	s_waitcnt vmcnt(5)
	v_add_f64 v[14:15], v[14:15], -v[150:151]
	ds_read2_b64 v[150:153], v236 offset0:48 offset1:49
	v_add_f64 v[12:13], v[12:13], -v[64:65]
	s_waitcnt lgkmcnt(1)
	v_mul_f64 v[64:65], v[156:157], v[66:67]
	v_fma_f64 v[64:65], v[154:155], v[148:149], -v[64:65]
	v_mul_f64 v[154:155], v[154:155], v[66:67]
	v_fmac_f64_e32 v[154:155], v[156:157], v[148:149]
	v_add_f64 v[8:9], v[8:9], -v[64:65]
	v_add_f64 v[10:11], v[10:11], -v[154:155]
	ds_read2_b64 v[154:157], v236 offset0:50 offset1:51
	s_waitcnt lgkmcnt(1)
	v_mul_f64 v[64:65], v[152:153], v[66:67]
	v_fma_f64 v[64:65], v[150:151], v[148:149], -v[64:65]
	v_mul_f64 v[150:151], v[150:151], v[66:67]
	v_fmac_f64_e32 v[150:151], v[152:153], v[148:149]
	s_waitcnt vmcnt(3)
	v_add_f64 v[6:7], v[6:7], -v[150:151]
	ds_read2_b64 v[150:153], v236 offset0:52 offset1:53
	v_add_f64 v[4:5], v[4:5], -v[64:65]
	s_waitcnt lgkmcnt(1)
	v_mul_f64 v[64:65], v[156:157], v[66:67]
	v_fma_f64 v[64:65], v[154:155], v[148:149], -v[64:65]
	v_add_f64 v[0:1], v[0:1], -v[64:65]
	s_waitcnt lgkmcnt(0)
	v_mul_f64 v[64:65], v[152:153], v[66:67]
	v_mul_f64 v[154:155], v[154:155], v[66:67]
	v_fma_f64 v[64:65], v[150:151], v[148:149], -v[64:65]
	v_mul_f64 v[150:151], v[150:151], v[66:67]
	v_fmac_f64_e32 v[154:155], v[156:157], v[148:149]
	v_fmac_f64_e32 v[150:151], v[152:153], v[148:149]
	v_add_f64 v[2:3], v[2:3], -v[154:155]
	s_waitcnt vmcnt(2)
	v_add_f64 v[104:105], v[104:105], -v[64:65]
	v_add_f64 v[106:107], v[106:107], -v[150:151]
	v_mov_b64_e32 v[64:65], v[148:149]
.LBB53_91:
	s_or_b64 exec, exec, s[2:3]
	v_cmp_eq_u32_e32 vcc, 10, v234
	s_waitcnt lgkmcnt(0)
	s_barrier
	s_and_saveexec_b64 s[4:5], vcc
	s_cbranch_execz .LBB53_98
; %bb.92:
	s_waitcnt vmcnt(26)
	ds_write2_b64 v235, v[60:61], v[62:63] offset1:1
	s_waitcnt vmcnt(25)
	ds_write2_b64 v236, v[56:57], v[58:59] offset0:22 offset1:23
	s_waitcnt vmcnt(24)
	ds_write2_b64 v236, v[52:53], v[54:55] offset0:24 offset1:25
	;; [unrolled: 2-line block ×12, first 2 shown]
	ds_write2_b64 v236, v[8:9], v[10:11] offset0:46 offset1:47
	s_waitcnt vmcnt(3)
	ds_write2_b64 v236, v[4:5], v[6:7] offset0:48 offset1:49
	ds_write2_b64 v236, v[0:1], v[2:3] offset0:50 offset1:51
	s_waitcnt vmcnt(2)
	ds_write2_b64 v236, v[104:105], v[106:107] offset0:52 offset1:53
	ds_read2_b64 v[148:151], v235 offset1:1
	s_waitcnt lgkmcnt(0)
	v_cmp_neq_f64_e32 vcc, 0, v[148:149]
	v_cmp_neq_f64_e64 s[2:3], 0, v[150:151]
	s_or_b64 s[2:3], vcc, s[2:3]
	s_and_b64 exec, exec, s[2:3]
	s_cbranch_execz .LBB53_98
; %bb.93:
	v_cmp_ngt_f64_e64 s[2:3], |v[148:149]|, |v[150:151]|
                                        ; implicit-def: $vgpr152_vgpr153
	s_and_saveexec_b64 s[10:11], s[2:3]
	s_xor_b64 s[2:3], exec, s[10:11]
                                        ; implicit-def: $vgpr154_vgpr155
	s_cbranch_execz .LBB53_95
; %bb.94:
	v_div_scale_f64 v[152:153], s[10:11], v[150:151], v[150:151], v[148:149]
	v_rcp_f64_e32 v[154:155], v[152:153]
	v_div_scale_f64 v[156:157], vcc, v[148:149], v[150:151], v[148:149]
	v_fma_f64 v[158:159], -v[152:153], v[154:155], 1.0
	v_fmac_f64_e32 v[154:155], v[154:155], v[158:159]
	v_fma_f64 v[158:159], -v[152:153], v[154:155], 1.0
	v_fmac_f64_e32 v[154:155], v[154:155], v[158:159]
	v_mul_f64 v[158:159], v[156:157], v[154:155]
	v_fma_f64 v[152:153], -v[152:153], v[158:159], v[156:157]
	v_div_fmas_f64 v[152:153], v[152:153], v[154:155], v[158:159]
	v_div_fixup_f64 v[152:153], v[152:153], v[150:151], v[148:149]
	v_fmac_f64_e32 v[150:151], v[148:149], v[152:153]
	v_div_scale_f64 v[148:149], s[10:11], v[150:151], v[150:151], 1.0
	v_rcp_f64_e32 v[154:155], v[148:149]
	s_nop 0
	v_fma_f64 v[156:157], -v[148:149], v[154:155], 1.0
	v_fmac_f64_e32 v[154:155], v[154:155], v[156:157]
	v_fma_f64 v[156:157], -v[148:149], v[154:155], 1.0
	v_fmac_f64_e32 v[154:155], v[154:155], v[156:157]
	v_div_scale_f64 v[156:157], vcc, 1.0, v[150:151], 1.0
	v_mul_f64 v[158:159], v[156:157], v[154:155]
	v_fma_f64 v[148:149], -v[148:149], v[158:159], v[156:157]
	s_nop 1
	v_div_fmas_f64 v[148:149], v[148:149], v[154:155], v[158:159]
	v_div_fixup_f64 v[154:155], v[148:149], v[150:151], 1.0
	v_mul_f64 v[152:153], v[152:153], v[154:155]
	v_xor_b32_e32 v155, 0x80000000, v155
                                        ; implicit-def: $vgpr148_vgpr149
.LBB53_95:
	s_andn2_saveexec_b64 s[2:3], s[2:3]
	s_cbranch_execz .LBB53_97
; %bb.96:
	v_div_scale_f64 v[152:153], s[10:11], v[148:149], v[148:149], v[150:151]
	v_rcp_f64_e32 v[154:155], v[152:153]
	v_div_scale_f64 v[156:157], vcc, v[150:151], v[148:149], v[150:151]
	v_fma_f64 v[158:159], -v[152:153], v[154:155], 1.0
	v_fmac_f64_e32 v[154:155], v[154:155], v[158:159]
	v_fma_f64 v[158:159], -v[152:153], v[154:155], 1.0
	v_fmac_f64_e32 v[154:155], v[154:155], v[158:159]
	v_mul_f64 v[158:159], v[156:157], v[154:155]
	v_fma_f64 v[152:153], -v[152:153], v[158:159], v[156:157]
	v_div_fmas_f64 v[152:153], v[152:153], v[154:155], v[158:159]
	v_div_fixup_f64 v[154:155], v[152:153], v[148:149], v[150:151]
	v_fmac_f64_e32 v[148:149], v[150:151], v[154:155]
	v_div_scale_f64 v[150:151], s[10:11], v[148:149], v[148:149], 1.0
	v_rcp_f64_e32 v[152:153], v[150:151]
	s_nop 0
	v_fma_f64 v[156:157], -v[150:151], v[152:153], 1.0
	v_fmac_f64_e32 v[152:153], v[152:153], v[156:157]
	v_fma_f64 v[156:157], -v[150:151], v[152:153], 1.0
	v_fmac_f64_e32 v[152:153], v[152:153], v[156:157]
	v_div_scale_f64 v[156:157], vcc, 1.0, v[148:149], 1.0
	v_mul_f64 v[158:159], v[156:157], v[152:153]
	v_fma_f64 v[150:151], -v[150:151], v[158:159], v[156:157]
	s_nop 1
	v_div_fmas_f64 v[150:151], v[150:151], v[152:153], v[158:159]
	v_div_fixup_f64 v[152:153], v[150:151], v[148:149], 1.0
	v_mul_f64 v[154:155], v[154:155], -v[152:153]
.LBB53_97:
	s_or_b64 exec, exec, s[2:3]
	ds_write2_b64 v235, v[152:153], v[154:155] offset1:1
.LBB53_98:
	s_or_b64 exec, exec, s[4:5]
	s_waitcnt lgkmcnt(0)
	s_barrier
	ds_read2_b64 v[148:151], v235 offset1:1
	v_cmp_lt_u32_e32 vcc, 10, v234
	s_and_saveexec_b64 s[2:3], vcc
	s_cbranch_execz .LBB53_100
; %bb.99:
	ds_read2_b64 v[154:157], v236 offset0:22 offset1:23
	ds_read2_b64 v[158:161], v236 offset0:24 offset1:25
	s_waitcnt vmcnt(26) lgkmcnt(2)
	v_mul_f64 v[152:153], v[148:149], v[62:63]
	v_fmac_f64_e32 v[152:153], v[150:151], v[60:61]
	v_mul_f64 v[62:63], v[150:151], v[62:63]
	v_fma_f64 v[60:61], v[148:149], v[60:61], -v[62:63]
	s_waitcnt lgkmcnt(1)
	v_mul_f64 v[62:63], v[156:157], v[152:153]
	v_fma_f64 v[62:63], v[154:155], v[60:61], -v[62:63]
	v_mul_f64 v[154:155], v[154:155], v[152:153]
	v_fmac_f64_e32 v[154:155], v[156:157], v[60:61]
	s_waitcnt vmcnt(25)
	v_add_f64 v[56:57], v[56:57], -v[62:63]
	v_add_f64 v[58:59], v[58:59], -v[154:155]
	s_waitcnt lgkmcnt(0)
	v_mul_f64 v[62:63], v[160:161], v[152:153]
	ds_read2_b64 v[154:157], v236 offset0:26 offset1:27
	v_fma_f64 v[62:63], v[158:159], v[60:61], -v[62:63]
	v_mul_f64 v[158:159], v[158:159], v[152:153]
	v_fmac_f64_e32 v[158:159], v[160:161], v[60:61]
	s_waitcnt vmcnt(24)
	v_add_f64 v[54:55], v[54:55], -v[158:159]
	ds_read2_b64 v[158:161], v236 offset0:28 offset1:29
	v_add_f64 v[52:53], v[52:53], -v[62:63]
	s_waitcnt lgkmcnt(1)
	v_mul_f64 v[62:63], v[156:157], v[152:153]
	v_fma_f64 v[62:63], v[154:155], v[60:61], -v[62:63]
	v_mul_f64 v[154:155], v[154:155], v[152:153]
	v_fmac_f64_e32 v[154:155], v[156:157], v[60:61]
	s_waitcnt vmcnt(23)
	v_add_f64 v[48:49], v[48:49], -v[62:63]
	v_add_f64 v[50:51], v[50:51], -v[154:155]
	s_waitcnt lgkmcnt(0)
	v_mul_f64 v[62:63], v[160:161], v[152:153]
	ds_read2_b64 v[154:157], v236 offset0:30 offset1:31
	v_fma_f64 v[62:63], v[158:159], v[60:61], -v[62:63]
	v_mul_f64 v[158:159], v[158:159], v[152:153]
	v_fmac_f64_e32 v[158:159], v[160:161], v[60:61]
	s_waitcnt vmcnt(22)
	v_add_f64 v[46:47], v[46:47], -v[158:159]
	ds_read2_b64 v[158:161], v236 offset0:32 offset1:33
	v_add_f64 v[44:45], v[44:45], -v[62:63]
	;; [unrolled: 18-line block ×6, first 2 shown]
	s_waitcnt lgkmcnt(1)
	v_mul_f64 v[62:63], v[156:157], v[152:153]
	v_fma_f64 v[62:63], v[154:155], v[60:61], -v[62:63]
	v_mul_f64 v[154:155], v[154:155], v[152:153]
	v_fmac_f64_e32 v[154:155], v[156:157], v[60:61]
	v_add_f64 v[8:9], v[8:9], -v[62:63]
	v_add_f64 v[10:11], v[10:11], -v[154:155]
	s_waitcnt lgkmcnt(0)
	v_mul_f64 v[62:63], v[160:161], v[152:153]
	ds_read2_b64 v[154:157], v236 offset0:50 offset1:51
	v_fma_f64 v[62:63], v[158:159], v[60:61], -v[62:63]
	v_mul_f64 v[158:159], v[158:159], v[152:153]
	v_fmac_f64_e32 v[158:159], v[160:161], v[60:61]
	s_waitcnt vmcnt(3)
	v_add_f64 v[6:7], v[6:7], -v[158:159]
	ds_read2_b64 v[158:161], v236 offset0:52 offset1:53
	v_add_f64 v[4:5], v[4:5], -v[62:63]
	s_waitcnt lgkmcnt(1)
	v_mul_f64 v[62:63], v[156:157], v[152:153]
	v_fma_f64 v[62:63], v[154:155], v[60:61], -v[62:63]
	v_mul_f64 v[154:155], v[154:155], v[152:153]
	v_fmac_f64_e32 v[154:155], v[156:157], v[60:61]
	v_add_f64 v[0:1], v[0:1], -v[62:63]
	v_add_f64 v[2:3], v[2:3], -v[154:155]
	s_waitcnt lgkmcnt(0)
	v_mul_f64 v[62:63], v[160:161], v[152:153]
	v_mul_f64 v[154:155], v[158:159], v[152:153]
	v_fma_f64 v[62:63], v[158:159], v[60:61], -v[62:63]
	v_fmac_f64_e32 v[154:155], v[160:161], v[60:61]
	s_waitcnt vmcnt(2)
	v_add_f64 v[104:105], v[104:105], -v[62:63]
	v_add_f64 v[106:107], v[106:107], -v[154:155]
	v_mov_b64_e32 v[62:63], v[152:153]
.LBB53_100:
	s_or_b64 exec, exec, s[2:3]
	v_cmp_eq_u32_e32 vcc, 11, v234
	s_waitcnt lgkmcnt(0)
	s_barrier
	s_and_saveexec_b64 s[4:5], vcc
	s_cbranch_execz .LBB53_107
; %bb.101:
	s_waitcnt vmcnt(25)
	ds_write2_b64 v235, v[56:57], v[58:59] offset1:1
	s_waitcnt vmcnt(24)
	ds_write2_b64 v236, v[52:53], v[54:55] offset0:24 offset1:25
	s_waitcnt vmcnt(23)
	ds_write2_b64 v236, v[48:49], v[50:51] offset0:26 offset1:27
	;; [unrolled: 2-line block ×11, first 2 shown]
	ds_write2_b64 v236, v[8:9], v[10:11] offset0:46 offset1:47
	s_waitcnt vmcnt(3)
	ds_write2_b64 v236, v[4:5], v[6:7] offset0:48 offset1:49
	ds_write2_b64 v236, v[0:1], v[2:3] offset0:50 offset1:51
	s_waitcnt vmcnt(2)
	ds_write2_b64 v236, v[104:105], v[106:107] offset0:52 offset1:53
	ds_read2_b64 v[152:155], v235 offset1:1
	s_waitcnt lgkmcnt(0)
	v_cmp_neq_f64_e32 vcc, 0, v[152:153]
	v_cmp_neq_f64_e64 s[2:3], 0, v[154:155]
	s_or_b64 s[2:3], vcc, s[2:3]
	s_and_b64 exec, exec, s[2:3]
	s_cbranch_execz .LBB53_107
; %bb.102:
	v_cmp_ngt_f64_e64 s[2:3], |v[152:153]|, |v[154:155]|
                                        ; implicit-def: $vgpr156_vgpr157
	s_and_saveexec_b64 s[10:11], s[2:3]
	s_xor_b64 s[2:3], exec, s[10:11]
                                        ; implicit-def: $vgpr158_vgpr159
	s_cbranch_execz .LBB53_104
; %bb.103:
	v_div_scale_f64 v[156:157], s[10:11], v[154:155], v[154:155], v[152:153]
	v_rcp_f64_e32 v[158:159], v[156:157]
	v_div_scale_f64 v[160:161], vcc, v[152:153], v[154:155], v[152:153]
	v_fma_f64 v[162:163], -v[156:157], v[158:159], 1.0
	v_fmac_f64_e32 v[158:159], v[158:159], v[162:163]
	v_fma_f64 v[162:163], -v[156:157], v[158:159], 1.0
	v_fmac_f64_e32 v[158:159], v[158:159], v[162:163]
	v_mul_f64 v[162:163], v[160:161], v[158:159]
	v_fma_f64 v[156:157], -v[156:157], v[162:163], v[160:161]
	v_div_fmas_f64 v[156:157], v[156:157], v[158:159], v[162:163]
	v_div_fixup_f64 v[156:157], v[156:157], v[154:155], v[152:153]
	v_fmac_f64_e32 v[154:155], v[152:153], v[156:157]
	v_div_scale_f64 v[152:153], s[10:11], v[154:155], v[154:155], 1.0
	v_rcp_f64_e32 v[158:159], v[152:153]
	s_nop 0
	v_fma_f64 v[160:161], -v[152:153], v[158:159], 1.0
	v_fmac_f64_e32 v[158:159], v[158:159], v[160:161]
	v_fma_f64 v[160:161], -v[152:153], v[158:159], 1.0
	v_fmac_f64_e32 v[158:159], v[158:159], v[160:161]
	v_div_scale_f64 v[160:161], vcc, 1.0, v[154:155], 1.0
	v_mul_f64 v[162:163], v[160:161], v[158:159]
	v_fma_f64 v[152:153], -v[152:153], v[162:163], v[160:161]
	s_nop 1
	v_div_fmas_f64 v[152:153], v[152:153], v[158:159], v[162:163]
	v_div_fixup_f64 v[158:159], v[152:153], v[154:155], 1.0
	v_mul_f64 v[156:157], v[156:157], v[158:159]
	v_xor_b32_e32 v159, 0x80000000, v159
                                        ; implicit-def: $vgpr152_vgpr153
.LBB53_104:
	s_andn2_saveexec_b64 s[2:3], s[2:3]
	s_cbranch_execz .LBB53_106
; %bb.105:
	v_div_scale_f64 v[156:157], s[10:11], v[152:153], v[152:153], v[154:155]
	v_rcp_f64_e32 v[158:159], v[156:157]
	v_div_scale_f64 v[160:161], vcc, v[154:155], v[152:153], v[154:155]
	v_fma_f64 v[162:163], -v[156:157], v[158:159], 1.0
	v_fmac_f64_e32 v[158:159], v[158:159], v[162:163]
	v_fma_f64 v[162:163], -v[156:157], v[158:159], 1.0
	v_fmac_f64_e32 v[158:159], v[158:159], v[162:163]
	v_mul_f64 v[162:163], v[160:161], v[158:159]
	v_fma_f64 v[156:157], -v[156:157], v[162:163], v[160:161]
	v_div_fmas_f64 v[156:157], v[156:157], v[158:159], v[162:163]
	v_div_fixup_f64 v[158:159], v[156:157], v[152:153], v[154:155]
	v_fmac_f64_e32 v[152:153], v[154:155], v[158:159]
	v_div_scale_f64 v[154:155], s[10:11], v[152:153], v[152:153], 1.0
	v_rcp_f64_e32 v[156:157], v[154:155]
	s_nop 0
	v_fma_f64 v[160:161], -v[154:155], v[156:157], 1.0
	v_fmac_f64_e32 v[156:157], v[156:157], v[160:161]
	v_fma_f64 v[160:161], -v[154:155], v[156:157], 1.0
	v_fmac_f64_e32 v[156:157], v[156:157], v[160:161]
	v_div_scale_f64 v[160:161], vcc, 1.0, v[152:153], 1.0
	v_mul_f64 v[162:163], v[160:161], v[156:157]
	v_fma_f64 v[154:155], -v[154:155], v[162:163], v[160:161]
	s_nop 1
	v_div_fmas_f64 v[154:155], v[154:155], v[156:157], v[162:163]
	v_div_fixup_f64 v[156:157], v[154:155], v[152:153], 1.0
	v_mul_f64 v[158:159], v[158:159], -v[156:157]
.LBB53_106:
	s_or_b64 exec, exec, s[2:3]
	ds_write2_b64 v235, v[156:157], v[158:159] offset1:1
.LBB53_107:
	s_or_b64 exec, exec, s[4:5]
	s_waitcnt lgkmcnt(0)
	s_barrier
	ds_read2_b64 v[152:155], v235 offset1:1
	v_cmp_lt_u32_e32 vcc, 11, v234
	s_and_saveexec_b64 s[2:3], vcc
	s_cbranch_execz .LBB53_109
; %bb.108:
	ds_read2_b64 v[158:161], v236 offset0:24 offset1:25
	ds_read2_b64 v[162:165], v236 offset0:26 offset1:27
	s_waitcnt vmcnt(25) lgkmcnt(2)
	v_mul_f64 v[156:157], v[152:153], v[58:59]
	v_fmac_f64_e32 v[156:157], v[154:155], v[56:57]
	v_mul_f64 v[58:59], v[154:155], v[58:59]
	v_fma_f64 v[56:57], v[152:153], v[56:57], -v[58:59]
	s_waitcnt lgkmcnt(1)
	v_mul_f64 v[58:59], v[160:161], v[156:157]
	v_fma_f64 v[58:59], v[158:159], v[56:57], -v[58:59]
	v_mul_f64 v[158:159], v[158:159], v[156:157]
	v_fmac_f64_e32 v[158:159], v[160:161], v[56:57]
	s_waitcnt vmcnt(24)
	v_add_f64 v[54:55], v[54:55], -v[158:159]
	ds_read2_b64 v[158:161], v236 offset0:28 offset1:29
	v_add_f64 v[52:53], v[52:53], -v[58:59]
	s_waitcnt lgkmcnt(1)
	v_mul_f64 v[58:59], v[164:165], v[156:157]
	v_fma_f64 v[58:59], v[162:163], v[56:57], -v[58:59]
	v_mul_f64 v[162:163], v[162:163], v[156:157]
	v_fmac_f64_e32 v[162:163], v[164:165], v[56:57]
	s_waitcnt vmcnt(23)
	v_add_f64 v[48:49], v[48:49], -v[58:59]
	v_add_f64 v[50:51], v[50:51], -v[162:163]
	ds_read2_b64 v[162:165], v236 offset0:30 offset1:31
	s_waitcnt lgkmcnt(1)
	v_mul_f64 v[58:59], v[160:161], v[156:157]
	v_fma_f64 v[58:59], v[158:159], v[56:57], -v[58:59]
	v_mul_f64 v[158:159], v[158:159], v[156:157]
	v_fmac_f64_e32 v[158:159], v[160:161], v[56:57]
	s_waitcnt vmcnt(22)
	v_add_f64 v[46:47], v[46:47], -v[158:159]
	ds_read2_b64 v[158:161], v236 offset0:32 offset1:33
	v_add_f64 v[44:45], v[44:45], -v[58:59]
	s_waitcnt lgkmcnt(1)
	v_mul_f64 v[58:59], v[164:165], v[156:157]
	v_fma_f64 v[58:59], v[162:163], v[56:57], -v[58:59]
	v_mul_f64 v[162:163], v[162:163], v[156:157]
	v_fmac_f64_e32 v[162:163], v[164:165], v[56:57]
	s_waitcnt vmcnt(21)
	v_add_f64 v[40:41], v[40:41], -v[58:59]
	v_add_f64 v[42:43], v[42:43], -v[162:163]
	ds_read2_b64 v[162:165], v236 offset0:34 offset1:35
	s_waitcnt lgkmcnt(1)
	v_mul_f64 v[58:59], v[160:161], v[156:157]
	v_fma_f64 v[58:59], v[158:159], v[56:57], -v[58:59]
	v_mul_f64 v[158:159], v[158:159], v[156:157]
	v_fmac_f64_e32 v[158:159], v[160:161], v[56:57]
	s_waitcnt vmcnt(20)
	v_add_f64 v[38:39], v[38:39], -v[158:159]
	ds_read2_b64 v[158:161], v236 offset0:36 offset1:37
	v_add_f64 v[36:37], v[36:37], -v[58:59]
	s_waitcnt lgkmcnt(1)
	v_mul_f64 v[58:59], v[164:165], v[156:157]
	v_fma_f64 v[58:59], v[162:163], v[56:57], -v[58:59]
	v_mul_f64 v[162:163], v[162:163], v[156:157]
	v_fmac_f64_e32 v[162:163], v[164:165], v[56:57]
	s_waitcnt vmcnt(18)
	v_add_f64 v[32:33], v[32:33], -v[58:59]
	v_add_f64 v[34:35], v[34:35], -v[162:163]
	ds_read2_b64 v[162:165], v236 offset0:38 offset1:39
	s_waitcnt lgkmcnt(1)
	v_mul_f64 v[58:59], v[160:161], v[156:157]
	v_fma_f64 v[58:59], v[158:159], v[56:57], -v[58:59]
	v_mul_f64 v[158:159], v[158:159], v[156:157]
	v_fmac_f64_e32 v[158:159], v[160:161], v[56:57]
	s_waitcnt vmcnt(17)
	v_add_f64 v[30:31], v[30:31], -v[158:159]
	ds_read2_b64 v[158:161], v236 offset0:40 offset1:41
	v_add_f64 v[28:29], v[28:29], -v[58:59]
	s_waitcnt lgkmcnt(1)
	v_mul_f64 v[58:59], v[164:165], v[156:157]
	v_fma_f64 v[58:59], v[162:163], v[56:57], -v[58:59]
	v_mul_f64 v[162:163], v[162:163], v[156:157]
	v_fmac_f64_e32 v[162:163], v[164:165], v[56:57]
	s_waitcnt vmcnt(16)
	v_add_f64 v[24:25], v[24:25], -v[58:59]
	v_add_f64 v[26:27], v[26:27], -v[162:163]
	ds_read2_b64 v[162:165], v236 offset0:42 offset1:43
	s_waitcnt lgkmcnt(1)
	v_mul_f64 v[58:59], v[160:161], v[156:157]
	v_fma_f64 v[58:59], v[158:159], v[56:57], -v[58:59]
	v_mul_f64 v[158:159], v[158:159], v[156:157]
	v_fmac_f64_e32 v[158:159], v[160:161], v[56:57]
	s_waitcnt vmcnt(15)
	v_add_f64 v[22:23], v[22:23], -v[158:159]
	ds_read2_b64 v[158:161], v236 offset0:44 offset1:45
	v_add_f64 v[20:21], v[20:21], -v[58:59]
	s_waitcnt lgkmcnt(1)
	v_mul_f64 v[58:59], v[164:165], v[156:157]
	v_fma_f64 v[58:59], v[162:163], v[56:57], -v[58:59]
	v_mul_f64 v[162:163], v[162:163], v[156:157]
	v_fmac_f64_e32 v[162:163], v[164:165], v[56:57]
	s_waitcnt vmcnt(14)
	v_add_f64 v[16:17], v[16:17], -v[58:59]
	v_add_f64 v[18:19], v[18:19], -v[162:163]
	ds_read2_b64 v[162:165], v236 offset0:46 offset1:47
	s_waitcnt lgkmcnt(1)
	v_mul_f64 v[58:59], v[160:161], v[156:157]
	v_fma_f64 v[58:59], v[158:159], v[56:57], -v[58:59]
	v_mul_f64 v[158:159], v[158:159], v[156:157]
	v_fmac_f64_e32 v[158:159], v[160:161], v[56:57]
	s_waitcnt vmcnt(5)
	v_add_f64 v[14:15], v[14:15], -v[158:159]
	ds_read2_b64 v[158:161], v236 offset0:48 offset1:49
	v_add_f64 v[12:13], v[12:13], -v[58:59]
	s_waitcnt lgkmcnt(1)
	v_mul_f64 v[58:59], v[164:165], v[156:157]
	v_fma_f64 v[58:59], v[162:163], v[56:57], -v[58:59]
	v_mul_f64 v[162:163], v[162:163], v[156:157]
	v_fmac_f64_e32 v[162:163], v[164:165], v[56:57]
	v_add_f64 v[8:9], v[8:9], -v[58:59]
	v_add_f64 v[10:11], v[10:11], -v[162:163]
	ds_read2_b64 v[162:165], v236 offset0:50 offset1:51
	s_waitcnt lgkmcnt(1)
	v_mul_f64 v[58:59], v[160:161], v[156:157]
	v_fma_f64 v[58:59], v[158:159], v[56:57], -v[58:59]
	v_mul_f64 v[158:159], v[158:159], v[156:157]
	v_fmac_f64_e32 v[158:159], v[160:161], v[56:57]
	s_waitcnt vmcnt(3)
	v_add_f64 v[6:7], v[6:7], -v[158:159]
	ds_read2_b64 v[158:161], v236 offset0:52 offset1:53
	v_add_f64 v[4:5], v[4:5], -v[58:59]
	s_waitcnt lgkmcnt(1)
	v_mul_f64 v[58:59], v[164:165], v[156:157]
	v_fma_f64 v[58:59], v[162:163], v[56:57], -v[58:59]
	v_add_f64 v[0:1], v[0:1], -v[58:59]
	s_waitcnt lgkmcnt(0)
	v_mul_f64 v[58:59], v[160:161], v[156:157]
	v_mul_f64 v[162:163], v[162:163], v[156:157]
	v_fma_f64 v[58:59], v[158:159], v[56:57], -v[58:59]
	v_mul_f64 v[158:159], v[158:159], v[156:157]
	v_fmac_f64_e32 v[162:163], v[164:165], v[56:57]
	v_fmac_f64_e32 v[158:159], v[160:161], v[56:57]
	v_add_f64 v[2:3], v[2:3], -v[162:163]
	s_waitcnt vmcnt(2)
	v_add_f64 v[104:105], v[104:105], -v[58:59]
	v_add_f64 v[106:107], v[106:107], -v[158:159]
	v_mov_b64_e32 v[58:59], v[156:157]
.LBB53_109:
	s_or_b64 exec, exec, s[2:3]
	v_cmp_eq_u32_e32 vcc, 12, v234
	s_waitcnt lgkmcnt(0)
	s_barrier
	s_and_saveexec_b64 s[4:5], vcc
	s_cbranch_execz .LBB53_116
; %bb.110:
	s_waitcnt vmcnt(24)
	ds_write2_b64 v235, v[52:53], v[54:55] offset1:1
	s_waitcnt vmcnt(23)
	ds_write2_b64 v236, v[48:49], v[50:51] offset0:26 offset1:27
	s_waitcnt vmcnt(22)
	ds_write2_b64 v236, v[44:45], v[46:47] offset0:28 offset1:29
	;; [unrolled: 2-line block ×10, first 2 shown]
	ds_write2_b64 v236, v[8:9], v[10:11] offset0:46 offset1:47
	s_waitcnt vmcnt(3)
	ds_write2_b64 v236, v[4:5], v[6:7] offset0:48 offset1:49
	ds_write2_b64 v236, v[0:1], v[2:3] offset0:50 offset1:51
	s_waitcnt vmcnt(2)
	ds_write2_b64 v236, v[104:105], v[106:107] offset0:52 offset1:53
	ds_read2_b64 v[156:159], v235 offset1:1
	s_waitcnt lgkmcnt(0)
	v_cmp_neq_f64_e32 vcc, 0, v[156:157]
	v_cmp_neq_f64_e64 s[2:3], 0, v[158:159]
	s_or_b64 s[2:3], vcc, s[2:3]
	s_and_b64 exec, exec, s[2:3]
	s_cbranch_execz .LBB53_116
; %bb.111:
	v_cmp_ngt_f64_e64 s[2:3], |v[156:157]|, |v[158:159]|
                                        ; implicit-def: $vgpr160_vgpr161
	s_and_saveexec_b64 s[10:11], s[2:3]
	s_xor_b64 s[2:3], exec, s[10:11]
                                        ; implicit-def: $vgpr162_vgpr163
	s_cbranch_execz .LBB53_113
; %bb.112:
	v_div_scale_f64 v[160:161], s[10:11], v[158:159], v[158:159], v[156:157]
	v_rcp_f64_e32 v[162:163], v[160:161]
	v_div_scale_f64 v[164:165], vcc, v[156:157], v[158:159], v[156:157]
	v_fma_f64 v[166:167], -v[160:161], v[162:163], 1.0
	v_fmac_f64_e32 v[162:163], v[162:163], v[166:167]
	v_fma_f64 v[166:167], -v[160:161], v[162:163], 1.0
	v_fmac_f64_e32 v[162:163], v[162:163], v[166:167]
	v_mul_f64 v[166:167], v[164:165], v[162:163]
	v_fma_f64 v[160:161], -v[160:161], v[166:167], v[164:165]
	v_div_fmas_f64 v[160:161], v[160:161], v[162:163], v[166:167]
	v_div_fixup_f64 v[160:161], v[160:161], v[158:159], v[156:157]
	v_fmac_f64_e32 v[158:159], v[156:157], v[160:161]
	v_div_scale_f64 v[156:157], s[10:11], v[158:159], v[158:159], 1.0
	v_rcp_f64_e32 v[162:163], v[156:157]
	s_nop 0
	v_fma_f64 v[164:165], -v[156:157], v[162:163], 1.0
	v_fmac_f64_e32 v[162:163], v[162:163], v[164:165]
	v_fma_f64 v[164:165], -v[156:157], v[162:163], 1.0
	v_fmac_f64_e32 v[162:163], v[162:163], v[164:165]
	v_div_scale_f64 v[164:165], vcc, 1.0, v[158:159], 1.0
	v_mul_f64 v[166:167], v[164:165], v[162:163]
	v_fma_f64 v[156:157], -v[156:157], v[166:167], v[164:165]
	s_nop 1
	v_div_fmas_f64 v[156:157], v[156:157], v[162:163], v[166:167]
	v_div_fixup_f64 v[162:163], v[156:157], v[158:159], 1.0
	v_mul_f64 v[160:161], v[160:161], v[162:163]
	v_xor_b32_e32 v163, 0x80000000, v163
                                        ; implicit-def: $vgpr156_vgpr157
.LBB53_113:
	s_andn2_saveexec_b64 s[2:3], s[2:3]
	s_cbranch_execz .LBB53_115
; %bb.114:
	v_div_scale_f64 v[160:161], s[10:11], v[156:157], v[156:157], v[158:159]
	v_rcp_f64_e32 v[162:163], v[160:161]
	v_div_scale_f64 v[164:165], vcc, v[158:159], v[156:157], v[158:159]
	v_fma_f64 v[166:167], -v[160:161], v[162:163], 1.0
	v_fmac_f64_e32 v[162:163], v[162:163], v[166:167]
	v_fma_f64 v[166:167], -v[160:161], v[162:163], 1.0
	v_fmac_f64_e32 v[162:163], v[162:163], v[166:167]
	v_mul_f64 v[166:167], v[164:165], v[162:163]
	v_fma_f64 v[160:161], -v[160:161], v[166:167], v[164:165]
	v_div_fmas_f64 v[160:161], v[160:161], v[162:163], v[166:167]
	v_div_fixup_f64 v[162:163], v[160:161], v[156:157], v[158:159]
	v_fmac_f64_e32 v[156:157], v[158:159], v[162:163]
	v_div_scale_f64 v[158:159], s[10:11], v[156:157], v[156:157], 1.0
	v_rcp_f64_e32 v[160:161], v[158:159]
	s_nop 0
	v_fma_f64 v[164:165], -v[158:159], v[160:161], 1.0
	v_fmac_f64_e32 v[160:161], v[160:161], v[164:165]
	v_fma_f64 v[164:165], -v[158:159], v[160:161], 1.0
	v_fmac_f64_e32 v[160:161], v[160:161], v[164:165]
	v_div_scale_f64 v[164:165], vcc, 1.0, v[156:157], 1.0
	v_mul_f64 v[166:167], v[164:165], v[160:161]
	v_fma_f64 v[158:159], -v[158:159], v[166:167], v[164:165]
	s_nop 1
	v_div_fmas_f64 v[158:159], v[158:159], v[160:161], v[166:167]
	v_div_fixup_f64 v[160:161], v[158:159], v[156:157], 1.0
	v_mul_f64 v[162:163], v[162:163], -v[160:161]
.LBB53_115:
	s_or_b64 exec, exec, s[2:3]
	ds_write2_b64 v235, v[160:161], v[162:163] offset1:1
.LBB53_116:
	s_or_b64 exec, exec, s[4:5]
	s_waitcnt lgkmcnt(0)
	s_barrier
	ds_read2_b64 v[156:159], v235 offset1:1
	v_cmp_lt_u32_e32 vcc, 12, v234
	s_and_saveexec_b64 s[2:3], vcc
	s_cbranch_execz .LBB53_118
; %bb.117:
	ds_read2_b64 v[162:165], v236 offset0:26 offset1:27
	ds_read2_b64 v[166:169], v236 offset0:28 offset1:29
	s_waitcnt vmcnt(24) lgkmcnt(2)
	v_mul_f64 v[160:161], v[156:157], v[54:55]
	v_fmac_f64_e32 v[160:161], v[158:159], v[52:53]
	v_mul_f64 v[54:55], v[158:159], v[54:55]
	v_fma_f64 v[52:53], v[156:157], v[52:53], -v[54:55]
	s_waitcnt lgkmcnt(1)
	v_mul_f64 v[54:55], v[164:165], v[160:161]
	v_fma_f64 v[54:55], v[162:163], v[52:53], -v[54:55]
	v_mul_f64 v[162:163], v[162:163], v[160:161]
	v_fmac_f64_e32 v[162:163], v[164:165], v[52:53]
	s_waitcnt vmcnt(23)
	v_add_f64 v[48:49], v[48:49], -v[54:55]
	v_add_f64 v[50:51], v[50:51], -v[162:163]
	s_waitcnt lgkmcnt(0)
	v_mul_f64 v[54:55], v[168:169], v[160:161]
	ds_read2_b64 v[162:165], v236 offset0:30 offset1:31
	v_fma_f64 v[54:55], v[166:167], v[52:53], -v[54:55]
	v_mul_f64 v[166:167], v[166:167], v[160:161]
	v_fmac_f64_e32 v[166:167], v[168:169], v[52:53]
	s_waitcnt vmcnt(22)
	v_add_f64 v[46:47], v[46:47], -v[166:167]
	ds_read2_b64 v[166:169], v236 offset0:32 offset1:33
	v_add_f64 v[44:45], v[44:45], -v[54:55]
	s_waitcnt lgkmcnt(1)
	v_mul_f64 v[54:55], v[164:165], v[160:161]
	v_fma_f64 v[54:55], v[162:163], v[52:53], -v[54:55]
	v_mul_f64 v[162:163], v[162:163], v[160:161]
	v_fmac_f64_e32 v[162:163], v[164:165], v[52:53]
	s_waitcnt vmcnt(21)
	v_add_f64 v[40:41], v[40:41], -v[54:55]
	v_add_f64 v[42:43], v[42:43], -v[162:163]
	s_waitcnt lgkmcnt(0)
	v_mul_f64 v[54:55], v[168:169], v[160:161]
	ds_read2_b64 v[162:165], v236 offset0:34 offset1:35
	v_fma_f64 v[54:55], v[166:167], v[52:53], -v[54:55]
	v_mul_f64 v[166:167], v[166:167], v[160:161]
	v_fmac_f64_e32 v[166:167], v[168:169], v[52:53]
	s_waitcnt vmcnt(20)
	v_add_f64 v[38:39], v[38:39], -v[166:167]
	ds_read2_b64 v[166:169], v236 offset0:36 offset1:37
	v_add_f64 v[36:37], v[36:37], -v[54:55]
	;; [unrolled: 18-line block ×5, first 2 shown]
	s_waitcnt lgkmcnt(1)
	v_mul_f64 v[54:55], v[164:165], v[160:161]
	v_fma_f64 v[54:55], v[162:163], v[52:53], -v[54:55]
	v_mul_f64 v[162:163], v[162:163], v[160:161]
	v_fmac_f64_e32 v[162:163], v[164:165], v[52:53]
	v_add_f64 v[8:9], v[8:9], -v[54:55]
	v_add_f64 v[10:11], v[10:11], -v[162:163]
	s_waitcnt lgkmcnt(0)
	v_mul_f64 v[54:55], v[168:169], v[160:161]
	ds_read2_b64 v[162:165], v236 offset0:50 offset1:51
	v_fma_f64 v[54:55], v[166:167], v[52:53], -v[54:55]
	v_mul_f64 v[166:167], v[166:167], v[160:161]
	v_fmac_f64_e32 v[166:167], v[168:169], v[52:53]
	s_waitcnt vmcnt(3)
	v_add_f64 v[6:7], v[6:7], -v[166:167]
	ds_read2_b64 v[166:169], v236 offset0:52 offset1:53
	v_add_f64 v[4:5], v[4:5], -v[54:55]
	s_waitcnt lgkmcnt(1)
	v_mul_f64 v[54:55], v[164:165], v[160:161]
	v_fma_f64 v[54:55], v[162:163], v[52:53], -v[54:55]
	v_mul_f64 v[162:163], v[162:163], v[160:161]
	v_fmac_f64_e32 v[162:163], v[164:165], v[52:53]
	v_add_f64 v[0:1], v[0:1], -v[54:55]
	v_add_f64 v[2:3], v[2:3], -v[162:163]
	s_waitcnt lgkmcnt(0)
	v_mul_f64 v[54:55], v[168:169], v[160:161]
	v_mul_f64 v[162:163], v[166:167], v[160:161]
	v_fma_f64 v[54:55], v[166:167], v[52:53], -v[54:55]
	v_fmac_f64_e32 v[162:163], v[168:169], v[52:53]
	s_waitcnt vmcnt(2)
	v_add_f64 v[104:105], v[104:105], -v[54:55]
	v_add_f64 v[106:107], v[106:107], -v[162:163]
	v_mov_b64_e32 v[54:55], v[160:161]
.LBB53_118:
	s_or_b64 exec, exec, s[2:3]
	v_cmp_eq_u32_e32 vcc, 13, v234
	s_waitcnt lgkmcnt(0)
	s_barrier
	s_and_saveexec_b64 s[4:5], vcc
	s_cbranch_execz .LBB53_125
; %bb.119:
	s_waitcnt vmcnt(23)
	ds_write2_b64 v235, v[48:49], v[50:51] offset1:1
	s_waitcnt vmcnt(22)
	ds_write2_b64 v236, v[44:45], v[46:47] offset0:28 offset1:29
	s_waitcnt vmcnt(21)
	ds_write2_b64 v236, v[40:41], v[42:43] offset0:30 offset1:31
	;; [unrolled: 2-line block ×9, first 2 shown]
	ds_write2_b64 v236, v[8:9], v[10:11] offset0:46 offset1:47
	s_waitcnt vmcnt(3)
	ds_write2_b64 v236, v[4:5], v[6:7] offset0:48 offset1:49
	ds_write2_b64 v236, v[0:1], v[2:3] offset0:50 offset1:51
	s_waitcnt vmcnt(2)
	ds_write2_b64 v236, v[104:105], v[106:107] offset0:52 offset1:53
	ds_read2_b64 v[160:163], v235 offset1:1
	s_waitcnt lgkmcnt(0)
	v_cmp_neq_f64_e32 vcc, 0, v[160:161]
	v_cmp_neq_f64_e64 s[2:3], 0, v[162:163]
	s_or_b64 s[2:3], vcc, s[2:3]
	s_and_b64 exec, exec, s[2:3]
	s_cbranch_execz .LBB53_125
; %bb.120:
	v_cmp_ngt_f64_e64 s[2:3], |v[160:161]|, |v[162:163]|
                                        ; implicit-def: $vgpr164_vgpr165
	s_and_saveexec_b64 s[10:11], s[2:3]
	s_xor_b64 s[2:3], exec, s[10:11]
                                        ; implicit-def: $vgpr166_vgpr167
	s_cbranch_execz .LBB53_122
; %bb.121:
	v_div_scale_f64 v[164:165], s[10:11], v[162:163], v[162:163], v[160:161]
	v_rcp_f64_e32 v[166:167], v[164:165]
	v_div_scale_f64 v[168:169], vcc, v[160:161], v[162:163], v[160:161]
	v_fma_f64 v[170:171], -v[164:165], v[166:167], 1.0
	v_fmac_f64_e32 v[166:167], v[166:167], v[170:171]
	v_fma_f64 v[170:171], -v[164:165], v[166:167], 1.0
	v_fmac_f64_e32 v[166:167], v[166:167], v[170:171]
	v_mul_f64 v[170:171], v[168:169], v[166:167]
	v_fma_f64 v[164:165], -v[164:165], v[170:171], v[168:169]
	v_div_fmas_f64 v[164:165], v[164:165], v[166:167], v[170:171]
	v_div_fixup_f64 v[164:165], v[164:165], v[162:163], v[160:161]
	v_fmac_f64_e32 v[162:163], v[160:161], v[164:165]
	v_div_scale_f64 v[160:161], s[10:11], v[162:163], v[162:163], 1.0
	v_rcp_f64_e32 v[166:167], v[160:161]
	s_nop 0
	v_fma_f64 v[168:169], -v[160:161], v[166:167], 1.0
	v_fmac_f64_e32 v[166:167], v[166:167], v[168:169]
	v_fma_f64 v[168:169], -v[160:161], v[166:167], 1.0
	v_fmac_f64_e32 v[166:167], v[166:167], v[168:169]
	v_div_scale_f64 v[168:169], vcc, 1.0, v[162:163], 1.0
	v_mul_f64 v[170:171], v[168:169], v[166:167]
	v_fma_f64 v[160:161], -v[160:161], v[170:171], v[168:169]
	s_nop 1
	v_div_fmas_f64 v[160:161], v[160:161], v[166:167], v[170:171]
	v_div_fixup_f64 v[166:167], v[160:161], v[162:163], 1.0
	v_mul_f64 v[164:165], v[164:165], v[166:167]
	v_xor_b32_e32 v167, 0x80000000, v167
                                        ; implicit-def: $vgpr160_vgpr161
.LBB53_122:
	s_andn2_saveexec_b64 s[2:3], s[2:3]
	s_cbranch_execz .LBB53_124
; %bb.123:
	v_div_scale_f64 v[164:165], s[10:11], v[160:161], v[160:161], v[162:163]
	v_rcp_f64_e32 v[166:167], v[164:165]
	v_div_scale_f64 v[168:169], vcc, v[162:163], v[160:161], v[162:163]
	v_fma_f64 v[170:171], -v[164:165], v[166:167], 1.0
	v_fmac_f64_e32 v[166:167], v[166:167], v[170:171]
	v_fma_f64 v[170:171], -v[164:165], v[166:167], 1.0
	v_fmac_f64_e32 v[166:167], v[166:167], v[170:171]
	v_mul_f64 v[170:171], v[168:169], v[166:167]
	v_fma_f64 v[164:165], -v[164:165], v[170:171], v[168:169]
	v_div_fmas_f64 v[164:165], v[164:165], v[166:167], v[170:171]
	v_div_fixup_f64 v[166:167], v[164:165], v[160:161], v[162:163]
	v_fmac_f64_e32 v[160:161], v[162:163], v[166:167]
	v_div_scale_f64 v[162:163], s[10:11], v[160:161], v[160:161], 1.0
	v_rcp_f64_e32 v[164:165], v[162:163]
	s_nop 0
	v_fma_f64 v[168:169], -v[162:163], v[164:165], 1.0
	v_fmac_f64_e32 v[164:165], v[164:165], v[168:169]
	v_fma_f64 v[168:169], -v[162:163], v[164:165], 1.0
	v_fmac_f64_e32 v[164:165], v[164:165], v[168:169]
	v_div_scale_f64 v[168:169], vcc, 1.0, v[160:161], 1.0
	v_mul_f64 v[170:171], v[168:169], v[164:165]
	v_fma_f64 v[162:163], -v[162:163], v[170:171], v[168:169]
	s_nop 1
	v_div_fmas_f64 v[162:163], v[162:163], v[164:165], v[170:171]
	v_div_fixup_f64 v[164:165], v[162:163], v[160:161], 1.0
	v_mul_f64 v[166:167], v[166:167], -v[164:165]
.LBB53_124:
	s_or_b64 exec, exec, s[2:3]
	ds_write2_b64 v235, v[164:165], v[166:167] offset1:1
.LBB53_125:
	s_or_b64 exec, exec, s[4:5]
	s_waitcnt lgkmcnt(0)
	s_barrier
	ds_read2_b64 v[160:163], v235 offset1:1
	v_cmp_lt_u32_e32 vcc, 13, v234
	s_and_saveexec_b64 s[2:3], vcc
	s_cbranch_execz .LBB53_127
; %bb.126:
	ds_read2_b64 v[164:167], v236 offset0:28 offset1:29
	ds_read2_b64 v[168:171], v236 offset0:30 offset1:31
	s_waitcnt vmcnt(23) lgkmcnt(2)
	v_mul_f64 v[172:173], v[160:161], v[50:51]
	v_fmac_f64_e32 v[172:173], v[162:163], v[48:49]
	v_mul_f64 v[50:51], v[162:163], v[50:51]
	v_fma_f64 v[48:49], v[160:161], v[48:49], -v[50:51]
	s_waitcnt lgkmcnt(1)
	v_mul_f64 v[50:51], v[166:167], v[172:173]
	v_fma_f64 v[50:51], v[164:165], v[48:49], -v[50:51]
	v_mul_f64 v[164:165], v[164:165], v[172:173]
	v_fmac_f64_e32 v[164:165], v[166:167], v[48:49]
	s_waitcnt vmcnt(22)
	v_add_f64 v[46:47], v[46:47], -v[164:165]
	ds_read2_b64 v[164:167], v236 offset0:32 offset1:33
	v_add_f64 v[44:45], v[44:45], -v[50:51]
	s_waitcnt lgkmcnt(1)
	v_mul_f64 v[50:51], v[170:171], v[172:173]
	v_fma_f64 v[50:51], v[168:169], v[48:49], -v[50:51]
	v_mul_f64 v[168:169], v[168:169], v[172:173]
	v_fmac_f64_e32 v[168:169], v[170:171], v[48:49]
	s_waitcnt vmcnt(21)
	v_add_f64 v[40:41], v[40:41], -v[50:51]
	v_add_f64 v[42:43], v[42:43], -v[168:169]
	ds_read2_b64 v[168:171], v236 offset0:34 offset1:35
	s_waitcnt lgkmcnt(1)
	v_mul_f64 v[50:51], v[166:167], v[172:173]
	v_fma_f64 v[50:51], v[164:165], v[48:49], -v[50:51]
	v_mul_f64 v[164:165], v[164:165], v[172:173]
	v_fmac_f64_e32 v[164:165], v[166:167], v[48:49]
	s_waitcnt vmcnt(20)
	v_add_f64 v[38:39], v[38:39], -v[164:165]
	ds_read2_b64 v[164:167], v236 offset0:36 offset1:37
	v_add_f64 v[36:37], v[36:37], -v[50:51]
	s_waitcnt lgkmcnt(1)
	v_mul_f64 v[50:51], v[170:171], v[172:173]
	v_fma_f64 v[50:51], v[168:169], v[48:49], -v[50:51]
	v_mul_f64 v[168:169], v[168:169], v[172:173]
	v_fmac_f64_e32 v[168:169], v[170:171], v[48:49]
	s_waitcnt vmcnt(18)
	v_add_f64 v[32:33], v[32:33], -v[50:51]
	v_add_f64 v[34:35], v[34:35], -v[168:169]
	ds_read2_b64 v[168:171], v236 offset0:38 offset1:39
	;; [unrolled: 18-line block ×4, first 2 shown]
	s_waitcnt lgkmcnt(1)
	v_mul_f64 v[50:51], v[166:167], v[172:173]
	v_fma_f64 v[50:51], v[164:165], v[48:49], -v[50:51]
	v_mul_f64 v[164:165], v[164:165], v[172:173]
	v_fmac_f64_e32 v[164:165], v[166:167], v[48:49]
	s_waitcnt vmcnt(5)
	v_add_f64 v[14:15], v[14:15], -v[164:165]
	ds_read2_b64 v[164:167], v236 offset0:48 offset1:49
	v_add_f64 v[12:13], v[12:13], -v[50:51]
	s_waitcnt lgkmcnt(1)
	v_mul_f64 v[50:51], v[170:171], v[172:173]
	v_fma_f64 v[50:51], v[168:169], v[48:49], -v[50:51]
	v_mul_f64 v[168:169], v[168:169], v[172:173]
	v_fmac_f64_e32 v[168:169], v[170:171], v[48:49]
	v_add_f64 v[8:9], v[8:9], -v[50:51]
	v_add_f64 v[10:11], v[10:11], -v[168:169]
	ds_read2_b64 v[168:171], v236 offset0:50 offset1:51
	s_waitcnt lgkmcnt(1)
	v_mul_f64 v[50:51], v[166:167], v[172:173]
	v_fma_f64 v[50:51], v[164:165], v[48:49], -v[50:51]
	v_mul_f64 v[164:165], v[164:165], v[172:173]
	v_fmac_f64_e32 v[164:165], v[166:167], v[48:49]
	s_waitcnt vmcnt(3)
	v_add_f64 v[6:7], v[6:7], -v[164:165]
	ds_read2_b64 v[164:167], v236 offset0:52 offset1:53
	v_add_f64 v[4:5], v[4:5], -v[50:51]
	s_waitcnt lgkmcnt(1)
	v_mul_f64 v[50:51], v[170:171], v[172:173]
	v_fma_f64 v[50:51], v[168:169], v[48:49], -v[50:51]
	v_add_f64 v[0:1], v[0:1], -v[50:51]
	s_waitcnt lgkmcnt(0)
	v_mul_f64 v[50:51], v[166:167], v[172:173]
	v_mul_f64 v[168:169], v[168:169], v[172:173]
	v_fma_f64 v[50:51], v[164:165], v[48:49], -v[50:51]
	v_mul_f64 v[164:165], v[164:165], v[172:173]
	v_fmac_f64_e32 v[168:169], v[170:171], v[48:49]
	v_fmac_f64_e32 v[164:165], v[166:167], v[48:49]
	v_add_f64 v[2:3], v[2:3], -v[168:169]
	s_waitcnt vmcnt(2)
	v_add_f64 v[104:105], v[104:105], -v[50:51]
	v_add_f64 v[106:107], v[106:107], -v[164:165]
	v_mov_b64_e32 v[50:51], v[172:173]
.LBB53_127:
	s_or_b64 exec, exec, s[2:3]
	v_cmp_eq_u32_e32 vcc, 14, v234
	s_waitcnt lgkmcnt(0)
	s_barrier
	s_and_saveexec_b64 s[4:5], vcc
	s_cbranch_execz .LBB53_134
; %bb.128:
	s_waitcnt vmcnt(22)
	ds_write2_b64 v235, v[44:45], v[46:47] offset1:1
	s_waitcnt vmcnt(21)
	ds_write2_b64 v236, v[40:41], v[42:43] offset0:30 offset1:31
	s_waitcnt vmcnt(20)
	ds_write2_b64 v236, v[36:37], v[38:39] offset0:32 offset1:33
	;; [unrolled: 2-line block ×8, first 2 shown]
	ds_write2_b64 v236, v[8:9], v[10:11] offset0:46 offset1:47
	s_waitcnt vmcnt(3)
	ds_write2_b64 v236, v[4:5], v[6:7] offset0:48 offset1:49
	ds_write2_b64 v236, v[0:1], v[2:3] offset0:50 offset1:51
	s_waitcnt vmcnt(2)
	ds_write2_b64 v236, v[104:105], v[106:107] offset0:52 offset1:53
	ds_read2_b64 v[164:167], v235 offset1:1
	s_waitcnt lgkmcnt(0)
	v_cmp_neq_f64_e32 vcc, 0, v[164:165]
	v_cmp_neq_f64_e64 s[2:3], 0, v[166:167]
	s_or_b64 s[2:3], vcc, s[2:3]
	s_and_b64 exec, exec, s[2:3]
	s_cbranch_execz .LBB53_134
; %bb.129:
	v_cmp_ngt_f64_e64 s[2:3], |v[164:165]|, |v[166:167]|
                                        ; implicit-def: $vgpr168_vgpr169
	s_and_saveexec_b64 s[10:11], s[2:3]
	s_xor_b64 s[2:3], exec, s[10:11]
                                        ; implicit-def: $vgpr170_vgpr171
	s_cbranch_execz .LBB53_131
; %bb.130:
	v_div_scale_f64 v[168:169], s[10:11], v[166:167], v[166:167], v[164:165]
	v_rcp_f64_e32 v[170:171], v[168:169]
	v_div_scale_f64 v[172:173], vcc, v[164:165], v[166:167], v[164:165]
	v_fma_f64 v[174:175], -v[168:169], v[170:171], 1.0
	v_fmac_f64_e32 v[170:171], v[170:171], v[174:175]
	v_fma_f64 v[174:175], -v[168:169], v[170:171], 1.0
	v_fmac_f64_e32 v[170:171], v[170:171], v[174:175]
	v_mul_f64 v[174:175], v[172:173], v[170:171]
	v_fma_f64 v[168:169], -v[168:169], v[174:175], v[172:173]
	v_div_fmas_f64 v[168:169], v[168:169], v[170:171], v[174:175]
	v_div_fixup_f64 v[168:169], v[168:169], v[166:167], v[164:165]
	v_fmac_f64_e32 v[166:167], v[164:165], v[168:169]
	v_div_scale_f64 v[164:165], s[10:11], v[166:167], v[166:167], 1.0
	v_rcp_f64_e32 v[170:171], v[164:165]
	s_nop 0
	v_fma_f64 v[172:173], -v[164:165], v[170:171], 1.0
	v_fmac_f64_e32 v[170:171], v[170:171], v[172:173]
	v_fma_f64 v[172:173], -v[164:165], v[170:171], 1.0
	v_fmac_f64_e32 v[170:171], v[170:171], v[172:173]
	v_div_scale_f64 v[172:173], vcc, 1.0, v[166:167], 1.0
	v_mul_f64 v[174:175], v[172:173], v[170:171]
	v_fma_f64 v[164:165], -v[164:165], v[174:175], v[172:173]
	s_nop 1
	v_div_fmas_f64 v[164:165], v[164:165], v[170:171], v[174:175]
	v_div_fixup_f64 v[170:171], v[164:165], v[166:167], 1.0
	v_mul_f64 v[168:169], v[168:169], v[170:171]
	v_xor_b32_e32 v171, 0x80000000, v171
                                        ; implicit-def: $vgpr164_vgpr165
.LBB53_131:
	s_andn2_saveexec_b64 s[2:3], s[2:3]
	s_cbranch_execz .LBB53_133
; %bb.132:
	v_div_scale_f64 v[168:169], s[10:11], v[164:165], v[164:165], v[166:167]
	v_rcp_f64_e32 v[170:171], v[168:169]
	v_div_scale_f64 v[172:173], vcc, v[166:167], v[164:165], v[166:167]
	v_fma_f64 v[174:175], -v[168:169], v[170:171], 1.0
	v_fmac_f64_e32 v[170:171], v[170:171], v[174:175]
	v_fma_f64 v[174:175], -v[168:169], v[170:171], 1.0
	v_fmac_f64_e32 v[170:171], v[170:171], v[174:175]
	v_mul_f64 v[174:175], v[172:173], v[170:171]
	v_fma_f64 v[168:169], -v[168:169], v[174:175], v[172:173]
	v_div_fmas_f64 v[168:169], v[168:169], v[170:171], v[174:175]
	v_div_fixup_f64 v[170:171], v[168:169], v[164:165], v[166:167]
	v_fmac_f64_e32 v[164:165], v[166:167], v[170:171]
	v_div_scale_f64 v[166:167], s[10:11], v[164:165], v[164:165], 1.0
	v_rcp_f64_e32 v[168:169], v[166:167]
	s_nop 0
	v_fma_f64 v[172:173], -v[166:167], v[168:169], 1.0
	v_fmac_f64_e32 v[168:169], v[168:169], v[172:173]
	v_fma_f64 v[172:173], -v[166:167], v[168:169], 1.0
	v_fmac_f64_e32 v[168:169], v[168:169], v[172:173]
	v_div_scale_f64 v[172:173], vcc, 1.0, v[164:165], 1.0
	v_mul_f64 v[174:175], v[172:173], v[168:169]
	v_fma_f64 v[166:167], -v[166:167], v[174:175], v[172:173]
	s_nop 1
	v_div_fmas_f64 v[166:167], v[166:167], v[168:169], v[174:175]
	v_div_fixup_f64 v[168:169], v[166:167], v[164:165], 1.0
	v_mul_f64 v[170:171], v[170:171], -v[168:169]
.LBB53_133:
	s_or_b64 exec, exec, s[2:3]
	ds_write2_b64 v235, v[168:169], v[170:171] offset1:1
.LBB53_134:
	s_or_b64 exec, exec, s[4:5]
	s_waitcnt lgkmcnt(0)
	s_barrier
	ds_read2_b64 v[164:167], v235 offset1:1
	v_cmp_lt_u32_e32 vcc, 14, v234
	s_and_saveexec_b64 s[2:3], vcc
	s_cbranch_execz .LBB53_136
; %bb.135:
	ds_read2_b64 v[168:171], v236 offset0:30 offset1:31
	ds_read2_b64 v[172:175], v236 offset0:32 offset1:33
	s_waitcnt vmcnt(22) lgkmcnt(2)
	v_mul_f64 v[176:177], v[164:165], v[46:47]
	v_fmac_f64_e32 v[176:177], v[166:167], v[44:45]
	v_mul_f64 v[46:47], v[166:167], v[46:47]
	v_fma_f64 v[44:45], v[164:165], v[44:45], -v[46:47]
	s_waitcnt lgkmcnt(1)
	v_mul_f64 v[46:47], v[170:171], v[176:177]
	v_fma_f64 v[46:47], v[168:169], v[44:45], -v[46:47]
	v_mul_f64 v[168:169], v[168:169], v[176:177]
	v_fmac_f64_e32 v[168:169], v[170:171], v[44:45]
	s_waitcnt vmcnt(21)
	v_add_f64 v[40:41], v[40:41], -v[46:47]
	v_add_f64 v[42:43], v[42:43], -v[168:169]
	s_waitcnt lgkmcnt(0)
	v_mul_f64 v[46:47], v[174:175], v[176:177]
	ds_read2_b64 v[168:171], v236 offset0:34 offset1:35
	v_fma_f64 v[46:47], v[172:173], v[44:45], -v[46:47]
	v_mul_f64 v[172:173], v[172:173], v[176:177]
	v_fmac_f64_e32 v[172:173], v[174:175], v[44:45]
	s_waitcnt vmcnt(20)
	v_add_f64 v[38:39], v[38:39], -v[172:173]
	ds_read2_b64 v[172:175], v236 offset0:36 offset1:37
	v_add_f64 v[36:37], v[36:37], -v[46:47]
	s_waitcnt lgkmcnt(1)
	v_mul_f64 v[46:47], v[170:171], v[176:177]
	v_fma_f64 v[46:47], v[168:169], v[44:45], -v[46:47]
	v_mul_f64 v[168:169], v[168:169], v[176:177]
	v_fmac_f64_e32 v[168:169], v[170:171], v[44:45]
	s_waitcnt vmcnt(18)
	v_add_f64 v[32:33], v[32:33], -v[46:47]
	v_add_f64 v[34:35], v[34:35], -v[168:169]
	s_waitcnt lgkmcnt(0)
	v_mul_f64 v[46:47], v[174:175], v[176:177]
	ds_read2_b64 v[168:171], v236 offset0:38 offset1:39
	v_fma_f64 v[46:47], v[172:173], v[44:45], -v[46:47]
	v_mul_f64 v[172:173], v[172:173], v[176:177]
	v_fmac_f64_e32 v[172:173], v[174:175], v[44:45]
	s_waitcnt vmcnt(17)
	v_add_f64 v[30:31], v[30:31], -v[172:173]
	ds_read2_b64 v[172:175], v236 offset0:40 offset1:41
	v_add_f64 v[28:29], v[28:29], -v[46:47]
	;; [unrolled: 18-line block ×4, first 2 shown]
	s_waitcnt lgkmcnt(1)
	v_mul_f64 v[46:47], v[170:171], v[176:177]
	v_fma_f64 v[46:47], v[168:169], v[44:45], -v[46:47]
	v_mul_f64 v[168:169], v[168:169], v[176:177]
	v_fmac_f64_e32 v[168:169], v[170:171], v[44:45]
	v_add_f64 v[8:9], v[8:9], -v[46:47]
	v_add_f64 v[10:11], v[10:11], -v[168:169]
	s_waitcnt lgkmcnt(0)
	v_mul_f64 v[46:47], v[174:175], v[176:177]
	ds_read2_b64 v[168:171], v236 offset0:50 offset1:51
	v_fma_f64 v[46:47], v[172:173], v[44:45], -v[46:47]
	v_mul_f64 v[172:173], v[172:173], v[176:177]
	v_fmac_f64_e32 v[172:173], v[174:175], v[44:45]
	s_waitcnt vmcnt(3)
	v_add_f64 v[6:7], v[6:7], -v[172:173]
	ds_read2_b64 v[172:175], v236 offset0:52 offset1:53
	v_add_f64 v[4:5], v[4:5], -v[46:47]
	s_waitcnt lgkmcnt(1)
	v_mul_f64 v[46:47], v[170:171], v[176:177]
	v_fma_f64 v[46:47], v[168:169], v[44:45], -v[46:47]
	v_mul_f64 v[168:169], v[168:169], v[176:177]
	v_fmac_f64_e32 v[168:169], v[170:171], v[44:45]
	v_add_f64 v[0:1], v[0:1], -v[46:47]
	v_add_f64 v[2:3], v[2:3], -v[168:169]
	s_waitcnt lgkmcnt(0)
	v_mul_f64 v[46:47], v[174:175], v[176:177]
	v_mul_f64 v[168:169], v[172:173], v[176:177]
	v_fma_f64 v[46:47], v[172:173], v[44:45], -v[46:47]
	v_fmac_f64_e32 v[168:169], v[174:175], v[44:45]
	s_waitcnt vmcnt(2)
	v_add_f64 v[104:105], v[104:105], -v[46:47]
	v_add_f64 v[106:107], v[106:107], -v[168:169]
	v_mov_b64_e32 v[46:47], v[176:177]
.LBB53_136:
	s_or_b64 exec, exec, s[2:3]
	v_cmp_eq_u32_e32 vcc, 15, v234
	s_waitcnt lgkmcnt(0)
	s_barrier
	s_and_saveexec_b64 s[4:5], vcc
	s_cbranch_execz .LBB53_143
; %bb.137:
	s_waitcnt vmcnt(21)
	ds_write2_b64 v235, v[40:41], v[42:43] offset1:1
	s_waitcnt vmcnt(20)
	ds_write2_b64 v236, v[36:37], v[38:39] offset0:32 offset1:33
	s_waitcnt vmcnt(18)
	ds_write2_b64 v236, v[32:33], v[34:35] offset0:34 offset1:35
	;; [unrolled: 2-line block ×7, first 2 shown]
	ds_write2_b64 v236, v[8:9], v[10:11] offset0:46 offset1:47
	s_waitcnt vmcnt(3)
	ds_write2_b64 v236, v[4:5], v[6:7] offset0:48 offset1:49
	ds_write2_b64 v236, v[0:1], v[2:3] offset0:50 offset1:51
	s_waitcnt vmcnt(2)
	ds_write2_b64 v236, v[104:105], v[106:107] offset0:52 offset1:53
	ds_read2_b64 v[168:171], v235 offset1:1
	s_waitcnt lgkmcnt(0)
	v_cmp_neq_f64_e32 vcc, 0, v[168:169]
	v_cmp_neq_f64_e64 s[2:3], 0, v[170:171]
	s_or_b64 s[2:3], vcc, s[2:3]
	s_and_b64 exec, exec, s[2:3]
	s_cbranch_execz .LBB53_143
; %bb.138:
	v_cmp_ngt_f64_e64 s[2:3], |v[168:169]|, |v[170:171]|
                                        ; implicit-def: $vgpr172_vgpr173
	s_and_saveexec_b64 s[10:11], s[2:3]
	s_xor_b64 s[2:3], exec, s[10:11]
                                        ; implicit-def: $vgpr174_vgpr175
	s_cbranch_execz .LBB53_140
; %bb.139:
	v_div_scale_f64 v[172:173], s[10:11], v[170:171], v[170:171], v[168:169]
	v_rcp_f64_e32 v[174:175], v[172:173]
	v_div_scale_f64 v[176:177], vcc, v[168:169], v[170:171], v[168:169]
	v_fma_f64 v[178:179], -v[172:173], v[174:175], 1.0
	v_fmac_f64_e32 v[174:175], v[174:175], v[178:179]
	v_fma_f64 v[178:179], -v[172:173], v[174:175], 1.0
	v_fmac_f64_e32 v[174:175], v[174:175], v[178:179]
	v_mul_f64 v[178:179], v[176:177], v[174:175]
	v_fma_f64 v[172:173], -v[172:173], v[178:179], v[176:177]
	v_div_fmas_f64 v[172:173], v[172:173], v[174:175], v[178:179]
	v_div_fixup_f64 v[172:173], v[172:173], v[170:171], v[168:169]
	v_fmac_f64_e32 v[170:171], v[168:169], v[172:173]
	v_div_scale_f64 v[168:169], s[10:11], v[170:171], v[170:171], 1.0
	v_rcp_f64_e32 v[174:175], v[168:169]
	s_nop 0
	v_fma_f64 v[176:177], -v[168:169], v[174:175], 1.0
	v_fmac_f64_e32 v[174:175], v[174:175], v[176:177]
	v_fma_f64 v[176:177], -v[168:169], v[174:175], 1.0
	v_fmac_f64_e32 v[174:175], v[174:175], v[176:177]
	v_div_scale_f64 v[176:177], vcc, 1.0, v[170:171], 1.0
	v_mul_f64 v[178:179], v[176:177], v[174:175]
	v_fma_f64 v[168:169], -v[168:169], v[178:179], v[176:177]
	s_nop 1
	v_div_fmas_f64 v[168:169], v[168:169], v[174:175], v[178:179]
	v_div_fixup_f64 v[174:175], v[168:169], v[170:171], 1.0
	v_mul_f64 v[172:173], v[172:173], v[174:175]
	v_xor_b32_e32 v175, 0x80000000, v175
                                        ; implicit-def: $vgpr168_vgpr169
.LBB53_140:
	s_andn2_saveexec_b64 s[2:3], s[2:3]
	s_cbranch_execz .LBB53_142
; %bb.141:
	v_div_scale_f64 v[172:173], s[10:11], v[168:169], v[168:169], v[170:171]
	v_rcp_f64_e32 v[174:175], v[172:173]
	v_div_scale_f64 v[176:177], vcc, v[170:171], v[168:169], v[170:171]
	v_fma_f64 v[178:179], -v[172:173], v[174:175], 1.0
	v_fmac_f64_e32 v[174:175], v[174:175], v[178:179]
	v_fma_f64 v[178:179], -v[172:173], v[174:175], 1.0
	v_fmac_f64_e32 v[174:175], v[174:175], v[178:179]
	v_mul_f64 v[178:179], v[176:177], v[174:175]
	v_fma_f64 v[172:173], -v[172:173], v[178:179], v[176:177]
	v_div_fmas_f64 v[172:173], v[172:173], v[174:175], v[178:179]
	v_div_fixup_f64 v[174:175], v[172:173], v[168:169], v[170:171]
	v_fmac_f64_e32 v[168:169], v[170:171], v[174:175]
	v_div_scale_f64 v[170:171], s[10:11], v[168:169], v[168:169], 1.0
	v_rcp_f64_e32 v[172:173], v[170:171]
	s_nop 0
	v_fma_f64 v[176:177], -v[170:171], v[172:173], 1.0
	v_fmac_f64_e32 v[172:173], v[172:173], v[176:177]
	v_fma_f64 v[176:177], -v[170:171], v[172:173], 1.0
	v_fmac_f64_e32 v[172:173], v[172:173], v[176:177]
	v_div_scale_f64 v[176:177], vcc, 1.0, v[168:169], 1.0
	v_mul_f64 v[178:179], v[176:177], v[172:173]
	v_fma_f64 v[170:171], -v[170:171], v[178:179], v[176:177]
	s_nop 1
	v_div_fmas_f64 v[170:171], v[170:171], v[172:173], v[178:179]
	v_div_fixup_f64 v[172:173], v[170:171], v[168:169], 1.0
	v_mul_f64 v[174:175], v[174:175], -v[172:173]
.LBB53_142:
	s_or_b64 exec, exec, s[2:3]
	ds_write2_b64 v235, v[172:173], v[174:175] offset1:1
.LBB53_143:
	s_or_b64 exec, exec, s[4:5]
	s_waitcnt lgkmcnt(0)
	s_barrier
	ds_read2_b64 v[168:171], v235 offset1:1
	v_cmp_lt_u32_e32 vcc, 15, v234
	s_and_saveexec_b64 s[2:3], vcc
	s_cbranch_execz .LBB53_145
; %bb.144:
	ds_read2_b64 v[172:175], v236 offset0:32 offset1:33
	ds_read2_b64 v[176:179], v236 offset0:34 offset1:35
	s_waitcnt vmcnt(21) lgkmcnt(2)
	v_mul_f64 v[180:181], v[168:169], v[42:43]
	v_fmac_f64_e32 v[180:181], v[170:171], v[40:41]
	v_mul_f64 v[42:43], v[170:171], v[42:43]
	v_fma_f64 v[40:41], v[168:169], v[40:41], -v[42:43]
	s_waitcnt lgkmcnt(1)
	v_mul_f64 v[42:43], v[174:175], v[180:181]
	v_fma_f64 v[42:43], v[172:173], v[40:41], -v[42:43]
	v_mul_f64 v[172:173], v[172:173], v[180:181]
	v_fmac_f64_e32 v[172:173], v[174:175], v[40:41]
	s_waitcnt vmcnt(20)
	v_add_f64 v[38:39], v[38:39], -v[172:173]
	ds_read2_b64 v[172:175], v236 offset0:36 offset1:37
	v_add_f64 v[36:37], v[36:37], -v[42:43]
	s_waitcnt lgkmcnt(1)
	v_mul_f64 v[42:43], v[178:179], v[180:181]
	v_fma_f64 v[42:43], v[176:177], v[40:41], -v[42:43]
	v_mul_f64 v[176:177], v[176:177], v[180:181]
	v_fmac_f64_e32 v[176:177], v[178:179], v[40:41]
	s_waitcnt vmcnt(18)
	v_add_f64 v[32:33], v[32:33], -v[42:43]
	v_add_f64 v[34:35], v[34:35], -v[176:177]
	ds_read2_b64 v[176:179], v236 offset0:38 offset1:39
	s_waitcnt lgkmcnt(1)
	v_mul_f64 v[42:43], v[174:175], v[180:181]
	v_fma_f64 v[42:43], v[172:173], v[40:41], -v[42:43]
	v_mul_f64 v[172:173], v[172:173], v[180:181]
	v_fmac_f64_e32 v[172:173], v[174:175], v[40:41]
	s_waitcnt vmcnt(17)
	v_add_f64 v[30:31], v[30:31], -v[172:173]
	ds_read2_b64 v[172:175], v236 offset0:40 offset1:41
	v_add_f64 v[28:29], v[28:29], -v[42:43]
	s_waitcnt lgkmcnt(1)
	v_mul_f64 v[42:43], v[178:179], v[180:181]
	v_fma_f64 v[42:43], v[176:177], v[40:41], -v[42:43]
	v_mul_f64 v[176:177], v[176:177], v[180:181]
	v_fmac_f64_e32 v[176:177], v[178:179], v[40:41]
	s_waitcnt vmcnt(16)
	v_add_f64 v[24:25], v[24:25], -v[42:43]
	v_add_f64 v[26:27], v[26:27], -v[176:177]
	ds_read2_b64 v[176:179], v236 offset0:42 offset1:43
	;; [unrolled: 18-line block ×3, first 2 shown]
	s_waitcnt lgkmcnt(1)
	v_mul_f64 v[42:43], v[174:175], v[180:181]
	v_fma_f64 v[42:43], v[172:173], v[40:41], -v[42:43]
	v_mul_f64 v[172:173], v[172:173], v[180:181]
	v_fmac_f64_e32 v[172:173], v[174:175], v[40:41]
	s_waitcnt vmcnt(5)
	v_add_f64 v[14:15], v[14:15], -v[172:173]
	ds_read2_b64 v[172:175], v236 offset0:48 offset1:49
	v_add_f64 v[12:13], v[12:13], -v[42:43]
	s_waitcnt lgkmcnt(1)
	v_mul_f64 v[42:43], v[178:179], v[180:181]
	v_fma_f64 v[42:43], v[176:177], v[40:41], -v[42:43]
	v_mul_f64 v[176:177], v[176:177], v[180:181]
	v_fmac_f64_e32 v[176:177], v[178:179], v[40:41]
	v_add_f64 v[8:9], v[8:9], -v[42:43]
	v_add_f64 v[10:11], v[10:11], -v[176:177]
	ds_read2_b64 v[176:179], v236 offset0:50 offset1:51
	s_waitcnt lgkmcnt(1)
	v_mul_f64 v[42:43], v[174:175], v[180:181]
	v_fma_f64 v[42:43], v[172:173], v[40:41], -v[42:43]
	v_mul_f64 v[172:173], v[172:173], v[180:181]
	v_fmac_f64_e32 v[172:173], v[174:175], v[40:41]
	s_waitcnt vmcnt(3)
	v_add_f64 v[6:7], v[6:7], -v[172:173]
	ds_read2_b64 v[172:175], v236 offset0:52 offset1:53
	v_add_f64 v[4:5], v[4:5], -v[42:43]
	s_waitcnt lgkmcnt(1)
	v_mul_f64 v[42:43], v[178:179], v[180:181]
	v_fma_f64 v[42:43], v[176:177], v[40:41], -v[42:43]
	v_add_f64 v[0:1], v[0:1], -v[42:43]
	s_waitcnt lgkmcnt(0)
	v_mul_f64 v[42:43], v[174:175], v[180:181]
	v_mul_f64 v[176:177], v[176:177], v[180:181]
	v_fma_f64 v[42:43], v[172:173], v[40:41], -v[42:43]
	v_mul_f64 v[172:173], v[172:173], v[180:181]
	v_fmac_f64_e32 v[176:177], v[178:179], v[40:41]
	v_fmac_f64_e32 v[172:173], v[174:175], v[40:41]
	v_add_f64 v[2:3], v[2:3], -v[176:177]
	s_waitcnt vmcnt(2)
	v_add_f64 v[104:105], v[104:105], -v[42:43]
	v_add_f64 v[106:107], v[106:107], -v[172:173]
	v_mov_b64_e32 v[42:43], v[180:181]
.LBB53_145:
	s_or_b64 exec, exec, s[2:3]
	v_cmp_eq_u32_e32 vcc, 16, v234
	s_waitcnt lgkmcnt(0)
	s_barrier
	s_and_saveexec_b64 s[4:5], vcc
	s_cbranch_execz .LBB53_152
; %bb.146:
	s_waitcnt vmcnt(20)
	ds_write2_b64 v235, v[36:37], v[38:39] offset1:1
	s_waitcnt vmcnt(18)
	ds_write2_b64 v236, v[32:33], v[34:35] offset0:34 offset1:35
	s_waitcnt vmcnt(17)
	ds_write2_b64 v236, v[28:29], v[30:31] offset0:36 offset1:37
	;; [unrolled: 2-line block ×6, first 2 shown]
	ds_write2_b64 v236, v[8:9], v[10:11] offset0:46 offset1:47
	s_waitcnt vmcnt(3)
	ds_write2_b64 v236, v[4:5], v[6:7] offset0:48 offset1:49
	ds_write2_b64 v236, v[0:1], v[2:3] offset0:50 offset1:51
	s_waitcnt vmcnt(2)
	ds_write2_b64 v236, v[104:105], v[106:107] offset0:52 offset1:53
	ds_read2_b64 v[172:175], v235 offset1:1
	s_waitcnt lgkmcnt(0)
	v_cmp_neq_f64_e32 vcc, 0, v[172:173]
	v_cmp_neq_f64_e64 s[2:3], 0, v[174:175]
	s_or_b64 s[2:3], vcc, s[2:3]
	s_and_b64 exec, exec, s[2:3]
	s_cbranch_execz .LBB53_152
; %bb.147:
	v_cmp_ngt_f64_e64 s[2:3], |v[172:173]|, |v[174:175]|
                                        ; implicit-def: $vgpr176_vgpr177
	s_and_saveexec_b64 s[10:11], s[2:3]
	s_xor_b64 s[2:3], exec, s[10:11]
                                        ; implicit-def: $vgpr178_vgpr179
	s_cbranch_execz .LBB53_149
; %bb.148:
	v_div_scale_f64 v[176:177], s[10:11], v[174:175], v[174:175], v[172:173]
	v_rcp_f64_e32 v[178:179], v[176:177]
	v_div_scale_f64 v[180:181], vcc, v[172:173], v[174:175], v[172:173]
	v_fma_f64 v[182:183], -v[176:177], v[178:179], 1.0
	v_fmac_f64_e32 v[178:179], v[178:179], v[182:183]
	v_fma_f64 v[182:183], -v[176:177], v[178:179], 1.0
	v_fmac_f64_e32 v[178:179], v[178:179], v[182:183]
	v_mul_f64 v[182:183], v[180:181], v[178:179]
	v_fma_f64 v[176:177], -v[176:177], v[182:183], v[180:181]
	v_div_fmas_f64 v[176:177], v[176:177], v[178:179], v[182:183]
	v_div_fixup_f64 v[176:177], v[176:177], v[174:175], v[172:173]
	v_fmac_f64_e32 v[174:175], v[172:173], v[176:177]
	v_div_scale_f64 v[172:173], s[10:11], v[174:175], v[174:175], 1.0
	v_rcp_f64_e32 v[178:179], v[172:173]
	s_nop 0
	v_fma_f64 v[180:181], -v[172:173], v[178:179], 1.0
	v_fmac_f64_e32 v[178:179], v[178:179], v[180:181]
	v_fma_f64 v[180:181], -v[172:173], v[178:179], 1.0
	v_fmac_f64_e32 v[178:179], v[178:179], v[180:181]
	v_div_scale_f64 v[180:181], vcc, 1.0, v[174:175], 1.0
	v_mul_f64 v[182:183], v[180:181], v[178:179]
	v_fma_f64 v[172:173], -v[172:173], v[182:183], v[180:181]
	s_nop 1
	v_div_fmas_f64 v[172:173], v[172:173], v[178:179], v[182:183]
	v_div_fixup_f64 v[178:179], v[172:173], v[174:175], 1.0
	v_mul_f64 v[176:177], v[176:177], v[178:179]
	v_xor_b32_e32 v179, 0x80000000, v179
                                        ; implicit-def: $vgpr172_vgpr173
.LBB53_149:
	s_andn2_saveexec_b64 s[2:3], s[2:3]
	s_cbranch_execz .LBB53_151
; %bb.150:
	v_div_scale_f64 v[176:177], s[10:11], v[172:173], v[172:173], v[174:175]
	v_rcp_f64_e32 v[178:179], v[176:177]
	v_div_scale_f64 v[180:181], vcc, v[174:175], v[172:173], v[174:175]
	v_fma_f64 v[182:183], -v[176:177], v[178:179], 1.0
	v_fmac_f64_e32 v[178:179], v[178:179], v[182:183]
	v_fma_f64 v[182:183], -v[176:177], v[178:179], 1.0
	v_fmac_f64_e32 v[178:179], v[178:179], v[182:183]
	v_mul_f64 v[182:183], v[180:181], v[178:179]
	v_fma_f64 v[176:177], -v[176:177], v[182:183], v[180:181]
	v_div_fmas_f64 v[176:177], v[176:177], v[178:179], v[182:183]
	v_div_fixup_f64 v[178:179], v[176:177], v[172:173], v[174:175]
	v_fmac_f64_e32 v[172:173], v[174:175], v[178:179]
	v_div_scale_f64 v[174:175], s[10:11], v[172:173], v[172:173], 1.0
	v_rcp_f64_e32 v[176:177], v[174:175]
	s_nop 0
	v_fma_f64 v[180:181], -v[174:175], v[176:177], 1.0
	v_fmac_f64_e32 v[176:177], v[176:177], v[180:181]
	v_fma_f64 v[180:181], -v[174:175], v[176:177], 1.0
	v_fmac_f64_e32 v[176:177], v[176:177], v[180:181]
	v_div_scale_f64 v[180:181], vcc, 1.0, v[172:173], 1.0
	v_mul_f64 v[182:183], v[180:181], v[176:177]
	v_fma_f64 v[174:175], -v[174:175], v[182:183], v[180:181]
	s_nop 1
	v_div_fmas_f64 v[174:175], v[174:175], v[176:177], v[182:183]
	v_div_fixup_f64 v[176:177], v[174:175], v[172:173], 1.0
	v_mul_f64 v[178:179], v[178:179], -v[176:177]
.LBB53_151:
	s_or_b64 exec, exec, s[2:3]
	ds_write2_b64 v235, v[176:177], v[178:179] offset1:1
.LBB53_152:
	s_or_b64 exec, exec, s[4:5]
	s_waitcnt lgkmcnt(0)
	s_barrier
	ds_read2_b64 v[172:175], v235 offset1:1
	v_cmp_lt_u32_e32 vcc, 16, v234
	s_and_saveexec_b64 s[2:3], vcc
	s_cbranch_execz .LBB53_154
; %bb.153:
	ds_read2_b64 v[176:179], v236 offset0:34 offset1:35
	ds_read2_b64 v[180:183], v236 offset0:36 offset1:37
	s_waitcnt vmcnt(20) lgkmcnt(2)
	v_mul_f64 v[184:185], v[172:173], v[38:39]
	v_fmac_f64_e32 v[184:185], v[174:175], v[36:37]
	v_mul_f64 v[38:39], v[174:175], v[38:39]
	v_fma_f64 v[36:37], v[172:173], v[36:37], -v[38:39]
	s_waitcnt lgkmcnt(1)
	v_mul_f64 v[38:39], v[178:179], v[184:185]
	v_fma_f64 v[38:39], v[176:177], v[36:37], -v[38:39]
	v_mul_f64 v[176:177], v[176:177], v[184:185]
	v_fmac_f64_e32 v[176:177], v[178:179], v[36:37]
	s_waitcnt vmcnt(18)
	v_add_f64 v[32:33], v[32:33], -v[38:39]
	v_add_f64 v[34:35], v[34:35], -v[176:177]
	s_waitcnt lgkmcnt(0)
	v_mul_f64 v[38:39], v[182:183], v[184:185]
	ds_read2_b64 v[176:179], v236 offset0:38 offset1:39
	v_fma_f64 v[38:39], v[180:181], v[36:37], -v[38:39]
	v_mul_f64 v[180:181], v[180:181], v[184:185]
	v_fmac_f64_e32 v[180:181], v[182:183], v[36:37]
	s_waitcnt vmcnt(17)
	v_add_f64 v[30:31], v[30:31], -v[180:181]
	ds_read2_b64 v[180:183], v236 offset0:40 offset1:41
	v_add_f64 v[28:29], v[28:29], -v[38:39]
	s_waitcnt lgkmcnt(1)
	v_mul_f64 v[38:39], v[178:179], v[184:185]
	v_fma_f64 v[38:39], v[176:177], v[36:37], -v[38:39]
	v_mul_f64 v[176:177], v[176:177], v[184:185]
	v_fmac_f64_e32 v[176:177], v[178:179], v[36:37]
	s_waitcnt vmcnt(16)
	v_add_f64 v[24:25], v[24:25], -v[38:39]
	v_add_f64 v[26:27], v[26:27], -v[176:177]
	s_waitcnt lgkmcnt(0)
	v_mul_f64 v[38:39], v[182:183], v[184:185]
	ds_read2_b64 v[176:179], v236 offset0:42 offset1:43
	v_fma_f64 v[38:39], v[180:181], v[36:37], -v[38:39]
	v_mul_f64 v[180:181], v[180:181], v[184:185]
	v_fmac_f64_e32 v[180:181], v[182:183], v[36:37]
	s_waitcnt vmcnt(15)
	v_add_f64 v[22:23], v[22:23], -v[180:181]
	ds_read2_b64 v[180:183], v236 offset0:44 offset1:45
	v_add_f64 v[20:21], v[20:21], -v[38:39]
	;; [unrolled: 18-line block ×3, first 2 shown]
	s_waitcnt lgkmcnt(1)
	v_mul_f64 v[38:39], v[178:179], v[184:185]
	v_fma_f64 v[38:39], v[176:177], v[36:37], -v[38:39]
	v_mul_f64 v[176:177], v[176:177], v[184:185]
	v_fmac_f64_e32 v[176:177], v[178:179], v[36:37]
	v_add_f64 v[8:9], v[8:9], -v[38:39]
	v_add_f64 v[10:11], v[10:11], -v[176:177]
	s_waitcnt lgkmcnt(0)
	v_mul_f64 v[38:39], v[182:183], v[184:185]
	ds_read2_b64 v[176:179], v236 offset0:50 offset1:51
	v_fma_f64 v[38:39], v[180:181], v[36:37], -v[38:39]
	v_mul_f64 v[180:181], v[180:181], v[184:185]
	v_fmac_f64_e32 v[180:181], v[182:183], v[36:37]
	s_waitcnt vmcnt(3)
	v_add_f64 v[6:7], v[6:7], -v[180:181]
	ds_read2_b64 v[180:183], v236 offset0:52 offset1:53
	v_add_f64 v[4:5], v[4:5], -v[38:39]
	s_waitcnt lgkmcnt(1)
	v_mul_f64 v[38:39], v[178:179], v[184:185]
	v_fma_f64 v[38:39], v[176:177], v[36:37], -v[38:39]
	v_mul_f64 v[176:177], v[176:177], v[184:185]
	v_fmac_f64_e32 v[176:177], v[178:179], v[36:37]
	v_add_f64 v[0:1], v[0:1], -v[38:39]
	v_add_f64 v[2:3], v[2:3], -v[176:177]
	s_waitcnt lgkmcnt(0)
	v_mul_f64 v[38:39], v[182:183], v[184:185]
	v_mul_f64 v[176:177], v[180:181], v[184:185]
	v_fma_f64 v[38:39], v[180:181], v[36:37], -v[38:39]
	v_fmac_f64_e32 v[176:177], v[182:183], v[36:37]
	s_waitcnt vmcnt(2)
	v_add_f64 v[104:105], v[104:105], -v[38:39]
	v_add_f64 v[106:107], v[106:107], -v[176:177]
	v_mov_b64_e32 v[38:39], v[184:185]
.LBB53_154:
	s_or_b64 exec, exec, s[2:3]
	v_cmp_eq_u32_e32 vcc, 17, v234
	s_waitcnt lgkmcnt(0)
	s_barrier
	s_and_saveexec_b64 s[4:5], vcc
	s_cbranch_execz .LBB53_161
; %bb.155:
	s_waitcnt vmcnt(18)
	ds_write2_b64 v235, v[32:33], v[34:35] offset1:1
	s_waitcnt vmcnt(17)
	ds_write2_b64 v236, v[28:29], v[30:31] offset0:36 offset1:37
	s_waitcnt vmcnt(16)
	ds_write2_b64 v236, v[24:25], v[26:27] offset0:38 offset1:39
	;; [unrolled: 2-line block ×5, first 2 shown]
	ds_write2_b64 v236, v[8:9], v[10:11] offset0:46 offset1:47
	s_waitcnt vmcnt(3)
	ds_write2_b64 v236, v[4:5], v[6:7] offset0:48 offset1:49
	ds_write2_b64 v236, v[0:1], v[2:3] offset0:50 offset1:51
	s_waitcnt vmcnt(2)
	ds_write2_b64 v236, v[104:105], v[106:107] offset0:52 offset1:53
	ds_read2_b64 v[176:179], v235 offset1:1
	s_waitcnt lgkmcnt(0)
	v_cmp_neq_f64_e32 vcc, 0, v[176:177]
	v_cmp_neq_f64_e64 s[2:3], 0, v[178:179]
	s_or_b64 s[2:3], vcc, s[2:3]
	s_and_b64 exec, exec, s[2:3]
	s_cbranch_execz .LBB53_161
; %bb.156:
	v_cmp_ngt_f64_e64 s[2:3], |v[176:177]|, |v[178:179]|
                                        ; implicit-def: $vgpr180_vgpr181
	s_and_saveexec_b64 s[10:11], s[2:3]
	s_xor_b64 s[2:3], exec, s[10:11]
                                        ; implicit-def: $vgpr182_vgpr183
	s_cbranch_execz .LBB53_158
; %bb.157:
	v_div_scale_f64 v[180:181], s[10:11], v[178:179], v[178:179], v[176:177]
	v_rcp_f64_e32 v[182:183], v[180:181]
	v_div_scale_f64 v[184:185], vcc, v[176:177], v[178:179], v[176:177]
	v_fma_f64 v[186:187], -v[180:181], v[182:183], 1.0
	v_fmac_f64_e32 v[182:183], v[182:183], v[186:187]
	v_fma_f64 v[186:187], -v[180:181], v[182:183], 1.0
	v_fmac_f64_e32 v[182:183], v[182:183], v[186:187]
	v_mul_f64 v[186:187], v[184:185], v[182:183]
	v_fma_f64 v[180:181], -v[180:181], v[186:187], v[184:185]
	v_div_fmas_f64 v[180:181], v[180:181], v[182:183], v[186:187]
	v_div_fixup_f64 v[180:181], v[180:181], v[178:179], v[176:177]
	v_fmac_f64_e32 v[178:179], v[176:177], v[180:181]
	v_div_scale_f64 v[176:177], s[10:11], v[178:179], v[178:179], 1.0
	v_rcp_f64_e32 v[182:183], v[176:177]
	s_nop 0
	v_fma_f64 v[184:185], -v[176:177], v[182:183], 1.0
	v_fmac_f64_e32 v[182:183], v[182:183], v[184:185]
	v_fma_f64 v[184:185], -v[176:177], v[182:183], 1.0
	v_fmac_f64_e32 v[182:183], v[182:183], v[184:185]
	v_div_scale_f64 v[184:185], vcc, 1.0, v[178:179], 1.0
	v_mul_f64 v[186:187], v[184:185], v[182:183]
	v_fma_f64 v[176:177], -v[176:177], v[186:187], v[184:185]
	s_nop 1
	v_div_fmas_f64 v[176:177], v[176:177], v[182:183], v[186:187]
	v_div_fixup_f64 v[182:183], v[176:177], v[178:179], 1.0
	v_mul_f64 v[180:181], v[180:181], v[182:183]
	v_xor_b32_e32 v183, 0x80000000, v183
                                        ; implicit-def: $vgpr176_vgpr177
.LBB53_158:
	s_andn2_saveexec_b64 s[2:3], s[2:3]
	s_cbranch_execz .LBB53_160
; %bb.159:
	v_div_scale_f64 v[180:181], s[10:11], v[176:177], v[176:177], v[178:179]
	v_rcp_f64_e32 v[182:183], v[180:181]
	v_div_scale_f64 v[184:185], vcc, v[178:179], v[176:177], v[178:179]
	v_fma_f64 v[186:187], -v[180:181], v[182:183], 1.0
	v_fmac_f64_e32 v[182:183], v[182:183], v[186:187]
	v_fma_f64 v[186:187], -v[180:181], v[182:183], 1.0
	v_fmac_f64_e32 v[182:183], v[182:183], v[186:187]
	v_mul_f64 v[186:187], v[184:185], v[182:183]
	v_fma_f64 v[180:181], -v[180:181], v[186:187], v[184:185]
	v_div_fmas_f64 v[180:181], v[180:181], v[182:183], v[186:187]
	v_div_fixup_f64 v[182:183], v[180:181], v[176:177], v[178:179]
	v_fmac_f64_e32 v[176:177], v[178:179], v[182:183]
	v_div_scale_f64 v[178:179], s[10:11], v[176:177], v[176:177], 1.0
	v_rcp_f64_e32 v[180:181], v[178:179]
	s_nop 0
	v_fma_f64 v[184:185], -v[178:179], v[180:181], 1.0
	v_fmac_f64_e32 v[180:181], v[180:181], v[184:185]
	v_fma_f64 v[184:185], -v[178:179], v[180:181], 1.0
	v_fmac_f64_e32 v[180:181], v[180:181], v[184:185]
	v_div_scale_f64 v[184:185], vcc, 1.0, v[176:177], 1.0
	v_mul_f64 v[186:187], v[184:185], v[180:181]
	v_fma_f64 v[178:179], -v[178:179], v[186:187], v[184:185]
	s_nop 1
	v_div_fmas_f64 v[178:179], v[178:179], v[180:181], v[186:187]
	v_div_fixup_f64 v[180:181], v[178:179], v[176:177], 1.0
	v_mul_f64 v[182:183], v[182:183], -v[180:181]
.LBB53_160:
	s_or_b64 exec, exec, s[2:3]
	ds_write2_b64 v235, v[180:181], v[182:183] offset1:1
.LBB53_161:
	s_or_b64 exec, exec, s[4:5]
	s_waitcnt lgkmcnt(0)
	s_barrier
	ds_read2_b64 v[176:179], v235 offset1:1
	v_cmp_lt_u32_e32 vcc, 17, v234
	s_and_saveexec_b64 s[2:3], vcc
	s_cbranch_execz .LBB53_163
; %bb.162:
	ds_read2_b64 v[180:183], v236 offset0:36 offset1:37
	ds_read2_b64 v[184:187], v236 offset0:38 offset1:39
	s_waitcnt vmcnt(18) lgkmcnt(2)
	v_mul_f64 v[188:189], v[176:177], v[34:35]
	v_fmac_f64_e32 v[188:189], v[178:179], v[32:33]
	v_mul_f64 v[34:35], v[178:179], v[34:35]
	v_fma_f64 v[32:33], v[176:177], v[32:33], -v[34:35]
	s_waitcnt lgkmcnt(1)
	v_mul_f64 v[34:35], v[182:183], v[188:189]
	v_fma_f64 v[34:35], v[180:181], v[32:33], -v[34:35]
	v_mul_f64 v[180:181], v[180:181], v[188:189]
	v_fmac_f64_e32 v[180:181], v[182:183], v[32:33]
	s_waitcnt vmcnt(17)
	v_add_f64 v[30:31], v[30:31], -v[180:181]
	ds_read2_b64 v[180:183], v236 offset0:40 offset1:41
	v_add_f64 v[28:29], v[28:29], -v[34:35]
	s_waitcnt lgkmcnt(1)
	v_mul_f64 v[34:35], v[186:187], v[188:189]
	v_fma_f64 v[34:35], v[184:185], v[32:33], -v[34:35]
	v_mul_f64 v[184:185], v[184:185], v[188:189]
	v_fmac_f64_e32 v[184:185], v[186:187], v[32:33]
	s_waitcnt vmcnt(16)
	v_add_f64 v[24:25], v[24:25], -v[34:35]
	v_add_f64 v[26:27], v[26:27], -v[184:185]
	ds_read2_b64 v[184:187], v236 offset0:42 offset1:43
	s_waitcnt lgkmcnt(1)
	v_mul_f64 v[34:35], v[182:183], v[188:189]
	v_fma_f64 v[34:35], v[180:181], v[32:33], -v[34:35]
	v_mul_f64 v[180:181], v[180:181], v[188:189]
	v_fmac_f64_e32 v[180:181], v[182:183], v[32:33]
	s_waitcnt vmcnt(15)
	v_add_f64 v[22:23], v[22:23], -v[180:181]
	ds_read2_b64 v[180:183], v236 offset0:44 offset1:45
	v_add_f64 v[20:21], v[20:21], -v[34:35]
	s_waitcnt lgkmcnt(1)
	v_mul_f64 v[34:35], v[186:187], v[188:189]
	v_fma_f64 v[34:35], v[184:185], v[32:33], -v[34:35]
	v_mul_f64 v[184:185], v[184:185], v[188:189]
	v_fmac_f64_e32 v[184:185], v[186:187], v[32:33]
	s_waitcnt vmcnt(14)
	v_add_f64 v[16:17], v[16:17], -v[34:35]
	v_add_f64 v[18:19], v[18:19], -v[184:185]
	ds_read2_b64 v[184:187], v236 offset0:46 offset1:47
	s_waitcnt lgkmcnt(1)
	v_mul_f64 v[34:35], v[182:183], v[188:189]
	v_fma_f64 v[34:35], v[180:181], v[32:33], -v[34:35]
	v_mul_f64 v[180:181], v[180:181], v[188:189]
	v_fmac_f64_e32 v[180:181], v[182:183], v[32:33]
	s_waitcnt vmcnt(5)
	v_add_f64 v[14:15], v[14:15], -v[180:181]
	ds_read2_b64 v[180:183], v236 offset0:48 offset1:49
	v_add_f64 v[12:13], v[12:13], -v[34:35]
	s_waitcnt lgkmcnt(1)
	v_mul_f64 v[34:35], v[186:187], v[188:189]
	v_fma_f64 v[34:35], v[184:185], v[32:33], -v[34:35]
	v_mul_f64 v[184:185], v[184:185], v[188:189]
	v_fmac_f64_e32 v[184:185], v[186:187], v[32:33]
	v_add_f64 v[8:9], v[8:9], -v[34:35]
	v_add_f64 v[10:11], v[10:11], -v[184:185]
	ds_read2_b64 v[184:187], v236 offset0:50 offset1:51
	s_waitcnt lgkmcnt(1)
	v_mul_f64 v[34:35], v[182:183], v[188:189]
	v_fma_f64 v[34:35], v[180:181], v[32:33], -v[34:35]
	v_mul_f64 v[180:181], v[180:181], v[188:189]
	v_fmac_f64_e32 v[180:181], v[182:183], v[32:33]
	s_waitcnt vmcnt(3)
	v_add_f64 v[6:7], v[6:7], -v[180:181]
	ds_read2_b64 v[180:183], v236 offset0:52 offset1:53
	v_add_f64 v[4:5], v[4:5], -v[34:35]
	s_waitcnt lgkmcnt(1)
	v_mul_f64 v[34:35], v[186:187], v[188:189]
	v_fma_f64 v[34:35], v[184:185], v[32:33], -v[34:35]
	v_add_f64 v[0:1], v[0:1], -v[34:35]
	s_waitcnt lgkmcnt(0)
	v_mul_f64 v[34:35], v[182:183], v[188:189]
	v_mul_f64 v[184:185], v[184:185], v[188:189]
	v_fma_f64 v[34:35], v[180:181], v[32:33], -v[34:35]
	v_mul_f64 v[180:181], v[180:181], v[188:189]
	v_fmac_f64_e32 v[184:185], v[186:187], v[32:33]
	v_fmac_f64_e32 v[180:181], v[182:183], v[32:33]
	v_add_f64 v[2:3], v[2:3], -v[184:185]
	s_waitcnt vmcnt(2)
	v_add_f64 v[104:105], v[104:105], -v[34:35]
	v_add_f64 v[106:107], v[106:107], -v[180:181]
	v_mov_b64_e32 v[34:35], v[188:189]
.LBB53_163:
	s_or_b64 exec, exec, s[2:3]
	v_cmp_eq_u32_e32 vcc, 18, v234
	s_waitcnt lgkmcnt(0)
	s_barrier
	s_and_saveexec_b64 s[4:5], vcc
	s_cbranch_execz .LBB53_170
; %bb.164:
	s_waitcnt vmcnt(17)
	ds_write2_b64 v235, v[28:29], v[30:31] offset1:1
	s_waitcnt vmcnt(16)
	ds_write2_b64 v236, v[24:25], v[26:27] offset0:38 offset1:39
	s_waitcnt vmcnt(15)
	ds_write2_b64 v236, v[20:21], v[22:23] offset0:40 offset1:41
	;; [unrolled: 2-line block ×4, first 2 shown]
	ds_write2_b64 v236, v[8:9], v[10:11] offset0:46 offset1:47
	s_waitcnt vmcnt(3)
	ds_write2_b64 v236, v[4:5], v[6:7] offset0:48 offset1:49
	ds_write2_b64 v236, v[0:1], v[2:3] offset0:50 offset1:51
	s_waitcnt vmcnt(2)
	ds_write2_b64 v236, v[104:105], v[106:107] offset0:52 offset1:53
	ds_read2_b64 v[180:183], v235 offset1:1
	s_waitcnt lgkmcnt(0)
	v_cmp_neq_f64_e32 vcc, 0, v[180:181]
	v_cmp_neq_f64_e64 s[2:3], 0, v[182:183]
	s_or_b64 s[2:3], vcc, s[2:3]
	s_and_b64 exec, exec, s[2:3]
	s_cbranch_execz .LBB53_170
; %bb.165:
	v_cmp_ngt_f64_e64 s[2:3], |v[180:181]|, |v[182:183]|
                                        ; implicit-def: $vgpr184_vgpr185
	s_and_saveexec_b64 s[10:11], s[2:3]
	s_xor_b64 s[2:3], exec, s[10:11]
                                        ; implicit-def: $vgpr186_vgpr187
	s_cbranch_execz .LBB53_167
; %bb.166:
	v_div_scale_f64 v[184:185], s[10:11], v[182:183], v[182:183], v[180:181]
	v_rcp_f64_e32 v[186:187], v[184:185]
	v_div_scale_f64 v[188:189], vcc, v[180:181], v[182:183], v[180:181]
	v_fma_f64 v[190:191], -v[184:185], v[186:187], 1.0
	v_fmac_f64_e32 v[186:187], v[186:187], v[190:191]
	v_fma_f64 v[190:191], -v[184:185], v[186:187], 1.0
	v_fmac_f64_e32 v[186:187], v[186:187], v[190:191]
	v_mul_f64 v[190:191], v[188:189], v[186:187]
	v_fma_f64 v[184:185], -v[184:185], v[190:191], v[188:189]
	v_div_fmas_f64 v[184:185], v[184:185], v[186:187], v[190:191]
	v_div_fixup_f64 v[184:185], v[184:185], v[182:183], v[180:181]
	v_fmac_f64_e32 v[182:183], v[180:181], v[184:185]
	v_div_scale_f64 v[180:181], s[10:11], v[182:183], v[182:183], 1.0
	v_rcp_f64_e32 v[186:187], v[180:181]
	s_nop 0
	v_fma_f64 v[188:189], -v[180:181], v[186:187], 1.0
	v_fmac_f64_e32 v[186:187], v[186:187], v[188:189]
	v_fma_f64 v[188:189], -v[180:181], v[186:187], 1.0
	v_fmac_f64_e32 v[186:187], v[186:187], v[188:189]
	v_div_scale_f64 v[188:189], vcc, 1.0, v[182:183], 1.0
	v_mul_f64 v[190:191], v[188:189], v[186:187]
	v_fma_f64 v[180:181], -v[180:181], v[190:191], v[188:189]
	s_nop 1
	v_div_fmas_f64 v[180:181], v[180:181], v[186:187], v[190:191]
	v_div_fixup_f64 v[186:187], v[180:181], v[182:183], 1.0
	v_mul_f64 v[184:185], v[184:185], v[186:187]
	v_xor_b32_e32 v187, 0x80000000, v187
                                        ; implicit-def: $vgpr180_vgpr181
.LBB53_167:
	s_andn2_saveexec_b64 s[2:3], s[2:3]
	s_cbranch_execz .LBB53_169
; %bb.168:
	v_div_scale_f64 v[184:185], s[10:11], v[180:181], v[180:181], v[182:183]
	v_rcp_f64_e32 v[186:187], v[184:185]
	v_div_scale_f64 v[188:189], vcc, v[182:183], v[180:181], v[182:183]
	v_fma_f64 v[190:191], -v[184:185], v[186:187], 1.0
	v_fmac_f64_e32 v[186:187], v[186:187], v[190:191]
	v_fma_f64 v[190:191], -v[184:185], v[186:187], 1.0
	v_fmac_f64_e32 v[186:187], v[186:187], v[190:191]
	v_mul_f64 v[190:191], v[188:189], v[186:187]
	v_fma_f64 v[184:185], -v[184:185], v[190:191], v[188:189]
	v_div_fmas_f64 v[184:185], v[184:185], v[186:187], v[190:191]
	v_div_fixup_f64 v[186:187], v[184:185], v[180:181], v[182:183]
	v_fmac_f64_e32 v[180:181], v[182:183], v[186:187]
	v_div_scale_f64 v[182:183], s[10:11], v[180:181], v[180:181], 1.0
	v_rcp_f64_e32 v[184:185], v[182:183]
	s_nop 0
	v_fma_f64 v[188:189], -v[182:183], v[184:185], 1.0
	v_fmac_f64_e32 v[184:185], v[184:185], v[188:189]
	v_fma_f64 v[188:189], -v[182:183], v[184:185], 1.0
	v_fmac_f64_e32 v[184:185], v[184:185], v[188:189]
	v_div_scale_f64 v[188:189], vcc, 1.0, v[180:181], 1.0
	v_mul_f64 v[190:191], v[188:189], v[184:185]
	v_fma_f64 v[182:183], -v[182:183], v[190:191], v[188:189]
	s_nop 1
	v_div_fmas_f64 v[182:183], v[182:183], v[184:185], v[190:191]
	v_div_fixup_f64 v[184:185], v[182:183], v[180:181], 1.0
	v_mul_f64 v[186:187], v[186:187], -v[184:185]
.LBB53_169:
	s_or_b64 exec, exec, s[2:3]
	ds_write2_b64 v235, v[184:185], v[186:187] offset1:1
.LBB53_170:
	s_or_b64 exec, exec, s[4:5]
	s_waitcnt lgkmcnt(0)
	s_barrier
	ds_read2_b64 v[180:183], v235 offset1:1
	v_cmp_lt_u32_e32 vcc, 18, v234
	s_and_saveexec_b64 s[2:3], vcc
	s_cbranch_execz .LBB53_172
; %bb.171:
	ds_read2_b64 v[184:187], v236 offset0:38 offset1:39
	ds_read2_b64 v[188:191], v236 offset0:40 offset1:41
	s_waitcnt vmcnt(17) lgkmcnt(2)
	v_mul_f64 v[192:193], v[180:181], v[30:31]
	v_fmac_f64_e32 v[192:193], v[182:183], v[28:29]
	v_mul_f64 v[30:31], v[182:183], v[30:31]
	v_fma_f64 v[28:29], v[180:181], v[28:29], -v[30:31]
	s_waitcnt lgkmcnt(1)
	v_mul_f64 v[30:31], v[186:187], v[192:193]
	v_fma_f64 v[30:31], v[184:185], v[28:29], -v[30:31]
	v_mul_f64 v[184:185], v[184:185], v[192:193]
	v_fmac_f64_e32 v[184:185], v[186:187], v[28:29]
	s_waitcnt vmcnt(16)
	v_add_f64 v[24:25], v[24:25], -v[30:31]
	v_add_f64 v[26:27], v[26:27], -v[184:185]
	s_waitcnt lgkmcnt(0)
	v_mul_f64 v[30:31], v[190:191], v[192:193]
	ds_read2_b64 v[184:187], v236 offset0:42 offset1:43
	v_fma_f64 v[30:31], v[188:189], v[28:29], -v[30:31]
	v_mul_f64 v[188:189], v[188:189], v[192:193]
	v_fmac_f64_e32 v[188:189], v[190:191], v[28:29]
	s_waitcnt vmcnt(15)
	v_add_f64 v[22:23], v[22:23], -v[188:189]
	ds_read2_b64 v[188:191], v236 offset0:44 offset1:45
	v_add_f64 v[20:21], v[20:21], -v[30:31]
	s_waitcnt lgkmcnt(1)
	v_mul_f64 v[30:31], v[186:187], v[192:193]
	v_fma_f64 v[30:31], v[184:185], v[28:29], -v[30:31]
	v_mul_f64 v[184:185], v[184:185], v[192:193]
	v_fmac_f64_e32 v[184:185], v[186:187], v[28:29]
	s_waitcnt vmcnt(14)
	v_add_f64 v[16:17], v[16:17], -v[30:31]
	v_add_f64 v[18:19], v[18:19], -v[184:185]
	s_waitcnt lgkmcnt(0)
	v_mul_f64 v[30:31], v[190:191], v[192:193]
	ds_read2_b64 v[184:187], v236 offset0:46 offset1:47
	v_fma_f64 v[30:31], v[188:189], v[28:29], -v[30:31]
	v_mul_f64 v[188:189], v[188:189], v[192:193]
	v_fmac_f64_e32 v[188:189], v[190:191], v[28:29]
	s_waitcnt vmcnt(5)
	v_add_f64 v[14:15], v[14:15], -v[188:189]
	ds_read2_b64 v[188:191], v236 offset0:48 offset1:49
	v_add_f64 v[12:13], v[12:13], -v[30:31]
	s_waitcnt lgkmcnt(1)
	v_mul_f64 v[30:31], v[186:187], v[192:193]
	v_fma_f64 v[30:31], v[184:185], v[28:29], -v[30:31]
	v_mul_f64 v[184:185], v[184:185], v[192:193]
	v_fmac_f64_e32 v[184:185], v[186:187], v[28:29]
	v_add_f64 v[8:9], v[8:9], -v[30:31]
	v_add_f64 v[10:11], v[10:11], -v[184:185]
	s_waitcnt lgkmcnt(0)
	v_mul_f64 v[30:31], v[190:191], v[192:193]
	ds_read2_b64 v[184:187], v236 offset0:50 offset1:51
	v_fma_f64 v[30:31], v[188:189], v[28:29], -v[30:31]
	v_mul_f64 v[188:189], v[188:189], v[192:193]
	v_fmac_f64_e32 v[188:189], v[190:191], v[28:29]
	s_waitcnt vmcnt(3)
	v_add_f64 v[6:7], v[6:7], -v[188:189]
	ds_read2_b64 v[188:191], v236 offset0:52 offset1:53
	v_add_f64 v[4:5], v[4:5], -v[30:31]
	s_waitcnt lgkmcnt(1)
	v_mul_f64 v[30:31], v[186:187], v[192:193]
	v_fma_f64 v[30:31], v[184:185], v[28:29], -v[30:31]
	v_mul_f64 v[184:185], v[184:185], v[192:193]
	v_fmac_f64_e32 v[184:185], v[186:187], v[28:29]
	v_add_f64 v[0:1], v[0:1], -v[30:31]
	v_add_f64 v[2:3], v[2:3], -v[184:185]
	s_waitcnt lgkmcnt(0)
	v_mul_f64 v[30:31], v[190:191], v[192:193]
	v_mul_f64 v[184:185], v[188:189], v[192:193]
	v_fma_f64 v[30:31], v[188:189], v[28:29], -v[30:31]
	v_fmac_f64_e32 v[184:185], v[190:191], v[28:29]
	s_waitcnt vmcnt(2)
	v_add_f64 v[104:105], v[104:105], -v[30:31]
	v_add_f64 v[106:107], v[106:107], -v[184:185]
	v_mov_b64_e32 v[30:31], v[192:193]
.LBB53_172:
	s_or_b64 exec, exec, s[2:3]
	v_cmp_eq_u32_e32 vcc, 19, v234
	s_waitcnt lgkmcnt(0)
	s_barrier
	s_and_saveexec_b64 s[4:5], vcc
	s_cbranch_execz .LBB53_179
; %bb.173:
	s_waitcnt vmcnt(16)
	ds_write2_b64 v235, v[24:25], v[26:27] offset1:1
	s_waitcnt vmcnt(15)
	ds_write2_b64 v236, v[20:21], v[22:23] offset0:40 offset1:41
	s_waitcnt vmcnt(14)
	ds_write2_b64 v236, v[16:17], v[18:19] offset0:42 offset1:43
	;; [unrolled: 2-line block ×3, first 2 shown]
	ds_write2_b64 v236, v[8:9], v[10:11] offset0:46 offset1:47
	s_waitcnt vmcnt(3)
	ds_write2_b64 v236, v[4:5], v[6:7] offset0:48 offset1:49
	ds_write2_b64 v236, v[0:1], v[2:3] offset0:50 offset1:51
	s_waitcnt vmcnt(2)
	ds_write2_b64 v236, v[104:105], v[106:107] offset0:52 offset1:53
	ds_read2_b64 v[184:187], v235 offset1:1
	s_waitcnt lgkmcnt(0)
	v_cmp_neq_f64_e32 vcc, 0, v[184:185]
	v_cmp_neq_f64_e64 s[2:3], 0, v[186:187]
	s_or_b64 s[2:3], vcc, s[2:3]
	s_and_b64 exec, exec, s[2:3]
	s_cbranch_execz .LBB53_179
; %bb.174:
	v_cmp_ngt_f64_e64 s[2:3], |v[184:185]|, |v[186:187]|
                                        ; implicit-def: $vgpr188_vgpr189
	s_and_saveexec_b64 s[10:11], s[2:3]
	s_xor_b64 s[2:3], exec, s[10:11]
                                        ; implicit-def: $vgpr190_vgpr191
	s_cbranch_execz .LBB53_176
; %bb.175:
	v_div_scale_f64 v[188:189], s[10:11], v[186:187], v[186:187], v[184:185]
	v_rcp_f64_e32 v[190:191], v[188:189]
	v_div_scale_f64 v[192:193], vcc, v[184:185], v[186:187], v[184:185]
	v_fma_f64 v[194:195], -v[188:189], v[190:191], 1.0
	v_fmac_f64_e32 v[190:191], v[190:191], v[194:195]
	v_fma_f64 v[194:195], -v[188:189], v[190:191], 1.0
	v_fmac_f64_e32 v[190:191], v[190:191], v[194:195]
	v_mul_f64 v[194:195], v[192:193], v[190:191]
	v_fma_f64 v[188:189], -v[188:189], v[194:195], v[192:193]
	v_div_fmas_f64 v[188:189], v[188:189], v[190:191], v[194:195]
	v_div_fixup_f64 v[188:189], v[188:189], v[186:187], v[184:185]
	v_fmac_f64_e32 v[186:187], v[184:185], v[188:189]
	v_div_scale_f64 v[184:185], s[10:11], v[186:187], v[186:187], 1.0
	v_rcp_f64_e32 v[190:191], v[184:185]
	s_nop 0
	v_fma_f64 v[192:193], -v[184:185], v[190:191], 1.0
	v_fmac_f64_e32 v[190:191], v[190:191], v[192:193]
	v_fma_f64 v[192:193], -v[184:185], v[190:191], 1.0
	v_fmac_f64_e32 v[190:191], v[190:191], v[192:193]
	v_div_scale_f64 v[192:193], vcc, 1.0, v[186:187], 1.0
	v_mul_f64 v[194:195], v[192:193], v[190:191]
	v_fma_f64 v[184:185], -v[184:185], v[194:195], v[192:193]
	s_nop 1
	v_div_fmas_f64 v[184:185], v[184:185], v[190:191], v[194:195]
	v_div_fixup_f64 v[190:191], v[184:185], v[186:187], 1.0
	v_mul_f64 v[188:189], v[188:189], v[190:191]
	v_xor_b32_e32 v191, 0x80000000, v191
                                        ; implicit-def: $vgpr184_vgpr185
.LBB53_176:
	s_andn2_saveexec_b64 s[2:3], s[2:3]
	s_cbranch_execz .LBB53_178
; %bb.177:
	v_div_scale_f64 v[188:189], s[10:11], v[184:185], v[184:185], v[186:187]
	v_rcp_f64_e32 v[190:191], v[188:189]
	v_div_scale_f64 v[192:193], vcc, v[186:187], v[184:185], v[186:187]
	v_fma_f64 v[194:195], -v[188:189], v[190:191], 1.0
	v_fmac_f64_e32 v[190:191], v[190:191], v[194:195]
	v_fma_f64 v[194:195], -v[188:189], v[190:191], 1.0
	v_fmac_f64_e32 v[190:191], v[190:191], v[194:195]
	v_mul_f64 v[194:195], v[192:193], v[190:191]
	v_fma_f64 v[188:189], -v[188:189], v[194:195], v[192:193]
	v_div_fmas_f64 v[188:189], v[188:189], v[190:191], v[194:195]
	v_div_fixup_f64 v[190:191], v[188:189], v[184:185], v[186:187]
	v_fmac_f64_e32 v[184:185], v[186:187], v[190:191]
	v_div_scale_f64 v[186:187], s[10:11], v[184:185], v[184:185], 1.0
	v_rcp_f64_e32 v[188:189], v[186:187]
	s_nop 0
	v_fma_f64 v[192:193], -v[186:187], v[188:189], 1.0
	v_fmac_f64_e32 v[188:189], v[188:189], v[192:193]
	v_fma_f64 v[192:193], -v[186:187], v[188:189], 1.0
	v_fmac_f64_e32 v[188:189], v[188:189], v[192:193]
	v_div_scale_f64 v[192:193], vcc, 1.0, v[184:185], 1.0
	v_mul_f64 v[194:195], v[192:193], v[188:189]
	v_fma_f64 v[186:187], -v[186:187], v[194:195], v[192:193]
	s_nop 1
	v_div_fmas_f64 v[186:187], v[186:187], v[188:189], v[194:195]
	v_div_fixup_f64 v[188:189], v[186:187], v[184:185], 1.0
	v_mul_f64 v[190:191], v[190:191], -v[188:189]
.LBB53_178:
	s_or_b64 exec, exec, s[2:3]
	ds_write2_b64 v235, v[188:189], v[190:191] offset1:1
.LBB53_179:
	s_or_b64 exec, exec, s[4:5]
	s_waitcnt lgkmcnt(0)
	s_barrier
	ds_read2_b64 v[184:187], v235 offset1:1
	v_cmp_lt_u32_e32 vcc, 19, v234
	s_and_saveexec_b64 s[2:3], vcc
	s_cbranch_execz .LBB53_181
; %bb.180:
	ds_read2_b64 v[190:193], v236 offset0:40 offset1:41
	s_waitcnt vmcnt(16) lgkmcnt(1)
	v_mul_f64 v[188:189], v[184:185], v[26:27]
	v_fmac_f64_e32 v[188:189], v[186:187], v[24:25]
	v_mul_f64 v[26:27], v[186:187], v[26:27]
	v_fma_f64 v[24:25], v[184:185], v[24:25], -v[26:27]
	s_waitcnt lgkmcnt(0)
	v_mul_f64 v[26:27], v[192:193], v[188:189]
	v_fma_f64 v[26:27], v[190:191], v[24:25], -v[26:27]
	v_mul_f64 v[190:191], v[190:191], v[188:189]
	v_fmac_f64_e32 v[190:191], v[192:193], v[24:25]
	s_waitcnt vmcnt(15)
	v_add_f64 v[22:23], v[22:23], -v[190:191]
	ds_read2_b64 v[190:193], v236 offset0:42 offset1:43
	v_add_f64 v[20:21], v[20:21], -v[26:27]
	s_waitcnt lgkmcnt(0)
	v_mul_f64 v[26:27], v[192:193], v[188:189]
	v_fma_f64 v[26:27], v[190:191], v[24:25], -v[26:27]
	v_mul_f64 v[190:191], v[190:191], v[188:189]
	v_fmac_f64_e32 v[190:191], v[192:193], v[24:25]
	s_waitcnt vmcnt(14)
	v_add_f64 v[18:19], v[18:19], -v[190:191]
	ds_read2_b64 v[190:193], v236 offset0:44 offset1:45
	v_add_f64 v[16:17], v[16:17], -v[26:27]
	;; [unrolled: 9-line block ×3, first 2 shown]
	s_waitcnt lgkmcnt(0)
	v_mul_f64 v[26:27], v[192:193], v[188:189]
	v_fma_f64 v[26:27], v[190:191], v[24:25], -v[26:27]
	v_mul_f64 v[190:191], v[190:191], v[188:189]
	v_fmac_f64_e32 v[190:191], v[192:193], v[24:25]
	v_add_f64 v[10:11], v[10:11], -v[190:191]
	ds_read2_b64 v[190:193], v236 offset0:48 offset1:49
	v_add_f64 v[8:9], v[8:9], -v[26:27]
	s_waitcnt lgkmcnt(0)
	v_mul_f64 v[26:27], v[192:193], v[188:189]
	v_fma_f64 v[26:27], v[190:191], v[24:25], -v[26:27]
	v_mul_f64 v[190:191], v[190:191], v[188:189]
	v_fmac_f64_e32 v[190:191], v[192:193], v[24:25]
	s_waitcnt vmcnt(3)
	v_add_f64 v[6:7], v[6:7], -v[190:191]
	ds_read2_b64 v[190:193], v236 offset0:50 offset1:51
	v_add_f64 v[4:5], v[4:5], -v[26:27]
	s_waitcnt lgkmcnt(0)
	v_mul_f64 v[26:27], v[192:193], v[188:189]
	v_fma_f64 v[26:27], v[190:191], v[24:25], -v[26:27]
	v_mul_f64 v[190:191], v[190:191], v[188:189]
	v_fmac_f64_e32 v[190:191], v[192:193], v[24:25]
	v_add_f64 v[2:3], v[2:3], -v[190:191]
	ds_read2_b64 v[190:193], v236 offset0:52 offset1:53
	v_add_f64 v[0:1], v[0:1], -v[26:27]
	s_waitcnt lgkmcnt(0)
	v_mul_f64 v[26:27], v[192:193], v[188:189]
	v_fma_f64 v[26:27], v[190:191], v[24:25], -v[26:27]
	v_mul_f64 v[190:191], v[190:191], v[188:189]
	v_fmac_f64_e32 v[190:191], v[192:193], v[24:25]
	s_waitcnt vmcnt(2)
	v_add_f64 v[104:105], v[104:105], -v[26:27]
	v_add_f64 v[106:107], v[106:107], -v[190:191]
	v_mov_b64_e32 v[26:27], v[188:189]
.LBB53_181:
	s_or_b64 exec, exec, s[2:3]
	v_cmp_eq_u32_e32 vcc, 20, v234
	s_waitcnt lgkmcnt(0)
	s_barrier
	s_and_saveexec_b64 s[4:5], vcc
	s_cbranch_execz .LBB53_188
; %bb.182:
	s_waitcnt vmcnt(15)
	ds_write2_b64 v235, v[20:21], v[22:23] offset1:1
	s_waitcnt vmcnt(14)
	ds_write2_b64 v236, v[16:17], v[18:19] offset0:42 offset1:43
	s_waitcnt vmcnt(5)
	ds_write2_b64 v236, v[12:13], v[14:15] offset0:44 offset1:45
	ds_write2_b64 v236, v[8:9], v[10:11] offset0:46 offset1:47
	s_waitcnt vmcnt(3)
	ds_write2_b64 v236, v[4:5], v[6:7] offset0:48 offset1:49
	;; [unrolled: 3-line block ×3, first 2 shown]
	ds_read2_b64 v[188:191], v235 offset1:1
	s_waitcnt lgkmcnt(0)
	v_cmp_neq_f64_e32 vcc, 0, v[188:189]
	v_cmp_neq_f64_e64 s[2:3], 0, v[190:191]
	s_or_b64 s[2:3], vcc, s[2:3]
	s_and_b64 exec, exec, s[2:3]
	s_cbranch_execz .LBB53_188
; %bb.183:
	v_cmp_ngt_f64_e64 s[2:3], |v[188:189]|, |v[190:191]|
                                        ; implicit-def: $vgpr192_vgpr193
	s_and_saveexec_b64 s[10:11], s[2:3]
	s_xor_b64 s[2:3], exec, s[10:11]
                                        ; implicit-def: $vgpr194_vgpr195
	s_cbranch_execz .LBB53_185
; %bb.184:
	v_div_scale_f64 v[192:193], s[10:11], v[190:191], v[190:191], v[188:189]
	v_rcp_f64_e32 v[194:195], v[192:193]
	v_div_scale_f64 v[196:197], vcc, v[188:189], v[190:191], v[188:189]
	v_fma_f64 v[198:199], -v[192:193], v[194:195], 1.0
	v_fmac_f64_e32 v[194:195], v[194:195], v[198:199]
	v_fma_f64 v[198:199], -v[192:193], v[194:195], 1.0
	v_fmac_f64_e32 v[194:195], v[194:195], v[198:199]
	v_mul_f64 v[198:199], v[196:197], v[194:195]
	v_fma_f64 v[192:193], -v[192:193], v[198:199], v[196:197]
	v_div_fmas_f64 v[192:193], v[192:193], v[194:195], v[198:199]
	v_div_fixup_f64 v[192:193], v[192:193], v[190:191], v[188:189]
	v_fmac_f64_e32 v[190:191], v[188:189], v[192:193]
	v_div_scale_f64 v[188:189], s[10:11], v[190:191], v[190:191], 1.0
	v_rcp_f64_e32 v[194:195], v[188:189]
	s_nop 0
	v_fma_f64 v[196:197], -v[188:189], v[194:195], 1.0
	v_fmac_f64_e32 v[194:195], v[194:195], v[196:197]
	v_fma_f64 v[196:197], -v[188:189], v[194:195], 1.0
	v_fmac_f64_e32 v[194:195], v[194:195], v[196:197]
	v_div_scale_f64 v[196:197], vcc, 1.0, v[190:191], 1.0
	v_mul_f64 v[198:199], v[196:197], v[194:195]
	v_fma_f64 v[188:189], -v[188:189], v[198:199], v[196:197]
	s_nop 1
	v_div_fmas_f64 v[188:189], v[188:189], v[194:195], v[198:199]
	v_div_fixup_f64 v[194:195], v[188:189], v[190:191], 1.0
	v_mul_f64 v[192:193], v[192:193], v[194:195]
	v_xor_b32_e32 v195, 0x80000000, v195
                                        ; implicit-def: $vgpr188_vgpr189
.LBB53_185:
	s_andn2_saveexec_b64 s[2:3], s[2:3]
	s_cbranch_execz .LBB53_187
; %bb.186:
	v_div_scale_f64 v[192:193], s[10:11], v[188:189], v[188:189], v[190:191]
	v_rcp_f64_e32 v[194:195], v[192:193]
	v_div_scale_f64 v[196:197], vcc, v[190:191], v[188:189], v[190:191]
	v_fma_f64 v[198:199], -v[192:193], v[194:195], 1.0
	v_fmac_f64_e32 v[194:195], v[194:195], v[198:199]
	v_fma_f64 v[198:199], -v[192:193], v[194:195], 1.0
	v_fmac_f64_e32 v[194:195], v[194:195], v[198:199]
	v_mul_f64 v[198:199], v[196:197], v[194:195]
	v_fma_f64 v[192:193], -v[192:193], v[198:199], v[196:197]
	v_div_fmas_f64 v[192:193], v[192:193], v[194:195], v[198:199]
	v_div_fixup_f64 v[194:195], v[192:193], v[188:189], v[190:191]
	v_fmac_f64_e32 v[188:189], v[190:191], v[194:195]
	v_div_scale_f64 v[190:191], s[10:11], v[188:189], v[188:189], 1.0
	v_rcp_f64_e32 v[192:193], v[190:191]
	s_nop 0
	v_fma_f64 v[196:197], -v[190:191], v[192:193], 1.0
	v_fmac_f64_e32 v[192:193], v[192:193], v[196:197]
	v_fma_f64 v[196:197], -v[190:191], v[192:193], 1.0
	v_fmac_f64_e32 v[192:193], v[192:193], v[196:197]
	v_div_scale_f64 v[196:197], vcc, 1.0, v[188:189], 1.0
	v_mul_f64 v[198:199], v[196:197], v[192:193]
	v_fma_f64 v[190:191], -v[190:191], v[198:199], v[196:197]
	s_nop 1
	v_div_fmas_f64 v[190:191], v[190:191], v[192:193], v[198:199]
	v_div_fixup_f64 v[192:193], v[190:191], v[188:189], 1.0
	v_mul_f64 v[194:195], v[194:195], -v[192:193]
.LBB53_187:
	s_or_b64 exec, exec, s[2:3]
	ds_write2_b64 v235, v[192:193], v[194:195] offset1:1
.LBB53_188:
	s_or_b64 exec, exec, s[4:5]
	s_waitcnt lgkmcnt(0)
	s_barrier
	ds_read2_b64 v[188:191], v235 offset1:1
	v_cmp_lt_u32_e32 vcc, 20, v234
	s_and_saveexec_b64 s[2:3], vcc
	s_cbranch_execz .LBB53_190
; %bb.189:
	ds_read2_b64 v[192:195], v236 offset0:42 offset1:43
	s_waitcnt vmcnt(15) lgkmcnt(1)
	v_mul_f64 v[196:197], v[188:189], v[22:23]
	v_fmac_f64_e32 v[196:197], v[190:191], v[20:21]
	v_mul_f64 v[22:23], v[190:191], v[22:23]
	v_fma_f64 v[20:21], v[188:189], v[20:21], -v[22:23]
	s_waitcnt lgkmcnt(0)
	v_mul_f64 v[22:23], v[194:195], v[196:197]
	v_fma_f64 v[22:23], v[192:193], v[20:21], -v[22:23]
	v_mul_f64 v[192:193], v[192:193], v[196:197]
	v_fmac_f64_e32 v[192:193], v[194:195], v[20:21]
	s_waitcnt vmcnt(14)
	v_add_f64 v[18:19], v[18:19], -v[192:193]
	ds_read2_b64 v[192:195], v236 offset0:44 offset1:45
	v_add_f64 v[16:17], v[16:17], -v[22:23]
	s_waitcnt lgkmcnt(0)
	v_mul_f64 v[22:23], v[194:195], v[196:197]
	v_fma_f64 v[22:23], v[192:193], v[20:21], -v[22:23]
	v_mul_f64 v[192:193], v[192:193], v[196:197]
	v_fmac_f64_e32 v[192:193], v[194:195], v[20:21]
	s_waitcnt vmcnt(5)
	v_add_f64 v[14:15], v[14:15], -v[192:193]
	ds_read2_b64 v[192:195], v236 offset0:46 offset1:47
	v_add_f64 v[12:13], v[12:13], -v[22:23]
	s_waitcnt lgkmcnt(0)
	v_mul_f64 v[22:23], v[194:195], v[196:197]
	v_fma_f64 v[22:23], v[192:193], v[20:21], -v[22:23]
	v_mul_f64 v[192:193], v[192:193], v[196:197]
	v_fmac_f64_e32 v[192:193], v[194:195], v[20:21]
	v_add_f64 v[10:11], v[10:11], -v[192:193]
	ds_read2_b64 v[192:195], v236 offset0:48 offset1:49
	v_add_f64 v[8:9], v[8:9], -v[22:23]
	s_waitcnt lgkmcnt(0)
	v_mul_f64 v[22:23], v[194:195], v[196:197]
	v_fma_f64 v[22:23], v[192:193], v[20:21], -v[22:23]
	v_mul_f64 v[192:193], v[192:193], v[196:197]
	v_fmac_f64_e32 v[192:193], v[194:195], v[20:21]
	s_waitcnt vmcnt(3)
	v_add_f64 v[6:7], v[6:7], -v[192:193]
	ds_read2_b64 v[192:195], v236 offset0:50 offset1:51
	v_add_f64 v[4:5], v[4:5], -v[22:23]
	s_waitcnt lgkmcnt(0)
	v_mul_f64 v[22:23], v[194:195], v[196:197]
	v_fma_f64 v[22:23], v[192:193], v[20:21], -v[22:23]
	v_mul_f64 v[192:193], v[192:193], v[196:197]
	v_fmac_f64_e32 v[192:193], v[194:195], v[20:21]
	v_add_f64 v[2:3], v[2:3], -v[192:193]
	ds_read2_b64 v[192:195], v236 offset0:52 offset1:53
	v_add_f64 v[0:1], v[0:1], -v[22:23]
	s_waitcnt lgkmcnt(0)
	v_mul_f64 v[22:23], v[194:195], v[196:197]
	v_fma_f64 v[22:23], v[192:193], v[20:21], -v[22:23]
	v_mul_f64 v[192:193], v[192:193], v[196:197]
	v_fmac_f64_e32 v[192:193], v[194:195], v[20:21]
	s_waitcnt vmcnt(2)
	v_add_f64 v[104:105], v[104:105], -v[22:23]
	v_add_f64 v[106:107], v[106:107], -v[192:193]
	v_mov_b64_e32 v[22:23], v[196:197]
.LBB53_190:
	s_or_b64 exec, exec, s[2:3]
	v_cmp_eq_u32_e32 vcc, 21, v234
	s_waitcnt lgkmcnt(0)
	s_barrier
	s_and_saveexec_b64 s[4:5], vcc
	s_cbranch_execz .LBB53_197
; %bb.191:
	s_waitcnt vmcnt(14)
	ds_write2_b64 v235, v[16:17], v[18:19] offset1:1
	s_waitcnt vmcnt(5)
	ds_write2_b64 v236, v[12:13], v[14:15] offset0:44 offset1:45
	ds_write2_b64 v236, v[8:9], v[10:11] offset0:46 offset1:47
	s_waitcnt vmcnt(3)
	ds_write2_b64 v236, v[4:5], v[6:7] offset0:48 offset1:49
	ds_write2_b64 v236, v[0:1], v[2:3] offset0:50 offset1:51
	s_waitcnt vmcnt(2)
	ds_write2_b64 v236, v[104:105], v[106:107] offset0:52 offset1:53
	ds_read2_b64 v[192:195], v235 offset1:1
	s_waitcnt lgkmcnt(0)
	v_cmp_neq_f64_e32 vcc, 0, v[192:193]
	v_cmp_neq_f64_e64 s[2:3], 0, v[194:195]
	s_or_b64 s[2:3], vcc, s[2:3]
	s_and_b64 exec, exec, s[2:3]
	s_cbranch_execz .LBB53_197
; %bb.192:
	v_cmp_ngt_f64_e64 s[2:3], |v[192:193]|, |v[194:195]|
                                        ; implicit-def: $vgpr196_vgpr197
	s_and_saveexec_b64 s[10:11], s[2:3]
	s_xor_b64 s[2:3], exec, s[10:11]
                                        ; implicit-def: $vgpr198_vgpr199
	s_cbranch_execz .LBB53_194
; %bb.193:
	v_div_scale_f64 v[196:197], s[10:11], v[194:195], v[194:195], v[192:193]
	v_rcp_f64_e32 v[198:199], v[196:197]
	v_div_scale_f64 v[200:201], vcc, v[192:193], v[194:195], v[192:193]
	v_fma_f64 v[202:203], -v[196:197], v[198:199], 1.0
	v_fmac_f64_e32 v[198:199], v[198:199], v[202:203]
	v_fma_f64 v[202:203], -v[196:197], v[198:199], 1.0
	v_fmac_f64_e32 v[198:199], v[198:199], v[202:203]
	v_mul_f64 v[202:203], v[200:201], v[198:199]
	v_fma_f64 v[196:197], -v[196:197], v[202:203], v[200:201]
	v_div_fmas_f64 v[196:197], v[196:197], v[198:199], v[202:203]
	v_div_fixup_f64 v[196:197], v[196:197], v[194:195], v[192:193]
	v_fmac_f64_e32 v[194:195], v[192:193], v[196:197]
	v_div_scale_f64 v[192:193], s[10:11], v[194:195], v[194:195], 1.0
	v_rcp_f64_e32 v[198:199], v[192:193]
	s_nop 0
	v_fma_f64 v[200:201], -v[192:193], v[198:199], 1.0
	v_fmac_f64_e32 v[198:199], v[198:199], v[200:201]
	v_fma_f64 v[200:201], -v[192:193], v[198:199], 1.0
	v_fmac_f64_e32 v[198:199], v[198:199], v[200:201]
	v_div_scale_f64 v[200:201], vcc, 1.0, v[194:195], 1.0
	v_mul_f64 v[202:203], v[200:201], v[198:199]
	v_fma_f64 v[192:193], -v[192:193], v[202:203], v[200:201]
	s_nop 1
	v_div_fmas_f64 v[192:193], v[192:193], v[198:199], v[202:203]
	v_div_fixup_f64 v[198:199], v[192:193], v[194:195], 1.0
	v_mul_f64 v[196:197], v[196:197], v[198:199]
	v_xor_b32_e32 v199, 0x80000000, v199
                                        ; implicit-def: $vgpr192_vgpr193
.LBB53_194:
	s_andn2_saveexec_b64 s[2:3], s[2:3]
	s_cbranch_execz .LBB53_196
; %bb.195:
	v_div_scale_f64 v[196:197], s[10:11], v[192:193], v[192:193], v[194:195]
	v_rcp_f64_e32 v[198:199], v[196:197]
	v_div_scale_f64 v[200:201], vcc, v[194:195], v[192:193], v[194:195]
	v_fma_f64 v[202:203], -v[196:197], v[198:199], 1.0
	v_fmac_f64_e32 v[198:199], v[198:199], v[202:203]
	v_fma_f64 v[202:203], -v[196:197], v[198:199], 1.0
	v_fmac_f64_e32 v[198:199], v[198:199], v[202:203]
	v_mul_f64 v[202:203], v[200:201], v[198:199]
	v_fma_f64 v[196:197], -v[196:197], v[202:203], v[200:201]
	v_div_fmas_f64 v[196:197], v[196:197], v[198:199], v[202:203]
	v_div_fixup_f64 v[198:199], v[196:197], v[192:193], v[194:195]
	v_fmac_f64_e32 v[192:193], v[194:195], v[198:199]
	v_div_scale_f64 v[194:195], s[10:11], v[192:193], v[192:193], 1.0
	v_rcp_f64_e32 v[196:197], v[194:195]
	s_nop 0
	v_fma_f64 v[200:201], -v[194:195], v[196:197], 1.0
	v_fmac_f64_e32 v[196:197], v[196:197], v[200:201]
	v_fma_f64 v[200:201], -v[194:195], v[196:197], 1.0
	v_fmac_f64_e32 v[196:197], v[196:197], v[200:201]
	v_div_scale_f64 v[200:201], vcc, 1.0, v[192:193], 1.0
	v_mul_f64 v[202:203], v[200:201], v[196:197]
	v_fma_f64 v[194:195], -v[194:195], v[202:203], v[200:201]
	s_nop 1
	v_div_fmas_f64 v[194:195], v[194:195], v[196:197], v[202:203]
	v_div_fixup_f64 v[196:197], v[194:195], v[192:193], 1.0
	v_mul_f64 v[198:199], v[198:199], -v[196:197]
.LBB53_196:
	s_or_b64 exec, exec, s[2:3]
	ds_write2_b64 v235, v[196:197], v[198:199] offset1:1
.LBB53_197:
	s_or_b64 exec, exec, s[4:5]
	s_waitcnt lgkmcnt(0)
	s_barrier
	ds_read2_b64 v[192:195], v235 offset1:1
	v_cmp_lt_u32_e32 vcc, 21, v234
	s_and_saveexec_b64 s[2:3], vcc
	s_cbranch_execz .LBB53_199
; %bb.198:
	ds_read2_b64 v[196:199], v236 offset0:44 offset1:45
	s_waitcnt vmcnt(14) lgkmcnt(1)
	v_mul_f64 v[200:201], v[192:193], v[18:19]
	v_fmac_f64_e32 v[200:201], v[194:195], v[16:17]
	v_mul_f64 v[18:19], v[194:195], v[18:19]
	v_fma_f64 v[16:17], v[192:193], v[16:17], -v[18:19]
	s_waitcnt lgkmcnt(0)
	v_mul_f64 v[18:19], v[198:199], v[200:201]
	v_fma_f64 v[18:19], v[196:197], v[16:17], -v[18:19]
	v_mul_f64 v[196:197], v[196:197], v[200:201]
	v_fmac_f64_e32 v[196:197], v[198:199], v[16:17]
	s_waitcnt vmcnt(5)
	v_add_f64 v[14:15], v[14:15], -v[196:197]
	ds_read2_b64 v[196:199], v236 offset0:46 offset1:47
	v_add_f64 v[12:13], v[12:13], -v[18:19]
	s_waitcnt lgkmcnt(0)
	v_mul_f64 v[18:19], v[198:199], v[200:201]
	v_fma_f64 v[18:19], v[196:197], v[16:17], -v[18:19]
	v_mul_f64 v[196:197], v[196:197], v[200:201]
	v_fmac_f64_e32 v[196:197], v[198:199], v[16:17]
	v_add_f64 v[10:11], v[10:11], -v[196:197]
	ds_read2_b64 v[196:199], v236 offset0:48 offset1:49
	v_add_f64 v[8:9], v[8:9], -v[18:19]
	s_waitcnt lgkmcnt(0)
	v_mul_f64 v[18:19], v[198:199], v[200:201]
	v_fma_f64 v[18:19], v[196:197], v[16:17], -v[18:19]
	v_mul_f64 v[196:197], v[196:197], v[200:201]
	v_fmac_f64_e32 v[196:197], v[198:199], v[16:17]
	s_waitcnt vmcnt(3)
	v_add_f64 v[6:7], v[6:7], -v[196:197]
	ds_read2_b64 v[196:199], v236 offset0:50 offset1:51
	v_add_f64 v[4:5], v[4:5], -v[18:19]
	s_waitcnt lgkmcnt(0)
	v_mul_f64 v[18:19], v[198:199], v[200:201]
	v_fma_f64 v[18:19], v[196:197], v[16:17], -v[18:19]
	v_mul_f64 v[196:197], v[196:197], v[200:201]
	v_fmac_f64_e32 v[196:197], v[198:199], v[16:17]
	v_add_f64 v[2:3], v[2:3], -v[196:197]
	ds_read2_b64 v[196:199], v236 offset0:52 offset1:53
	v_add_f64 v[0:1], v[0:1], -v[18:19]
	s_waitcnt lgkmcnt(0)
	v_mul_f64 v[18:19], v[198:199], v[200:201]
	v_fma_f64 v[18:19], v[196:197], v[16:17], -v[18:19]
	v_mul_f64 v[196:197], v[196:197], v[200:201]
	v_fmac_f64_e32 v[196:197], v[198:199], v[16:17]
	s_waitcnt vmcnt(2)
	v_add_f64 v[104:105], v[104:105], -v[18:19]
	v_add_f64 v[106:107], v[106:107], -v[196:197]
	v_mov_b64_e32 v[18:19], v[200:201]
.LBB53_199:
	s_or_b64 exec, exec, s[2:3]
	v_cmp_eq_u32_e32 vcc, 22, v234
	s_waitcnt lgkmcnt(0)
	s_barrier
	s_and_saveexec_b64 s[4:5], vcc
	s_cbranch_execz .LBB53_206
; %bb.200:
	s_waitcnt vmcnt(5)
	ds_write2_b64 v235, v[12:13], v[14:15] offset1:1
	ds_write2_b64 v236, v[8:9], v[10:11] offset0:46 offset1:47
	s_waitcnt vmcnt(3)
	ds_write2_b64 v236, v[4:5], v[6:7] offset0:48 offset1:49
	ds_write2_b64 v236, v[0:1], v[2:3] offset0:50 offset1:51
	s_waitcnt vmcnt(2)
	ds_write2_b64 v236, v[104:105], v[106:107] offset0:52 offset1:53
	ds_read2_b64 v[196:199], v235 offset1:1
	s_waitcnt lgkmcnt(0)
	v_cmp_neq_f64_e32 vcc, 0, v[196:197]
	v_cmp_neq_f64_e64 s[2:3], 0, v[198:199]
	s_or_b64 s[2:3], vcc, s[2:3]
	s_and_b64 exec, exec, s[2:3]
	s_cbranch_execz .LBB53_206
; %bb.201:
	v_cmp_ngt_f64_e64 s[2:3], |v[196:197]|, |v[198:199]|
                                        ; implicit-def: $vgpr200_vgpr201
	s_and_saveexec_b64 s[10:11], s[2:3]
	s_xor_b64 s[2:3], exec, s[10:11]
                                        ; implicit-def: $vgpr202_vgpr203
	s_cbranch_execz .LBB53_203
; %bb.202:
	v_div_scale_f64 v[200:201], s[10:11], v[198:199], v[198:199], v[196:197]
	v_rcp_f64_e32 v[202:203], v[200:201]
	v_div_scale_f64 v[204:205], vcc, v[196:197], v[198:199], v[196:197]
	v_fma_f64 v[206:207], -v[200:201], v[202:203], 1.0
	v_fmac_f64_e32 v[202:203], v[202:203], v[206:207]
	v_fma_f64 v[206:207], -v[200:201], v[202:203], 1.0
	v_fmac_f64_e32 v[202:203], v[202:203], v[206:207]
	v_mul_f64 v[206:207], v[204:205], v[202:203]
	v_fma_f64 v[200:201], -v[200:201], v[206:207], v[204:205]
	v_div_fmas_f64 v[200:201], v[200:201], v[202:203], v[206:207]
	v_div_fixup_f64 v[200:201], v[200:201], v[198:199], v[196:197]
	v_fmac_f64_e32 v[198:199], v[196:197], v[200:201]
	v_div_scale_f64 v[196:197], s[10:11], v[198:199], v[198:199], 1.0
	v_rcp_f64_e32 v[202:203], v[196:197]
	s_nop 0
	v_fma_f64 v[204:205], -v[196:197], v[202:203], 1.0
	v_fmac_f64_e32 v[202:203], v[202:203], v[204:205]
	v_fma_f64 v[204:205], -v[196:197], v[202:203], 1.0
	v_fmac_f64_e32 v[202:203], v[202:203], v[204:205]
	v_div_scale_f64 v[204:205], vcc, 1.0, v[198:199], 1.0
	v_mul_f64 v[206:207], v[204:205], v[202:203]
	v_fma_f64 v[196:197], -v[196:197], v[206:207], v[204:205]
	s_nop 1
	v_div_fmas_f64 v[196:197], v[196:197], v[202:203], v[206:207]
	v_div_fixup_f64 v[202:203], v[196:197], v[198:199], 1.0
	v_mul_f64 v[200:201], v[200:201], v[202:203]
	v_xor_b32_e32 v203, 0x80000000, v203
                                        ; implicit-def: $vgpr196_vgpr197
.LBB53_203:
	s_andn2_saveexec_b64 s[2:3], s[2:3]
	s_cbranch_execz .LBB53_205
; %bb.204:
	v_div_scale_f64 v[200:201], s[10:11], v[196:197], v[196:197], v[198:199]
	v_rcp_f64_e32 v[202:203], v[200:201]
	v_div_scale_f64 v[204:205], vcc, v[198:199], v[196:197], v[198:199]
	v_fma_f64 v[206:207], -v[200:201], v[202:203], 1.0
	v_fmac_f64_e32 v[202:203], v[202:203], v[206:207]
	v_fma_f64 v[206:207], -v[200:201], v[202:203], 1.0
	v_fmac_f64_e32 v[202:203], v[202:203], v[206:207]
	v_mul_f64 v[206:207], v[204:205], v[202:203]
	v_fma_f64 v[200:201], -v[200:201], v[206:207], v[204:205]
	v_div_fmas_f64 v[200:201], v[200:201], v[202:203], v[206:207]
	v_div_fixup_f64 v[202:203], v[200:201], v[196:197], v[198:199]
	v_fmac_f64_e32 v[196:197], v[198:199], v[202:203]
	v_div_scale_f64 v[198:199], s[10:11], v[196:197], v[196:197], 1.0
	v_rcp_f64_e32 v[200:201], v[198:199]
	s_nop 0
	v_fma_f64 v[204:205], -v[198:199], v[200:201], 1.0
	v_fmac_f64_e32 v[200:201], v[200:201], v[204:205]
	v_fma_f64 v[204:205], -v[198:199], v[200:201], 1.0
	v_fmac_f64_e32 v[200:201], v[200:201], v[204:205]
	v_div_scale_f64 v[204:205], vcc, 1.0, v[196:197], 1.0
	v_mul_f64 v[206:207], v[204:205], v[200:201]
	v_fma_f64 v[198:199], -v[198:199], v[206:207], v[204:205]
	s_nop 1
	v_div_fmas_f64 v[198:199], v[198:199], v[200:201], v[206:207]
	v_div_fixup_f64 v[200:201], v[198:199], v[196:197], 1.0
	v_mul_f64 v[202:203], v[202:203], -v[200:201]
.LBB53_205:
	s_or_b64 exec, exec, s[2:3]
	ds_write2_b64 v235, v[200:201], v[202:203] offset1:1
.LBB53_206:
	s_or_b64 exec, exec, s[4:5]
	s_waitcnt lgkmcnt(0)
	s_barrier
	ds_read2_b64 v[244:247], v235 offset1:1
	v_cmp_lt_u32_e32 vcc, 22, v234
	s_and_saveexec_b64 s[2:3], vcc
	s_cbranch_execz .LBB53_208
; %bb.207:
	ds_read2_b64 v[200:203], v236 offset0:46 offset1:47
	s_waitcnt vmcnt(5) lgkmcnt(1)
	v_mul_f64 v[204:205], v[244:245], v[14:15]
	v_fmac_f64_e32 v[204:205], v[246:247], v[12:13]
	v_mul_f64 v[14:15], v[246:247], v[14:15]
	v_fma_f64 v[12:13], v[244:245], v[12:13], -v[14:15]
	s_waitcnt lgkmcnt(0)
	v_mul_f64 v[14:15], v[202:203], v[204:205]
	v_fma_f64 v[14:15], v[200:201], v[12:13], -v[14:15]
	v_mul_f64 v[200:201], v[200:201], v[204:205]
	v_fmac_f64_e32 v[200:201], v[202:203], v[12:13]
	v_add_f64 v[10:11], v[10:11], -v[200:201]
	ds_read2_b64 v[200:203], v236 offset0:48 offset1:49
	v_add_f64 v[8:9], v[8:9], -v[14:15]
	s_waitcnt lgkmcnt(0)
	v_mul_f64 v[14:15], v[202:203], v[204:205]
	v_fma_f64 v[14:15], v[200:201], v[12:13], -v[14:15]
	v_mul_f64 v[200:201], v[200:201], v[204:205]
	v_fmac_f64_e32 v[200:201], v[202:203], v[12:13]
	s_waitcnt vmcnt(3)
	v_add_f64 v[6:7], v[6:7], -v[200:201]
	ds_read2_b64 v[200:203], v236 offset0:50 offset1:51
	v_add_f64 v[4:5], v[4:5], -v[14:15]
	s_waitcnt lgkmcnt(0)
	v_mul_f64 v[14:15], v[202:203], v[204:205]
	v_fma_f64 v[14:15], v[200:201], v[12:13], -v[14:15]
	v_mul_f64 v[200:201], v[200:201], v[204:205]
	v_fmac_f64_e32 v[200:201], v[202:203], v[12:13]
	v_add_f64 v[2:3], v[2:3], -v[200:201]
	ds_read2_b64 v[200:203], v236 offset0:52 offset1:53
	v_add_f64 v[0:1], v[0:1], -v[14:15]
	s_waitcnt lgkmcnt(0)
	v_mul_f64 v[14:15], v[202:203], v[204:205]
	v_fma_f64 v[14:15], v[200:201], v[12:13], -v[14:15]
	v_mul_f64 v[200:201], v[200:201], v[204:205]
	v_fmac_f64_e32 v[200:201], v[202:203], v[12:13]
	s_waitcnt vmcnt(2)
	v_add_f64 v[104:105], v[104:105], -v[14:15]
	v_add_f64 v[106:107], v[106:107], -v[200:201]
	v_mov_b64_e32 v[14:15], v[204:205]
.LBB53_208:
	s_or_b64 exec, exec, s[2:3]
	v_cmp_eq_u32_e32 vcc, 23, v234
	s_waitcnt lgkmcnt(0)
	s_barrier
	s_and_saveexec_b64 s[4:5], vcc
	s_cbranch_execz .LBB53_215
; %bb.209:
	s_waitcnt vmcnt(6)
	ds_write2_b64 v235, v[8:9], v[10:11] offset1:1
	s_waitcnt vmcnt(3)
	ds_write2_b64 v236, v[4:5], v[6:7] offset0:48 offset1:49
	ds_write2_b64 v236, v[0:1], v[2:3] offset0:50 offset1:51
	s_waitcnt vmcnt(2)
	ds_write2_b64 v236, v[104:105], v[106:107] offset0:52 offset1:53
	ds_read2_b64 v[200:203], v235 offset1:1
	s_waitcnt lgkmcnt(0)
	v_cmp_neq_f64_e32 vcc, 0, v[200:201]
	v_cmp_neq_f64_e64 s[2:3], 0, v[202:203]
	s_or_b64 s[2:3], vcc, s[2:3]
	s_and_b64 exec, exec, s[2:3]
	s_cbranch_execz .LBB53_215
; %bb.210:
	v_cmp_ngt_f64_e64 s[2:3], |v[200:201]|, |v[202:203]|
                                        ; implicit-def: $vgpr204_vgpr205
	s_and_saveexec_b64 s[10:11], s[2:3]
	s_xor_b64 s[2:3], exec, s[10:11]
                                        ; implicit-def: $vgpr206_vgpr207
	s_cbranch_execz .LBB53_212
; %bb.211:
	v_div_scale_f64 v[204:205], s[10:11], v[202:203], v[202:203], v[200:201]
	v_rcp_f64_e32 v[206:207], v[204:205]
	v_div_scale_f64 v[208:209], vcc, v[200:201], v[202:203], v[200:201]
	v_fma_f64 v[210:211], -v[204:205], v[206:207], 1.0
	v_fmac_f64_e32 v[206:207], v[206:207], v[210:211]
	v_fma_f64 v[210:211], -v[204:205], v[206:207], 1.0
	v_fmac_f64_e32 v[206:207], v[206:207], v[210:211]
	v_mul_f64 v[210:211], v[208:209], v[206:207]
	v_fma_f64 v[204:205], -v[204:205], v[210:211], v[208:209]
	v_div_fmas_f64 v[204:205], v[204:205], v[206:207], v[210:211]
	v_div_fixup_f64 v[204:205], v[204:205], v[202:203], v[200:201]
	v_fmac_f64_e32 v[202:203], v[200:201], v[204:205]
	v_div_scale_f64 v[200:201], s[10:11], v[202:203], v[202:203], 1.0
	v_rcp_f64_e32 v[206:207], v[200:201]
	s_nop 0
	v_fma_f64 v[208:209], -v[200:201], v[206:207], 1.0
	v_fmac_f64_e32 v[206:207], v[206:207], v[208:209]
	v_fma_f64 v[208:209], -v[200:201], v[206:207], 1.0
	v_fmac_f64_e32 v[206:207], v[206:207], v[208:209]
	v_div_scale_f64 v[208:209], vcc, 1.0, v[202:203], 1.0
	v_mul_f64 v[210:211], v[208:209], v[206:207]
	v_fma_f64 v[200:201], -v[200:201], v[210:211], v[208:209]
	s_nop 1
	v_div_fmas_f64 v[200:201], v[200:201], v[206:207], v[210:211]
	v_div_fixup_f64 v[206:207], v[200:201], v[202:203], 1.0
	v_mul_f64 v[204:205], v[204:205], v[206:207]
	v_xor_b32_e32 v207, 0x80000000, v207
                                        ; implicit-def: $vgpr200_vgpr201
.LBB53_212:
	s_andn2_saveexec_b64 s[2:3], s[2:3]
	s_cbranch_execz .LBB53_214
; %bb.213:
	v_div_scale_f64 v[204:205], s[10:11], v[200:201], v[200:201], v[202:203]
	v_rcp_f64_e32 v[206:207], v[204:205]
	v_div_scale_f64 v[208:209], vcc, v[202:203], v[200:201], v[202:203]
	v_fma_f64 v[210:211], -v[204:205], v[206:207], 1.0
	v_fmac_f64_e32 v[206:207], v[206:207], v[210:211]
	v_fma_f64 v[210:211], -v[204:205], v[206:207], 1.0
	v_fmac_f64_e32 v[206:207], v[206:207], v[210:211]
	v_mul_f64 v[210:211], v[208:209], v[206:207]
	v_fma_f64 v[204:205], -v[204:205], v[210:211], v[208:209]
	v_div_fmas_f64 v[204:205], v[204:205], v[206:207], v[210:211]
	v_div_fixup_f64 v[206:207], v[204:205], v[200:201], v[202:203]
	v_fmac_f64_e32 v[200:201], v[202:203], v[206:207]
	v_div_scale_f64 v[202:203], s[10:11], v[200:201], v[200:201], 1.0
	v_rcp_f64_e32 v[204:205], v[202:203]
	s_nop 0
	v_fma_f64 v[208:209], -v[202:203], v[204:205], 1.0
	v_fmac_f64_e32 v[204:205], v[204:205], v[208:209]
	v_fma_f64 v[208:209], -v[202:203], v[204:205], 1.0
	v_fmac_f64_e32 v[204:205], v[204:205], v[208:209]
	v_div_scale_f64 v[208:209], vcc, 1.0, v[200:201], 1.0
	v_mul_f64 v[210:211], v[208:209], v[204:205]
	v_fma_f64 v[202:203], -v[202:203], v[210:211], v[208:209]
	s_nop 1
	v_div_fmas_f64 v[202:203], v[202:203], v[204:205], v[210:211]
	v_div_fixup_f64 v[204:205], v[202:203], v[200:201], 1.0
	v_mul_f64 v[206:207], v[206:207], -v[204:205]
.LBB53_214:
	s_or_b64 exec, exec, s[2:3]
	ds_write2_b64 v235, v[204:205], v[206:207] offset1:1
.LBB53_215:
	s_or_b64 exec, exec, s[4:5]
	s_waitcnt lgkmcnt(0)
	s_barrier
	ds_read2_b64 v[200:203], v235 offset1:1
	v_cmp_lt_u32_e32 vcc, 23, v234
	s_and_saveexec_b64 s[2:3], vcc
	s_cbranch_execz .LBB53_217
; %bb.216:
	ds_read2_b64 v[204:207], v236 offset0:48 offset1:49
	s_waitcnt vmcnt(6) lgkmcnt(1)
	v_mul_f64 v[208:209], v[200:201], v[10:11]
	v_fmac_f64_e32 v[208:209], v[202:203], v[8:9]
	v_mul_f64 v[10:11], v[202:203], v[10:11]
	v_fma_f64 v[8:9], v[200:201], v[8:9], -v[10:11]
	s_waitcnt lgkmcnt(0)
	v_mul_f64 v[10:11], v[206:207], v[208:209]
	v_fma_f64 v[10:11], v[204:205], v[8:9], -v[10:11]
	v_mul_f64 v[204:205], v[204:205], v[208:209]
	v_fmac_f64_e32 v[204:205], v[206:207], v[8:9]
	s_waitcnt vmcnt(3)
	v_add_f64 v[6:7], v[6:7], -v[204:205]
	ds_read2_b64 v[204:207], v236 offset0:50 offset1:51
	v_add_f64 v[4:5], v[4:5], -v[10:11]
	s_waitcnt lgkmcnt(0)
	v_mul_f64 v[10:11], v[206:207], v[208:209]
	v_fma_f64 v[10:11], v[204:205], v[8:9], -v[10:11]
	v_mul_f64 v[204:205], v[204:205], v[208:209]
	v_fmac_f64_e32 v[204:205], v[206:207], v[8:9]
	v_add_f64 v[2:3], v[2:3], -v[204:205]
	ds_read2_b64 v[204:207], v236 offset0:52 offset1:53
	v_add_f64 v[0:1], v[0:1], -v[10:11]
	s_waitcnt lgkmcnt(0)
	v_mul_f64 v[10:11], v[206:207], v[208:209]
	v_fma_f64 v[10:11], v[204:205], v[8:9], -v[10:11]
	v_mul_f64 v[204:205], v[204:205], v[208:209]
	v_fmac_f64_e32 v[204:205], v[206:207], v[8:9]
	s_waitcnt vmcnt(2)
	v_add_f64 v[104:105], v[104:105], -v[10:11]
	v_add_f64 v[106:107], v[106:107], -v[204:205]
	v_mov_b64_e32 v[10:11], v[208:209]
.LBB53_217:
	s_or_b64 exec, exec, s[2:3]
	v_cmp_eq_u32_e32 vcc, 24, v234
	s_waitcnt lgkmcnt(0)
	s_barrier
	s_and_saveexec_b64 s[4:5], vcc
	s_cbranch_execz .LBB53_224
; %bb.218:
	s_waitcnt vmcnt(3)
	ds_write2_b64 v235, v[4:5], v[6:7] offset1:1
	ds_write2_b64 v236, v[0:1], v[2:3] offset0:50 offset1:51
	s_waitcnt vmcnt(2)
	ds_write2_b64 v236, v[104:105], v[106:107] offset0:52 offset1:53
	ds_read2_b64 v[204:207], v235 offset1:1
	s_waitcnt lgkmcnt(0)
	v_cmp_neq_f64_e32 vcc, 0, v[204:205]
	v_cmp_neq_f64_e64 s[2:3], 0, v[206:207]
	s_or_b64 s[2:3], vcc, s[2:3]
	s_and_b64 exec, exec, s[2:3]
	s_cbranch_execz .LBB53_224
; %bb.219:
	v_cmp_ngt_f64_e64 s[2:3], |v[204:205]|, |v[206:207]|
                                        ; implicit-def: $vgpr208_vgpr209
	s_and_saveexec_b64 s[10:11], s[2:3]
	s_xor_b64 s[2:3], exec, s[10:11]
                                        ; implicit-def: $vgpr210_vgpr211
	s_cbranch_execz .LBB53_221
; %bb.220:
	v_div_scale_f64 v[208:209], s[10:11], v[206:207], v[206:207], v[204:205]
	v_rcp_f64_e32 v[210:211], v[208:209]
	v_div_scale_f64 v[212:213], vcc, v[204:205], v[206:207], v[204:205]
	v_fma_f64 v[214:215], -v[208:209], v[210:211], 1.0
	v_fmac_f64_e32 v[210:211], v[210:211], v[214:215]
	v_fma_f64 v[214:215], -v[208:209], v[210:211], 1.0
	v_fmac_f64_e32 v[210:211], v[210:211], v[214:215]
	v_mul_f64 v[214:215], v[212:213], v[210:211]
	v_fma_f64 v[208:209], -v[208:209], v[214:215], v[212:213]
	v_div_fmas_f64 v[208:209], v[208:209], v[210:211], v[214:215]
	v_div_fixup_f64 v[208:209], v[208:209], v[206:207], v[204:205]
	v_fmac_f64_e32 v[206:207], v[204:205], v[208:209]
	v_div_scale_f64 v[204:205], s[10:11], v[206:207], v[206:207], 1.0
	v_rcp_f64_e32 v[210:211], v[204:205]
	s_nop 0
	v_fma_f64 v[212:213], -v[204:205], v[210:211], 1.0
	v_fmac_f64_e32 v[210:211], v[210:211], v[212:213]
	v_fma_f64 v[212:213], -v[204:205], v[210:211], 1.0
	v_fmac_f64_e32 v[210:211], v[210:211], v[212:213]
	v_div_scale_f64 v[212:213], vcc, 1.0, v[206:207], 1.0
	v_mul_f64 v[214:215], v[212:213], v[210:211]
	v_fma_f64 v[204:205], -v[204:205], v[214:215], v[212:213]
	s_nop 1
	v_div_fmas_f64 v[204:205], v[204:205], v[210:211], v[214:215]
	v_div_fixup_f64 v[210:211], v[204:205], v[206:207], 1.0
	v_mul_f64 v[208:209], v[208:209], v[210:211]
	v_xor_b32_e32 v211, 0x80000000, v211
                                        ; implicit-def: $vgpr204_vgpr205
.LBB53_221:
	s_andn2_saveexec_b64 s[2:3], s[2:3]
	s_cbranch_execz .LBB53_223
; %bb.222:
	v_div_scale_f64 v[208:209], s[10:11], v[204:205], v[204:205], v[206:207]
	v_rcp_f64_e32 v[210:211], v[208:209]
	v_div_scale_f64 v[212:213], vcc, v[206:207], v[204:205], v[206:207]
	v_fma_f64 v[214:215], -v[208:209], v[210:211], 1.0
	v_fmac_f64_e32 v[210:211], v[210:211], v[214:215]
	v_fma_f64 v[214:215], -v[208:209], v[210:211], 1.0
	v_fmac_f64_e32 v[210:211], v[210:211], v[214:215]
	v_mul_f64 v[214:215], v[212:213], v[210:211]
	v_fma_f64 v[208:209], -v[208:209], v[214:215], v[212:213]
	v_div_fmas_f64 v[208:209], v[208:209], v[210:211], v[214:215]
	v_div_fixup_f64 v[210:211], v[208:209], v[204:205], v[206:207]
	v_fmac_f64_e32 v[204:205], v[206:207], v[210:211]
	v_div_scale_f64 v[206:207], s[10:11], v[204:205], v[204:205], 1.0
	v_rcp_f64_e32 v[208:209], v[206:207]
	s_nop 0
	v_fma_f64 v[212:213], -v[206:207], v[208:209], 1.0
	v_fmac_f64_e32 v[208:209], v[208:209], v[212:213]
	v_fma_f64 v[212:213], -v[206:207], v[208:209], 1.0
	v_fmac_f64_e32 v[208:209], v[208:209], v[212:213]
	v_div_scale_f64 v[212:213], vcc, 1.0, v[204:205], 1.0
	v_mul_f64 v[214:215], v[212:213], v[208:209]
	v_fma_f64 v[206:207], -v[206:207], v[214:215], v[212:213]
	s_nop 1
	v_div_fmas_f64 v[206:207], v[206:207], v[208:209], v[214:215]
	v_div_fixup_f64 v[208:209], v[206:207], v[204:205], 1.0
	v_mul_f64 v[210:211], v[210:211], -v[208:209]
.LBB53_223:
	s_or_b64 exec, exec, s[2:3]
	ds_write2_b64 v235, v[208:209], v[210:211] offset1:1
.LBB53_224:
	s_or_b64 exec, exec, s[4:5]
	s_waitcnt lgkmcnt(0)
	s_barrier
	ds_read2_b64 v[204:207], v235 offset1:1
	v_cmp_lt_u32_e32 vcc, 24, v234
	s_and_saveexec_b64 s[2:3], vcc
	s_cbranch_execz .LBB53_226
; %bb.225:
	ds_read2_b64 v[208:211], v236 offset0:50 offset1:51
	s_waitcnt vmcnt(3) lgkmcnt(1)
	v_mul_f64 v[212:213], v[204:205], v[6:7]
	v_fmac_f64_e32 v[212:213], v[206:207], v[4:5]
	v_mul_f64 v[6:7], v[206:207], v[6:7]
	v_fma_f64 v[4:5], v[204:205], v[4:5], -v[6:7]
	s_waitcnt lgkmcnt(0)
	v_mul_f64 v[6:7], v[210:211], v[212:213]
	v_fma_f64 v[6:7], v[208:209], v[4:5], -v[6:7]
	v_mul_f64 v[208:209], v[208:209], v[212:213]
	v_fmac_f64_e32 v[208:209], v[210:211], v[4:5]
	v_add_f64 v[2:3], v[2:3], -v[208:209]
	ds_read2_b64 v[208:211], v236 offset0:52 offset1:53
	v_add_f64 v[0:1], v[0:1], -v[6:7]
	s_waitcnt lgkmcnt(0)
	v_mul_f64 v[6:7], v[210:211], v[212:213]
	v_fma_f64 v[6:7], v[208:209], v[4:5], -v[6:7]
	v_mul_f64 v[208:209], v[208:209], v[212:213]
	v_fmac_f64_e32 v[208:209], v[210:211], v[4:5]
	s_waitcnt vmcnt(2)
	v_add_f64 v[104:105], v[104:105], -v[6:7]
	v_add_f64 v[106:107], v[106:107], -v[208:209]
	v_mov_b64_e32 v[6:7], v[212:213]
.LBB53_226:
	s_or_b64 exec, exec, s[2:3]
	v_cmp_eq_u32_e32 vcc, 25, v234
	s_waitcnt lgkmcnt(0)
	s_barrier
	s_and_saveexec_b64 s[4:5], vcc
	s_cbranch_execz .LBB53_233
; %bb.227:
	s_waitcnt vmcnt(13)
	ds_write2_b64 v235, v[0:1], v[2:3] offset1:1
	s_waitcnt vmcnt(2)
	ds_write2_b64 v236, v[104:105], v[106:107] offset0:52 offset1:53
	ds_read2_b64 v[208:211], v235 offset1:1
	s_waitcnt lgkmcnt(0)
	v_cmp_neq_f64_e32 vcc, 0, v[208:209]
	v_cmp_neq_f64_e64 s[2:3], 0, v[210:211]
	s_or_b64 s[2:3], vcc, s[2:3]
	s_and_b64 exec, exec, s[2:3]
	s_cbranch_execz .LBB53_233
; %bb.228:
	v_cmp_ngt_f64_e64 s[2:3], |v[208:209]|, |v[210:211]|
                                        ; implicit-def: $vgpr212_vgpr213
	s_and_saveexec_b64 s[10:11], s[2:3]
	s_xor_b64 s[2:3], exec, s[10:11]
                                        ; implicit-def: $vgpr214_vgpr215
	s_cbranch_execz .LBB53_230
; %bb.229:
	v_mov_b64_e32 v[198:199], v[66:67]
	v_mov_b64_e32 v[196:197], v[64:65]
	;; [unrolled: 1-line block ×53, first 2 shown]
	v_div_scale_f64 v[212:213], s[10:11], v[210:211], v[210:211], v[208:209]
	v_mov_b64_e32 v[132:133], v[128:129]
	v_mov_b64_e32 v[130:131], v[126:127]
	v_rcp_f64_e32 v[214:215], v[212:213]
	v_mov_b64_e32 v[128:129], v[124:125]
	v_mov_b64_e32 v[126:127], v[122:123]
	;; [unrolled: 1-line block ×10, first 2 shown]
	v_fma_f64 v[242:243], -v[212:213], v[214:215], 1.0
	v_fmac_f64_e32 v[214:215], v[214:215], v[242:243]
	v_fma_f64 v[242:243], -v[212:213], v[214:215], 1.0
	v_mov_b64_e32 v[108:109], v[240:241]
	v_div_scale_f64 v[240:241], vcc, v[208:209], v[210:211], v[208:209]
	v_fmac_f64_e32 v[214:215], v[214:215], v[242:243]
	v_mul_f64 v[242:243], v[240:241], v[214:215]
	v_fma_f64 v[212:213], -v[212:213], v[242:243], v[240:241]
	s_nop 0
	v_div_fmas_f64 v[212:213], v[212:213], v[214:215], v[242:243]
	v_div_fixup_f64 v[212:213], v[212:213], v[210:211], v[208:209]
	v_fmac_f64_e32 v[210:211], v[208:209], v[212:213]
	v_div_scale_f64 v[208:209], s[10:11], v[210:211], v[210:211], 1.0
	v_rcp_f64_e32 v[214:215], v[208:209]
	s_nop 0
	v_fma_f64 v[240:241], -v[208:209], v[214:215], 1.0
	v_fmac_f64_e32 v[214:215], v[214:215], v[240:241]
	v_fma_f64 v[240:241], -v[208:209], v[214:215], 1.0
	v_fmac_f64_e32 v[214:215], v[214:215], v[240:241]
	v_div_scale_f64 v[240:241], vcc, 1.0, v[210:211], 1.0
	v_mul_f64 v[242:243], v[240:241], v[214:215]
	v_fma_f64 v[208:209], -v[208:209], v[242:243], v[240:241]
	v_mov_b64_e32 v[240:241], v[108:109]
	s_nop 0
	v_div_fmas_f64 v[208:209], v[208:209], v[214:215], v[242:243]
	v_mov_b64_e32 v[242:243], v[110:111]
	v_mov_b64_e32 v[108:109], v[112:113]
	;; [unrolled: 1-line block ×64, first 2 shown]
	v_div_fixup_f64 v[214:215], v[208:209], v[210:211], 1.0
	v_mov_b64_e32 v[66:67], v[198:199]
	v_mul_f64 v[212:213], v[212:213], v[214:215]
	v_xor_b32_e32 v215, 0x80000000, v215
                                        ; implicit-def: $vgpr208_vgpr209
.LBB53_230:
	s_andn2_saveexec_b64 s[2:3], s[2:3]
	s_cbranch_execz .LBB53_232
; %bb.231:
	v_mov_b64_e32 v[198:199], v[66:67]
	v_mov_b64_e32 v[196:197], v[64:65]
	;; [unrolled: 1-line block ×53, first 2 shown]
	v_div_scale_f64 v[212:213], s[10:11], v[208:209], v[208:209], v[210:211]
	v_mov_b64_e32 v[132:133], v[128:129]
	v_mov_b64_e32 v[130:131], v[126:127]
	v_rcp_f64_e32 v[214:215], v[212:213]
	v_mov_b64_e32 v[128:129], v[124:125]
	v_mov_b64_e32 v[126:127], v[122:123]
	;; [unrolled: 1-line block ×10, first 2 shown]
	v_fma_f64 v[242:243], -v[212:213], v[214:215], 1.0
	v_fmac_f64_e32 v[214:215], v[214:215], v[242:243]
	v_fma_f64 v[242:243], -v[212:213], v[214:215], 1.0
	v_mov_b64_e32 v[108:109], v[240:241]
	v_div_scale_f64 v[240:241], vcc, v[210:211], v[208:209], v[210:211]
	v_fmac_f64_e32 v[214:215], v[214:215], v[242:243]
	v_mul_f64 v[242:243], v[240:241], v[214:215]
	v_fma_f64 v[212:213], -v[212:213], v[242:243], v[240:241]
	s_nop 0
	v_div_fmas_f64 v[212:213], v[212:213], v[214:215], v[242:243]
	v_div_fixup_f64 v[214:215], v[212:213], v[208:209], v[210:211]
	v_fmac_f64_e32 v[208:209], v[210:211], v[214:215]
	v_div_scale_f64 v[210:211], s[10:11], v[208:209], v[208:209], 1.0
	v_rcp_f64_e32 v[212:213], v[210:211]
	s_nop 0
	v_fma_f64 v[240:241], -v[210:211], v[212:213], 1.0
	v_fmac_f64_e32 v[212:213], v[212:213], v[240:241]
	v_fma_f64 v[240:241], -v[210:211], v[212:213], 1.0
	v_fmac_f64_e32 v[212:213], v[212:213], v[240:241]
	v_div_scale_f64 v[240:241], vcc, 1.0, v[208:209], 1.0
	v_mul_f64 v[242:243], v[240:241], v[212:213]
	v_fma_f64 v[210:211], -v[210:211], v[242:243], v[240:241]
	v_mov_b64_e32 v[240:241], v[108:109]
	s_nop 0
	v_div_fmas_f64 v[210:211], v[210:211], v[212:213], v[242:243]
	v_mov_b64_e32 v[242:243], v[110:111]
	v_mov_b64_e32 v[108:109], v[112:113]
	;; [unrolled: 1-line block ×64, first 2 shown]
	v_div_fixup_f64 v[212:213], v[210:211], v[208:209], 1.0
	v_mov_b64_e32 v[66:67], v[198:199]
	v_mul_f64 v[214:215], v[214:215], -v[212:213]
.LBB53_232:
	s_or_b64 exec, exec, s[2:3]
	ds_write2_b64 v235, v[212:213], v[214:215] offset1:1
.LBB53_233:
	s_or_b64 exec, exec, s[4:5]
	s_waitcnt lgkmcnt(0)
	s_barrier
	ds_read2_b64 v[208:211], v235 offset1:1
	v_cmp_lt_u32_e32 vcc, 25, v234
	s_and_saveexec_b64 s[2:3], vcc
	s_cbranch_execz .LBB53_235
; %bb.234:
	ds_read2_b64 v[212:215], v236 offset0:52 offset1:53
	s_waitcnt vmcnt(13) lgkmcnt(1)
	v_mul_f64 v[236:237], v[208:209], v[2:3]
	v_mul_f64 v[2:3], v[210:211], v[2:3]
	v_fmac_f64_e32 v[236:237], v[210:211], v[0:1]
	v_fma_f64 v[0:1], v[208:209], v[0:1], -v[2:3]
	s_waitcnt lgkmcnt(0)
	v_mul_f64 v[2:3], v[214:215], v[236:237]
	v_fma_f64 v[2:3], v[212:213], v[0:1], -v[2:3]
	v_mul_f64 v[212:213], v[212:213], v[236:237]
	v_fmac_f64_e32 v[212:213], v[214:215], v[0:1]
	s_waitcnt vmcnt(2)
	v_add_f64 v[104:105], v[104:105], -v[2:3]
	v_add_f64 v[106:107], v[106:107], -v[212:213]
	v_mov_b64_e32 v[2:3], v[236:237]
.LBB53_235:
	s_or_b64 exec, exec, s[2:3]
	v_cmp_eq_u32_e32 vcc, 26, v234
	s_waitcnt lgkmcnt(0)
	s_barrier
	s_and_saveexec_b64 s[4:5], vcc
	s_cbranch_execz .LBB53_242
; %bb.236:
	s_waitcnt vmcnt(2)
	v_cmp_neq_f64_e32 vcc, 0, v[104:105]
	v_cmp_neq_f64_e64 s[2:3], 0, v[106:107]
	s_or_b64 s[2:3], vcc, s[2:3]
	ds_write2_b64 v235, v[104:105], v[106:107] offset1:1
	s_and_b64 exec, exec, s[2:3]
	s_cbranch_execz .LBB53_242
; %bb.237:
	v_cmp_ngt_f64_e64 s[2:3], |v[104:105]|, |v[106:107]|
                                        ; implicit-def: $vgpr212_vgpr213
	s_mov_b64 s[10:11], exec
	s_and_b64 s[12:13], s[10:11], s[2:3]
	s_xor_b64 s[2:3], s[12:13], s[10:11]
                                        ; implicit-def: $vgpr214_vgpr215
	scratch_store_dwordx4 off, v[64:67], off offset:96 ; 16-byte Folded Spill
	scratch_store_dwordx4 off, v[68:71], off offset:112 ; 16-byte Folded Spill
	s_mov_b64 exec, s[12:13]
	s_cbranch_execz .LBB53_239
; %bb.238:
	v_mov_b64_e32 v[68:69], v[192:193]
	v_mov_b64_e32 v[70:71], v[194:195]
	;; [unrolled: 1-line block ×49, first 2 shown]
	v_div_scale_f64 v[212:213], s[10:11], v[106:107], v[106:107], v[104:105]
	v_mov_b64_e32 v[134:135], v[128:129]
	v_mov_b64_e32 v[132:133], v[126:127]
	v_rcp_f64_e32 v[214:215], v[212:213]
	v_mov_b64_e32 v[130:131], v[124:125]
	v_mov_b64_e32 v[128:129], v[122:123]
	;; [unrolled: 1-line block ×10, first 2 shown]
	v_fma_f64 v[240:241], -v[212:213], v[214:215], 1.0
	v_fmac_f64_e32 v[214:215], v[214:215], v[240:241]
	v_fma_f64 v[240:241], -v[212:213], v[214:215], 1.0
	v_div_scale_f64 v[236:237], vcc, v[104:105], v[106:107], v[104:105]
	v_fmac_f64_e32 v[214:215], v[214:215], v[240:241]
	v_mul_f64 v[240:241], v[236:237], v[214:215]
	v_fma_f64 v[212:213], -v[212:213], v[240:241], v[236:237]
	s_nop 0
	v_div_fmas_f64 v[212:213], v[212:213], v[214:215], v[240:241]
	v_div_fixup_f64 v[212:213], v[212:213], v[106:107], v[104:105]
	v_fma_f64 v[214:215], v[104:105], v[212:213], v[106:107]
	v_div_scale_f64 v[236:237], s[10:11], v[214:215], v[214:215], 1.0
	v_rcp_f64_e32 v[240:241], v[236:237]
	v_mov_b64_e32 v[112:113], v[242:243]
	v_mov_b64_e32 v[64:65], v[244:245]
	;; [unrolled: 1-line block ×3, first 2 shown]
	v_fma_f64 v[242:243], -v[236:237], v[240:241], 1.0
	v_fmac_f64_e32 v[240:241], v[240:241], v[242:243]
	v_fma_f64 v[242:243], -v[236:237], v[240:241], 1.0
	v_fmac_f64_e32 v[240:241], v[240:241], v[242:243]
	v_div_scale_f64 v[242:243], vcc, 1.0, v[214:215], 1.0
	v_mul_f64 v[244:245], v[242:243], v[240:241]
	v_mov_b64_e32 v[108:109], v[216:217]
	v_mov_b64_e32 v[216:217], v[232:233]
	v_mov_b64_e32 v[232:233], v[230:231]
	v_mov_b64_e32 v[230:231], v[228:229]
	v_mov_b64_e32 v[228:229], v[226:227]
	v_mov_b64_e32 v[226:227], v[224:225]
	v_mov_b64_e32 v[224:225], v[222:223]
	v_mov_b64_e32 v[222:223], v[220:221]
	v_mov_b64_e32 v[220:221], v[218:219]
	v_mov_b64_e32 v[218:219], v[254:255]
	v_mov_b64_e32 v[254:255], v[252:253]
	v_fma_f64 v[236:237], -v[236:237], v[244:245], v[242:243]
	v_div_fmas_f64 v[236:237], v[236:237], v[240:241], v[244:245]
	v_mov_b64_e32 v[240:241], v[110:111]
	v_mov_b64_e32 v[252:253], v[254:255]
	;; [unrolled: 1-line block ×75, first 2 shown]
	scratch_load_dwordx4 v[68:71], off, off offset:112 ; 16-byte Folded Reload
	scratch_load_dwordx4 v[64:67], off, off offset:96 ; 16-byte Folded Reload
	v_div_fixup_f64 v[214:215], v[236:237], v[214:215], 1.0
	v_mul_f64 v[212:213], v[212:213], v[214:215]
	v_xor_b32_e32 v215, 0x80000000, v215
.LBB53_239:
	s_andn2_saveexec_b64 s[2:3], s[2:3]
	s_cbranch_execz .LBB53_241
; %bb.240:
	s_waitcnt vmcnt(1)
	v_mov_b64_e32 v[68:69], v[192:193]
	v_mov_b64_e32 v[70:71], v[194:195]
	;; [unrolled: 1-line block ×49, first 2 shown]
	v_div_scale_f64 v[212:213], s[10:11], v[104:105], v[104:105], v[106:107]
	v_mov_b64_e32 v[134:135], v[128:129]
	v_mov_b64_e32 v[132:133], v[126:127]
	v_rcp_f64_e32 v[214:215], v[212:213]
	v_mov_b64_e32 v[130:131], v[124:125]
	v_mov_b64_e32 v[128:129], v[122:123]
	;; [unrolled: 1-line block ×10, first 2 shown]
	v_fma_f64 v[240:241], -v[212:213], v[214:215], 1.0
	v_fmac_f64_e32 v[214:215], v[214:215], v[240:241]
	v_fma_f64 v[240:241], -v[212:213], v[214:215], 1.0
	v_div_scale_f64 v[236:237], vcc, v[106:107], v[104:105], v[106:107]
	v_fmac_f64_e32 v[214:215], v[214:215], v[240:241]
	v_mul_f64 v[240:241], v[236:237], v[214:215]
	v_fma_f64 v[212:213], -v[212:213], v[240:241], v[236:237]
	s_nop 0
	v_div_fmas_f64 v[212:213], v[212:213], v[214:215], v[240:241]
	v_div_fixup_f64 v[214:215], v[212:213], v[104:105], v[106:107]
	v_fma_f64 v[212:213], v[106:107], v[214:215], v[104:105]
	v_div_scale_f64 v[236:237], s[10:11], v[212:213], v[212:213], 1.0
	v_rcp_f64_e32 v[240:241], v[236:237]
	v_mov_b64_e32 v[112:113], v[242:243]
	s_waitcnt vmcnt(0)
	v_mov_b64_e32 v[64:65], v[244:245]
	v_mov_b64_e32 v[66:67], v[246:247]
	v_fma_f64 v[242:243], -v[236:237], v[240:241], 1.0
	v_fmac_f64_e32 v[240:241], v[240:241], v[242:243]
	v_fma_f64 v[242:243], -v[236:237], v[240:241], 1.0
	v_fmac_f64_e32 v[240:241], v[240:241], v[242:243]
	v_div_scale_f64 v[242:243], vcc, 1.0, v[212:213], 1.0
	v_mul_f64 v[244:245], v[242:243], v[240:241]
	v_mov_b64_e32 v[108:109], v[216:217]
	v_mov_b64_e32 v[216:217], v[232:233]
	;; [unrolled: 1-line block ×11, first 2 shown]
	v_fma_f64 v[236:237], -v[236:237], v[244:245], v[242:243]
	v_div_fmas_f64 v[236:237], v[236:237], v[240:241], v[244:245]
	v_mov_b64_e32 v[240:241], v[110:111]
	v_mov_b64_e32 v[252:253], v[254:255]
	;; [unrolled: 1-line block ×75, first 2 shown]
	scratch_load_dwordx4 v[68:71], off, off offset:112 ; 16-byte Folded Reload
	scratch_load_dwordx4 v[64:67], off, off offset:96 ; 16-byte Folded Reload
	v_div_fixup_f64 v[212:213], v[236:237], v[212:213], 1.0
	v_mul_f64 v[214:215], v[214:215], -v[212:213]
.LBB53_241:
	s_or_b64 exec, exec, s[2:3]
	ds_write2_b64 v235, v[212:213], v[214:215] offset1:1
.LBB53_242:
	s_or_b64 exec, exec, s[4:5]
	s_waitcnt lgkmcnt(0)
	s_barrier
	ds_read2_b64 v[212:215], v235 offset1:1
	s_waitcnt lgkmcnt(0)
	s_barrier
	s_and_saveexec_b64 s[2:3], s[0:1]
	s_cbranch_execz .LBB53_245
; %bb.243:
	v_cmp_eq_f64_e32 vcc, 0, v[108:109]
	v_cmp_eq_f64_e64 s[0:1], 0, v[110:111]
	s_and_b64 s[4:5], vcc, s[0:1]
	v_cmp_neq_f64_e32 vcc, 0, v[112:113]
	v_cmp_neq_f64_e64 s[0:1], 0, v[114:115]
	s_or_b64 s[0:1], vcc, s[0:1]
	v_cndmask_b32_e64 v108, 0, 1, s[4:5]
	s_or_b64 vcc, s[0:1], s[4:5]
	v_cndmask_b32_e32 v108, 2, v108, vcc
	v_cmp_eq_f64_e32 vcc, 0, v[116:117]
	v_cmp_eq_f64_e64 s[0:1], 0, v[118:119]
	s_and_b64 s[0:1], vcc, s[0:1]
	v_cmp_eq_u32_e32 vcc, 0, v108
	s_and_b64 s[0:1], s[0:1], vcc
	v_cndmask_b32_e64 v108, v108, 3, s[0:1]
	v_cmp_eq_f64_e32 vcc, 0, v[120:121]
	v_cmp_eq_f64_e64 s[0:1], 0, v[122:123]
	s_and_b64 s[0:1], vcc, s[0:1]
	v_cmp_eq_u32_e32 vcc, 0, v108
	s_and_b64 s[0:1], s[0:1], vcc
	v_cndmask_b32_e64 v108, v108, 4, s[0:1]
	;; [unrolled: 6-line block ×11, first 2 shown]
	v_mov_b32_e32 v108, s6
	v_mov_b32_e32 v109, s7
	v_lshl_add_u64 v[108:109], v[238:239], 2, v[108:109]
	global_load_dword v111, v[108:109], off
	v_cmp_eq_f64_e32 vcc, 0, v[160:161]
	v_cmp_eq_f64_e64 s[0:1], 0, v[162:163]
	s_and_b64 s[0:1], vcc, s[0:1]
	v_cmp_eq_u32_e32 vcc, 0, v110
	s_and_b64 s[0:1], s[0:1], vcc
	v_cndmask_b32_e64 v110, v110, 14, s[0:1]
	v_cmp_eq_f64_e32 vcc, 0, v[164:165]
	v_cmp_eq_f64_e64 s[0:1], 0, v[166:167]
	s_and_b64 s[0:1], vcc, s[0:1]
	v_cmp_eq_u32_e32 vcc, 0, v110
	s_and_b64 s[0:1], s[0:1], vcc
	v_cndmask_b32_e64 v110, v110, 15, s[0:1]
	;; [unrolled: 6-line block ×14, first 2 shown]
	s_waitcnt vmcnt(0)
	v_cmp_eq_u32_e32 vcc, 0, v111
	v_cmp_ne_u32_e64 s[0:1], 0, v110
	s_and_b64 s[0:1], vcc, s[0:1]
	s_and_b64 exec, exec, s[0:1]
	s_cbranch_execz .LBB53_245
; %bb.244:
	v_add_u32_e32 v110, s9, v110
	global_store_dword v[108:109], v110, off
.LBB53_245:
	s_or_b64 exec, exec, s[2:3]
	s_waitcnt vmcnt(36)
	global_store_dwordx4 v[216:217], v[100:103], off
	scratch_load_dwordx2 v[100:101], off, off offset:88 ; 8-byte Folded Reload
	s_waitcnt vmcnt(4)
	v_mul_f64 v[108:109], v[214:215], v[106:107]
	v_mul_f64 v[110:111], v[212:213], v[106:107]
	v_fma_f64 v[108:109], v[212:213], v[104:105], -v[108:109]
	v_fmac_f64_e32 v[110:111], v[214:215], v[104:105]
	v_cmp_lt_u32_e32 vcc, 26, v234
	s_waitcnt vmcnt(0)
	global_store_dwordx4 v[100:101], v[96:99], off
	scratch_load_dwordx2 v[96:97], off, off offset:80 ; 8-byte Folded Reload
	v_cndmask_b32_e32 v107, v107, v111, vcc
	v_cndmask_b32_e32 v106, v106, v110, vcc
	;; [unrolled: 1-line block ×4, first 2 shown]
	s_waitcnt vmcnt(0)
	global_store_dwordx4 v[96:97], v[92:95], off
	global_store_dwordx4 v[248:249], v[88:91], off
	;; [unrolled: 1-line block ×15, first 2 shown]
	scratch_load_dwordx2 v[36:37], off, off ; 8-byte Folded Reload
	s_waitcnt vmcnt(0)
	global_store_dwordx4 v[36:37], v[32:35], off
	scratch_load_dwordx2 v[32:33], off, off offset:8 ; 8-byte Folded Reload
	s_waitcnt vmcnt(0)
	global_store_dwordx4 v[32:33], v[28:31], off
	scratch_load_dwordx2 v[28:29], off, off offset:16 ; 8-byte Folded Reload
	;; [unrolled: 3-line block ×9, first 2 shown]
	s_waitcnt vmcnt(0)
	global_store_dwordx4 v[0:1], v[104:107], off
.LBB53_246:
	s_endpgm
	.section	.rodata,"a",@progbits
	.p2align	6, 0x0
	.amdhsa_kernel _ZN9rocsolver6v33100L23getf2_npvt_small_kernelILi27E19rocblas_complex_numIdEiiPS3_EEvT1_T3_lS5_lPT2_S5_S5_
		.amdhsa_group_segment_fixed_size 0
		.amdhsa_private_segment_fixed_size 132
		.amdhsa_kernarg_size 312
		.amdhsa_user_sgpr_count 2
		.amdhsa_user_sgpr_dispatch_ptr 0
		.amdhsa_user_sgpr_queue_ptr 0
		.amdhsa_user_sgpr_kernarg_segment_ptr 1
		.amdhsa_user_sgpr_dispatch_id 0
		.amdhsa_user_sgpr_kernarg_preload_length 0
		.amdhsa_user_sgpr_kernarg_preload_offset 0
		.amdhsa_user_sgpr_private_segment_size 0
		.amdhsa_uses_dynamic_stack 0
		.amdhsa_enable_private_segment 1
		.amdhsa_system_sgpr_workgroup_id_x 1
		.amdhsa_system_sgpr_workgroup_id_y 1
		.amdhsa_system_sgpr_workgroup_id_z 0
		.amdhsa_system_sgpr_workgroup_info 0
		.amdhsa_system_vgpr_workitem_id 1
		.amdhsa_next_free_vgpr 256
		.amdhsa_next_free_sgpr 16
		.amdhsa_accum_offset 256
		.amdhsa_reserve_vcc 1
		.amdhsa_float_round_mode_32 0
		.amdhsa_float_round_mode_16_64 0
		.amdhsa_float_denorm_mode_32 3
		.amdhsa_float_denorm_mode_16_64 3
		.amdhsa_dx10_clamp 1
		.amdhsa_ieee_mode 1
		.amdhsa_fp16_overflow 0
		.amdhsa_tg_split 0
		.amdhsa_exception_fp_ieee_invalid_op 0
		.amdhsa_exception_fp_denorm_src 0
		.amdhsa_exception_fp_ieee_div_zero 0
		.amdhsa_exception_fp_ieee_overflow 0
		.amdhsa_exception_fp_ieee_underflow 0
		.amdhsa_exception_fp_ieee_inexact 0
		.amdhsa_exception_int_div_zero 0
	.end_amdhsa_kernel
	.section	.text._ZN9rocsolver6v33100L23getf2_npvt_small_kernelILi27E19rocblas_complex_numIdEiiPS3_EEvT1_T3_lS5_lPT2_S5_S5_,"axG",@progbits,_ZN9rocsolver6v33100L23getf2_npvt_small_kernelILi27E19rocblas_complex_numIdEiiPS3_EEvT1_T3_lS5_lPT2_S5_S5_,comdat
.Lfunc_end53:
	.size	_ZN9rocsolver6v33100L23getf2_npvt_small_kernelILi27E19rocblas_complex_numIdEiiPS3_EEvT1_T3_lS5_lPT2_S5_S5_, .Lfunc_end53-_ZN9rocsolver6v33100L23getf2_npvt_small_kernelILi27E19rocblas_complex_numIdEiiPS3_EEvT1_T3_lS5_lPT2_S5_S5_
                                        ; -- End function
	.set _ZN9rocsolver6v33100L23getf2_npvt_small_kernelILi27E19rocblas_complex_numIdEiiPS3_EEvT1_T3_lS5_lPT2_S5_S5_.num_vgpr, 256
	.set _ZN9rocsolver6v33100L23getf2_npvt_small_kernelILi27E19rocblas_complex_numIdEiiPS3_EEvT1_T3_lS5_lPT2_S5_S5_.num_agpr, 0
	.set _ZN9rocsolver6v33100L23getf2_npvt_small_kernelILi27E19rocblas_complex_numIdEiiPS3_EEvT1_T3_lS5_lPT2_S5_S5_.numbered_sgpr, 16
	.set _ZN9rocsolver6v33100L23getf2_npvt_small_kernelILi27E19rocblas_complex_numIdEiiPS3_EEvT1_T3_lS5_lPT2_S5_S5_.num_named_barrier, 0
	.set _ZN9rocsolver6v33100L23getf2_npvt_small_kernelILi27E19rocblas_complex_numIdEiiPS3_EEvT1_T3_lS5_lPT2_S5_S5_.private_seg_size, 132
	.set _ZN9rocsolver6v33100L23getf2_npvt_small_kernelILi27E19rocblas_complex_numIdEiiPS3_EEvT1_T3_lS5_lPT2_S5_S5_.uses_vcc, 1
	.set _ZN9rocsolver6v33100L23getf2_npvt_small_kernelILi27E19rocblas_complex_numIdEiiPS3_EEvT1_T3_lS5_lPT2_S5_S5_.uses_flat_scratch, 0
	.set _ZN9rocsolver6v33100L23getf2_npvt_small_kernelILi27E19rocblas_complex_numIdEiiPS3_EEvT1_T3_lS5_lPT2_S5_S5_.has_dyn_sized_stack, 0
	.set _ZN9rocsolver6v33100L23getf2_npvt_small_kernelILi27E19rocblas_complex_numIdEiiPS3_EEvT1_T3_lS5_lPT2_S5_S5_.has_recursion, 0
	.set _ZN9rocsolver6v33100L23getf2_npvt_small_kernelILi27E19rocblas_complex_numIdEiiPS3_EEvT1_T3_lS5_lPT2_S5_S5_.has_indirect_call, 0
	.section	.AMDGPU.csdata,"",@progbits
; Kernel info:
; codeLenInByte = 43788
; TotalNumSgprs: 22
; NumVgprs: 256
; NumAgprs: 0
; TotalNumVgprs: 256
; ScratchSize: 132
; MemoryBound: 1
; FloatMode: 240
; IeeeMode: 1
; LDSByteSize: 0 bytes/workgroup (compile time only)
; SGPRBlocks: 2
; VGPRBlocks: 31
; NumSGPRsForWavesPerEU: 22
; NumVGPRsForWavesPerEU: 256
; AccumOffset: 256
; Occupancy: 2
; WaveLimiterHint : 0
; COMPUTE_PGM_RSRC2:SCRATCH_EN: 1
; COMPUTE_PGM_RSRC2:USER_SGPR: 2
; COMPUTE_PGM_RSRC2:TRAP_HANDLER: 0
; COMPUTE_PGM_RSRC2:TGID_X_EN: 1
; COMPUTE_PGM_RSRC2:TGID_Y_EN: 1
; COMPUTE_PGM_RSRC2:TGID_Z_EN: 0
; COMPUTE_PGM_RSRC2:TIDIG_COMP_CNT: 1
; COMPUTE_PGM_RSRC3_GFX90A:ACCUM_OFFSET: 63
; COMPUTE_PGM_RSRC3_GFX90A:TG_SPLIT: 0
	.section	.text._ZN9rocsolver6v33100L18getf2_small_kernelILi28E19rocblas_complex_numIdEiiPS3_EEvT1_T3_lS5_lPS5_llPT2_S5_S5_S7_l,"axG",@progbits,_ZN9rocsolver6v33100L18getf2_small_kernelILi28E19rocblas_complex_numIdEiiPS3_EEvT1_T3_lS5_lPS5_llPT2_S5_S5_S7_l,comdat
	.globl	_ZN9rocsolver6v33100L18getf2_small_kernelILi28E19rocblas_complex_numIdEiiPS3_EEvT1_T3_lS5_lPS5_llPT2_S5_S5_S7_l ; -- Begin function _ZN9rocsolver6v33100L18getf2_small_kernelILi28E19rocblas_complex_numIdEiiPS3_EEvT1_T3_lS5_lPS5_llPT2_S5_S5_S7_l
	.p2align	8
	.type	_ZN9rocsolver6v33100L18getf2_small_kernelILi28E19rocblas_complex_numIdEiiPS3_EEvT1_T3_lS5_lPS5_llPT2_S5_S5_S7_l,@function
_ZN9rocsolver6v33100L18getf2_small_kernelILi28E19rocblas_complex_numIdEiiPS3_EEvT1_T3_lS5_lPS5_llPT2_S5_S5_S7_l: ; @_ZN9rocsolver6v33100L18getf2_small_kernelILi28E19rocblas_complex_numIdEiiPS3_EEvT1_T3_lS5_lPS5_llPT2_S5_S5_S7_l
; %bb.0:
	s_load_dword s2, s[0:1], 0x6c
	s_load_dwordx2 s[12:13], s[0:1], 0x48
	v_bfe_u32 v112, v0, 10, 10
	s_waitcnt lgkmcnt(0)
	s_lshr_b32 s2, s2, 16
	s_mul_i32 s3, s3, s2
	v_add_u32_e32 v118, s3, v112
	v_cmp_gt_i32_e32 vcc, s12, v118
	s_and_saveexec_b64 s[2:3], vcc
	s_cbranch_execz .LBB54_589
; %bb.1:
	s_load_dwordx4 s[4:7], s[0:1], 0x50
	v_ashrrev_i32_e32 v119, 31, v118
	v_mov_b64_e32 v[120:121], 0
	s_waitcnt lgkmcnt(0)
	s_cmp_eq_u64 s[4:5], 0
	s_cselect_b64 s[14:15], -1, 0
	s_and_b64 vcc, exec, s[14:15]
	s_cbranch_vccnz .LBB54_3
; %bb.2:
	v_mul_lo_u32 v1, s7, v118
	v_mul_lo_u32 v4, s6, v119
	v_mad_u64_u32 v[2:3], s[2:3], s6, v118, 0
	v_add3_u32 v3, v3, v4, v1
	v_lshl_add_u64 v[120:121], v[2:3], 2, s[4:5]
.LBB54_3:
	s_load_dwordx4 s[16:19], s[0:1], 0x8
	s_load_dwordx8 s[4:11], s[0:1], 0x20
	s_load_dword s2, s[0:1], 0x18
	s_load_dword s20, s[0:1], 0x0
	v_and_b32_e32 v127, 0x3ff, v0
	s_waitcnt lgkmcnt(0)
	v_mov_b32_e32 v2, s16
	v_mul_lo_u32 v1, s5, v118
	v_mul_lo_u32 v6, s4, v119
	v_mad_u64_u32 v[4:5], s[4:5], s4, v118, 0
	v_mov_b32_e32 v3, s17
	v_add3_u32 v5, v5, v6, v1
	v_lshl_add_u64 v[2:3], v[4:5], 4, v[2:3]
	s_add_i32 s12, s2, s2
	v_lshl_add_u64 v[116:117], s[18:19], 4, v[2:3]
	v_add_u32_e32 v2, s12, v127
	v_add_u32_e32 v4, s2, v2
	;; [unrolled: 1-line block ×3, first 2 shown]
	v_lshlrev_b32_e32 v122, 4, v127
	v_mov_b32_e32 v123, 0
	v_add_u32_e32 v8, s2, v6
	v_lshl_add_u64 v[0:1], v[116:117], 0, v[122:123]
	s_ashr_i32 s3, s2, 31
	v_ashrrev_i32_e32 v9, 31, v8
	v_add_u32_e32 v12, s2, v8
	v_lshl_add_u64 v[10:11], s[2:3], 4, v[0:1]
	global_load_dwordx4 v[76:79], v[0:1], off
	global_load_dwordx4 v[72:75], v[10:11], off
	v_lshl_add_u64 v[0:1], v[8:9], 4, v[116:117]
	v_ashrrev_i32_e32 v13, 31, v12
	v_add_u32_e32 v8, s2, v12
	v_lshl_add_u64 v[10:11], v[12:13], 4, v[116:117]
	v_add_u32_e32 v12, s2, v8
	v_add_u32_e32 v14, s2, v12
	v_add_u32_e32 v16, s2, v14
	v_add_u32_e32 v18, s2, v16
	v_add_u32_e32 v20, s2, v18
	v_add_u32_e32 v22, s2, v20
	v_add_u32_e32 v24, s2, v22
	v_add_u32_e32 v26, s2, v24
	v_add_u32_e32 v28, s2, v26
	v_ashrrev_i32_e32 v29, 31, v28
	v_add_u32_e32 v30, s2, v28
	v_lshl_add_u64 v[108:109], v[28:29], 4, v[116:117]
	v_ashrrev_i32_e32 v31, 31, v30
	v_add_u32_e32 v28, s2, v30
	v_lshl_add_u64 v[110:111], v[30:31], 4, v[116:117]
	;; [unrolled: 3-line block ×5, first 2 shown]
	v_add_u32_e32 v28, s2, v30
	v_ashrrev_i32_e32 v29, 31, v28
	v_lshl_add_u64 v[132:133], v[28:29], 4, v[116:117]
	v_add_u32_e32 v28, s2, v28
	v_ashrrev_i32_e32 v29, 31, v28
	v_lshl_add_u64 v[134:135], v[28:29], 4, v[116:117]
	;; [unrolled: 3-line block ×4, first 2 shown]
	v_add_u32_e32 v28, s2, v28
	v_ashrrev_i32_e32 v29, 31, v28
	v_ashrrev_i32_e32 v3, 31, v2
	;; [unrolled: 1-line block ×13, first 2 shown]
	v_lshl_add_u64 v[140:141], v[28:29], 4, v[116:117]
	v_add_u32_e32 v28, s2, v28
	v_lshl_add_u64 v[2:3], v[2:3], 4, v[116:117]
	v_lshl_add_u64 v[4:5], v[4:5], 4, v[116:117]
	;; [unrolled: 1-line block ×12, first 2 shown]
	v_ashrrev_i32_e32 v31, 31, v30
	v_ashrrev_i32_e32 v29, 31, v28
	v_lshl_add_u64 v[130:131], v[30:31], 4, v[116:117]
	v_lshl_add_u64 v[142:143], v[28:29], 4, v[116:117]
	global_load_dwordx4 v[104:107], v[2:3], off
	global_load_dwordx4 v[100:103], v[4:5], off
	;; [unrolled: 1-line block ×14, first 2 shown]
                                        ; kill: killed $vgpr12_vgpr13
                                        ; kill: killed $vgpr14_vgpr15
                                        ; kill: killed $vgpr16_vgpr17
                                        ; kill: killed $vgpr18_vgpr19
                                        ; kill: killed $vgpr2_vgpr3
                                        ; kill: killed $vgpr20_vgpr21
                                        ; kill: killed $vgpr4_vgpr5
                                        ; kill: killed $vgpr22_vgpr23
                                        ; kill: killed $vgpr6_vgpr7
                                        ; kill: killed $vgpr24_vgpr25
                                        ; kill: killed $vgpr0_vgpr1
                                        ; kill: killed $vgpr26_vgpr27
                                        ; kill: killed $vgpr10_vgpr11
                                        ; kill: killed $vgpr8_vgpr9
	global_load_dwordx4 v[44:47], v[108:109], off
	global_load_dwordx4 v[36:39], v[110:111], off
	;; [unrolled: 1-line block ×4, first 2 shown]
	s_nop 0
	global_load_dwordx4 v[24:27], v[128:129], off
	global_load_dwordx4 v[20:23], v[130:131], off
	;; [unrolled: 1-line block ×3, first 2 shown]
                                        ; kill: killed $vgpr110_vgpr111
                                        ; kill: killed $vgpr114_vgpr115
                                        ; kill: killed $vgpr124_vgpr125
                                        ; kill: killed $vgpr128_vgpr129
                                        ; kill: killed $vgpr130_vgpr131
                                        ; kill: killed $vgpr132_vgpr133
                                        ; kill: killed $vgpr108_vgpr109
	global_load_dwordx4 v[12:15], v[134:135], off
	global_load_dwordx4 v[8:11], v[136:137], off
	global_load_dwordx4 v[4:7], v[138:139], off
	global_load_dwordx4 v[0:3], v[140:141], off
                                        ; kill: killed $vgpr134_vgpr135
                                        ; kill: killed $vgpr136_vgpr137
                                        ; kill: killed $vgpr138_vgpr139
                                        ; kill: killed $vgpr140_vgpr141
	global_load_dwordx4 v[108:111], v[142:143], off
	s_load_dwordx2 s[4:5], s[0:1], 0x40
	s_max_i32 s0, s20, 28
	v_mul_lo_u32 v125, s0, v112
	v_lshl_add_u32 v124, v125, 4, 0
	v_add_u32_e32 v112, v124, v122
	s_waitcnt vmcnt(27)
	ds_write2_b64 v112, v[76:77], v[78:79] offset1:1
	s_waitcnt lgkmcnt(0)
	s_barrier
	ds_read2_b64 v[112:115], v124 offset1:1
	s_cmp_lt_i32 s20, 2
	v_lshlrev_b32_e32 v128, 4, v125
	s_cbranch_scc1 .LBB54_6
; %bb.4:
	v_add3_u32 v122, v128, 0, 16
	s_mov_b32 s16, 1
	v_mov_b32_e32 v123, 0
.LBB54_5:                               ; =>This Inner Loop Header: Depth=1
	ds_read2_b64 v[130:133], v122 offset1:1
	s_waitcnt lgkmcnt(1)
	v_xor_b32_e32 v125, 0x80000000, v113
	v_xor_b32_e32 v126, 0x80000000, v115
	v_cmp_gt_f64_e32 vcc, 0, v[114:115]
	v_cmp_gt_f64_e64 s[0:1], 0, v[112:113]
	v_mov_b32_e32 v134, v112
	v_mov_b32_e32 v136, v114
	v_cndmask_b32_e64 v135, v113, v125, s[0:1]
	v_cndmask_b32_e32 v137, v115, v126, vcc
	s_waitcnt lgkmcnt(0)
	v_xor_b32_e32 v125, 0x80000000, v131
	v_xor_b32_e32 v126, 0x80000000, v133
	v_cmp_gt_f64_e32 vcc, 0, v[132:133]
	v_cmp_gt_f64_e64 s[0:1], 0, v[130:131]
	v_add_f64 v[134:135], v[134:135], v[136:137]
	v_mov_b32_e32 v136, v130
	v_mov_b32_e32 v138, v132
	v_cndmask_b32_e64 v137, v131, v125, s[0:1]
	v_cndmask_b32_e32 v139, v133, v126, vcc
	v_add_f64 v[136:137], v[136:137], v[138:139]
	v_mov_b32_e32 v129, s16
	s_add_i32 s16, s16, 1
	v_cmp_lt_f64_e32 vcc, v[134:135], v[136:137]
	v_add_u32_e32 v122, 16, v122
	s_cmp_eq_u32 s20, s16
	v_cndmask_b32_e32 v113, v113, v131, vcc
	v_cndmask_b32_e32 v112, v112, v130, vcc
	;; [unrolled: 1-line block ×5, first 2 shown]
	s_cbranch_scc0 .LBB54_5
.LBB54_6:
	s_waitcnt lgkmcnt(0)
	v_cmp_neq_f64_e32 vcc, 0, v[112:113]
	v_cmp_neq_f64_e64 s[0:1], 0, v[114:115]
	s_or_b64 s[16:17], vcc, s[0:1]
	v_mov_b32_e32 v126, 1
	v_mov_b32_e32 v129, 1
	s_and_saveexec_b64 s[0:1], s[16:17]
	s_cbranch_execz .LBB54_12
; %bb.7:
	v_cmp_ngt_f64_e64 s[16:17], |v[112:113]|, |v[114:115]|
	s_and_saveexec_b64 s[18:19], s[16:17]
	s_xor_b64 s[16:17], exec, s[18:19]
	s_cbranch_execz .LBB54_9
; %bb.8:
	v_div_scale_f64 v[130:131], s[18:19], v[114:115], v[114:115], v[112:113]
	v_rcp_f64_e32 v[132:133], v[130:131]
	v_div_scale_f64 v[134:135], vcc, v[112:113], v[114:115], v[112:113]
	v_fma_f64 v[136:137], -v[130:131], v[132:133], 1.0
	v_fmac_f64_e32 v[132:133], v[132:133], v[136:137]
	v_fma_f64 v[136:137], -v[130:131], v[132:133], 1.0
	v_fmac_f64_e32 v[132:133], v[132:133], v[136:137]
	v_mul_f64 v[136:137], v[134:135], v[132:133]
	v_fma_f64 v[130:131], -v[130:131], v[136:137], v[134:135]
	v_div_fmas_f64 v[130:131], v[130:131], v[132:133], v[136:137]
	v_div_fixup_f64 v[130:131], v[130:131], v[114:115], v[112:113]
	v_fmac_f64_e32 v[114:115], v[112:113], v[130:131]
	v_div_scale_f64 v[112:113], s[18:19], v[114:115], v[114:115], 1.0
	v_rcp_f64_e32 v[132:133], v[112:113]
	s_nop 0
	v_fma_f64 v[134:135], -v[112:113], v[132:133], 1.0
	v_fmac_f64_e32 v[132:133], v[132:133], v[134:135]
	v_fma_f64 v[134:135], -v[112:113], v[132:133], 1.0
	v_fmac_f64_e32 v[132:133], v[132:133], v[134:135]
	v_div_scale_f64 v[134:135], vcc, 1.0, v[114:115], 1.0
	v_mul_f64 v[136:137], v[134:135], v[132:133]
	v_fma_f64 v[112:113], -v[112:113], v[136:137], v[134:135]
	s_nop 1
	v_div_fmas_f64 v[112:113], v[112:113], v[132:133], v[136:137]
	v_div_fixup_f64 v[114:115], v[112:113], v[114:115], 1.0
	v_mul_f64 v[112:113], v[130:131], v[114:115]
	v_xor_b32_e32 v115, 0x80000000, v115
.LBB54_9:
	s_andn2_saveexec_b64 s[16:17], s[16:17]
	s_cbranch_execz .LBB54_11
; %bb.10:
	v_div_scale_f64 v[130:131], s[18:19], v[112:113], v[112:113], v[114:115]
	v_rcp_f64_e32 v[132:133], v[130:131]
	v_div_scale_f64 v[134:135], vcc, v[114:115], v[112:113], v[114:115]
	v_fma_f64 v[136:137], -v[130:131], v[132:133], 1.0
	v_fmac_f64_e32 v[132:133], v[132:133], v[136:137]
	v_fma_f64 v[136:137], -v[130:131], v[132:133], 1.0
	v_fmac_f64_e32 v[132:133], v[132:133], v[136:137]
	v_mul_f64 v[136:137], v[134:135], v[132:133]
	v_fma_f64 v[130:131], -v[130:131], v[136:137], v[134:135]
	v_div_fmas_f64 v[130:131], v[130:131], v[132:133], v[136:137]
	v_div_fixup_f64 v[130:131], v[130:131], v[112:113], v[114:115]
	v_fmac_f64_e32 v[112:113], v[114:115], v[130:131]
	v_div_scale_f64 v[114:115], s[18:19], v[112:113], v[112:113], 1.0
	v_rcp_f64_e32 v[132:133], v[114:115]
	s_nop 0
	v_fma_f64 v[134:135], -v[114:115], v[132:133], 1.0
	v_fmac_f64_e32 v[132:133], v[132:133], v[134:135]
	v_fma_f64 v[134:135], -v[114:115], v[132:133], 1.0
	v_fmac_f64_e32 v[132:133], v[132:133], v[134:135]
	v_div_scale_f64 v[134:135], vcc, 1.0, v[112:113], 1.0
	v_mul_f64 v[136:137], v[134:135], v[132:133]
	v_fma_f64 v[114:115], -v[114:115], v[136:137], v[134:135]
	s_nop 1
	v_div_fmas_f64 v[114:115], v[114:115], v[132:133], v[136:137]
	v_div_fixup_f64 v[112:113], v[114:115], v[112:113], 1.0
	v_mul_f64 v[114:115], v[130:131], -v[112:113]
.LBB54_11:
	s_or_b64 exec, exec, s[16:17]
	v_mov_b32_e32 v129, 0
	v_mov_b32_e32 v126, 2
.LBB54_12:
	s_or_b64 exec, exec, s[0:1]
	v_cmp_ne_u32_e32 vcc, v127, v123
	s_and_saveexec_b64 s[0:1], vcc
	s_xor_b64 s[0:1], exec, s[0:1]
	s_cbranch_execz .LBB54_18
; %bb.13:
	v_cmp_eq_u32_e32 vcc, 0, v127
	s_and_saveexec_b64 s[16:17], vcc
	s_cbranch_execz .LBB54_17
; %bb.14:
	v_cmp_ne_u32_e32 vcc, 0, v123
	s_xor_b64 s[18:19], s[14:15], -1
	s_and_b64 s[22:23], s[18:19], vcc
	s_and_saveexec_b64 s[18:19], s[22:23]
	s_cbranch_execz .LBB54_16
; %bb.15:
	v_ashrrev_i32_e32 v131, 31, v123
	v_mov_b32_e32 v130, v123
	v_lshl_add_u64 v[130:131], v[130:131], 2, v[120:121]
	global_load_dword v122, v[130:131], off
	global_load_dword v125, v[120:121], off
	s_waitcnt vmcnt(1)
	global_store_dword v[120:121], v122, off
	s_waitcnt vmcnt(1)
	global_store_dword v[130:131], v125, off
.LBB54_16:
	s_or_b64 exec, exec, s[18:19]
	v_mov_b32_e32 v127, v123
.LBB54_17:
	s_or_b64 exec, exec, s[16:17]
.LBB54_18:
	s_or_saveexec_b64 s[0:1], s[0:1]
	v_mov_b32_e32 v125, v127
	s_xor_b64 exec, exec, s[0:1]
	s_cbranch_execz .LBB54_20
; %bb.19:
	v_mov_b32_e32 v125, 0
	s_waitcnt vmcnt(26)
	ds_write2_b64 v124, v[72:73], v[74:75] offset0:2 offset1:3
	s_waitcnt vmcnt(25)
	ds_write2_b64 v124, v[104:105], v[106:107] offset0:4 offset1:5
	;; [unrolled: 2-line block ×27, first 2 shown]
.LBB54_20:
	s_or_b64 exec, exec, s[0:1]
	v_cmp_lt_i32_e32 vcc, 0, v125
	s_waitcnt lgkmcnt(0)
	s_barrier
	s_and_saveexec_b64 s[0:1], vcc
	s_cbranch_execz .LBB54_22
; %bb.21:
	ds_read2_b64 v[130:133], v124 offset0:2 offset1:3
	v_mul_f64 v[122:123], v[114:115], v[78:79]
	v_mul_f64 v[78:79], v[112:113], v[78:79]
	v_fmac_f64_e32 v[78:79], v[114:115], v[76:77]
	v_fma_f64 v[122:123], v[112:113], v[76:77], -v[122:123]
	ds_read2_b64 v[112:115], v124 offset0:4 offset1:5
	s_waitcnt lgkmcnt(1)
	v_mul_f64 v[76:77], v[132:133], v[78:79]
	v_fma_f64 v[76:77], v[130:131], v[122:123], -v[76:77]
	v_mul_f64 v[130:131], v[130:131], v[78:79]
	v_fmac_f64_e32 v[130:131], v[132:133], v[122:123]
	s_waitcnt vmcnt(26)
	v_add_f64 v[74:75], v[74:75], -v[130:131]
	ds_read2_b64 v[130:133], v124 offset0:6 offset1:7
	v_add_f64 v[72:73], v[72:73], -v[76:77]
	s_waitcnt lgkmcnt(1)
	v_mul_f64 v[76:77], v[114:115], v[78:79]
	v_fma_f64 v[76:77], v[112:113], v[122:123], -v[76:77]
	v_mul_f64 v[112:113], v[112:113], v[78:79]
	v_fmac_f64_e32 v[112:113], v[114:115], v[122:123]
	s_waitcnt vmcnt(25)
	v_add_f64 v[104:105], v[104:105], -v[76:77]
	v_add_f64 v[106:107], v[106:107], -v[112:113]
	ds_read2_b64 v[112:115], v124 offset0:8 offset1:9
	s_waitcnt lgkmcnt(1)
	v_mul_f64 v[76:77], v[132:133], v[78:79]
	v_fma_f64 v[76:77], v[130:131], v[122:123], -v[76:77]
	v_mul_f64 v[130:131], v[130:131], v[78:79]
	v_fmac_f64_e32 v[130:131], v[132:133], v[122:123]
	s_waitcnt vmcnt(24)
	v_add_f64 v[102:103], v[102:103], -v[130:131]
	ds_read2_b64 v[130:133], v124 offset0:10 offset1:11
	v_add_f64 v[100:101], v[100:101], -v[76:77]
	s_waitcnt lgkmcnt(1)
	v_mul_f64 v[76:77], v[114:115], v[78:79]
	v_fma_f64 v[76:77], v[112:113], v[122:123], -v[76:77]
	v_mul_f64 v[112:113], v[112:113], v[78:79]
	v_fmac_f64_e32 v[112:113], v[114:115], v[122:123]
	s_waitcnt vmcnt(23)
	v_add_f64 v[96:97], v[96:97], -v[76:77]
	v_add_f64 v[98:99], v[98:99], -v[112:113]
	;; [unrolled: 18-line block ×13, first 2 shown]
	s_waitcnt lgkmcnt(0)
	v_mul_f64 v[76:77], v[132:133], v[78:79]
	v_mul_f64 v[112:113], v[130:131], v[78:79]
	v_fma_f64 v[76:77], v[130:131], v[122:123], -v[76:77]
	v_fmac_f64_e32 v[112:113], v[132:133], v[122:123]
	s_waitcnt vmcnt(0)
	v_add_f64 v[108:109], v[108:109], -v[76:77]
	v_add_f64 v[110:111], v[110:111], -v[112:113]
	v_mov_b64_e32 v[76:77], v[122:123]
.LBB54_22:
	s_or_b64 exec, exec, s[0:1]
	v_lshl_add_u32 v112, v125, 4, v124
	s_barrier
	s_waitcnt vmcnt(26)
	ds_write2_b64 v112, v[72:73], v[74:75] offset1:1
	s_waitcnt lgkmcnt(0)
	s_barrier
	ds_read2_b64 v[112:115], v124 offset0:2 offset1:3
	s_cmp_lt_i32 s20, 3
	v_mov_b32_e32 v122, 1
	s_cbranch_scc1 .LBB54_25
; %bb.23:
	v_add3_u32 v123, v128, 0, 32
	s_mov_b32 s16, 2
	v_mov_b32_e32 v122, 1
.LBB54_24:                              ; =>This Inner Loop Header: Depth=1
	ds_read2_b64 v[130:133], v123 offset1:1
	s_waitcnt lgkmcnt(1)
	v_xor_b32_e32 v135, 0x80000000, v113
	v_xor_b32_e32 v137, 0x80000000, v115
	v_cmp_gt_f64_e32 vcc, 0, v[114:115]
	v_cmp_gt_f64_e64 s[0:1], 0, v[112:113]
	v_mov_b32_e32 v134, v112
	v_mov_b32_e32 v136, v114
	v_cndmask_b32_e64 v135, v113, v135, s[0:1]
	v_cndmask_b32_e32 v137, v115, v137, vcc
	v_add_f64 v[134:135], v[134:135], v[136:137]
	s_waitcnt lgkmcnt(0)
	v_xor_b32_e32 v137, 0x80000000, v131
	v_xor_b32_e32 v139, 0x80000000, v133
	v_cmp_gt_f64_e32 vcc, 0, v[132:133]
	v_cmp_gt_f64_e64 s[0:1], 0, v[130:131]
	v_mov_b32_e32 v136, v130
	v_mov_b32_e32 v138, v132
	v_cndmask_b32_e64 v137, v131, v137, s[0:1]
	v_cndmask_b32_e32 v139, v133, v139, vcc
	v_add_f64 v[136:137], v[136:137], v[138:139]
	v_mov_b32_e32 v140, s16
	s_add_i32 s16, s16, 1
	v_cmp_lt_f64_e32 vcc, v[134:135], v[136:137]
	v_add_u32_e32 v123, 16, v123
	s_cmp_lg_u32 s20, s16
	v_cndmask_b32_e32 v113, v113, v131, vcc
	v_cndmask_b32_e32 v112, v112, v130, vcc
	;; [unrolled: 1-line block ×5, first 2 shown]
	s_cbranch_scc1 .LBB54_24
.LBB54_25:
	s_waitcnt lgkmcnt(0)
	v_cmp_neq_f64_e32 vcc, 0, v[112:113]
	v_cmp_neq_f64_e64 s[0:1], 0, v[114:115]
	s_or_b64 s[16:17], vcc, s[0:1]
	s_and_saveexec_b64 s[0:1], s[16:17]
	s_cbranch_execz .LBB54_31
; %bb.26:
	v_cmp_ngt_f64_e64 s[16:17], |v[112:113]|, |v[114:115]|
	s_and_saveexec_b64 s[18:19], s[16:17]
	s_xor_b64 s[16:17], exec, s[18:19]
	s_cbranch_execz .LBB54_28
; %bb.27:
	v_div_scale_f64 v[130:131], s[18:19], v[114:115], v[114:115], v[112:113]
	v_rcp_f64_e32 v[132:133], v[130:131]
	v_div_scale_f64 v[134:135], vcc, v[112:113], v[114:115], v[112:113]
	v_fma_f64 v[136:137], -v[130:131], v[132:133], 1.0
	v_fmac_f64_e32 v[132:133], v[132:133], v[136:137]
	v_fma_f64 v[136:137], -v[130:131], v[132:133], 1.0
	v_fmac_f64_e32 v[132:133], v[132:133], v[136:137]
	v_mul_f64 v[136:137], v[134:135], v[132:133]
	v_fma_f64 v[130:131], -v[130:131], v[136:137], v[134:135]
	v_div_fmas_f64 v[130:131], v[130:131], v[132:133], v[136:137]
	v_div_fixup_f64 v[130:131], v[130:131], v[114:115], v[112:113]
	v_fmac_f64_e32 v[114:115], v[112:113], v[130:131]
	v_div_scale_f64 v[112:113], s[18:19], v[114:115], v[114:115], 1.0
	v_rcp_f64_e32 v[132:133], v[112:113]
	s_nop 0
	v_fma_f64 v[134:135], -v[112:113], v[132:133], 1.0
	v_fmac_f64_e32 v[132:133], v[132:133], v[134:135]
	v_fma_f64 v[134:135], -v[112:113], v[132:133], 1.0
	v_fmac_f64_e32 v[132:133], v[132:133], v[134:135]
	v_div_scale_f64 v[134:135], vcc, 1.0, v[114:115], 1.0
	v_mul_f64 v[136:137], v[134:135], v[132:133]
	v_fma_f64 v[112:113], -v[112:113], v[136:137], v[134:135]
	s_nop 1
	v_div_fmas_f64 v[112:113], v[112:113], v[132:133], v[136:137]
	v_div_fixup_f64 v[114:115], v[112:113], v[114:115], 1.0
	v_mul_f64 v[112:113], v[130:131], v[114:115]
	v_xor_b32_e32 v115, 0x80000000, v115
.LBB54_28:
	s_andn2_saveexec_b64 s[16:17], s[16:17]
	s_cbranch_execz .LBB54_30
; %bb.29:
	v_div_scale_f64 v[130:131], s[18:19], v[112:113], v[112:113], v[114:115]
	v_rcp_f64_e32 v[132:133], v[130:131]
	v_div_scale_f64 v[134:135], vcc, v[114:115], v[112:113], v[114:115]
	v_fma_f64 v[136:137], -v[130:131], v[132:133], 1.0
	v_fmac_f64_e32 v[132:133], v[132:133], v[136:137]
	v_fma_f64 v[136:137], -v[130:131], v[132:133], 1.0
	v_fmac_f64_e32 v[132:133], v[132:133], v[136:137]
	v_mul_f64 v[136:137], v[134:135], v[132:133]
	v_fma_f64 v[130:131], -v[130:131], v[136:137], v[134:135]
	v_div_fmas_f64 v[130:131], v[130:131], v[132:133], v[136:137]
	v_div_fixup_f64 v[130:131], v[130:131], v[112:113], v[114:115]
	v_fmac_f64_e32 v[112:113], v[114:115], v[130:131]
	v_div_scale_f64 v[114:115], s[18:19], v[112:113], v[112:113], 1.0
	v_rcp_f64_e32 v[132:133], v[114:115]
	s_nop 0
	v_fma_f64 v[134:135], -v[114:115], v[132:133], 1.0
	v_fmac_f64_e32 v[132:133], v[132:133], v[134:135]
	v_fma_f64 v[134:135], -v[114:115], v[132:133], 1.0
	v_fmac_f64_e32 v[132:133], v[132:133], v[134:135]
	v_div_scale_f64 v[134:135], vcc, 1.0, v[112:113], 1.0
	v_mul_f64 v[136:137], v[134:135], v[132:133]
	v_fma_f64 v[114:115], -v[114:115], v[136:137], v[134:135]
	s_nop 1
	v_div_fmas_f64 v[114:115], v[114:115], v[132:133], v[136:137]
	v_div_fixup_f64 v[112:113], v[114:115], v[112:113], 1.0
	v_mul_f64 v[114:115], v[130:131], -v[112:113]
.LBB54_30:
	s_or_b64 exec, exec, s[16:17]
	v_mov_b32_e32 v126, v129
.LBB54_31:
	s_or_b64 exec, exec, s[0:1]
	v_cmp_ne_u32_e32 vcc, v125, v122
	s_and_saveexec_b64 s[0:1], vcc
	s_xor_b64 s[0:1], exec, s[0:1]
	s_cbranch_execz .LBB54_37
; %bb.32:
	v_cmp_eq_u32_e32 vcc, 1, v125
	s_and_saveexec_b64 s[16:17], vcc
	s_cbranch_execz .LBB54_36
; %bb.33:
	v_cmp_ne_u32_e32 vcc, 1, v122
	s_xor_b64 s[18:19], s[14:15], -1
	s_and_b64 s[22:23], s[18:19], vcc
	s_and_saveexec_b64 s[18:19], s[22:23]
	s_cbranch_execz .LBB54_35
; %bb.34:
	v_ashrrev_i32_e32 v123, 31, v122
	v_lshl_add_u64 v[130:131], v[122:123], 2, v[120:121]
	global_load_dword v123, v[130:131], off
	global_load_dword v125, v[120:121], off offset:4
	s_waitcnt vmcnt(1)
	global_store_dword v[120:121], v123, off offset:4
	s_waitcnt vmcnt(1)
	global_store_dword v[130:131], v125, off
.LBB54_35:
	s_or_b64 exec, exec, s[18:19]
	v_mov_b32_e32 v125, v122
	v_mov_b32_e32 v127, v122
.LBB54_36:
	s_or_b64 exec, exec, s[16:17]
.LBB54_37:
	s_andn2_saveexec_b64 s[0:1], s[0:1]
	s_cbranch_execz .LBB54_39
; %bb.38:
	v_mov_b32_e32 v125, 1
	s_waitcnt vmcnt(25)
	ds_write2_b64 v124, v[104:105], v[106:107] offset0:4 offset1:5
	s_waitcnt vmcnt(24)
	ds_write2_b64 v124, v[100:101], v[102:103] offset0:6 offset1:7
	;; [unrolled: 2-line block ×26, first 2 shown]
.LBB54_39:
	s_or_b64 exec, exec, s[0:1]
	v_cmp_lt_i32_e32 vcc, 1, v125
	s_waitcnt lgkmcnt(0)
	s_barrier
	s_and_saveexec_b64 s[0:1], vcc
	s_cbranch_execz .LBB54_41
; %bb.40:
	ds_read2_b64 v[130:133], v124 offset0:4 offset1:5
	v_mul_f64 v[122:123], v[114:115], v[74:75]
	v_mul_f64 v[74:75], v[112:113], v[74:75]
	v_fma_f64 v[122:123], v[112:113], v[72:73], -v[122:123]
	v_fmac_f64_e32 v[74:75], v[114:115], v[72:73]
	ds_read2_b64 v[112:115], v124 offset0:6 offset1:7
	s_waitcnt lgkmcnt(1)
	v_mul_f64 v[72:73], v[132:133], v[74:75]
	v_fma_f64 v[72:73], v[130:131], v[122:123], -v[72:73]
	v_mul_f64 v[130:131], v[130:131], v[74:75]
	v_fmac_f64_e32 v[130:131], v[132:133], v[122:123]
	s_waitcnt vmcnt(25)
	v_add_f64 v[104:105], v[104:105], -v[72:73]
	s_waitcnt lgkmcnt(0)
	v_mul_f64 v[72:73], v[114:115], v[74:75]
	v_add_f64 v[106:107], v[106:107], -v[130:131]
	v_fma_f64 v[72:73], v[112:113], v[122:123], -v[72:73]
	v_mul_f64 v[112:113], v[112:113], v[74:75]
	ds_read2_b64 v[130:133], v124 offset0:8 offset1:9
	v_fmac_f64_e32 v[112:113], v[114:115], v[122:123]
	s_waitcnt vmcnt(24)
	v_add_f64 v[102:103], v[102:103], -v[112:113]
	ds_read2_b64 v[112:115], v124 offset0:10 offset1:11
	v_add_f64 v[100:101], v[100:101], -v[72:73]
	s_waitcnt lgkmcnt(1)
	v_mul_f64 v[72:73], v[132:133], v[74:75]
	v_fma_f64 v[72:73], v[130:131], v[122:123], -v[72:73]
	v_mul_f64 v[130:131], v[130:131], v[74:75]
	v_fmac_f64_e32 v[130:131], v[132:133], v[122:123]
	s_waitcnt vmcnt(23)
	v_add_f64 v[96:97], v[96:97], -v[72:73]
	s_waitcnt lgkmcnt(0)
	v_mul_f64 v[72:73], v[114:115], v[74:75]
	v_add_f64 v[98:99], v[98:99], -v[130:131]
	v_fma_f64 v[72:73], v[112:113], v[122:123], -v[72:73]
	v_mul_f64 v[112:113], v[112:113], v[74:75]
	ds_read2_b64 v[130:133], v124 offset0:12 offset1:13
	v_fmac_f64_e32 v[112:113], v[114:115], v[122:123]
	s_waitcnt vmcnt(22)
	v_add_f64 v[94:95], v[94:95], -v[112:113]
	ds_read2_b64 v[112:115], v124 offset0:14 offset1:15
	v_add_f64 v[92:93], v[92:93], -v[72:73]
	;; [unrolled: 18-line block ×12, first 2 shown]
	s_waitcnt lgkmcnt(1)
	v_mul_f64 v[72:73], v[132:133], v[74:75]
	v_fma_f64 v[72:73], v[130:131], v[122:123], -v[72:73]
	s_waitcnt vmcnt(1)
	v_add_f64 v[0:1], v[0:1], -v[72:73]
	s_waitcnt lgkmcnt(0)
	v_mul_f64 v[72:73], v[114:115], v[74:75]
	v_mul_f64 v[130:131], v[130:131], v[74:75]
	v_fma_f64 v[72:73], v[112:113], v[122:123], -v[72:73]
	v_mul_f64 v[112:113], v[112:113], v[74:75]
	v_fmac_f64_e32 v[130:131], v[132:133], v[122:123]
	v_fmac_f64_e32 v[112:113], v[114:115], v[122:123]
	v_add_f64 v[2:3], v[2:3], -v[130:131]
	s_waitcnt vmcnt(0)
	v_add_f64 v[108:109], v[108:109], -v[72:73]
	v_add_f64 v[110:111], v[110:111], -v[112:113]
	v_mov_b64_e32 v[72:73], v[122:123]
.LBB54_41:
	s_or_b64 exec, exec, s[0:1]
	v_lshl_add_u32 v112, v125, 4, v124
	s_barrier
	s_waitcnt vmcnt(25)
	ds_write2_b64 v112, v[104:105], v[106:107] offset1:1
	s_waitcnt lgkmcnt(0)
	s_barrier
	ds_read2_b64 v[112:115], v124 offset0:4 offset1:5
	s_cmp_lt_i32 s20, 4
	v_mov_b32_e32 v122, 2
	s_cbranch_scc1 .LBB54_44
; %bb.42:
	v_add3_u32 v123, v128, 0, 48
	s_mov_b32 s16, 3
	v_mov_b32_e32 v122, 2
.LBB54_43:                              ; =>This Inner Loop Header: Depth=1
	ds_read2_b64 v[130:133], v123 offset1:1
	s_waitcnt lgkmcnt(1)
	v_xor_b32_e32 v129, 0x80000000, v113
	v_xor_b32_e32 v137, 0x80000000, v115
	v_cmp_gt_f64_e32 vcc, 0, v[114:115]
	v_cmp_gt_f64_e64 s[0:1], 0, v[112:113]
	v_mov_b32_e32 v134, v112
	v_mov_b32_e32 v136, v114
	v_cndmask_b32_e64 v135, v113, v129, s[0:1]
	v_cndmask_b32_e32 v137, v115, v137, vcc
	s_waitcnt lgkmcnt(0)
	v_xor_b32_e32 v129, 0x80000000, v131
	v_xor_b32_e32 v139, 0x80000000, v133
	v_cmp_gt_f64_e32 vcc, 0, v[132:133]
	v_cmp_gt_f64_e64 s[0:1], 0, v[130:131]
	v_add_f64 v[134:135], v[134:135], v[136:137]
	v_mov_b32_e32 v136, v130
	v_mov_b32_e32 v138, v132
	v_cndmask_b32_e64 v137, v131, v129, s[0:1]
	v_cndmask_b32_e32 v139, v133, v139, vcc
	v_add_f64 v[136:137], v[136:137], v[138:139]
	v_mov_b32_e32 v140, s16
	s_add_i32 s16, s16, 1
	v_cmp_lt_f64_e32 vcc, v[134:135], v[136:137]
	v_add_u32_e32 v123, 16, v123
	s_cmp_lg_u32 s20, s16
	v_cndmask_b32_e32 v113, v113, v131, vcc
	v_cndmask_b32_e32 v112, v112, v130, vcc
	;; [unrolled: 1-line block ×5, first 2 shown]
	s_cbranch_scc1 .LBB54_43
.LBB54_44:
	s_waitcnt lgkmcnt(0)
	v_cmp_eq_f64_e32 vcc, 0, v[112:113]
	v_cmp_eq_f64_e64 s[0:1], 0, v[114:115]
	s_and_b64 s[0:1], vcc, s[0:1]
	s_and_saveexec_b64 s[16:17], s[0:1]
	s_xor_b64 s[0:1], exec, s[16:17]
; %bb.45:
	v_cmp_ne_u32_e32 vcc, 0, v126
	s_nop 1
	v_cndmask_b32_e32 v126, 3, v126, vcc
; %bb.46:
	s_andn2_saveexec_b64 s[0:1], s[0:1]
	s_cbranch_execz .LBB54_52
; %bb.47:
	v_cmp_ngt_f64_e64 s[16:17], |v[112:113]|, |v[114:115]|
	s_and_saveexec_b64 s[18:19], s[16:17]
	s_xor_b64 s[16:17], exec, s[18:19]
	s_cbranch_execz .LBB54_49
; %bb.48:
	v_div_scale_f64 v[130:131], s[18:19], v[114:115], v[114:115], v[112:113]
	v_rcp_f64_e32 v[132:133], v[130:131]
	v_div_scale_f64 v[134:135], vcc, v[112:113], v[114:115], v[112:113]
	v_fma_f64 v[136:137], -v[130:131], v[132:133], 1.0
	v_fmac_f64_e32 v[132:133], v[132:133], v[136:137]
	v_fma_f64 v[136:137], -v[130:131], v[132:133], 1.0
	v_fmac_f64_e32 v[132:133], v[132:133], v[136:137]
	v_mul_f64 v[136:137], v[134:135], v[132:133]
	v_fma_f64 v[130:131], -v[130:131], v[136:137], v[134:135]
	v_div_fmas_f64 v[130:131], v[130:131], v[132:133], v[136:137]
	v_div_fixup_f64 v[130:131], v[130:131], v[114:115], v[112:113]
	v_fmac_f64_e32 v[114:115], v[112:113], v[130:131]
	v_div_scale_f64 v[112:113], s[18:19], v[114:115], v[114:115], 1.0
	v_rcp_f64_e32 v[132:133], v[112:113]
	s_nop 0
	v_fma_f64 v[134:135], -v[112:113], v[132:133], 1.0
	v_fmac_f64_e32 v[132:133], v[132:133], v[134:135]
	v_fma_f64 v[134:135], -v[112:113], v[132:133], 1.0
	v_fmac_f64_e32 v[132:133], v[132:133], v[134:135]
	v_div_scale_f64 v[134:135], vcc, 1.0, v[114:115], 1.0
	v_mul_f64 v[136:137], v[134:135], v[132:133]
	v_fma_f64 v[112:113], -v[112:113], v[136:137], v[134:135]
	s_nop 1
	v_div_fmas_f64 v[112:113], v[112:113], v[132:133], v[136:137]
	v_div_fixup_f64 v[114:115], v[112:113], v[114:115], 1.0
	v_mul_f64 v[112:113], v[130:131], v[114:115]
	v_xor_b32_e32 v115, 0x80000000, v115
.LBB54_49:
	s_andn2_saveexec_b64 s[16:17], s[16:17]
	s_cbranch_execz .LBB54_51
; %bb.50:
	v_div_scale_f64 v[130:131], s[18:19], v[112:113], v[112:113], v[114:115]
	v_rcp_f64_e32 v[132:133], v[130:131]
	v_div_scale_f64 v[134:135], vcc, v[114:115], v[112:113], v[114:115]
	v_fma_f64 v[136:137], -v[130:131], v[132:133], 1.0
	v_fmac_f64_e32 v[132:133], v[132:133], v[136:137]
	v_fma_f64 v[136:137], -v[130:131], v[132:133], 1.0
	v_fmac_f64_e32 v[132:133], v[132:133], v[136:137]
	v_mul_f64 v[136:137], v[134:135], v[132:133]
	v_fma_f64 v[130:131], -v[130:131], v[136:137], v[134:135]
	v_div_fmas_f64 v[130:131], v[130:131], v[132:133], v[136:137]
	v_div_fixup_f64 v[130:131], v[130:131], v[112:113], v[114:115]
	v_fmac_f64_e32 v[112:113], v[114:115], v[130:131]
	v_div_scale_f64 v[114:115], s[18:19], v[112:113], v[112:113], 1.0
	v_rcp_f64_e32 v[132:133], v[114:115]
	s_nop 0
	v_fma_f64 v[134:135], -v[114:115], v[132:133], 1.0
	v_fmac_f64_e32 v[132:133], v[132:133], v[134:135]
	v_fma_f64 v[134:135], -v[114:115], v[132:133], 1.0
	v_fmac_f64_e32 v[132:133], v[132:133], v[134:135]
	v_div_scale_f64 v[134:135], vcc, 1.0, v[112:113], 1.0
	v_mul_f64 v[136:137], v[134:135], v[132:133]
	v_fma_f64 v[114:115], -v[114:115], v[136:137], v[134:135]
	s_nop 1
	v_div_fmas_f64 v[114:115], v[114:115], v[132:133], v[136:137]
	v_div_fixup_f64 v[112:113], v[114:115], v[112:113], 1.0
	v_mul_f64 v[114:115], v[130:131], -v[112:113]
.LBB54_51:
	s_or_b64 exec, exec, s[16:17]
.LBB54_52:
	s_or_b64 exec, exec, s[0:1]
	v_cmp_ne_u32_e32 vcc, v125, v122
	s_and_saveexec_b64 s[0:1], vcc
	s_xor_b64 s[0:1], exec, s[0:1]
	s_cbranch_execz .LBB54_58
; %bb.53:
	v_cmp_eq_u32_e32 vcc, 2, v125
	s_and_saveexec_b64 s[16:17], vcc
	s_cbranch_execz .LBB54_57
; %bb.54:
	v_cmp_ne_u32_e32 vcc, 2, v122
	s_xor_b64 s[18:19], s[14:15], -1
	s_and_b64 s[22:23], s[18:19], vcc
	s_and_saveexec_b64 s[18:19], s[22:23]
	s_cbranch_execz .LBB54_56
; %bb.55:
	v_ashrrev_i32_e32 v123, 31, v122
	v_lshl_add_u64 v[130:131], v[122:123], 2, v[120:121]
	global_load_dword v123, v[130:131], off
	global_load_dword v125, v[120:121], off offset:8
	s_waitcnt vmcnt(1)
	global_store_dword v[120:121], v123, off offset:8
	s_waitcnt vmcnt(1)
	global_store_dword v[130:131], v125, off
.LBB54_56:
	s_or_b64 exec, exec, s[18:19]
	v_mov_b32_e32 v125, v122
	v_mov_b32_e32 v127, v122
.LBB54_57:
	s_or_b64 exec, exec, s[16:17]
.LBB54_58:
	s_andn2_saveexec_b64 s[0:1], s[0:1]
	s_cbranch_execz .LBB54_60
; %bb.59:
	v_mov_b32_e32 v125, 2
	s_waitcnt vmcnt(24)
	ds_write2_b64 v124, v[100:101], v[102:103] offset0:6 offset1:7
	s_waitcnt vmcnt(23)
	ds_write2_b64 v124, v[96:97], v[98:99] offset0:8 offset1:9
	;; [unrolled: 2-line block ×25, first 2 shown]
.LBB54_60:
	s_or_b64 exec, exec, s[0:1]
	v_cmp_lt_i32_e32 vcc, 2, v125
	s_waitcnt lgkmcnt(0)
	s_barrier
	s_and_saveexec_b64 s[0:1], vcc
	s_cbranch_execz .LBB54_62
; %bb.61:
	ds_read2_b64 v[130:133], v124 offset0:6 offset1:7
	v_mul_f64 v[122:123], v[114:115], v[106:107]
	v_mul_f64 v[106:107], v[112:113], v[106:107]
	v_fmac_f64_e32 v[106:107], v[114:115], v[104:105]
	v_fma_f64 v[122:123], v[112:113], v[104:105], -v[122:123]
	ds_read2_b64 v[112:115], v124 offset0:8 offset1:9
	s_waitcnt lgkmcnt(1)
	v_mul_f64 v[104:105], v[132:133], v[106:107]
	v_fma_f64 v[104:105], v[130:131], v[122:123], -v[104:105]
	v_mul_f64 v[130:131], v[130:131], v[106:107]
	v_fmac_f64_e32 v[130:131], v[132:133], v[122:123]
	s_waitcnt vmcnt(24)
	v_add_f64 v[102:103], v[102:103], -v[130:131]
	ds_read2_b64 v[130:133], v124 offset0:10 offset1:11
	v_add_f64 v[100:101], v[100:101], -v[104:105]
	s_waitcnt lgkmcnt(1)
	v_mul_f64 v[104:105], v[114:115], v[106:107]
	v_fma_f64 v[104:105], v[112:113], v[122:123], -v[104:105]
	v_mul_f64 v[112:113], v[112:113], v[106:107]
	v_fmac_f64_e32 v[112:113], v[114:115], v[122:123]
	s_waitcnt vmcnt(23)
	v_add_f64 v[96:97], v[96:97], -v[104:105]
	v_add_f64 v[98:99], v[98:99], -v[112:113]
	ds_read2_b64 v[112:115], v124 offset0:12 offset1:13
	s_waitcnt lgkmcnt(1)
	v_mul_f64 v[104:105], v[132:133], v[106:107]
	v_fma_f64 v[104:105], v[130:131], v[122:123], -v[104:105]
	v_mul_f64 v[130:131], v[130:131], v[106:107]
	v_fmac_f64_e32 v[130:131], v[132:133], v[122:123]
	s_waitcnt vmcnt(22)
	v_add_f64 v[94:95], v[94:95], -v[130:131]
	ds_read2_b64 v[130:133], v124 offset0:14 offset1:15
	v_add_f64 v[92:93], v[92:93], -v[104:105]
	s_waitcnt lgkmcnt(1)
	v_mul_f64 v[104:105], v[114:115], v[106:107]
	v_fma_f64 v[104:105], v[112:113], v[122:123], -v[104:105]
	v_mul_f64 v[112:113], v[112:113], v[106:107]
	v_fmac_f64_e32 v[112:113], v[114:115], v[122:123]
	s_waitcnt vmcnt(21)
	v_add_f64 v[88:89], v[88:89], -v[104:105]
	v_add_f64 v[90:91], v[90:91], -v[112:113]
	;; [unrolled: 18-line block ×12, first 2 shown]
	s_waitcnt lgkmcnt(0)
	v_mul_f64 v[104:105], v[132:133], v[106:107]
	v_mul_f64 v[112:113], v[130:131], v[106:107]
	v_fma_f64 v[104:105], v[130:131], v[122:123], -v[104:105]
	v_fmac_f64_e32 v[112:113], v[132:133], v[122:123]
	s_waitcnt vmcnt(0)
	v_add_f64 v[108:109], v[108:109], -v[104:105]
	v_add_f64 v[110:111], v[110:111], -v[112:113]
	v_mov_b64_e32 v[104:105], v[122:123]
.LBB54_62:
	s_or_b64 exec, exec, s[0:1]
	v_lshl_add_u32 v112, v125, 4, v124
	s_barrier
	s_waitcnt vmcnt(24)
	ds_write2_b64 v112, v[100:101], v[102:103] offset1:1
	s_waitcnt lgkmcnt(0)
	s_barrier
	ds_read2_b64 v[112:115], v124 offset0:6 offset1:7
	s_mov_b32 s16, 4
	s_cmp_lt_i32 s20, 5
	v_mov_b32_e32 v122, 3
	s_cbranch_scc1 .LBB54_65
; %bb.63:
	v_add3_u32 v123, v128, 0, 64
	v_mov_b32_e32 v122, 3
.LBB54_64:                              ; =>This Inner Loop Header: Depth=1
	ds_read2_b64 v[128:131], v123 offset1:1
	s_waitcnt lgkmcnt(1)
	v_xor_b32_e32 v133, 0x80000000, v113
	v_xor_b32_e32 v135, 0x80000000, v115
	v_cmp_gt_f64_e32 vcc, 0, v[114:115]
	v_cmp_gt_f64_e64 s[0:1], 0, v[112:113]
	v_mov_b32_e32 v132, v112
	v_mov_b32_e32 v134, v114
	v_cndmask_b32_e64 v133, v113, v133, s[0:1]
	v_cndmask_b32_e32 v135, v115, v135, vcc
	v_add_f64 v[132:133], v[132:133], v[134:135]
	s_waitcnt lgkmcnt(0)
	v_xor_b32_e32 v135, 0x80000000, v129
	v_xor_b32_e32 v137, 0x80000000, v131
	v_cmp_gt_f64_e32 vcc, 0, v[130:131]
	v_cmp_gt_f64_e64 s[0:1], 0, v[128:129]
	v_mov_b32_e32 v134, v128
	v_mov_b32_e32 v136, v130
	v_cndmask_b32_e64 v135, v129, v135, s[0:1]
	v_cndmask_b32_e32 v137, v131, v137, vcc
	v_add_f64 v[134:135], v[134:135], v[136:137]
	v_mov_b32_e32 v138, s16
	s_add_i32 s16, s16, 1
	v_cmp_lt_f64_e32 vcc, v[132:133], v[134:135]
	v_add_u32_e32 v123, 16, v123
	s_cmp_lg_u32 s20, s16
	v_cndmask_b32_e32 v113, v113, v129, vcc
	v_cndmask_b32_e32 v112, v112, v128, vcc
	;; [unrolled: 1-line block ×5, first 2 shown]
	s_cbranch_scc1 .LBB54_64
.LBB54_65:
	s_waitcnt lgkmcnt(0)
	v_cmp_eq_f64_e32 vcc, 0, v[112:113]
	v_cmp_eq_f64_e64 s[0:1], 0, v[114:115]
	s_and_b64 s[0:1], vcc, s[0:1]
	s_and_saveexec_b64 s[16:17], s[0:1]
	s_xor_b64 s[0:1], exec, s[16:17]
; %bb.66:
	v_cmp_ne_u32_e32 vcc, 0, v126
	s_nop 1
	v_cndmask_b32_e32 v126, 4, v126, vcc
; %bb.67:
	s_andn2_saveexec_b64 s[0:1], s[0:1]
	s_cbranch_execz .LBB54_73
; %bb.68:
	v_cmp_ngt_f64_e64 s[16:17], |v[112:113]|, |v[114:115]|
	s_and_saveexec_b64 s[18:19], s[16:17]
	s_xor_b64 s[16:17], exec, s[18:19]
	s_cbranch_execz .LBB54_70
; %bb.69:
	v_div_scale_f64 v[128:129], s[18:19], v[114:115], v[114:115], v[112:113]
	v_rcp_f64_e32 v[130:131], v[128:129]
	v_div_scale_f64 v[132:133], vcc, v[112:113], v[114:115], v[112:113]
	v_fma_f64 v[134:135], -v[128:129], v[130:131], 1.0
	v_fmac_f64_e32 v[130:131], v[130:131], v[134:135]
	v_fma_f64 v[134:135], -v[128:129], v[130:131], 1.0
	v_fmac_f64_e32 v[130:131], v[130:131], v[134:135]
	v_mul_f64 v[134:135], v[132:133], v[130:131]
	v_fma_f64 v[128:129], -v[128:129], v[134:135], v[132:133]
	v_div_fmas_f64 v[128:129], v[128:129], v[130:131], v[134:135]
	v_div_fixup_f64 v[128:129], v[128:129], v[114:115], v[112:113]
	v_fmac_f64_e32 v[114:115], v[112:113], v[128:129]
	v_div_scale_f64 v[112:113], s[18:19], v[114:115], v[114:115], 1.0
	v_rcp_f64_e32 v[130:131], v[112:113]
	s_nop 0
	v_fma_f64 v[132:133], -v[112:113], v[130:131], 1.0
	v_fmac_f64_e32 v[130:131], v[130:131], v[132:133]
	v_fma_f64 v[132:133], -v[112:113], v[130:131], 1.0
	v_fmac_f64_e32 v[130:131], v[130:131], v[132:133]
	v_div_scale_f64 v[132:133], vcc, 1.0, v[114:115], 1.0
	v_mul_f64 v[134:135], v[132:133], v[130:131]
	v_fma_f64 v[112:113], -v[112:113], v[134:135], v[132:133]
	s_nop 1
	v_div_fmas_f64 v[112:113], v[112:113], v[130:131], v[134:135]
	v_div_fixup_f64 v[114:115], v[112:113], v[114:115], 1.0
	v_mul_f64 v[112:113], v[128:129], v[114:115]
	v_xor_b32_e32 v115, 0x80000000, v115
.LBB54_70:
	s_andn2_saveexec_b64 s[16:17], s[16:17]
	s_cbranch_execz .LBB54_72
; %bb.71:
	v_div_scale_f64 v[128:129], s[18:19], v[112:113], v[112:113], v[114:115]
	v_rcp_f64_e32 v[130:131], v[128:129]
	v_div_scale_f64 v[132:133], vcc, v[114:115], v[112:113], v[114:115]
	v_fma_f64 v[134:135], -v[128:129], v[130:131], 1.0
	v_fmac_f64_e32 v[130:131], v[130:131], v[134:135]
	v_fma_f64 v[134:135], -v[128:129], v[130:131], 1.0
	v_fmac_f64_e32 v[130:131], v[130:131], v[134:135]
	v_mul_f64 v[134:135], v[132:133], v[130:131]
	v_fma_f64 v[128:129], -v[128:129], v[134:135], v[132:133]
	v_div_fmas_f64 v[128:129], v[128:129], v[130:131], v[134:135]
	v_div_fixup_f64 v[128:129], v[128:129], v[112:113], v[114:115]
	v_fmac_f64_e32 v[112:113], v[114:115], v[128:129]
	v_div_scale_f64 v[114:115], s[18:19], v[112:113], v[112:113], 1.0
	v_rcp_f64_e32 v[130:131], v[114:115]
	s_nop 0
	v_fma_f64 v[132:133], -v[114:115], v[130:131], 1.0
	v_fmac_f64_e32 v[130:131], v[130:131], v[132:133]
	v_fma_f64 v[132:133], -v[114:115], v[130:131], 1.0
	v_fmac_f64_e32 v[130:131], v[130:131], v[132:133]
	v_div_scale_f64 v[132:133], vcc, 1.0, v[112:113], 1.0
	v_mul_f64 v[134:135], v[132:133], v[130:131]
	v_fma_f64 v[114:115], -v[114:115], v[134:135], v[132:133]
	s_nop 1
	v_div_fmas_f64 v[114:115], v[114:115], v[130:131], v[134:135]
	v_div_fixup_f64 v[112:113], v[114:115], v[112:113], 1.0
	v_mul_f64 v[114:115], v[128:129], -v[112:113]
.LBB54_72:
	s_or_b64 exec, exec, s[16:17]
.LBB54_73:
	s_or_b64 exec, exec, s[0:1]
	v_cmp_ne_u32_e32 vcc, v125, v122
	s_and_saveexec_b64 s[0:1], vcc
	s_xor_b64 s[0:1], exec, s[0:1]
	s_cbranch_execz .LBB54_79
; %bb.74:
	v_cmp_eq_u32_e32 vcc, 3, v125
	s_and_saveexec_b64 s[16:17], vcc
	s_cbranch_execz .LBB54_78
; %bb.75:
	v_cmp_ne_u32_e32 vcc, 3, v122
	s_xor_b64 s[18:19], s[14:15], -1
	s_and_b64 s[22:23], s[18:19], vcc
	s_and_saveexec_b64 s[18:19], s[22:23]
	s_cbranch_execz .LBB54_77
; %bb.76:
	v_ashrrev_i32_e32 v123, 31, v122
	v_lshl_add_u64 v[128:129], v[122:123], 2, v[120:121]
	global_load_dword v123, v[128:129], off
	global_load_dword v125, v[120:121], off offset:12
	s_waitcnt vmcnt(1)
	global_store_dword v[120:121], v123, off offset:12
	s_waitcnt vmcnt(1)
	global_store_dword v[128:129], v125, off
.LBB54_77:
	s_or_b64 exec, exec, s[18:19]
	v_mov_b32_e32 v125, v122
	v_mov_b32_e32 v127, v122
.LBB54_78:
	s_or_b64 exec, exec, s[16:17]
.LBB54_79:
	s_andn2_saveexec_b64 s[0:1], s[0:1]
	s_cbranch_execz .LBB54_81
; %bb.80:
	v_mov_b32_e32 v125, 3
	s_waitcnt vmcnt(23)
	ds_write2_b64 v124, v[96:97], v[98:99] offset0:8 offset1:9
	s_waitcnt vmcnt(22)
	ds_write2_b64 v124, v[92:93], v[94:95] offset0:10 offset1:11
	;; [unrolled: 2-line block ×24, first 2 shown]
.LBB54_81:
	s_or_b64 exec, exec, s[0:1]
	v_cmp_lt_i32_e32 vcc, 3, v125
	s_waitcnt lgkmcnt(0)
	s_barrier
	s_and_saveexec_b64 s[0:1], vcc
	s_cbranch_execz .LBB54_83
; %bb.82:
	ds_read2_b64 v[128:131], v124 offset0:8 offset1:9
	v_mul_f64 v[122:123], v[114:115], v[102:103]
	v_mul_f64 v[102:103], v[112:113], v[102:103]
	v_fma_f64 v[122:123], v[112:113], v[100:101], -v[122:123]
	v_fmac_f64_e32 v[102:103], v[114:115], v[100:101]
	ds_read2_b64 v[112:115], v124 offset0:10 offset1:11
	s_waitcnt lgkmcnt(1)
	v_mul_f64 v[100:101], v[130:131], v[102:103]
	v_fma_f64 v[100:101], v[128:129], v[122:123], -v[100:101]
	v_mul_f64 v[128:129], v[128:129], v[102:103]
	v_fmac_f64_e32 v[128:129], v[130:131], v[122:123]
	s_waitcnt vmcnt(23)
	v_add_f64 v[96:97], v[96:97], -v[100:101]
	s_waitcnt lgkmcnt(0)
	v_mul_f64 v[100:101], v[114:115], v[102:103]
	v_add_f64 v[98:99], v[98:99], -v[128:129]
	v_fma_f64 v[100:101], v[112:113], v[122:123], -v[100:101]
	v_mul_f64 v[112:113], v[112:113], v[102:103]
	ds_read2_b64 v[128:131], v124 offset0:12 offset1:13
	v_fmac_f64_e32 v[112:113], v[114:115], v[122:123]
	s_waitcnt vmcnt(22)
	v_add_f64 v[94:95], v[94:95], -v[112:113]
	ds_read2_b64 v[112:115], v124 offset0:14 offset1:15
	v_add_f64 v[92:93], v[92:93], -v[100:101]
	s_waitcnt lgkmcnt(1)
	v_mul_f64 v[100:101], v[130:131], v[102:103]
	v_fma_f64 v[100:101], v[128:129], v[122:123], -v[100:101]
	v_mul_f64 v[128:129], v[128:129], v[102:103]
	v_fmac_f64_e32 v[128:129], v[130:131], v[122:123]
	s_waitcnt vmcnt(21)
	v_add_f64 v[88:89], v[88:89], -v[100:101]
	s_waitcnt lgkmcnt(0)
	v_mul_f64 v[100:101], v[114:115], v[102:103]
	v_add_f64 v[90:91], v[90:91], -v[128:129]
	v_fma_f64 v[100:101], v[112:113], v[122:123], -v[100:101]
	v_mul_f64 v[112:113], v[112:113], v[102:103]
	ds_read2_b64 v[128:131], v124 offset0:16 offset1:17
	v_fmac_f64_e32 v[112:113], v[114:115], v[122:123]
	s_waitcnt vmcnt(20)
	v_add_f64 v[86:87], v[86:87], -v[112:113]
	ds_read2_b64 v[112:115], v124 offset0:18 offset1:19
	v_add_f64 v[84:85], v[84:85], -v[100:101]
	;; [unrolled: 18-line block ×11, first 2 shown]
	s_waitcnt lgkmcnt(1)
	v_mul_f64 v[100:101], v[130:131], v[102:103]
	v_fma_f64 v[100:101], v[128:129], v[122:123], -v[100:101]
	s_waitcnt vmcnt(1)
	v_add_f64 v[0:1], v[0:1], -v[100:101]
	s_waitcnt lgkmcnt(0)
	v_mul_f64 v[100:101], v[114:115], v[102:103]
	v_mul_f64 v[128:129], v[128:129], v[102:103]
	v_fma_f64 v[100:101], v[112:113], v[122:123], -v[100:101]
	v_mul_f64 v[112:113], v[112:113], v[102:103]
	v_fmac_f64_e32 v[128:129], v[130:131], v[122:123]
	v_fmac_f64_e32 v[112:113], v[114:115], v[122:123]
	v_add_f64 v[2:3], v[2:3], -v[128:129]
	s_waitcnt vmcnt(0)
	v_add_f64 v[108:109], v[108:109], -v[100:101]
	v_add_f64 v[110:111], v[110:111], -v[112:113]
	v_mov_b64_e32 v[100:101], v[122:123]
.LBB54_83:
	s_or_b64 exec, exec, s[0:1]
	v_lshl_add_u32 v112, v125, 4, v124
	s_barrier
	s_waitcnt vmcnt(23)
	ds_write2_b64 v112, v[96:97], v[98:99] offset1:1
	s_waitcnt lgkmcnt(0)
	s_barrier
	ds_read2_b64 v[112:115], v124 offset0:8 offset1:9
	s_cmp_lt_i32 s20, 6
	v_mov_b32_e32 v122, 4
	s_cbranch_scc1 .LBB54_86
; %bb.84:
	v_mov_b32_e32 v122, 4
	v_add_u32_e32 v123, 0x50, v124
	s_mov_b32 s16, 5
.LBB54_85:                              ; =>This Inner Loop Header: Depth=1
	ds_read2_b64 v[128:131], v123 offset1:1
	s_waitcnt lgkmcnt(1)
	v_xor_b32_e32 v133, 0x80000000, v113
	v_xor_b32_e32 v135, 0x80000000, v115
	v_cmp_gt_f64_e32 vcc, 0, v[114:115]
	v_cmp_gt_f64_e64 s[0:1], 0, v[112:113]
	v_mov_b32_e32 v132, v112
	v_mov_b32_e32 v134, v114
	v_cndmask_b32_e64 v133, v113, v133, s[0:1]
	v_cndmask_b32_e32 v135, v115, v135, vcc
	v_add_f64 v[132:133], v[132:133], v[134:135]
	s_waitcnt lgkmcnt(0)
	v_xor_b32_e32 v135, 0x80000000, v129
	v_xor_b32_e32 v137, 0x80000000, v131
	v_cmp_gt_f64_e32 vcc, 0, v[130:131]
	v_cmp_gt_f64_e64 s[0:1], 0, v[128:129]
	v_mov_b32_e32 v134, v128
	v_mov_b32_e32 v136, v130
	v_cndmask_b32_e64 v135, v129, v135, s[0:1]
	v_cndmask_b32_e32 v137, v131, v137, vcc
	v_add_f64 v[134:135], v[134:135], v[136:137]
	v_mov_b32_e32 v138, s16
	s_add_i32 s16, s16, 1
	v_cmp_lt_f64_e32 vcc, v[132:133], v[134:135]
	v_add_u32_e32 v123, 16, v123
	s_cmp_lg_u32 s20, s16
	v_cndmask_b32_e32 v113, v113, v129, vcc
	v_cndmask_b32_e32 v112, v112, v128, vcc
	;; [unrolled: 1-line block ×5, first 2 shown]
	s_cbranch_scc1 .LBB54_85
.LBB54_86:
	s_waitcnt lgkmcnt(0)
	v_cmp_eq_f64_e32 vcc, 0, v[112:113]
	v_cmp_eq_f64_e64 s[0:1], 0, v[114:115]
	s_and_b64 s[0:1], vcc, s[0:1]
	s_and_saveexec_b64 s[16:17], s[0:1]
	s_xor_b64 s[0:1], exec, s[16:17]
; %bb.87:
	v_cmp_ne_u32_e32 vcc, 0, v126
	s_nop 1
	v_cndmask_b32_e32 v126, 5, v126, vcc
; %bb.88:
	s_andn2_saveexec_b64 s[0:1], s[0:1]
	s_cbranch_execz .LBB54_94
; %bb.89:
	v_cmp_ngt_f64_e64 s[16:17], |v[112:113]|, |v[114:115]|
	s_and_saveexec_b64 s[18:19], s[16:17]
	s_xor_b64 s[16:17], exec, s[18:19]
	s_cbranch_execz .LBB54_91
; %bb.90:
	v_div_scale_f64 v[128:129], s[18:19], v[114:115], v[114:115], v[112:113]
	v_rcp_f64_e32 v[130:131], v[128:129]
	v_div_scale_f64 v[132:133], vcc, v[112:113], v[114:115], v[112:113]
	v_fma_f64 v[134:135], -v[128:129], v[130:131], 1.0
	v_fmac_f64_e32 v[130:131], v[130:131], v[134:135]
	v_fma_f64 v[134:135], -v[128:129], v[130:131], 1.0
	v_fmac_f64_e32 v[130:131], v[130:131], v[134:135]
	v_mul_f64 v[134:135], v[132:133], v[130:131]
	v_fma_f64 v[128:129], -v[128:129], v[134:135], v[132:133]
	v_div_fmas_f64 v[128:129], v[128:129], v[130:131], v[134:135]
	v_div_fixup_f64 v[128:129], v[128:129], v[114:115], v[112:113]
	v_fmac_f64_e32 v[114:115], v[112:113], v[128:129]
	v_div_scale_f64 v[112:113], s[18:19], v[114:115], v[114:115], 1.0
	v_rcp_f64_e32 v[130:131], v[112:113]
	s_nop 0
	v_fma_f64 v[132:133], -v[112:113], v[130:131], 1.0
	v_fmac_f64_e32 v[130:131], v[130:131], v[132:133]
	v_fma_f64 v[132:133], -v[112:113], v[130:131], 1.0
	v_fmac_f64_e32 v[130:131], v[130:131], v[132:133]
	v_div_scale_f64 v[132:133], vcc, 1.0, v[114:115], 1.0
	v_mul_f64 v[134:135], v[132:133], v[130:131]
	v_fma_f64 v[112:113], -v[112:113], v[134:135], v[132:133]
	s_nop 1
	v_div_fmas_f64 v[112:113], v[112:113], v[130:131], v[134:135]
	v_div_fixup_f64 v[114:115], v[112:113], v[114:115], 1.0
	v_mul_f64 v[112:113], v[128:129], v[114:115]
	v_xor_b32_e32 v115, 0x80000000, v115
.LBB54_91:
	s_andn2_saveexec_b64 s[16:17], s[16:17]
	s_cbranch_execz .LBB54_93
; %bb.92:
	v_div_scale_f64 v[128:129], s[18:19], v[112:113], v[112:113], v[114:115]
	v_rcp_f64_e32 v[130:131], v[128:129]
	v_div_scale_f64 v[132:133], vcc, v[114:115], v[112:113], v[114:115]
	v_fma_f64 v[134:135], -v[128:129], v[130:131], 1.0
	v_fmac_f64_e32 v[130:131], v[130:131], v[134:135]
	v_fma_f64 v[134:135], -v[128:129], v[130:131], 1.0
	v_fmac_f64_e32 v[130:131], v[130:131], v[134:135]
	v_mul_f64 v[134:135], v[132:133], v[130:131]
	v_fma_f64 v[128:129], -v[128:129], v[134:135], v[132:133]
	v_div_fmas_f64 v[128:129], v[128:129], v[130:131], v[134:135]
	v_div_fixup_f64 v[128:129], v[128:129], v[112:113], v[114:115]
	v_fmac_f64_e32 v[112:113], v[114:115], v[128:129]
	v_div_scale_f64 v[114:115], s[18:19], v[112:113], v[112:113], 1.0
	v_rcp_f64_e32 v[130:131], v[114:115]
	s_nop 0
	v_fma_f64 v[132:133], -v[114:115], v[130:131], 1.0
	v_fmac_f64_e32 v[130:131], v[130:131], v[132:133]
	v_fma_f64 v[132:133], -v[114:115], v[130:131], 1.0
	v_fmac_f64_e32 v[130:131], v[130:131], v[132:133]
	v_div_scale_f64 v[132:133], vcc, 1.0, v[112:113], 1.0
	v_mul_f64 v[134:135], v[132:133], v[130:131]
	v_fma_f64 v[114:115], -v[114:115], v[134:135], v[132:133]
	s_nop 1
	v_div_fmas_f64 v[114:115], v[114:115], v[130:131], v[134:135]
	v_div_fixup_f64 v[112:113], v[114:115], v[112:113], 1.0
	v_mul_f64 v[114:115], v[128:129], -v[112:113]
.LBB54_93:
	s_or_b64 exec, exec, s[16:17]
.LBB54_94:
	s_or_b64 exec, exec, s[0:1]
	v_cmp_ne_u32_e32 vcc, v125, v122
	s_and_saveexec_b64 s[0:1], vcc
	s_xor_b64 s[0:1], exec, s[0:1]
	s_cbranch_execz .LBB54_100
; %bb.95:
	v_cmp_eq_u32_e32 vcc, 4, v125
	s_and_saveexec_b64 s[16:17], vcc
	s_cbranch_execz .LBB54_99
; %bb.96:
	v_cmp_ne_u32_e32 vcc, 4, v122
	s_xor_b64 s[18:19], s[14:15], -1
	s_and_b64 s[22:23], s[18:19], vcc
	s_and_saveexec_b64 s[18:19], s[22:23]
	s_cbranch_execz .LBB54_98
; %bb.97:
	v_ashrrev_i32_e32 v123, 31, v122
	v_lshl_add_u64 v[128:129], v[122:123], 2, v[120:121]
	global_load_dword v123, v[128:129], off
	global_load_dword v125, v[120:121], off offset:16
	s_waitcnt vmcnt(1)
	global_store_dword v[120:121], v123, off offset:16
	s_waitcnt vmcnt(1)
	global_store_dword v[128:129], v125, off
.LBB54_98:
	s_or_b64 exec, exec, s[18:19]
	v_mov_b32_e32 v125, v122
	v_mov_b32_e32 v127, v122
.LBB54_99:
	s_or_b64 exec, exec, s[16:17]
.LBB54_100:
	s_andn2_saveexec_b64 s[0:1], s[0:1]
	s_cbranch_execz .LBB54_102
; %bb.101:
	v_mov_b32_e32 v125, 4
	s_waitcnt vmcnt(22)
	ds_write2_b64 v124, v[92:93], v[94:95] offset0:10 offset1:11
	s_waitcnt vmcnt(21)
	ds_write2_b64 v124, v[88:89], v[90:91] offset0:12 offset1:13
	;; [unrolled: 2-line block ×23, first 2 shown]
.LBB54_102:
	s_or_b64 exec, exec, s[0:1]
	v_cmp_lt_i32_e32 vcc, 4, v125
	s_waitcnt lgkmcnt(0)
	s_barrier
	s_and_saveexec_b64 s[0:1], vcc
	s_cbranch_execz .LBB54_104
; %bb.103:
	ds_read2_b64 v[128:131], v124 offset0:10 offset1:11
	v_mul_f64 v[122:123], v[114:115], v[98:99]
	v_mul_f64 v[98:99], v[112:113], v[98:99]
	v_fmac_f64_e32 v[98:99], v[114:115], v[96:97]
	v_fma_f64 v[122:123], v[112:113], v[96:97], -v[122:123]
	ds_read2_b64 v[112:115], v124 offset0:12 offset1:13
	s_waitcnt lgkmcnt(1)
	v_mul_f64 v[96:97], v[130:131], v[98:99]
	v_fma_f64 v[96:97], v[128:129], v[122:123], -v[96:97]
	v_mul_f64 v[128:129], v[128:129], v[98:99]
	v_fmac_f64_e32 v[128:129], v[130:131], v[122:123]
	s_waitcnt vmcnt(22)
	v_add_f64 v[94:95], v[94:95], -v[128:129]
	ds_read2_b64 v[128:131], v124 offset0:14 offset1:15
	v_add_f64 v[92:93], v[92:93], -v[96:97]
	s_waitcnt lgkmcnt(1)
	v_mul_f64 v[96:97], v[114:115], v[98:99]
	v_fma_f64 v[96:97], v[112:113], v[122:123], -v[96:97]
	v_mul_f64 v[112:113], v[112:113], v[98:99]
	v_fmac_f64_e32 v[112:113], v[114:115], v[122:123]
	s_waitcnt vmcnt(21)
	v_add_f64 v[88:89], v[88:89], -v[96:97]
	v_add_f64 v[90:91], v[90:91], -v[112:113]
	ds_read2_b64 v[112:115], v124 offset0:16 offset1:17
	s_waitcnt lgkmcnt(1)
	v_mul_f64 v[96:97], v[130:131], v[98:99]
	v_fma_f64 v[96:97], v[128:129], v[122:123], -v[96:97]
	v_mul_f64 v[128:129], v[128:129], v[98:99]
	v_fmac_f64_e32 v[128:129], v[130:131], v[122:123]
	s_waitcnt vmcnt(20)
	v_add_f64 v[86:87], v[86:87], -v[128:129]
	ds_read2_b64 v[128:131], v124 offset0:18 offset1:19
	v_add_f64 v[84:85], v[84:85], -v[96:97]
	s_waitcnt lgkmcnt(1)
	v_mul_f64 v[96:97], v[114:115], v[98:99]
	v_fma_f64 v[96:97], v[112:113], v[122:123], -v[96:97]
	v_mul_f64 v[112:113], v[112:113], v[98:99]
	v_fmac_f64_e32 v[112:113], v[114:115], v[122:123]
	s_waitcnt vmcnt(19)
	v_add_f64 v[80:81], v[80:81], -v[96:97]
	v_add_f64 v[82:83], v[82:83], -v[112:113]
	;; [unrolled: 18-line block ×11, first 2 shown]
	s_waitcnt lgkmcnt(0)
	v_mul_f64 v[96:97], v[130:131], v[98:99]
	v_mul_f64 v[112:113], v[128:129], v[98:99]
	v_fma_f64 v[96:97], v[128:129], v[122:123], -v[96:97]
	v_fmac_f64_e32 v[112:113], v[130:131], v[122:123]
	s_waitcnt vmcnt(0)
	v_add_f64 v[108:109], v[108:109], -v[96:97]
	v_add_f64 v[110:111], v[110:111], -v[112:113]
	v_mov_b64_e32 v[96:97], v[122:123]
.LBB54_104:
	s_or_b64 exec, exec, s[0:1]
	v_lshl_add_u32 v112, v125, 4, v124
	s_barrier
	s_waitcnt vmcnt(22)
	ds_write2_b64 v112, v[92:93], v[94:95] offset1:1
	s_waitcnt lgkmcnt(0)
	s_barrier
	ds_read2_b64 v[112:115], v124 offset0:10 offset1:11
	s_cmp_lt_i32 s20, 7
	v_mov_b32_e32 v122, 5
	s_cbranch_scc1 .LBB54_107
; %bb.105:
	v_add_u32_e32 v123, 0x60, v124
	s_mov_b32 s16, 6
	v_mov_b32_e32 v122, 5
.LBB54_106:                             ; =>This Inner Loop Header: Depth=1
	ds_read2_b64 v[128:131], v123 offset1:1
	s_waitcnt lgkmcnt(1)
	v_xor_b32_e32 v133, 0x80000000, v113
	v_xor_b32_e32 v135, 0x80000000, v115
	v_cmp_gt_f64_e32 vcc, 0, v[114:115]
	v_cmp_gt_f64_e64 s[0:1], 0, v[112:113]
	v_mov_b32_e32 v132, v112
	v_mov_b32_e32 v134, v114
	v_cndmask_b32_e64 v133, v113, v133, s[0:1]
	v_cndmask_b32_e32 v135, v115, v135, vcc
	v_add_f64 v[132:133], v[132:133], v[134:135]
	s_waitcnt lgkmcnt(0)
	v_xor_b32_e32 v135, 0x80000000, v129
	v_xor_b32_e32 v137, 0x80000000, v131
	v_cmp_gt_f64_e32 vcc, 0, v[130:131]
	v_cmp_gt_f64_e64 s[0:1], 0, v[128:129]
	v_mov_b32_e32 v134, v128
	v_mov_b32_e32 v136, v130
	v_cndmask_b32_e64 v135, v129, v135, s[0:1]
	v_cndmask_b32_e32 v137, v131, v137, vcc
	v_add_f64 v[134:135], v[134:135], v[136:137]
	v_mov_b32_e32 v138, s16
	s_add_i32 s16, s16, 1
	v_cmp_lt_f64_e32 vcc, v[132:133], v[134:135]
	v_add_u32_e32 v123, 16, v123
	s_cmp_lg_u32 s20, s16
	v_cndmask_b32_e32 v113, v113, v129, vcc
	v_cndmask_b32_e32 v112, v112, v128, vcc
	;; [unrolled: 1-line block ×5, first 2 shown]
	s_cbranch_scc1 .LBB54_106
.LBB54_107:
	s_waitcnt lgkmcnt(0)
	v_cmp_eq_f64_e32 vcc, 0, v[112:113]
	v_cmp_eq_f64_e64 s[0:1], 0, v[114:115]
	s_and_b64 s[0:1], vcc, s[0:1]
	s_and_saveexec_b64 s[16:17], s[0:1]
	s_xor_b64 s[0:1], exec, s[16:17]
; %bb.108:
	v_cmp_ne_u32_e32 vcc, 0, v126
	s_nop 1
	v_cndmask_b32_e32 v126, 6, v126, vcc
; %bb.109:
	s_andn2_saveexec_b64 s[0:1], s[0:1]
	s_cbranch_execz .LBB54_115
; %bb.110:
	v_cmp_ngt_f64_e64 s[16:17], |v[112:113]|, |v[114:115]|
	s_and_saveexec_b64 s[18:19], s[16:17]
	s_xor_b64 s[16:17], exec, s[18:19]
	s_cbranch_execz .LBB54_112
; %bb.111:
	v_div_scale_f64 v[128:129], s[18:19], v[114:115], v[114:115], v[112:113]
	v_rcp_f64_e32 v[130:131], v[128:129]
	v_div_scale_f64 v[132:133], vcc, v[112:113], v[114:115], v[112:113]
	v_fma_f64 v[134:135], -v[128:129], v[130:131], 1.0
	v_fmac_f64_e32 v[130:131], v[130:131], v[134:135]
	v_fma_f64 v[134:135], -v[128:129], v[130:131], 1.0
	v_fmac_f64_e32 v[130:131], v[130:131], v[134:135]
	v_mul_f64 v[134:135], v[132:133], v[130:131]
	v_fma_f64 v[128:129], -v[128:129], v[134:135], v[132:133]
	v_div_fmas_f64 v[128:129], v[128:129], v[130:131], v[134:135]
	v_div_fixup_f64 v[128:129], v[128:129], v[114:115], v[112:113]
	v_fmac_f64_e32 v[114:115], v[112:113], v[128:129]
	v_div_scale_f64 v[112:113], s[18:19], v[114:115], v[114:115], 1.0
	v_rcp_f64_e32 v[130:131], v[112:113]
	s_nop 0
	v_fma_f64 v[132:133], -v[112:113], v[130:131], 1.0
	v_fmac_f64_e32 v[130:131], v[130:131], v[132:133]
	v_fma_f64 v[132:133], -v[112:113], v[130:131], 1.0
	v_fmac_f64_e32 v[130:131], v[130:131], v[132:133]
	v_div_scale_f64 v[132:133], vcc, 1.0, v[114:115], 1.0
	v_mul_f64 v[134:135], v[132:133], v[130:131]
	v_fma_f64 v[112:113], -v[112:113], v[134:135], v[132:133]
	s_nop 1
	v_div_fmas_f64 v[112:113], v[112:113], v[130:131], v[134:135]
	v_div_fixup_f64 v[114:115], v[112:113], v[114:115], 1.0
	v_mul_f64 v[112:113], v[128:129], v[114:115]
	v_xor_b32_e32 v115, 0x80000000, v115
.LBB54_112:
	s_andn2_saveexec_b64 s[16:17], s[16:17]
	s_cbranch_execz .LBB54_114
; %bb.113:
	v_div_scale_f64 v[128:129], s[18:19], v[112:113], v[112:113], v[114:115]
	v_rcp_f64_e32 v[130:131], v[128:129]
	v_div_scale_f64 v[132:133], vcc, v[114:115], v[112:113], v[114:115]
	v_fma_f64 v[134:135], -v[128:129], v[130:131], 1.0
	v_fmac_f64_e32 v[130:131], v[130:131], v[134:135]
	v_fma_f64 v[134:135], -v[128:129], v[130:131], 1.0
	v_fmac_f64_e32 v[130:131], v[130:131], v[134:135]
	v_mul_f64 v[134:135], v[132:133], v[130:131]
	v_fma_f64 v[128:129], -v[128:129], v[134:135], v[132:133]
	v_div_fmas_f64 v[128:129], v[128:129], v[130:131], v[134:135]
	v_div_fixup_f64 v[128:129], v[128:129], v[112:113], v[114:115]
	v_fmac_f64_e32 v[112:113], v[114:115], v[128:129]
	v_div_scale_f64 v[114:115], s[18:19], v[112:113], v[112:113], 1.0
	v_rcp_f64_e32 v[130:131], v[114:115]
	s_nop 0
	v_fma_f64 v[132:133], -v[114:115], v[130:131], 1.0
	v_fmac_f64_e32 v[130:131], v[130:131], v[132:133]
	v_fma_f64 v[132:133], -v[114:115], v[130:131], 1.0
	v_fmac_f64_e32 v[130:131], v[130:131], v[132:133]
	v_div_scale_f64 v[132:133], vcc, 1.0, v[112:113], 1.0
	v_mul_f64 v[134:135], v[132:133], v[130:131]
	v_fma_f64 v[114:115], -v[114:115], v[134:135], v[132:133]
	s_nop 1
	v_div_fmas_f64 v[114:115], v[114:115], v[130:131], v[134:135]
	v_div_fixup_f64 v[112:113], v[114:115], v[112:113], 1.0
	v_mul_f64 v[114:115], v[128:129], -v[112:113]
.LBB54_114:
	s_or_b64 exec, exec, s[16:17]
.LBB54_115:
	s_or_b64 exec, exec, s[0:1]
	v_cmp_ne_u32_e32 vcc, v125, v122
	s_and_saveexec_b64 s[0:1], vcc
	s_xor_b64 s[0:1], exec, s[0:1]
	s_cbranch_execz .LBB54_121
; %bb.116:
	v_cmp_eq_u32_e32 vcc, 5, v125
	s_and_saveexec_b64 s[16:17], vcc
	s_cbranch_execz .LBB54_120
; %bb.117:
	v_cmp_ne_u32_e32 vcc, 5, v122
	s_xor_b64 s[18:19], s[14:15], -1
	s_and_b64 s[22:23], s[18:19], vcc
	s_and_saveexec_b64 s[18:19], s[22:23]
	s_cbranch_execz .LBB54_119
; %bb.118:
	v_ashrrev_i32_e32 v123, 31, v122
	v_lshl_add_u64 v[128:129], v[122:123], 2, v[120:121]
	global_load_dword v123, v[128:129], off
	global_load_dword v125, v[120:121], off offset:20
	s_waitcnt vmcnt(1)
	global_store_dword v[120:121], v123, off offset:20
	s_waitcnt vmcnt(1)
	global_store_dword v[128:129], v125, off
.LBB54_119:
	s_or_b64 exec, exec, s[18:19]
	v_mov_b32_e32 v125, v122
	v_mov_b32_e32 v127, v122
.LBB54_120:
	s_or_b64 exec, exec, s[16:17]
.LBB54_121:
	s_andn2_saveexec_b64 s[0:1], s[0:1]
	s_cbranch_execz .LBB54_123
; %bb.122:
	v_mov_b32_e32 v125, 5
	s_waitcnt vmcnt(21)
	ds_write2_b64 v124, v[88:89], v[90:91] offset0:12 offset1:13
	s_waitcnt vmcnt(20)
	ds_write2_b64 v124, v[84:85], v[86:87] offset0:14 offset1:15
	;; [unrolled: 2-line block ×22, first 2 shown]
.LBB54_123:
	s_or_b64 exec, exec, s[0:1]
	v_cmp_lt_i32_e32 vcc, 5, v125
	s_waitcnt lgkmcnt(0)
	s_barrier
	s_and_saveexec_b64 s[0:1], vcc
	s_cbranch_execz .LBB54_125
; %bb.124:
	ds_read2_b64 v[128:131], v124 offset0:12 offset1:13
	v_mul_f64 v[122:123], v[114:115], v[94:95]
	v_mul_f64 v[94:95], v[112:113], v[94:95]
	v_fma_f64 v[122:123], v[112:113], v[92:93], -v[122:123]
	v_fmac_f64_e32 v[94:95], v[114:115], v[92:93]
	ds_read2_b64 v[112:115], v124 offset0:14 offset1:15
	s_waitcnt lgkmcnt(1)
	v_mul_f64 v[92:93], v[130:131], v[94:95]
	v_fma_f64 v[92:93], v[128:129], v[122:123], -v[92:93]
	v_mul_f64 v[128:129], v[128:129], v[94:95]
	v_fmac_f64_e32 v[128:129], v[130:131], v[122:123]
	s_waitcnt vmcnt(21)
	v_add_f64 v[88:89], v[88:89], -v[92:93]
	s_waitcnt lgkmcnt(0)
	v_mul_f64 v[92:93], v[114:115], v[94:95]
	v_add_f64 v[90:91], v[90:91], -v[128:129]
	v_fma_f64 v[92:93], v[112:113], v[122:123], -v[92:93]
	v_mul_f64 v[112:113], v[112:113], v[94:95]
	ds_read2_b64 v[128:131], v124 offset0:16 offset1:17
	v_fmac_f64_e32 v[112:113], v[114:115], v[122:123]
	s_waitcnt vmcnt(20)
	v_add_f64 v[86:87], v[86:87], -v[112:113]
	ds_read2_b64 v[112:115], v124 offset0:18 offset1:19
	v_add_f64 v[84:85], v[84:85], -v[92:93]
	s_waitcnt lgkmcnt(1)
	v_mul_f64 v[92:93], v[130:131], v[94:95]
	v_fma_f64 v[92:93], v[128:129], v[122:123], -v[92:93]
	v_mul_f64 v[128:129], v[128:129], v[94:95]
	v_fmac_f64_e32 v[128:129], v[130:131], v[122:123]
	s_waitcnt vmcnt(19)
	v_add_f64 v[80:81], v[80:81], -v[92:93]
	s_waitcnt lgkmcnt(0)
	v_mul_f64 v[92:93], v[114:115], v[94:95]
	v_add_f64 v[82:83], v[82:83], -v[128:129]
	v_fma_f64 v[92:93], v[112:113], v[122:123], -v[92:93]
	v_mul_f64 v[112:113], v[112:113], v[94:95]
	ds_read2_b64 v[128:131], v124 offset0:20 offset1:21
	v_fmac_f64_e32 v[112:113], v[114:115], v[122:123]
	s_waitcnt vmcnt(18)
	v_add_f64 v[70:71], v[70:71], -v[112:113]
	ds_read2_b64 v[112:115], v124 offset0:22 offset1:23
	v_add_f64 v[68:69], v[68:69], -v[92:93]
	;; [unrolled: 18-line block ×10, first 2 shown]
	s_waitcnt lgkmcnt(1)
	v_mul_f64 v[92:93], v[130:131], v[94:95]
	v_fma_f64 v[92:93], v[128:129], v[122:123], -v[92:93]
	s_waitcnt vmcnt(1)
	v_add_f64 v[0:1], v[0:1], -v[92:93]
	s_waitcnt lgkmcnt(0)
	v_mul_f64 v[92:93], v[114:115], v[94:95]
	v_mul_f64 v[128:129], v[128:129], v[94:95]
	v_fma_f64 v[92:93], v[112:113], v[122:123], -v[92:93]
	v_mul_f64 v[112:113], v[112:113], v[94:95]
	v_fmac_f64_e32 v[128:129], v[130:131], v[122:123]
	v_fmac_f64_e32 v[112:113], v[114:115], v[122:123]
	v_add_f64 v[2:3], v[2:3], -v[128:129]
	s_waitcnt vmcnt(0)
	v_add_f64 v[108:109], v[108:109], -v[92:93]
	v_add_f64 v[110:111], v[110:111], -v[112:113]
	v_mov_b64_e32 v[92:93], v[122:123]
.LBB54_125:
	s_or_b64 exec, exec, s[0:1]
	v_lshl_add_u32 v112, v125, 4, v124
	s_barrier
	s_waitcnt vmcnt(21)
	ds_write2_b64 v112, v[88:89], v[90:91] offset1:1
	s_waitcnt lgkmcnt(0)
	s_barrier
	ds_read2_b64 v[112:115], v124 offset0:12 offset1:13
	s_cmp_lt_i32 s20, 8
	v_mov_b32_e32 v122, 6
	s_cbranch_scc1 .LBB54_128
; %bb.126:
	v_add_u32_e32 v123, 0x70, v124
	s_mov_b32 s16, 7
	v_mov_b32_e32 v122, 6
.LBB54_127:                             ; =>This Inner Loop Header: Depth=1
	ds_read2_b64 v[128:131], v123 offset1:1
	s_waitcnt lgkmcnt(1)
	v_xor_b32_e32 v133, 0x80000000, v113
	v_xor_b32_e32 v135, 0x80000000, v115
	v_cmp_gt_f64_e32 vcc, 0, v[114:115]
	v_cmp_gt_f64_e64 s[0:1], 0, v[112:113]
	v_mov_b32_e32 v132, v112
	v_mov_b32_e32 v134, v114
	v_cndmask_b32_e64 v133, v113, v133, s[0:1]
	v_cndmask_b32_e32 v135, v115, v135, vcc
	v_add_f64 v[132:133], v[132:133], v[134:135]
	s_waitcnt lgkmcnt(0)
	v_xor_b32_e32 v135, 0x80000000, v129
	v_xor_b32_e32 v137, 0x80000000, v131
	v_cmp_gt_f64_e32 vcc, 0, v[130:131]
	v_cmp_gt_f64_e64 s[0:1], 0, v[128:129]
	v_mov_b32_e32 v134, v128
	v_mov_b32_e32 v136, v130
	v_cndmask_b32_e64 v135, v129, v135, s[0:1]
	v_cndmask_b32_e32 v137, v131, v137, vcc
	v_add_f64 v[134:135], v[134:135], v[136:137]
	v_mov_b32_e32 v138, s16
	s_add_i32 s16, s16, 1
	v_cmp_lt_f64_e32 vcc, v[132:133], v[134:135]
	v_add_u32_e32 v123, 16, v123
	s_cmp_lg_u32 s20, s16
	v_cndmask_b32_e32 v113, v113, v129, vcc
	v_cndmask_b32_e32 v112, v112, v128, vcc
	;; [unrolled: 1-line block ×5, first 2 shown]
	s_cbranch_scc1 .LBB54_127
.LBB54_128:
	s_waitcnt lgkmcnt(0)
	v_cmp_eq_f64_e32 vcc, 0, v[112:113]
	v_cmp_eq_f64_e64 s[0:1], 0, v[114:115]
	s_and_b64 s[0:1], vcc, s[0:1]
	s_and_saveexec_b64 s[16:17], s[0:1]
	s_xor_b64 s[0:1], exec, s[16:17]
; %bb.129:
	v_cmp_ne_u32_e32 vcc, 0, v126
	s_nop 1
	v_cndmask_b32_e32 v126, 7, v126, vcc
; %bb.130:
	s_andn2_saveexec_b64 s[0:1], s[0:1]
	s_cbranch_execz .LBB54_136
; %bb.131:
	v_cmp_ngt_f64_e64 s[16:17], |v[112:113]|, |v[114:115]|
	s_and_saveexec_b64 s[18:19], s[16:17]
	s_xor_b64 s[16:17], exec, s[18:19]
	s_cbranch_execz .LBB54_133
; %bb.132:
	v_div_scale_f64 v[128:129], s[18:19], v[114:115], v[114:115], v[112:113]
	v_rcp_f64_e32 v[130:131], v[128:129]
	v_div_scale_f64 v[132:133], vcc, v[112:113], v[114:115], v[112:113]
	v_fma_f64 v[134:135], -v[128:129], v[130:131], 1.0
	v_fmac_f64_e32 v[130:131], v[130:131], v[134:135]
	v_fma_f64 v[134:135], -v[128:129], v[130:131], 1.0
	v_fmac_f64_e32 v[130:131], v[130:131], v[134:135]
	v_mul_f64 v[134:135], v[132:133], v[130:131]
	v_fma_f64 v[128:129], -v[128:129], v[134:135], v[132:133]
	v_div_fmas_f64 v[128:129], v[128:129], v[130:131], v[134:135]
	v_div_fixup_f64 v[128:129], v[128:129], v[114:115], v[112:113]
	v_fmac_f64_e32 v[114:115], v[112:113], v[128:129]
	v_div_scale_f64 v[112:113], s[18:19], v[114:115], v[114:115], 1.0
	v_rcp_f64_e32 v[130:131], v[112:113]
	s_nop 0
	v_fma_f64 v[132:133], -v[112:113], v[130:131], 1.0
	v_fmac_f64_e32 v[130:131], v[130:131], v[132:133]
	v_fma_f64 v[132:133], -v[112:113], v[130:131], 1.0
	v_fmac_f64_e32 v[130:131], v[130:131], v[132:133]
	v_div_scale_f64 v[132:133], vcc, 1.0, v[114:115], 1.0
	v_mul_f64 v[134:135], v[132:133], v[130:131]
	v_fma_f64 v[112:113], -v[112:113], v[134:135], v[132:133]
	s_nop 1
	v_div_fmas_f64 v[112:113], v[112:113], v[130:131], v[134:135]
	v_div_fixup_f64 v[114:115], v[112:113], v[114:115], 1.0
	v_mul_f64 v[112:113], v[128:129], v[114:115]
	v_xor_b32_e32 v115, 0x80000000, v115
.LBB54_133:
	s_andn2_saveexec_b64 s[16:17], s[16:17]
	s_cbranch_execz .LBB54_135
; %bb.134:
	v_div_scale_f64 v[128:129], s[18:19], v[112:113], v[112:113], v[114:115]
	v_rcp_f64_e32 v[130:131], v[128:129]
	v_div_scale_f64 v[132:133], vcc, v[114:115], v[112:113], v[114:115]
	v_fma_f64 v[134:135], -v[128:129], v[130:131], 1.0
	v_fmac_f64_e32 v[130:131], v[130:131], v[134:135]
	v_fma_f64 v[134:135], -v[128:129], v[130:131], 1.0
	v_fmac_f64_e32 v[130:131], v[130:131], v[134:135]
	v_mul_f64 v[134:135], v[132:133], v[130:131]
	v_fma_f64 v[128:129], -v[128:129], v[134:135], v[132:133]
	v_div_fmas_f64 v[128:129], v[128:129], v[130:131], v[134:135]
	v_div_fixup_f64 v[128:129], v[128:129], v[112:113], v[114:115]
	v_fmac_f64_e32 v[112:113], v[114:115], v[128:129]
	v_div_scale_f64 v[114:115], s[18:19], v[112:113], v[112:113], 1.0
	v_rcp_f64_e32 v[130:131], v[114:115]
	s_nop 0
	v_fma_f64 v[132:133], -v[114:115], v[130:131], 1.0
	v_fmac_f64_e32 v[130:131], v[130:131], v[132:133]
	v_fma_f64 v[132:133], -v[114:115], v[130:131], 1.0
	v_fmac_f64_e32 v[130:131], v[130:131], v[132:133]
	v_div_scale_f64 v[132:133], vcc, 1.0, v[112:113], 1.0
	v_mul_f64 v[134:135], v[132:133], v[130:131]
	v_fma_f64 v[114:115], -v[114:115], v[134:135], v[132:133]
	s_nop 1
	v_div_fmas_f64 v[114:115], v[114:115], v[130:131], v[134:135]
	v_div_fixup_f64 v[112:113], v[114:115], v[112:113], 1.0
	v_mul_f64 v[114:115], v[128:129], -v[112:113]
.LBB54_135:
	s_or_b64 exec, exec, s[16:17]
.LBB54_136:
	s_or_b64 exec, exec, s[0:1]
	v_cmp_ne_u32_e32 vcc, v125, v122
	s_and_saveexec_b64 s[0:1], vcc
	s_xor_b64 s[0:1], exec, s[0:1]
	s_cbranch_execz .LBB54_142
; %bb.137:
	v_cmp_eq_u32_e32 vcc, 6, v125
	s_and_saveexec_b64 s[16:17], vcc
	s_cbranch_execz .LBB54_141
; %bb.138:
	v_cmp_ne_u32_e32 vcc, 6, v122
	s_xor_b64 s[18:19], s[14:15], -1
	s_and_b64 s[22:23], s[18:19], vcc
	s_and_saveexec_b64 s[18:19], s[22:23]
	s_cbranch_execz .LBB54_140
; %bb.139:
	v_ashrrev_i32_e32 v123, 31, v122
	v_lshl_add_u64 v[128:129], v[122:123], 2, v[120:121]
	global_load_dword v123, v[128:129], off
	global_load_dword v125, v[120:121], off offset:24
	s_waitcnt vmcnt(1)
	global_store_dword v[120:121], v123, off offset:24
	s_waitcnt vmcnt(1)
	global_store_dword v[128:129], v125, off
.LBB54_140:
	s_or_b64 exec, exec, s[18:19]
	v_mov_b32_e32 v125, v122
	v_mov_b32_e32 v127, v122
.LBB54_141:
	s_or_b64 exec, exec, s[16:17]
.LBB54_142:
	s_andn2_saveexec_b64 s[0:1], s[0:1]
	s_cbranch_execz .LBB54_144
; %bb.143:
	v_mov_b32_e32 v125, 6
	s_waitcnt vmcnt(20)
	ds_write2_b64 v124, v[84:85], v[86:87] offset0:14 offset1:15
	s_waitcnt vmcnt(19)
	ds_write2_b64 v124, v[80:81], v[82:83] offset0:16 offset1:17
	;; [unrolled: 2-line block ×21, first 2 shown]
.LBB54_144:
	s_or_b64 exec, exec, s[0:1]
	v_cmp_lt_i32_e32 vcc, 6, v125
	s_waitcnt lgkmcnt(0)
	s_barrier
	s_and_saveexec_b64 s[0:1], vcc
	s_cbranch_execz .LBB54_146
; %bb.145:
	ds_read2_b64 v[128:131], v124 offset0:14 offset1:15
	v_mul_f64 v[122:123], v[114:115], v[90:91]
	v_mul_f64 v[90:91], v[112:113], v[90:91]
	v_fmac_f64_e32 v[90:91], v[114:115], v[88:89]
	v_fma_f64 v[122:123], v[112:113], v[88:89], -v[122:123]
	ds_read2_b64 v[112:115], v124 offset0:16 offset1:17
	s_waitcnt lgkmcnt(1)
	v_mul_f64 v[88:89], v[130:131], v[90:91]
	v_fma_f64 v[88:89], v[128:129], v[122:123], -v[88:89]
	v_mul_f64 v[128:129], v[128:129], v[90:91]
	v_fmac_f64_e32 v[128:129], v[130:131], v[122:123]
	s_waitcnt vmcnt(20)
	v_add_f64 v[86:87], v[86:87], -v[128:129]
	ds_read2_b64 v[128:131], v124 offset0:18 offset1:19
	v_add_f64 v[84:85], v[84:85], -v[88:89]
	s_waitcnt lgkmcnt(1)
	v_mul_f64 v[88:89], v[114:115], v[90:91]
	v_fma_f64 v[88:89], v[112:113], v[122:123], -v[88:89]
	v_mul_f64 v[112:113], v[112:113], v[90:91]
	v_fmac_f64_e32 v[112:113], v[114:115], v[122:123]
	s_waitcnt vmcnt(19)
	v_add_f64 v[80:81], v[80:81], -v[88:89]
	v_add_f64 v[82:83], v[82:83], -v[112:113]
	ds_read2_b64 v[112:115], v124 offset0:20 offset1:21
	s_waitcnt lgkmcnt(1)
	v_mul_f64 v[88:89], v[130:131], v[90:91]
	v_fma_f64 v[88:89], v[128:129], v[122:123], -v[88:89]
	v_mul_f64 v[128:129], v[128:129], v[90:91]
	v_fmac_f64_e32 v[128:129], v[130:131], v[122:123]
	s_waitcnt vmcnt(18)
	v_add_f64 v[70:71], v[70:71], -v[128:129]
	ds_read2_b64 v[128:131], v124 offset0:22 offset1:23
	v_add_f64 v[68:69], v[68:69], -v[88:89]
	s_waitcnt lgkmcnt(1)
	v_mul_f64 v[88:89], v[114:115], v[90:91]
	v_fma_f64 v[88:89], v[112:113], v[122:123], -v[88:89]
	v_mul_f64 v[112:113], v[112:113], v[90:91]
	v_fmac_f64_e32 v[112:113], v[114:115], v[122:123]
	s_waitcnt vmcnt(17)
	v_add_f64 v[64:65], v[64:65], -v[88:89]
	v_add_f64 v[66:67], v[66:67], -v[112:113]
	;; [unrolled: 18-line block ×10, first 2 shown]
	s_waitcnt lgkmcnt(0)
	v_mul_f64 v[88:89], v[130:131], v[90:91]
	v_mul_f64 v[112:113], v[128:129], v[90:91]
	v_fma_f64 v[88:89], v[128:129], v[122:123], -v[88:89]
	v_fmac_f64_e32 v[112:113], v[130:131], v[122:123]
	s_waitcnt vmcnt(0)
	v_add_f64 v[108:109], v[108:109], -v[88:89]
	v_add_f64 v[110:111], v[110:111], -v[112:113]
	v_mov_b64_e32 v[88:89], v[122:123]
.LBB54_146:
	s_or_b64 exec, exec, s[0:1]
	v_lshl_add_u32 v112, v125, 4, v124
	s_barrier
	s_waitcnt vmcnt(20)
	ds_write2_b64 v112, v[84:85], v[86:87] offset1:1
	s_waitcnt lgkmcnt(0)
	s_barrier
	ds_read2_b64 v[112:115], v124 offset0:14 offset1:15
	s_cmp_lt_i32 s20, 9
	v_mov_b32_e32 v122, 7
	s_cbranch_scc1 .LBB54_149
; %bb.147:
	v_add_u32_e32 v123, 0x80, v124
	s_mov_b32 s16, 8
	v_mov_b32_e32 v122, 7
.LBB54_148:                             ; =>This Inner Loop Header: Depth=1
	ds_read2_b64 v[128:131], v123 offset1:1
	s_waitcnt lgkmcnt(1)
	v_xor_b32_e32 v133, 0x80000000, v113
	v_xor_b32_e32 v135, 0x80000000, v115
	v_cmp_gt_f64_e32 vcc, 0, v[114:115]
	v_cmp_gt_f64_e64 s[0:1], 0, v[112:113]
	v_mov_b32_e32 v132, v112
	v_mov_b32_e32 v134, v114
	v_cndmask_b32_e64 v133, v113, v133, s[0:1]
	v_cndmask_b32_e32 v135, v115, v135, vcc
	v_add_f64 v[132:133], v[132:133], v[134:135]
	s_waitcnt lgkmcnt(0)
	v_xor_b32_e32 v135, 0x80000000, v129
	v_xor_b32_e32 v137, 0x80000000, v131
	v_cmp_gt_f64_e32 vcc, 0, v[130:131]
	v_cmp_gt_f64_e64 s[0:1], 0, v[128:129]
	v_mov_b32_e32 v134, v128
	v_mov_b32_e32 v136, v130
	v_cndmask_b32_e64 v135, v129, v135, s[0:1]
	v_cndmask_b32_e32 v137, v131, v137, vcc
	v_add_f64 v[134:135], v[134:135], v[136:137]
	v_mov_b32_e32 v138, s16
	s_add_i32 s16, s16, 1
	v_cmp_lt_f64_e32 vcc, v[132:133], v[134:135]
	v_add_u32_e32 v123, 16, v123
	s_cmp_lg_u32 s20, s16
	v_cndmask_b32_e32 v113, v113, v129, vcc
	v_cndmask_b32_e32 v112, v112, v128, vcc
	;; [unrolled: 1-line block ×5, first 2 shown]
	s_cbranch_scc1 .LBB54_148
.LBB54_149:
	s_waitcnt lgkmcnt(0)
	v_cmp_eq_f64_e32 vcc, 0, v[112:113]
	v_cmp_eq_f64_e64 s[0:1], 0, v[114:115]
	s_and_b64 s[0:1], vcc, s[0:1]
	s_and_saveexec_b64 s[16:17], s[0:1]
	s_xor_b64 s[0:1], exec, s[16:17]
; %bb.150:
	v_cmp_ne_u32_e32 vcc, 0, v126
	s_nop 1
	v_cndmask_b32_e32 v126, 8, v126, vcc
; %bb.151:
	s_andn2_saveexec_b64 s[0:1], s[0:1]
	s_cbranch_execz .LBB54_157
; %bb.152:
	v_cmp_ngt_f64_e64 s[16:17], |v[112:113]|, |v[114:115]|
	s_and_saveexec_b64 s[18:19], s[16:17]
	s_xor_b64 s[16:17], exec, s[18:19]
	s_cbranch_execz .LBB54_154
; %bb.153:
	v_div_scale_f64 v[128:129], s[18:19], v[114:115], v[114:115], v[112:113]
	v_rcp_f64_e32 v[130:131], v[128:129]
	v_div_scale_f64 v[132:133], vcc, v[112:113], v[114:115], v[112:113]
	v_fma_f64 v[134:135], -v[128:129], v[130:131], 1.0
	v_fmac_f64_e32 v[130:131], v[130:131], v[134:135]
	v_fma_f64 v[134:135], -v[128:129], v[130:131], 1.0
	v_fmac_f64_e32 v[130:131], v[130:131], v[134:135]
	v_mul_f64 v[134:135], v[132:133], v[130:131]
	v_fma_f64 v[128:129], -v[128:129], v[134:135], v[132:133]
	v_div_fmas_f64 v[128:129], v[128:129], v[130:131], v[134:135]
	v_div_fixup_f64 v[128:129], v[128:129], v[114:115], v[112:113]
	v_fmac_f64_e32 v[114:115], v[112:113], v[128:129]
	v_div_scale_f64 v[112:113], s[18:19], v[114:115], v[114:115], 1.0
	v_rcp_f64_e32 v[130:131], v[112:113]
	s_nop 0
	v_fma_f64 v[132:133], -v[112:113], v[130:131], 1.0
	v_fmac_f64_e32 v[130:131], v[130:131], v[132:133]
	v_fma_f64 v[132:133], -v[112:113], v[130:131], 1.0
	v_fmac_f64_e32 v[130:131], v[130:131], v[132:133]
	v_div_scale_f64 v[132:133], vcc, 1.0, v[114:115], 1.0
	v_mul_f64 v[134:135], v[132:133], v[130:131]
	v_fma_f64 v[112:113], -v[112:113], v[134:135], v[132:133]
	s_nop 1
	v_div_fmas_f64 v[112:113], v[112:113], v[130:131], v[134:135]
	v_div_fixup_f64 v[114:115], v[112:113], v[114:115], 1.0
	v_mul_f64 v[112:113], v[128:129], v[114:115]
	v_xor_b32_e32 v115, 0x80000000, v115
.LBB54_154:
	s_andn2_saveexec_b64 s[16:17], s[16:17]
	s_cbranch_execz .LBB54_156
; %bb.155:
	v_div_scale_f64 v[128:129], s[18:19], v[112:113], v[112:113], v[114:115]
	v_rcp_f64_e32 v[130:131], v[128:129]
	v_div_scale_f64 v[132:133], vcc, v[114:115], v[112:113], v[114:115]
	v_fma_f64 v[134:135], -v[128:129], v[130:131], 1.0
	v_fmac_f64_e32 v[130:131], v[130:131], v[134:135]
	v_fma_f64 v[134:135], -v[128:129], v[130:131], 1.0
	v_fmac_f64_e32 v[130:131], v[130:131], v[134:135]
	v_mul_f64 v[134:135], v[132:133], v[130:131]
	v_fma_f64 v[128:129], -v[128:129], v[134:135], v[132:133]
	v_div_fmas_f64 v[128:129], v[128:129], v[130:131], v[134:135]
	v_div_fixup_f64 v[128:129], v[128:129], v[112:113], v[114:115]
	v_fmac_f64_e32 v[112:113], v[114:115], v[128:129]
	v_div_scale_f64 v[114:115], s[18:19], v[112:113], v[112:113], 1.0
	v_rcp_f64_e32 v[130:131], v[114:115]
	s_nop 0
	v_fma_f64 v[132:133], -v[114:115], v[130:131], 1.0
	v_fmac_f64_e32 v[130:131], v[130:131], v[132:133]
	v_fma_f64 v[132:133], -v[114:115], v[130:131], 1.0
	v_fmac_f64_e32 v[130:131], v[130:131], v[132:133]
	v_div_scale_f64 v[132:133], vcc, 1.0, v[112:113], 1.0
	v_mul_f64 v[134:135], v[132:133], v[130:131]
	v_fma_f64 v[114:115], -v[114:115], v[134:135], v[132:133]
	s_nop 1
	v_div_fmas_f64 v[114:115], v[114:115], v[130:131], v[134:135]
	v_div_fixup_f64 v[112:113], v[114:115], v[112:113], 1.0
	v_mul_f64 v[114:115], v[128:129], -v[112:113]
.LBB54_156:
	s_or_b64 exec, exec, s[16:17]
.LBB54_157:
	s_or_b64 exec, exec, s[0:1]
	v_cmp_ne_u32_e32 vcc, v125, v122
	s_and_saveexec_b64 s[0:1], vcc
	s_xor_b64 s[0:1], exec, s[0:1]
	s_cbranch_execz .LBB54_163
; %bb.158:
	v_cmp_eq_u32_e32 vcc, 7, v125
	s_and_saveexec_b64 s[16:17], vcc
	s_cbranch_execz .LBB54_162
; %bb.159:
	v_cmp_ne_u32_e32 vcc, 7, v122
	s_xor_b64 s[18:19], s[14:15], -1
	s_and_b64 s[22:23], s[18:19], vcc
	s_and_saveexec_b64 s[18:19], s[22:23]
	s_cbranch_execz .LBB54_161
; %bb.160:
	v_ashrrev_i32_e32 v123, 31, v122
	v_lshl_add_u64 v[128:129], v[122:123], 2, v[120:121]
	global_load_dword v123, v[128:129], off
	global_load_dword v125, v[120:121], off offset:28
	s_waitcnt vmcnt(1)
	global_store_dword v[120:121], v123, off offset:28
	s_waitcnt vmcnt(1)
	global_store_dword v[128:129], v125, off
.LBB54_161:
	s_or_b64 exec, exec, s[18:19]
	v_mov_b32_e32 v125, v122
	v_mov_b32_e32 v127, v122
.LBB54_162:
	s_or_b64 exec, exec, s[16:17]
.LBB54_163:
	s_andn2_saveexec_b64 s[0:1], s[0:1]
	s_cbranch_execz .LBB54_165
; %bb.164:
	v_mov_b32_e32 v125, 7
	s_waitcnt vmcnt(19)
	ds_write2_b64 v124, v[80:81], v[82:83] offset0:16 offset1:17
	s_waitcnt vmcnt(18)
	ds_write2_b64 v124, v[68:69], v[70:71] offset0:18 offset1:19
	;; [unrolled: 2-line block ×20, first 2 shown]
.LBB54_165:
	s_or_b64 exec, exec, s[0:1]
	v_cmp_lt_i32_e32 vcc, 7, v125
	s_waitcnt lgkmcnt(0)
	s_barrier
	s_and_saveexec_b64 s[0:1], vcc
	s_cbranch_execz .LBB54_167
; %bb.166:
	ds_read2_b64 v[128:131], v124 offset0:16 offset1:17
	v_mul_f64 v[122:123], v[114:115], v[86:87]
	v_mul_f64 v[86:87], v[112:113], v[86:87]
	v_fma_f64 v[122:123], v[112:113], v[84:85], -v[122:123]
	v_fmac_f64_e32 v[86:87], v[114:115], v[84:85]
	ds_read2_b64 v[112:115], v124 offset0:18 offset1:19
	s_waitcnt lgkmcnt(1)
	v_mul_f64 v[84:85], v[130:131], v[86:87]
	v_fma_f64 v[84:85], v[128:129], v[122:123], -v[84:85]
	v_mul_f64 v[128:129], v[128:129], v[86:87]
	v_fmac_f64_e32 v[128:129], v[130:131], v[122:123]
	s_waitcnt vmcnt(19)
	v_add_f64 v[80:81], v[80:81], -v[84:85]
	s_waitcnt lgkmcnt(0)
	v_mul_f64 v[84:85], v[114:115], v[86:87]
	v_add_f64 v[82:83], v[82:83], -v[128:129]
	v_fma_f64 v[84:85], v[112:113], v[122:123], -v[84:85]
	v_mul_f64 v[112:113], v[112:113], v[86:87]
	ds_read2_b64 v[128:131], v124 offset0:20 offset1:21
	v_fmac_f64_e32 v[112:113], v[114:115], v[122:123]
	s_waitcnt vmcnt(18)
	v_add_f64 v[70:71], v[70:71], -v[112:113]
	ds_read2_b64 v[112:115], v124 offset0:22 offset1:23
	v_add_f64 v[68:69], v[68:69], -v[84:85]
	s_waitcnt lgkmcnt(1)
	v_mul_f64 v[84:85], v[130:131], v[86:87]
	v_fma_f64 v[84:85], v[128:129], v[122:123], -v[84:85]
	v_mul_f64 v[128:129], v[128:129], v[86:87]
	v_fmac_f64_e32 v[128:129], v[130:131], v[122:123]
	s_waitcnt vmcnt(17)
	v_add_f64 v[64:65], v[64:65], -v[84:85]
	s_waitcnt lgkmcnt(0)
	v_mul_f64 v[84:85], v[114:115], v[86:87]
	v_add_f64 v[66:67], v[66:67], -v[128:129]
	v_fma_f64 v[84:85], v[112:113], v[122:123], -v[84:85]
	v_mul_f64 v[112:113], v[112:113], v[86:87]
	ds_read2_b64 v[128:131], v124 offset0:24 offset1:25
	v_fmac_f64_e32 v[112:113], v[114:115], v[122:123]
	s_waitcnt vmcnt(16)
	v_add_f64 v[62:63], v[62:63], -v[112:113]
	ds_read2_b64 v[112:115], v124 offset0:26 offset1:27
	v_add_f64 v[60:61], v[60:61], -v[84:85]
	;; [unrolled: 18-line block ×9, first 2 shown]
	s_waitcnt lgkmcnt(1)
	v_mul_f64 v[84:85], v[130:131], v[86:87]
	v_fma_f64 v[84:85], v[128:129], v[122:123], -v[84:85]
	s_waitcnt vmcnt(1)
	v_add_f64 v[0:1], v[0:1], -v[84:85]
	s_waitcnt lgkmcnt(0)
	v_mul_f64 v[84:85], v[114:115], v[86:87]
	v_mul_f64 v[128:129], v[128:129], v[86:87]
	v_fma_f64 v[84:85], v[112:113], v[122:123], -v[84:85]
	v_mul_f64 v[112:113], v[112:113], v[86:87]
	v_fmac_f64_e32 v[128:129], v[130:131], v[122:123]
	v_fmac_f64_e32 v[112:113], v[114:115], v[122:123]
	v_add_f64 v[2:3], v[2:3], -v[128:129]
	s_waitcnt vmcnt(0)
	v_add_f64 v[108:109], v[108:109], -v[84:85]
	v_add_f64 v[110:111], v[110:111], -v[112:113]
	v_mov_b64_e32 v[84:85], v[122:123]
.LBB54_167:
	s_or_b64 exec, exec, s[0:1]
	v_lshl_add_u32 v112, v125, 4, v124
	s_barrier
	s_waitcnt vmcnt(19)
	ds_write2_b64 v112, v[80:81], v[82:83] offset1:1
	s_waitcnt lgkmcnt(0)
	s_barrier
	ds_read2_b64 v[112:115], v124 offset0:16 offset1:17
	s_cmp_lt_i32 s20, 10
	v_mov_b32_e32 v122, 8
	s_cbranch_scc1 .LBB54_170
; %bb.168:
	v_add_u32_e32 v123, 0x90, v124
	s_mov_b32 s16, 9
	v_mov_b32_e32 v122, 8
.LBB54_169:                             ; =>This Inner Loop Header: Depth=1
	ds_read2_b64 v[128:131], v123 offset1:1
	s_waitcnt lgkmcnt(1)
	v_xor_b32_e32 v133, 0x80000000, v113
	v_xor_b32_e32 v135, 0x80000000, v115
	v_cmp_gt_f64_e32 vcc, 0, v[114:115]
	v_cmp_gt_f64_e64 s[0:1], 0, v[112:113]
	v_mov_b32_e32 v132, v112
	v_mov_b32_e32 v134, v114
	v_cndmask_b32_e64 v133, v113, v133, s[0:1]
	v_cndmask_b32_e32 v135, v115, v135, vcc
	v_add_f64 v[132:133], v[132:133], v[134:135]
	s_waitcnt lgkmcnt(0)
	v_xor_b32_e32 v135, 0x80000000, v129
	v_xor_b32_e32 v137, 0x80000000, v131
	v_cmp_gt_f64_e32 vcc, 0, v[130:131]
	v_cmp_gt_f64_e64 s[0:1], 0, v[128:129]
	v_mov_b32_e32 v134, v128
	v_mov_b32_e32 v136, v130
	v_cndmask_b32_e64 v135, v129, v135, s[0:1]
	v_cndmask_b32_e32 v137, v131, v137, vcc
	v_add_f64 v[134:135], v[134:135], v[136:137]
	v_mov_b32_e32 v138, s16
	s_add_i32 s16, s16, 1
	v_cmp_lt_f64_e32 vcc, v[132:133], v[134:135]
	v_add_u32_e32 v123, 16, v123
	s_cmp_lg_u32 s20, s16
	v_cndmask_b32_e32 v113, v113, v129, vcc
	v_cndmask_b32_e32 v112, v112, v128, vcc
	;; [unrolled: 1-line block ×5, first 2 shown]
	s_cbranch_scc1 .LBB54_169
.LBB54_170:
	s_waitcnt lgkmcnt(0)
	v_cmp_eq_f64_e32 vcc, 0, v[112:113]
	v_cmp_eq_f64_e64 s[0:1], 0, v[114:115]
	s_and_b64 s[0:1], vcc, s[0:1]
	s_and_saveexec_b64 s[16:17], s[0:1]
	s_xor_b64 s[0:1], exec, s[16:17]
; %bb.171:
	v_cmp_ne_u32_e32 vcc, 0, v126
	s_nop 1
	v_cndmask_b32_e32 v126, 9, v126, vcc
; %bb.172:
	s_andn2_saveexec_b64 s[0:1], s[0:1]
	s_cbranch_execz .LBB54_178
; %bb.173:
	v_cmp_ngt_f64_e64 s[16:17], |v[112:113]|, |v[114:115]|
	s_and_saveexec_b64 s[18:19], s[16:17]
	s_xor_b64 s[16:17], exec, s[18:19]
	s_cbranch_execz .LBB54_175
; %bb.174:
	v_div_scale_f64 v[128:129], s[18:19], v[114:115], v[114:115], v[112:113]
	v_rcp_f64_e32 v[130:131], v[128:129]
	v_div_scale_f64 v[132:133], vcc, v[112:113], v[114:115], v[112:113]
	v_fma_f64 v[134:135], -v[128:129], v[130:131], 1.0
	v_fmac_f64_e32 v[130:131], v[130:131], v[134:135]
	v_fma_f64 v[134:135], -v[128:129], v[130:131], 1.0
	v_fmac_f64_e32 v[130:131], v[130:131], v[134:135]
	v_mul_f64 v[134:135], v[132:133], v[130:131]
	v_fma_f64 v[128:129], -v[128:129], v[134:135], v[132:133]
	v_div_fmas_f64 v[128:129], v[128:129], v[130:131], v[134:135]
	v_div_fixup_f64 v[128:129], v[128:129], v[114:115], v[112:113]
	v_fmac_f64_e32 v[114:115], v[112:113], v[128:129]
	v_div_scale_f64 v[112:113], s[18:19], v[114:115], v[114:115], 1.0
	v_rcp_f64_e32 v[130:131], v[112:113]
	s_nop 0
	v_fma_f64 v[132:133], -v[112:113], v[130:131], 1.0
	v_fmac_f64_e32 v[130:131], v[130:131], v[132:133]
	v_fma_f64 v[132:133], -v[112:113], v[130:131], 1.0
	v_fmac_f64_e32 v[130:131], v[130:131], v[132:133]
	v_div_scale_f64 v[132:133], vcc, 1.0, v[114:115], 1.0
	v_mul_f64 v[134:135], v[132:133], v[130:131]
	v_fma_f64 v[112:113], -v[112:113], v[134:135], v[132:133]
	s_nop 1
	v_div_fmas_f64 v[112:113], v[112:113], v[130:131], v[134:135]
	v_div_fixup_f64 v[114:115], v[112:113], v[114:115], 1.0
	v_mul_f64 v[112:113], v[128:129], v[114:115]
	v_xor_b32_e32 v115, 0x80000000, v115
.LBB54_175:
	s_andn2_saveexec_b64 s[16:17], s[16:17]
	s_cbranch_execz .LBB54_177
; %bb.176:
	v_div_scale_f64 v[128:129], s[18:19], v[112:113], v[112:113], v[114:115]
	v_rcp_f64_e32 v[130:131], v[128:129]
	v_div_scale_f64 v[132:133], vcc, v[114:115], v[112:113], v[114:115]
	v_fma_f64 v[134:135], -v[128:129], v[130:131], 1.0
	v_fmac_f64_e32 v[130:131], v[130:131], v[134:135]
	v_fma_f64 v[134:135], -v[128:129], v[130:131], 1.0
	v_fmac_f64_e32 v[130:131], v[130:131], v[134:135]
	v_mul_f64 v[134:135], v[132:133], v[130:131]
	v_fma_f64 v[128:129], -v[128:129], v[134:135], v[132:133]
	v_div_fmas_f64 v[128:129], v[128:129], v[130:131], v[134:135]
	v_div_fixup_f64 v[128:129], v[128:129], v[112:113], v[114:115]
	v_fmac_f64_e32 v[112:113], v[114:115], v[128:129]
	v_div_scale_f64 v[114:115], s[18:19], v[112:113], v[112:113], 1.0
	v_rcp_f64_e32 v[130:131], v[114:115]
	s_nop 0
	v_fma_f64 v[132:133], -v[114:115], v[130:131], 1.0
	v_fmac_f64_e32 v[130:131], v[130:131], v[132:133]
	v_fma_f64 v[132:133], -v[114:115], v[130:131], 1.0
	v_fmac_f64_e32 v[130:131], v[130:131], v[132:133]
	v_div_scale_f64 v[132:133], vcc, 1.0, v[112:113], 1.0
	v_mul_f64 v[134:135], v[132:133], v[130:131]
	v_fma_f64 v[114:115], -v[114:115], v[134:135], v[132:133]
	s_nop 1
	v_div_fmas_f64 v[114:115], v[114:115], v[130:131], v[134:135]
	v_div_fixup_f64 v[112:113], v[114:115], v[112:113], 1.0
	v_mul_f64 v[114:115], v[128:129], -v[112:113]
.LBB54_177:
	s_or_b64 exec, exec, s[16:17]
.LBB54_178:
	s_or_b64 exec, exec, s[0:1]
	v_cmp_ne_u32_e32 vcc, v125, v122
	s_and_saveexec_b64 s[0:1], vcc
	s_xor_b64 s[0:1], exec, s[0:1]
	s_cbranch_execz .LBB54_184
; %bb.179:
	v_cmp_eq_u32_e32 vcc, 8, v125
	s_and_saveexec_b64 s[16:17], vcc
	s_cbranch_execz .LBB54_183
; %bb.180:
	v_cmp_ne_u32_e32 vcc, 8, v122
	s_xor_b64 s[18:19], s[14:15], -1
	s_and_b64 s[22:23], s[18:19], vcc
	s_and_saveexec_b64 s[18:19], s[22:23]
	s_cbranch_execz .LBB54_182
; %bb.181:
	v_ashrrev_i32_e32 v123, 31, v122
	v_lshl_add_u64 v[128:129], v[122:123], 2, v[120:121]
	global_load_dword v123, v[128:129], off
	global_load_dword v125, v[120:121], off offset:32
	s_waitcnt vmcnt(1)
	global_store_dword v[120:121], v123, off offset:32
	s_waitcnt vmcnt(1)
	global_store_dword v[128:129], v125, off
.LBB54_182:
	s_or_b64 exec, exec, s[18:19]
	v_mov_b32_e32 v125, v122
	v_mov_b32_e32 v127, v122
.LBB54_183:
	s_or_b64 exec, exec, s[16:17]
.LBB54_184:
	s_andn2_saveexec_b64 s[0:1], s[0:1]
	s_cbranch_execz .LBB54_186
; %bb.185:
	v_mov_b32_e32 v125, 8
	s_waitcnt vmcnt(18)
	ds_write2_b64 v124, v[68:69], v[70:71] offset0:18 offset1:19
	s_waitcnt vmcnt(17)
	ds_write2_b64 v124, v[64:65], v[66:67] offset0:20 offset1:21
	;; [unrolled: 2-line block ×19, first 2 shown]
.LBB54_186:
	s_or_b64 exec, exec, s[0:1]
	v_cmp_lt_i32_e32 vcc, 8, v125
	s_waitcnt lgkmcnt(0)
	s_barrier
	s_and_saveexec_b64 s[0:1], vcc
	s_cbranch_execz .LBB54_188
; %bb.187:
	ds_read2_b64 v[128:131], v124 offset0:18 offset1:19
	v_mul_f64 v[122:123], v[114:115], v[82:83]
	v_mul_f64 v[82:83], v[112:113], v[82:83]
	v_fmac_f64_e32 v[82:83], v[114:115], v[80:81]
	v_fma_f64 v[122:123], v[112:113], v[80:81], -v[122:123]
	ds_read2_b64 v[112:115], v124 offset0:20 offset1:21
	s_waitcnt lgkmcnt(1)
	v_mul_f64 v[80:81], v[130:131], v[82:83]
	v_fma_f64 v[80:81], v[128:129], v[122:123], -v[80:81]
	v_mul_f64 v[128:129], v[128:129], v[82:83]
	v_fmac_f64_e32 v[128:129], v[130:131], v[122:123]
	s_waitcnt vmcnt(18)
	v_add_f64 v[70:71], v[70:71], -v[128:129]
	ds_read2_b64 v[128:131], v124 offset0:22 offset1:23
	v_add_f64 v[68:69], v[68:69], -v[80:81]
	s_waitcnt lgkmcnt(1)
	v_mul_f64 v[80:81], v[114:115], v[82:83]
	v_fma_f64 v[80:81], v[112:113], v[122:123], -v[80:81]
	v_mul_f64 v[112:113], v[112:113], v[82:83]
	v_fmac_f64_e32 v[112:113], v[114:115], v[122:123]
	s_waitcnt vmcnt(17)
	v_add_f64 v[64:65], v[64:65], -v[80:81]
	v_add_f64 v[66:67], v[66:67], -v[112:113]
	ds_read2_b64 v[112:115], v124 offset0:24 offset1:25
	s_waitcnt lgkmcnt(1)
	v_mul_f64 v[80:81], v[130:131], v[82:83]
	v_fma_f64 v[80:81], v[128:129], v[122:123], -v[80:81]
	v_mul_f64 v[128:129], v[128:129], v[82:83]
	v_fmac_f64_e32 v[128:129], v[130:131], v[122:123]
	s_waitcnt vmcnt(16)
	v_add_f64 v[62:63], v[62:63], -v[128:129]
	ds_read2_b64 v[128:131], v124 offset0:26 offset1:27
	v_add_f64 v[60:61], v[60:61], -v[80:81]
	s_waitcnt lgkmcnt(1)
	v_mul_f64 v[80:81], v[114:115], v[82:83]
	v_fma_f64 v[80:81], v[112:113], v[122:123], -v[80:81]
	v_mul_f64 v[112:113], v[112:113], v[82:83]
	v_fmac_f64_e32 v[112:113], v[114:115], v[122:123]
	s_waitcnt vmcnt(15)
	v_add_f64 v[56:57], v[56:57], -v[80:81]
	v_add_f64 v[58:59], v[58:59], -v[112:113]
	;; [unrolled: 18-line block ×9, first 2 shown]
	s_waitcnt lgkmcnt(0)
	v_mul_f64 v[80:81], v[130:131], v[82:83]
	v_mul_f64 v[112:113], v[128:129], v[82:83]
	v_fma_f64 v[80:81], v[128:129], v[122:123], -v[80:81]
	v_fmac_f64_e32 v[112:113], v[130:131], v[122:123]
	s_waitcnt vmcnt(0)
	v_add_f64 v[108:109], v[108:109], -v[80:81]
	v_add_f64 v[110:111], v[110:111], -v[112:113]
	v_mov_b64_e32 v[80:81], v[122:123]
.LBB54_188:
	s_or_b64 exec, exec, s[0:1]
	v_lshl_add_u32 v112, v125, 4, v124
	s_barrier
	s_waitcnt vmcnt(18)
	ds_write2_b64 v112, v[68:69], v[70:71] offset1:1
	s_waitcnt lgkmcnt(0)
	s_barrier
	ds_read2_b64 v[112:115], v124 offset0:18 offset1:19
	s_cmp_lt_i32 s20, 11
	v_mov_b32_e32 v122, 9
	s_cbranch_scc1 .LBB54_191
; %bb.189:
	v_add_u32_e32 v123, 0xa0, v124
	s_mov_b32 s16, 10
	v_mov_b32_e32 v122, 9
.LBB54_190:                             ; =>This Inner Loop Header: Depth=1
	ds_read2_b64 v[128:131], v123 offset1:1
	s_waitcnt lgkmcnt(1)
	v_xor_b32_e32 v133, 0x80000000, v113
	v_xor_b32_e32 v135, 0x80000000, v115
	v_cmp_gt_f64_e32 vcc, 0, v[114:115]
	v_cmp_gt_f64_e64 s[0:1], 0, v[112:113]
	v_mov_b32_e32 v132, v112
	v_mov_b32_e32 v134, v114
	v_cndmask_b32_e64 v133, v113, v133, s[0:1]
	v_cndmask_b32_e32 v135, v115, v135, vcc
	v_add_f64 v[132:133], v[132:133], v[134:135]
	s_waitcnt lgkmcnt(0)
	v_xor_b32_e32 v135, 0x80000000, v129
	v_xor_b32_e32 v137, 0x80000000, v131
	v_cmp_gt_f64_e32 vcc, 0, v[130:131]
	v_cmp_gt_f64_e64 s[0:1], 0, v[128:129]
	v_mov_b32_e32 v134, v128
	v_mov_b32_e32 v136, v130
	v_cndmask_b32_e64 v135, v129, v135, s[0:1]
	v_cndmask_b32_e32 v137, v131, v137, vcc
	v_add_f64 v[134:135], v[134:135], v[136:137]
	v_mov_b32_e32 v138, s16
	s_add_i32 s16, s16, 1
	v_cmp_lt_f64_e32 vcc, v[132:133], v[134:135]
	v_add_u32_e32 v123, 16, v123
	s_cmp_lg_u32 s20, s16
	v_cndmask_b32_e32 v113, v113, v129, vcc
	v_cndmask_b32_e32 v112, v112, v128, vcc
	;; [unrolled: 1-line block ×5, first 2 shown]
	s_cbranch_scc1 .LBB54_190
.LBB54_191:
	s_waitcnt lgkmcnt(0)
	v_cmp_eq_f64_e32 vcc, 0, v[112:113]
	v_cmp_eq_f64_e64 s[0:1], 0, v[114:115]
	s_and_b64 s[0:1], vcc, s[0:1]
	s_and_saveexec_b64 s[16:17], s[0:1]
	s_xor_b64 s[0:1], exec, s[16:17]
; %bb.192:
	v_cmp_ne_u32_e32 vcc, 0, v126
	s_nop 1
	v_cndmask_b32_e32 v126, 10, v126, vcc
; %bb.193:
	s_andn2_saveexec_b64 s[0:1], s[0:1]
	s_cbranch_execz .LBB54_199
; %bb.194:
	v_cmp_ngt_f64_e64 s[16:17], |v[112:113]|, |v[114:115]|
	s_and_saveexec_b64 s[18:19], s[16:17]
	s_xor_b64 s[16:17], exec, s[18:19]
	s_cbranch_execz .LBB54_196
; %bb.195:
	v_div_scale_f64 v[128:129], s[18:19], v[114:115], v[114:115], v[112:113]
	v_rcp_f64_e32 v[130:131], v[128:129]
	v_div_scale_f64 v[132:133], vcc, v[112:113], v[114:115], v[112:113]
	v_fma_f64 v[134:135], -v[128:129], v[130:131], 1.0
	v_fmac_f64_e32 v[130:131], v[130:131], v[134:135]
	v_fma_f64 v[134:135], -v[128:129], v[130:131], 1.0
	v_fmac_f64_e32 v[130:131], v[130:131], v[134:135]
	v_mul_f64 v[134:135], v[132:133], v[130:131]
	v_fma_f64 v[128:129], -v[128:129], v[134:135], v[132:133]
	v_div_fmas_f64 v[128:129], v[128:129], v[130:131], v[134:135]
	v_div_fixup_f64 v[128:129], v[128:129], v[114:115], v[112:113]
	v_fmac_f64_e32 v[114:115], v[112:113], v[128:129]
	v_div_scale_f64 v[112:113], s[18:19], v[114:115], v[114:115], 1.0
	v_rcp_f64_e32 v[130:131], v[112:113]
	s_nop 0
	v_fma_f64 v[132:133], -v[112:113], v[130:131], 1.0
	v_fmac_f64_e32 v[130:131], v[130:131], v[132:133]
	v_fma_f64 v[132:133], -v[112:113], v[130:131], 1.0
	v_fmac_f64_e32 v[130:131], v[130:131], v[132:133]
	v_div_scale_f64 v[132:133], vcc, 1.0, v[114:115], 1.0
	v_mul_f64 v[134:135], v[132:133], v[130:131]
	v_fma_f64 v[112:113], -v[112:113], v[134:135], v[132:133]
	s_nop 1
	v_div_fmas_f64 v[112:113], v[112:113], v[130:131], v[134:135]
	v_div_fixup_f64 v[114:115], v[112:113], v[114:115], 1.0
	v_mul_f64 v[112:113], v[128:129], v[114:115]
	v_xor_b32_e32 v115, 0x80000000, v115
.LBB54_196:
	s_andn2_saveexec_b64 s[16:17], s[16:17]
	s_cbranch_execz .LBB54_198
; %bb.197:
	v_div_scale_f64 v[128:129], s[18:19], v[112:113], v[112:113], v[114:115]
	v_rcp_f64_e32 v[130:131], v[128:129]
	v_div_scale_f64 v[132:133], vcc, v[114:115], v[112:113], v[114:115]
	v_fma_f64 v[134:135], -v[128:129], v[130:131], 1.0
	v_fmac_f64_e32 v[130:131], v[130:131], v[134:135]
	v_fma_f64 v[134:135], -v[128:129], v[130:131], 1.0
	v_fmac_f64_e32 v[130:131], v[130:131], v[134:135]
	v_mul_f64 v[134:135], v[132:133], v[130:131]
	v_fma_f64 v[128:129], -v[128:129], v[134:135], v[132:133]
	v_div_fmas_f64 v[128:129], v[128:129], v[130:131], v[134:135]
	v_div_fixup_f64 v[128:129], v[128:129], v[112:113], v[114:115]
	v_fmac_f64_e32 v[112:113], v[114:115], v[128:129]
	v_div_scale_f64 v[114:115], s[18:19], v[112:113], v[112:113], 1.0
	v_rcp_f64_e32 v[130:131], v[114:115]
	s_nop 0
	v_fma_f64 v[132:133], -v[114:115], v[130:131], 1.0
	v_fmac_f64_e32 v[130:131], v[130:131], v[132:133]
	v_fma_f64 v[132:133], -v[114:115], v[130:131], 1.0
	v_fmac_f64_e32 v[130:131], v[130:131], v[132:133]
	v_div_scale_f64 v[132:133], vcc, 1.0, v[112:113], 1.0
	v_mul_f64 v[134:135], v[132:133], v[130:131]
	v_fma_f64 v[114:115], -v[114:115], v[134:135], v[132:133]
	s_nop 1
	v_div_fmas_f64 v[114:115], v[114:115], v[130:131], v[134:135]
	v_div_fixup_f64 v[112:113], v[114:115], v[112:113], 1.0
	v_mul_f64 v[114:115], v[128:129], -v[112:113]
.LBB54_198:
	s_or_b64 exec, exec, s[16:17]
.LBB54_199:
	s_or_b64 exec, exec, s[0:1]
	v_cmp_ne_u32_e32 vcc, v125, v122
	s_and_saveexec_b64 s[0:1], vcc
	s_xor_b64 s[0:1], exec, s[0:1]
	s_cbranch_execz .LBB54_205
; %bb.200:
	v_cmp_eq_u32_e32 vcc, 9, v125
	s_and_saveexec_b64 s[16:17], vcc
	s_cbranch_execz .LBB54_204
; %bb.201:
	v_cmp_ne_u32_e32 vcc, 9, v122
	s_xor_b64 s[18:19], s[14:15], -1
	s_and_b64 s[22:23], s[18:19], vcc
	s_and_saveexec_b64 s[18:19], s[22:23]
	s_cbranch_execz .LBB54_203
; %bb.202:
	v_ashrrev_i32_e32 v123, 31, v122
	v_lshl_add_u64 v[128:129], v[122:123], 2, v[120:121]
	global_load_dword v123, v[128:129], off
	global_load_dword v125, v[120:121], off offset:36
	s_waitcnt vmcnt(1)
	global_store_dword v[120:121], v123, off offset:36
	s_waitcnt vmcnt(1)
	global_store_dword v[128:129], v125, off
.LBB54_203:
	s_or_b64 exec, exec, s[18:19]
	v_mov_b32_e32 v125, v122
	v_mov_b32_e32 v127, v122
.LBB54_204:
	s_or_b64 exec, exec, s[16:17]
.LBB54_205:
	s_andn2_saveexec_b64 s[0:1], s[0:1]
	s_cbranch_execz .LBB54_207
; %bb.206:
	v_mov_b32_e32 v125, 9
	s_waitcnt vmcnt(17)
	ds_write2_b64 v124, v[64:65], v[66:67] offset0:20 offset1:21
	s_waitcnt vmcnt(16)
	ds_write2_b64 v124, v[60:61], v[62:63] offset0:22 offset1:23
	;; [unrolled: 2-line block ×18, first 2 shown]
.LBB54_207:
	s_or_b64 exec, exec, s[0:1]
	v_cmp_lt_i32_e32 vcc, 9, v125
	s_waitcnt lgkmcnt(0)
	s_barrier
	s_and_saveexec_b64 s[0:1], vcc
	s_cbranch_execz .LBB54_209
; %bb.208:
	ds_read2_b64 v[128:131], v124 offset0:20 offset1:21
	v_mul_f64 v[122:123], v[114:115], v[70:71]
	v_mul_f64 v[70:71], v[112:113], v[70:71]
	v_fma_f64 v[122:123], v[112:113], v[68:69], -v[122:123]
	v_fmac_f64_e32 v[70:71], v[114:115], v[68:69]
	ds_read2_b64 v[112:115], v124 offset0:22 offset1:23
	s_waitcnt lgkmcnt(1)
	v_mul_f64 v[68:69], v[130:131], v[70:71]
	v_fma_f64 v[68:69], v[128:129], v[122:123], -v[68:69]
	v_mul_f64 v[128:129], v[128:129], v[70:71]
	v_fmac_f64_e32 v[128:129], v[130:131], v[122:123]
	s_waitcnt vmcnt(17)
	v_add_f64 v[64:65], v[64:65], -v[68:69]
	s_waitcnt lgkmcnt(0)
	v_mul_f64 v[68:69], v[114:115], v[70:71]
	v_add_f64 v[66:67], v[66:67], -v[128:129]
	v_fma_f64 v[68:69], v[112:113], v[122:123], -v[68:69]
	v_mul_f64 v[112:113], v[112:113], v[70:71]
	ds_read2_b64 v[128:131], v124 offset0:24 offset1:25
	v_fmac_f64_e32 v[112:113], v[114:115], v[122:123]
	s_waitcnt vmcnt(16)
	v_add_f64 v[62:63], v[62:63], -v[112:113]
	ds_read2_b64 v[112:115], v124 offset0:26 offset1:27
	v_add_f64 v[60:61], v[60:61], -v[68:69]
	s_waitcnt lgkmcnt(1)
	v_mul_f64 v[68:69], v[130:131], v[70:71]
	v_fma_f64 v[68:69], v[128:129], v[122:123], -v[68:69]
	v_mul_f64 v[128:129], v[128:129], v[70:71]
	v_fmac_f64_e32 v[128:129], v[130:131], v[122:123]
	s_waitcnt vmcnt(15)
	v_add_f64 v[56:57], v[56:57], -v[68:69]
	s_waitcnt lgkmcnt(0)
	v_mul_f64 v[68:69], v[114:115], v[70:71]
	v_add_f64 v[58:59], v[58:59], -v[128:129]
	v_fma_f64 v[68:69], v[112:113], v[122:123], -v[68:69]
	v_mul_f64 v[112:113], v[112:113], v[70:71]
	ds_read2_b64 v[128:131], v124 offset0:28 offset1:29
	v_fmac_f64_e32 v[112:113], v[114:115], v[122:123]
	s_waitcnt vmcnt(14)
	v_add_f64 v[54:55], v[54:55], -v[112:113]
	ds_read2_b64 v[112:115], v124 offset0:30 offset1:31
	v_add_f64 v[52:53], v[52:53], -v[68:69]
	s_waitcnt lgkmcnt(1)
	v_mul_f64 v[68:69], v[130:131], v[70:71]
	v_fma_f64 v[68:69], v[128:129], v[122:123], -v[68:69]
	v_mul_f64 v[128:129], v[128:129], v[70:71]
	v_fmac_f64_e32 v[128:129], v[130:131], v[122:123]
	s_waitcnt vmcnt(13)
	v_add_f64 v[48:49], v[48:49], -v[68:69]
	s_waitcnt lgkmcnt(0)
	v_mul_f64 v[68:69], v[114:115], v[70:71]
	v_add_f64 v[50:51], v[50:51], -v[128:129]
	v_fma_f64 v[68:69], v[112:113], v[122:123], -v[68:69]
	v_mul_f64 v[112:113], v[112:113], v[70:71]
	ds_read2_b64 v[128:131], v124 offset0:32 offset1:33
	v_fmac_f64_e32 v[112:113], v[114:115], v[122:123]
	s_waitcnt vmcnt(12)
	v_add_f64 v[42:43], v[42:43], -v[112:113]
	ds_read2_b64 v[112:115], v124 offset0:34 offset1:35
	v_add_f64 v[40:41], v[40:41], -v[68:69]
	s_waitcnt lgkmcnt(1)
	v_mul_f64 v[68:69], v[130:131], v[70:71]
	v_fma_f64 v[68:69], v[128:129], v[122:123], -v[68:69]
	v_mul_f64 v[128:129], v[128:129], v[70:71]
	v_fmac_f64_e32 v[128:129], v[130:131], v[122:123]
	s_waitcnt vmcnt(11)
	v_add_f64 v[44:45], v[44:45], -v[68:69]
	s_waitcnt lgkmcnt(0)
	v_mul_f64 v[68:69], v[114:115], v[70:71]
	v_add_f64 v[46:47], v[46:47], -v[128:129]
	v_fma_f64 v[68:69], v[112:113], v[122:123], -v[68:69]
	v_mul_f64 v[112:113], v[112:113], v[70:71]
	ds_read2_b64 v[128:131], v124 offset0:36 offset1:37
	v_fmac_f64_e32 v[112:113], v[114:115], v[122:123]
	s_waitcnt vmcnt(10)
	v_add_f64 v[38:39], v[38:39], -v[112:113]
	ds_read2_b64 v[112:115], v124 offset0:38 offset1:39
	v_add_f64 v[36:37], v[36:37], -v[68:69]
	s_waitcnt lgkmcnt(1)
	v_mul_f64 v[68:69], v[130:131], v[70:71]
	v_fma_f64 v[68:69], v[128:129], v[122:123], -v[68:69]
	v_mul_f64 v[128:129], v[128:129], v[70:71]
	v_fmac_f64_e32 v[128:129], v[130:131], v[122:123]
	s_waitcnt vmcnt(9)
	v_add_f64 v[32:33], v[32:33], -v[68:69]
	s_waitcnt lgkmcnt(0)
	v_mul_f64 v[68:69], v[114:115], v[70:71]
	v_add_f64 v[34:35], v[34:35], -v[128:129]
	v_fma_f64 v[68:69], v[112:113], v[122:123], -v[68:69]
	v_mul_f64 v[112:113], v[112:113], v[70:71]
	ds_read2_b64 v[128:131], v124 offset0:40 offset1:41
	v_fmac_f64_e32 v[112:113], v[114:115], v[122:123]
	s_waitcnt vmcnt(8)
	v_add_f64 v[30:31], v[30:31], -v[112:113]
	ds_read2_b64 v[112:115], v124 offset0:42 offset1:43
	v_add_f64 v[28:29], v[28:29], -v[68:69]
	s_waitcnt lgkmcnt(1)
	v_mul_f64 v[68:69], v[130:131], v[70:71]
	v_fma_f64 v[68:69], v[128:129], v[122:123], -v[68:69]
	v_mul_f64 v[128:129], v[128:129], v[70:71]
	v_fmac_f64_e32 v[128:129], v[130:131], v[122:123]
	s_waitcnt vmcnt(7)
	v_add_f64 v[24:25], v[24:25], -v[68:69]
	s_waitcnt lgkmcnt(0)
	v_mul_f64 v[68:69], v[114:115], v[70:71]
	v_add_f64 v[26:27], v[26:27], -v[128:129]
	v_fma_f64 v[68:69], v[112:113], v[122:123], -v[68:69]
	v_mul_f64 v[112:113], v[112:113], v[70:71]
	ds_read2_b64 v[128:131], v124 offset0:44 offset1:45
	v_fmac_f64_e32 v[112:113], v[114:115], v[122:123]
	s_waitcnt vmcnt(6)
	v_add_f64 v[22:23], v[22:23], -v[112:113]
	ds_read2_b64 v[112:115], v124 offset0:46 offset1:47
	v_add_f64 v[20:21], v[20:21], -v[68:69]
	s_waitcnt lgkmcnt(1)
	v_mul_f64 v[68:69], v[130:131], v[70:71]
	v_fma_f64 v[68:69], v[128:129], v[122:123], -v[68:69]
	v_mul_f64 v[128:129], v[128:129], v[70:71]
	v_fmac_f64_e32 v[128:129], v[130:131], v[122:123]
	s_waitcnt vmcnt(5)
	v_add_f64 v[16:17], v[16:17], -v[68:69]
	s_waitcnt lgkmcnt(0)
	v_mul_f64 v[68:69], v[114:115], v[70:71]
	v_add_f64 v[18:19], v[18:19], -v[128:129]
	v_fma_f64 v[68:69], v[112:113], v[122:123], -v[68:69]
	v_mul_f64 v[112:113], v[112:113], v[70:71]
	ds_read2_b64 v[128:131], v124 offset0:48 offset1:49
	v_fmac_f64_e32 v[112:113], v[114:115], v[122:123]
	s_waitcnt vmcnt(4)
	v_add_f64 v[14:15], v[14:15], -v[112:113]
	ds_read2_b64 v[112:115], v124 offset0:50 offset1:51
	v_add_f64 v[12:13], v[12:13], -v[68:69]
	s_waitcnt lgkmcnt(1)
	v_mul_f64 v[68:69], v[130:131], v[70:71]
	v_fma_f64 v[68:69], v[128:129], v[122:123], -v[68:69]
	v_mul_f64 v[128:129], v[128:129], v[70:71]
	v_fmac_f64_e32 v[128:129], v[130:131], v[122:123]
	s_waitcnt vmcnt(3)
	v_add_f64 v[8:9], v[8:9], -v[68:69]
	s_waitcnt lgkmcnt(0)
	v_mul_f64 v[68:69], v[114:115], v[70:71]
	v_add_f64 v[10:11], v[10:11], -v[128:129]
	v_fma_f64 v[68:69], v[112:113], v[122:123], -v[68:69]
	v_mul_f64 v[112:113], v[112:113], v[70:71]
	ds_read2_b64 v[128:131], v124 offset0:52 offset1:53
	v_fmac_f64_e32 v[112:113], v[114:115], v[122:123]
	s_waitcnt vmcnt(2)
	v_add_f64 v[6:7], v[6:7], -v[112:113]
	ds_read2_b64 v[112:115], v124 offset0:54 offset1:55
	v_add_f64 v[4:5], v[4:5], -v[68:69]
	s_waitcnt lgkmcnt(1)
	v_mul_f64 v[68:69], v[130:131], v[70:71]
	v_fma_f64 v[68:69], v[128:129], v[122:123], -v[68:69]
	s_waitcnt vmcnt(1)
	v_add_f64 v[0:1], v[0:1], -v[68:69]
	s_waitcnt lgkmcnt(0)
	v_mul_f64 v[68:69], v[114:115], v[70:71]
	v_mul_f64 v[128:129], v[128:129], v[70:71]
	v_fma_f64 v[68:69], v[112:113], v[122:123], -v[68:69]
	v_mul_f64 v[112:113], v[112:113], v[70:71]
	v_fmac_f64_e32 v[128:129], v[130:131], v[122:123]
	v_fmac_f64_e32 v[112:113], v[114:115], v[122:123]
	v_add_f64 v[2:3], v[2:3], -v[128:129]
	s_waitcnt vmcnt(0)
	v_add_f64 v[108:109], v[108:109], -v[68:69]
	v_add_f64 v[110:111], v[110:111], -v[112:113]
	v_mov_b64_e32 v[68:69], v[122:123]
.LBB54_209:
	s_or_b64 exec, exec, s[0:1]
	v_lshl_add_u32 v112, v125, 4, v124
	s_barrier
	s_waitcnt vmcnt(17)
	ds_write2_b64 v112, v[64:65], v[66:67] offset1:1
	s_waitcnt lgkmcnt(0)
	s_barrier
	ds_read2_b64 v[112:115], v124 offset0:20 offset1:21
	s_cmp_lt_i32 s20, 12
	v_mov_b32_e32 v122, 10
	s_cbranch_scc1 .LBB54_212
; %bb.210:
	v_add_u32_e32 v123, 0xb0, v124
	s_mov_b32 s16, 11
	v_mov_b32_e32 v122, 10
.LBB54_211:                             ; =>This Inner Loop Header: Depth=1
	ds_read2_b64 v[128:131], v123 offset1:1
	s_waitcnt lgkmcnt(1)
	v_xor_b32_e32 v133, 0x80000000, v113
	v_xor_b32_e32 v135, 0x80000000, v115
	v_cmp_gt_f64_e32 vcc, 0, v[114:115]
	v_cmp_gt_f64_e64 s[0:1], 0, v[112:113]
	v_mov_b32_e32 v132, v112
	v_mov_b32_e32 v134, v114
	v_cndmask_b32_e64 v133, v113, v133, s[0:1]
	v_cndmask_b32_e32 v135, v115, v135, vcc
	v_add_f64 v[132:133], v[132:133], v[134:135]
	s_waitcnt lgkmcnt(0)
	v_xor_b32_e32 v135, 0x80000000, v129
	v_xor_b32_e32 v137, 0x80000000, v131
	v_cmp_gt_f64_e32 vcc, 0, v[130:131]
	v_cmp_gt_f64_e64 s[0:1], 0, v[128:129]
	v_mov_b32_e32 v134, v128
	v_mov_b32_e32 v136, v130
	v_cndmask_b32_e64 v135, v129, v135, s[0:1]
	v_cndmask_b32_e32 v137, v131, v137, vcc
	v_add_f64 v[134:135], v[134:135], v[136:137]
	v_mov_b32_e32 v138, s16
	s_add_i32 s16, s16, 1
	v_cmp_lt_f64_e32 vcc, v[132:133], v[134:135]
	v_add_u32_e32 v123, 16, v123
	s_cmp_lg_u32 s20, s16
	v_cndmask_b32_e32 v113, v113, v129, vcc
	v_cndmask_b32_e32 v112, v112, v128, vcc
	;; [unrolled: 1-line block ×5, first 2 shown]
	s_cbranch_scc1 .LBB54_211
.LBB54_212:
	s_waitcnt lgkmcnt(0)
	v_cmp_eq_f64_e32 vcc, 0, v[112:113]
	v_cmp_eq_f64_e64 s[0:1], 0, v[114:115]
	s_and_b64 s[0:1], vcc, s[0:1]
	s_and_saveexec_b64 s[16:17], s[0:1]
	s_xor_b64 s[0:1], exec, s[16:17]
; %bb.213:
	v_cmp_ne_u32_e32 vcc, 0, v126
	s_nop 1
	v_cndmask_b32_e32 v126, 11, v126, vcc
; %bb.214:
	s_andn2_saveexec_b64 s[0:1], s[0:1]
	s_cbranch_execz .LBB54_220
; %bb.215:
	v_cmp_ngt_f64_e64 s[16:17], |v[112:113]|, |v[114:115]|
	s_and_saveexec_b64 s[18:19], s[16:17]
	s_xor_b64 s[16:17], exec, s[18:19]
	s_cbranch_execz .LBB54_217
; %bb.216:
	v_div_scale_f64 v[128:129], s[18:19], v[114:115], v[114:115], v[112:113]
	v_rcp_f64_e32 v[130:131], v[128:129]
	v_div_scale_f64 v[132:133], vcc, v[112:113], v[114:115], v[112:113]
	v_fma_f64 v[134:135], -v[128:129], v[130:131], 1.0
	v_fmac_f64_e32 v[130:131], v[130:131], v[134:135]
	v_fma_f64 v[134:135], -v[128:129], v[130:131], 1.0
	v_fmac_f64_e32 v[130:131], v[130:131], v[134:135]
	v_mul_f64 v[134:135], v[132:133], v[130:131]
	v_fma_f64 v[128:129], -v[128:129], v[134:135], v[132:133]
	v_div_fmas_f64 v[128:129], v[128:129], v[130:131], v[134:135]
	v_div_fixup_f64 v[128:129], v[128:129], v[114:115], v[112:113]
	v_fmac_f64_e32 v[114:115], v[112:113], v[128:129]
	v_div_scale_f64 v[112:113], s[18:19], v[114:115], v[114:115], 1.0
	v_rcp_f64_e32 v[130:131], v[112:113]
	s_nop 0
	v_fma_f64 v[132:133], -v[112:113], v[130:131], 1.0
	v_fmac_f64_e32 v[130:131], v[130:131], v[132:133]
	v_fma_f64 v[132:133], -v[112:113], v[130:131], 1.0
	v_fmac_f64_e32 v[130:131], v[130:131], v[132:133]
	v_div_scale_f64 v[132:133], vcc, 1.0, v[114:115], 1.0
	v_mul_f64 v[134:135], v[132:133], v[130:131]
	v_fma_f64 v[112:113], -v[112:113], v[134:135], v[132:133]
	s_nop 1
	v_div_fmas_f64 v[112:113], v[112:113], v[130:131], v[134:135]
	v_div_fixup_f64 v[114:115], v[112:113], v[114:115], 1.0
	v_mul_f64 v[112:113], v[128:129], v[114:115]
	v_xor_b32_e32 v115, 0x80000000, v115
.LBB54_217:
	s_andn2_saveexec_b64 s[16:17], s[16:17]
	s_cbranch_execz .LBB54_219
; %bb.218:
	v_div_scale_f64 v[128:129], s[18:19], v[112:113], v[112:113], v[114:115]
	v_rcp_f64_e32 v[130:131], v[128:129]
	v_div_scale_f64 v[132:133], vcc, v[114:115], v[112:113], v[114:115]
	v_fma_f64 v[134:135], -v[128:129], v[130:131], 1.0
	v_fmac_f64_e32 v[130:131], v[130:131], v[134:135]
	v_fma_f64 v[134:135], -v[128:129], v[130:131], 1.0
	v_fmac_f64_e32 v[130:131], v[130:131], v[134:135]
	v_mul_f64 v[134:135], v[132:133], v[130:131]
	v_fma_f64 v[128:129], -v[128:129], v[134:135], v[132:133]
	v_div_fmas_f64 v[128:129], v[128:129], v[130:131], v[134:135]
	v_div_fixup_f64 v[128:129], v[128:129], v[112:113], v[114:115]
	v_fmac_f64_e32 v[112:113], v[114:115], v[128:129]
	v_div_scale_f64 v[114:115], s[18:19], v[112:113], v[112:113], 1.0
	v_rcp_f64_e32 v[130:131], v[114:115]
	s_nop 0
	v_fma_f64 v[132:133], -v[114:115], v[130:131], 1.0
	v_fmac_f64_e32 v[130:131], v[130:131], v[132:133]
	v_fma_f64 v[132:133], -v[114:115], v[130:131], 1.0
	v_fmac_f64_e32 v[130:131], v[130:131], v[132:133]
	v_div_scale_f64 v[132:133], vcc, 1.0, v[112:113], 1.0
	v_mul_f64 v[134:135], v[132:133], v[130:131]
	v_fma_f64 v[114:115], -v[114:115], v[134:135], v[132:133]
	s_nop 1
	v_div_fmas_f64 v[114:115], v[114:115], v[130:131], v[134:135]
	v_div_fixup_f64 v[112:113], v[114:115], v[112:113], 1.0
	v_mul_f64 v[114:115], v[128:129], -v[112:113]
.LBB54_219:
	s_or_b64 exec, exec, s[16:17]
.LBB54_220:
	s_or_b64 exec, exec, s[0:1]
	v_cmp_ne_u32_e32 vcc, v125, v122
	s_and_saveexec_b64 s[0:1], vcc
	s_xor_b64 s[0:1], exec, s[0:1]
	s_cbranch_execz .LBB54_226
; %bb.221:
	v_cmp_eq_u32_e32 vcc, 10, v125
	s_and_saveexec_b64 s[16:17], vcc
	s_cbranch_execz .LBB54_225
; %bb.222:
	v_cmp_ne_u32_e32 vcc, 10, v122
	s_xor_b64 s[18:19], s[14:15], -1
	s_and_b64 s[22:23], s[18:19], vcc
	s_and_saveexec_b64 s[18:19], s[22:23]
	s_cbranch_execz .LBB54_224
; %bb.223:
	v_ashrrev_i32_e32 v123, 31, v122
	v_lshl_add_u64 v[128:129], v[122:123], 2, v[120:121]
	global_load_dword v123, v[128:129], off
	global_load_dword v125, v[120:121], off offset:40
	s_waitcnt vmcnt(1)
	global_store_dword v[120:121], v123, off offset:40
	s_waitcnt vmcnt(1)
	global_store_dword v[128:129], v125, off
.LBB54_224:
	s_or_b64 exec, exec, s[18:19]
	v_mov_b32_e32 v125, v122
	v_mov_b32_e32 v127, v122
.LBB54_225:
	s_or_b64 exec, exec, s[16:17]
.LBB54_226:
	s_andn2_saveexec_b64 s[0:1], s[0:1]
	s_cbranch_execz .LBB54_228
; %bb.227:
	v_mov_b32_e32 v125, 10
	s_waitcnt vmcnt(16)
	ds_write2_b64 v124, v[60:61], v[62:63] offset0:22 offset1:23
	s_waitcnt vmcnt(15)
	ds_write2_b64 v124, v[56:57], v[58:59] offset0:24 offset1:25
	;; [unrolled: 2-line block ×17, first 2 shown]
.LBB54_228:
	s_or_b64 exec, exec, s[0:1]
	v_cmp_lt_i32_e32 vcc, 10, v125
	s_waitcnt lgkmcnt(0)
	s_barrier
	s_and_saveexec_b64 s[0:1], vcc
	s_cbranch_execz .LBB54_230
; %bb.229:
	ds_read2_b64 v[128:131], v124 offset0:22 offset1:23
	v_mul_f64 v[122:123], v[114:115], v[66:67]
	v_mul_f64 v[66:67], v[112:113], v[66:67]
	v_fmac_f64_e32 v[66:67], v[114:115], v[64:65]
	v_fma_f64 v[122:123], v[112:113], v[64:65], -v[122:123]
	ds_read2_b64 v[112:115], v124 offset0:24 offset1:25
	s_waitcnt lgkmcnt(1)
	v_mul_f64 v[64:65], v[130:131], v[66:67]
	v_fma_f64 v[64:65], v[128:129], v[122:123], -v[64:65]
	v_mul_f64 v[128:129], v[128:129], v[66:67]
	v_fmac_f64_e32 v[128:129], v[130:131], v[122:123]
	s_waitcnt vmcnt(16)
	v_add_f64 v[62:63], v[62:63], -v[128:129]
	ds_read2_b64 v[128:131], v124 offset0:26 offset1:27
	v_add_f64 v[60:61], v[60:61], -v[64:65]
	s_waitcnt lgkmcnt(1)
	v_mul_f64 v[64:65], v[114:115], v[66:67]
	v_fma_f64 v[64:65], v[112:113], v[122:123], -v[64:65]
	v_mul_f64 v[112:113], v[112:113], v[66:67]
	v_fmac_f64_e32 v[112:113], v[114:115], v[122:123]
	s_waitcnt vmcnt(15)
	v_add_f64 v[56:57], v[56:57], -v[64:65]
	v_add_f64 v[58:59], v[58:59], -v[112:113]
	ds_read2_b64 v[112:115], v124 offset0:28 offset1:29
	s_waitcnt lgkmcnt(1)
	v_mul_f64 v[64:65], v[130:131], v[66:67]
	v_fma_f64 v[64:65], v[128:129], v[122:123], -v[64:65]
	v_mul_f64 v[128:129], v[128:129], v[66:67]
	v_fmac_f64_e32 v[128:129], v[130:131], v[122:123]
	s_waitcnt vmcnt(14)
	v_add_f64 v[54:55], v[54:55], -v[128:129]
	ds_read2_b64 v[128:131], v124 offset0:30 offset1:31
	v_add_f64 v[52:53], v[52:53], -v[64:65]
	s_waitcnt lgkmcnt(1)
	v_mul_f64 v[64:65], v[114:115], v[66:67]
	v_fma_f64 v[64:65], v[112:113], v[122:123], -v[64:65]
	v_mul_f64 v[112:113], v[112:113], v[66:67]
	v_fmac_f64_e32 v[112:113], v[114:115], v[122:123]
	s_waitcnt vmcnt(13)
	v_add_f64 v[48:49], v[48:49], -v[64:65]
	v_add_f64 v[50:51], v[50:51], -v[112:113]
	;; [unrolled: 18-line block ×8, first 2 shown]
	s_waitcnt lgkmcnt(0)
	v_mul_f64 v[64:65], v[130:131], v[66:67]
	v_mul_f64 v[112:113], v[128:129], v[66:67]
	v_fma_f64 v[64:65], v[128:129], v[122:123], -v[64:65]
	v_fmac_f64_e32 v[112:113], v[130:131], v[122:123]
	s_waitcnt vmcnt(0)
	v_add_f64 v[108:109], v[108:109], -v[64:65]
	v_add_f64 v[110:111], v[110:111], -v[112:113]
	v_mov_b64_e32 v[64:65], v[122:123]
.LBB54_230:
	s_or_b64 exec, exec, s[0:1]
	v_lshl_add_u32 v112, v125, 4, v124
	s_barrier
	s_waitcnt vmcnt(16)
	ds_write2_b64 v112, v[60:61], v[62:63] offset1:1
	s_waitcnt lgkmcnt(0)
	s_barrier
	ds_read2_b64 v[112:115], v124 offset0:22 offset1:23
	s_cmp_lt_i32 s20, 13
	v_mov_b32_e32 v122, 11
	s_cbranch_scc1 .LBB54_233
; %bb.231:
	v_add_u32_e32 v123, 0xc0, v124
	s_mov_b32 s16, 12
	v_mov_b32_e32 v122, 11
.LBB54_232:                             ; =>This Inner Loop Header: Depth=1
	ds_read2_b64 v[128:131], v123 offset1:1
	s_waitcnt lgkmcnt(1)
	v_xor_b32_e32 v133, 0x80000000, v113
	v_xor_b32_e32 v135, 0x80000000, v115
	v_cmp_gt_f64_e32 vcc, 0, v[114:115]
	v_cmp_gt_f64_e64 s[0:1], 0, v[112:113]
	v_mov_b32_e32 v132, v112
	v_mov_b32_e32 v134, v114
	v_cndmask_b32_e64 v133, v113, v133, s[0:1]
	v_cndmask_b32_e32 v135, v115, v135, vcc
	v_add_f64 v[132:133], v[132:133], v[134:135]
	s_waitcnt lgkmcnt(0)
	v_xor_b32_e32 v135, 0x80000000, v129
	v_xor_b32_e32 v137, 0x80000000, v131
	v_cmp_gt_f64_e32 vcc, 0, v[130:131]
	v_cmp_gt_f64_e64 s[0:1], 0, v[128:129]
	v_mov_b32_e32 v134, v128
	v_mov_b32_e32 v136, v130
	v_cndmask_b32_e64 v135, v129, v135, s[0:1]
	v_cndmask_b32_e32 v137, v131, v137, vcc
	v_add_f64 v[134:135], v[134:135], v[136:137]
	v_mov_b32_e32 v138, s16
	s_add_i32 s16, s16, 1
	v_cmp_lt_f64_e32 vcc, v[132:133], v[134:135]
	v_add_u32_e32 v123, 16, v123
	s_cmp_lg_u32 s20, s16
	v_cndmask_b32_e32 v113, v113, v129, vcc
	v_cndmask_b32_e32 v112, v112, v128, vcc
	;; [unrolled: 1-line block ×5, first 2 shown]
	s_cbranch_scc1 .LBB54_232
.LBB54_233:
	s_waitcnt lgkmcnt(0)
	v_cmp_eq_f64_e32 vcc, 0, v[112:113]
	v_cmp_eq_f64_e64 s[0:1], 0, v[114:115]
	s_and_b64 s[0:1], vcc, s[0:1]
	s_and_saveexec_b64 s[16:17], s[0:1]
	s_xor_b64 s[0:1], exec, s[16:17]
; %bb.234:
	v_cmp_ne_u32_e32 vcc, 0, v126
	s_nop 1
	v_cndmask_b32_e32 v126, 12, v126, vcc
; %bb.235:
	s_andn2_saveexec_b64 s[0:1], s[0:1]
	s_cbranch_execz .LBB54_241
; %bb.236:
	v_cmp_ngt_f64_e64 s[16:17], |v[112:113]|, |v[114:115]|
	s_and_saveexec_b64 s[18:19], s[16:17]
	s_xor_b64 s[16:17], exec, s[18:19]
	s_cbranch_execz .LBB54_238
; %bb.237:
	v_div_scale_f64 v[128:129], s[18:19], v[114:115], v[114:115], v[112:113]
	v_rcp_f64_e32 v[130:131], v[128:129]
	v_div_scale_f64 v[132:133], vcc, v[112:113], v[114:115], v[112:113]
	v_fma_f64 v[134:135], -v[128:129], v[130:131], 1.0
	v_fmac_f64_e32 v[130:131], v[130:131], v[134:135]
	v_fma_f64 v[134:135], -v[128:129], v[130:131], 1.0
	v_fmac_f64_e32 v[130:131], v[130:131], v[134:135]
	v_mul_f64 v[134:135], v[132:133], v[130:131]
	v_fma_f64 v[128:129], -v[128:129], v[134:135], v[132:133]
	v_div_fmas_f64 v[128:129], v[128:129], v[130:131], v[134:135]
	v_div_fixup_f64 v[128:129], v[128:129], v[114:115], v[112:113]
	v_fmac_f64_e32 v[114:115], v[112:113], v[128:129]
	v_div_scale_f64 v[112:113], s[18:19], v[114:115], v[114:115], 1.0
	v_rcp_f64_e32 v[130:131], v[112:113]
	s_nop 0
	v_fma_f64 v[132:133], -v[112:113], v[130:131], 1.0
	v_fmac_f64_e32 v[130:131], v[130:131], v[132:133]
	v_fma_f64 v[132:133], -v[112:113], v[130:131], 1.0
	v_fmac_f64_e32 v[130:131], v[130:131], v[132:133]
	v_div_scale_f64 v[132:133], vcc, 1.0, v[114:115], 1.0
	v_mul_f64 v[134:135], v[132:133], v[130:131]
	v_fma_f64 v[112:113], -v[112:113], v[134:135], v[132:133]
	s_nop 1
	v_div_fmas_f64 v[112:113], v[112:113], v[130:131], v[134:135]
	v_div_fixup_f64 v[114:115], v[112:113], v[114:115], 1.0
	v_mul_f64 v[112:113], v[128:129], v[114:115]
	v_xor_b32_e32 v115, 0x80000000, v115
.LBB54_238:
	s_andn2_saveexec_b64 s[16:17], s[16:17]
	s_cbranch_execz .LBB54_240
; %bb.239:
	v_div_scale_f64 v[128:129], s[18:19], v[112:113], v[112:113], v[114:115]
	v_rcp_f64_e32 v[130:131], v[128:129]
	v_div_scale_f64 v[132:133], vcc, v[114:115], v[112:113], v[114:115]
	v_fma_f64 v[134:135], -v[128:129], v[130:131], 1.0
	v_fmac_f64_e32 v[130:131], v[130:131], v[134:135]
	v_fma_f64 v[134:135], -v[128:129], v[130:131], 1.0
	v_fmac_f64_e32 v[130:131], v[130:131], v[134:135]
	v_mul_f64 v[134:135], v[132:133], v[130:131]
	v_fma_f64 v[128:129], -v[128:129], v[134:135], v[132:133]
	v_div_fmas_f64 v[128:129], v[128:129], v[130:131], v[134:135]
	v_div_fixup_f64 v[128:129], v[128:129], v[112:113], v[114:115]
	v_fmac_f64_e32 v[112:113], v[114:115], v[128:129]
	v_div_scale_f64 v[114:115], s[18:19], v[112:113], v[112:113], 1.0
	v_rcp_f64_e32 v[130:131], v[114:115]
	s_nop 0
	v_fma_f64 v[132:133], -v[114:115], v[130:131], 1.0
	v_fmac_f64_e32 v[130:131], v[130:131], v[132:133]
	v_fma_f64 v[132:133], -v[114:115], v[130:131], 1.0
	v_fmac_f64_e32 v[130:131], v[130:131], v[132:133]
	v_div_scale_f64 v[132:133], vcc, 1.0, v[112:113], 1.0
	v_mul_f64 v[134:135], v[132:133], v[130:131]
	v_fma_f64 v[114:115], -v[114:115], v[134:135], v[132:133]
	s_nop 1
	v_div_fmas_f64 v[114:115], v[114:115], v[130:131], v[134:135]
	v_div_fixup_f64 v[112:113], v[114:115], v[112:113], 1.0
	v_mul_f64 v[114:115], v[128:129], -v[112:113]
.LBB54_240:
	s_or_b64 exec, exec, s[16:17]
.LBB54_241:
	s_or_b64 exec, exec, s[0:1]
	v_cmp_ne_u32_e32 vcc, v125, v122
	s_and_saveexec_b64 s[0:1], vcc
	s_xor_b64 s[0:1], exec, s[0:1]
	s_cbranch_execz .LBB54_247
; %bb.242:
	v_cmp_eq_u32_e32 vcc, 11, v125
	s_and_saveexec_b64 s[16:17], vcc
	s_cbranch_execz .LBB54_246
; %bb.243:
	v_cmp_ne_u32_e32 vcc, 11, v122
	s_xor_b64 s[18:19], s[14:15], -1
	s_and_b64 s[22:23], s[18:19], vcc
	s_and_saveexec_b64 s[18:19], s[22:23]
	s_cbranch_execz .LBB54_245
; %bb.244:
	v_ashrrev_i32_e32 v123, 31, v122
	v_lshl_add_u64 v[128:129], v[122:123], 2, v[120:121]
	global_load_dword v123, v[128:129], off
	global_load_dword v125, v[120:121], off offset:44
	s_waitcnt vmcnt(1)
	global_store_dword v[120:121], v123, off offset:44
	s_waitcnt vmcnt(1)
	global_store_dword v[128:129], v125, off
.LBB54_245:
	s_or_b64 exec, exec, s[18:19]
	v_mov_b32_e32 v125, v122
	v_mov_b32_e32 v127, v122
.LBB54_246:
	s_or_b64 exec, exec, s[16:17]
.LBB54_247:
	s_andn2_saveexec_b64 s[0:1], s[0:1]
	s_cbranch_execz .LBB54_249
; %bb.248:
	v_mov_b32_e32 v125, 11
	s_waitcnt vmcnt(15)
	ds_write2_b64 v124, v[56:57], v[58:59] offset0:24 offset1:25
	s_waitcnt vmcnt(14)
	ds_write2_b64 v124, v[52:53], v[54:55] offset0:26 offset1:27
	;; [unrolled: 2-line block ×16, first 2 shown]
.LBB54_249:
	s_or_b64 exec, exec, s[0:1]
	v_cmp_lt_i32_e32 vcc, 11, v125
	s_waitcnt lgkmcnt(0)
	s_barrier
	s_and_saveexec_b64 s[0:1], vcc
	s_cbranch_execz .LBB54_251
; %bb.250:
	ds_read2_b64 v[128:131], v124 offset0:24 offset1:25
	v_mul_f64 v[122:123], v[112:113], v[62:63]
	v_mul_f64 v[62:63], v[114:115], v[62:63]
	v_fmac_f64_e32 v[122:123], v[114:115], v[60:61]
	v_fma_f64 v[60:61], v[112:113], v[60:61], -v[62:63]
	ds_read2_b64 v[112:115], v124 offset0:26 offset1:27
	s_waitcnt lgkmcnt(1)
	v_mul_f64 v[62:63], v[130:131], v[122:123]
	v_fma_f64 v[62:63], v[128:129], v[60:61], -v[62:63]
	v_mul_f64 v[128:129], v[128:129], v[122:123]
	v_fmac_f64_e32 v[128:129], v[130:131], v[60:61]
	s_waitcnt vmcnt(15)
	v_add_f64 v[56:57], v[56:57], -v[62:63]
	s_waitcnt lgkmcnt(0)
	v_mul_f64 v[62:63], v[114:115], v[122:123]
	v_add_f64 v[58:59], v[58:59], -v[128:129]
	v_fma_f64 v[62:63], v[112:113], v[60:61], -v[62:63]
	v_mul_f64 v[112:113], v[112:113], v[122:123]
	ds_read2_b64 v[128:131], v124 offset0:28 offset1:29
	v_fmac_f64_e32 v[112:113], v[114:115], v[60:61]
	s_waitcnt vmcnt(14)
	v_add_f64 v[54:55], v[54:55], -v[112:113]
	ds_read2_b64 v[112:115], v124 offset0:30 offset1:31
	v_add_f64 v[52:53], v[52:53], -v[62:63]
	s_waitcnt lgkmcnt(1)
	v_mul_f64 v[62:63], v[130:131], v[122:123]
	v_fma_f64 v[62:63], v[128:129], v[60:61], -v[62:63]
	v_mul_f64 v[128:129], v[128:129], v[122:123]
	v_fmac_f64_e32 v[128:129], v[130:131], v[60:61]
	s_waitcnt vmcnt(13)
	v_add_f64 v[48:49], v[48:49], -v[62:63]
	s_waitcnt lgkmcnt(0)
	v_mul_f64 v[62:63], v[114:115], v[122:123]
	v_add_f64 v[50:51], v[50:51], -v[128:129]
	v_fma_f64 v[62:63], v[112:113], v[60:61], -v[62:63]
	v_mul_f64 v[112:113], v[112:113], v[122:123]
	ds_read2_b64 v[128:131], v124 offset0:32 offset1:33
	v_fmac_f64_e32 v[112:113], v[114:115], v[60:61]
	s_waitcnt vmcnt(12)
	v_add_f64 v[42:43], v[42:43], -v[112:113]
	ds_read2_b64 v[112:115], v124 offset0:34 offset1:35
	v_add_f64 v[40:41], v[40:41], -v[62:63]
	s_waitcnt lgkmcnt(1)
	v_mul_f64 v[62:63], v[130:131], v[122:123]
	v_fma_f64 v[62:63], v[128:129], v[60:61], -v[62:63]
	v_mul_f64 v[128:129], v[128:129], v[122:123]
	v_fmac_f64_e32 v[128:129], v[130:131], v[60:61]
	s_waitcnt vmcnt(11)
	v_add_f64 v[44:45], v[44:45], -v[62:63]
	s_waitcnt lgkmcnt(0)
	v_mul_f64 v[62:63], v[114:115], v[122:123]
	v_add_f64 v[46:47], v[46:47], -v[128:129]
	v_fma_f64 v[62:63], v[112:113], v[60:61], -v[62:63]
	v_mul_f64 v[112:113], v[112:113], v[122:123]
	ds_read2_b64 v[128:131], v124 offset0:36 offset1:37
	v_fmac_f64_e32 v[112:113], v[114:115], v[60:61]
	s_waitcnt vmcnt(10)
	v_add_f64 v[38:39], v[38:39], -v[112:113]
	ds_read2_b64 v[112:115], v124 offset0:38 offset1:39
	v_add_f64 v[36:37], v[36:37], -v[62:63]
	s_waitcnt lgkmcnt(1)
	v_mul_f64 v[62:63], v[130:131], v[122:123]
	v_fma_f64 v[62:63], v[128:129], v[60:61], -v[62:63]
	v_mul_f64 v[128:129], v[128:129], v[122:123]
	v_fmac_f64_e32 v[128:129], v[130:131], v[60:61]
	s_waitcnt vmcnt(9)
	v_add_f64 v[32:33], v[32:33], -v[62:63]
	s_waitcnt lgkmcnt(0)
	v_mul_f64 v[62:63], v[114:115], v[122:123]
	v_add_f64 v[34:35], v[34:35], -v[128:129]
	v_fma_f64 v[62:63], v[112:113], v[60:61], -v[62:63]
	v_mul_f64 v[112:113], v[112:113], v[122:123]
	ds_read2_b64 v[128:131], v124 offset0:40 offset1:41
	v_fmac_f64_e32 v[112:113], v[114:115], v[60:61]
	s_waitcnt vmcnt(8)
	v_add_f64 v[30:31], v[30:31], -v[112:113]
	ds_read2_b64 v[112:115], v124 offset0:42 offset1:43
	v_add_f64 v[28:29], v[28:29], -v[62:63]
	s_waitcnt lgkmcnt(1)
	v_mul_f64 v[62:63], v[130:131], v[122:123]
	v_fma_f64 v[62:63], v[128:129], v[60:61], -v[62:63]
	v_mul_f64 v[128:129], v[128:129], v[122:123]
	v_fmac_f64_e32 v[128:129], v[130:131], v[60:61]
	s_waitcnt vmcnt(7)
	v_add_f64 v[24:25], v[24:25], -v[62:63]
	s_waitcnt lgkmcnt(0)
	v_mul_f64 v[62:63], v[114:115], v[122:123]
	v_add_f64 v[26:27], v[26:27], -v[128:129]
	v_fma_f64 v[62:63], v[112:113], v[60:61], -v[62:63]
	v_mul_f64 v[112:113], v[112:113], v[122:123]
	ds_read2_b64 v[128:131], v124 offset0:44 offset1:45
	v_fmac_f64_e32 v[112:113], v[114:115], v[60:61]
	s_waitcnt vmcnt(6)
	v_add_f64 v[22:23], v[22:23], -v[112:113]
	ds_read2_b64 v[112:115], v124 offset0:46 offset1:47
	v_add_f64 v[20:21], v[20:21], -v[62:63]
	s_waitcnt lgkmcnt(1)
	v_mul_f64 v[62:63], v[130:131], v[122:123]
	v_fma_f64 v[62:63], v[128:129], v[60:61], -v[62:63]
	v_mul_f64 v[128:129], v[128:129], v[122:123]
	v_fmac_f64_e32 v[128:129], v[130:131], v[60:61]
	s_waitcnt vmcnt(5)
	v_add_f64 v[16:17], v[16:17], -v[62:63]
	s_waitcnt lgkmcnt(0)
	v_mul_f64 v[62:63], v[114:115], v[122:123]
	v_add_f64 v[18:19], v[18:19], -v[128:129]
	v_fma_f64 v[62:63], v[112:113], v[60:61], -v[62:63]
	v_mul_f64 v[112:113], v[112:113], v[122:123]
	ds_read2_b64 v[128:131], v124 offset0:48 offset1:49
	v_fmac_f64_e32 v[112:113], v[114:115], v[60:61]
	s_waitcnt vmcnt(4)
	v_add_f64 v[14:15], v[14:15], -v[112:113]
	ds_read2_b64 v[112:115], v124 offset0:50 offset1:51
	v_add_f64 v[12:13], v[12:13], -v[62:63]
	s_waitcnt lgkmcnt(1)
	v_mul_f64 v[62:63], v[130:131], v[122:123]
	v_fma_f64 v[62:63], v[128:129], v[60:61], -v[62:63]
	v_mul_f64 v[128:129], v[128:129], v[122:123]
	v_fmac_f64_e32 v[128:129], v[130:131], v[60:61]
	s_waitcnt vmcnt(3)
	v_add_f64 v[8:9], v[8:9], -v[62:63]
	s_waitcnt lgkmcnt(0)
	v_mul_f64 v[62:63], v[114:115], v[122:123]
	v_add_f64 v[10:11], v[10:11], -v[128:129]
	v_fma_f64 v[62:63], v[112:113], v[60:61], -v[62:63]
	v_mul_f64 v[112:113], v[112:113], v[122:123]
	ds_read2_b64 v[128:131], v124 offset0:52 offset1:53
	v_fmac_f64_e32 v[112:113], v[114:115], v[60:61]
	s_waitcnt vmcnt(2)
	v_add_f64 v[6:7], v[6:7], -v[112:113]
	ds_read2_b64 v[112:115], v124 offset0:54 offset1:55
	v_add_f64 v[4:5], v[4:5], -v[62:63]
	s_waitcnt lgkmcnt(1)
	v_mul_f64 v[62:63], v[130:131], v[122:123]
	v_fma_f64 v[62:63], v[128:129], v[60:61], -v[62:63]
	s_waitcnt vmcnt(1)
	v_add_f64 v[0:1], v[0:1], -v[62:63]
	s_waitcnt lgkmcnt(0)
	v_mul_f64 v[62:63], v[114:115], v[122:123]
	v_mul_f64 v[128:129], v[128:129], v[122:123]
	v_fma_f64 v[62:63], v[112:113], v[60:61], -v[62:63]
	v_mul_f64 v[112:113], v[112:113], v[122:123]
	v_fmac_f64_e32 v[128:129], v[130:131], v[60:61]
	v_fmac_f64_e32 v[112:113], v[114:115], v[60:61]
	v_add_f64 v[2:3], v[2:3], -v[128:129]
	s_waitcnt vmcnt(0)
	v_add_f64 v[108:109], v[108:109], -v[62:63]
	v_add_f64 v[110:111], v[110:111], -v[112:113]
	v_mov_b64_e32 v[62:63], v[122:123]
.LBB54_251:
	s_or_b64 exec, exec, s[0:1]
	v_lshl_add_u32 v112, v125, 4, v124
	s_barrier
	s_waitcnt vmcnt(15)
	ds_write2_b64 v112, v[56:57], v[58:59] offset1:1
	s_waitcnt lgkmcnt(0)
	s_barrier
	ds_read2_b64 v[112:115], v124 offset0:24 offset1:25
	s_cmp_lt_i32 s20, 14
	v_mov_b32_e32 v122, 12
	s_cbranch_scc1 .LBB54_254
; %bb.252:
	v_add_u32_e32 v123, 0xd0, v124
	s_mov_b32 s16, 13
	v_mov_b32_e32 v122, 12
.LBB54_253:                             ; =>This Inner Loop Header: Depth=1
	ds_read2_b64 v[128:131], v123 offset1:1
	s_waitcnt lgkmcnt(1)
	v_xor_b32_e32 v133, 0x80000000, v113
	v_xor_b32_e32 v135, 0x80000000, v115
	v_cmp_gt_f64_e32 vcc, 0, v[114:115]
	v_cmp_gt_f64_e64 s[0:1], 0, v[112:113]
	v_mov_b32_e32 v132, v112
	v_mov_b32_e32 v134, v114
	v_cndmask_b32_e64 v133, v113, v133, s[0:1]
	v_cndmask_b32_e32 v135, v115, v135, vcc
	v_add_f64 v[132:133], v[132:133], v[134:135]
	s_waitcnt lgkmcnt(0)
	v_xor_b32_e32 v135, 0x80000000, v129
	v_xor_b32_e32 v137, 0x80000000, v131
	v_cmp_gt_f64_e32 vcc, 0, v[130:131]
	v_cmp_gt_f64_e64 s[0:1], 0, v[128:129]
	v_mov_b32_e32 v134, v128
	v_mov_b32_e32 v136, v130
	v_cndmask_b32_e64 v135, v129, v135, s[0:1]
	v_cndmask_b32_e32 v137, v131, v137, vcc
	v_add_f64 v[134:135], v[134:135], v[136:137]
	v_mov_b32_e32 v138, s16
	s_add_i32 s16, s16, 1
	v_cmp_lt_f64_e32 vcc, v[132:133], v[134:135]
	v_add_u32_e32 v123, 16, v123
	s_cmp_lg_u32 s20, s16
	v_cndmask_b32_e32 v113, v113, v129, vcc
	v_cndmask_b32_e32 v112, v112, v128, vcc
	;; [unrolled: 1-line block ×5, first 2 shown]
	s_cbranch_scc1 .LBB54_253
.LBB54_254:
	s_waitcnt lgkmcnt(0)
	v_cmp_eq_f64_e32 vcc, 0, v[112:113]
	v_cmp_eq_f64_e64 s[0:1], 0, v[114:115]
	s_and_b64 s[0:1], vcc, s[0:1]
	s_and_saveexec_b64 s[16:17], s[0:1]
	s_xor_b64 s[0:1], exec, s[16:17]
; %bb.255:
	v_cmp_ne_u32_e32 vcc, 0, v126
	s_nop 1
	v_cndmask_b32_e32 v126, 13, v126, vcc
; %bb.256:
	s_andn2_saveexec_b64 s[0:1], s[0:1]
	s_cbranch_execz .LBB54_262
; %bb.257:
	v_cmp_ngt_f64_e64 s[16:17], |v[112:113]|, |v[114:115]|
	s_and_saveexec_b64 s[18:19], s[16:17]
	s_xor_b64 s[16:17], exec, s[18:19]
	s_cbranch_execz .LBB54_259
; %bb.258:
	v_div_scale_f64 v[128:129], s[18:19], v[114:115], v[114:115], v[112:113]
	v_rcp_f64_e32 v[130:131], v[128:129]
	v_div_scale_f64 v[132:133], vcc, v[112:113], v[114:115], v[112:113]
	v_fma_f64 v[134:135], -v[128:129], v[130:131], 1.0
	v_fmac_f64_e32 v[130:131], v[130:131], v[134:135]
	v_fma_f64 v[134:135], -v[128:129], v[130:131], 1.0
	v_fmac_f64_e32 v[130:131], v[130:131], v[134:135]
	v_mul_f64 v[134:135], v[132:133], v[130:131]
	v_fma_f64 v[128:129], -v[128:129], v[134:135], v[132:133]
	v_div_fmas_f64 v[128:129], v[128:129], v[130:131], v[134:135]
	v_div_fixup_f64 v[128:129], v[128:129], v[114:115], v[112:113]
	v_fmac_f64_e32 v[114:115], v[112:113], v[128:129]
	v_div_scale_f64 v[112:113], s[18:19], v[114:115], v[114:115], 1.0
	v_rcp_f64_e32 v[130:131], v[112:113]
	s_nop 0
	v_fma_f64 v[132:133], -v[112:113], v[130:131], 1.0
	v_fmac_f64_e32 v[130:131], v[130:131], v[132:133]
	v_fma_f64 v[132:133], -v[112:113], v[130:131], 1.0
	v_fmac_f64_e32 v[130:131], v[130:131], v[132:133]
	v_div_scale_f64 v[132:133], vcc, 1.0, v[114:115], 1.0
	v_mul_f64 v[134:135], v[132:133], v[130:131]
	v_fma_f64 v[112:113], -v[112:113], v[134:135], v[132:133]
	s_nop 1
	v_div_fmas_f64 v[112:113], v[112:113], v[130:131], v[134:135]
	v_div_fixup_f64 v[114:115], v[112:113], v[114:115], 1.0
	v_mul_f64 v[112:113], v[128:129], v[114:115]
	v_xor_b32_e32 v115, 0x80000000, v115
.LBB54_259:
	s_andn2_saveexec_b64 s[16:17], s[16:17]
	s_cbranch_execz .LBB54_261
; %bb.260:
	v_div_scale_f64 v[128:129], s[18:19], v[112:113], v[112:113], v[114:115]
	v_rcp_f64_e32 v[130:131], v[128:129]
	v_div_scale_f64 v[132:133], vcc, v[114:115], v[112:113], v[114:115]
	v_fma_f64 v[134:135], -v[128:129], v[130:131], 1.0
	v_fmac_f64_e32 v[130:131], v[130:131], v[134:135]
	v_fma_f64 v[134:135], -v[128:129], v[130:131], 1.0
	v_fmac_f64_e32 v[130:131], v[130:131], v[134:135]
	v_mul_f64 v[134:135], v[132:133], v[130:131]
	v_fma_f64 v[128:129], -v[128:129], v[134:135], v[132:133]
	v_div_fmas_f64 v[128:129], v[128:129], v[130:131], v[134:135]
	v_div_fixup_f64 v[128:129], v[128:129], v[112:113], v[114:115]
	v_fmac_f64_e32 v[112:113], v[114:115], v[128:129]
	v_div_scale_f64 v[114:115], s[18:19], v[112:113], v[112:113], 1.0
	v_rcp_f64_e32 v[130:131], v[114:115]
	s_nop 0
	v_fma_f64 v[132:133], -v[114:115], v[130:131], 1.0
	v_fmac_f64_e32 v[130:131], v[130:131], v[132:133]
	v_fma_f64 v[132:133], -v[114:115], v[130:131], 1.0
	v_fmac_f64_e32 v[130:131], v[130:131], v[132:133]
	v_div_scale_f64 v[132:133], vcc, 1.0, v[112:113], 1.0
	v_mul_f64 v[134:135], v[132:133], v[130:131]
	v_fma_f64 v[114:115], -v[114:115], v[134:135], v[132:133]
	s_nop 1
	v_div_fmas_f64 v[114:115], v[114:115], v[130:131], v[134:135]
	v_div_fixup_f64 v[112:113], v[114:115], v[112:113], 1.0
	v_mul_f64 v[114:115], v[128:129], -v[112:113]
.LBB54_261:
	s_or_b64 exec, exec, s[16:17]
.LBB54_262:
	s_or_b64 exec, exec, s[0:1]
	v_cmp_ne_u32_e32 vcc, v125, v122
	s_and_saveexec_b64 s[0:1], vcc
	s_xor_b64 s[0:1], exec, s[0:1]
	s_cbranch_execz .LBB54_268
; %bb.263:
	v_cmp_eq_u32_e32 vcc, 12, v125
	s_and_saveexec_b64 s[16:17], vcc
	s_cbranch_execz .LBB54_267
; %bb.264:
	v_cmp_ne_u32_e32 vcc, 12, v122
	s_xor_b64 s[18:19], s[14:15], -1
	s_and_b64 s[22:23], s[18:19], vcc
	s_and_saveexec_b64 s[18:19], s[22:23]
	s_cbranch_execz .LBB54_266
; %bb.265:
	v_ashrrev_i32_e32 v123, 31, v122
	v_lshl_add_u64 v[128:129], v[122:123], 2, v[120:121]
	global_load_dword v123, v[128:129], off
	global_load_dword v125, v[120:121], off offset:48
	s_waitcnt vmcnt(1)
	global_store_dword v[120:121], v123, off offset:48
	s_waitcnt vmcnt(1)
	global_store_dword v[128:129], v125, off
.LBB54_266:
	s_or_b64 exec, exec, s[18:19]
	v_mov_b32_e32 v125, v122
	v_mov_b32_e32 v127, v122
.LBB54_267:
	s_or_b64 exec, exec, s[16:17]
.LBB54_268:
	s_andn2_saveexec_b64 s[0:1], s[0:1]
	s_cbranch_execz .LBB54_270
; %bb.269:
	v_mov_b32_e32 v125, 12
	s_waitcnt vmcnt(14)
	ds_write2_b64 v124, v[52:53], v[54:55] offset0:26 offset1:27
	s_waitcnt vmcnt(13)
	ds_write2_b64 v124, v[48:49], v[50:51] offset0:28 offset1:29
	;; [unrolled: 2-line block ×15, first 2 shown]
.LBB54_270:
	s_or_b64 exec, exec, s[0:1]
	v_cmp_lt_i32_e32 vcc, 12, v125
	s_waitcnt lgkmcnt(0)
	s_barrier
	s_and_saveexec_b64 s[0:1], vcc
	s_cbranch_execz .LBB54_272
; %bb.271:
	ds_read2_b64 v[128:131], v124 offset0:26 offset1:27
	v_mul_f64 v[122:123], v[112:113], v[58:59]
	v_fmac_f64_e32 v[122:123], v[114:115], v[56:57]
	v_mul_f64 v[58:59], v[114:115], v[58:59]
	v_fma_f64 v[56:57], v[112:113], v[56:57], -v[58:59]
	ds_read2_b64 v[112:115], v124 offset0:28 offset1:29
	s_waitcnt lgkmcnt(1)
	v_mul_f64 v[58:59], v[130:131], v[122:123]
	v_fma_f64 v[58:59], v[128:129], v[56:57], -v[58:59]
	v_mul_f64 v[128:129], v[128:129], v[122:123]
	v_fmac_f64_e32 v[128:129], v[130:131], v[56:57]
	s_waitcnt vmcnt(14)
	v_add_f64 v[54:55], v[54:55], -v[128:129]
	ds_read2_b64 v[128:131], v124 offset0:30 offset1:31
	v_add_f64 v[52:53], v[52:53], -v[58:59]
	s_waitcnt lgkmcnt(1)
	v_mul_f64 v[58:59], v[114:115], v[122:123]
	v_fma_f64 v[58:59], v[112:113], v[56:57], -v[58:59]
	v_mul_f64 v[112:113], v[112:113], v[122:123]
	v_fmac_f64_e32 v[112:113], v[114:115], v[56:57]
	s_waitcnt vmcnt(13)
	v_add_f64 v[48:49], v[48:49], -v[58:59]
	v_add_f64 v[50:51], v[50:51], -v[112:113]
	ds_read2_b64 v[112:115], v124 offset0:32 offset1:33
	s_waitcnt lgkmcnt(1)
	v_mul_f64 v[58:59], v[130:131], v[122:123]
	v_fma_f64 v[58:59], v[128:129], v[56:57], -v[58:59]
	v_mul_f64 v[128:129], v[128:129], v[122:123]
	v_fmac_f64_e32 v[128:129], v[130:131], v[56:57]
	s_waitcnt vmcnt(12)
	v_add_f64 v[42:43], v[42:43], -v[128:129]
	ds_read2_b64 v[128:131], v124 offset0:34 offset1:35
	v_add_f64 v[40:41], v[40:41], -v[58:59]
	s_waitcnt lgkmcnt(1)
	v_mul_f64 v[58:59], v[114:115], v[122:123]
	v_fma_f64 v[58:59], v[112:113], v[56:57], -v[58:59]
	v_mul_f64 v[112:113], v[112:113], v[122:123]
	v_fmac_f64_e32 v[112:113], v[114:115], v[56:57]
	s_waitcnt vmcnt(11)
	v_add_f64 v[44:45], v[44:45], -v[58:59]
	v_add_f64 v[46:47], v[46:47], -v[112:113]
	;; [unrolled: 18-line block ×7, first 2 shown]
	s_waitcnt lgkmcnt(0)
	v_mul_f64 v[58:59], v[130:131], v[122:123]
	v_mul_f64 v[112:113], v[128:129], v[122:123]
	v_fma_f64 v[58:59], v[128:129], v[56:57], -v[58:59]
	v_fmac_f64_e32 v[112:113], v[130:131], v[56:57]
	s_waitcnt vmcnt(0)
	v_add_f64 v[108:109], v[108:109], -v[58:59]
	v_add_f64 v[110:111], v[110:111], -v[112:113]
	v_mov_b64_e32 v[58:59], v[122:123]
.LBB54_272:
	s_or_b64 exec, exec, s[0:1]
	v_lshl_add_u32 v112, v125, 4, v124
	s_barrier
	s_waitcnt vmcnt(14)
	ds_write2_b64 v112, v[52:53], v[54:55] offset1:1
	s_waitcnt lgkmcnt(0)
	s_barrier
	ds_read2_b64 v[112:115], v124 offset0:26 offset1:27
	s_cmp_lt_i32 s20, 15
	v_mov_b32_e32 v122, 13
	s_cbranch_scc1 .LBB54_275
; %bb.273:
	v_add_u32_e32 v123, 0xe0, v124
	s_mov_b32 s16, 14
	v_mov_b32_e32 v122, 13
.LBB54_274:                             ; =>This Inner Loop Header: Depth=1
	ds_read2_b64 v[128:131], v123 offset1:1
	s_waitcnt lgkmcnt(1)
	v_xor_b32_e32 v133, 0x80000000, v113
	v_xor_b32_e32 v135, 0x80000000, v115
	v_cmp_gt_f64_e32 vcc, 0, v[114:115]
	v_cmp_gt_f64_e64 s[0:1], 0, v[112:113]
	v_mov_b32_e32 v132, v112
	v_mov_b32_e32 v134, v114
	v_cndmask_b32_e64 v133, v113, v133, s[0:1]
	v_cndmask_b32_e32 v135, v115, v135, vcc
	v_add_f64 v[132:133], v[132:133], v[134:135]
	s_waitcnt lgkmcnt(0)
	v_xor_b32_e32 v135, 0x80000000, v129
	v_xor_b32_e32 v137, 0x80000000, v131
	v_cmp_gt_f64_e32 vcc, 0, v[130:131]
	v_cmp_gt_f64_e64 s[0:1], 0, v[128:129]
	v_mov_b32_e32 v134, v128
	v_mov_b32_e32 v136, v130
	v_cndmask_b32_e64 v135, v129, v135, s[0:1]
	v_cndmask_b32_e32 v137, v131, v137, vcc
	v_add_f64 v[134:135], v[134:135], v[136:137]
	v_mov_b32_e32 v138, s16
	s_add_i32 s16, s16, 1
	v_cmp_lt_f64_e32 vcc, v[132:133], v[134:135]
	v_add_u32_e32 v123, 16, v123
	s_cmp_lg_u32 s20, s16
	v_cndmask_b32_e32 v113, v113, v129, vcc
	v_cndmask_b32_e32 v112, v112, v128, vcc
	;; [unrolled: 1-line block ×5, first 2 shown]
	s_cbranch_scc1 .LBB54_274
.LBB54_275:
	s_waitcnt lgkmcnt(0)
	v_cmp_eq_f64_e32 vcc, 0, v[112:113]
	v_cmp_eq_f64_e64 s[0:1], 0, v[114:115]
	s_and_b64 s[0:1], vcc, s[0:1]
	s_and_saveexec_b64 s[16:17], s[0:1]
	s_xor_b64 s[0:1], exec, s[16:17]
; %bb.276:
	v_cmp_ne_u32_e32 vcc, 0, v126
	s_nop 1
	v_cndmask_b32_e32 v126, 14, v126, vcc
; %bb.277:
	s_andn2_saveexec_b64 s[0:1], s[0:1]
	s_cbranch_execz .LBB54_283
; %bb.278:
	v_cmp_ngt_f64_e64 s[16:17], |v[112:113]|, |v[114:115]|
	s_and_saveexec_b64 s[18:19], s[16:17]
	s_xor_b64 s[16:17], exec, s[18:19]
	s_cbranch_execz .LBB54_280
; %bb.279:
	v_div_scale_f64 v[128:129], s[18:19], v[114:115], v[114:115], v[112:113]
	v_rcp_f64_e32 v[130:131], v[128:129]
	v_div_scale_f64 v[132:133], vcc, v[112:113], v[114:115], v[112:113]
	v_fma_f64 v[134:135], -v[128:129], v[130:131], 1.0
	v_fmac_f64_e32 v[130:131], v[130:131], v[134:135]
	v_fma_f64 v[134:135], -v[128:129], v[130:131], 1.0
	v_fmac_f64_e32 v[130:131], v[130:131], v[134:135]
	v_mul_f64 v[134:135], v[132:133], v[130:131]
	v_fma_f64 v[128:129], -v[128:129], v[134:135], v[132:133]
	v_div_fmas_f64 v[128:129], v[128:129], v[130:131], v[134:135]
	v_div_fixup_f64 v[128:129], v[128:129], v[114:115], v[112:113]
	v_fmac_f64_e32 v[114:115], v[112:113], v[128:129]
	v_div_scale_f64 v[112:113], s[18:19], v[114:115], v[114:115], 1.0
	v_rcp_f64_e32 v[130:131], v[112:113]
	s_nop 0
	v_fma_f64 v[132:133], -v[112:113], v[130:131], 1.0
	v_fmac_f64_e32 v[130:131], v[130:131], v[132:133]
	v_fma_f64 v[132:133], -v[112:113], v[130:131], 1.0
	v_fmac_f64_e32 v[130:131], v[130:131], v[132:133]
	v_div_scale_f64 v[132:133], vcc, 1.0, v[114:115], 1.0
	v_mul_f64 v[134:135], v[132:133], v[130:131]
	v_fma_f64 v[112:113], -v[112:113], v[134:135], v[132:133]
	s_nop 1
	v_div_fmas_f64 v[112:113], v[112:113], v[130:131], v[134:135]
	v_div_fixup_f64 v[114:115], v[112:113], v[114:115], 1.0
	v_mul_f64 v[112:113], v[128:129], v[114:115]
	v_xor_b32_e32 v115, 0x80000000, v115
.LBB54_280:
	s_andn2_saveexec_b64 s[16:17], s[16:17]
	s_cbranch_execz .LBB54_282
; %bb.281:
	v_div_scale_f64 v[128:129], s[18:19], v[112:113], v[112:113], v[114:115]
	v_rcp_f64_e32 v[130:131], v[128:129]
	v_div_scale_f64 v[132:133], vcc, v[114:115], v[112:113], v[114:115]
	v_fma_f64 v[134:135], -v[128:129], v[130:131], 1.0
	v_fmac_f64_e32 v[130:131], v[130:131], v[134:135]
	v_fma_f64 v[134:135], -v[128:129], v[130:131], 1.0
	v_fmac_f64_e32 v[130:131], v[130:131], v[134:135]
	v_mul_f64 v[134:135], v[132:133], v[130:131]
	v_fma_f64 v[128:129], -v[128:129], v[134:135], v[132:133]
	v_div_fmas_f64 v[128:129], v[128:129], v[130:131], v[134:135]
	v_div_fixup_f64 v[128:129], v[128:129], v[112:113], v[114:115]
	v_fmac_f64_e32 v[112:113], v[114:115], v[128:129]
	v_div_scale_f64 v[114:115], s[18:19], v[112:113], v[112:113], 1.0
	v_rcp_f64_e32 v[130:131], v[114:115]
	s_nop 0
	v_fma_f64 v[132:133], -v[114:115], v[130:131], 1.0
	v_fmac_f64_e32 v[130:131], v[130:131], v[132:133]
	v_fma_f64 v[132:133], -v[114:115], v[130:131], 1.0
	v_fmac_f64_e32 v[130:131], v[130:131], v[132:133]
	v_div_scale_f64 v[132:133], vcc, 1.0, v[112:113], 1.0
	v_mul_f64 v[134:135], v[132:133], v[130:131]
	v_fma_f64 v[114:115], -v[114:115], v[134:135], v[132:133]
	s_nop 1
	v_div_fmas_f64 v[114:115], v[114:115], v[130:131], v[134:135]
	v_div_fixup_f64 v[112:113], v[114:115], v[112:113], 1.0
	v_mul_f64 v[114:115], v[128:129], -v[112:113]
.LBB54_282:
	s_or_b64 exec, exec, s[16:17]
.LBB54_283:
	s_or_b64 exec, exec, s[0:1]
	v_cmp_ne_u32_e32 vcc, v125, v122
	s_and_saveexec_b64 s[0:1], vcc
	s_xor_b64 s[0:1], exec, s[0:1]
	s_cbranch_execz .LBB54_289
; %bb.284:
	v_cmp_eq_u32_e32 vcc, 13, v125
	s_and_saveexec_b64 s[16:17], vcc
	s_cbranch_execz .LBB54_288
; %bb.285:
	v_cmp_ne_u32_e32 vcc, 13, v122
	s_xor_b64 s[18:19], s[14:15], -1
	s_and_b64 s[22:23], s[18:19], vcc
	s_and_saveexec_b64 s[18:19], s[22:23]
	s_cbranch_execz .LBB54_287
; %bb.286:
	v_ashrrev_i32_e32 v123, 31, v122
	v_lshl_add_u64 v[128:129], v[122:123], 2, v[120:121]
	global_load_dword v123, v[128:129], off
	global_load_dword v125, v[120:121], off offset:52
	s_waitcnt vmcnt(1)
	global_store_dword v[120:121], v123, off offset:52
	s_waitcnt vmcnt(1)
	global_store_dword v[128:129], v125, off
.LBB54_287:
	s_or_b64 exec, exec, s[18:19]
	v_mov_b32_e32 v125, v122
	v_mov_b32_e32 v127, v122
.LBB54_288:
	s_or_b64 exec, exec, s[16:17]
.LBB54_289:
	s_andn2_saveexec_b64 s[0:1], s[0:1]
	s_cbranch_execz .LBB54_291
; %bb.290:
	v_mov_b32_e32 v125, 13
	s_waitcnt vmcnt(13)
	ds_write2_b64 v124, v[48:49], v[50:51] offset0:28 offset1:29
	s_waitcnt vmcnt(12)
	ds_write2_b64 v124, v[40:41], v[42:43] offset0:30 offset1:31
	;; [unrolled: 2-line block ×14, first 2 shown]
.LBB54_291:
	s_or_b64 exec, exec, s[0:1]
	v_cmp_lt_i32_e32 vcc, 13, v125
	s_waitcnt lgkmcnt(0)
	s_barrier
	s_and_saveexec_b64 s[0:1], vcc
	s_cbranch_execz .LBB54_293
; %bb.292:
	ds_read2_b64 v[128:131], v124 offset0:28 offset1:29
	v_mul_f64 v[122:123], v[112:113], v[54:55]
	v_mul_f64 v[54:55], v[114:115], v[54:55]
	v_fmac_f64_e32 v[122:123], v[114:115], v[52:53]
	v_fma_f64 v[52:53], v[112:113], v[52:53], -v[54:55]
	ds_read2_b64 v[112:115], v124 offset0:30 offset1:31
	s_waitcnt lgkmcnt(1)
	v_mul_f64 v[54:55], v[130:131], v[122:123]
	v_fma_f64 v[54:55], v[128:129], v[52:53], -v[54:55]
	v_mul_f64 v[128:129], v[128:129], v[122:123]
	v_fmac_f64_e32 v[128:129], v[130:131], v[52:53]
	s_waitcnt vmcnt(13)
	v_add_f64 v[48:49], v[48:49], -v[54:55]
	s_waitcnt lgkmcnt(0)
	v_mul_f64 v[54:55], v[114:115], v[122:123]
	v_add_f64 v[50:51], v[50:51], -v[128:129]
	v_fma_f64 v[54:55], v[112:113], v[52:53], -v[54:55]
	v_mul_f64 v[112:113], v[112:113], v[122:123]
	ds_read2_b64 v[128:131], v124 offset0:32 offset1:33
	v_fmac_f64_e32 v[112:113], v[114:115], v[52:53]
	s_waitcnt vmcnt(12)
	v_add_f64 v[42:43], v[42:43], -v[112:113]
	ds_read2_b64 v[112:115], v124 offset0:34 offset1:35
	v_add_f64 v[40:41], v[40:41], -v[54:55]
	s_waitcnt lgkmcnt(1)
	v_mul_f64 v[54:55], v[130:131], v[122:123]
	v_fma_f64 v[54:55], v[128:129], v[52:53], -v[54:55]
	v_mul_f64 v[128:129], v[128:129], v[122:123]
	v_fmac_f64_e32 v[128:129], v[130:131], v[52:53]
	s_waitcnt vmcnt(11)
	v_add_f64 v[44:45], v[44:45], -v[54:55]
	s_waitcnt lgkmcnt(0)
	v_mul_f64 v[54:55], v[114:115], v[122:123]
	v_add_f64 v[46:47], v[46:47], -v[128:129]
	v_fma_f64 v[54:55], v[112:113], v[52:53], -v[54:55]
	v_mul_f64 v[112:113], v[112:113], v[122:123]
	ds_read2_b64 v[128:131], v124 offset0:36 offset1:37
	v_fmac_f64_e32 v[112:113], v[114:115], v[52:53]
	s_waitcnt vmcnt(10)
	v_add_f64 v[38:39], v[38:39], -v[112:113]
	ds_read2_b64 v[112:115], v124 offset0:38 offset1:39
	v_add_f64 v[36:37], v[36:37], -v[54:55]
	s_waitcnt lgkmcnt(1)
	v_mul_f64 v[54:55], v[130:131], v[122:123]
	v_fma_f64 v[54:55], v[128:129], v[52:53], -v[54:55]
	v_mul_f64 v[128:129], v[128:129], v[122:123]
	v_fmac_f64_e32 v[128:129], v[130:131], v[52:53]
	s_waitcnt vmcnt(9)
	v_add_f64 v[32:33], v[32:33], -v[54:55]
	s_waitcnt lgkmcnt(0)
	v_mul_f64 v[54:55], v[114:115], v[122:123]
	v_add_f64 v[34:35], v[34:35], -v[128:129]
	v_fma_f64 v[54:55], v[112:113], v[52:53], -v[54:55]
	v_mul_f64 v[112:113], v[112:113], v[122:123]
	ds_read2_b64 v[128:131], v124 offset0:40 offset1:41
	v_fmac_f64_e32 v[112:113], v[114:115], v[52:53]
	s_waitcnt vmcnt(8)
	v_add_f64 v[30:31], v[30:31], -v[112:113]
	ds_read2_b64 v[112:115], v124 offset0:42 offset1:43
	v_add_f64 v[28:29], v[28:29], -v[54:55]
	s_waitcnt lgkmcnt(1)
	v_mul_f64 v[54:55], v[130:131], v[122:123]
	v_fma_f64 v[54:55], v[128:129], v[52:53], -v[54:55]
	v_mul_f64 v[128:129], v[128:129], v[122:123]
	v_fmac_f64_e32 v[128:129], v[130:131], v[52:53]
	s_waitcnt vmcnt(7)
	v_add_f64 v[24:25], v[24:25], -v[54:55]
	s_waitcnt lgkmcnt(0)
	v_mul_f64 v[54:55], v[114:115], v[122:123]
	v_add_f64 v[26:27], v[26:27], -v[128:129]
	v_fma_f64 v[54:55], v[112:113], v[52:53], -v[54:55]
	v_mul_f64 v[112:113], v[112:113], v[122:123]
	ds_read2_b64 v[128:131], v124 offset0:44 offset1:45
	v_fmac_f64_e32 v[112:113], v[114:115], v[52:53]
	s_waitcnt vmcnt(6)
	v_add_f64 v[22:23], v[22:23], -v[112:113]
	ds_read2_b64 v[112:115], v124 offset0:46 offset1:47
	v_add_f64 v[20:21], v[20:21], -v[54:55]
	s_waitcnt lgkmcnt(1)
	v_mul_f64 v[54:55], v[130:131], v[122:123]
	v_fma_f64 v[54:55], v[128:129], v[52:53], -v[54:55]
	v_mul_f64 v[128:129], v[128:129], v[122:123]
	v_fmac_f64_e32 v[128:129], v[130:131], v[52:53]
	s_waitcnt vmcnt(5)
	v_add_f64 v[16:17], v[16:17], -v[54:55]
	s_waitcnt lgkmcnt(0)
	v_mul_f64 v[54:55], v[114:115], v[122:123]
	v_add_f64 v[18:19], v[18:19], -v[128:129]
	v_fma_f64 v[54:55], v[112:113], v[52:53], -v[54:55]
	v_mul_f64 v[112:113], v[112:113], v[122:123]
	ds_read2_b64 v[128:131], v124 offset0:48 offset1:49
	v_fmac_f64_e32 v[112:113], v[114:115], v[52:53]
	s_waitcnt vmcnt(4)
	v_add_f64 v[14:15], v[14:15], -v[112:113]
	ds_read2_b64 v[112:115], v124 offset0:50 offset1:51
	v_add_f64 v[12:13], v[12:13], -v[54:55]
	s_waitcnt lgkmcnt(1)
	v_mul_f64 v[54:55], v[130:131], v[122:123]
	v_fma_f64 v[54:55], v[128:129], v[52:53], -v[54:55]
	v_mul_f64 v[128:129], v[128:129], v[122:123]
	v_fmac_f64_e32 v[128:129], v[130:131], v[52:53]
	s_waitcnt vmcnt(3)
	v_add_f64 v[8:9], v[8:9], -v[54:55]
	s_waitcnt lgkmcnt(0)
	v_mul_f64 v[54:55], v[114:115], v[122:123]
	v_add_f64 v[10:11], v[10:11], -v[128:129]
	v_fma_f64 v[54:55], v[112:113], v[52:53], -v[54:55]
	v_mul_f64 v[112:113], v[112:113], v[122:123]
	ds_read2_b64 v[128:131], v124 offset0:52 offset1:53
	v_fmac_f64_e32 v[112:113], v[114:115], v[52:53]
	s_waitcnt vmcnt(2)
	v_add_f64 v[6:7], v[6:7], -v[112:113]
	ds_read2_b64 v[112:115], v124 offset0:54 offset1:55
	v_add_f64 v[4:5], v[4:5], -v[54:55]
	s_waitcnt lgkmcnt(1)
	v_mul_f64 v[54:55], v[130:131], v[122:123]
	v_fma_f64 v[54:55], v[128:129], v[52:53], -v[54:55]
	s_waitcnt vmcnt(1)
	v_add_f64 v[0:1], v[0:1], -v[54:55]
	s_waitcnt lgkmcnt(0)
	v_mul_f64 v[54:55], v[114:115], v[122:123]
	v_mul_f64 v[128:129], v[128:129], v[122:123]
	v_fma_f64 v[54:55], v[112:113], v[52:53], -v[54:55]
	v_mul_f64 v[112:113], v[112:113], v[122:123]
	v_fmac_f64_e32 v[128:129], v[130:131], v[52:53]
	v_fmac_f64_e32 v[112:113], v[114:115], v[52:53]
	v_add_f64 v[2:3], v[2:3], -v[128:129]
	s_waitcnt vmcnt(0)
	v_add_f64 v[108:109], v[108:109], -v[54:55]
	v_add_f64 v[110:111], v[110:111], -v[112:113]
	v_mov_b64_e32 v[54:55], v[122:123]
.LBB54_293:
	s_or_b64 exec, exec, s[0:1]
	v_lshl_add_u32 v112, v125, 4, v124
	s_barrier
	s_waitcnt vmcnt(13)
	ds_write2_b64 v112, v[48:49], v[50:51] offset1:1
	s_waitcnt lgkmcnt(0)
	s_barrier
	ds_read2_b64 v[112:115], v124 offset0:28 offset1:29
	s_cmp_lt_i32 s20, 16
	v_mov_b32_e32 v122, 14
	s_cbranch_scc1 .LBB54_296
; %bb.294:
	v_add_u32_e32 v123, 0xf0, v124
	s_mov_b32 s16, 15
	v_mov_b32_e32 v122, 14
.LBB54_295:                             ; =>This Inner Loop Header: Depth=1
	ds_read2_b64 v[128:131], v123 offset1:1
	s_waitcnt lgkmcnt(1)
	v_xor_b32_e32 v133, 0x80000000, v113
	v_xor_b32_e32 v135, 0x80000000, v115
	v_cmp_gt_f64_e32 vcc, 0, v[114:115]
	v_cmp_gt_f64_e64 s[0:1], 0, v[112:113]
	v_mov_b32_e32 v132, v112
	v_mov_b32_e32 v134, v114
	v_cndmask_b32_e64 v133, v113, v133, s[0:1]
	v_cndmask_b32_e32 v135, v115, v135, vcc
	v_add_f64 v[132:133], v[132:133], v[134:135]
	s_waitcnt lgkmcnt(0)
	v_xor_b32_e32 v135, 0x80000000, v129
	v_xor_b32_e32 v137, 0x80000000, v131
	v_cmp_gt_f64_e32 vcc, 0, v[130:131]
	v_cmp_gt_f64_e64 s[0:1], 0, v[128:129]
	v_mov_b32_e32 v134, v128
	v_mov_b32_e32 v136, v130
	v_cndmask_b32_e64 v135, v129, v135, s[0:1]
	v_cndmask_b32_e32 v137, v131, v137, vcc
	v_add_f64 v[134:135], v[134:135], v[136:137]
	v_mov_b32_e32 v138, s16
	s_add_i32 s16, s16, 1
	v_cmp_lt_f64_e32 vcc, v[132:133], v[134:135]
	v_add_u32_e32 v123, 16, v123
	s_cmp_lg_u32 s20, s16
	v_cndmask_b32_e32 v113, v113, v129, vcc
	v_cndmask_b32_e32 v112, v112, v128, vcc
	v_cndmask_b32_e32 v115, v115, v131, vcc
	v_cndmask_b32_e32 v114, v114, v130, vcc
	v_cndmask_b32_e32 v122, v122, v138, vcc
	s_cbranch_scc1 .LBB54_295
.LBB54_296:
	s_waitcnt lgkmcnt(0)
	v_cmp_eq_f64_e32 vcc, 0, v[112:113]
	v_cmp_eq_f64_e64 s[0:1], 0, v[114:115]
	s_and_b64 s[0:1], vcc, s[0:1]
	s_and_saveexec_b64 s[16:17], s[0:1]
	s_xor_b64 s[0:1], exec, s[16:17]
; %bb.297:
	v_cmp_ne_u32_e32 vcc, 0, v126
	s_nop 1
	v_cndmask_b32_e32 v126, 15, v126, vcc
; %bb.298:
	s_andn2_saveexec_b64 s[0:1], s[0:1]
	s_cbranch_execz .LBB54_304
; %bb.299:
	v_cmp_ngt_f64_e64 s[16:17], |v[112:113]|, |v[114:115]|
	s_and_saveexec_b64 s[18:19], s[16:17]
	s_xor_b64 s[16:17], exec, s[18:19]
	s_cbranch_execz .LBB54_301
; %bb.300:
	v_div_scale_f64 v[128:129], s[18:19], v[114:115], v[114:115], v[112:113]
	v_rcp_f64_e32 v[130:131], v[128:129]
	v_div_scale_f64 v[132:133], vcc, v[112:113], v[114:115], v[112:113]
	v_fma_f64 v[134:135], -v[128:129], v[130:131], 1.0
	v_fmac_f64_e32 v[130:131], v[130:131], v[134:135]
	v_fma_f64 v[134:135], -v[128:129], v[130:131], 1.0
	v_fmac_f64_e32 v[130:131], v[130:131], v[134:135]
	v_mul_f64 v[134:135], v[132:133], v[130:131]
	v_fma_f64 v[128:129], -v[128:129], v[134:135], v[132:133]
	v_div_fmas_f64 v[128:129], v[128:129], v[130:131], v[134:135]
	v_div_fixup_f64 v[128:129], v[128:129], v[114:115], v[112:113]
	v_fmac_f64_e32 v[114:115], v[112:113], v[128:129]
	v_div_scale_f64 v[112:113], s[18:19], v[114:115], v[114:115], 1.0
	v_rcp_f64_e32 v[130:131], v[112:113]
	s_nop 0
	v_fma_f64 v[132:133], -v[112:113], v[130:131], 1.0
	v_fmac_f64_e32 v[130:131], v[130:131], v[132:133]
	v_fma_f64 v[132:133], -v[112:113], v[130:131], 1.0
	v_fmac_f64_e32 v[130:131], v[130:131], v[132:133]
	v_div_scale_f64 v[132:133], vcc, 1.0, v[114:115], 1.0
	v_mul_f64 v[134:135], v[132:133], v[130:131]
	v_fma_f64 v[112:113], -v[112:113], v[134:135], v[132:133]
	s_nop 1
	v_div_fmas_f64 v[112:113], v[112:113], v[130:131], v[134:135]
	v_div_fixup_f64 v[114:115], v[112:113], v[114:115], 1.0
	v_mul_f64 v[112:113], v[128:129], v[114:115]
	v_xor_b32_e32 v115, 0x80000000, v115
.LBB54_301:
	s_andn2_saveexec_b64 s[16:17], s[16:17]
	s_cbranch_execz .LBB54_303
; %bb.302:
	v_div_scale_f64 v[128:129], s[18:19], v[112:113], v[112:113], v[114:115]
	v_rcp_f64_e32 v[130:131], v[128:129]
	v_div_scale_f64 v[132:133], vcc, v[114:115], v[112:113], v[114:115]
	v_fma_f64 v[134:135], -v[128:129], v[130:131], 1.0
	v_fmac_f64_e32 v[130:131], v[130:131], v[134:135]
	v_fma_f64 v[134:135], -v[128:129], v[130:131], 1.0
	v_fmac_f64_e32 v[130:131], v[130:131], v[134:135]
	v_mul_f64 v[134:135], v[132:133], v[130:131]
	v_fma_f64 v[128:129], -v[128:129], v[134:135], v[132:133]
	v_div_fmas_f64 v[128:129], v[128:129], v[130:131], v[134:135]
	v_div_fixup_f64 v[128:129], v[128:129], v[112:113], v[114:115]
	v_fmac_f64_e32 v[112:113], v[114:115], v[128:129]
	v_div_scale_f64 v[114:115], s[18:19], v[112:113], v[112:113], 1.0
	v_rcp_f64_e32 v[130:131], v[114:115]
	s_nop 0
	v_fma_f64 v[132:133], -v[114:115], v[130:131], 1.0
	v_fmac_f64_e32 v[130:131], v[130:131], v[132:133]
	v_fma_f64 v[132:133], -v[114:115], v[130:131], 1.0
	v_fmac_f64_e32 v[130:131], v[130:131], v[132:133]
	v_div_scale_f64 v[132:133], vcc, 1.0, v[112:113], 1.0
	v_mul_f64 v[134:135], v[132:133], v[130:131]
	v_fma_f64 v[114:115], -v[114:115], v[134:135], v[132:133]
	s_nop 1
	v_div_fmas_f64 v[114:115], v[114:115], v[130:131], v[134:135]
	v_div_fixup_f64 v[112:113], v[114:115], v[112:113], 1.0
	v_mul_f64 v[114:115], v[128:129], -v[112:113]
.LBB54_303:
	s_or_b64 exec, exec, s[16:17]
.LBB54_304:
	s_or_b64 exec, exec, s[0:1]
	v_cmp_ne_u32_e32 vcc, v125, v122
	s_and_saveexec_b64 s[0:1], vcc
	s_xor_b64 s[0:1], exec, s[0:1]
	s_cbranch_execz .LBB54_310
; %bb.305:
	v_cmp_eq_u32_e32 vcc, 14, v125
	s_and_saveexec_b64 s[16:17], vcc
	s_cbranch_execz .LBB54_309
; %bb.306:
	v_cmp_ne_u32_e32 vcc, 14, v122
	s_xor_b64 s[18:19], s[14:15], -1
	s_and_b64 s[22:23], s[18:19], vcc
	s_and_saveexec_b64 s[18:19], s[22:23]
	s_cbranch_execz .LBB54_308
; %bb.307:
	v_ashrrev_i32_e32 v123, 31, v122
	v_lshl_add_u64 v[128:129], v[122:123], 2, v[120:121]
	global_load_dword v123, v[128:129], off
	global_load_dword v125, v[120:121], off offset:56
	s_waitcnt vmcnt(1)
	global_store_dword v[120:121], v123, off offset:56
	s_waitcnt vmcnt(1)
	global_store_dword v[128:129], v125, off
.LBB54_308:
	s_or_b64 exec, exec, s[18:19]
	v_mov_b32_e32 v125, v122
	v_mov_b32_e32 v127, v122
.LBB54_309:
	s_or_b64 exec, exec, s[16:17]
.LBB54_310:
	s_andn2_saveexec_b64 s[0:1], s[0:1]
	s_cbranch_execz .LBB54_312
; %bb.311:
	v_mov_b32_e32 v125, 14
	s_waitcnt vmcnt(12)
	ds_write2_b64 v124, v[40:41], v[42:43] offset0:30 offset1:31
	s_waitcnt vmcnt(11)
	ds_write2_b64 v124, v[44:45], v[46:47] offset0:32 offset1:33
	;; [unrolled: 2-line block ×13, first 2 shown]
.LBB54_312:
	s_or_b64 exec, exec, s[0:1]
	v_cmp_lt_i32_e32 vcc, 14, v125
	s_waitcnt lgkmcnt(0)
	s_barrier
	s_and_saveexec_b64 s[0:1], vcc
	s_cbranch_execz .LBB54_314
; %bb.313:
	ds_read2_b64 v[128:131], v124 offset0:30 offset1:31
	v_mul_f64 v[122:123], v[112:113], v[50:51]
	v_fmac_f64_e32 v[122:123], v[114:115], v[48:49]
	v_mul_f64 v[50:51], v[114:115], v[50:51]
	v_fma_f64 v[48:49], v[112:113], v[48:49], -v[50:51]
	ds_read2_b64 v[112:115], v124 offset0:32 offset1:33
	s_waitcnt lgkmcnt(1)
	v_mul_f64 v[50:51], v[130:131], v[122:123]
	v_fma_f64 v[50:51], v[128:129], v[48:49], -v[50:51]
	v_mul_f64 v[128:129], v[128:129], v[122:123]
	v_fmac_f64_e32 v[128:129], v[130:131], v[48:49]
	s_waitcnt vmcnt(12)
	v_add_f64 v[42:43], v[42:43], -v[128:129]
	ds_read2_b64 v[128:131], v124 offset0:34 offset1:35
	v_add_f64 v[40:41], v[40:41], -v[50:51]
	s_waitcnt lgkmcnt(1)
	v_mul_f64 v[50:51], v[114:115], v[122:123]
	v_fma_f64 v[50:51], v[112:113], v[48:49], -v[50:51]
	v_mul_f64 v[112:113], v[112:113], v[122:123]
	v_fmac_f64_e32 v[112:113], v[114:115], v[48:49]
	s_waitcnt vmcnt(11)
	v_add_f64 v[44:45], v[44:45], -v[50:51]
	v_add_f64 v[46:47], v[46:47], -v[112:113]
	ds_read2_b64 v[112:115], v124 offset0:36 offset1:37
	s_waitcnt lgkmcnt(1)
	v_mul_f64 v[50:51], v[130:131], v[122:123]
	v_fma_f64 v[50:51], v[128:129], v[48:49], -v[50:51]
	v_mul_f64 v[128:129], v[128:129], v[122:123]
	v_fmac_f64_e32 v[128:129], v[130:131], v[48:49]
	s_waitcnt vmcnt(10)
	v_add_f64 v[38:39], v[38:39], -v[128:129]
	ds_read2_b64 v[128:131], v124 offset0:38 offset1:39
	v_add_f64 v[36:37], v[36:37], -v[50:51]
	s_waitcnt lgkmcnt(1)
	v_mul_f64 v[50:51], v[114:115], v[122:123]
	v_fma_f64 v[50:51], v[112:113], v[48:49], -v[50:51]
	v_mul_f64 v[112:113], v[112:113], v[122:123]
	v_fmac_f64_e32 v[112:113], v[114:115], v[48:49]
	s_waitcnt vmcnt(9)
	v_add_f64 v[32:33], v[32:33], -v[50:51]
	v_add_f64 v[34:35], v[34:35], -v[112:113]
	ds_read2_b64 v[112:115], v124 offset0:40 offset1:41
	s_waitcnt lgkmcnt(1)
	v_mul_f64 v[50:51], v[130:131], v[122:123]
	v_fma_f64 v[50:51], v[128:129], v[48:49], -v[50:51]
	v_mul_f64 v[128:129], v[128:129], v[122:123]
	v_fmac_f64_e32 v[128:129], v[130:131], v[48:49]
	s_waitcnt vmcnt(8)
	v_add_f64 v[30:31], v[30:31], -v[128:129]
	ds_read2_b64 v[128:131], v124 offset0:42 offset1:43
	v_add_f64 v[28:29], v[28:29], -v[50:51]
	s_waitcnt lgkmcnt(1)
	v_mul_f64 v[50:51], v[114:115], v[122:123]
	v_fma_f64 v[50:51], v[112:113], v[48:49], -v[50:51]
	v_mul_f64 v[112:113], v[112:113], v[122:123]
	v_fmac_f64_e32 v[112:113], v[114:115], v[48:49]
	s_waitcnt vmcnt(7)
	v_add_f64 v[24:25], v[24:25], -v[50:51]
	v_add_f64 v[26:27], v[26:27], -v[112:113]
	ds_read2_b64 v[112:115], v124 offset0:44 offset1:45
	s_waitcnt lgkmcnt(1)
	v_mul_f64 v[50:51], v[130:131], v[122:123]
	v_fma_f64 v[50:51], v[128:129], v[48:49], -v[50:51]
	v_mul_f64 v[128:129], v[128:129], v[122:123]
	v_fmac_f64_e32 v[128:129], v[130:131], v[48:49]
	s_waitcnt vmcnt(6)
	v_add_f64 v[22:23], v[22:23], -v[128:129]
	ds_read2_b64 v[128:131], v124 offset0:46 offset1:47
	v_add_f64 v[20:21], v[20:21], -v[50:51]
	s_waitcnt lgkmcnt(1)
	v_mul_f64 v[50:51], v[114:115], v[122:123]
	v_fma_f64 v[50:51], v[112:113], v[48:49], -v[50:51]
	v_mul_f64 v[112:113], v[112:113], v[122:123]
	v_fmac_f64_e32 v[112:113], v[114:115], v[48:49]
	s_waitcnt vmcnt(5)
	v_add_f64 v[16:17], v[16:17], -v[50:51]
	v_add_f64 v[18:19], v[18:19], -v[112:113]
	ds_read2_b64 v[112:115], v124 offset0:48 offset1:49
	s_waitcnt lgkmcnt(1)
	v_mul_f64 v[50:51], v[130:131], v[122:123]
	v_fma_f64 v[50:51], v[128:129], v[48:49], -v[50:51]
	v_mul_f64 v[128:129], v[128:129], v[122:123]
	v_fmac_f64_e32 v[128:129], v[130:131], v[48:49]
	s_waitcnt vmcnt(4)
	v_add_f64 v[14:15], v[14:15], -v[128:129]
	ds_read2_b64 v[128:131], v124 offset0:50 offset1:51
	v_add_f64 v[12:13], v[12:13], -v[50:51]
	s_waitcnt lgkmcnt(1)
	v_mul_f64 v[50:51], v[114:115], v[122:123]
	v_fma_f64 v[50:51], v[112:113], v[48:49], -v[50:51]
	v_mul_f64 v[112:113], v[112:113], v[122:123]
	v_fmac_f64_e32 v[112:113], v[114:115], v[48:49]
	s_waitcnt vmcnt(3)
	v_add_f64 v[8:9], v[8:9], -v[50:51]
	v_add_f64 v[10:11], v[10:11], -v[112:113]
	ds_read2_b64 v[112:115], v124 offset0:52 offset1:53
	s_waitcnt lgkmcnt(1)
	v_mul_f64 v[50:51], v[130:131], v[122:123]
	v_fma_f64 v[50:51], v[128:129], v[48:49], -v[50:51]
	v_mul_f64 v[128:129], v[128:129], v[122:123]
	v_fmac_f64_e32 v[128:129], v[130:131], v[48:49]
	s_waitcnt vmcnt(2)
	v_add_f64 v[6:7], v[6:7], -v[128:129]
	ds_read2_b64 v[128:131], v124 offset0:54 offset1:55
	v_add_f64 v[4:5], v[4:5], -v[50:51]
	s_waitcnt lgkmcnt(1)
	v_mul_f64 v[50:51], v[114:115], v[122:123]
	v_fma_f64 v[50:51], v[112:113], v[48:49], -v[50:51]
	v_mul_f64 v[112:113], v[112:113], v[122:123]
	v_fmac_f64_e32 v[112:113], v[114:115], v[48:49]
	s_waitcnt vmcnt(1)
	v_add_f64 v[0:1], v[0:1], -v[50:51]
	v_add_f64 v[2:3], v[2:3], -v[112:113]
	s_waitcnt lgkmcnt(0)
	v_mul_f64 v[50:51], v[130:131], v[122:123]
	v_mul_f64 v[112:113], v[128:129], v[122:123]
	v_fma_f64 v[50:51], v[128:129], v[48:49], -v[50:51]
	v_fmac_f64_e32 v[112:113], v[130:131], v[48:49]
	s_waitcnt vmcnt(0)
	v_add_f64 v[108:109], v[108:109], -v[50:51]
	v_add_f64 v[110:111], v[110:111], -v[112:113]
	v_mov_b64_e32 v[50:51], v[122:123]
.LBB54_314:
	s_or_b64 exec, exec, s[0:1]
	v_lshl_add_u32 v112, v125, 4, v124
	s_barrier
	s_waitcnt vmcnt(12)
	ds_write2_b64 v112, v[40:41], v[42:43] offset1:1
	s_waitcnt lgkmcnt(0)
	s_barrier
	ds_read2_b64 v[112:115], v124 offset0:30 offset1:31
	s_cmp_lt_i32 s20, 17
	v_mov_b32_e32 v122, 15
	s_cbranch_scc1 .LBB54_317
; %bb.315:
	v_add_u32_e32 v123, 0x100, v124
	s_mov_b32 s16, 16
	v_mov_b32_e32 v122, 15
.LBB54_316:                             ; =>This Inner Loop Header: Depth=1
	ds_read2_b64 v[128:131], v123 offset1:1
	s_waitcnt lgkmcnt(1)
	v_xor_b32_e32 v133, 0x80000000, v113
	v_xor_b32_e32 v135, 0x80000000, v115
	v_cmp_gt_f64_e32 vcc, 0, v[114:115]
	v_cmp_gt_f64_e64 s[0:1], 0, v[112:113]
	v_mov_b32_e32 v132, v112
	v_mov_b32_e32 v134, v114
	v_cndmask_b32_e64 v133, v113, v133, s[0:1]
	v_cndmask_b32_e32 v135, v115, v135, vcc
	v_add_f64 v[132:133], v[132:133], v[134:135]
	s_waitcnt lgkmcnt(0)
	v_xor_b32_e32 v135, 0x80000000, v129
	v_xor_b32_e32 v137, 0x80000000, v131
	v_cmp_gt_f64_e32 vcc, 0, v[130:131]
	v_cmp_gt_f64_e64 s[0:1], 0, v[128:129]
	v_mov_b32_e32 v134, v128
	v_mov_b32_e32 v136, v130
	v_cndmask_b32_e64 v135, v129, v135, s[0:1]
	v_cndmask_b32_e32 v137, v131, v137, vcc
	v_add_f64 v[134:135], v[134:135], v[136:137]
	v_mov_b32_e32 v138, s16
	s_add_i32 s16, s16, 1
	v_cmp_lt_f64_e32 vcc, v[132:133], v[134:135]
	v_add_u32_e32 v123, 16, v123
	s_cmp_lg_u32 s20, s16
	v_cndmask_b32_e32 v113, v113, v129, vcc
	v_cndmask_b32_e32 v112, v112, v128, vcc
	v_cndmask_b32_e32 v115, v115, v131, vcc
	v_cndmask_b32_e32 v114, v114, v130, vcc
	v_cndmask_b32_e32 v122, v122, v138, vcc
	s_cbranch_scc1 .LBB54_316
.LBB54_317:
	s_waitcnt lgkmcnt(0)
	v_cmp_eq_f64_e32 vcc, 0, v[112:113]
	v_cmp_eq_f64_e64 s[0:1], 0, v[114:115]
	s_and_b64 s[0:1], vcc, s[0:1]
	s_and_saveexec_b64 s[16:17], s[0:1]
	s_xor_b64 s[0:1], exec, s[16:17]
; %bb.318:
	v_cmp_ne_u32_e32 vcc, 0, v126
	s_nop 1
	v_cndmask_b32_e32 v126, 16, v126, vcc
; %bb.319:
	s_andn2_saveexec_b64 s[0:1], s[0:1]
	s_cbranch_execz .LBB54_325
; %bb.320:
	v_cmp_ngt_f64_e64 s[16:17], |v[112:113]|, |v[114:115]|
	s_and_saveexec_b64 s[18:19], s[16:17]
	s_xor_b64 s[16:17], exec, s[18:19]
	s_cbranch_execz .LBB54_322
; %bb.321:
	v_div_scale_f64 v[128:129], s[18:19], v[114:115], v[114:115], v[112:113]
	v_rcp_f64_e32 v[130:131], v[128:129]
	v_div_scale_f64 v[132:133], vcc, v[112:113], v[114:115], v[112:113]
	v_fma_f64 v[134:135], -v[128:129], v[130:131], 1.0
	v_fmac_f64_e32 v[130:131], v[130:131], v[134:135]
	v_fma_f64 v[134:135], -v[128:129], v[130:131], 1.0
	v_fmac_f64_e32 v[130:131], v[130:131], v[134:135]
	v_mul_f64 v[134:135], v[132:133], v[130:131]
	v_fma_f64 v[128:129], -v[128:129], v[134:135], v[132:133]
	v_div_fmas_f64 v[128:129], v[128:129], v[130:131], v[134:135]
	v_div_fixup_f64 v[128:129], v[128:129], v[114:115], v[112:113]
	v_fmac_f64_e32 v[114:115], v[112:113], v[128:129]
	v_div_scale_f64 v[112:113], s[18:19], v[114:115], v[114:115], 1.0
	v_rcp_f64_e32 v[130:131], v[112:113]
	s_nop 0
	v_fma_f64 v[132:133], -v[112:113], v[130:131], 1.0
	v_fmac_f64_e32 v[130:131], v[130:131], v[132:133]
	v_fma_f64 v[132:133], -v[112:113], v[130:131], 1.0
	v_fmac_f64_e32 v[130:131], v[130:131], v[132:133]
	v_div_scale_f64 v[132:133], vcc, 1.0, v[114:115], 1.0
	v_mul_f64 v[134:135], v[132:133], v[130:131]
	v_fma_f64 v[112:113], -v[112:113], v[134:135], v[132:133]
	s_nop 1
	v_div_fmas_f64 v[112:113], v[112:113], v[130:131], v[134:135]
	v_div_fixup_f64 v[114:115], v[112:113], v[114:115], 1.0
	v_mul_f64 v[112:113], v[128:129], v[114:115]
	v_xor_b32_e32 v115, 0x80000000, v115
.LBB54_322:
	s_andn2_saveexec_b64 s[16:17], s[16:17]
	s_cbranch_execz .LBB54_324
; %bb.323:
	v_div_scale_f64 v[128:129], s[18:19], v[112:113], v[112:113], v[114:115]
	v_rcp_f64_e32 v[130:131], v[128:129]
	v_div_scale_f64 v[132:133], vcc, v[114:115], v[112:113], v[114:115]
	v_fma_f64 v[134:135], -v[128:129], v[130:131], 1.0
	v_fmac_f64_e32 v[130:131], v[130:131], v[134:135]
	v_fma_f64 v[134:135], -v[128:129], v[130:131], 1.0
	v_fmac_f64_e32 v[130:131], v[130:131], v[134:135]
	v_mul_f64 v[134:135], v[132:133], v[130:131]
	v_fma_f64 v[128:129], -v[128:129], v[134:135], v[132:133]
	v_div_fmas_f64 v[128:129], v[128:129], v[130:131], v[134:135]
	v_div_fixup_f64 v[128:129], v[128:129], v[112:113], v[114:115]
	v_fmac_f64_e32 v[112:113], v[114:115], v[128:129]
	v_div_scale_f64 v[114:115], s[18:19], v[112:113], v[112:113], 1.0
	v_rcp_f64_e32 v[130:131], v[114:115]
	s_nop 0
	v_fma_f64 v[132:133], -v[114:115], v[130:131], 1.0
	v_fmac_f64_e32 v[130:131], v[130:131], v[132:133]
	v_fma_f64 v[132:133], -v[114:115], v[130:131], 1.0
	v_fmac_f64_e32 v[130:131], v[130:131], v[132:133]
	v_div_scale_f64 v[132:133], vcc, 1.0, v[112:113], 1.0
	v_mul_f64 v[134:135], v[132:133], v[130:131]
	v_fma_f64 v[114:115], -v[114:115], v[134:135], v[132:133]
	s_nop 1
	v_div_fmas_f64 v[114:115], v[114:115], v[130:131], v[134:135]
	v_div_fixup_f64 v[112:113], v[114:115], v[112:113], 1.0
	v_mul_f64 v[114:115], v[128:129], -v[112:113]
.LBB54_324:
	s_or_b64 exec, exec, s[16:17]
.LBB54_325:
	s_or_b64 exec, exec, s[0:1]
	v_cmp_ne_u32_e32 vcc, v125, v122
	s_and_saveexec_b64 s[0:1], vcc
	s_xor_b64 s[0:1], exec, s[0:1]
	s_cbranch_execz .LBB54_331
; %bb.326:
	v_cmp_eq_u32_e32 vcc, 15, v125
	s_and_saveexec_b64 s[16:17], vcc
	s_cbranch_execz .LBB54_330
; %bb.327:
	v_cmp_ne_u32_e32 vcc, 15, v122
	s_xor_b64 s[18:19], s[14:15], -1
	s_and_b64 s[22:23], s[18:19], vcc
	s_and_saveexec_b64 s[18:19], s[22:23]
	s_cbranch_execz .LBB54_329
; %bb.328:
	v_ashrrev_i32_e32 v123, 31, v122
	v_lshl_add_u64 v[128:129], v[122:123], 2, v[120:121]
	global_load_dword v123, v[128:129], off
	global_load_dword v125, v[120:121], off offset:60
	s_waitcnt vmcnt(1)
	global_store_dword v[120:121], v123, off offset:60
	s_waitcnt vmcnt(1)
	global_store_dword v[128:129], v125, off
.LBB54_329:
	s_or_b64 exec, exec, s[18:19]
	v_mov_b32_e32 v125, v122
	v_mov_b32_e32 v127, v122
.LBB54_330:
	s_or_b64 exec, exec, s[16:17]
.LBB54_331:
	s_andn2_saveexec_b64 s[0:1], s[0:1]
	s_cbranch_execz .LBB54_333
; %bb.332:
	v_mov_b32_e32 v125, 15
	s_waitcnt vmcnt(11)
	ds_write2_b64 v124, v[44:45], v[46:47] offset0:32 offset1:33
	s_waitcnt vmcnt(10)
	ds_write2_b64 v124, v[36:37], v[38:39] offset0:34 offset1:35
	;; [unrolled: 2-line block ×12, first 2 shown]
.LBB54_333:
	s_or_b64 exec, exec, s[0:1]
	v_cmp_lt_i32_e32 vcc, 15, v125
	s_waitcnt lgkmcnt(0)
	s_barrier
	s_and_saveexec_b64 s[0:1], vcc
	s_cbranch_execz .LBB54_335
; %bb.334:
	ds_read2_b64 v[128:131], v124 offset0:32 offset1:33
	v_mul_f64 v[122:123], v[112:113], v[42:43]
	v_mul_f64 v[42:43], v[114:115], v[42:43]
	v_fmac_f64_e32 v[122:123], v[114:115], v[40:41]
	v_fma_f64 v[40:41], v[112:113], v[40:41], -v[42:43]
	ds_read2_b64 v[112:115], v124 offset0:34 offset1:35
	s_waitcnt lgkmcnt(1)
	v_mul_f64 v[42:43], v[130:131], v[122:123]
	v_fma_f64 v[42:43], v[128:129], v[40:41], -v[42:43]
	v_mul_f64 v[128:129], v[128:129], v[122:123]
	v_fmac_f64_e32 v[128:129], v[130:131], v[40:41]
	s_waitcnt vmcnt(11)
	v_add_f64 v[44:45], v[44:45], -v[42:43]
	s_waitcnt lgkmcnt(0)
	v_mul_f64 v[42:43], v[114:115], v[122:123]
	v_add_f64 v[46:47], v[46:47], -v[128:129]
	v_fma_f64 v[42:43], v[112:113], v[40:41], -v[42:43]
	v_mul_f64 v[112:113], v[112:113], v[122:123]
	ds_read2_b64 v[128:131], v124 offset0:36 offset1:37
	v_fmac_f64_e32 v[112:113], v[114:115], v[40:41]
	s_waitcnt vmcnt(10)
	v_add_f64 v[38:39], v[38:39], -v[112:113]
	ds_read2_b64 v[112:115], v124 offset0:38 offset1:39
	v_add_f64 v[36:37], v[36:37], -v[42:43]
	s_waitcnt lgkmcnt(1)
	v_mul_f64 v[42:43], v[130:131], v[122:123]
	v_fma_f64 v[42:43], v[128:129], v[40:41], -v[42:43]
	v_mul_f64 v[128:129], v[128:129], v[122:123]
	v_fmac_f64_e32 v[128:129], v[130:131], v[40:41]
	s_waitcnt vmcnt(9)
	v_add_f64 v[32:33], v[32:33], -v[42:43]
	s_waitcnt lgkmcnt(0)
	v_mul_f64 v[42:43], v[114:115], v[122:123]
	v_add_f64 v[34:35], v[34:35], -v[128:129]
	v_fma_f64 v[42:43], v[112:113], v[40:41], -v[42:43]
	v_mul_f64 v[112:113], v[112:113], v[122:123]
	ds_read2_b64 v[128:131], v124 offset0:40 offset1:41
	v_fmac_f64_e32 v[112:113], v[114:115], v[40:41]
	s_waitcnt vmcnt(8)
	v_add_f64 v[30:31], v[30:31], -v[112:113]
	ds_read2_b64 v[112:115], v124 offset0:42 offset1:43
	v_add_f64 v[28:29], v[28:29], -v[42:43]
	;; [unrolled: 18-line block ×5, first 2 shown]
	s_waitcnt lgkmcnt(1)
	v_mul_f64 v[42:43], v[130:131], v[122:123]
	v_fma_f64 v[42:43], v[128:129], v[40:41], -v[42:43]
	s_waitcnt vmcnt(1)
	v_add_f64 v[0:1], v[0:1], -v[42:43]
	s_waitcnt lgkmcnt(0)
	v_mul_f64 v[42:43], v[114:115], v[122:123]
	v_mul_f64 v[128:129], v[128:129], v[122:123]
	v_fma_f64 v[42:43], v[112:113], v[40:41], -v[42:43]
	v_mul_f64 v[112:113], v[112:113], v[122:123]
	v_fmac_f64_e32 v[128:129], v[130:131], v[40:41]
	v_fmac_f64_e32 v[112:113], v[114:115], v[40:41]
	v_add_f64 v[2:3], v[2:3], -v[128:129]
	s_waitcnt vmcnt(0)
	v_add_f64 v[108:109], v[108:109], -v[42:43]
	v_add_f64 v[110:111], v[110:111], -v[112:113]
	v_mov_b64_e32 v[42:43], v[122:123]
.LBB54_335:
	s_or_b64 exec, exec, s[0:1]
	v_lshl_add_u32 v112, v125, 4, v124
	s_barrier
	s_waitcnt vmcnt(11)
	ds_write2_b64 v112, v[44:45], v[46:47] offset1:1
	s_waitcnt lgkmcnt(0)
	s_barrier
	ds_read2_b64 v[112:115], v124 offset0:32 offset1:33
	s_cmp_lt_i32 s20, 18
	v_mov_b32_e32 v122, 16
	s_cbranch_scc1 .LBB54_338
; %bb.336:
	v_add_u32_e32 v123, 0x110, v124
	s_mov_b32 s16, 17
	v_mov_b32_e32 v122, 16
.LBB54_337:                             ; =>This Inner Loop Header: Depth=1
	ds_read2_b64 v[128:131], v123 offset1:1
	s_waitcnt lgkmcnt(1)
	v_xor_b32_e32 v133, 0x80000000, v113
	v_xor_b32_e32 v135, 0x80000000, v115
	v_cmp_gt_f64_e32 vcc, 0, v[114:115]
	v_cmp_gt_f64_e64 s[0:1], 0, v[112:113]
	v_mov_b32_e32 v132, v112
	v_mov_b32_e32 v134, v114
	v_cndmask_b32_e64 v133, v113, v133, s[0:1]
	v_cndmask_b32_e32 v135, v115, v135, vcc
	v_add_f64 v[132:133], v[132:133], v[134:135]
	s_waitcnt lgkmcnt(0)
	v_xor_b32_e32 v135, 0x80000000, v129
	v_xor_b32_e32 v137, 0x80000000, v131
	v_cmp_gt_f64_e32 vcc, 0, v[130:131]
	v_cmp_gt_f64_e64 s[0:1], 0, v[128:129]
	v_mov_b32_e32 v134, v128
	v_mov_b32_e32 v136, v130
	v_cndmask_b32_e64 v135, v129, v135, s[0:1]
	v_cndmask_b32_e32 v137, v131, v137, vcc
	v_add_f64 v[134:135], v[134:135], v[136:137]
	v_mov_b32_e32 v138, s16
	s_add_i32 s16, s16, 1
	v_cmp_lt_f64_e32 vcc, v[132:133], v[134:135]
	v_add_u32_e32 v123, 16, v123
	s_cmp_lg_u32 s20, s16
	v_cndmask_b32_e32 v113, v113, v129, vcc
	v_cndmask_b32_e32 v112, v112, v128, vcc
	;; [unrolled: 1-line block ×5, first 2 shown]
	s_cbranch_scc1 .LBB54_337
.LBB54_338:
	s_waitcnt lgkmcnt(0)
	v_cmp_eq_f64_e32 vcc, 0, v[112:113]
	v_cmp_eq_f64_e64 s[0:1], 0, v[114:115]
	s_and_b64 s[0:1], vcc, s[0:1]
	s_and_saveexec_b64 s[16:17], s[0:1]
	s_xor_b64 s[0:1], exec, s[16:17]
; %bb.339:
	v_cmp_ne_u32_e32 vcc, 0, v126
	s_nop 1
	v_cndmask_b32_e32 v126, 17, v126, vcc
; %bb.340:
	s_andn2_saveexec_b64 s[0:1], s[0:1]
	s_cbranch_execz .LBB54_346
; %bb.341:
	v_cmp_ngt_f64_e64 s[16:17], |v[112:113]|, |v[114:115]|
	s_and_saveexec_b64 s[18:19], s[16:17]
	s_xor_b64 s[16:17], exec, s[18:19]
	s_cbranch_execz .LBB54_343
; %bb.342:
	v_div_scale_f64 v[128:129], s[18:19], v[114:115], v[114:115], v[112:113]
	v_rcp_f64_e32 v[130:131], v[128:129]
	v_div_scale_f64 v[132:133], vcc, v[112:113], v[114:115], v[112:113]
	v_fma_f64 v[134:135], -v[128:129], v[130:131], 1.0
	v_fmac_f64_e32 v[130:131], v[130:131], v[134:135]
	v_fma_f64 v[134:135], -v[128:129], v[130:131], 1.0
	v_fmac_f64_e32 v[130:131], v[130:131], v[134:135]
	v_mul_f64 v[134:135], v[132:133], v[130:131]
	v_fma_f64 v[128:129], -v[128:129], v[134:135], v[132:133]
	v_div_fmas_f64 v[128:129], v[128:129], v[130:131], v[134:135]
	v_div_fixup_f64 v[128:129], v[128:129], v[114:115], v[112:113]
	v_fmac_f64_e32 v[114:115], v[112:113], v[128:129]
	v_div_scale_f64 v[112:113], s[18:19], v[114:115], v[114:115], 1.0
	v_rcp_f64_e32 v[130:131], v[112:113]
	s_nop 0
	v_fma_f64 v[132:133], -v[112:113], v[130:131], 1.0
	v_fmac_f64_e32 v[130:131], v[130:131], v[132:133]
	v_fma_f64 v[132:133], -v[112:113], v[130:131], 1.0
	v_fmac_f64_e32 v[130:131], v[130:131], v[132:133]
	v_div_scale_f64 v[132:133], vcc, 1.0, v[114:115], 1.0
	v_mul_f64 v[134:135], v[132:133], v[130:131]
	v_fma_f64 v[112:113], -v[112:113], v[134:135], v[132:133]
	s_nop 1
	v_div_fmas_f64 v[112:113], v[112:113], v[130:131], v[134:135]
	v_div_fixup_f64 v[114:115], v[112:113], v[114:115], 1.0
	v_mul_f64 v[112:113], v[128:129], v[114:115]
	v_xor_b32_e32 v115, 0x80000000, v115
.LBB54_343:
	s_andn2_saveexec_b64 s[16:17], s[16:17]
	s_cbranch_execz .LBB54_345
; %bb.344:
	v_div_scale_f64 v[128:129], s[18:19], v[112:113], v[112:113], v[114:115]
	v_rcp_f64_e32 v[130:131], v[128:129]
	v_div_scale_f64 v[132:133], vcc, v[114:115], v[112:113], v[114:115]
	v_fma_f64 v[134:135], -v[128:129], v[130:131], 1.0
	v_fmac_f64_e32 v[130:131], v[130:131], v[134:135]
	v_fma_f64 v[134:135], -v[128:129], v[130:131], 1.0
	v_fmac_f64_e32 v[130:131], v[130:131], v[134:135]
	v_mul_f64 v[134:135], v[132:133], v[130:131]
	v_fma_f64 v[128:129], -v[128:129], v[134:135], v[132:133]
	v_div_fmas_f64 v[128:129], v[128:129], v[130:131], v[134:135]
	v_div_fixup_f64 v[128:129], v[128:129], v[112:113], v[114:115]
	v_fmac_f64_e32 v[112:113], v[114:115], v[128:129]
	v_div_scale_f64 v[114:115], s[18:19], v[112:113], v[112:113], 1.0
	v_rcp_f64_e32 v[130:131], v[114:115]
	s_nop 0
	v_fma_f64 v[132:133], -v[114:115], v[130:131], 1.0
	v_fmac_f64_e32 v[130:131], v[130:131], v[132:133]
	v_fma_f64 v[132:133], -v[114:115], v[130:131], 1.0
	v_fmac_f64_e32 v[130:131], v[130:131], v[132:133]
	v_div_scale_f64 v[132:133], vcc, 1.0, v[112:113], 1.0
	v_mul_f64 v[134:135], v[132:133], v[130:131]
	v_fma_f64 v[114:115], -v[114:115], v[134:135], v[132:133]
	s_nop 1
	v_div_fmas_f64 v[114:115], v[114:115], v[130:131], v[134:135]
	v_div_fixup_f64 v[112:113], v[114:115], v[112:113], 1.0
	v_mul_f64 v[114:115], v[128:129], -v[112:113]
.LBB54_345:
	s_or_b64 exec, exec, s[16:17]
.LBB54_346:
	s_or_b64 exec, exec, s[0:1]
	v_cmp_ne_u32_e32 vcc, v125, v122
	s_and_saveexec_b64 s[0:1], vcc
	s_xor_b64 s[0:1], exec, s[0:1]
	s_cbranch_execz .LBB54_352
; %bb.347:
	v_cmp_eq_u32_e32 vcc, 16, v125
	s_and_saveexec_b64 s[16:17], vcc
	s_cbranch_execz .LBB54_351
; %bb.348:
	v_cmp_ne_u32_e32 vcc, 16, v122
	s_xor_b64 s[18:19], s[14:15], -1
	s_and_b64 s[22:23], s[18:19], vcc
	s_and_saveexec_b64 s[18:19], s[22:23]
	s_cbranch_execz .LBB54_350
; %bb.349:
	v_ashrrev_i32_e32 v123, 31, v122
	v_lshl_add_u64 v[128:129], v[122:123], 2, v[120:121]
	global_load_dword v123, v[128:129], off
	global_load_dword v125, v[120:121], off offset:64
	s_waitcnt vmcnt(1)
	global_store_dword v[120:121], v123, off offset:64
	s_waitcnt vmcnt(1)
	global_store_dword v[128:129], v125, off
.LBB54_350:
	s_or_b64 exec, exec, s[18:19]
	v_mov_b32_e32 v125, v122
	v_mov_b32_e32 v127, v122
.LBB54_351:
	s_or_b64 exec, exec, s[16:17]
.LBB54_352:
	s_andn2_saveexec_b64 s[0:1], s[0:1]
	s_cbranch_execz .LBB54_354
; %bb.353:
	v_mov_b32_e32 v125, 16
	s_waitcnt vmcnt(10)
	ds_write2_b64 v124, v[36:37], v[38:39] offset0:34 offset1:35
	s_waitcnt vmcnt(9)
	ds_write2_b64 v124, v[32:33], v[34:35] offset0:36 offset1:37
	;; [unrolled: 2-line block ×11, first 2 shown]
.LBB54_354:
	s_or_b64 exec, exec, s[0:1]
	v_cmp_lt_i32_e32 vcc, 16, v125
	s_waitcnt lgkmcnt(0)
	s_barrier
	s_and_saveexec_b64 s[0:1], vcc
	s_cbranch_execz .LBB54_356
; %bb.355:
	ds_read2_b64 v[128:131], v124 offset0:34 offset1:35
	v_mul_f64 v[122:123], v[112:113], v[46:47]
	v_fmac_f64_e32 v[122:123], v[114:115], v[44:45]
	v_mul_f64 v[46:47], v[114:115], v[46:47]
	v_fma_f64 v[44:45], v[112:113], v[44:45], -v[46:47]
	ds_read2_b64 v[112:115], v124 offset0:36 offset1:37
	s_waitcnt lgkmcnt(1)
	v_mul_f64 v[46:47], v[130:131], v[122:123]
	v_fma_f64 v[46:47], v[128:129], v[44:45], -v[46:47]
	v_mul_f64 v[128:129], v[128:129], v[122:123]
	v_fmac_f64_e32 v[128:129], v[130:131], v[44:45]
	s_waitcnt vmcnt(10)
	v_add_f64 v[38:39], v[38:39], -v[128:129]
	ds_read2_b64 v[128:131], v124 offset0:38 offset1:39
	v_add_f64 v[36:37], v[36:37], -v[46:47]
	s_waitcnt lgkmcnt(1)
	v_mul_f64 v[46:47], v[114:115], v[122:123]
	v_fma_f64 v[46:47], v[112:113], v[44:45], -v[46:47]
	v_mul_f64 v[112:113], v[112:113], v[122:123]
	v_fmac_f64_e32 v[112:113], v[114:115], v[44:45]
	s_waitcnt vmcnt(9)
	v_add_f64 v[32:33], v[32:33], -v[46:47]
	v_add_f64 v[34:35], v[34:35], -v[112:113]
	ds_read2_b64 v[112:115], v124 offset0:40 offset1:41
	s_waitcnt lgkmcnt(1)
	v_mul_f64 v[46:47], v[130:131], v[122:123]
	v_fma_f64 v[46:47], v[128:129], v[44:45], -v[46:47]
	v_mul_f64 v[128:129], v[128:129], v[122:123]
	v_fmac_f64_e32 v[128:129], v[130:131], v[44:45]
	s_waitcnt vmcnt(8)
	v_add_f64 v[30:31], v[30:31], -v[128:129]
	ds_read2_b64 v[128:131], v124 offset0:42 offset1:43
	v_add_f64 v[28:29], v[28:29], -v[46:47]
	s_waitcnt lgkmcnt(1)
	v_mul_f64 v[46:47], v[114:115], v[122:123]
	v_fma_f64 v[46:47], v[112:113], v[44:45], -v[46:47]
	v_mul_f64 v[112:113], v[112:113], v[122:123]
	v_fmac_f64_e32 v[112:113], v[114:115], v[44:45]
	s_waitcnt vmcnt(7)
	v_add_f64 v[24:25], v[24:25], -v[46:47]
	v_add_f64 v[26:27], v[26:27], -v[112:113]
	;; [unrolled: 18-line block ×5, first 2 shown]
	s_waitcnt lgkmcnt(0)
	v_mul_f64 v[46:47], v[130:131], v[122:123]
	v_mul_f64 v[112:113], v[128:129], v[122:123]
	v_fma_f64 v[46:47], v[128:129], v[44:45], -v[46:47]
	v_fmac_f64_e32 v[112:113], v[130:131], v[44:45]
	s_waitcnt vmcnt(0)
	v_add_f64 v[108:109], v[108:109], -v[46:47]
	v_add_f64 v[110:111], v[110:111], -v[112:113]
	v_mov_b64_e32 v[46:47], v[122:123]
.LBB54_356:
	s_or_b64 exec, exec, s[0:1]
	v_lshl_add_u32 v112, v125, 4, v124
	s_barrier
	s_waitcnt vmcnt(10)
	ds_write2_b64 v112, v[36:37], v[38:39] offset1:1
	s_waitcnt lgkmcnt(0)
	s_barrier
	ds_read2_b64 v[112:115], v124 offset0:34 offset1:35
	s_cmp_lt_i32 s20, 19
	v_mov_b32_e32 v122, 17
	s_cbranch_scc1 .LBB54_359
; %bb.357:
	v_add_u32_e32 v123, 0x120, v124
	s_mov_b32 s16, 18
	v_mov_b32_e32 v122, 17
.LBB54_358:                             ; =>This Inner Loop Header: Depth=1
	ds_read2_b64 v[128:131], v123 offset1:1
	s_waitcnt lgkmcnt(1)
	v_xor_b32_e32 v133, 0x80000000, v113
	v_xor_b32_e32 v135, 0x80000000, v115
	v_cmp_gt_f64_e32 vcc, 0, v[114:115]
	v_cmp_gt_f64_e64 s[0:1], 0, v[112:113]
	v_mov_b32_e32 v132, v112
	v_mov_b32_e32 v134, v114
	v_cndmask_b32_e64 v133, v113, v133, s[0:1]
	v_cndmask_b32_e32 v135, v115, v135, vcc
	v_add_f64 v[132:133], v[132:133], v[134:135]
	s_waitcnt lgkmcnt(0)
	v_xor_b32_e32 v135, 0x80000000, v129
	v_xor_b32_e32 v137, 0x80000000, v131
	v_cmp_gt_f64_e32 vcc, 0, v[130:131]
	v_cmp_gt_f64_e64 s[0:1], 0, v[128:129]
	v_mov_b32_e32 v134, v128
	v_mov_b32_e32 v136, v130
	v_cndmask_b32_e64 v135, v129, v135, s[0:1]
	v_cndmask_b32_e32 v137, v131, v137, vcc
	v_add_f64 v[134:135], v[134:135], v[136:137]
	v_mov_b32_e32 v138, s16
	s_add_i32 s16, s16, 1
	v_cmp_lt_f64_e32 vcc, v[132:133], v[134:135]
	v_add_u32_e32 v123, 16, v123
	s_cmp_lg_u32 s20, s16
	v_cndmask_b32_e32 v113, v113, v129, vcc
	v_cndmask_b32_e32 v112, v112, v128, vcc
	;; [unrolled: 1-line block ×5, first 2 shown]
	s_cbranch_scc1 .LBB54_358
.LBB54_359:
	s_waitcnt lgkmcnt(0)
	v_cmp_eq_f64_e32 vcc, 0, v[112:113]
	v_cmp_eq_f64_e64 s[0:1], 0, v[114:115]
	s_and_b64 s[0:1], vcc, s[0:1]
	s_and_saveexec_b64 s[16:17], s[0:1]
	s_xor_b64 s[0:1], exec, s[16:17]
; %bb.360:
	v_cmp_ne_u32_e32 vcc, 0, v126
	s_nop 1
	v_cndmask_b32_e32 v126, 18, v126, vcc
; %bb.361:
	s_andn2_saveexec_b64 s[0:1], s[0:1]
	s_cbranch_execz .LBB54_367
; %bb.362:
	v_cmp_ngt_f64_e64 s[16:17], |v[112:113]|, |v[114:115]|
	s_and_saveexec_b64 s[18:19], s[16:17]
	s_xor_b64 s[16:17], exec, s[18:19]
	s_cbranch_execz .LBB54_364
; %bb.363:
	v_div_scale_f64 v[128:129], s[18:19], v[114:115], v[114:115], v[112:113]
	v_rcp_f64_e32 v[130:131], v[128:129]
	v_div_scale_f64 v[132:133], vcc, v[112:113], v[114:115], v[112:113]
	v_fma_f64 v[134:135], -v[128:129], v[130:131], 1.0
	v_fmac_f64_e32 v[130:131], v[130:131], v[134:135]
	v_fma_f64 v[134:135], -v[128:129], v[130:131], 1.0
	v_fmac_f64_e32 v[130:131], v[130:131], v[134:135]
	v_mul_f64 v[134:135], v[132:133], v[130:131]
	v_fma_f64 v[128:129], -v[128:129], v[134:135], v[132:133]
	v_div_fmas_f64 v[128:129], v[128:129], v[130:131], v[134:135]
	v_div_fixup_f64 v[128:129], v[128:129], v[114:115], v[112:113]
	v_fmac_f64_e32 v[114:115], v[112:113], v[128:129]
	v_div_scale_f64 v[112:113], s[18:19], v[114:115], v[114:115], 1.0
	v_rcp_f64_e32 v[130:131], v[112:113]
	s_nop 0
	v_fma_f64 v[132:133], -v[112:113], v[130:131], 1.0
	v_fmac_f64_e32 v[130:131], v[130:131], v[132:133]
	v_fma_f64 v[132:133], -v[112:113], v[130:131], 1.0
	v_fmac_f64_e32 v[130:131], v[130:131], v[132:133]
	v_div_scale_f64 v[132:133], vcc, 1.0, v[114:115], 1.0
	v_mul_f64 v[134:135], v[132:133], v[130:131]
	v_fma_f64 v[112:113], -v[112:113], v[134:135], v[132:133]
	s_nop 1
	v_div_fmas_f64 v[112:113], v[112:113], v[130:131], v[134:135]
	v_div_fixup_f64 v[114:115], v[112:113], v[114:115], 1.0
	v_mul_f64 v[112:113], v[128:129], v[114:115]
	v_xor_b32_e32 v115, 0x80000000, v115
.LBB54_364:
	s_andn2_saveexec_b64 s[16:17], s[16:17]
	s_cbranch_execz .LBB54_366
; %bb.365:
	v_div_scale_f64 v[128:129], s[18:19], v[112:113], v[112:113], v[114:115]
	v_rcp_f64_e32 v[130:131], v[128:129]
	v_div_scale_f64 v[132:133], vcc, v[114:115], v[112:113], v[114:115]
	v_fma_f64 v[134:135], -v[128:129], v[130:131], 1.0
	v_fmac_f64_e32 v[130:131], v[130:131], v[134:135]
	v_fma_f64 v[134:135], -v[128:129], v[130:131], 1.0
	v_fmac_f64_e32 v[130:131], v[130:131], v[134:135]
	v_mul_f64 v[134:135], v[132:133], v[130:131]
	v_fma_f64 v[128:129], -v[128:129], v[134:135], v[132:133]
	v_div_fmas_f64 v[128:129], v[128:129], v[130:131], v[134:135]
	v_div_fixup_f64 v[128:129], v[128:129], v[112:113], v[114:115]
	v_fmac_f64_e32 v[112:113], v[114:115], v[128:129]
	v_div_scale_f64 v[114:115], s[18:19], v[112:113], v[112:113], 1.0
	v_rcp_f64_e32 v[130:131], v[114:115]
	s_nop 0
	v_fma_f64 v[132:133], -v[114:115], v[130:131], 1.0
	v_fmac_f64_e32 v[130:131], v[130:131], v[132:133]
	v_fma_f64 v[132:133], -v[114:115], v[130:131], 1.0
	v_fmac_f64_e32 v[130:131], v[130:131], v[132:133]
	v_div_scale_f64 v[132:133], vcc, 1.0, v[112:113], 1.0
	v_mul_f64 v[134:135], v[132:133], v[130:131]
	v_fma_f64 v[114:115], -v[114:115], v[134:135], v[132:133]
	s_nop 1
	v_div_fmas_f64 v[114:115], v[114:115], v[130:131], v[134:135]
	v_div_fixup_f64 v[112:113], v[114:115], v[112:113], 1.0
	v_mul_f64 v[114:115], v[128:129], -v[112:113]
.LBB54_366:
	s_or_b64 exec, exec, s[16:17]
.LBB54_367:
	s_or_b64 exec, exec, s[0:1]
	v_cmp_ne_u32_e32 vcc, v125, v122
	s_and_saveexec_b64 s[0:1], vcc
	s_xor_b64 s[0:1], exec, s[0:1]
	s_cbranch_execz .LBB54_373
; %bb.368:
	v_cmp_eq_u32_e32 vcc, 17, v125
	s_and_saveexec_b64 s[16:17], vcc
	s_cbranch_execz .LBB54_372
; %bb.369:
	v_cmp_ne_u32_e32 vcc, 17, v122
	s_xor_b64 s[18:19], s[14:15], -1
	s_and_b64 s[22:23], s[18:19], vcc
	s_and_saveexec_b64 s[18:19], s[22:23]
	s_cbranch_execz .LBB54_371
; %bb.370:
	v_ashrrev_i32_e32 v123, 31, v122
	v_lshl_add_u64 v[128:129], v[122:123], 2, v[120:121]
	global_load_dword v123, v[128:129], off
	global_load_dword v125, v[120:121], off offset:68
	s_waitcnt vmcnt(1)
	global_store_dword v[120:121], v123, off offset:68
	s_waitcnt vmcnt(1)
	global_store_dword v[128:129], v125, off
.LBB54_371:
	s_or_b64 exec, exec, s[18:19]
	v_mov_b32_e32 v125, v122
	v_mov_b32_e32 v127, v122
.LBB54_372:
	s_or_b64 exec, exec, s[16:17]
.LBB54_373:
	s_andn2_saveexec_b64 s[0:1], s[0:1]
	s_cbranch_execz .LBB54_375
; %bb.374:
	v_mov_b32_e32 v125, 17
	s_waitcnt vmcnt(9)
	ds_write2_b64 v124, v[32:33], v[34:35] offset0:36 offset1:37
	s_waitcnt vmcnt(8)
	ds_write2_b64 v124, v[28:29], v[30:31] offset0:38 offset1:39
	;; [unrolled: 2-line block ×10, first 2 shown]
.LBB54_375:
	s_or_b64 exec, exec, s[0:1]
	v_cmp_lt_i32_e32 vcc, 17, v125
	s_waitcnt lgkmcnt(0)
	s_barrier
	s_and_saveexec_b64 s[0:1], vcc
	s_cbranch_execz .LBB54_377
; %bb.376:
	ds_read2_b64 v[128:131], v124 offset0:36 offset1:37
	v_mul_f64 v[122:123], v[112:113], v[38:39]
	v_mul_f64 v[38:39], v[114:115], v[38:39]
	v_fmac_f64_e32 v[122:123], v[114:115], v[36:37]
	v_fma_f64 v[36:37], v[112:113], v[36:37], -v[38:39]
	ds_read2_b64 v[112:115], v124 offset0:38 offset1:39
	s_waitcnt lgkmcnt(1)
	v_mul_f64 v[38:39], v[130:131], v[122:123]
	v_fma_f64 v[38:39], v[128:129], v[36:37], -v[38:39]
	v_mul_f64 v[128:129], v[128:129], v[122:123]
	v_fmac_f64_e32 v[128:129], v[130:131], v[36:37]
	s_waitcnt vmcnt(9)
	v_add_f64 v[32:33], v[32:33], -v[38:39]
	s_waitcnt lgkmcnt(0)
	v_mul_f64 v[38:39], v[114:115], v[122:123]
	v_add_f64 v[34:35], v[34:35], -v[128:129]
	v_fma_f64 v[38:39], v[112:113], v[36:37], -v[38:39]
	v_mul_f64 v[112:113], v[112:113], v[122:123]
	ds_read2_b64 v[128:131], v124 offset0:40 offset1:41
	v_fmac_f64_e32 v[112:113], v[114:115], v[36:37]
	s_waitcnt vmcnt(8)
	v_add_f64 v[30:31], v[30:31], -v[112:113]
	ds_read2_b64 v[112:115], v124 offset0:42 offset1:43
	v_add_f64 v[28:29], v[28:29], -v[38:39]
	s_waitcnt lgkmcnt(1)
	v_mul_f64 v[38:39], v[130:131], v[122:123]
	v_fma_f64 v[38:39], v[128:129], v[36:37], -v[38:39]
	v_mul_f64 v[128:129], v[128:129], v[122:123]
	v_fmac_f64_e32 v[128:129], v[130:131], v[36:37]
	s_waitcnt vmcnt(7)
	v_add_f64 v[24:25], v[24:25], -v[38:39]
	s_waitcnt lgkmcnt(0)
	v_mul_f64 v[38:39], v[114:115], v[122:123]
	v_add_f64 v[26:27], v[26:27], -v[128:129]
	v_fma_f64 v[38:39], v[112:113], v[36:37], -v[38:39]
	v_mul_f64 v[112:113], v[112:113], v[122:123]
	ds_read2_b64 v[128:131], v124 offset0:44 offset1:45
	v_fmac_f64_e32 v[112:113], v[114:115], v[36:37]
	s_waitcnt vmcnt(6)
	v_add_f64 v[22:23], v[22:23], -v[112:113]
	ds_read2_b64 v[112:115], v124 offset0:46 offset1:47
	v_add_f64 v[20:21], v[20:21], -v[38:39]
	;; [unrolled: 18-line block ×4, first 2 shown]
	s_waitcnt lgkmcnt(1)
	v_mul_f64 v[38:39], v[130:131], v[122:123]
	v_fma_f64 v[38:39], v[128:129], v[36:37], -v[38:39]
	s_waitcnt vmcnt(1)
	v_add_f64 v[0:1], v[0:1], -v[38:39]
	s_waitcnt lgkmcnt(0)
	v_mul_f64 v[38:39], v[114:115], v[122:123]
	v_mul_f64 v[128:129], v[128:129], v[122:123]
	v_fma_f64 v[38:39], v[112:113], v[36:37], -v[38:39]
	v_mul_f64 v[112:113], v[112:113], v[122:123]
	v_fmac_f64_e32 v[128:129], v[130:131], v[36:37]
	v_fmac_f64_e32 v[112:113], v[114:115], v[36:37]
	v_add_f64 v[2:3], v[2:3], -v[128:129]
	s_waitcnt vmcnt(0)
	v_add_f64 v[108:109], v[108:109], -v[38:39]
	v_add_f64 v[110:111], v[110:111], -v[112:113]
	v_mov_b64_e32 v[38:39], v[122:123]
.LBB54_377:
	s_or_b64 exec, exec, s[0:1]
	v_lshl_add_u32 v112, v125, 4, v124
	s_barrier
	s_waitcnt vmcnt(9)
	ds_write2_b64 v112, v[32:33], v[34:35] offset1:1
	s_waitcnt lgkmcnt(0)
	s_barrier
	ds_read2_b64 v[112:115], v124 offset0:36 offset1:37
	s_cmp_lt_i32 s20, 20
	v_mov_b32_e32 v122, 18
	s_cbranch_scc1 .LBB54_380
; %bb.378:
	v_add_u32_e32 v123, 0x130, v124
	s_mov_b32 s16, 19
	v_mov_b32_e32 v122, 18
.LBB54_379:                             ; =>This Inner Loop Header: Depth=1
	ds_read2_b64 v[128:131], v123 offset1:1
	s_waitcnt lgkmcnt(1)
	v_xor_b32_e32 v133, 0x80000000, v113
	v_xor_b32_e32 v135, 0x80000000, v115
	v_cmp_gt_f64_e32 vcc, 0, v[114:115]
	v_cmp_gt_f64_e64 s[0:1], 0, v[112:113]
	v_mov_b32_e32 v132, v112
	v_mov_b32_e32 v134, v114
	v_cndmask_b32_e64 v133, v113, v133, s[0:1]
	v_cndmask_b32_e32 v135, v115, v135, vcc
	v_add_f64 v[132:133], v[132:133], v[134:135]
	s_waitcnt lgkmcnt(0)
	v_xor_b32_e32 v135, 0x80000000, v129
	v_xor_b32_e32 v137, 0x80000000, v131
	v_cmp_gt_f64_e32 vcc, 0, v[130:131]
	v_cmp_gt_f64_e64 s[0:1], 0, v[128:129]
	v_mov_b32_e32 v134, v128
	v_mov_b32_e32 v136, v130
	v_cndmask_b32_e64 v135, v129, v135, s[0:1]
	v_cndmask_b32_e32 v137, v131, v137, vcc
	v_add_f64 v[134:135], v[134:135], v[136:137]
	v_mov_b32_e32 v138, s16
	s_add_i32 s16, s16, 1
	v_cmp_lt_f64_e32 vcc, v[132:133], v[134:135]
	v_add_u32_e32 v123, 16, v123
	s_cmp_lg_u32 s20, s16
	v_cndmask_b32_e32 v113, v113, v129, vcc
	v_cndmask_b32_e32 v112, v112, v128, vcc
	;; [unrolled: 1-line block ×5, first 2 shown]
	s_cbranch_scc1 .LBB54_379
.LBB54_380:
	s_waitcnt lgkmcnt(0)
	v_cmp_eq_f64_e32 vcc, 0, v[112:113]
	v_cmp_eq_f64_e64 s[0:1], 0, v[114:115]
	s_and_b64 s[0:1], vcc, s[0:1]
	s_and_saveexec_b64 s[16:17], s[0:1]
	s_xor_b64 s[0:1], exec, s[16:17]
; %bb.381:
	v_cmp_ne_u32_e32 vcc, 0, v126
	s_nop 1
	v_cndmask_b32_e32 v126, 19, v126, vcc
; %bb.382:
	s_andn2_saveexec_b64 s[0:1], s[0:1]
	s_cbranch_execz .LBB54_388
; %bb.383:
	v_cmp_ngt_f64_e64 s[16:17], |v[112:113]|, |v[114:115]|
	s_and_saveexec_b64 s[18:19], s[16:17]
	s_xor_b64 s[16:17], exec, s[18:19]
	s_cbranch_execz .LBB54_385
; %bb.384:
	v_div_scale_f64 v[128:129], s[18:19], v[114:115], v[114:115], v[112:113]
	v_rcp_f64_e32 v[130:131], v[128:129]
	v_div_scale_f64 v[132:133], vcc, v[112:113], v[114:115], v[112:113]
	v_fma_f64 v[134:135], -v[128:129], v[130:131], 1.0
	v_fmac_f64_e32 v[130:131], v[130:131], v[134:135]
	v_fma_f64 v[134:135], -v[128:129], v[130:131], 1.0
	v_fmac_f64_e32 v[130:131], v[130:131], v[134:135]
	v_mul_f64 v[134:135], v[132:133], v[130:131]
	v_fma_f64 v[128:129], -v[128:129], v[134:135], v[132:133]
	v_div_fmas_f64 v[128:129], v[128:129], v[130:131], v[134:135]
	v_div_fixup_f64 v[128:129], v[128:129], v[114:115], v[112:113]
	v_fmac_f64_e32 v[114:115], v[112:113], v[128:129]
	v_div_scale_f64 v[112:113], s[18:19], v[114:115], v[114:115], 1.0
	v_rcp_f64_e32 v[130:131], v[112:113]
	s_nop 0
	v_fma_f64 v[132:133], -v[112:113], v[130:131], 1.0
	v_fmac_f64_e32 v[130:131], v[130:131], v[132:133]
	v_fma_f64 v[132:133], -v[112:113], v[130:131], 1.0
	v_fmac_f64_e32 v[130:131], v[130:131], v[132:133]
	v_div_scale_f64 v[132:133], vcc, 1.0, v[114:115], 1.0
	v_mul_f64 v[134:135], v[132:133], v[130:131]
	v_fma_f64 v[112:113], -v[112:113], v[134:135], v[132:133]
	s_nop 1
	v_div_fmas_f64 v[112:113], v[112:113], v[130:131], v[134:135]
	v_div_fixup_f64 v[114:115], v[112:113], v[114:115], 1.0
	v_mul_f64 v[112:113], v[128:129], v[114:115]
	v_xor_b32_e32 v115, 0x80000000, v115
.LBB54_385:
	s_andn2_saveexec_b64 s[16:17], s[16:17]
	s_cbranch_execz .LBB54_387
; %bb.386:
	v_div_scale_f64 v[128:129], s[18:19], v[112:113], v[112:113], v[114:115]
	v_rcp_f64_e32 v[130:131], v[128:129]
	v_div_scale_f64 v[132:133], vcc, v[114:115], v[112:113], v[114:115]
	v_fma_f64 v[134:135], -v[128:129], v[130:131], 1.0
	v_fmac_f64_e32 v[130:131], v[130:131], v[134:135]
	v_fma_f64 v[134:135], -v[128:129], v[130:131], 1.0
	v_fmac_f64_e32 v[130:131], v[130:131], v[134:135]
	v_mul_f64 v[134:135], v[132:133], v[130:131]
	v_fma_f64 v[128:129], -v[128:129], v[134:135], v[132:133]
	v_div_fmas_f64 v[128:129], v[128:129], v[130:131], v[134:135]
	v_div_fixup_f64 v[128:129], v[128:129], v[112:113], v[114:115]
	v_fmac_f64_e32 v[112:113], v[114:115], v[128:129]
	v_div_scale_f64 v[114:115], s[18:19], v[112:113], v[112:113], 1.0
	v_rcp_f64_e32 v[130:131], v[114:115]
	s_nop 0
	v_fma_f64 v[132:133], -v[114:115], v[130:131], 1.0
	v_fmac_f64_e32 v[130:131], v[130:131], v[132:133]
	v_fma_f64 v[132:133], -v[114:115], v[130:131], 1.0
	v_fmac_f64_e32 v[130:131], v[130:131], v[132:133]
	v_div_scale_f64 v[132:133], vcc, 1.0, v[112:113], 1.0
	v_mul_f64 v[134:135], v[132:133], v[130:131]
	v_fma_f64 v[114:115], -v[114:115], v[134:135], v[132:133]
	s_nop 1
	v_div_fmas_f64 v[114:115], v[114:115], v[130:131], v[134:135]
	v_div_fixup_f64 v[112:113], v[114:115], v[112:113], 1.0
	v_mul_f64 v[114:115], v[128:129], -v[112:113]
.LBB54_387:
	s_or_b64 exec, exec, s[16:17]
.LBB54_388:
	s_or_b64 exec, exec, s[0:1]
	v_cmp_ne_u32_e32 vcc, v125, v122
	s_and_saveexec_b64 s[0:1], vcc
	s_xor_b64 s[0:1], exec, s[0:1]
	s_cbranch_execz .LBB54_394
; %bb.389:
	v_cmp_eq_u32_e32 vcc, 18, v125
	s_and_saveexec_b64 s[16:17], vcc
	s_cbranch_execz .LBB54_393
; %bb.390:
	v_cmp_ne_u32_e32 vcc, 18, v122
	s_xor_b64 s[18:19], s[14:15], -1
	s_and_b64 s[22:23], s[18:19], vcc
	s_and_saveexec_b64 s[18:19], s[22:23]
	s_cbranch_execz .LBB54_392
; %bb.391:
	v_ashrrev_i32_e32 v123, 31, v122
	v_lshl_add_u64 v[128:129], v[122:123], 2, v[120:121]
	global_load_dword v123, v[128:129], off
	global_load_dword v125, v[120:121], off offset:72
	s_waitcnt vmcnt(1)
	global_store_dword v[120:121], v123, off offset:72
	s_waitcnt vmcnt(1)
	global_store_dword v[128:129], v125, off
.LBB54_392:
	s_or_b64 exec, exec, s[18:19]
	v_mov_b32_e32 v125, v122
	v_mov_b32_e32 v127, v122
.LBB54_393:
	s_or_b64 exec, exec, s[16:17]
.LBB54_394:
	s_andn2_saveexec_b64 s[0:1], s[0:1]
	s_cbranch_execz .LBB54_396
; %bb.395:
	v_mov_b32_e32 v125, 18
	s_waitcnt vmcnt(8)
	ds_write2_b64 v124, v[28:29], v[30:31] offset0:38 offset1:39
	s_waitcnt vmcnt(7)
	ds_write2_b64 v124, v[24:25], v[26:27] offset0:40 offset1:41
	;; [unrolled: 2-line block ×9, first 2 shown]
.LBB54_396:
	s_or_b64 exec, exec, s[0:1]
	v_cmp_lt_i32_e32 vcc, 18, v125
	s_waitcnt lgkmcnt(0)
	s_barrier
	s_and_saveexec_b64 s[0:1], vcc
	s_cbranch_execz .LBB54_398
; %bb.397:
	ds_read2_b64 v[128:131], v124 offset0:38 offset1:39
	v_mul_f64 v[122:123], v[112:113], v[34:35]
	v_fmac_f64_e32 v[122:123], v[114:115], v[32:33]
	v_mul_f64 v[34:35], v[114:115], v[34:35]
	v_fma_f64 v[32:33], v[112:113], v[32:33], -v[34:35]
	ds_read2_b64 v[112:115], v124 offset0:40 offset1:41
	s_waitcnt lgkmcnt(1)
	v_mul_f64 v[34:35], v[130:131], v[122:123]
	v_fma_f64 v[34:35], v[128:129], v[32:33], -v[34:35]
	v_mul_f64 v[128:129], v[128:129], v[122:123]
	v_fmac_f64_e32 v[128:129], v[130:131], v[32:33]
	s_waitcnt vmcnt(8)
	v_add_f64 v[30:31], v[30:31], -v[128:129]
	ds_read2_b64 v[128:131], v124 offset0:42 offset1:43
	v_add_f64 v[28:29], v[28:29], -v[34:35]
	s_waitcnt lgkmcnt(1)
	v_mul_f64 v[34:35], v[114:115], v[122:123]
	v_fma_f64 v[34:35], v[112:113], v[32:33], -v[34:35]
	v_mul_f64 v[112:113], v[112:113], v[122:123]
	v_fmac_f64_e32 v[112:113], v[114:115], v[32:33]
	s_waitcnt vmcnt(7)
	v_add_f64 v[24:25], v[24:25], -v[34:35]
	v_add_f64 v[26:27], v[26:27], -v[112:113]
	ds_read2_b64 v[112:115], v124 offset0:44 offset1:45
	s_waitcnt lgkmcnt(1)
	v_mul_f64 v[34:35], v[130:131], v[122:123]
	v_fma_f64 v[34:35], v[128:129], v[32:33], -v[34:35]
	v_mul_f64 v[128:129], v[128:129], v[122:123]
	v_fmac_f64_e32 v[128:129], v[130:131], v[32:33]
	s_waitcnt vmcnt(6)
	v_add_f64 v[22:23], v[22:23], -v[128:129]
	ds_read2_b64 v[128:131], v124 offset0:46 offset1:47
	v_add_f64 v[20:21], v[20:21], -v[34:35]
	s_waitcnt lgkmcnt(1)
	v_mul_f64 v[34:35], v[114:115], v[122:123]
	v_fma_f64 v[34:35], v[112:113], v[32:33], -v[34:35]
	v_mul_f64 v[112:113], v[112:113], v[122:123]
	v_fmac_f64_e32 v[112:113], v[114:115], v[32:33]
	s_waitcnt vmcnt(5)
	v_add_f64 v[16:17], v[16:17], -v[34:35]
	v_add_f64 v[18:19], v[18:19], -v[112:113]
	;; [unrolled: 18-line block ×4, first 2 shown]
	s_waitcnt lgkmcnt(0)
	v_mul_f64 v[34:35], v[130:131], v[122:123]
	v_mul_f64 v[112:113], v[128:129], v[122:123]
	v_fma_f64 v[34:35], v[128:129], v[32:33], -v[34:35]
	v_fmac_f64_e32 v[112:113], v[130:131], v[32:33]
	s_waitcnt vmcnt(0)
	v_add_f64 v[108:109], v[108:109], -v[34:35]
	v_add_f64 v[110:111], v[110:111], -v[112:113]
	v_mov_b64_e32 v[34:35], v[122:123]
.LBB54_398:
	s_or_b64 exec, exec, s[0:1]
	v_lshl_add_u32 v112, v125, 4, v124
	s_barrier
	s_waitcnt vmcnt(8)
	ds_write2_b64 v112, v[28:29], v[30:31] offset1:1
	s_waitcnt lgkmcnt(0)
	s_barrier
	ds_read2_b64 v[112:115], v124 offset0:38 offset1:39
	s_cmp_lt_i32 s20, 21
	v_mov_b32_e32 v122, 19
	s_cbranch_scc1 .LBB54_401
; %bb.399:
	v_add_u32_e32 v123, 0x140, v124
	s_mov_b32 s16, 20
	v_mov_b32_e32 v122, 19
.LBB54_400:                             ; =>This Inner Loop Header: Depth=1
	ds_read2_b64 v[128:131], v123 offset1:1
	s_waitcnt lgkmcnt(1)
	v_xor_b32_e32 v133, 0x80000000, v113
	v_xor_b32_e32 v135, 0x80000000, v115
	v_cmp_gt_f64_e32 vcc, 0, v[114:115]
	v_cmp_gt_f64_e64 s[0:1], 0, v[112:113]
	v_mov_b32_e32 v132, v112
	v_mov_b32_e32 v134, v114
	v_cndmask_b32_e64 v133, v113, v133, s[0:1]
	v_cndmask_b32_e32 v135, v115, v135, vcc
	v_add_f64 v[132:133], v[132:133], v[134:135]
	s_waitcnt lgkmcnt(0)
	v_xor_b32_e32 v135, 0x80000000, v129
	v_xor_b32_e32 v137, 0x80000000, v131
	v_cmp_gt_f64_e32 vcc, 0, v[130:131]
	v_cmp_gt_f64_e64 s[0:1], 0, v[128:129]
	v_mov_b32_e32 v134, v128
	v_mov_b32_e32 v136, v130
	v_cndmask_b32_e64 v135, v129, v135, s[0:1]
	v_cndmask_b32_e32 v137, v131, v137, vcc
	v_add_f64 v[134:135], v[134:135], v[136:137]
	v_mov_b32_e32 v138, s16
	s_add_i32 s16, s16, 1
	v_cmp_lt_f64_e32 vcc, v[132:133], v[134:135]
	v_add_u32_e32 v123, 16, v123
	s_cmp_lg_u32 s20, s16
	v_cndmask_b32_e32 v113, v113, v129, vcc
	v_cndmask_b32_e32 v112, v112, v128, vcc
	;; [unrolled: 1-line block ×5, first 2 shown]
	s_cbranch_scc1 .LBB54_400
.LBB54_401:
	s_waitcnt lgkmcnt(0)
	v_cmp_eq_f64_e32 vcc, 0, v[112:113]
	v_cmp_eq_f64_e64 s[0:1], 0, v[114:115]
	s_and_b64 s[0:1], vcc, s[0:1]
	s_and_saveexec_b64 s[16:17], s[0:1]
	s_xor_b64 s[0:1], exec, s[16:17]
; %bb.402:
	v_cmp_ne_u32_e32 vcc, 0, v126
	s_nop 1
	v_cndmask_b32_e32 v126, 20, v126, vcc
; %bb.403:
	s_andn2_saveexec_b64 s[0:1], s[0:1]
	s_cbranch_execz .LBB54_409
; %bb.404:
	v_cmp_ngt_f64_e64 s[16:17], |v[112:113]|, |v[114:115]|
	s_and_saveexec_b64 s[18:19], s[16:17]
	s_xor_b64 s[16:17], exec, s[18:19]
	s_cbranch_execz .LBB54_406
; %bb.405:
	v_div_scale_f64 v[128:129], s[18:19], v[114:115], v[114:115], v[112:113]
	v_rcp_f64_e32 v[130:131], v[128:129]
	v_div_scale_f64 v[132:133], vcc, v[112:113], v[114:115], v[112:113]
	v_fma_f64 v[134:135], -v[128:129], v[130:131], 1.0
	v_fmac_f64_e32 v[130:131], v[130:131], v[134:135]
	v_fma_f64 v[134:135], -v[128:129], v[130:131], 1.0
	v_fmac_f64_e32 v[130:131], v[130:131], v[134:135]
	v_mul_f64 v[134:135], v[132:133], v[130:131]
	v_fma_f64 v[128:129], -v[128:129], v[134:135], v[132:133]
	v_div_fmas_f64 v[128:129], v[128:129], v[130:131], v[134:135]
	v_div_fixup_f64 v[128:129], v[128:129], v[114:115], v[112:113]
	v_fmac_f64_e32 v[114:115], v[112:113], v[128:129]
	v_div_scale_f64 v[112:113], s[18:19], v[114:115], v[114:115], 1.0
	v_rcp_f64_e32 v[130:131], v[112:113]
	s_nop 0
	v_fma_f64 v[132:133], -v[112:113], v[130:131], 1.0
	v_fmac_f64_e32 v[130:131], v[130:131], v[132:133]
	v_fma_f64 v[132:133], -v[112:113], v[130:131], 1.0
	v_fmac_f64_e32 v[130:131], v[130:131], v[132:133]
	v_div_scale_f64 v[132:133], vcc, 1.0, v[114:115], 1.0
	v_mul_f64 v[134:135], v[132:133], v[130:131]
	v_fma_f64 v[112:113], -v[112:113], v[134:135], v[132:133]
	s_nop 1
	v_div_fmas_f64 v[112:113], v[112:113], v[130:131], v[134:135]
	v_div_fixup_f64 v[114:115], v[112:113], v[114:115], 1.0
	v_mul_f64 v[112:113], v[128:129], v[114:115]
	v_xor_b32_e32 v115, 0x80000000, v115
.LBB54_406:
	s_andn2_saveexec_b64 s[16:17], s[16:17]
	s_cbranch_execz .LBB54_408
; %bb.407:
	v_div_scale_f64 v[128:129], s[18:19], v[112:113], v[112:113], v[114:115]
	v_rcp_f64_e32 v[130:131], v[128:129]
	v_div_scale_f64 v[132:133], vcc, v[114:115], v[112:113], v[114:115]
	v_fma_f64 v[134:135], -v[128:129], v[130:131], 1.0
	v_fmac_f64_e32 v[130:131], v[130:131], v[134:135]
	v_fma_f64 v[134:135], -v[128:129], v[130:131], 1.0
	v_fmac_f64_e32 v[130:131], v[130:131], v[134:135]
	v_mul_f64 v[134:135], v[132:133], v[130:131]
	v_fma_f64 v[128:129], -v[128:129], v[134:135], v[132:133]
	v_div_fmas_f64 v[128:129], v[128:129], v[130:131], v[134:135]
	v_div_fixup_f64 v[128:129], v[128:129], v[112:113], v[114:115]
	v_fmac_f64_e32 v[112:113], v[114:115], v[128:129]
	v_div_scale_f64 v[114:115], s[18:19], v[112:113], v[112:113], 1.0
	v_rcp_f64_e32 v[130:131], v[114:115]
	s_nop 0
	v_fma_f64 v[132:133], -v[114:115], v[130:131], 1.0
	v_fmac_f64_e32 v[130:131], v[130:131], v[132:133]
	v_fma_f64 v[132:133], -v[114:115], v[130:131], 1.0
	v_fmac_f64_e32 v[130:131], v[130:131], v[132:133]
	v_div_scale_f64 v[132:133], vcc, 1.0, v[112:113], 1.0
	v_mul_f64 v[134:135], v[132:133], v[130:131]
	v_fma_f64 v[114:115], -v[114:115], v[134:135], v[132:133]
	s_nop 1
	v_div_fmas_f64 v[114:115], v[114:115], v[130:131], v[134:135]
	v_div_fixup_f64 v[112:113], v[114:115], v[112:113], 1.0
	v_mul_f64 v[114:115], v[128:129], -v[112:113]
.LBB54_408:
	s_or_b64 exec, exec, s[16:17]
.LBB54_409:
	s_or_b64 exec, exec, s[0:1]
	v_cmp_ne_u32_e32 vcc, v125, v122
	s_and_saveexec_b64 s[0:1], vcc
	s_xor_b64 s[0:1], exec, s[0:1]
	s_cbranch_execz .LBB54_415
; %bb.410:
	v_cmp_eq_u32_e32 vcc, 19, v125
	s_and_saveexec_b64 s[16:17], vcc
	s_cbranch_execz .LBB54_414
; %bb.411:
	v_cmp_ne_u32_e32 vcc, 19, v122
	s_xor_b64 s[18:19], s[14:15], -1
	s_and_b64 s[22:23], s[18:19], vcc
	s_and_saveexec_b64 s[18:19], s[22:23]
	s_cbranch_execz .LBB54_413
; %bb.412:
	v_ashrrev_i32_e32 v123, 31, v122
	v_lshl_add_u64 v[128:129], v[122:123], 2, v[120:121]
	global_load_dword v123, v[128:129], off
	global_load_dword v125, v[120:121], off offset:76
	s_waitcnt vmcnt(1)
	global_store_dword v[120:121], v123, off offset:76
	s_waitcnt vmcnt(1)
	global_store_dword v[128:129], v125, off
.LBB54_413:
	s_or_b64 exec, exec, s[18:19]
	v_mov_b32_e32 v125, v122
	v_mov_b32_e32 v127, v122
.LBB54_414:
	s_or_b64 exec, exec, s[16:17]
.LBB54_415:
	s_andn2_saveexec_b64 s[0:1], s[0:1]
	s_cbranch_execz .LBB54_417
; %bb.416:
	v_mov_b32_e32 v125, 19
	s_waitcnt vmcnt(7)
	ds_write2_b64 v124, v[24:25], v[26:27] offset0:40 offset1:41
	s_waitcnt vmcnt(6)
	ds_write2_b64 v124, v[20:21], v[22:23] offset0:42 offset1:43
	;; [unrolled: 2-line block ×8, first 2 shown]
.LBB54_417:
	s_or_b64 exec, exec, s[0:1]
	v_cmp_lt_i32_e32 vcc, 19, v125
	s_waitcnt lgkmcnt(0)
	s_barrier
	s_and_saveexec_b64 s[0:1], vcc
	s_cbranch_execz .LBB54_419
; %bb.418:
	ds_read2_b64 v[128:131], v124 offset0:40 offset1:41
	v_mul_f64 v[122:123], v[112:113], v[30:31]
	v_mul_f64 v[30:31], v[114:115], v[30:31]
	v_fmac_f64_e32 v[122:123], v[114:115], v[28:29]
	v_fma_f64 v[28:29], v[112:113], v[28:29], -v[30:31]
	ds_read2_b64 v[112:115], v124 offset0:42 offset1:43
	s_waitcnt lgkmcnt(1)
	v_mul_f64 v[30:31], v[130:131], v[122:123]
	v_fma_f64 v[30:31], v[128:129], v[28:29], -v[30:31]
	v_mul_f64 v[128:129], v[128:129], v[122:123]
	v_fmac_f64_e32 v[128:129], v[130:131], v[28:29]
	s_waitcnt vmcnt(7)
	v_add_f64 v[24:25], v[24:25], -v[30:31]
	s_waitcnt lgkmcnt(0)
	v_mul_f64 v[30:31], v[114:115], v[122:123]
	v_add_f64 v[26:27], v[26:27], -v[128:129]
	v_fma_f64 v[30:31], v[112:113], v[28:29], -v[30:31]
	v_mul_f64 v[112:113], v[112:113], v[122:123]
	ds_read2_b64 v[128:131], v124 offset0:44 offset1:45
	v_fmac_f64_e32 v[112:113], v[114:115], v[28:29]
	s_waitcnt vmcnt(6)
	v_add_f64 v[22:23], v[22:23], -v[112:113]
	ds_read2_b64 v[112:115], v124 offset0:46 offset1:47
	v_add_f64 v[20:21], v[20:21], -v[30:31]
	s_waitcnt lgkmcnt(1)
	v_mul_f64 v[30:31], v[130:131], v[122:123]
	v_fma_f64 v[30:31], v[128:129], v[28:29], -v[30:31]
	v_mul_f64 v[128:129], v[128:129], v[122:123]
	v_fmac_f64_e32 v[128:129], v[130:131], v[28:29]
	s_waitcnt vmcnt(5)
	v_add_f64 v[16:17], v[16:17], -v[30:31]
	s_waitcnt lgkmcnt(0)
	v_mul_f64 v[30:31], v[114:115], v[122:123]
	v_add_f64 v[18:19], v[18:19], -v[128:129]
	v_fma_f64 v[30:31], v[112:113], v[28:29], -v[30:31]
	v_mul_f64 v[112:113], v[112:113], v[122:123]
	ds_read2_b64 v[128:131], v124 offset0:48 offset1:49
	v_fmac_f64_e32 v[112:113], v[114:115], v[28:29]
	s_waitcnt vmcnt(4)
	v_add_f64 v[14:15], v[14:15], -v[112:113]
	ds_read2_b64 v[112:115], v124 offset0:50 offset1:51
	v_add_f64 v[12:13], v[12:13], -v[30:31]
	;; [unrolled: 18-line block ×3, first 2 shown]
	s_waitcnt lgkmcnt(1)
	v_mul_f64 v[30:31], v[130:131], v[122:123]
	v_fma_f64 v[30:31], v[128:129], v[28:29], -v[30:31]
	s_waitcnt vmcnt(1)
	v_add_f64 v[0:1], v[0:1], -v[30:31]
	s_waitcnt lgkmcnt(0)
	v_mul_f64 v[30:31], v[114:115], v[122:123]
	v_mul_f64 v[128:129], v[128:129], v[122:123]
	v_fma_f64 v[30:31], v[112:113], v[28:29], -v[30:31]
	v_mul_f64 v[112:113], v[112:113], v[122:123]
	v_fmac_f64_e32 v[128:129], v[130:131], v[28:29]
	v_fmac_f64_e32 v[112:113], v[114:115], v[28:29]
	v_add_f64 v[2:3], v[2:3], -v[128:129]
	s_waitcnt vmcnt(0)
	v_add_f64 v[108:109], v[108:109], -v[30:31]
	v_add_f64 v[110:111], v[110:111], -v[112:113]
	v_mov_b64_e32 v[30:31], v[122:123]
.LBB54_419:
	s_or_b64 exec, exec, s[0:1]
	v_lshl_add_u32 v112, v125, 4, v124
	s_barrier
	s_waitcnt vmcnt(7)
	ds_write2_b64 v112, v[24:25], v[26:27] offset1:1
	s_waitcnt lgkmcnt(0)
	s_barrier
	ds_read2_b64 v[112:115], v124 offset0:40 offset1:41
	s_cmp_lt_i32 s20, 22
	v_mov_b32_e32 v122, 20
	s_cbranch_scc1 .LBB54_422
; %bb.420:
	v_add_u32_e32 v123, 0x150, v124
	s_mov_b32 s16, 21
	v_mov_b32_e32 v122, 20
.LBB54_421:                             ; =>This Inner Loop Header: Depth=1
	ds_read2_b64 v[128:131], v123 offset1:1
	s_waitcnt lgkmcnt(1)
	v_xor_b32_e32 v133, 0x80000000, v113
	v_xor_b32_e32 v135, 0x80000000, v115
	v_cmp_gt_f64_e32 vcc, 0, v[114:115]
	v_cmp_gt_f64_e64 s[0:1], 0, v[112:113]
	v_mov_b32_e32 v132, v112
	v_mov_b32_e32 v134, v114
	v_cndmask_b32_e64 v133, v113, v133, s[0:1]
	v_cndmask_b32_e32 v135, v115, v135, vcc
	v_add_f64 v[132:133], v[132:133], v[134:135]
	s_waitcnt lgkmcnt(0)
	v_xor_b32_e32 v135, 0x80000000, v129
	v_xor_b32_e32 v137, 0x80000000, v131
	v_cmp_gt_f64_e32 vcc, 0, v[130:131]
	v_cmp_gt_f64_e64 s[0:1], 0, v[128:129]
	v_mov_b32_e32 v134, v128
	v_mov_b32_e32 v136, v130
	v_cndmask_b32_e64 v135, v129, v135, s[0:1]
	v_cndmask_b32_e32 v137, v131, v137, vcc
	v_add_f64 v[134:135], v[134:135], v[136:137]
	v_mov_b32_e32 v138, s16
	s_add_i32 s16, s16, 1
	v_cmp_lt_f64_e32 vcc, v[132:133], v[134:135]
	v_add_u32_e32 v123, 16, v123
	s_cmp_lg_u32 s20, s16
	v_cndmask_b32_e32 v113, v113, v129, vcc
	v_cndmask_b32_e32 v112, v112, v128, vcc
	;; [unrolled: 1-line block ×5, first 2 shown]
	s_cbranch_scc1 .LBB54_421
.LBB54_422:
	s_waitcnt lgkmcnt(0)
	v_cmp_eq_f64_e32 vcc, 0, v[112:113]
	v_cmp_eq_f64_e64 s[0:1], 0, v[114:115]
	s_and_b64 s[0:1], vcc, s[0:1]
	s_and_saveexec_b64 s[16:17], s[0:1]
	s_xor_b64 s[0:1], exec, s[16:17]
; %bb.423:
	v_cmp_ne_u32_e32 vcc, 0, v126
	s_nop 1
	v_cndmask_b32_e32 v126, 21, v126, vcc
; %bb.424:
	s_andn2_saveexec_b64 s[0:1], s[0:1]
	s_cbranch_execz .LBB54_430
; %bb.425:
	v_cmp_ngt_f64_e64 s[16:17], |v[112:113]|, |v[114:115]|
	s_and_saveexec_b64 s[18:19], s[16:17]
	s_xor_b64 s[16:17], exec, s[18:19]
	s_cbranch_execz .LBB54_427
; %bb.426:
	v_div_scale_f64 v[128:129], s[18:19], v[114:115], v[114:115], v[112:113]
	v_rcp_f64_e32 v[130:131], v[128:129]
	v_div_scale_f64 v[132:133], vcc, v[112:113], v[114:115], v[112:113]
	v_fma_f64 v[134:135], -v[128:129], v[130:131], 1.0
	v_fmac_f64_e32 v[130:131], v[130:131], v[134:135]
	v_fma_f64 v[134:135], -v[128:129], v[130:131], 1.0
	v_fmac_f64_e32 v[130:131], v[130:131], v[134:135]
	v_mul_f64 v[134:135], v[132:133], v[130:131]
	v_fma_f64 v[128:129], -v[128:129], v[134:135], v[132:133]
	v_div_fmas_f64 v[128:129], v[128:129], v[130:131], v[134:135]
	v_div_fixup_f64 v[128:129], v[128:129], v[114:115], v[112:113]
	v_fmac_f64_e32 v[114:115], v[112:113], v[128:129]
	v_div_scale_f64 v[112:113], s[18:19], v[114:115], v[114:115], 1.0
	v_rcp_f64_e32 v[130:131], v[112:113]
	s_nop 0
	v_fma_f64 v[132:133], -v[112:113], v[130:131], 1.0
	v_fmac_f64_e32 v[130:131], v[130:131], v[132:133]
	v_fma_f64 v[132:133], -v[112:113], v[130:131], 1.0
	v_fmac_f64_e32 v[130:131], v[130:131], v[132:133]
	v_div_scale_f64 v[132:133], vcc, 1.0, v[114:115], 1.0
	v_mul_f64 v[134:135], v[132:133], v[130:131]
	v_fma_f64 v[112:113], -v[112:113], v[134:135], v[132:133]
	s_nop 1
	v_div_fmas_f64 v[112:113], v[112:113], v[130:131], v[134:135]
	v_div_fixup_f64 v[114:115], v[112:113], v[114:115], 1.0
	v_mul_f64 v[112:113], v[128:129], v[114:115]
	v_xor_b32_e32 v115, 0x80000000, v115
.LBB54_427:
	s_andn2_saveexec_b64 s[16:17], s[16:17]
	s_cbranch_execz .LBB54_429
; %bb.428:
	v_div_scale_f64 v[128:129], s[18:19], v[112:113], v[112:113], v[114:115]
	v_rcp_f64_e32 v[130:131], v[128:129]
	v_div_scale_f64 v[132:133], vcc, v[114:115], v[112:113], v[114:115]
	v_fma_f64 v[134:135], -v[128:129], v[130:131], 1.0
	v_fmac_f64_e32 v[130:131], v[130:131], v[134:135]
	v_fma_f64 v[134:135], -v[128:129], v[130:131], 1.0
	v_fmac_f64_e32 v[130:131], v[130:131], v[134:135]
	v_mul_f64 v[134:135], v[132:133], v[130:131]
	v_fma_f64 v[128:129], -v[128:129], v[134:135], v[132:133]
	v_div_fmas_f64 v[128:129], v[128:129], v[130:131], v[134:135]
	v_div_fixup_f64 v[128:129], v[128:129], v[112:113], v[114:115]
	v_fmac_f64_e32 v[112:113], v[114:115], v[128:129]
	v_div_scale_f64 v[114:115], s[18:19], v[112:113], v[112:113], 1.0
	v_rcp_f64_e32 v[130:131], v[114:115]
	s_nop 0
	v_fma_f64 v[132:133], -v[114:115], v[130:131], 1.0
	v_fmac_f64_e32 v[130:131], v[130:131], v[132:133]
	v_fma_f64 v[132:133], -v[114:115], v[130:131], 1.0
	v_fmac_f64_e32 v[130:131], v[130:131], v[132:133]
	v_div_scale_f64 v[132:133], vcc, 1.0, v[112:113], 1.0
	v_mul_f64 v[134:135], v[132:133], v[130:131]
	v_fma_f64 v[114:115], -v[114:115], v[134:135], v[132:133]
	s_nop 1
	v_div_fmas_f64 v[114:115], v[114:115], v[130:131], v[134:135]
	v_div_fixup_f64 v[112:113], v[114:115], v[112:113], 1.0
	v_mul_f64 v[114:115], v[128:129], -v[112:113]
.LBB54_429:
	s_or_b64 exec, exec, s[16:17]
.LBB54_430:
	s_or_b64 exec, exec, s[0:1]
	v_cmp_ne_u32_e32 vcc, v125, v122
	s_and_saveexec_b64 s[0:1], vcc
	s_xor_b64 s[0:1], exec, s[0:1]
	s_cbranch_execz .LBB54_436
; %bb.431:
	v_cmp_eq_u32_e32 vcc, 20, v125
	s_and_saveexec_b64 s[16:17], vcc
	s_cbranch_execz .LBB54_435
; %bb.432:
	v_cmp_ne_u32_e32 vcc, 20, v122
	s_xor_b64 s[18:19], s[14:15], -1
	s_and_b64 s[22:23], s[18:19], vcc
	s_and_saveexec_b64 s[18:19], s[22:23]
	s_cbranch_execz .LBB54_434
; %bb.433:
	v_ashrrev_i32_e32 v123, 31, v122
	v_lshl_add_u64 v[128:129], v[122:123], 2, v[120:121]
	global_load_dword v123, v[128:129], off
	global_load_dword v125, v[120:121], off offset:80
	s_waitcnt vmcnt(1)
	global_store_dword v[120:121], v123, off offset:80
	s_waitcnt vmcnt(1)
	global_store_dword v[128:129], v125, off
.LBB54_434:
	s_or_b64 exec, exec, s[18:19]
	v_mov_b32_e32 v125, v122
	v_mov_b32_e32 v127, v122
.LBB54_435:
	s_or_b64 exec, exec, s[16:17]
.LBB54_436:
	s_andn2_saveexec_b64 s[0:1], s[0:1]
	s_cbranch_execz .LBB54_438
; %bb.437:
	v_mov_b32_e32 v125, 20
	s_waitcnt vmcnt(6)
	ds_write2_b64 v124, v[20:21], v[22:23] offset0:42 offset1:43
	s_waitcnt vmcnt(5)
	ds_write2_b64 v124, v[16:17], v[18:19] offset0:44 offset1:45
	;; [unrolled: 2-line block ×7, first 2 shown]
.LBB54_438:
	s_or_b64 exec, exec, s[0:1]
	v_cmp_lt_i32_e32 vcc, 20, v125
	s_waitcnt lgkmcnt(0)
	s_barrier
	s_and_saveexec_b64 s[0:1], vcc
	s_cbranch_execz .LBB54_440
; %bb.439:
	ds_read2_b64 v[128:131], v124 offset0:42 offset1:43
	v_mul_f64 v[122:123], v[112:113], v[26:27]
	v_fmac_f64_e32 v[122:123], v[114:115], v[24:25]
	v_mul_f64 v[26:27], v[114:115], v[26:27]
	v_fma_f64 v[24:25], v[112:113], v[24:25], -v[26:27]
	ds_read2_b64 v[112:115], v124 offset0:44 offset1:45
	s_waitcnt lgkmcnt(1)
	v_mul_f64 v[26:27], v[130:131], v[122:123]
	v_fma_f64 v[26:27], v[128:129], v[24:25], -v[26:27]
	v_mul_f64 v[128:129], v[128:129], v[122:123]
	v_fmac_f64_e32 v[128:129], v[130:131], v[24:25]
	s_waitcnt vmcnt(6)
	v_add_f64 v[22:23], v[22:23], -v[128:129]
	ds_read2_b64 v[128:131], v124 offset0:46 offset1:47
	v_add_f64 v[20:21], v[20:21], -v[26:27]
	s_waitcnt lgkmcnt(1)
	v_mul_f64 v[26:27], v[114:115], v[122:123]
	v_fma_f64 v[26:27], v[112:113], v[24:25], -v[26:27]
	v_mul_f64 v[112:113], v[112:113], v[122:123]
	v_fmac_f64_e32 v[112:113], v[114:115], v[24:25]
	s_waitcnt vmcnt(5)
	v_add_f64 v[16:17], v[16:17], -v[26:27]
	v_add_f64 v[18:19], v[18:19], -v[112:113]
	ds_read2_b64 v[112:115], v124 offset0:48 offset1:49
	s_waitcnt lgkmcnt(1)
	v_mul_f64 v[26:27], v[130:131], v[122:123]
	v_fma_f64 v[26:27], v[128:129], v[24:25], -v[26:27]
	v_mul_f64 v[128:129], v[128:129], v[122:123]
	v_fmac_f64_e32 v[128:129], v[130:131], v[24:25]
	s_waitcnt vmcnt(4)
	v_add_f64 v[14:15], v[14:15], -v[128:129]
	ds_read2_b64 v[128:131], v124 offset0:50 offset1:51
	v_add_f64 v[12:13], v[12:13], -v[26:27]
	s_waitcnt lgkmcnt(1)
	v_mul_f64 v[26:27], v[114:115], v[122:123]
	v_fma_f64 v[26:27], v[112:113], v[24:25], -v[26:27]
	v_mul_f64 v[112:113], v[112:113], v[122:123]
	v_fmac_f64_e32 v[112:113], v[114:115], v[24:25]
	s_waitcnt vmcnt(3)
	v_add_f64 v[8:9], v[8:9], -v[26:27]
	v_add_f64 v[10:11], v[10:11], -v[112:113]
	ds_read2_b64 v[112:115], v124 offset0:52 offset1:53
	s_waitcnt lgkmcnt(1)
	v_mul_f64 v[26:27], v[130:131], v[122:123]
	v_fma_f64 v[26:27], v[128:129], v[24:25], -v[26:27]
	v_mul_f64 v[128:129], v[128:129], v[122:123]
	v_fmac_f64_e32 v[128:129], v[130:131], v[24:25]
	s_waitcnt vmcnt(2)
	v_add_f64 v[6:7], v[6:7], -v[128:129]
	ds_read2_b64 v[128:131], v124 offset0:54 offset1:55
	v_add_f64 v[4:5], v[4:5], -v[26:27]
	s_waitcnt lgkmcnt(1)
	v_mul_f64 v[26:27], v[114:115], v[122:123]
	v_fma_f64 v[26:27], v[112:113], v[24:25], -v[26:27]
	v_mul_f64 v[112:113], v[112:113], v[122:123]
	v_fmac_f64_e32 v[112:113], v[114:115], v[24:25]
	s_waitcnt vmcnt(1)
	v_add_f64 v[0:1], v[0:1], -v[26:27]
	v_add_f64 v[2:3], v[2:3], -v[112:113]
	s_waitcnt lgkmcnt(0)
	v_mul_f64 v[26:27], v[130:131], v[122:123]
	v_mul_f64 v[112:113], v[128:129], v[122:123]
	v_fma_f64 v[26:27], v[128:129], v[24:25], -v[26:27]
	v_fmac_f64_e32 v[112:113], v[130:131], v[24:25]
	s_waitcnt vmcnt(0)
	v_add_f64 v[108:109], v[108:109], -v[26:27]
	v_add_f64 v[110:111], v[110:111], -v[112:113]
	v_mov_b64_e32 v[26:27], v[122:123]
.LBB54_440:
	s_or_b64 exec, exec, s[0:1]
	v_lshl_add_u32 v112, v125, 4, v124
	s_barrier
	s_waitcnt vmcnt(6)
	ds_write2_b64 v112, v[20:21], v[22:23] offset1:1
	s_waitcnt lgkmcnt(0)
	s_barrier
	ds_read2_b64 v[112:115], v124 offset0:42 offset1:43
	s_cmp_lt_i32 s20, 23
	v_mov_b32_e32 v122, 21
	s_cbranch_scc1 .LBB54_443
; %bb.441:
	v_add_u32_e32 v123, 0x160, v124
	s_mov_b32 s16, 22
	v_mov_b32_e32 v122, 21
.LBB54_442:                             ; =>This Inner Loop Header: Depth=1
	ds_read2_b64 v[128:131], v123 offset1:1
	s_waitcnt lgkmcnt(1)
	v_xor_b32_e32 v133, 0x80000000, v113
	v_xor_b32_e32 v135, 0x80000000, v115
	v_cmp_gt_f64_e32 vcc, 0, v[114:115]
	v_cmp_gt_f64_e64 s[0:1], 0, v[112:113]
	v_mov_b32_e32 v132, v112
	v_mov_b32_e32 v134, v114
	v_cndmask_b32_e64 v133, v113, v133, s[0:1]
	v_cndmask_b32_e32 v135, v115, v135, vcc
	v_add_f64 v[132:133], v[132:133], v[134:135]
	s_waitcnt lgkmcnt(0)
	v_xor_b32_e32 v135, 0x80000000, v129
	v_xor_b32_e32 v137, 0x80000000, v131
	v_cmp_gt_f64_e32 vcc, 0, v[130:131]
	v_cmp_gt_f64_e64 s[0:1], 0, v[128:129]
	v_mov_b32_e32 v134, v128
	v_mov_b32_e32 v136, v130
	v_cndmask_b32_e64 v135, v129, v135, s[0:1]
	v_cndmask_b32_e32 v137, v131, v137, vcc
	v_add_f64 v[134:135], v[134:135], v[136:137]
	v_mov_b32_e32 v138, s16
	s_add_i32 s16, s16, 1
	v_cmp_lt_f64_e32 vcc, v[132:133], v[134:135]
	v_add_u32_e32 v123, 16, v123
	s_cmp_lg_u32 s20, s16
	v_cndmask_b32_e32 v113, v113, v129, vcc
	v_cndmask_b32_e32 v112, v112, v128, vcc
	;; [unrolled: 1-line block ×5, first 2 shown]
	s_cbranch_scc1 .LBB54_442
.LBB54_443:
	s_waitcnt lgkmcnt(0)
	v_cmp_eq_f64_e32 vcc, 0, v[112:113]
	v_cmp_eq_f64_e64 s[0:1], 0, v[114:115]
	s_and_b64 s[0:1], vcc, s[0:1]
	s_and_saveexec_b64 s[16:17], s[0:1]
	s_xor_b64 s[0:1], exec, s[16:17]
; %bb.444:
	v_cmp_ne_u32_e32 vcc, 0, v126
	s_nop 1
	v_cndmask_b32_e32 v126, 22, v126, vcc
; %bb.445:
	s_andn2_saveexec_b64 s[0:1], s[0:1]
	s_cbranch_execz .LBB54_451
; %bb.446:
	v_cmp_ngt_f64_e64 s[16:17], |v[112:113]|, |v[114:115]|
	s_and_saveexec_b64 s[18:19], s[16:17]
	s_xor_b64 s[16:17], exec, s[18:19]
	s_cbranch_execz .LBB54_448
; %bb.447:
	v_div_scale_f64 v[128:129], s[18:19], v[114:115], v[114:115], v[112:113]
	v_rcp_f64_e32 v[130:131], v[128:129]
	v_div_scale_f64 v[132:133], vcc, v[112:113], v[114:115], v[112:113]
	v_fma_f64 v[134:135], -v[128:129], v[130:131], 1.0
	v_fmac_f64_e32 v[130:131], v[130:131], v[134:135]
	v_fma_f64 v[134:135], -v[128:129], v[130:131], 1.0
	v_fmac_f64_e32 v[130:131], v[130:131], v[134:135]
	v_mul_f64 v[134:135], v[132:133], v[130:131]
	v_fma_f64 v[128:129], -v[128:129], v[134:135], v[132:133]
	v_div_fmas_f64 v[128:129], v[128:129], v[130:131], v[134:135]
	v_div_fixup_f64 v[128:129], v[128:129], v[114:115], v[112:113]
	v_fmac_f64_e32 v[114:115], v[112:113], v[128:129]
	v_div_scale_f64 v[112:113], s[18:19], v[114:115], v[114:115], 1.0
	v_rcp_f64_e32 v[130:131], v[112:113]
	s_nop 0
	v_fma_f64 v[132:133], -v[112:113], v[130:131], 1.0
	v_fmac_f64_e32 v[130:131], v[130:131], v[132:133]
	v_fma_f64 v[132:133], -v[112:113], v[130:131], 1.0
	v_fmac_f64_e32 v[130:131], v[130:131], v[132:133]
	v_div_scale_f64 v[132:133], vcc, 1.0, v[114:115], 1.0
	v_mul_f64 v[134:135], v[132:133], v[130:131]
	v_fma_f64 v[112:113], -v[112:113], v[134:135], v[132:133]
	s_nop 1
	v_div_fmas_f64 v[112:113], v[112:113], v[130:131], v[134:135]
	v_div_fixup_f64 v[114:115], v[112:113], v[114:115], 1.0
	v_mul_f64 v[112:113], v[128:129], v[114:115]
	v_xor_b32_e32 v115, 0x80000000, v115
.LBB54_448:
	s_andn2_saveexec_b64 s[16:17], s[16:17]
	s_cbranch_execz .LBB54_450
; %bb.449:
	v_div_scale_f64 v[128:129], s[18:19], v[112:113], v[112:113], v[114:115]
	v_rcp_f64_e32 v[130:131], v[128:129]
	v_div_scale_f64 v[132:133], vcc, v[114:115], v[112:113], v[114:115]
	v_fma_f64 v[134:135], -v[128:129], v[130:131], 1.0
	v_fmac_f64_e32 v[130:131], v[130:131], v[134:135]
	v_fma_f64 v[134:135], -v[128:129], v[130:131], 1.0
	v_fmac_f64_e32 v[130:131], v[130:131], v[134:135]
	v_mul_f64 v[134:135], v[132:133], v[130:131]
	v_fma_f64 v[128:129], -v[128:129], v[134:135], v[132:133]
	v_div_fmas_f64 v[128:129], v[128:129], v[130:131], v[134:135]
	v_div_fixup_f64 v[128:129], v[128:129], v[112:113], v[114:115]
	v_fmac_f64_e32 v[112:113], v[114:115], v[128:129]
	v_div_scale_f64 v[114:115], s[18:19], v[112:113], v[112:113], 1.0
	v_rcp_f64_e32 v[130:131], v[114:115]
	s_nop 0
	v_fma_f64 v[132:133], -v[114:115], v[130:131], 1.0
	v_fmac_f64_e32 v[130:131], v[130:131], v[132:133]
	v_fma_f64 v[132:133], -v[114:115], v[130:131], 1.0
	v_fmac_f64_e32 v[130:131], v[130:131], v[132:133]
	v_div_scale_f64 v[132:133], vcc, 1.0, v[112:113], 1.0
	v_mul_f64 v[134:135], v[132:133], v[130:131]
	v_fma_f64 v[114:115], -v[114:115], v[134:135], v[132:133]
	s_nop 1
	v_div_fmas_f64 v[114:115], v[114:115], v[130:131], v[134:135]
	v_div_fixup_f64 v[112:113], v[114:115], v[112:113], 1.0
	v_mul_f64 v[114:115], v[128:129], -v[112:113]
.LBB54_450:
	s_or_b64 exec, exec, s[16:17]
.LBB54_451:
	s_or_b64 exec, exec, s[0:1]
	v_cmp_ne_u32_e32 vcc, v125, v122
	s_and_saveexec_b64 s[0:1], vcc
	s_xor_b64 s[0:1], exec, s[0:1]
	s_cbranch_execz .LBB54_457
; %bb.452:
	v_cmp_eq_u32_e32 vcc, 21, v125
	s_and_saveexec_b64 s[16:17], vcc
	s_cbranch_execz .LBB54_456
; %bb.453:
	v_cmp_ne_u32_e32 vcc, 21, v122
	s_xor_b64 s[18:19], s[14:15], -1
	s_and_b64 s[22:23], s[18:19], vcc
	s_and_saveexec_b64 s[18:19], s[22:23]
	s_cbranch_execz .LBB54_455
; %bb.454:
	v_ashrrev_i32_e32 v123, 31, v122
	v_lshl_add_u64 v[128:129], v[122:123], 2, v[120:121]
	global_load_dword v123, v[128:129], off
	global_load_dword v125, v[120:121], off offset:84
	s_waitcnt vmcnt(1)
	global_store_dword v[120:121], v123, off offset:84
	s_waitcnt vmcnt(1)
	global_store_dword v[128:129], v125, off
.LBB54_455:
	s_or_b64 exec, exec, s[18:19]
	v_mov_b32_e32 v125, v122
	v_mov_b32_e32 v127, v122
.LBB54_456:
	s_or_b64 exec, exec, s[16:17]
.LBB54_457:
	s_andn2_saveexec_b64 s[0:1], s[0:1]
	s_cbranch_execz .LBB54_459
; %bb.458:
	v_mov_b32_e32 v125, 21
	s_waitcnt vmcnt(5)
	ds_write2_b64 v124, v[16:17], v[18:19] offset0:44 offset1:45
	s_waitcnt vmcnt(4)
	ds_write2_b64 v124, v[12:13], v[14:15] offset0:46 offset1:47
	;; [unrolled: 2-line block ×6, first 2 shown]
.LBB54_459:
	s_or_b64 exec, exec, s[0:1]
	v_cmp_lt_i32_e32 vcc, 21, v125
	s_waitcnt lgkmcnt(0)
	s_barrier
	s_and_saveexec_b64 s[0:1], vcc
	s_cbranch_execz .LBB54_461
; %bb.460:
	ds_read2_b64 v[128:131], v124 offset0:44 offset1:45
	v_mul_f64 v[122:123], v[112:113], v[22:23]
	v_mul_f64 v[22:23], v[114:115], v[22:23]
	v_fmac_f64_e32 v[122:123], v[114:115], v[20:21]
	v_fma_f64 v[20:21], v[112:113], v[20:21], -v[22:23]
	ds_read2_b64 v[112:115], v124 offset0:46 offset1:47
	s_waitcnt lgkmcnt(1)
	v_mul_f64 v[22:23], v[130:131], v[122:123]
	v_fma_f64 v[22:23], v[128:129], v[20:21], -v[22:23]
	v_mul_f64 v[128:129], v[128:129], v[122:123]
	v_fmac_f64_e32 v[128:129], v[130:131], v[20:21]
	s_waitcnt vmcnt(5)
	v_add_f64 v[16:17], v[16:17], -v[22:23]
	s_waitcnt lgkmcnt(0)
	v_mul_f64 v[22:23], v[114:115], v[122:123]
	v_add_f64 v[18:19], v[18:19], -v[128:129]
	v_fma_f64 v[22:23], v[112:113], v[20:21], -v[22:23]
	v_mul_f64 v[112:113], v[112:113], v[122:123]
	ds_read2_b64 v[128:131], v124 offset0:48 offset1:49
	v_fmac_f64_e32 v[112:113], v[114:115], v[20:21]
	s_waitcnt vmcnt(4)
	v_add_f64 v[14:15], v[14:15], -v[112:113]
	ds_read2_b64 v[112:115], v124 offset0:50 offset1:51
	v_add_f64 v[12:13], v[12:13], -v[22:23]
	s_waitcnt lgkmcnt(1)
	v_mul_f64 v[22:23], v[130:131], v[122:123]
	v_fma_f64 v[22:23], v[128:129], v[20:21], -v[22:23]
	v_mul_f64 v[128:129], v[128:129], v[122:123]
	v_fmac_f64_e32 v[128:129], v[130:131], v[20:21]
	s_waitcnt vmcnt(3)
	v_add_f64 v[8:9], v[8:9], -v[22:23]
	s_waitcnt lgkmcnt(0)
	v_mul_f64 v[22:23], v[114:115], v[122:123]
	v_add_f64 v[10:11], v[10:11], -v[128:129]
	v_fma_f64 v[22:23], v[112:113], v[20:21], -v[22:23]
	v_mul_f64 v[112:113], v[112:113], v[122:123]
	ds_read2_b64 v[128:131], v124 offset0:52 offset1:53
	v_fmac_f64_e32 v[112:113], v[114:115], v[20:21]
	s_waitcnt vmcnt(2)
	v_add_f64 v[6:7], v[6:7], -v[112:113]
	ds_read2_b64 v[112:115], v124 offset0:54 offset1:55
	v_add_f64 v[4:5], v[4:5], -v[22:23]
	s_waitcnt lgkmcnt(1)
	v_mul_f64 v[22:23], v[130:131], v[122:123]
	v_fma_f64 v[22:23], v[128:129], v[20:21], -v[22:23]
	s_waitcnt vmcnt(1)
	v_add_f64 v[0:1], v[0:1], -v[22:23]
	s_waitcnt lgkmcnt(0)
	v_mul_f64 v[22:23], v[114:115], v[122:123]
	v_mul_f64 v[128:129], v[128:129], v[122:123]
	v_fma_f64 v[22:23], v[112:113], v[20:21], -v[22:23]
	v_mul_f64 v[112:113], v[112:113], v[122:123]
	v_fmac_f64_e32 v[128:129], v[130:131], v[20:21]
	v_fmac_f64_e32 v[112:113], v[114:115], v[20:21]
	v_add_f64 v[2:3], v[2:3], -v[128:129]
	s_waitcnt vmcnt(0)
	v_add_f64 v[108:109], v[108:109], -v[22:23]
	v_add_f64 v[110:111], v[110:111], -v[112:113]
	v_mov_b64_e32 v[22:23], v[122:123]
.LBB54_461:
	s_or_b64 exec, exec, s[0:1]
	v_lshl_add_u32 v112, v125, 4, v124
	s_barrier
	s_waitcnt vmcnt(5)
	ds_write2_b64 v112, v[16:17], v[18:19] offset1:1
	s_waitcnt lgkmcnt(0)
	s_barrier
	ds_read2_b64 v[112:115], v124 offset0:44 offset1:45
	s_cmp_lt_i32 s20, 24
	v_mov_b32_e32 v122, 22
	s_cbranch_scc1 .LBB54_464
; %bb.462:
	v_add_u32_e32 v123, 0x170, v124
	s_mov_b32 s16, 23
	v_mov_b32_e32 v122, 22
.LBB54_463:                             ; =>This Inner Loop Header: Depth=1
	ds_read2_b64 v[128:131], v123 offset1:1
	s_waitcnt lgkmcnt(1)
	v_xor_b32_e32 v133, 0x80000000, v113
	v_xor_b32_e32 v135, 0x80000000, v115
	v_cmp_gt_f64_e32 vcc, 0, v[114:115]
	v_cmp_gt_f64_e64 s[0:1], 0, v[112:113]
	v_mov_b32_e32 v132, v112
	v_mov_b32_e32 v134, v114
	v_cndmask_b32_e64 v133, v113, v133, s[0:1]
	v_cndmask_b32_e32 v135, v115, v135, vcc
	v_add_f64 v[132:133], v[132:133], v[134:135]
	s_waitcnt lgkmcnt(0)
	v_xor_b32_e32 v135, 0x80000000, v129
	v_xor_b32_e32 v137, 0x80000000, v131
	v_cmp_gt_f64_e32 vcc, 0, v[130:131]
	v_cmp_gt_f64_e64 s[0:1], 0, v[128:129]
	v_mov_b32_e32 v134, v128
	v_mov_b32_e32 v136, v130
	v_cndmask_b32_e64 v135, v129, v135, s[0:1]
	v_cndmask_b32_e32 v137, v131, v137, vcc
	v_add_f64 v[134:135], v[134:135], v[136:137]
	v_mov_b32_e32 v138, s16
	s_add_i32 s16, s16, 1
	v_cmp_lt_f64_e32 vcc, v[132:133], v[134:135]
	v_add_u32_e32 v123, 16, v123
	s_cmp_lg_u32 s20, s16
	v_cndmask_b32_e32 v113, v113, v129, vcc
	v_cndmask_b32_e32 v112, v112, v128, vcc
	v_cndmask_b32_e32 v115, v115, v131, vcc
	v_cndmask_b32_e32 v114, v114, v130, vcc
	v_cndmask_b32_e32 v122, v122, v138, vcc
	s_cbranch_scc1 .LBB54_463
.LBB54_464:
	s_waitcnt lgkmcnt(0)
	v_cmp_eq_f64_e32 vcc, 0, v[112:113]
	v_cmp_eq_f64_e64 s[0:1], 0, v[114:115]
	s_and_b64 s[0:1], vcc, s[0:1]
	s_and_saveexec_b64 s[16:17], s[0:1]
	s_xor_b64 s[0:1], exec, s[16:17]
; %bb.465:
	v_cmp_ne_u32_e32 vcc, 0, v126
	s_nop 1
	v_cndmask_b32_e32 v126, 23, v126, vcc
; %bb.466:
	s_andn2_saveexec_b64 s[0:1], s[0:1]
	s_cbranch_execz .LBB54_472
; %bb.467:
	v_cmp_ngt_f64_e64 s[16:17], |v[112:113]|, |v[114:115]|
	s_and_saveexec_b64 s[18:19], s[16:17]
	s_xor_b64 s[16:17], exec, s[18:19]
	s_cbranch_execz .LBB54_469
; %bb.468:
	v_div_scale_f64 v[128:129], s[18:19], v[114:115], v[114:115], v[112:113]
	v_rcp_f64_e32 v[130:131], v[128:129]
	v_div_scale_f64 v[132:133], vcc, v[112:113], v[114:115], v[112:113]
	v_fma_f64 v[134:135], -v[128:129], v[130:131], 1.0
	v_fmac_f64_e32 v[130:131], v[130:131], v[134:135]
	v_fma_f64 v[134:135], -v[128:129], v[130:131], 1.0
	v_fmac_f64_e32 v[130:131], v[130:131], v[134:135]
	v_mul_f64 v[134:135], v[132:133], v[130:131]
	v_fma_f64 v[128:129], -v[128:129], v[134:135], v[132:133]
	v_div_fmas_f64 v[128:129], v[128:129], v[130:131], v[134:135]
	v_div_fixup_f64 v[128:129], v[128:129], v[114:115], v[112:113]
	v_fmac_f64_e32 v[114:115], v[112:113], v[128:129]
	v_div_scale_f64 v[112:113], s[18:19], v[114:115], v[114:115], 1.0
	v_rcp_f64_e32 v[130:131], v[112:113]
	s_nop 0
	v_fma_f64 v[132:133], -v[112:113], v[130:131], 1.0
	v_fmac_f64_e32 v[130:131], v[130:131], v[132:133]
	v_fma_f64 v[132:133], -v[112:113], v[130:131], 1.0
	v_fmac_f64_e32 v[130:131], v[130:131], v[132:133]
	v_div_scale_f64 v[132:133], vcc, 1.0, v[114:115], 1.0
	v_mul_f64 v[134:135], v[132:133], v[130:131]
	v_fma_f64 v[112:113], -v[112:113], v[134:135], v[132:133]
	s_nop 1
	v_div_fmas_f64 v[112:113], v[112:113], v[130:131], v[134:135]
	v_div_fixup_f64 v[114:115], v[112:113], v[114:115], 1.0
	v_mul_f64 v[112:113], v[128:129], v[114:115]
	v_xor_b32_e32 v115, 0x80000000, v115
.LBB54_469:
	s_andn2_saveexec_b64 s[16:17], s[16:17]
	s_cbranch_execz .LBB54_471
; %bb.470:
	v_div_scale_f64 v[128:129], s[18:19], v[112:113], v[112:113], v[114:115]
	v_rcp_f64_e32 v[130:131], v[128:129]
	v_div_scale_f64 v[132:133], vcc, v[114:115], v[112:113], v[114:115]
	v_fma_f64 v[134:135], -v[128:129], v[130:131], 1.0
	v_fmac_f64_e32 v[130:131], v[130:131], v[134:135]
	v_fma_f64 v[134:135], -v[128:129], v[130:131], 1.0
	v_fmac_f64_e32 v[130:131], v[130:131], v[134:135]
	v_mul_f64 v[134:135], v[132:133], v[130:131]
	v_fma_f64 v[128:129], -v[128:129], v[134:135], v[132:133]
	v_div_fmas_f64 v[128:129], v[128:129], v[130:131], v[134:135]
	v_div_fixup_f64 v[128:129], v[128:129], v[112:113], v[114:115]
	v_fmac_f64_e32 v[112:113], v[114:115], v[128:129]
	v_div_scale_f64 v[114:115], s[18:19], v[112:113], v[112:113], 1.0
	v_rcp_f64_e32 v[130:131], v[114:115]
	s_nop 0
	v_fma_f64 v[132:133], -v[114:115], v[130:131], 1.0
	v_fmac_f64_e32 v[130:131], v[130:131], v[132:133]
	v_fma_f64 v[132:133], -v[114:115], v[130:131], 1.0
	v_fmac_f64_e32 v[130:131], v[130:131], v[132:133]
	v_div_scale_f64 v[132:133], vcc, 1.0, v[112:113], 1.0
	v_mul_f64 v[134:135], v[132:133], v[130:131]
	v_fma_f64 v[114:115], -v[114:115], v[134:135], v[132:133]
	s_nop 1
	v_div_fmas_f64 v[114:115], v[114:115], v[130:131], v[134:135]
	v_div_fixup_f64 v[112:113], v[114:115], v[112:113], 1.0
	v_mul_f64 v[114:115], v[128:129], -v[112:113]
.LBB54_471:
	s_or_b64 exec, exec, s[16:17]
.LBB54_472:
	s_or_b64 exec, exec, s[0:1]
	v_cmp_ne_u32_e32 vcc, v125, v122
	s_and_saveexec_b64 s[0:1], vcc
	s_xor_b64 s[0:1], exec, s[0:1]
	s_cbranch_execz .LBB54_478
; %bb.473:
	v_cmp_eq_u32_e32 vcc, 22, v125
	s_and_saveexec_b64 s[16:17], vcc
	s_cbranch_execz .LBB54_477
; %bb.474:
	v_cmp_ne_u32_e32 vcc, 22, v122
	s_xor_b64 s[18:19], s[14:15], -1
	s_and_b64 s[22:23], s[18:19], vcc
	s_and_saveexec_b64 s[18:19], s[22:23]
	s_cbranch_execz .LBB54_476
; %bb.475:
	v_ashrrev_i32_e32 v123, 31, v122
	v_lshl_add_u64 v[128:129], v[122:123], 2, v[120:121]
	global_load_dword v123, v[128:129], off
	global_load_dword v125, v[120:121], off offset:88
	s_waitcnt vmcnt(1)
	global_store_dword v[120:121], v123, off offset:88
	s_waitcnt vmcnt(1)
	global_store_dword v[128:129], v125, off
.LBB54_476:
	s_or_b64 exec, exec, s[18:19]
	v_mov_b32_e32 v125, v122
	v_mov_b32_e32 v127, v122
.LBB54_477:
	s_or_b64 exec, exec, s[16:17]
.LBB54_478:
	s_andn2_saveexec_b64 s[0:1], s[0:1]
	s_cbranch_execz .LBB54_480
; %bb.479:
	v_mov_b32_e32 v125, 22
	s_waitcnt vmcnt(4)
	ds_write2_b64 v124, v[12:13], v[14:15] offset0:46 offset1:47
	s_waitcnt vmcnt(3)
	ds_write2_b64 v124, v[8:9], v[10:11] offset0:48 offset1:49
	;; [unrolled: 2-line block ×5, first 2 shown]
.LBB54_480:
	s_or_b64 exec, exec, s[0:1]
	v_cmp_lt_i32_e32 vcc, 22, v125
	s_waitcnt lgkmcnt(0)
	s_barrier
	s_and_saveexec_b64 s[0:1], vcc
	s_cbranch_execz .LBB54_482
; %bb.481:
	ds_read2_b64 v[128:131], v124 offset0:46 offset1:47
	v_mul_f64 v[122:123], v[112:113], v[18:19]
	v_fmac_f64_e32 v[122:123], v[114:115], v[16:17]
	v_mul_f64 v[18:19], v[114:115], v[18:19]
	v_fma_f64 v[16:17], v[112:113], v[16:17], -v[18:19]
	ds_read2_b64 v[112:115], v124 offset0:48 offset1:49
	s_waitcnt lgkmcnt(1)
	v_mul_f64 v[18:19], v[130:131], v[122:123]
	v_fma_f64 v[18:19], v[128:129], v[16:17], -v[18:19]
	v_mul_f64 v[128:129], v[128:129], v[122:123]
	v_fmac_f64_e32 v[128:129], v[130:131], v[16:17]
	s_waitcnt vmcnt(4)
	v_add_f64 v[14:15], v[14:15], -v[128:129]
	ds_read2_b64 v[128:131], v124 offset0:50 offset1:51
	v_add_f64 v[12:13], v[12:13], -v[18:19]
	s_waitcnt lgkmcnt(1)
	v_mul_f64 v[18:19], v[114:115], v[122:123]
	v_fma_f64 v[18:19], v[112:113], v[16:17], -v[18:19]
	v_mul_f64 v[112:113], v[112:113], v[122:123]
	v_fmac_f64_e32 v[112:113], v[114:115], v[16:17]
	s_waitcnt vmcnt(3)
	v_add_f64 v[8:9], v[8:9], -v[18:19]
	v_add_f64 v[10:11], v[10:11], -v[112:113]
	ds_read2_b64 v[112:115], v124 offset0:52 offset1:53
	s_waitcnt lgkmcnt(1)
	v_mul_f64 v[18:19], v[130:131], v[122:123]
	v_fma_f64 v[18:19], v[128:129], v[16:17], -v[18:19]
	v_mul_f64 v[128:129], v[128:129], v[122:123]
	v_fmac_f64_e32 v[128:129], v[130:131], v[16:17]
	s_waitcnt vmcnt(2)
	v_add_f64 v[6:7], v[6:7], -v[128:129]
	ds_read2_b64 v[128:131], v124 offset0:54 offset1:55
	v_add_f64 v[4:5], v[4:5], -v[18:19]
	s_waitcnt lgkmcnt(1)
	v_mul_f64 v[18:19], v[114:115], v[122:123]
	v_fma_f64 v[18:19], v[112:113], v[16:17], -v[18:19]
	v_mul_f64 v[112:113], v[112:113], v[122:123]
	v_fmac_f64_e32 v[112:113], v[114:115], v[16:17]
	s_waitcnt vmcnt(1)
	v_add_f64 v[0:1], v[0:1], -v[18:19]
	v_add_f64 v[2:3], v[2:3], -v[112:113]
	s_waitcnt lgkmcnt(0)
	v_mul_f64 v[18:19], v[130:131], v[122:123]
	v_mul_f64 v[112:113], v[128:129], v[122:123]
	v_fma_f64 v[18:19], v[128:129], v[16:17], -v[18:19]
	v_fmac_f64_e32 v[112:113], v[130:131], v[16:17]
	s_waitcnt vmcnt(0)
	v_add_f64 v[108:109], v[108:109], -v[18:19]
	v_add_f64 v[110:111], v[110:111], -v[112:113]
	v_mov_b64_e32 v[18:19], v[122:123]
.LBB54_482:
	s_or_b64 exec, exec, s[0:1]
	v_lshl_add_u32 v112, v125, 4, v124
	s_barrier
	s_waitcnt vmcnt(4)
	ds_write2_b64 v112, v[12:13], v[14:15] offset1:1
	s_waitcnt lgkmcnt(0)
	s_barrier
	ds_read2_b64 v[112:115], v124 offset0:46 offset1:47
	s_cmp_lt_i32 s20, 25
	v_mov_b32_e32 v122, 23
	s_cbranch_scc1 .LBB54_485
; %bb.483:
	v_add_u32_e32 v123, 0x180, v124
	s_mov_b32 s16, 24
	v_mov_b32_e32 v122, 23
.LBB54_484:                             ; =>This Inner Loop Header: Depth=1
	ds_read2_b64 v[128:131], v123 offset1:1
	s_waitcnt lgkmcnt(1)
	v_xor_b32_e32 v133, 0x80000000, v113
	v_xor_b32_e32 v135, 0x80000000, v115
	v_cmp_gt_f64_e32 vcc, 0, v[114:115]
	v_cmp_gt_f64_e64 s[0:1], 0, v[112:113]
	v_mov_b32_e32 v132, v112
	v_mov_b32_e32 v134, v114
	v_cndmask_b32_e64 v133, v113, v133, s[0:1]
	v_cndmask_b32_e32 v135, v115, v135, vcc
	v_add_f64 v[132:133], v[132:133], v[134:135]
	s_waitcnt lgkmcnt(0)
	v_xor_b32_e32 v135, 0x80000000, v129
	v_xor_b32_e32 v137, 0x80000000, v131
	v_cmp_gt_f64_e32 vcc, 0, v[130:131]
	v_cmp_gt_f64_e64 s[0:1], 0, v[128:129]
	v_mov_b32_e32 v134, v128
	v_mov_b32_e32 v136, v130
	v_cndmask_b32_e64 v135, v129, v135, s[0:1]
	v_cndmask_b32_e32 v137, v131, v137, vcc
	v_add_f64 v[134:135], v[134:135], v[136:137]
	v_mov_b32_e32 v138, s16
	s_add_i32 s16, s16, 1
	v_cmp_lt_f64_e32 vcc, v[132:133], v[134:135]
	v_add_u32_e32 v123, 16, v123
	s_cmp_lg_u32 s20, s16
	v_cndmask_b32_e32 v113, v113, v129, vcc
	v_cndmask_b32_e32 v112, v112, v128, vcc
	;; [unrolled: 1-line block ×5, first 2 shown]
	s_cbranch_scc1 .LBB54_484
.LBB54_485:
	s_waitcnt lgkmcnt(0)
	v_cmp_eq_f64_e32 vcc, 0, v[112:113]
	v_cmp_eq_f64_e64 s[0:1], 0, v[114:115]
	s_and_b64 s[0:1], vcc, s[0:1]
	s_and_saveexec_b64 s[16:17], s[0:1]
	s_xor_b64 s[0:1], exec, s[16:17]
; %bb.486:
	v_cmp_ne_u32_e32 vcc, 0, v126
	s_nop 1
	v_cndmask_b32_e32 v126, 24, v126, vcc
; %bb.487:
	s_andn2_saveexec_b64 s[0:1], s[0:1]
	s_cbranch_execz .LBB54_493
; %bb.488:
	v_cmp_ngt_f64_e64 s[16:17], |v[112:113]|, |v[114:115]|
	s_and_saveexec_b64 s[18:19], s[16:17]
	s_xor_b64 s[16:17], exec, s[18:19]
	s_cbranch_execz .LBB54_490
; %bb.489:
	v_div_scale_f64 v[128:129], s[18:19], v[114:115], v[114:115], v[112:113]
	v_rcp_f64_e32 v[130:131], v[128:129]
	v_div_scale_f64 v[132:133], vcc, v[112:113], v[114:115], v[112:113]
	v_fma_f64 v[134:135], -v[128:129], v[130:131], 1.0
	v_fmac_f64_e32 v[130:131], v[130:131], v[134:135]
	v_fma_f64 v[134:135], -v[128:129], v[130:131], 1.0
	v_fmac_f64_e32 v[130:131], v[130:131], v[134:135]
	v_mul_f64 v[134:135], v[132:133], v[130:131]
	v_fma_f64 v[128:129], -v[128:129], v[134:135], v[132:133]
	v_div_fmas_f64 v[128:129], v[128:129], v[130:131], v[134:135]
	v_div_fixup_f64 v[128:129], v[128:129], v[114:115], v[112:113]
	v_fmac_f64_e32 v[114:115], v[112:113], v[128:129]
	v_div_scale_f64 v[112:113], s[18:19], v[114:115], v[114:115], 1.0
	v_rcp_f64_e32 v[130:131], v[112:113]
	s_nop 0
	v_fma_f64 v[132:133], -v[112:113], v[130:131], 1.0
	v_fmac_f64_e32 v[130:131], v[130:131], v[132:133]
	v_fma_f64 v[132:133], -v[112:113], v[130:131], 1.0
	v_fmac_f64_e32 v[130:131], v[130:131], v[132:133]
	v_div_scale_f64 v[132:133], vcc, 1.0, v[114:115], 1.0
	v_mul_f64 v[134:135], v[132:133], v[130:131]
	v_fma_f64 v[112:113], -v[112:113], v[134:135], v[132:133]
	s_nop 1
	v_div_fmas_f64 v[112:113], v[112:113], v[130:131], v[134:135]
	v_div_fixup_f64 v[114:115], v[112:113], v[114:115], 1.0
	v_mul_f64 v[112:113], v[128:129], v[114:115]
	v_xor_b32_e32 v115, 0x80000000, v115
.LBB54_490:
	s_andn2_saveexec_b64 s[16:17], s[16:17]
	s_cbranch_execz .LBB54_492
; %bb.491:
	v_div_scale_f64 v[128:129], s[18:19], v[112:113], v[112:113], v[114:115]
	v_rcp_f64_e32 v[130:131], v[128:129]
	v_div_scale_f64 v[132:133], vcc, v[114:115], v[112:113], v[114:115]
	v_fma_f64 v[134:135], -v[128:129], v[130:131], 1.0
	v_fmac_f64_e32 v[130:131], v[130:131], v[134:135]
	v_fma_f64 v[134:135], -v[128:129], v[130:131], 1.0
	v_fmac_f64_e32 v[130:131], v[130:131], v[134:135]
	v_mul_f64 v[134:135], v[132:133], v[130:131]
	v_fma_f64 v[128:129], -v[128:129], v[134:135], v[132:133]
	v_div_fmas_f64 v[128:129], v[128:129], v[130:131], v[134:135]
	v_div_fixup_f64 v[128:129], v[128:129], v[112:113], v[114:115]
	v_fmac_f64_e32 v[112:113], v[114:115], v[128:129]
	v_div_scale_f64 v[114:115], s[18:19], v[112:113], v[112:113], 1.0
	v_rcp_f64_e32 v[130:131], v[114:115]
	s_nop 0
	v_fma_f64 v[132:133], -v[114:115], v[130:131], 1.0
	v_fmac_f64_e32 v[130:131], v[130:131], v[132:133]
	v_fma_f64 v[132:133], -v[114:115], v[130:131], 1.0
	v_fmac_f64_e32 v[130:131], v[130:131], v[132:133]
	v_div_scale_f64 v[132:133], vcc, 1.0, v[112:113], 1.0
	v_mul_f64 v[134:135], v[132:133], v[130:131]
	v_fma_f64 v[114:115], -v[114:115], v[134:135], v[132:133]
	s_nop 1
	v_div_fmas_f64 v[114:115], v[114:115], v[130:131], v[134:135]
	v_div_fixup_f64 v[112:113], v[114:115], v[112:113], 1.0
	v_mul_f64 v[114:115], v[128:129], -v[112:113]
.LBB54_492:
	s_or_b64 exec, exec, s[16:17]
.LBB54_493:
	s_or_b64 exec, exec, s[0:1]
	v_cmp_ne_u32_e32 vcc, v125, v122
	s_and_saveexec_b64 s[0:1], vcc
	s_xor_b64 s[0:1], exec, s[0:1]
	s_cbranch_execz .LBB54_499
; %bb.494:
	v_cmp_eq_u32_e32 vcc, 23, v125
	s_and_saveexec_b64 s[16:17], vcc
	s_cbranch_execz .LBB54_498
; %bb.495:
	v_cmp_ne_u32_e32 vcc, 23, v122
	s_xor_b64 s[18:19], s[14:15], -1
	s_and_b64 s[22:23], s[18:19], vcc
	s_and_saveexec_b64 s[18:19], s[22:23]
	s_cbranch_execz .LBB54_497
; %bb.496:
	v_ashrrev_i32_e32 v123, 31, v122
	v_lshl_add_u64 v[128:129], v[122:123], 2, v[120:121]
	global_load_dword v123, v[128:129], off
	global_load_dword v125, v[120:121], off offset:92
	s_waitcnt vmcnt(1)
	global_store_dword v[120:121], v123, off offset:92
	s_waitcnt vmcnt(1)
	global_store_dword v[128:129], v125, off
.LBB54_497:
	s_or_b64 exec, exec, s[18:19]
	v_mov_b32_e32 v125, v122
	v_mov_b32_e32 v127, v122
.LBB54_498:
	s_or_b64 exec, exec, s[16:17]
.LBB54_499:
	s_andn2_saveexec_b64 s[0:1], s[0:1]
	s_cbranch_execz .LBB54_501
; %bb.500:
	v_mov_b32_e32 v125, 23
	s_waitcnt vmcnt(3)
	ds_write2_b64 v124, v[8:9], v[10:11] offset0:48 offset1:49
	s_waitcnt vmcnt(2)
	ds_write2_b64 v124, v[4:5], v[6:7] offset0:50 offset1:51
	;; [unrolled: 2-line block ×4, first 2 shown]
.LBB54_501:
	s_or_b64 exec, exec, s[0:1]
	v_cmp_lt_i32_e32 vcc, 23, v125
	s_waitcnt lgkmcnt(0)
	s_barrier
	s_and_saveexec_b64 s[0:1], vcc
	s_cbranch_execz .LBB54_503
; %bb.502:
	ds_read2_b64 v[128:131], v124 offset0:48 offset1:49
	v_mul_f64 v[122:123], v[112:113], v[14:15]
	v_mul_f64 v[14:15], v[114:115], v[14:15]
	v_fmac_f64_e32 v[122:123], v[114:115], v[12:13]
	v_fma_f64 v[12:13], v[112:113], v[12:13], -v[14:15]
	ds_read2_b64 v[112:115], v124 offset0:50 offset1:51
	s_waitcnt lgkmcnt(1)
	v_mul_f64 v[14:15], v[130:131], v[122:123]
	v_fma_f64 v[14:15], v[128:129], v[12:13], -v[14:15]
	v_mul_f64 v[128:129], v[128:129], v[122:123]
	v_fmac_f64_e32 v[128:129], v[130:131], v[12:13]
	s_waitcnt vmcnt(3)
	v_add_f64 v[8:9], v[8:9], -v[14:15]
	s_waitcnt lgkmcnt(0)
	v_mul_f64 v[14:15], v[114:115], v[122:123]
	v_add_f64 v[10:11], v[10:11], -v[128:129]
	v_fma_f64 v[14:15], v[112:113], v[12:13], -v[14:15]
	v_mul_f64 v[112:113], v[112:113], v[122:123]
	ds_read2_b64 v[128:131], v124 offset0:52 offset1:53
	v_fmac_f64_e32 v[112:113], v[114:115], v[12:13]
	s_waitcnt vmcnt(2)
	v_add_f64 v[6:7], v[6:7], -v[112:113]
	ds_read2_b64 v[112:115], v124 offset0:54 offset1:55
	v_add_f64 v[4:5], v[4:5], -v[14:15]
	s_waitcnt lgkmcnt(1)
	v_mul_f64 v[14:15], v[130:131], v[122:123]
	v_fma_f64 v[14:15], v[128:129], v[12:13], -v[14:15]
	s_waitcnt vmcnt(1)
	v_add_f64 v[0:1], v[0:1], -v[14:15]
	s_waitcnt lgkmcnt(0)
	v_mul_f64 v[14:15], v[114:115], v[122:123]
	v_mul_f64 v[128:129], v[128:129], v[122:123]
	v_fma_f64 v[14:15], v[112:113], v[12:13], -v[14:15]
	v_mul_f64 v[112:113], v[112:113], v[122:123]
	v_fmac_f64_e32 v[128:129], v[130:131], v[12:13]
	v_fmac_f64_e32 v[112:113], v[114:115], v[12:13]
	v_add_f64 v[2:3], v[2:3], -v[128:129]
	s_waitcnt vmcnt(0)
	v_add_f64 v[108:109], v[108:109], -v[14:15]
	v_add_f64 v[110:111], v[110:111], -v[112:113]
	v_mov_b64_e32 v[14:15], v[122:123]
.LBB54_503:
	s_or_b64 exec, exec, s[0:1]
	v_lshl_add_u32 v112, v125, 4, v124
	s_barrier
	s_waitcnt vmcnt(3)
	ds_write2_b64 v112, v[8:9], v[10:11] offset1:1
	s_waitcnt lgkmcnt(0)
	s_barrier
	ds_read2_b64 v[112:115], v124 offset0:48 offset1:49
	s_cmp_lt_i32 s20, 26
	v_mov_b32_e32 v122, 24
	s_cbranch_scc1 .LBB54_506
; %bb.504:
	v_add_u32_e32 v123, 0x190, v124
	s_mov_b32 s16, 25
	v_mov_b32_e32 v122, 24
.LBB54_505:                             ; =>This Inner Loop Header: Depth=1
	ds_read2_b64 v[128:131], v123 offset1:1
	s_waitcnt lgkmcnt(1)
	v_xor_b32_e32 v133, 0x80000000, v113
	v_xor_b32_e32 v135, 0x80000000, v115
	v_cmp_gt_f64_e32 vcc, 0, v[114:115]
	v_cmp_gt_f64_e64 s[0:1], 0, v[112:113]
	v_mov_b32_e32 v132, v112
	v_mov_b32_e32 v134, v114
	v_cndmask_b32_e64 v133, v113, v133, s[0:1]
	v_cndmask_b32_e32 v135, v115, v135, vcc
	v_add_f64 v[132:133], v[132:133], v[134:135]
	s_waitcnt lgkmcnt(0)
	v_xor_b32_e32 v135, 0x80000000, v129
	v_xor_b32_e32 v137, 0x80000000, v131
	v_cmp_gt_f64_e32 vcc, 0, v[130:131]
	v_cmp_gt_f64_e64 s[0:1], 0, v[128:129]
	v_mov_b32_e32 v134, v128
	v_mov_b32_e32 v136, v130
	v_cndmask_b32_e64 v135, v129, v135, s[0:1]
	v_cndmask_b32_e32 v137, v131, v137, vcc
	v_add_f64 v[134:135], v[134:135], v[136:137]
	v_mov_b32_e32 v138, s16
	s_add_i32 s16, s16, 1
	v_cmp_lt_f64_e32 vcc, v[132:133], v[134:135]
	v_add_u32_e32 v123, 16, v123
	s_cmp_lg_u32 s20, s16
	v_cndmask_b32_e32 v113, v113, v129, vcc
	v_cndmask_b32_e32 v112, v112, v128, vcc
	;; [unrolled: 1-line block ×5, first 2 shown]
	s_cbranch_scc1 .LBB54_505
.LBB54_506:
	s_waitcnt lgkmcnt(0)
	v_cmp_eq_f64_e32 vcc, 0, v[112:113]
	v_cmp_eq_f64_e64 s[0:1], 0, v[114:115]
	s_and_b64 s[0:1], vcc, s[0:1]
	s_and_saveexec_b64 s[16:17], s[0:1]
	s_xor_b64 s[0:1], exec, s[16:17]
; %bb.507:
	v_cmp_ne_u32_e32 vcc, 0, v126
	s_nop 1
	v_cndmask_b32_e32 v126, 25, v126, vcc
; %bb.508:
	s_andn2_saveexec_b64 s[0:1], s[0:1]
	s_cbranch_execz .LBB54_514
; %bb.509:
	v_cmp_ngt_f64_e64 s[16:17], |v[112:113]|, |v[114:115]|
	s_and_saveexec_b64 s[18:19], s[16:17]
	s_xor_b64 s[16:17], exec, s[18:19]
	s_cbranch_execz .LBB54_511
; %bb.510:
	v_div_scale_f64 v[128:129], s[18:19], v[114:115], v[114:115], v[112:113]
	v_rcp_f64_e32 v[130:131], v[128:129]
	v_div_scale_f64 v[132:133], vcc, v[112:113], v[114:115], v[112:113]
	v_fma_f64 v[134:135], -v[128:129], v[130:131], 1.0
	v_fmac_f64_e32 v[130:131], v[130:131], v[134:135]
	v_fma_f64 v[134:135], -v[128:129], v[130:131], 1.0
	v_fmac_f64_e32 v[130:131], v[130:131], v[134:135]
	v_mul_f64 v[134:135], v[132:133], v[130:131]
	v_fma_f64 v[128:129], -v[128:129], v[134:135], v[132:133]
	v_div_fmas_f64 v[128:129], v[128:129], v[130:131], v[134:135]
	v_div_fixup_f64 v[128:129], v[128:129], v[114:115], v[112:113]
	v_fmac_f64_e32 v[114:115], v[112:113], v[128:129]
	v_div_scale_f64 v[112:113], s[18:19], v[114:115], v[114:115], 1.0
	v_rcp_f64_e32 v[130:131], v[112:113]
	s_nop 0
	v_fma_f64 v[132:133], -v[112:113], v[130:131], 1.0
	v_fmac_f64_e32 v[130:131], v[130:131], v[132:133]
	v_fma_f64 v[132:133], -v[112:113], v[130:131], 1.0
	v_fmac_f64_e32 v[130:131], v[130:131], v[132:133]
	v_div_scale_f64 v[132:133], vcc, 1.0, v[114:115], 1.0
	v_mul_f64 v[134:135], v[132:133], v[130:131]
	v_fma_f64 v[112:113], -v[112:113], v[134:135], v[132:133]
	s_nop 1
	v_div_fmas_f64 v[112:113], v[112:113], v[130:131], v[134:135]
	v_div_fixup_f64 v[114:115], v[112:113], v[114:115], 1.0
	v_mul_f64 v[112:113], v[128:129], v[114:115]
	v_xor_b32_e32 v115, 0x80000000, v115
.LBB54_511:
	s_andn2_saveexec_b64 s[16:17], s[16:17]
	s_cbranch_execz .LBB54_513
; %bb.512:
	v_div_scale_f64 v[128:129], s[18:19], v[112:113], v[112:113], v[114:115]
	v_rcp_f64_e32 v[130:131], v[128:129]
	v_div_scale_f64 v[132:133], vcc, v[114:115], v[112:113], v[114:115]
	v_fma_f64 v[134:135], -v[128:129], v[130:131], 1.0
	v_fmac_f64_e32 v[130:131], v[130:131], v[134:135]
	v_fma_f64 v[134:135], -v[128:129], v[130:131], 1.0
	v_fmac_f64_e32 v[130:131], v[130:131], v[134:135]
	v_mul_f64 v[134:135], v[132:133], v[130:131]
	v_fma_f64 v[128:129], -v[128:129], v[134:135], v[132:133]
	v_div_fmas_f64 v[128:129], v[128:129], v[130:131], v[134:135]
	v_div_fixup_f64 v[128:129], v[128:129], v[112:113], v[114:115]
	v_fmac_f64_e32 v[112:113], v[114:115], v[128:129]
	v_div_scale_f64 v[114:115], s[18:19], v[112:113], v[112:113], 1.0
	v_rcp_f64_e32 v[130:131], v[114:115]
	s_nop 0
	v_fma_f64 v[132:133], -v[114:115], v[130:131], 1.0
	v_fmac_f64_e32 v[130:131], v[130:131], v[132:133]
	v_fma_f64 v[132:133], -v[114:115], v[130:131], 1.0
	v_fmac_f64_e32 v[130:131], v[130:131], v[132:133]
	v_div_scale_f64 v[132:133], vcc, 1.0, v[112:113], 1.0
	v_mul_f64 v[134:135], v[132:133], v[130:131]
	v_fma_f64 v[114:115], -v[114:115], v[134:135], v[132:133]
	s_nop 1
	v_div_fmas_f64 v[114:115], v[114:115], v[130:131], v[134:135]
	v_div_fixup_f64 v[112:113], v[114:115], v[112:113], 1.0
	v_mul_f64 v[114:115], v[128:129], -v[112:113]
.LBB54_513:
	s_or_b64 exec, exec, s[16:17]
.LBB54_514:
	s_or_b64 exec, exec, s[0:1]
	v_cmp_ne_u32_e32 vcc, v125, v122
	s_and_saveexec_b64 s[0:1], vcc
	s_xor_b64 s[0:1], exec, s[0:1]
	s_cbranch_execz .LBB54_520
; %bb.515:
	v_cmp_eq_u32_e32 vcc, 24, v125
	s_and_saveexec_b64 s[16:17], vcc
	s_cbranch_execz .LBB54_519
; %bb.516:
	v_cmp_ne_u32_e32 vcc, 24, v122
	s_xor_b64 s[18:19], s[14:15], -1
	s_and_b64 s[22:23], s[18:19], vcc
	s_and_saveexec_b64 s[18:19], s[22:23]
	s_cbranch_execz .LBB54_518
; %bb.517:
	v_ashrrev_i32_e32 v123, 31, v122
	v_lshl_add_u64 v[128:129], v[122:123], 2, v[120:121]
	global_load_dword v123, v[128:129], off
	global_load_dword v125, v[120:121], off offset:96
	s_waitcnt vmcnt(1)
	global_store_dword v[120:121], v123, off offset:96
	s_waitcnt vmcnt(1)
	global_store_dword v[128:129], v125, off
.LBB54_518:
	s_or_b64 exec, exec, s[18:19]
	v_mov_b32_e32 v125, v122
	v_mov_b32_e32 v127, v122
.LBB54_519:
	s_or_b64 exec, exec, s[16:17]
.LBB54_520:
	s_andn2_saveexec_b64 s[0:1], s[0:1]
	s_cbranch_execz .LBB54_522
; %bb.521:
	v_mov_b32_e32 v125, 24
	s_waitcnt vmcnt(2)
	ds_write2_b64 v124, v[4:5], v[6:7] offset0:50 offset1:51
	s_waitcnt vmcnt(1)
	ds_write2_b64 v124, v[0:1], v[2:3] offset0:52 offset1:53
	;; [unrolled: 2-line block ×3, first 2 shown]
.LBB54_522:
	s_or_b64 exec, exec, s[0:1]
	v_cmp_lt_i32_e32 vcc, 24, v125
	s_waitcnt lgkmcnt(0)
	s_barrier
	s_and_saveexec_b64 s[0:1], vcc
	s_cbranch_execz .LBB54_524
; %bb.523:
	ds_read2_b64 v[128:131], v124 offset0:50 offset1:51
	v_mul_f64 v[122:123], v[112:113], v[10:11]
	v_fmac_f64_e32 v[122:123], v[114:115], v[8:9]
	v_mul_f64 v[10:11], v[114:115], v[10:11]
	v_fma_f64 v[8:9], v[112:113], v[8:9], -v[10:11]
	ds_read2_b64 v[112:115], v124 offset0:52 offset1:53
	s_waitcnt lgkmcnt(1)
	v_mul_f64 v[10:11], v[130:131], v[122:123]
	v_fma_f64 v[10:11], v[128:129], v[8:9], -v[10:11]
	v_mul_f64 v[128:129], v[128:129], v[122:123]
	v_fmac_f64_e32 v[128:129], v[130:131], v[8:9]
	s_waitcnt vmcnt(2)
	v_add_f64 v[6:7], v[6:7], -v[128:129]
	ds_read2_b64 v[128:131], v124 offset0:54 offset1:55
	v_add_f64 v[4:5], v[4:5], -v[10:11]
	s_waitcnt lgkmcnt(1)
	v_mul_f64 v[10:11], v[114:115], v[122:123]
	v_fma_f64 v[10:11], v[112:113], v[8:9], -v[10:11]
	v_mul_f64 v[112:113], v[112:113], v[122:123]
	v_fmac_f64_e32 v[112:113], v[114:115], v[8:9]
	s_waitcnt vmcnt(1)
	v_add_f64 v[0:1], v[0:1], -v[10:11]
	v_add_f64 v[2:3], v[2:3], -v[112:113]
	s_waitcnt lgkmcnt(0)
	v_mul_f64 v[10:11], v[130:131], v[122:123]
	v_mul_f64 v[112:113], v[128:129], v[122:123]
	v_fma_f64 v[10:11], v[128:129], v[8:9], -v[10:11]
	v_fmac_f64_e32 v[112:113], v[130:131], v[8:9]
	s_waitcnt vmcnt(0)
	v_add_f64 v[108:109], v[108:109], -v[10:11]
	v_add_f64 v[110:111], v[110:111], -v[112:113]
	v_mov_b64_e32 v[10:11], v[122:123]
.LBB54_524:
	s_or_b64 exec, exec, s[0:1]
	v_lshl_add_u32 v112, v125, 4, v124
	s_barrier
	s_waitcnt vmcnt(2)
	ds_write2_b64 v112, v[4:5], v[6:7] offset1:1
	s_waitcnt lgkmcnt(0)
	s_barrier
	ds_read2_b64 v[112:115], v124 offset0:50 offset1:51
	s_cmp_lt_i32 s20, 27
	v_mov_b32_e32 v122, 25
	s_cbranch_scc1 .LBB54_527
; %bb.525:
	v_add_u32_e32 v123, 0x1a0, v124
	s_mov_b32 s16, 26
	v_mov_b32_e32 v122, 25
.LBB54_526:                             ; =>This Inner Loop Header: Depth=1
	ds_read2_b64 v[128:131], v123 offset1:1
	s_waitcnt lgkmcnt(1)
	v_xor_b32_e32 v133, 0x80000000, v113
	v_xor_b32_e32 v135, 0x80000000, v115
	v_cmp_gt_f64_e32 vcc, 0, v[114:115]
	v_cmp_gt_f64_e64 s[0:1], 0, v[112:113]
	v_mov_b32_e32 v132, v112
	v_mov_b32_e32 v134, v114
	v_cndmask_b32_e64 v133, v113, v133, s[0:1]
	v_cndmask_b32_e32 v135, v115, v135, vcc
	v_add_f64 v[132:133], v[132:133], v[134:135]
	s_waitcnt lgkmcnt(0)
	v_xor_b32_e32 v135, 0x80000000, v129
	v_xor_b32_e32 v137, 0x80000000, v131
	v_cmp_gt_f64_e32 vcc, 0, v[130:131]
	v_cmp_gt_f64_e64 s[0:1], 0, v[128:129]
	v_mov_b32_e32 v134, v128
	v_mov_b32_e32 v136, v130
	v_cndmask_b32_e64 v135, v129, v135, s[0:1]
	v_cndmask_b32_e32 v137, v131, v137, vcc
	v_add_f64 v[134:135], v[134:135], v[136:137]
	v_mov_b32_e32 v138, s16
	s_add_i32 s16, s16, 1
	v_cmp_lt_f64_e32 vcc, v[132:133], v[134:135]
	v_add_u32_e32 v123, 16, v123
	s_cmp_lg_u32 s20, s16
	v_cndmask_b32_e32 v113, v113, v129, vcc
	v_cndmask_b32_e32 v112, v112, v128, vcc
	;; [unrolled: 1-line block ×5, first 2 shown]
	s_cbranch_scc1 .LBB54_526
.LBB54_527:
	s_waitcnt lgkmcnt(0)
	v_cmp_eq_f64_e32 vcc, 0, v[112:113]
	v_cmp_eq_f64_e64 s[0:1], 0, v[114:115]
	s_and_b64 s[0:1], vcc, s[0:1]
	s_and_saveexec_b64 s[16:17], s[0:1]
	s_xor_b64 s[0:1], exec, s[16:17]
; %bb.528:
	v_cmp_ne_u32_e32 vcc, 0, v126
	s_nop 1
	v_cndmask_b32_e32 v126, 26, v126, vcc
; %bb.529:
	s_andn2_saveexec_b64 s[0:1], s[0:1]
	s_cbranch_execz .LBB54_535
; %bb.530:
	v_cmp_ngt_f64_e64 s[16:17], |v[112:113]|, |v[114:115]|
	s_and_saveexec_b64 s[18:19], s[16:17]
	s_xor_b64 s[16:17], exec, s[18:19]
	s_cbranch_execz .LBB54_532
; %bb.531:
	v_div_scale_f64 v[128:129], s[18:19], v[114:115], v[114:115], v[112:113]
	v_rcp_f64_e32 v[130:131], v[128:129]
	v_div_scale_f64 v[132:133], vcc, v[112:113], v[114:115], v[112:113]
	v_fma_f64 v[134:135], -v[128:129], v[130:131], 1.0
	v_fmac_f64_e32 v[130:131], v[130:131], v[134:135]
	v_fma_f64 v[134:135], -v[128:129], v[130:131], 1.0
	v_fmac_f64_e32 v[130:131], v[130:131], v[134:135]
	v_mul_f64 v[134:135], v[132:133], v[130:131]
	v_fma_f64 v[128:129], -v[128:129], v[134:135], v[132:133]
	v_div_fmas_f64 v[128:129], v[128:129], v[130:131], v[134:135]
	v_div_fixup_f64 v[128:129], v[128:129], v[114:115], v[112:113]
	v_fmac_f64_e32 v[114:115], v[112:113], v[128:129]
	v_div_scale_f64 v[112:113], s[18:19], v[114:115], v[114:115], 1.0
	v_rcp_f64_e32 v[130:131], v[112:113]
	s_nop 0
	v_fma_f64 v[132:133], -v[112:113], v[130:131], 1.0
	v_fmac_f64_e32 v[130:131], v[130:131], v[132:133]
	v_fma_f64 v[132:133], -v[112:113], v[130:131], 1.0
	v_fmac_f64_e32 v[130:131], v[130:131], v[132:133]
	v_div_scale_f64 v[132:133], vcc, 1.0, v[114:115], 1.0
	v_mul_f64 v[134:135], v[132:133], v[130:131]
	v_fma_f64 v[112:113], -v[112:113], v[134:135], v[132:133]
	s_nop 1
	v_div_fmas_f64 v[112:113], v[112:113], v[130:131], v[134:135]
	v_div_fixup_f64 v[114:115], v[112:113], v[114:115], 1.0
	v_mul_f64 v[112:113], v[128:129], v[114:115]
	v_xor_b32_e32 v115, 0x80000000, v115
.LBB54_532:
	s_andn2_saveexec_b64 s[16:17], s[16:17]
	s_cbranch_execz .LBB54_534
; %bb.533:
	v_div_scale_f64 v[128:129], s[18:19], v[112:113], v[112:113], v[114:115]
	v_rcp_f64_e32 v[130:131], v[128:129]
	v_div_scale_f64 v[132:133], vcc, v[114:115], v[112:113], v[114:115]
	v_fma_f64 v[134:135], -v[128:129], v[130:131], 1.0
	v_fmac_f64_e32 v[130:131], v[130:131], v[134:135]
	v_fma_f64 v[134:135], -v[128:129], v[130:131], 1.0
	v_fmac_f64_e32 v[130:131], v[130:131], v[134:135]
	v_mul_f64 v[134:135], v[132:133], v[130:131]
	v_fma_f64 v[128:129], -v[128:129], v[134:135], v[132:133]
	v_div_fmas_f64 v[128:129], v[128:129], v[130:131], v[134:135]
	v_div_fixup_f64 v[128:129], v[128:129], v[112:113], v[114:115]
	v_fmac_f64_e32 v[112:113], v[114:115], v[128:129]
	v_div_scale_f64 v[114:115], s[18:19], v[112:113], v[112:113], 1.0
	v_rcp_f64_e32 v[130:131], v[114:115]
	s_nop 0
	v_fma_f64 v[132:133], -v[114:115], v[130:131], 1.0
	v_fmac_f64_e32 v[130:131], v[130:131], v[132:133]
	v_fma_f64 v[132:133], -v[114:115], v[130:131], 1.0
	v_fmac_f64_e32 v[130:131], v[130:131], v[132:133]
	v_div_scale_f64 v[132:133], vcc, 1.0, v[112:113], 1.0
	v_mul_f64 v[134:135], v[132:133], v[130:131]
	v_fma_f64 v[114:115], -v[114:115], v[134:135], v[132:133]
	s_nop 1
	v_div_fmas_f64 v[114:115], v[114:115], v[130:131], v[134:135]
	v_div_fixup_f64 v[112:113], v[114:115], v[112:113], 1.0
	v_mul_f64 v[114:115], v[128:129], -v[112:113]
.LBB54_534:
	s_or_b64 exec, exec, s[16:17]
.LBB54_535:
	s_or_b64 exec, exec, s[0:1]
	v_cmp_ne_u32_e32 vcc, v125, v122
	s_and_saveexec_b64 s[0:1], vcc
	s_xor_b64 s[0:1], exec, s[0:1]
	s_cbranch_execz .LBB54_541
; %bb.536:
	v_cmp_eq_u32_e32 vcc, 25, v125
	s_and_saveexec_b64 s[16:17], vcc
	s_cbranch_execz .LBB54_540
; %bb.537:
	v_cmp_ne_u32_e32 vcc, 25, v122
	s_xor_b64 s[18:19], s[14:15], -1
	s_and_b64 s[22:23], s[18:19], vcc
	s_and_saveexec_b64 s[18:19], s[22:23]
	s_cbranch_execz .LBB54_539
; %bb.538:
	v_ashrrev_i32_e32 v123, 31, v122
	v_lshl_add_u64 v[128:129], v[122:123], 2, v[120:121]
	global_load_dword v123, v[128:129], off
	global_load_dword v125, v[120:121], off offset:100
	s_waitcnt vmcnt(1)
	global_store_dword v[120:121], v123, off offset:100
	s_waitcnt vmcnt(1)
	global_store_dword v[128:129], v125, off
.LBB54_539:
	s_or_b64 exec, exec, s[18:19]
	v_mov_b32_e32 v125, v122
	v_mov_b32_e32 v127, v122
.LBB54_540:
	s_or_b64 exec, exec, s[16:17]
.LBB54_541:
	s_andn2_saveexec_b64 s[0:1], s[0:1]
	s_cbranch_execz .LBB54_543
; %bb.542:
	v_mov_b32_e32 v125, 25
	s_waitcnt vmcnt(1)
	ds_write2_b64 v124, v[0:1], v[2:3] offset0:52 offset1:53
	s_waitcnt vmcnt(0)
	ds_write2_b64 v124, v[108:109], v[110:111] offset0:54 offset1:55
.LBB54_543:
	s_or_b64 exec, exec, s[0:1]
	v_cmp_lt_i32_e32 vcc, 25, v125
	s_waitcnt lgkmcnt(0)
	s_barrier
	s_and_saveexec_b64 s[0:1], vcc
	s_cbranch_execz .LBB54_545
; %bb.544:
	ds_read2_b64 v[128:131], v124 offset0:52 offset1:53
	v_mul_f64 v[122:123], v[112:113], v[6:7]
	v_mul_f64 v[6:7], v[114:115], v[6:7]
	v_fmac_f64_e32 v[122:123], v[114:115], v[4:5]
	v_fma_f64 v[4:5], v[112:113], v[4:5], -v[6:7]
	ds_read2_b64 v[112:115], v124 offset0:54 offset1:55
	s_waitcnt lgkmcnt(1)
	v_mul_f64 v[6:7], v[130:131], v[122:123]
	v_fma_f64 v[6:7], v[128:129], v[4:5], -v[6:7]
	s_waitcnt vmcnt(1)
	v_add_f64 v[0:1], v[0:1], -v[6:7]
	v_mul_f64 v[128:129], v[128:129], v[122:123]
	s_waitcnt lgkmcnt(0)
	v_mul_f64 v[6:7], v[114:115], v[122:123]
	v_fma_f64 v[6:7], v[112:113], v[4:5], -v[6:7]
	v_mul_f64 v[112:113], v[112:113], v[122:123]
	v_fmac_f64_e32 v[128:129], v[130:131], v[4:5]
	v_fmac_f64_e32 v[112:113], v[114:115], v[4:5]
	v_add_f64 v[2:3], v[2:3], -v[128:129]
	s_waitcnt vmcnt(0)
	v_add_f64 v[108:109], v[108:109], -v[6:7]
	v_add_f64 v[110:111], v[110:111], -v[112:113]
	v_mov_b64_e32 v[6:7], v[122:123]
.LBB54_545:
	s_or_b64 exec, exec, s[0:1]
	v_lshl_add_u32 v112, v125, 4, v124
	s_barrier
	s_waitcnt vmcnt(1)
	ds_write2_b64 v112, v[0:1], v[2:3] offset1:1
	s_waitcnt lgkmcnt(0)
	s_barrier
	ds_read2_b64 v[112:115], v124 offset0:52 offset1:53
	s_cmp_lt_i32 s20, 28
	v_mov_b32_e32 v122, 26
	s_cbranch_scc1 .LBB54_548
; %bb.546:
	v_add_u32_e32 v123, 0x1b0, v124
	s_mov_b32 s16, 27
	v_mov_b32_e32 v122, 26
.LBB54_547:                             ; =>This Inner Loop Header: Depth=1
	ds_read2_b64 v[128:131], v123 offset1:1
	s_waitcnt lgkmcnt(1)
	v_xor_b32_e32 v133, 0x80000000, v113
	v_xor_b32_e32 v135, 0x80000000, v115
	v_cmp_gt_f64_e32 vcc, 0, v[114:115]
	v_cmp_gt_f64_e64 s[0:1], 0, v[112:113]
	v_mov_b32_e32 v132, v112
	v_mov_b32_e32 v134, v114
	v_cndmask_b32_e64 v133, v113, v133, s[0:1]
	v_cndmask_b32_e32 v135, v115, v135, vcc
	v_add_f64 v[132:133], v[132:133], v[134:135]
	s_waitcnt lgkmcnt(0)
	v_xor_b32_e32 v135, 0x80000000, v129
	v_xor_b32_e32 v137, 0x80000000, v131
	v_cmp_gt_f64_e32 vcc, 0, v[130:131]
	v_cmp_gt_f64_e64 s[0:1], 0, v[128:129]
	v_mov_b32_e32 v134, v128
	v_mov_b32_e32 v136, v130
	v_cndmask_b32_e64 v135, v129, v135, s[0:1]
	v_cndmask_b32_e32 v137, v131, v137, vcc
	v_add_f64 v[134:135], v[134:135], v[136:137]
	v_mov_b32_e32 v138, s16
	s_add_i32 s16, s16, 1
	v_cmp_lt_f64_e32 vcc, v[132:133], v[134:135]
	v_add_u32_e32 v123, 16, v123
	s_cmp_lg_u32 s20, s16
	v_cndmask_b32_e32 v113, v113, v129, vcc
	v_cndmask_b32_e32 v112, v112, v128, vcc
	v_cndmask_b32_e32 v115, v115, v131, vcc
	v_cndmask_b32_e32 v114, v114, v130, vcc
	v_cndmask_b32_e32 v122, v122, v138, vcc
	s_cbranch_scc1 .LBB54_547
.LBB54_548:
	s_waitcnt lgkmcnt(0)
	v_cmp_eq_f64_e32 vcc, 0, v[112:113]
	v_cmp_eq_f64_e64 s[0:1], 0, v[114:115]
	s_and_b64 s[0:1], vcc, s[0:1]
	s_and_saveexec_b64 s[16:17], s[0:1]
	s_xor_b64 s[0:1], exec, s[16:17]
; %bb.549:
	v_cmp_ne_u32_e32 vcc, 0, v126
	s_nop 1
	v_cndmask_b32_e32 v126, 27, v126, vcc
; %bb.550:
	s_andn2_saveexec_b64 s[0:1], s[0:1]
	s_cbranch_execz .LBB54_556
; %bb.551:
	v_cmp_ngt_f64_e64 s[16:17], |v[112:113]|, |v[114:115]|
	s_and_saveexec_b64 s[18:19], s[16:17]
	s_xor_b64 s[16:17], exec, s[18:19]
	s_cbranch_execz .LBB54_553
; %bb.552:
	v_div_scale_f64 v[128:129], s[18:19], v[114:115], v[114:115], v[112:113]
	v_rcp_f64_e32 v[130:131], v[128:129]
	v_div_scale_f64 v[132:133], vcc, v[112:113], v[114:115], v[112:113]
	v_fma_f64 v[134:135], -v[128:129], v[130:131], 1.0
	v_fmac_f64_e32 v[130:131], v[130:131], v[134:135]
	v_fma_f64 v[134:135], -v[128:129], v[130:131], 1.0
	v_fmac_f64_e32 v[130:131], v[130:131], v[134:135]
	v_mul_f64 v[134:135], v[132:133], v[130:131]
	v_fma_f64 v[128:129], -v[128:129], v[134:135], v[132:133]
	v_div_fmas_f64 v[128:129], v[128:129], v[130:131], v[134:135]
	v_div_fixup_f64 v[128:129], v[128:129], v[114:115], v[112:113]
	v_fmac_f64_e32 v[114:115], v[112:113], v[128:129]
	v_div_scale_f64 v[112:113], s[18:19], v[114:115], v[114:115], 1.0
	v_rcp_f64_e32 v[130:131], v[112:113]
	s_nop 0
	v_fma_f64 v[132:133], -v[112:113], v[130:131], 1.0
	v_fmac_f64_e32 v[130:131], v[130:131], v[132:133]
	v_fma_f64 v[132:133], -v[112:113], v[130:131], 1.0
	v_fmac_f64_e32 v[130:131], v[130:131], v[132:133]
	v_div_scale_f64 v[132:133], vcc, 1.0, v[114:115], 1.0
	v_mul_f64 v[134:135], v[132:133], v[130:131]
	v_fma_f64 v[112:113], -v[112:113], v[134:135], v[132:133]
	s_nop 1
	v_div_fmas_f64 v[112:113], v[112:113], v[130:131], v[134:135]
	v_div_fixup_f64 v[114:115], v[112:113], v[114:115], 1.0
	v_mul_f64 v[112:113], v[128:129], v[114:115]
	v_xor_b32_e32 v115, 0x80000000, v115
.LBB54_553:
	s_andn2_saveexec_b64 s[16:17], s[16:17]
	s_cbranch_execz .LBB54_555
; %bb.554:
	v_div_scale_f64 v[128:129], s[18:19], v[112:113], v[112:113], v[114:115]
	v_rcp_f64_e32 v[130:131], v[128:129]
	v_div_scale_f64 v[132:133], vcc, v[114:115], v[112:113], v[114:115]
	v_fma_f64 v[134:135], -v[128:129], v[130:131], 1.0
	v_fmac_f64_e32 v[130:131], v[130:131], v[134:135]
	v_fma_f64 v[134:135], -v[128:129], v[130:131], 1.0
	v_fmac_f64_e32 v[130:131], v[130:131], v[134:135]
	v_mul_f64 v[134:135], v[132:133], v[130:131]
	v_fma_f64 v[128:129], -v[128:129], v[134:135], v[132:133]
	v_div_fmas_f64 v[128:129], v[128:129], v[130:131], v[134:135]
	v_div_fixup_f64 v[128:129], v[128:129], v[112:113], v[114:115]
	v_fmac_f64_e32 v[112:113], v[114:115], v[128:129]
	v_div_scale_f64 v[114:115], s[18:19], v[112:113], v[112:113], 1.0
	v_rcp_f64_e32 v[130:131], v[114:115]
	s_nop 0
	v_fma_f64 v[132:133], -v[114:115], v[130:131], 1.0
	v_fmac_f64_e32 v[130:131], v[130:131], v[132:133]
	v_fma_f64 v[132:133], -v[114:115], v[130:131], 1.0
	v_fmac_f64_e32 v[130:131], v[130:131], v[132:133]
	v_div_scale_f64 v[132:133], vcc, 1.0, v[112:113], 1.0
	v_mul_f64 v[134:135], v[132:133], v[130:131]
	v_fma_f64 v[114:115], -v[114:115], v[134:135], v[132:133]
	s_nop 1
	v_div_fmas_f64 v[114:115], v[114:115], v[130:131], v[134:135]
	v_div_fixup_f64 v[112:113], v[114:115], v[112:113], 1.0
	v_mul_f64 v[114:115], v[128:129], -v[112:113]
.LBB54_555:
	s_or_b64 exec, exec, s[16:17]
.LBB54_556:
	s_or_b64 exec, exec, s[0:1]
	v_cmp_ne_u32_e32 vcc, v125, v122
	s_and_saveexec_b64 s[0:1], vcc
	s_xor_b64 s[0:1], exec, s[0:1]
	s_cbranch_execz .LBB54_562
; %bb.557:
	v_cmp_eq_u32_e32 vcc, 26, v125
	s_and_saveexec_b64 s[16:17], vcc
	s_cbranch_execz .LBB54_561
; %bb.558:
	v_cmp_ne_u32_e32 vcc, 26, v122
	s_xor_b64 s[18:19], s[14:15], -1
	s_and_b64 s[22:23], s[18:19], vcc
	s_and_saveexec_b64 s[18:19], s[22:23]
	s_cbranch_execz .LBB54_560
; %bb.559:
	v_ashrrev_i32_e32 v123, 31, v122
	v_lshl_add_u64 v[128:129], v[122:123], 2, v[120:121]
	global_load_dword v123, v[128:129], off
	global_load_dword v125, v[120:121], off offset:104
	s_waitcnt vmcnt(1)
	global_store_dword v[120:121], v123, off offset:104
	s_waitcnt vmcnt(1)
	global_store_dword v[128:129], v125, off
.LBB54_560:
	s_or_b64 exec, exec, s[18:19]
	v_mov_b32_e32 v125, v122
	v_mov_b32_e32 v127, v122
.LBB54_561:
	s_or_b64 exec, exec, s[16:17]
.LBB54_562:
	s_andn2_saveexec_b64 s[0:1], s[0:1]
	s_cbranch_execz .LBB54_564
; %bb.563:
	v_mov_b32_e32 v125, 26
	s_waitcnt vmcnt(0)
	ds_write2_b64 v124, v[108:109], v[110:111] offset0:54 offset1:55
.LBB54_564:
	s_or_b64 exec, exec, s[0:1]
	v_cmp_lt_i32_e32 vcc, 26, v125
	s_waitcnt lgkmcnt(0)
	s_barrier
	s_and_saveexec_b64 s[0:1], vcc
	s_cbranch_execz .LBB54_566
; %bb.565:
	ds_read2_b64 v[128:131], v124 offset0:54 offset1:55
	v_mul_f64 v[122:123], v[112:113], v[2:3]
	v_mul_f64 v[2:3], v[114:115], v[2:3]
	v_fmac_f64_e32 v[122:123], v[114:115], v[0:1]
	v_fma_f64 v[0:1], v[112:113], v[0:1], -v[2:3]
	s_waitcnt lgkmcnt(0)
	v_mul_f64 v[2:3], v[130:131], v[122:123]
	v_mul_f64 v[112:113], v[128:129], v[122:123]
	v_fma_f64 v[2:3], v[128:129], v[0:1], -v[2:3]
	v_fmac_f64_e32 v[112:113], v[130:131], v[0:1]
	s_waitcnt vmcnt(0)
	v_add_f64 v[108:109], v[108:109], -v[2:3]
	v_add_f64 v[110:111], v[110:111], -v[112:113]
	v_mov_b64_e32 v[2:3], v[122:123]
.LBB54_566:
	s_or_b64 exec, exec, s[0:1]
	v_lshl_add_u32 v112, v125, 4, v124
	s_barrier
	s_waitcnt vmcnt(0)
	ds_write2_b64 v112, v[108:109], v[110:111] offset1:1
	s_waitcnt lgkmcnt(0)
	s_barrier
	ds_read2_b64 v[112:115], v124 offset0:54 offset1:55
	s_cmp_lt_i32 s20, 29
	v_mov_b32_e32 v122, 27
	s_cbranch_scc1 .LBB54_569
; %bb.567:
	v_add_u32_e32 v123, 0x1c0, v124
	s_mov_b32 s16, 28
	v_mov_b32_e32 v122, 27
.LBB54_568:                             ; =>This Inner Loop Header: Depth=1
	ds_read2_b64 v[128:131], v123 offset1:1
	s_waitcnt lgkmcnt(1)
	v_xor_b32_e32 v124, 0x80000000, v113
	v_xor_b32_e32 v135, 0x80000000, v115
	v_cmp_gt_f64_e32 vcc, 0, v[114:115]
	v_cmp_gt_f64_e64 s[0:1], 0, v[112:113]
	v_mov_b32_e32 v132, v112
	v_mov_b32_e32 v134, v114
	v_cndmask_b32_e64 v133, v113, v124, s[0:1]
	v_cndmask_b32_e32 v135, v115, v135, vcc
	s_waitcnt lgkmcnt(0)
	v_xor_b32_e32 v124, 0x80000000, v129
	v_xor_b32_e32 v137, 0x80000000, v131
	v_cmp_gt_f64_e32 vcc, 0, v[130:131]
	v_cmp_gt_f64_e64 s[0:1], 0, v[128:129]
	v_add_f64 v[132:133], v[132:133], v[134:135]
	v_mov_b32_e32 v134, v128
	v_mov_b32_e32 v136, v130
	v_cndmask_b32_e64 v135, v129, v124, s[0:1]
	v_cndmask_b32_e32 v137, v131, v137, vcc
	v_add_f64 v[134:135], v[134:135], v[136:137]
	v_mov_b32_e32 v138, s16
	s_add_i32 s16, s16, 1
	v_cmp_lt_f64_e32 vcc, v[132:133], v[134:135]
	v_add_u32_e32 v123, 16, v123
	s_cmp_lg_u32 s20, s16
	v_cndmask_b32_e32 v113, v113, v129, vcc
	v_cndmask_b32_e32 v112, v112, v128, vcc
	;; [unrolled: 1-line block ×5, first 2 shown]
	s_cbranch_scc1 .LBB54_568
.LBB54_569:
	s_waitcnt lgkmcnt(0)
	v_cmp_eq_f64_e32 vcc, 0, v[112:113]
	v_cmp_eq_f64_e64 s[0:1], 0, v[114:115]
	s_and_b64 s[0:1], vcc, s[0:1]
	s_and_saveexec_b64 s[16:17], s[0:1]
	s_xor_b64 s[0:1], exec, s[16:17]
; %bb.570:
	v_cmp_ne_u32_e32 vcc, 0, v126
	s_nop 1
	v_cndmask_b32_e32 v126, 28, v126, vcc
; %bb.571:
	s_andn2_saveexec_b64 s[0:1], s[0:1]
	s_cbranch_execz .LBB54_577
; %bb.572:
	v_cmp_ngt_f64_e64 s[16:17], |v[112:113]|, |v[114:115]|
	s_and_saveexec_b64 s[18:19], s[16:17]
	s_xor_b64 s[16:17], exec, s[18:19]
	s_cbranch_execz .LBB54_574
; %bb.573:
	v_div_scale_f64 v[128:129], s[18:19], v[114:115], v[114:115], v[112:113]
	v_rcp_f64_e32 v[130:131], v[128:129]
	v_div_scale_f64 v[132:133], vcc, v[112:113], v[114:115], v[112:113]
	v_fma_f64 v[134:135], -v[128:129], v[130:131], 1.0
	v_fmac_f64_e32 v[130:131], v[130:131], v[134:135]
	v_fma_f64 v[134:135], -v[128:129], v[130:131], 1.0
	v_fmac_f64_e32 v[130:131], v[130:131], v[134:135]
	v_mul_f64 v[134:135], v[132:133], v[130:131]
	v_fma_f64 v[128:129], -v[128:129], v[134:135], v[132:133]
	v_div_fmas_f64 v[128:129], v[128:129], v[130:131], v[134:135]
	v_div_fixup_f64 v[128:129], v[128:129], v[114:115], v[112:113]
	v_fmac_f64_e32 v[114:115], v[112:113], v[128:129]
	v_div_scale_f64 v[112:113], s[18:19], v[114:115], v[114:115], 1.0
	v_rcp_f64_e32 v[130:131], v[112:113]
	s_nop 0
	v_fma_f64 v[132:133], -v[112:113], v[130:131], 1.0
	v_fmac_f64_e32 v[130:131], v[130:131], v[132:133]
	v_fma_f64 v[132:133], -v[112:113], v[130:131], 1.0
	v_fmac_f64_e32 v[130:131], v[130:131], v[132:133]
	v_div_scale_f64 v[132:133], vcc, 1.0, v[114:115], 1.0
	v_mul_f64 v[134:135], v[132:133], v[130:131]
	v_fma_f64 v[112:113], -v[112:113], v[134:135], v[132:133]
	s_nop 1
	v_div_fmas_f64 v[112:113], v[112:113], v[130:131], v[134:135]
	v_div_fixup_f64 v[114:115], v[112:113], v[114:115], 1.0
	v_mul_f64 v[112:113], v[128:129], v[114:115]
	v_xor_b32_e32 v115, 0x80000000, v115
.LBB54_574:
	s_andn2_saveexec_b64 s[16:17], s[16:17]
	s_cbranch_execz .LBB54_576
; %bb.575:
	v_div_scale_f64 v[128:129], s[18:19], v[112:113], v[112:113], v[114:115]
	v_rcp_f64_e32 v[130:131], v[128:129]
	v_div_scale_f64 v[132:133], vcc, v[114:115], v[112:113], v[114:115]
	v_fma_f64 v[134:135], -v[128:129], v[130:131], 1.0
	v_fmac_f64_e32 v[130:131], v[130:131], v[134:135]
	v_fma_f64 v[134:135], -v[128:129], v[130:131], 1.0
	v_fmac_f64_e32 v[130:131], v[130:131], v[134:135]
	v_mul_f64 v[134:135], v[132:133], v[130:131]
	v_fma_f64 v[128:129], -v[128:129], v[134:135], v[132:133]
	v_div_fmas_f64 v[128:129], v[128:129], v[130:131], v[134:135]
	v_div_fixup_f64 v[128:129], v[128:129], v[112:113], v[114:115]
	v_fmac_f64_e32 v[112:113], v[114:115], v[128:129]
	v_div_scale_f64 v[114:115], s[18:19], v[112:113], v[112:113], 1.0
	v_rcp_f64_e32 v[130:131], v[114:115]
	s_nop 0
	v_fma_f64 v[132:133], -v[114:115], v[130:131], 1.0
	v_fmac_f64_e32 v[130:131], v[130:131], v[132:133]
	v_fma_f64 v[132:133], -v[114:115], v[130:131], 1.0
	v_fmac_f64_e32 v[130:131], v[130:131], v[132:133]
	v_div_scale_f64 v[132:133], vcc, 1.0, v[112:113], 1.0
	v_mul_f64 v[134:135], v[132:133], v[130:131]
	v_fma_f64 v[114:115], -v[114:115], v[134:135], v[132:133]
	s_nop 1
	v_div_fmas_f64 v[114:115], v[114:115], v[130:131], v[134:135]
	v_div_fixup_f64 v[112:113], v[114:115], v[112:113], 1.0
	v_mul_f64 v[114:115], v[128:129], -v[112:113]
.LBB54_576:
	s_or_b64 exec, exec, s[16:17]
.LBB54_577:
	s_or_b64 exec, exec, s[0:1]
	v_cmp_ne_u32_e32 vcc, v125, v122
	v_mov_b32_e32 v124, 27
	s_and_saveexec_b64 s[0:1], vcc
	s_cbranch_execz .LBB54_583
; %bb.578:
	v_cmp_eq_u32_e32 vcc, 27, v125
	s_and_saveexec_b64 s[16:17], vcc
	s_cbranch_execz .LBB54_582
; %bb.579:
	v_cmp_ne_u32_e32 vcc, 27, v122
	s_xor_b64 s[14:15], s[14:15], -1
	s_and_b64 s[18:19], s[14:15], vcc
	s_and_saveexec_b64 s[14:15], s[18:19]
	s_cbranch_execz .LBB54_581
; %bb.580:
	v_ashrrev_i32_e32 v123, 31, v122
	v_lshl_add_u64 v[124:125], v[122:123], 2, v[120:121]
	global_load_dword v123, v[124:125], off
	global_load_dword v127, v[120:121], off offset:108
	s_waitcnt vmcnt(1)
	global_store_dword v[120:121], v123, off offset:108
	s_waitcnt vmcnt(1)
	global_store_dword v[124:125], v127, off
.LBB54_581:
	s_or_b64 exec, exec, s[14:15]
	v_mov_b32_e32 v125, v122
	v_mov_b32_e32 v127, v122
.LBB54_582:
	s_or_b64 exec, exec, s[16:17]
	v_mov_b32_e32 v124, v125
.LBB54_583:
	s_or_b64 exec, exec, s[0:1]
	v_cmp_gt_i32_e32 vcc, 28, v124
	v_ashrrev_i32_e32 v125, 31, v124
	s_barrier
	s_barrier
	s_and_saveexec_b64 s[0:1], vcc
	s_cbranch_execz .LBB54_585
; %bb.584:
	v_mov_b32_e32 v120, s6
	v_mov_b32_e32 v121, s7
	v_mul_lo_u32 v128, s11, v118
	v_mul_lo_u32 v129, s10, v119
	v_mad_u64_u32 v[122:123], s[6:7], s10, v118, 0
	v_add3_u32 v123, v123, v129, v128
	v_lshl_add_u64 v[120:121], v[122:123], 2, v[120:121]
	v_lshl_add_u64 v[120:121], s[8:9], 2, v[120:121]
	;; [unrolled: 1-line block ×3, first 2 shown]
	v_add3_u32 v122, v127, s13, 1
	global_store_dword v[120:121], v122, off
.LBB54_585:
	s_or_b64 exec, exec, s[0:1]
	v_cmp_eq_u32_e32 vcc, 0, v124
	s_and_saveexec_b64 s[6:7], vcc
	s_cbranch_execz .LBB54_588
; %bb.586:
	v_mov_b32_e32 v120, s4
	v_mov_b32_e32 v121, s5
	v_lshl_add_u64 v[118:119], v[118:119], 2, v[120:121]
	global_load_dword v120, v[118:119], off
	v_cmp_ne_u32_e64 s[0:1], 0, v126
	s_waitcnt vmcnt(0)
	v_cmp_eq_u32_e32 vcc, 0, v120
	s_and_b64 s[0:1], vcc, s[0:1]
	s_and_b64 exec, exec, s[0:1]
	s_cbranch_execz .LBB54_588
; %bb.587:
	v_add_u32_e32 v120, s13, v126
	global_store_dword v[118:119], v120, off
.LBB54_588:
	s_or_b64 exec, exec, s[6:7]
	v_mul_f64 v[118:119], v[114:115], v[110:111]
	v_fma_f64 v[118:119], v[112:113], v[108:109], -v[118:119]
	v_mul_f64 v[112:113], v[112:113], v[110:111]
	v_fmac_f64_e32 v[112:113], v[114:115], v[108:109]
	v_cmp_lt_i32_e32 vcc, 27, v124
	s_nop 1
	v_cndmask_b32_e32 v111, v111, v113, vcc
	v_cndmask_b32_e32 v110, v110, v112, vcc
	v_lshl_add_u64 v[112:113], v[124:125], 4, v[116:117]
	global_store_dwordx4 v[112:113], v[76:79], off
	v_cndmask_b32_e32 v109, v109, v119, vcc
	v_cndmask_b32_e32 v108, v108, v118, vcc
	v_lshl_add_u64 v[76:77], s[2:3], 4, v[112:113]
	global_store_dwordx4 v[76:77], v[72:75], off
	s_nop 1
	v_add_u32_e32 v72, s12, v124
	v_ashrrev_i32_e32 v73, 31, v72
	v_lshl_add_u64 v[74:75], v[72:73], 4, v[116:117]
	v_add_u32_e32 v72, s2, v72
	v_ashrrev_i32_e32 v73, 31, v72
	global_store_dwordx4 v[74:75], v[104:107], off
	v_lshl_add_u64 v[74:75], v[72:73], 4, v[116:117]
	v_add_u32_e32 v72, s2, v72
	v_ashrrev_i32_e32 v73, 31, v72
	global_store_dwordx4 v[74:75], v[100:103], off
	;; [unrolled: 4-line block ×7, first 2 shown]
	v_lshl_add_u64 v[74:75], v[72:73], 4, v[116:117]
	global_store_dwordx4 v[74:75], v[68:71], off
	s_nop 1
	v_add_u32_e32 v68, s2, v72
	v_ashrrev_i32_e32 v69, 31, v68
	v_lshl_add_u64 v[70:71], v[68:69], 4, v[116:117]
	global_store_dwordx4 v[70:71], v[64:67], off
	s_nop 1
	v_add_u32_e32 v64, s2, v68
	v_ashrrev_i32_e32 v65, 31, v64
	;; [unrolled: 5-line block ×7, first 2 shown]
	v_lshl_add_u64 v[42:43], v[40:41], 4, v[116:117]
	v_add_u32_e32 v40, s2, v40
	v_ashrrev_i32_e32 v41, 31, v40
	global_store_dwordx4 v[42:43], v[44:47], off
	v_lshl_add_u64 v[42:43], v[40:41], 4, v[116:117]
	global_store_dwordx4 v[42:43], v[36:39], off
	s_nop 1
	v_add_u32_e32 v36, s2, v40
	v_ashrrev_i32_e32 v37, 31, v36
	v_lshl_add_u64 v[38:39], v[36:37], 4, v[116:117]
	global_store_dwordx4 v[38:39], v[32:35], off
	s_nop 1
	v_add_u32_e32 v32, s2, v36
	v_ashrrev_i32_e32 v33, 31, v32
	;; [unrolled: 5-line block ×10, first 2 shown]
	v_lshl_add_u64 v[0:1], v[0:1], 4, v[116:117]
	global_store_dwordx4 v[0:1], v[108:111], off
.LBB54_589:
	s_endpgm
	.section	.rodata,"a",@progbits
	.p2align	6, 0x0
	.amdhsa_kernel _ZN9rocsolver6v33100L18getf2_small_kernelILi28E19rocblas_complex_numIdEiiPS3_EEvT1_T3_lS5_lPS5_llPT2_S5_S5_S7_l
		.amdhsa_group_segment_fixed_size 0
		.amdhsa_private_segment_fixed_size 0
		.amdhsa_kernarg_size 352
		.amdhsa_user_sgpr_count 2
		.amdhsa_user_sgpr_dispatch_ptr 0
		.amdhsa_user_sgpr_queue_ptr 0
		.amdhsa_user_sgpr_kernarg_segment_ptr 1
		.amdhsa_user_sgpr_dispatch_id 0
		.amdhsa_user_sgpr_kernarg_preload_length 0
		.amdhsa_user_sgpr_kernarg_preload_offset 0
		.amdhsa_user_sgpr_private_segment_size 0
		.amdhsa_uses_dynamic_stack 0
		.amdhsa_enable_private_segment 0
		.amdhsa_system_sgpr_workgroup_id_x 1
		.amdhsa_system_sgpr_workgroup_id_y 1
		.amdhsa_system_sgpr_workgroup_id_z 0
		.amdhsa_system_sgpr_workgroup_info 0
		.amdhsa_system_vgpr_workitem_id 1
		.amdhsa_next_free_vgpr 144
		.amdhsa_next_free_sgpr 24
		.amdhsa_accum_offset 144
		.amdhsa_reserve_vcc 1
		.amdhsa_float_round_mode_32 0
		.amdhsa_float_round_mode_16_64 0
		.amdhsa_float_denorm_mode_32 3
		.amdhsa_float_denorm_mode_16_64 3
		.amdhsa_dx10_clamp 1
		.amdhsa_ieee_mode 1
		.amdhsa_fp16_overflow 0
		.amdhsa_tg_split 0
		.amdhsa_exception_fp_ieee_invalid_op 0
		.amdhsa_exception_fp_denorm_src 0
		.amdhsa_exception_fp_ieee_div_zero 0
		.amdhsa_exception_fp_ieee_overflow 0
		.amdhsa_exception_fp_ieee_underflow 0
		.amdhsa_exception_fp_ieee_inexact 0
		.amdhsa_exception_int_div_zero 0
	.end_amdhsa_kernel
	.section	.text._ZN9rocsolver6v33100L18getf2_small_kernelILi28E19rocblas_complex_numIdEiiPS3_EEvT1_T3_lS5_lPS5_llPT2_S5_S5_S7_l,"axG",@progbits,_ZN9rocsolver6v33100L18getf2_small_kernelILi28E19rocblas_complex_numIdEiiPS3_EEvT1_T3_lS5_lPS5_llPT2_S5_S5_S7_l,comdat
.Lfunc_end54:
	.size	_ZN9rocsolver6v33100L18getf2_small_kernelILi28E19rocblas_complex_numIdEiiPS3_EEvT1_T3_lS5_lPS5_llPT2_S5_S5_S7_l, .Lfunc_end54-_ZN9rocsolver6v33100L18getf2_small_kernelILi28E19rocblas_complex_numIdEiiPS3_EEvT1_T3_lS5_lPS5_llPT2_S5_S5_S7_l
                                        ; -- End function
	.set _ZN9rocsolver6v33100L18getf2_small_kernelILi28E19rocblas_complex_numIdEiiPS3_EEvT1_T3_lS5_lPS5_llPT2_S5_S5_S7_l.num_vgpr, 144
	.set _ZN9rocsolver6v33100L18getf2_small_kernelILi28E19rocblas_complex_numIdEiiPS3_EEvT1_T3_lS5_lPS5_llPT2_S5_S5_S7_l.num_agpr, 0
	.set _ZN9rocsolver6v33100L18getf2_small_kernelILi28E19rocblas_complex_numIdEiiPS3_EEvT1_T3_lS5_lPS5_llPT2_S5_S5_S7_l.numbered_sgpr, 24
	.set _ZN9rocsolver6v33100L18getf2_small_kernelILi28E19rocblas_complex_numIdEiiPS3_EEvT1_T3_lS5_lPS5_llPT2_S5_S5_S7_l.num_named_barrier, 0
	.set _ZN9rocsolver6v33100L18getf2_small_kernelILi28E19rocblas_complex_numIdEiiPS3_EEvT1_T3_lS5_lPS5_llPT2_S5_S5_S7_l.private_seg_size, 0
	.set _ZN9rocsolver6v33100L18getf2_small_kernelILi28E19rocblas_complex_numIdEiiPS3_EEvT1_T3_lS5_lPS5_llPT2_S5_S5_S7_l.uses_vcc, 1
	.set _ZN9rocsolver6v33100L18getf2_small_kernelILi28E19rocblas_complex_numIdEiiPS3_EEvT1_T3_lS5_lPS5_llPT2_S5_S5_S7_l.uses_flat_scratch, 0
	.set _ZN9rocsolver6v33100L18getf2_small_kernelILi28E19rocblas_complex_numIdEiiPS3_EEvT1_T3_lS5_lPS5_llPT2_S5_S5_S7_l.has_dyn_sized_stack, 0
	.set _ZN9rocsolver6v33100L18getf2_small_kernelILi28E19rocblas_complex_numIdEiiPS3_EEvT1_T3_lS5_lPS5_llPT2_S5_S5_S7_l.has_recursion, 0
	.set _ZN9rocsolver6v33100L18getf2_small_kernelILi28E19rocblas_complex_numIdEiiPS3_EEvT1_T3_lS5_lPS5_llPT2_S5_S5_S7_l.has_indirect_call, 0
	.section	.AMDGPU.csdata,"",@progbits
; Kernel info:
; codeLenInByte = 53228
; TotalNumSgprs: 30
; NumVgprs: 144
; NumAgprs: 0
; TotalNumVgprs: 144
; ScratchSize: 0
; MemoryBound: 0
; FloatMode: 240
; IeeeMode: 1
; LDSByteSize: 0 bytes/workgroup (compile time only)
; SGPRBlocks: 3
; VGPRBlocks: 17
; NumSGPRsForWavesPerEU: 30
; NumVGPRsForWavesPerEU: 144
; AccumOffset: 144
; Occupancy: 3
; WaveLimiterHint : 0
; COMPUTE_PGM_RSRC2:SCRATCH_EN: 0
; COMPUTE_PGM_RSRC2:USER_SGPR: 2
; COMPUTE_PGM_RSRC2:TRAP_HANDLER: 0
; COMPUTE_PGM_RSRC2:TGID_X_EN: 1
; COMPUTE_PGM_RSRC2:TGID_Y_EN: 1
; COMPUTE_PGM_RSRC2:TGID_Z_EN: 0
; COMPUTE_PGM_RSRC2:TIDIG_COMP_CNT: 1
; COMPUTE_PGM_RSRC3_GFX90A:ACCUM_OFFSET: 35
; COMPUTE_PGM_RSRC3_GFX90A:TG_SPLIT: 0
	.section	.text._ZN9rocsolver6v33100L23getf2_npvt_small_kernelILi28E19rocblas_complex_numIdEiiPS3_EEvT1_T3_lS5_lPT2_S5_S5_,"axG",@progbits,_ZN9rocsolver6v33100L23getf2_npvt_small_kernelILi28E19rocblas_complex_numIdEiiPS3_EEvT1_T3_lS5_lPT2_S5_S5_,comdat
	.globl	_ZN9rocsolver6v33100L23getf2_npvt_small_kernelILi28E19rocblas_complex_numIdEiiPS3_EEvT1_T3_lS5_lPT2_S5_S5_ ; -- Begin function _ZN9rocsolver6v33100L23getf2_npvt_small_kernelILi28E19rocblas_complex_numIdEiiPS3_EEvT1_T3_lS5_lPT2_S5_S5_
	.p2align	8
	.type	_ZN9rocsolver6v33100L23getf2_npvt_small_kernelILi28E19rocblas_complex_numIdEiiPS3_EEvT1_T3_lS5_lPT2_S5_S5_,@function
_ZN9rocsolver6v33100L23getf2_npvt_small_kernelILi28E19rocblas_complex_numIdEiiPS3_EEvT1_T3_lS5_lPT2_S5_S5_: ; @_ZN9rocsolver6v33100L23getf2_npvt_small_kernelILi28E19rocblas_complex_numIdEiiPS3_EEvT1_T3_lS5_lPT2_S5_S5_
; %bb.0:
	s_load_dword s2, s[0:1], 0x44
	s_load_dwordx2 s[8:9], s[0:1], 0x30
	v_bfe_u32 v112, v0, 10, 10
	s_waitcnt lgkmcnt(0)
	s_lshr_b32 s10, s2, 16
	s_mul_i32 s3, s3, s10
	v_add_u32_e32 v244, s3, v112
	v_cmp_gt_i32_e32 vcc, s8, v244
	s_and_saveexec_b64 s[2:3], vcc
	s_cbranch_execz .LBB55_255
; %bb.1:
	s_load_dwordx4 s[12:15], s[0:1], 0x8
	s_load_dword s2, s[0:1], 0x18
	s_load_dwordx4 s[4:7], s[0:1], 0x20
	v_ashrrev_i32_e32 v245, 31, v244
	v_and_b32_e32 v254, 0x3ff, v0
	s_waitcnt lgkmcnt(0)
	v_mov_b32_e32 v2, s12
	v_mov_b32_e32 v3, s13
	v_mul_lo_u32 v4, s5, v244
	v_mul_lo_u32 v5, s4, v245
	v_mad_u64_u32 v[0:1], s[0:1], s4, v244, 0
	v_add3_u32 v1, v1, v5, v4
	v_lshl_add_u64 v[0:1], v[0:1], 4, v[2:3]
	v_lshl_add_u64 v[0:1], s[14:15], 4, v[0:1]
	v_lshlrev_b32_e32 v2, 4, v254
	v_mov_b32_e32 v3, 0
	s_add_i32 s0, s2, s2
	v_lshl_add_u64 v[224:225], v[0:1], 0, v[2:3]
	v_add_u32_e32 v2, s0, v254
	v_ashrrev_i32_e32 v3, 31, v2
	v_lshl_add_u64 v[20:21], v[2:3], 4, v[0:1]
	v_add_u32_e32 v2, s2, v2
	v_ashrrev_i32_e32 v3, 31, v2
	;; [unrolled: 3-line block ×25, first 2 shown]
	v_lshl_add_u64 v[118:119], v[2:3], 4, v[0:1]
	v_add_u32_e32 v2, s2, v2
	s_ashr_i32 s3, s2, 31
	v_ashrrev_i32_e32 v3, 31, v2
	v_lshl_add_u64 v[120:121], v[2:3], 4, v[0:1]
	v_lshl_add_u64 v[0:1], s[2:3], 4, v[224:225]
	scratch_store_dwordx2 off, v[0:1], off offset:112 ; 8-byte Folded Spill
	scratch_store_dwordx2 off, v[20:21], off offset:128 ; 8-byte Folded Spill
	;; [unrolled: 1-line block ×3, first 2 shown]
	global_load_dwordx4 v[104:107], v[224:225], off
	global_load_dwordx4 v[100:103], v[0:1], off
	;; [unrolled: 1-line block ×23, first 2 shown]
	s_mulk_i32 s10, 0x1c0
	scratch_store_dwordx2 off, v[4:5], off  ; 8-byte Folded Spill
	scratch_store_dwordx2 off, v[6:7], off offset:8 ; 8-byte Folded Spill
	scratch_store_dwordx2 off, v[8:9], off offset:16 ; 8-byte Folded Spill
	;; [unrolled: 1-line block ×8, first 2 shown]
	global_load_dwordx4 v[16:19], v[108:109], off
	s_movk_i32 s0, 0x1c0
	scratch_store_dwordx2 off, v[110:111], off offset:72 ; 8-byte Folded Spill
	global_load_dwordx4 v[12:15], v[110:111], off
	global_load_dwordx4 v[8:11], v[114:115], off
	;; [unrolled: 1-line block ×3, first 2 shown]
	s_add_i32 s1, s10, 0
	global_load_dwordx4 v[108:111], v[120:121], off
	v_mad_u32_u24 v226, v112, s0, 0
	v_lshl_add_u32 v255, v112, 4, s1
	v_cmp_ne_u32_e64 s[2:3], 0, v254
	v_cmp_eq_u32_e64 s[0:1], 0, v254
	scratch_store_dwordx2 off, v[114:115], off offset:80 ; 8-byte Folded Spill
	scratch_store_dwordx2 off, v[116:117], off offset:88 ; 8-byte Folded Spill
	;; [unrolled: 1-line block ×4, first 2 shown]
	s_and_saveexec_b64 s[10:11], s[0:1]
	s_cbranch_execz .LBB55_8
; %bb.2:
	s_waitcnt vmcnt(41)
	ds_write2_b64 v255, v[104:105], v[106:107] offset1:1
	s_waitcnt vmcnt(40)
	ds_write2_b64 v226, v[100:101], v[102:103] offset0:2 offset1:3
	s_waitcnt vmcnt(39)
	ds_write2_b64 v226, v[96:97], v[98:99] offset0:4 offset1:5
	s_waitcnt vmcnt(38)
	ds_write2_b64 v226, v[92:93], v[94:95] offset0:6 offset1:7
	s_waitcnt vmcnt(37)
	ds_write2_b64 v226, v[88:89], v[90:91] offset0:8 offset1:9
	s_waitcnt vmcnt(36)
	ds_write2_b64 v226, v[84:85], v[86:87] offset0:10 offset1:11
	s_waitcnt vmcnt(35)
	ds_write2_b64 v226, v[80:81], v[82:83] offset0:12 offset1:13
	s_waitcnt vmcnt(34)
	ds_write2_b64 v226, v[76:77], v[78:79] offset0:14 offset1:15
	s_waitcnt vmcnt(33)
	ds_write2_b64 v226, v[72:73], v[74:75] offset0:16 offset1:17
	s_waitcnt vmcnt(32)
	ds_write2_b64 v226, v[68:69], v[70:71] offset0:18 offset1:19
	s_waitcnt vmcnt(31)
	ds_write2_b64 v226, v[64:65], v[66:67] offset0:20 offset1:21
	s_waitcnt vmcnt(30)
	ds_write2_b64 v226, v[60:61], v[62:63] offset0:22 offset1:23
	s_waitcnt vmcnt(29)
	ds_write2_b64 v226, v[56:57], v[58:59] offset0:24 offset1:25
	s_waitcnt vmcnt(28)
	ds_write2_b64 v226, v[52:53], v[54:55] offset0:26 offset1:27
	s_waitcnt vmcnt(27)
	ds_write2_b64 v226, v[48:49], v[50:51] offset0:28 offset1:29
	s_waitcnt vmcnt(26)
	ds_write2_b64 v226, v[44:45], v[46:47] offset0:30 offset1:31
	s_waitcnt vmcnt(25)
	ds_write2_b64 v226, v[40:41], v[42:43] offset0:32 offset1:33
	s_waitcnt vmcnt(24)
	ds_write2_b64 v226, v[36:37], v[38:39] offset0:34 offset1:35
	s_waitcnt vmcnt(23)
	ds_write2_b64 v226, v[32:33], v[34:35] offset0:36 offset1:37
	s_waitcnt vmcnt(22)
	ds_write2_b64 v226, v[28:29], v[30:31] offset0:38 offset1:39
	s_waitcnt vmcnt(21)
	ds_write2_b64 v226, v[24:25], v[26:27] offset0:40 offset1:41
	s_waitcnt vmcnt(20)
	ds_write2_b64 v226, v[20:21], v[22:23] offset0:42 offset1:43
	s_waitcnt vmcnt(9)
	ds_write2_b64 v226, v[16:17], v[18:19] offset0:44 offset1:45
	s_waitcnt vmcnt(7)
	ds_write2_b64 v226, v[12:13], v[14:15] offset0:46 offset1:47
	s_waitcnt vmcnt(6)
	ds_write2_b64 v226, v[8:9], v[10:11] offset0:48 offset1:49
	s_waitcnt vmcnt(5)
	ds_write2_b64 v226, v[4:5], v[6:7] offset0:50 offset1:51
	ds_write2_b64 v226, v[0:1], v[2:3] offset0:52 offset1:53
	s_waitcnt vmcnt(4)
	ds_write2_b64 v226, v[108:109], v[110:111] offset0:54 offset1:55
	ds_read2_b64 v[112:115], v255 offset1:1
	s_waitcnt lgkmcnt(0)
	v_cmp_neq_f64_e32 vcc, 0, v[112:113]
	v_cmp_neq_f64_e64 s[4:5], 0, v[114:115]
	s_or_b64 s[4:5], vcc, s[4:5]
	s_and_b64 exec, exec, s[4:5]
	s_cbranch_execz .LBB55_8
; %bb.3:
	v_cmp_ngt_f64_e64 s[4:5], |v[112:113]|, |v[114:115]|
                                        ; implicit-def: $vgpr116_vgpr117
	s_and_saveexec_b64 s[12:13], s[4:5]
	s_xor_b64 s[4:5], exec, s[12:13]
                                        ; implicit-def: $vgpr118_vgpr119
	s_cbranch_execz .LBB55_5
; %bb.4:
	v_div_scale_f64 v[116:117], s[12:13], v[114:115], v[114:115], v[112:113]
	v_rcp_f64_e32 v[118:119], v[116:117]
	v_div_scale_f64 v[120:121], vcc, v[112:113], v[114:115], v[112:113]
	v_fma_f64 v[122:123], -v[116:117], v[118:119], 1.0
	v_fmac_f64_e32 v[118:119], v[118:119], v[122:123]
	v_fma_f64 v[122:123], -v[116:117], v[118:119], 1.0
	v_fmac_f64_e32 v[118:119], v[118:119], v[122:123]
	v_mul_f64 v[122:123], v[120:121], v[118:119]
	v_fma_f64 v[116:117], -v[116:117], v[122:123], v[120:121]
	v_div_fmas_f64 v[116:117], v[116:117], v[118:119], v[122:123]
	v_div_fixup_f64 v[116:117], v[116:117], v[114:115], v[112:113]
	v_fmac_f64_e32 v[114:115], v[112:113], v[116:117]
	v_div_scale_f64 v[112:113], s[12:13], v[114:115], v[114:115], 1.0
	v_rcp_f64_e32 v[118:119], v[112:113]
	s_nop 0
	v_fma_f64 v[120:121], -v[112:113], v[118:119], 1.0
	v_fmac_f64_e32 v[118:119], v[118:119], v[120:121]
	v_fma_f64 v[120:121], -v[112:113], v[118:119], 1.0
	v_fmac_f64_e32 v[118:119], v[118:119], v[120:121]
	v_div_scale_f64 v[120:121], vcc, 1.0, v[114:115], 1.0
	v_mul_f64 v[122:123], v[120:121], v[118:119]
	v_fma_f64 v[112:113], -v[112:113], v[122:123], v[120:121]
	s_nop 1
	v_div_fmas_f64 v[112:113], v[112:113], v[118:119], v[122:123]
	v_div_fixup_f64 v[118:119], v[112:113], v[114:115], 1.0
	v_mul_f64 v[116:117], v[116:117], v[118:119]
	v_xor_b32_e32 v119, 0x80000000, v119
                                        ; implicit-def: $vgpr112_vgpr113
.LBB55_5:
	s_andn2_saveexec_b64 s[4:5], s[4:5]
	s_cbranch_execz .LBB55_7
; %bb.6:
	v_div_scale_f64 v[116:117], s[12:13], v[112:113], v[112:113], v[114:115]
	v_rcp_f64_e32 v[118:119], v[116:117]
	v_div_scale_f64 v[120:121], vcc, v[114:115], v[112:113], v[114:115]
	v_fma_f64 v[122:123], -v[116:117], v[118:119], 1.0
	v_fmac_f64_e32 v[118:119], v[118:119], v[122:123]
	v_fma_f64 v[122:123], -v[116:117], v[118:119], 1.0
	v_fmac_f64_e32 v[118:119], v[118:119], v[122:123]
	v_mul_f64 v[122:123], v[120:121], v[118:119]
	v_fma_f64 v[116:117], -v[116:117], v[122:123], v[120:121]
	v_div_fmas_f64 v[116:117], v[116:117], v[118:119], v[122:123]
	v_div_fixup_f64 v[118:119], v[116:117], v[112:113], v[114:115]
	v_fmac_f64_e32 v[112:113], v[114:115], v[118:119]
	v_div_scale_f64 v[114:115], s[12:13], v[112:113], v[112:113], 1.0
	v_rcp_f64_e32 v[116:117], v[114:115]
	s_nop 0
	v_fma_f64 v[120:121], -v[114:115], v[116:117], 1.0
	v_fmac_f64_e32 v[116:117], v[116:117], v[120:121]
	v_fma_f64 v[120:121], -v[114:115], v[116:117], 1.0
	v_fmac_f64_e32 v[116:117], v[116:117], v[120:121]
	v_div_scale_f64 v[120:121], vcc, 1.0, v[112:113], 1.0
	v_mul_f64 v[122:123], v[120:121], v[116:117]
	v_fma_f64 v[114:115], -v[114:115], v[122:123], v[120:121]
	s_nop 1
	v_div_fmas_f64 v[114:115], v[114:115], v[116:117], v[122:123]
	v_div_fixup_f64 v[116:117], v[114:115], v[112:113], 1.0
	v_mul_f64 v[118:119], v[118:119], -v[116:117]
.LBB55_7:
	s_or_b64 exec, exec, s[4:5]
	ds_write2_b64 v255, v[116:117], v[118:119] offset1:1
.LBB55_8:
	s_or_b64 exec, exec, s[10:11]
	s_waitcnt lgkmcnt(0)
	s_barrier
	ds_read2_b64 v[112:115], v255 offset1:1
	s_and_saveexec_b64 s[4:5], s[2:3]
	s_cbranch_execz .LBB55_10
; %bb.9:
	ds_read2_b64 v[118:121], v226 offset0:2 offset1:3
	ds_read2_b64 v[122:125], v226 offset0:4 offset1:5
	s_waitcnt vmcnt(41) lgkmcnt(2)
	v_mul_f64 v[116:117], v[114:115], v[106:107]
	v_mul_f64 v[106:107], v[112:113], v[106:107]
	v_fmac_f64_e32 v[106:107], v[114:115], v[104:105]
	v_fma_f64 v[116:117], v[112:113], v[104:105], -v[116:117]
	s_waitcnt lgkmcnt(1)
	v_mul_f64 v[104:105], v[120:121], v[106:107]
	v_fma_f64 v[104:105], v[118:119], v[116:117], -v[104:105]
	v_mul_f64 v[118:119], v[118:119], v[106:107]
	v_fmac_f64_e32 v[118:119], v[120:121], v[116:117]
	s_waitcnt vmcnt(40)
	v_add_f64 v[102:103], v[102:103], -v[118:119]
	ds_read2_b64 v[118:121], v226 offset0:6 offset1:7
	v_add_f64 v[100:101], v[100:101], -v[104:105]
	s_waitcnt lgkmcnt(1)
	v_mul_f64 v[104:105], v[124:125], v[106:107]
	v_fma_f64 v[104:105], v[122:123], v[116:117], -v[104:105]
	v_mul_f64 v[122:123], v[122:123], v[106:107]
	v_fmac_f64_e32 v[122:123], v[124:125], v[116:117]
	s_waitcnt vmcnt(39)
	v_add_f64 v[96:97], v[96:97], -v[104:105]
	v_add_f64 v[98:99], v[98:99], -v[122:123]
	ds_read2_b64 v[122:125], v226 offset0:8 offset1:9
	s_waitcnt lgkmcnt(1)
	v_mul_f64 v[104:105], v[120:121], v[106:107]
	v_fma_f64 v[104:105], v[118:119], v[116:117], -v[104:105]
	v_mul_f64 v[118:119], v[118:119], v[106:107]
	v_fmac_f64_e32 v[118:119], v[120:121], v[116:117]
	s_waitcnt vmcnt(38)
	v_add_f64 v[94:95], v[94:95], -v[118:119]
	ds_read2_b64 v[118:121], v226 offset0:10 offset1:11
	v_add_f64 v[92:93], v[92:93], -v[104:105]
	s_waitcnt lgkmcnt(1)
	v_mul_f64 v[104:105], v[124:125], v[106:107]
	v_fma_f64 v[104:105], v[122:123], v[116:117], -v[104:105]
	v_mul_f64 v[122:123], v[122:123], v[106:107]
	v_fmac_f64_e32 v[122:123], v[124:125], v[116:117]
	s_waitcnt vmcnt(37)
	v_add_f64 v[88:89], v[88:89], -v[104:105]
	v_add_f64 v[90:91], v[90:91], -v[122:123]
	ds_read2_b64 v[122:125], v226 offset0:12 offset1:13
	;; [unrolled: 18-line block ×12, first 2 shown]
	s_waitcnt lgkmcnt(1)
	v_mul_f64 v[104:105], v[120:121], v[106:107]
	v_fma_f64 v[104:105], v[118:119], v[116:117], -v[104:105]
	v_mul_f64 v[118:119], v[118:119], v[106:107]
	v_fmac_f64_e32 v[118:119], v[120:121], v[116:117]
	s_waitcnt vmcnt(5)
	v_add_f64 v[6:7], v[6:7], -v[118:119]
	ds_read2_b64 v[118:121], v226 offset0:54 offset1:55
	v_add_f64 v[4:5], v[4:5], -v[104:105]
	s_waitcnt lgkmcnt(1)
	v_mul_f64 v[104:105], v[124:125], v[106:107]
	v_fma_f64 v[104:105], v[122:123], v[116:117], -v[104:105]
	v_add_f64 v[0:1], v[0:1], -v[104:105]
	s_waitcnt lgkmcnt(0)
	v_mul_f64 v[104:105], v[120:121], v[106:107]
	v_mul_f64 v[122:123], v[122:123], v[106:107]
	v_fma_f64 v[104:105], v[118:119], v[116:117], -v[104:105]
	v_mul_f64 v[118:119], v[118:119], v[106:107]
	v_fmac_f64_e32 v[122:123], v[124:125], v[116:117]
	v_fmac_f64_e32 v[118:119], v[120:121], v[116:117]
	v_add_f64 v[2:3], v[2:3], -v[122:123]
	s_waitcnt vmcnt(4)
	v_add_f64 v[108:109], v[108:109], -v[104:105]
	v_add_f64 v[110:111], v[110:111], -v[118:119]
	v_mov_b64_e32 v[104:105], v[116:117]
.LBB55_10:
	s_or_b64 exec, exec, s[4:5]
	v_cmp_eq_u32_e32 vcc, 1, v254
	s_waitcnt lgkmcnt(0)
	s_barrier
	s_and_saveexec_b64 s[4:5], vcc
	s_cbranch_execz .LBB55_17
; %bb.11:
	s_waitcnt vmcnt(40)
	ds_write2_b64 v255, v[100:101], v[102:103] offset1:1
	s_waitcnt vmcnt(39)
	ds_write2_b64 v226, v[96:97], v[98:99] offset0:4 offset1:5
	s_waitcnt vmcnt(38)
	ds_write2_b64 v226, v[92:93], v[94:95] offset0:6 offset1:7
	s_waitcnt vmcnt(37)
	ds_write2_b64 v226, v[88:89], v[90:91] offset0:8 offset1:9
	s_waitcnt vmcnt(36)
	ds_write2_b64 v226, v[84:85], v[86:87] offset0:10 offset1:11
	s_waitcnt vmcnt(35)
	ds_write2_b64 v226, v[80:81], v[82:83] offset0:12 offset1:13
	s_waitcnt vmcnt(34)
	ds_write2_b64 v226, v[76:77], v[78:79] offset0:14 offset1:15
	s_waitcnt vmcnt(33)
	ds_write2_b64 v226, v[72:73], v[74:75] offset0:16 offset1:17
	s_waitcnt vmcnt(32)
	ds_write2_b64 v226, v[68:69], v[70:71] offset0:18 offset1:19
	s_waitcnt vmcnt(31)
	ds_write2_b64 v226, v[64:65], v[66:67] offset0:20 offset1:21
	s_waitcnt vmcnt(30)
	ds_write2_b64 v226, v[60:61], v[62:63] offset0:22 offset1:23
	s_waitcnt vmcnt(29)
	ds_write2_b64 v226, v[56:57], v[58:59] offset0:24 offset1:25
	s_waitcnt vmcnt(28)
	ds_write2_b64 v226, v[52:53], v[54:55] offset0:26 offset1:27
	s_waitcnt vmcnt(27)
	ds_write2_b64 v226, v[48:49], v[50:51] offset0:28 offset1:29
	s_waitcnt vmcnt(26)
	ds_write2_b64 v226, v[44:45], v[46:47] offset0:30 offset1:31
	s_waitcnt vmcnt(25)
	ds_write2_b64 v226, v[40:41], v[42:43] offset0:32 offset1:33
	s_waitcnt vmcnt(24)
	ds_write2_b64 v226, v[36:37], v[38:39] offset0:34 offset1:35
	s_waitcnt vmcnt(23)
	ds_write2_b64 v226, v[32:33], v[34:35] offset0:36 offset1:37
	s_waitcnt vmcnt(22)
	ds_write2_b64 v226, v[28:29], v[30:31] offset0:38 offset1:39
	s_waitcnt vmcnt(21)
	ds_write2_b64 v226, v[24:25], v[26:27] offset0:40 offset1:41
	s_waitcnt vmcnt(20)
	ds_write2_b64 v226, v[20:21], v[22:23] offset0:42 offset1:43
	s_waitcnt vmcnt(9)
	ds_write2_b64 v226, v[16:17], v[18:19] offset0:44 offset1:45
	s_waitcnt vmcnt(7)
	ds_write2_b64 v226, v[12:13], v[14:15] offset0:46 offset1:47
	s_waitcnt vmcnt(6)
	ds_write2_b64 v226, v[8:9], v[10:11] offset0:48 offset1:49
	s_waitcnt vmcnt(5)
	ds_write2_b64 v226, v[4:5], v[6:7] offset0:50 offset1:51
	ds_write2_b64 v226, v[0:1], v[2:3] offset0:52 offset1:53
	s_waitcnt vmcnt(4)
	ds_write2_b64 v226, v[108:109], v[110:111] offset0:54 offset1:55
	ds_read2_b64 v[116:119], v255 offset1:1
	s_waitcnt lgkmcnt(0)
	v_cmp_neq_f64_e32 vcc, 0, v[116:117]
	v_cmp_neq_f64_e64 s[2:3], 0, v[118:119]
	s_or_b64 s[2:3], vcc, s[2:3]
	s_and_b64 exec, exec, s[2:3]
	s_cbranch_execz .LBB55_17
; %bb.12:
	v_cmp_ngt_f64_e64 s[2:3], |v[116:117]|, |v[118:119]|
                                        ; implicit-def: $vgpr120_vgpr121
	s_and_saveexec_b64 s[10:11], s[2:3]
	s_xor_b64 s[2:3], exec, s[10:11]
                                        ; implicit-def: $vgpr122_vgpr123
	s_cbranch_execz .LBB55_14
; %bb.13:
	v_div_scale_f64 v[120:121], s[10:11], v[118:119], v[118:119], v[116:117]
	v_rcp_f64_e32 v[122:123], v[120:121]
	v_div_scale_f64 v[124:125], vcc, v[116:117], v[118:119], v[116:117]
	v_fma_f64 v[126:127], -v[120:121], v[122:123], 1.0
	v_fmac_f64_e32 v[122:123], v[122:123], v[126:127]
	v_fma_f64 v[126:127], -v[120:121], v[122:123], 1.0
	v_fmac_f64_e32 v[122:123], v[122:123], v[126:127]
	v_mul_f64 v[126:127], v[124:125], v[122:123]
	v_fma_f64 v[120:121], -v[120:121], v[126:127], v[124:125]
	v_div_fmas_f64 v[120:121], v[120:121], v[122:123], v[126:127]
	v_div_fixup_f64 v[120:121], v[120:121], v[118:119], v[116:117]
	v_fmac_f64_e32 v[118:119], v[116:117], v[120:121]
	v_div_scale_f64 v[116:117], s[10:11], v[118:119], v[118:119], 1.0
	v_rcp_f64_e32 v[122:123], v[116:117]
	s_nop 0
	v_fma_f64 v[124:125], -v[116:117], v[122:123], 1.0
	v_fmac_f64_e32 v[122:123], v[122:123], v[124:125]
	v_fma_f64 v[124:125], -v[116:117], v[122:123], 1.0
	v_fmac_f64_e32 v[122:123], v[122:123], v[124:125]
	v_div_scale_f64 v[124:125], vcc, 1.0, v[118:119], 1.0
	v_mul_f64 v[126:127], v[124:125], v[122:123]
	v_fma_f64 v[116:117], -v[116:117], v[126:127], v[124:125]
	s_nop 1
	v_div_fmas_f64 v[116:117], v[116:117], v[122:123], v[126:127]
	v_div_fixup_f64 v[122:123], v[116:117], v[118:119], 1.0
	v_mul_f64 v[120:121], v[120:121], v[122:123]
	v_xor_b32_e32 v123, 0x80000000, v123
                                        ; implicit-def: $vgpr116_vgpr117
.LBB55_14:
	s_andn2_saveexec_b64 s[2:3], s[2:3]
	s_cbranch_execz .LBB55_16
; %bb.15:
	v_div_scale_f64 v[120:121], s[10:11], v[116:117], v[116:117], v[118:119]
	v_rcp_f64_e32 v[122:123], v[120:121]
	v_div_scale_f64 v[124:125], vcc, v[118:119], v[116:117], v[118:119]
	v_fma_f64 v[126:127], -v[120:121], v[122:123], 1.0
	v_fmac_f64_e32 v[122:123], v[122:123], v[126:127]
	v_fma_f64 v[126:127], -v[120:121], v[122:123], 1.0
	v_fmac_f64_e32 v[122:123], v[122:123], v[126:127]
	v_mul_f64 v[126:127], v[124:125], v[122:123]
	v_fma_f64 v[120:121], -v[120:121], v[126:127], v[124:125]
	v_div_fmas_f64 v[120:121], v[120:121], v[122:123], v[126:127]
	v_div_fixup_f64 v[122:123], v[120:121], v[116:117], v[118:119]
	v_fmac_f64_e32 v[116:117], v[118:119], v[122:123]
	v_div_scale_f64 v[118:119], s[10:11], v[116:117], v[116:117], 1.0
	v_rcp_f64_e32 v[120:121], v[118:119]
	s_nop 0
	v_fma_f64 v[124:125], -v[118:119], v[120:121], 1.0
	v_fmac_f64_e32 v[120:121], v[120:121], v[124:125]
	v_fma_f64 v[124:125], -v[118:119], v[120:121], 1.0
	v_fmac_f64_e32 v[120:121], v[120:121], v[124:125]
	v_div_scale_f64 v[124:125], vcc, 1.0, v[116:117], 1.0
	v_mul_f64 v[126:127], v[124:125], v[120:121]
	v_fma_f64 v[118:119], -v[118:119], v[126:127], v[124:125]
	s_nop 1
	v_div_fmas_f64 v[118:119], v[118:119], v[120:121], v[126:127]
	v_div_fixup_f64 v[120:121], v[118:119], v[116:117], 1.0
	v_mul_f64 v[122:123], v[122:123], -v[120:121]
.LBB55_16:
	s_or_b64 exec, exec, s[2:3]
	ds_write2_b64 v255, v[120:121], v[122:123] offset1:1
.LBB55_17:
	s_or_b64 exec, exec, s[4:5]
	s_waitcnt lgkmcnt(0)
	s_barrier
	ds_read2_b64 v[116:119], v255 offset1:1
	v_cmp_lt_u32_e32 vcc, 1, v254
	s_and_saveexec_b64 s[2:3], vcc
	s_cbranch_execz .LBB55_19
; %bb.18:
	ds_read2_b64 v[122:125], v226 offset0:4 offset1:5
	ds_read2_b64 v[126:129], v226 offset0:6 offset1:7
	s_waitcnt vmcnt(40) lgkmcnt(2)
	v_mul_f64 v[120:121], v[118:119], v[102:103]
	v_mul_f64 v[102:103], v[116:117], v[102:103]
	v_fmac_f64_e32 v[102:103], v[118:119], v[100:101]
	v_fma_f64 v[120:121], v[116:117], v[100:101], -v[120:121]
	s_waitcnt lgkmcnt(1)
	v_mul_f64 v[100:101], v[124:125], v[102:103]
	v_fma_f64 v[100:101], v[122:123], v[120:121], -v[100:101]
	v_mul_f64 v[122:123], v[122:123], v[102:103]
	v_fmac_f64_e32 v[122:123], v[124:125], v[120:121]
	s_waitcnt vmcnt(39)
	v_add_f64 v[96:97], v[96:97], -v[100:101]
	v_add_f64 v[98:99], v[98:99], -v[122:123]
	s_waitcnt lgkmcnt(0)
	v_mul_f64 v[100:101], v[128:129], v[102:103]
	ds_read2_b64 v[122:125], v226 offset0:8 offset1:9
	v_fma_f64 v[100:101], v[126:127], v[120:121], -v[100:101]
	v_mul_f64 v[126:127], v[126:127], v[102:103]
	v_fmac_f64_e32 v[126:127], v[128:129], v[120:121]
	s_waitcnt vmcnt(38)
	v_add_f64 v[94:95], v[94:95], -v[126:127]
	ds_read2_b64 v[126:129], v226 offset0:10 offset1:11
	v_add_f64 v[92:93], v[92:93], -v[100:101]
	s_waitcnt lgkmcnt(1)
	v_mul_f64 v[100:101], v[124:125], v[102:103]
	v_fma_f64 v[100:101], v[122:123], v[120:121], -v[100:101]
	v_mul_f64 v[122:123], v[122:123], v[102:103]
	v_fmac_f64_e32 v[122:123], v[124:125], v[120:121]
	s_waitcnt vmcnt(37)
	v_add_f64 v[88:89], v[88:89], -v[100:101]
	v_add_f64 v[90:91], v[90:91], -v[122:123]
	s_waitcnt lgkmcnt(0)
	v_mul_f64 v[100:101], v[128:129], v[102:103]
	ds_read2_b64 v[122:125], v226 offset0:12 offset1:13
	v_fma_f64 v[100:101], v[126:127], v[120:121], -v[100:101]
	v_mul_f64 v[126:127], v[126:127], v[102:103]
	v_fmac_f64_e32 v[126:127], v[128:129], v[120:121]
	s_waitcnt vmcnt(36)
	v_add_f64 v[86:87], v[86:87], -v[126:127]
	ds_read2_b64 v[126:129], v226 offset0:14 offset1:15
	v_add_f64 v[84:85], v[84:85], -v[100:101]
	;; [unrolled: 18-line block ×12, first 2 shown]
	s_waitcnt lgkmcnt(1)
	v_mul_f64 v[100:101], v[124:125], v[102:103]
	v_fma_f64 v[100:101], v[122:123], v[120:121], -v[100:101]
	v_mul_f64 v[122:123], v[122:123], v[102:103]
	v_fmac_f64_e32 v[122:123], v[124:125], v[120:121]
	v_add_f64 v[0:1], v[0:1], -v[100:101]
	v_add_f64 v[2:3], v[2:3], -v[122:123]
	s_waitcnt lgkmcnt(0)
	v_mul_f64 v[100:101], v[128:129], v[102:103]
	v_mul_f64 v[122:123], v[126:127], v[102:103]
	v_fma_f64 v[100:101], v[126:127], v[120:121], -v[100:101]
	v_fmac_f64_e32 v[122:123], v[128:129], v[120:121]
	s_waitcnt vmcnt(4)
	v_add_f64 v[108:109], v[108:109], -v[100:101]
	v_add_f64 v[110:111], v[110:111], -v[122:123]
	v_mov_b64_e32 v[100:101], v[120:121]
.LBB55_19:
	s_or_b64 exec, exec, s[2:3]
	v_cmp_eq_u32_e32 vcc, 2, v254
	s_waitcnt lgkmcnt(0)
	s_barrier
	s_and_saveexec_b64 s[4:5], vcc
	s_cbranch_execz .LBB55_26
; %bb.20:
	s_waitcnt vmcnt(39)
	ds_write2_b64 v255, v[96:97], v[98:99] offset1:1
	s_waitcnt vmcnt(38)
	ds_write2_b64 v226, v[92:93], v[94:95] offset0:6 offset1:7
	s_waitcnt vmcnt(37)
	ds_write2_b64 v226, v[88:89], v[90:91] offset0:8 offset1:9
	s_waitcnt vmcnt(36)
	ds_write2_b64 v226, v[84:85], v[86:87] offset0:10 offset1:11
	s_waitcnt vmcnt(35)
	ds_write2_b64 v226, v[80:81], v[82:83] offset0:12 offset1:13
	s_waitcnt vmcnt(34)
	ds_write2_b64 v226, v[76:77], v[78:79] offset0:14 offset1:15
	s_waitcnt vmcnt(33)
	ds_write2_b64 v226, v[72:73], v[74:75] offset0:16 offset1:17
	s_waitcnt vmcnt(32)
	ds_write2_b64 v226, v[68:69], v[70:71] offset0:18 offset1:19
	s_waitcnt vmcnt(31)
	ds_write2_b64 v226, v[64:65], v[66:67] offset0:20 offset1:21
	s_waitcnt vmcnt(30)
	ds_write2_b64 v226, v[60:61], v[62:63] offset0:22 offset1:23
	s_waitcnt vmcnt(29)
	ds_write2_b64 v226, v[56:57], v[58:59] offset0:24 offset1:25
	s_waitcnt vmcnt(28)
	ds_write2_b64 v226, v[52:53], v[54:55] offset0:26 offset1:27
	s_waitcnt vmcnt(27)
	ds_write2_b64 v226, v[48:49], v[50:51] offset0:28 offset1:29
	s_waitcnt vmcnt(26)
	ds_write2_b64 v226, v[44:45], v[46:47] offset0:30 offset1:31
	s_waitcnt vmcnt(25)
	ds_write2_b64 v226, v[40:41], v[42:43] offset0:32 offset1:33
	s_waitcnt vmcnt(24)
	ds_write2_b64 v226, v[36:37], v[38:39] offset0:34 offset1:35
	s_waitcnt vmcnt(23)
	ds_write2_b64 v226, v[32:33], v[34:35] offset0:36 offset1:37
	s_waitcnt vmcnt(22)
	ds_write2_b64 v226, v[28:29], v[30:31] offset0:38 offset1:39
	s_waitcnt vmcnt(21)
	ds_write2_b64 v226, v[24:25], v[26:27] offset0:40 offset1:41
	s_waitcnt vmcnt(20)
	ds_write2_b64 v226, v[20:21], v[22:23] offset0:42 offset1:43
	s_waitcnt vmcnt(9)
	ds_write2_b64 v226, v[16:17], v[18:19] offset0:44 offset1:45
	s_waitcnt vmcnt(7)
	ds_write2_b64 v226, v[12:13], v[14:15] offset0:46 offset1:47
	s_waitcnt vmcnt(6)
	ds_write2_b64 v226, v[8:9], v[10:11] offset0:48 offset1:49
	s_waitcnt vmcnt(5)
	ds_write2_b64 v226, v[4:5], v[6:7] offset0:50 offset1:51
	ds_write2_b64 v226, v[0:1], v[2:3] offset0:52 offset1:53
	s_waitcnt vmcnt(4)
	ds_write2_b64 v226, v[108:109], v[110:111] offset0:54 offset1:55
	ds_read2_b64 v[120:123], v255 offset1:1
	s_waitcnt lgkmcnt(0)
	v_cmp_neq_f64_e32 vcc, 0, v[120:121]
	v_cmp_neq_f64_e64 s[2:3], 0, v[122:123]
	s_or_b64 s[2:3], vcc, s[2:3]
	s_and_b64 exec, exec, s[2:3]
	s_cbranch_execz .LBB55_26
; %bb.21:
	v_cmp_ngt_f64_e64 s[2:3], |v[120:121]|, |v[122:123]|
                                        ; implicit-def: $vgpr124_vgpr125
	s_and_saveexec_b64 s[10:11], s[2:3]
	s_xor_b64 s[2:3], exec, s[10:11]
                                        ; implicit-def: $vgpr126_vgpr127
	s_cbranch_execz .LBB55_23
; %bb.22:
	v_div_scale_f64 v[124:125], s[10:11], v[122:123], v[122:123], v[120:121]
	v_rcp_f64_e32 v[126:127], v[124:125]
	v_div_scale_f64 v[128:129], vcc, v[120:121], v[122:123], v[120:121]
	v_fma_f64 v[130:131], -v[124:125], v[126:127], 1.0
	v_fmac_f64_e32 v[126:127], v[126:127], v[130:131]
	v_fma_f64 v[130:131], -v[124:125], v[126:127], 1.0
	v_fmac_f64_e32 v[126:127], v[126:127], v[130:131]
	v_mul_f64 v[130:131], v[128:129], v[126:127]
	v_fma_f64 v[124:125], -v[124:125], v[130:131], v[128:129]
	v_div_fmas_f64 v[124:125], v[124:125], v[126:127], v[130:131]
	v_div_fixup_f64 v[124:125], v[124:125], v[122:123], v[120:121]
	v_fmac_f64_e32 v[122:123], v[120:121], v[124:125]
	v_div_scale_f64 v[120:121], s[10:11], v[122:123], v[122:123], 1.0
	v_rcp_f64_e32 v[126:127], v[120:121]
	s_nop 0
	v_fma_f64 v[128:129], -v[120:121], v[126:127], 1.0
	v_fmac_f64_e32 v[126:127], v[126:127], v[128:129]
	v_fma_f64 v[128:129], -v[120:121], v[126:127], 1.0
	v_fmac_f64_e32 v[126:127], v[126:127], v[128:129]
	v_div_scale_f64 v[128:129], vcc, 1.0, v[122:123], 1.0
	v_mul_f64 v[130:131], v[128:129], v[126:127]
	v_fma_f64 v[120:121], -v[120:121], v[130:131], v[128:129]
	s_nop 1
	v_div_fmas_f64 v[120:121], v[120:121], v[126:127], v[130:131]
	v_div_fixup_f64 v[126:127], v[120:121], v[122:123], 1.0
	v_mul_f64 v[124:125], v[124:125], v[126:127]
	v_xor_b32_e32 v127, 0x80000000, v127
                                        ; implicit-def: $vgpr120_vgpr121
.LBB55_23:
	s_andn2_saveexec_b64 s[2:3], s[2:3]
	s_cbranch_execz .LBB55_25
; %bb.24:
	v_div_scale_f64 v[124:125], s[10:11], v[120:121], v[120:121], v[122:123]
	v_rcp_f64_e32 v[126:127], v[124:125]
	v_div_scale_f64 v[128:129], vcc, v[122:123], v[120:121], v[122:123]
	v_fma_f64 v[130:131], -v[124:125], v[126:127], 1.0
	v_fmac_f64_e32 v[126:127], v[126:127], v[130:131]
	v_fma_f64 v[130:131], -v[124:125], v[126:127], 1.0
	v_fmac_f64_e32 v[126:127], v[126:127], v[130:131]
	v_mul_f64 v[130:131], v[128:129], v[126:127]
	v_fma_f64 v[124:125], -v[124:125], v[130:131], v[128:129]
	v_div_fmas_f64 v[124:125], v[124:125], v[126:127], v[130:131]
	v_div_fixup_f64 v[126:127], v[124:125], v[120:121], v[122:123]
	v_fmac_f64_e32 v[120:121], v[122:123], v[126:127]
	v_div_scale_f64 v[122:123], s[10:11], v[120:121], v[120:121], 1.0
	v_rcp_f64_e32 v[124:125], v[122:123]
	s_nop 0
	v_fma_f64 v[128:129], -v[122:123], v[124:125], 1.0
	v_fmac_f64_e32 v[124:125], v[124:125], v[128:129]
	v_fma_f64 v[128:129], -v[122:123], v[124:125], 1.0
	v_fmac_f64_e32 v[124:125], v[124:125], v[128:129]
	v_div_scale_f64 v[128:129], vcc, 1.0, v[120:121], 1.0
	v_mul_f64 v[130:131], v[128:129], v[124:125]
	v_fma_f64 v[122:123], -v[122:123], v[130:131], v[128:129]
	s_nop 1
	v_div_fmas_f64 v[122:123], v[122:123], v[124:125], v[130:131]
	v_div_fixup_f64 v[124:125], v[122:123], v[120:121], 1.0
	v_mul_f64 v[126:127], v[126:127], -v[124:125]
.LBB55_25:
	s_or_b64 exec, exec, s[2:3]
	ds_write2_b64 v255, v[124:125], v[126:127] offset1:1
.LBB55_26:
	s_or_b64 exec, exec, s[4:5]
	s_waitcnt lgkmcnt(0)
	s_barrier
	ds_read2_b64 v[120:123], v255 offset1:1
	v_cmp_lt_u32_e32 vcc, 2, v254
	s_and_saveexec_b64 s[2:3], vcc
	s_cbranch_execz .LBB55_28
; %bb.27:
	ds_read2_b64 v[126:129], v226 offset0:6 offset1:7
	ds_read2_b64 v[130:133], v226 offset0:8 offset1:9
	s_waitcnt vmcnt(39) lgkmcnt(2)
	v_mul_f64 v[124:125], v[122:123], v[98:99]
	v_mul_f64 v[98:99], v[120:121], v[98:99]
	v_fmac_f64_e32 v[98:99], v[122:123], v[96:97]
	v_fma_f64 v[124:125], v[120:121], v[96:97], -v[124:125]
	s_waitcnt lgkmcnt(1)
	v_mul_f64 v[96:97], v[128:129], v[98:99]
	v_fma_f64 v[96:97], v[126:127], v[124:125], -v[96:97]
	v_mul_f64 v[126:127], v[126:127], v[98:99]
	v_fmac_f64_e32 v[126:127], v[128:129], v[124:125]
	s_waitcnt vmcnt(38)
	v_add_f64 v[94:95], v[94:95], -v[126:127]
	ds_read2_b64 v[126:129], v226 offset0:10 offset1:11
	v_add_f64 v[92:93], v[92:93], -v[96:97]
	s_waitcnt lgkmcnt(1)
	v_mul_f64 v[96:97], v[132:133], v[98:99]
	v_fma_f64 v[96:97], v[130:131], v[124:125], -v[96:97]
	v_mul_f64 v[130:131], v[130:131], v[98:99]
	v_fmac_f64_e32 v[130:131], v[132:133], v[124:125]
	s_waitcnt vmcnt(37)
	v_add_f64 v[88:89], v[88:89], -v[96:97]
	v_add_f64 v[90:91], v[90:91], -v[130:131]
	ds_read2_b64 v[130:133], v226 offset0:12 offset1:13
	s_waitcnt lgkmcnt(1)
	v_mul_f64 v[96:97], v[128:129], v[98:99]
	v_fma_f64 v[96:97], v[126:127], v[124:125], -v[96:97]
	v_mul_f64 v[126:127], v[126:127], v[98:99]
	v_fmac_f64_e32 v[126:127], v[128:129], v[124:125]
	s_waitcnt vmcnt(36)
	v_add_f64 v[86:87], v[86:87], -v[126:127]
	ds_read2_b64 v[126:129], v226 offset0:14 offset1:15
	v_add_f64 v[84:85], v[84:85], -v[96:97]
	s_waitcnt lgkmcnt(1)
	v_mul_f64 v[96:97], v[132:133], v[98:99]
	v_fma_f64 v[96:97], v[130:131], v[124:125], -v[96:97]
	v_mul_f64 v[130:131], v[130:131], v[98:99]
	v_fmac_f64_e32 v[130:131], v[132:133], v[124:125]
	s_waitcnt vmcnt(35)
	v_add_f64 v[80:81], v[80:81], -v[96:97]
	v_add_f64 v[82:83], v[82:83], -v[130:131]
	ds_read2_b64 v[130:133], v226 offset0:16 offset1:17
	;; [unrolled: 18-line block ×11, first 2 shown]
	s_waitcnt lgkmcnt(1)
	v_mul_f64 v[96:97], v[128:129], v[98:99]
	v_fma_f64 v[96:97], v[126:127], v[124:125], -v[96:97]
	v_mul_f64 v[126:127], v[126:127], v[98:99]
	v_fmac_f64_e32 v[126:127], v[128:129], v[124:125]
	s_waitcnt vmcnt(5)
	v_add_f64 v[6:7], v[6:7], -v[126:127]
	ds_read2_b64 v[126:129], v226 offset0:54 offset1:55
	v_add_f64 v[4:5], v[4:5], -v[96:97]
	s_waitcnt lgkmcnt(1)
	v_mul_f64 v[96:97], v[132:133], v[98:99]
	v_fma_f64 v[96:97], v[130:131], v[124:125], -v[96:97]
	v_add_f64 v[0:1], v[0:1], -v[96:97]
	s_waitcnt lgkmcnt(0)
	v_mul_f64 v[96:97], v[128:129], v[98:99]
	v_mul_f64 v[130:131], v[130:131], v[98:99]
	v_fma_f64 v[96:97], v[126:127], v[124:125], -v[96:97]
	v_mul_f64 v[126:127], v[126:127], v[98:99]
	v_fmac_f64_e32 v[130:131], v[132:133], v[124:125]
	v_fmac_f64_e32 v[126:127], v[128:129], v[124:125]
	v_add_f64 v[2:3], v[2:3], -v[130:131]
	s_waitcnt vmcnt(4)
	v_add_f64 v[108:109], v[108:109], -v[96:97]
	v_add_f64 v[110:111], v[110:111], -v[126:127]
	v_mov_b64_e32 v[96:97], v[124:125]
.LBB55_28:
	s_or_b64 exec, exec, s[2:3]
	v_cmp_eq_u32_e32 vcc, 3, v254
	s_waitcnt lgkmcnt(0)
	s_barrier
	s_and_saveexec_b64 s[4:5], vcc
	s_cbranch_execz .LBB55_35
; %bb.29:
	s_waitcnt vmcnt(38)
	ds_write2_b64 v255, v[92:93], v[94:95] offset1:1
	s_waitcnt vmcnt(37)
	ds_write2_b64 v226, v[88:89], v[90:91] offset0:8 offset1:9
	s_waitcnt vmcnt(36)
	ds_write2_b64 v226, v[84:85], v[86:87] offset0:10 offset1:11
	;; [unrolled: 2-line block ×22, first 2 shown]
	ds_write2_b64 v226, v[0:1], v[2:3] offset0:52 offset1:53
	s_waitcnt vmcnt(4)
	ds_write2_b64 v226, v[108:109], v[110:111] offset0:54 offset1:55
	ds_read2_b64 v[124:127], v255 offset1:1
	s_waitcnt lgkmcnt(0)
	v_cmp_neq_f64_e32 vcc, 0, v[124:125]
	v_cmp_neq_f64_e64 s[2:3], 0, v[126:127]
	s_or_b64 s[2:3], vcc, s[2:3]
	s_and_b64 exec, exec, s[2:3]
	s_cbranch_execz .LBB55_35
; %bb.30:
	v_cmp_ngt_f64_e64 s[2:3], |v[124:125]|, |v[126:127]|
                                        ; implicit-def: $vgpr128_vgpr129
	s_and_saveexec_b64 s[10:11], s[2:3]
	s_xor_b64 s[2:3], exec, s[10:11]
                                        ; implicit-def: $vgpr130_vgpr131
	s_cbranch_execz .LBB55_32
; %bb.31:
	v_div_scale_f64 v[128:129], s[10:11], v[126:127], v[126:127], v[124:125]
	v_rcp_f64_e32 v[130:131], v[128:129]
	v_div_scale_f64 v[132:133], vcc, v[124:125], v[126:127], v[124:125]
	v_fma_f64 v[134:135], -v[128:129], v[130:131], 1.0
	v_fmac_f64_e32 v[130:131], v[130:131], v[134:135]
	v_fma_f64 v[134:135], -v[128:129], v[130:131], 1.0
	v_fmac_f64_e32 v[130:131], v[130:131], v[134:135]
	v_mul_f64 v[134:135], v[132:133], v[130:131]
	v_fma_f64 v[128:129], -v[128:129], v[134:135], v[132:133]
	v_div_fmas_f64 v[128:129], v[128:129], v[130:131], v[134:135]
	v_div_fixup_f64 v[128:129], v[128:129], v[126:127], v[124:125]
	v_fmac_f64_e32 v[126:127], v[124:125], v[128:129]
	v_div_scale_f64 v[124:125], s[10:11], v[126:127], v[126:127], 1.0
	v_rcp_f64_e32 v[130:131], v[124:125]
	s_nop 0
	v_fma_f64 v[132:133], -v[124:125], v[130:131], 1.0
	v_fmac_f64_e32 v[130:131], v[130:131], v[132:133]
	v_fma_f64 v[132:133], -v[124:125], v[130:131], 1.0
	v_fmac_f64_e32 v[130:131], v[130:131], v[132:133]
	v_div_scale_f64 v[132:133], vcc, 1.0, v[126:127], 1.0
	v_mul_f64 v[134:135], v[132:133], v[130:131]
	v_fma_f64 v[124:125], -v[124:125], v[134:135], v[132:133]
	s_nop 1
	v_div_fmas_f64 v[124:125], v[124:125], v[130:131], v[134:135]
	v_div_fixup_f64 v[130:131], v[124:125], v[126:127], 1.0
	v_mul_f64 v[128:129], v[128:129], v[130:131]
	v_xor_b32_e32 v131, 0x80000000, v131
                                        ; implicit-def: $vgpr124_vgpr125
.LBB55_32:
	s_andn2_saveexec_b64 s[2:3], s[2:3]
	s_cbranch_execz .LBB55_34
; %bb.33:
	v_div_scale_f64 v[128:129], s[10:11], v[124:125], v[124:125], v[126:127]
	v_rcp_f64_e32 v[130:131], v[128:129]
	v_div_scale_f64 v[132:133], vcc, v[126:127], v[124:125], v[126:127]
	v_fma_f64 v[134:135], -v[128:129], v[130:131], 1.0
	v_fmac_f64_e32 v[130:131], v[130:131], v[134:135]
	v_fma_f64 v[134:135], -v[128:129], v[130:131], 1.0
	v_fmac_f64_e32 v[130:131], v[130:131], v[134:135]
	v_mul_f64 v[134:135], v[132:133], v[130:131]
	v_fma_f64 v[128:129], -v[128:129], v[134:135], v[132:133]
	v_div_fmas_f64 v[128:129], v[128:129], v[130:131], v[134:135]
	v_div_fixup_f64 v[130:131], v[128:129], v[124:125], v[126:127]
	v_fmac_f64_e32 v[124:125], v[126:127], v[130:131]
	v_div_scale_f64 v[126:127], s[10:11], v[124:125], v[124:125], 1.0
	v_rcp_f64_e32 v[128:129], v[126:127]
	s_nop 0
	v_fma_f64 v[132:133], -v[126:127], v[128:129], 1.0
	v_fmac_f64_e32 v[128:129], v[128:129], v[132:133]
	v_fma_f64 v[132:133], -v[126:127], v[128:129], 1.0
	v_fmac_f64_e32 v[128:129], v[128:129], v[132:133]
	v_div_scale_f64 v[132:133], vcc, 1.0, v[124:125], 1.0
	v_mul_f64 v[134:135], v[132:133], v[128:129]
	v_fma_f64 v[126:127], -v[126:127], v[134:135], v[132:133]
	s_nop 1
	v_div_fmas_f64 v[126:127], v[126:127], v[128:129], v[134:135]
	v_div_fixup_f64 v[128:129], v[126:127], v[124:125], 1.0
	v_mul_f64 v[130:131], v[130:131], -v[128:129]
.LBB55_34:
	s_or_b64 exec, exec, s[2:3]
	ds_write2_b64 v255, v[128:129], v[130:131] offset1:1
.LBB55_35:
	s_or_b64 exec, exec, s[4:5]
	s_waitcnt lgkmcnt(0)
	s_barrier
	ds_read2_b64 v[124:127], v255 offset1:1
	v_cmp_lt_u32_e32 vcc, 3, v254
	s_and_saveexec_b64 s[2:3], vcc
	s_cbranch_execz .LBB55_37
; %bb.36:
	ds_read2_b64 v[130:133], v226 offset0:8 offset1:9
	ds_read2_b64 v[134:137], v226 offset0:10 offset1:11
	s_waitcnt vmcnt(38) lgkmcnt(2)
	v_mul_f64 v[128:129], v[126:127], v[94:95]
	v_mul_f64 v[94:95], v[124:125], v[94:95]
	v_fmac_f64_e32 v[94:95], v[126:127], v[92:93]
	v_fma_f64 v[128:129], v[124:125], v[92:93], -v[128:129]
	s_waitcnt lgkmcnt(1)
	v_mul_f64 v[92:93], v[132:133], v[94:95]
	v_fma_f64 v[92:93], v[130:131], v[128:129], -v[92:93]
	v_mul_f64 v[130:131], v[130:131], v[94:95]
	v_fmac_f64_e32 v[130:131], v[132:133], v[128:129]
	s_waitcnt vmcnt(37)
	v_add_f64 v[88:89], v[88:89], -v[92:93]
	v_add_f64 v[90:91], v[90:91], -v[130:131]
	s_waitcnt lgkmcnt(0)
	v_mul_f64 v[92:93], v[136:137], v[94:95]
	ds_read2_b64 v[130:133], v226 offset0:12 offset1:13
	v_fma_f64 v[92:93], v[134:135], v[128:129], -v[92:93]
	v_mul_f64 v[134:135], v[134:135], v[94:95]
	v_fmac_f64_e32 v[134:135], v[136:137], v[128:129]
	s_waitcnt vmcnt(36)
	v_add_f64 v[86:87], v[86:87], -v[134:135]
	ds_read2_b64 v[134:137], v226 offset0:14 offset1:15
	v_add_f64 v[84:85], v[84:85], -v[92:93]
	s_waitcnt lgkmcnt(1)
	v_mul_f64 v[92:93], v[132:133], v[94:95]
	v_fma_f64 v[92:93], v[130:131], v[128:129], -v[92:93]
	v_mul_f64 v[130:131], v[130:131], v[94:95]
	v_fmac_f64_e32 v[130:131], v[132:133], v[128:129]
	s_waitcnt vmcnt(35)
	v_add_f64 v[80:81], v[80:81], -v[92:93]
	v_add_f64 v[82:83], v[82:83], -v[130:131]
	s_waitcnt lgkmcnt(0)
	v_mul_f64 v[92:93], v[136:137], v[94:95]
	ds_read2_b64 v[130:133], v226 offset0:16 offset1:17
	v_fma_f64 v[92:93], v[134:135], v[128:129], -v[92:93]
	v_mul_f64 v[134:135], v[134:135], v[94:95]
	v_fmac_f64_e32 v[134:135], v[136:137], v[128:129]
	s_waitcnt vmcnt(34)
	v_add_f64 v[78:79], v[78:79], -v[134:135]
	ds_read2_b64 v[134:137], v226 offset0:18 offset1:19
	v_add_f64 v[76:77], v[76:77], -v[92:93]
	;; [unrolled: 18-line block ×11, first 2 shown]
	s_waitcnt lgkmcnt(1)
	v_mul_f64 v[92:93], v[132:133], v[94:95]
	v_fma_f64 v[92:93], v[130:131], v[128:129], -v[92:93]
	v_mul_f64 v[130:131], v[130:131], v[94:95]
	v_fmac_f64_e32 v[130:131], v[132:133], v[128:129]
	v_add_f64 v[0:1], v[0:1], -v[92:93]
	v_add_f64 v[2:3], v[2:3], -v[130:131]
	s_waitcnt lgkmcnt(0)
	v_mul_f64 v[92:93], v[136:137], v[94:95]
	v_mul_f64 v[130:131], v[134:135], v[94:95]
	v_fma_f64 v[92:93], v[134:135], v[128:129], -v[92:93]
	v_fmac_f64_e32 v[130:131], v[136:137], v[128:129]
	s_waitcnt vmcnt(4)
	v_add_f64 v[108:109], v[108:109], -v[92:93]
	v_add_f64 v[110:111], v[110:111], -v[130:131]
	v_mov_b64_e32 v[92:93], v[128:129]
.LBB55_37:
	s_or_b64 exec, exec, s[2:3]
	v_cmp_eq_u32_e32 vcc, 4, v254
	s_waitcnt lgkmcnt(0)
	s_barrier
	s_and_saveexec_b64 s[4:5], vcc
	s_cbranch_execz .LBB55_44
; %bb.38:
	s_waitcnt vmcnt(37)
	ds_write2_b64 v255, v[88:89], v[90:91] offset1:1
	s_waitcnt vmcnt(36)
	ds_write2_b64 v226, v[84:85], v[86:87] offset0:10 offset1:11
	s_waitcnt vmcnt(35)
	ds_write2_b64 v226, v[80:81], v[82:83] offset0:12 offset1:13
	;; [unrolled: 2-line block ×21, first 2 shown]
	ds_write2_b64 v226, v[0:1], v[2:3] offset0:52 offset1:53
	s_waitcnt vmcnt(4)
	ds_write2_b64 v226, v[108:109], v[110:111] offset0:54 offset1:55
	ds_read2_b64 v[128:131], v255 offset1:1
	s_waitcnt lgkmcnt(0)
	v_cmp_neq_f64_e32 vcc, 0, v[128:129]
	v_cmp_neq_f64_e64 s[2:3], 0, v[130:131]
	s_or_b64 s[2:3], vcc, s[2:3]
	s_and_b64 exec, exec, s[2:3]
	s_cbranch_execz .LBB55_44
; %bb.39:
	v_cmp_ngt_f64_e64 s[2:3], |v[128:129]|, |v[130:131]|
                                        ; implicit-def: $vgpr132_vgpr133
	s_and_saveexec_b64 s[10:11], s[2:3]
	s_xor_b64 s[2:3], exec, s[10:11]
                                        ; implicit-def: $vgpr134_vgpr135
	s_cbranch_execz .LBB55_41
; %bb.40:
	v_div_scale_f64 v[132:133], s[10:11], v[130:131], v[130:131], v[128:129]
	v_rcp_f64_e32 v[134:135], v[132:133]
	v_div_scale_f64 v[136:137], vcc, v[128:129], v[130:131], v[128:129]
	v_fma_f64 v[138:139], -v[132:133], v[134:135], 1.0
	v_fmac_f64_e32 v[134:135], v[134:135], v[138:139]
	v_fma_f64 v[138:139], -v[132:133], v[134:135], 1.0
	v_fmac_f64_e32 v[134:135], v[134:135], v[138:139]
	v_mul_f64 v[138:139], v[136:137], v[134:135]
	v_fma_f64 v[132:133], -v[132:133], v[138:139], v[136:137]
	v_div_fmas_f64 v[132:133], v[132:133], v[134:135], v[138:139]
	v_div_fixup_f64 v[132:133], v[132:133], v[130:131], v[128:129]
	v_fmac_f64_e32 v[130:131], v[128:129], v[132:133]
	v_div_scale_f64 v[128:129], s[10:11], v[130:131], v[130:131], 1.0
	v_rcp_f64_e32 v[134:135], v[128:129]
	s_nop 0
	v_fma_f64 v[136:137], -v[128:129], v[134:135], 1.0
	v_fmac_f64_e32 v[134:135], v[134:135], v[136:137]
	v_fma_f64 v[136:137], -v[128:129], v[134:135], 1.0
	v_fmac_f64_e32 v[134:135], v[134:135], v[136:137]
	v_div_scale_f64 v[136:137], vcc, 1.0, v[130:131], 1.0
	v_mul_f64 v[138:139], v[136:137], v[134:135]
	v_fma_f64 v[128:129], -v[128:129], v[138:139], v[136:137]
	s_nop 1
	v_div_fmas_f64 v[128:129], v[128:129], v[134:135], v[138:139]
	v_div_fixup_f64 v[134:135], v[128:129], v[130:131], 1.0
	v_mul_f64 v[132:133], v[132:133], v[134:135]
	v_xor_b32_e32 v135, 0x80000000, v135
                                        ; implicit-def: $vgpr128_vgpr129
.LBB55_41:
	s_andn2_saveexec_b64 s[2:3], s[2:3]
	s_cbranch_execz .LBB55_43
; %bb.42:
	v_div_scale_f64 v[132:133], s[10:11], v[128:129], v[128:129], v[130:131]
	v_rcp_f64_e32 v[134:135], v[132:133]
	v_div_scale_f64 v[136:137], vcc, v[130:131], v[128:129], v[130:131]
	v_fma_f64 v[138:139], -v[132:133], v[134:135], 1.0
	v_fmac_f64_e32 v[134:135], v[134:135], v[138:139]
	v_fma_f64 v[138:139], -v[132:133], v[134:135], 1.0
	v_fmac_f64_e32 v[134:135], v[134:135], v[138:139]
	v_mul_f64 v[138:139], v[136:137], v[134:135]
	v_fma_f64 v[132:133], -v[132:133], v[138:139], v[136:137]
	v_div_fmas_f64 v[132:133], v[132:133], v[134:135], v[138:139]
	v_div_fixup_f64 v[134:135], v[132:133], v[128:129], v[130:131]
	v_fmac_f64_e32 v[128:129], v[130:131], v[134:135]
	v_div_scale_f64 v[130:131], s[10:11], v[128:129], v[128:129], 1.0
	v_rcp_f64_e32 v[132:133], v[130:131]
	s_nop 0
	v_fma_f64 v[136:137], -v[130:131], v[132:133], 1.0
	v_fmac_f64_e32 v[132:133], v[132:133], v[136:137]
	v_fma_f64 v[136:137], -v[130:131], v[132:133], 1.0
	v_fmac_f64_e32 v[132:133], v[132:133], v[136:137]
	v_div_scale_f64 v[136:137], vcc, 1.0, v[128:129], 1.0
	v_mul_f64 v[138:139], v[136:137], v[132:133]
	v_fma_f64 v[130:131], -v[130:131], v[138:139], v[136:137]
	s_nop 1
	v_div_fmas_f64 v[130:131], v[130:131], v[132:133], v[138:139]
	v_div_fixup_f64 v[132:133], v[130:131], v[128:129], 1.0
	v_mul_f64 v[134:135], v[134:135], -v[132:133]
.LBB55_43:
	s_or_b64 exec, exec, s[2:3]
	ds_write2_b64 v255, v[132:133], v[134:135] offset1:1
.LBB55_44:
	s_or_b64 exec, exec, s[4:5]
	s_waitcnt lgkmcnt(0)
	s_barrier
	ds_read2_b64 v[128:131], v255 offset1:1
	v_cmp_lt_u32_e32 vcc, 4, v254
	s_and_saveexec_b64 s[2:3], vcc
	s_cbranch_execz .LBB55_46
; %bb.45:
	ds_read2_b64 v[134:137], v226 offset0:10 offset1:11
	ds_read2_b64 v[138:141], v226 offset0:12 offset1:13
	s_waitcnt vmcnt(37) lgkmcnt(2)
	v_mul_f64 v[132:133], v[130:131], v[90:91]
	v_mul_f64 v[90:91], v[128:129], v[90:91]
	v_fmac_f64_e32 v[90:91], v[130:131], v[88:89]
	v_fma_f64 v[132:133], v[128:129], v[88:89], -v[132:133]
	s_waitcnt lgkmcnt(1)
	v_mul_f64 v[88:89], v[136:137], v[90:91]
	v_fma_f64 v[88:89], v[134:135], v[132:133], -v[88:89]
	v_mul_f64 v[134:135], v[134:135], v[90:91]
	v_fmac_f64_e32 v[134:135], v[136:137], v[132:133]
	s_waitcnt vmcnt(36)
	v_add_f64 v[86:87], v[86:87], -v[134:135]
	ds_read2_b64 v[134:137], v226 offset0:14 offset1:15
	v_add_f64 v[84:85], v[84:85], -v[88:89]
	s_waitcnt lgkmcnt(1)
	v_mul_f64 v[88:89], v[140:141], v[90:91]
	v_fma_f64 v[88:89], v[138:139], v[132:133], -v[88:89]
	v_mul_f64 v[138:139], v[138:139], v[90:91]
	v_fmac_f64_e32 v[138:139], v[140:141], v[132:133]
	s_waitcnt vmcnt(35)
	v_add_f64 v[80:81], v[80:81], -v[88:89]
	v_add_f64 v[82:83], v[82:83], -v[138:139]
	ds_read2_b64 v[138:141], v226 offset0:16 offset1:17
	s_waitcnt lgkmcnt(1)
	v_mul_f64 v[88:89], v[136:137], v[90:91]
	v_fma_f64 v[88:89], v[134:135], v[132:133], -v[88:89]
	v_mul_f64 v[134:135], v[134:135], v[90:91]
	v_fmac_f64_e32 v[134:135], v[136:137], v[132:133]
	s_waitcnt vmcnt(34)
	v_add_f64 v[78:79], v[78:79], -v[134:135]
	ds_read2_b64 v[134:137], v226 offset0:18 offset1:19
	v_add_f64 v[76:77], v[76:77], -v[88:89]
	s_waitcnt lgkmcnt(1)
	v_mul_f64 v[88:89], v[140:141], v[90:91]
	v_fma_f64 v[88:89], v[138:139], v[132:133], -v[88:89]
	v_mul_f64 v[138:139], v[138:139], v[90:91]
	v_fmac_f64_e32 v[138:139], v[140:141], v[132:133]
	s_waitcnt vmcnt(33)
	v_add_f64 v[72:73], v[72:73], -v[88:89]
	v_add_f64 v[74:75], v[74:75], -v[138:139]
	ds_read2_b64 v[138:141], v226 offset0:20 offset1:21
	;; [unrolled: 18-line block ×10, first 2 shown]
	s_waitcnt lgkmcnt(1)
	v_mul_f64 v[88:89], v[136:137], v[90:91]
	v_fma_f64 v[88:89], v[134:135], v[132:133], -v[88:89]
	v_mul_f64 v[134:135], v[134:135], v[90:91]
	v_fmac_f64_e32 v[134:135], v[136:137], v[132:133]
	s_waitcnt vmcnt(5)
	v_add_f64 v[6:7], v[6:7], -v[134:135]
	ds_read2_b64 v[134:137], v226 offset0:54 offset1:55
	v_add_f64 v[4:5], v[4:5], -v[88:89]
	s_waitcnt lgkmcnt(1)
	v_mul_f64 v[88:89], v[140:141], v[90:91]
	v_fma_f64 v[88:89], v[138:139], v[132:133], -v[88:89]
	v_add_f64 v[0:1], v[0:1], -v[88:89]
	s_waitcnt lgkmcnt(0)
	v_mul_f64 v[88:89], v[136:137], v[90:91]
	v_mul_f64 v[138:139], v[138:139], v[90:91]
	v_fma_f64 v[88:89], v[134:135], v[132:133], -v[88:89]
	v_mul_f64 v[134:135], v[134:135], v[90:91]
	v_fmac_f64_e32 v[138:139], v[140:141], v[132:133]
	v_fmac_f64_e32 v[134:135], v[136:137], v[132:133]
	v_add_f64 v[2:3], v[2:3], -v[138:139]
	s_waitcnt vmcnt(4)
	v_add_f64 v[108:109], v[108:109], -v[88:89]
	v_add_f64 v[110:111], v[110:111], -v[134:135]
	v_mov_b64_e32 v[88:89], v[132:133]
.LBB55_46:
	s_or_b64 exec, exec, s[2:3]
	v_cmp_eq_u32_e32 vcc, 5, v254
	s_waitcnt lgkmcnt(0)
	s_barrier
	s_and_saveexec_b64 s[4:5], vcc
	s_cbranch_execz .LBB55_53
; %bb.47:
	s_waitcnt vmcnt(36)
	ds_write2_b64 v255, v[84:85], v[86:87] offset1:1
	s_waitcnt vmcnt(35)
	ds_write2_b64 v226, v[80:81], v[82:83] offset0:12 offset1:13
	s_waitcnt vmcnt(34)
	ds_write2_b64 v226, v[76:77], v[78:79] offset0:14 offset1:15
	;; [unrolled: 2-line block ×20, first 2 shown]
	ds_write2_b64 v226, v[0:1], v[2:3] offset0:52 offset1:53
	s_waitcnt vmcnt(4)
	ds_write2_b64 v226, v[108:109], v[110:111] offset0:54 offset1:55
	ds_read2_b64 v[132:135], v255 offset1:1
	s_waitcnt lgkmcnt(0)
	v_cmp_neq_f64_e32 vcc, 0, v[132:133]
	v_cmp_neq_f64_e64 s[2:3], 0, v[134:135]
	s_or_b64 s[2:3], vcc, s[2:3]
	s_and_b64 exec, exec, s[2:3]
	s_cbranch_execz .LBB55_53
; %bb.48:
	v_cmp_ngt_f64_e64 s[2:3], |v[132:133]|, |v[134:135]|
                                        ; implicit-def: $vgpr136_vgpr137
	s_and_saveexec_b64 s[10:11], s[2:3]
	s_xor_b64 s[2:3], exec, s[10:11]
                                        ; implicit-def: $vgpr138_vgpr139
	s_cbranch_execz .LBB55_50
; %bb.49:
	v_div_scale_f64 v[136:137], s[10:11], v[134:135], v[134:135], v[132:133]
	v_rcp_f64_e32 v[138:139], v[136:137]
	v_div_scale_f64 v[140:141], vcc, v[132:133], v[134:135], v[132:133]
	v_fma_f64 v[142:143], -v[136:137], v[138:139], 1.0
	v_fmac_f64_e32 v[138:139], v[138:139], v[142:143]
	v_fma_f64 v[142:143], -v[136:137], v[138:139], 1.0
	v_fmac_f64_e32 v[138:139], v[138:139], v[142:143]
	v_mul_f64 v[142:143], v[140:141], v[138:139]
	v_fma_f64 v[136:137], -v[136:137], v[142:143], v[140:141]
	v_div_fmas_f64 v[136:137], v[136:137], v[138:139], v[142:143]
	v_div_fixup_f64 v[136:137], v[136:137], v[134:135], v[132:133]
	v_fmac_f64_e32 v[134:135], v[132:133], v[136:137]
	v_div_scale_f64 v[132:133], s[10:11], v[134:135], v[134:135], 1.0
	v_rcp_f64_e32 v[138:139], v[132:133]
	s_nop 0
	v_fma_f64 v[140:141], -v[132:133], v[138:139], 1.0
	v_fmac_f64_e32 v[138:139], v[138:139], v[140:141]
	v_fma_f64 v[140:141], -v[132:133], v[138:139], 1.0
	v_fmac_f64_e32 v[138:139], v[138:139], v[140:141]
	v_div_scale_f64 v[140:141], vcc, 1.0, v[134:135], 1.0
	v_mul_f64 v[142:143], v[140:141], v[138:139]
	v_fma_f64 v[132:133], -v[132:133], v[142:143], v[140:141]
	s_nop 1
	v_div_fmas_f64 v[132:133], v[132:133], v[138:139], v[142:143]
	v_div_fixup_f64 v[138:139], v[132:133], v[134:135], 1.0
	v_mul_f64 v[136:137], v[136:137], v[138:139]
	v_xor_b32_e32 v139, 0x80000000, v139
                                        ; implicit-def: $vgpr132_vgpr133
.LBB55_50:
	s_andn2_saveexec_b64 s[2:3], s[2:3]
	s_cbranch_execz .LBB55_52
; %bb.51:
	v_div_scale_f64 v[136:137], s[10:11], v[132:133], v[132:133], v[134:135]
	v_rcp_f64_e32 v[138:139], v[136:137]
	v_div_scale_f64 v[140:141], vcc, v[134:135], v[132:133], v[134:135]
	v_fma_f64 v[142:143], -v[136:137], v[138:139], 1.0
	v_fmac_f64_e32 v[138:139], v[138:139], v[142:143]
	v_fma_f64 v[142:143], -v[136:137], v[138:139], 1.0
	v_fmac_f64_e32 v[138:139], v[138:139], v[142:143]
	v_mul_f64 v[142:143], v[140:141], v[138:139]
	v_fma_f64 v[136:137], -v[136:137], v[142:143], v[140:141]
	v_div_fmas_f64 v[136:137], v[136:137], v[138:139], v[142:143]
	v_div_fixup_f64 v[138:139], v[136:137], v[132:133], v[134:135]
	v_fmac_f64_e32 v[132:133], v[134:135], v[138:139]
	v_div_scale_f64 v[134:135], s[10:11], v[132:133], v[132:133], 1.0
	v_rcp_f64_e32 v[136:137], v[134:135]
	s_nop 0
	v_fma_f64 v[140:141], -v[134:135], v[136:137], 1.0
	v_fmac_f64_e32 v[136:137], v[136:137], v[140:141]
	v_fma_f64 v[140:141], -v[134:135], v[136:137], 1.0
	v_fmac_f64_e32 v[136:137], v[136:137], v[140:141]
	v_div_scale_f64 v[140:141], vcc, 1.0, v[132:133], 1.0
	v_mul_f64 v[142:143], v[140:141], v[136:137]
	v_fma_f64 v[134:135], -v[134:135], v[142:143], v[140:141]
	s_nop 1
	v_div_fmas_f64 v[134:135], v[134:135], v[136:137], v[142:143]
	v_div_fixup_f64 v[136:137], v[134:135], v[132:133], 1.0
	v_mul_f64 v[138:139], v[138:139], -v[136:137]
.LBB55_52:
	s_or_b64 exec, exec, s[2:3]
	ds_write2_b64 v255, v[136:137], v[138:139] offset1:1
.LBB55_53:
	s_or_b64 exec, exec, s[4:5]
	s_waitcnt lgkmcnt(0)
	s_barrier
	ds_read2_b64 v[132:135], v255 offset1:1
	v_cmp_lt_u32_e32 vcc, 5, v254
	s_and_saveexec_b64 s[2:3], vcc
	s_cbranch_execz .LBB55_55
; %bb.54:
	ds_read2_b64 v[138:141], v226 offset0:12 offset1:13
	ds_read2_b64 v[142:145], v226 offset0:14 offset1:15
	s_waitcnt vmcnt(36) lgkmcnt(2)
	v_mul_f64 v[136:137], v[134:135], v[86:87]
	v_mul_f64 v[86:87], v[132:133], v[86:87]
	v_fmac_f64_e32 v[86:87], v[134:135], v[84:85]
	v_fma_f64 v[136:137], v[132:133], v[84:85], -v[136:137]
	s_waitcnt lgkmcnt(1)
	v_mul_f64 v[84:85], v[140:141], v[86:87]
	v_fma_f64 v[84:85], v[138:139], v[136:137], -v[84:85]
	v_mul_f64 v[138:139], v[138:139], v[86:87]
	v_fmac_f64_e32 v[138:139], v[140:141], v[136:137]
	s_waitcnt vmcnt(35)
	v_add_f64 v[80:81], v[80:81], -v[84:85]
	v_add_f64 v[82:83], v[82:83], -v[138:139]
	s_waitcnt lgkmcnt(0)
	v_mul_f64 v[84:85], v[144:145], v[86:87]
	ds_read2_b64 v[138:141], v226 offset0:16 offset1:17
	v_fma_f64 v[84:85], v[142:143], v[136:137], -v[84:85]
	v_mul_f64 v[142:143], v[142:143], v[86:87]
	v_fmac_f64_e32 v[142:143], v[144:145], v[136:137]
	s_waitcnt vmcnt(34)
	v_add_f64 v[78:79], v[78:79], -v[142:143]
	ds_read2_b64 v[142:145], v226 offset0:18 offset1:19
	v_add_f64 v[76:77], v[76:77], -v[84:85]
	s_waitcnt lgkmcnt(1)
	v_mul_f64 v[84:85], v[140:141], v[86:87]
	v_fma_f64 v[84:85], v[138:139], v[136:137], -v[84:85]
	v_mul_f64 v[138:139], v[138:139], v[86:87]
	v_fmac_f64_e32 v[138:139], v[140:141], v[136:137]
	s_waitcnt vmcnt(33)
	v_add_f64 v[72:73], v[72:73], -v[84:85]
	v_add_f64 v[74:75], v[74:75], -v[138:139]
	s_waitcnt lgkmcnt(0)
	v_mul_f64 v[84:85], v[144:145], v[86:87]
	ds_read2_b64 v[138:141], v226 offset0:20 offset1:21
	v_fma_f64 v[84:85], v[142:143], v[136:137], -v[84:85]
	v_mul_f64 v[142:143], v[142:143], v[86:87]
	v_fmac_f64_e32 v[142:143], v[144:145], v[136:137]
	s_waitcnt vmcnt(32)
	v_add_f64 v[70:71], v[70:71], -v[142:143]
	ds_read2_b64 v[142:145], v226 offset0:22 offset1:23
	v_add_f64 v[68:69], v[68:69], -v[84:85]
	;; [unrolled: 18-line block ×10, first 2 shown]
	s_waitcnt lgkmcnt(1)
	v_mul_f64 v[84:85], v[140:141], v[86:87]
	v_fma_f64 v[84:85], v[138:139], v[136:137], -v[84:85]
	v_mul_f64 v[138:139], v[138:139], v[86:87]
	v_fmac_f64_e32 v[138:139], v[140:141], v[136:137]
	v_add_f64 v[0:1], v[0:1], -v[84:85]
	v_add_f64 v[2:3], v[2:3], -v[138:139]
	s_waitcnt lgkmcnt(0)
	v_mul_f64 v[84:85], v[144:145], v[86:87]
	v_mul_f64 v[138:139], v[142:143], v[86:87]
	v_fma_f64 v[84:85], v[142:143], v[136:137], -v[84:85]
	v_fmac_f64_e32 v[138:139], v[144:145], v[136:137]
	s_waitcnt vmcnt(4)
	v_add_f64 v[108:109], v[108:109], -v[84:85]
	v_add_f64 v[110:111], v[110:111], -v[138:139]
	v_mov_b64_e32 v[84:85], v[136:137]
.LBB55_55:
	s_or_b64 exec, exec, s[2:3]
	v_cmp_eq_u32_e32 vcc, 6, v254
	s_waitcnt lgkmcnt(0)
	s_barrier
	s_and_saveexec_b64 s[4:5], vcc
	s_cbranch_execz .LBB55_62
; %bb.56:
	s_waitcnt vmcnt(35)
	ds_write2_b64 v255, v[80:81], v[82:83] offset1:1
	s_waitcnt vmcnt(34)
	ds_write2_b64 v226, v[76:77], v[78:79] offset0:14 offset1:15
	s_waitcnt vmcnt(33)
	ds_write2_b64 v226, v[72:73], v[74:75] offset0:16 offset1:17
	;; [unrolled: 2-line block ×19, first 2 shown]
	ds_write2_b64 v226, v[0:1], v[2:3] offset0:52 offset1:53
	s_waitcnt vmcnt(4)
	ds_write2_b64 v226, v[108:109], v[110:111] offset0:54 offset1:55
	ds_read2_b64 v[136:139], v255 offset1:1
	s_waitcnt lgkmcnt(0)
	v_cmp_neq_f64_e32 vcc, 0, v[136:137]
	v_cmp_neq_f64_e64 s[2:3], 0, v[138:139]
	s_or_b64 s[2:3], vcc, s[2:3]
	s_and_b64 exec, exec, s[2:3]
	s_cbranch_execz .LBB55_62
; %bb.57:
	v_cmp_ngt_f64_e64 s[2:3], |v[136:137]|, |v[138:139]|
                                        ; implicit-def: $vgpr140_vgpr141
	s_and_saveexec_b64 s[10:11], s[2:3]
	s_xor_b64 s[2:3], exec, s[10:11]
                                        ; implicit-def: $vgpr142_vgpr143
	s_cbranch_execz .LBB55_59
; %bb.58:
	v_div_scale_f64 v[140:141], s[10:11], v[138:139], v[138:139], v[136:137]
	v_rcp_f64_e32 v[142:143], v[140:141]
	v_div_scale_f64 v[144:145], vcc, v[136:137], v[138:139], v[136:137]
	v_fma_f64 v[146:147], -v[140:141], v[142:143], 1.0
	v_fmac_f64_e32 v[142:143], v[142:143], v[146:147]
	v_fma_f64 v[146:147], -v[140:141], v[142:143], 1.0
	v_fmac_f64_e32 v[142:143], v[142:143], v[146:147]
	v_mul_f64 v[146:147], v[144:145], v[142:143]
	v_fma_f64 v[140:141], -v[140:141], v[146:147], v[144:145]
	v_div_fmas_f64 v[140:141], v[140:141], v[142:143], v[146:147]
	v_div_fixup_f64 v[140:141], v[140:141], v[138:139], v[136:137]
	v_fmac_f64_e32 v[138:139], v[136:137], v[140:141]
	v_div_scale_f64 v[136:137], s[10:11], v[138:139], v[138:139], 1.0
	v_rcp_f64_e32 v[142:143], v[136:137]
	s_nop 0
	v_fma_f64 v[144:145], -v[136:137], v[142:143], 1.0
	v_fmac_f64_e32 v[142:143], v[142:143], v[144:145]
	v_fma_f64 v[144:145], -v[136:137], v[142:143], 1.0
	v_fmac_f64_e32 v[142:143], v[142:143], v[144:145]
	v_div_scale_f64 v[144:145], vcc, 1.0, v[138:139], 1.0
	v_mul_f64 v[146:147], v[144:145], v[142:143]
	v_fma_f64 v[136:137], -v[136:137], v[146:147], v[144:145]
	s_nop 1
	v_div_fmas_f64 v[136:137], v[136:137], v[142:143], v[146:147]
	v_div_fixup_f64 v[142:143], v[136:137], v[138:139], 1.0
	v_mul_f64 v[140:141], v[140:141], v[142:143]
	v_xor_b32_e32 v143, 0x80000000, v143
                                        ; implicit-def: $vgpr136_vgpr137
.LBB55_59:
	s_andn2_saveexec_b64 s[2:3], s[2:3]
	s_cbranch_execz .LBB55_61
; %bb.60:
	v_div_scale_f64 v[140:141], s[10:11], v[136:137], v[136:137], v[138:139]
	v_rcp_f64_e32 v[142:143], v[140:141]
	v_div_scale_f64 v[144:145], vcc, v[138:139], v[136:137], v[138:139]
	v_fma_f64 v[146:147], -v[140:141], v[142:143], 1.0
	v_fmac_f64_e32 v[142:143], v[142:143], v[146:147]
	v_fma_f64 v[146:147], -v[140:141], v[142:143], 1.0
	v_fmac_f64_e32 v[142:143], v[142:143], v[146:147]
	v_mul_f64 v[146:147], v[144:145], v[142:143]
	v_fma_f64 v[140:141], -v[140:141], v[146:147], v[144:145]
	v_div_fmas_f64 v[140:141], v[140:141], v[142:143], v[146:147]
	v_div_fixup_f64 v[142:143], v[140:141], v[136:137], v[138:139]
	v_fmac_f64_e32 v[136:137], v[138:139], v[142:143]
	v_div_scale_f64 v[138:139], s[10:11], v[136:137], v[136:137], 1.0
	v_rcp_f64_e32 v[140:141], v[138:139]
	s_nop 0
	v_fma_f64 v[144:145], -v[138:139], v[140:141], 1.0
	v_fmac_f64_e32 v[140:141], v[140:141], v[144:145]
	v_fma_f64 v[144:145], -v[138:139], v[140:141], 1.0
	v_fmac_f64_e32 v[140:141], v[140:141], v[144:145]
	v_div_scale_f64 v[144:145], vcc, 1.0, v[136:137], 1.0
	v_mul_f64 v[146:147], v[144:145], v[140:141]
	v_fma_f64 v[138:139], -v[138:139], v[146:147], v[144:145]
	s_nop 1
	v_div_fmas_f64 v[138:139], v[138:139], v[140:141], v[146:147]
	v_div_fixup_f64 v[140:141], v[138:139], v[136:137], 1.0
	v_mul_f64 v[142:143], v[142:143], -v[140:141]
.LBB55_61:
	s_or_b64 exec, exec, s[2:3]
	ds_write2_b64 v255, v[140:141], v[142:143] offset1:1
.LBB55_62:
	s_or_b64 exec, exec, s[4:5]
	s_waitcnt lgkmcnt(0)
	s_barrier
	ds_read2_b64 v[136:139], v255 offset1:1
	v_cmp_lt_u32_e32 vcc, 6, v254
	s_and_saveexec_b64 s[2:3], vcc
	s_cbranch_execz .LBB55_64
; %bb.63:
	ds_read2_b64 v[142:145], v226 offset0:14 offset1:15
	ds_read2_b64 v[146:149], v226 offset0:16 offset1:17
	s_waitcnt vmcnt(35) lgkmcnt(2)
	v_mul_f64 v[140:141], v[138:139], v[82:83]
	v_mul_f64 v[82:83], v[136:137], v[82:83]
	v_fmac_f64_e32 v[82:83], v[138:139], v[80:81]
	v_fma_f64 v[140:141], v[136:137], v[80:81], -v[140:141]
	s_waitcnt lgkmcnt(1)
	v_mul_f64 v[80:81], v[144:145], v[82:83]
	v_fma_f64 v[80:81], v[142:143], v[140:141], -v[80:81]
	v_mul_f64 v[142:143], v[142:143], v[82:83]
	v_fmac_f64_e32 v[142:143], v[144:145], v[140:141]
	s_waitcnt vmcnt(34)
	v_add_f64 v[78:79], v[78:79], -v[142:143]
	ds_read2_b64 v[142:145], v226 offset0:18 offset1:19
	v_add_f64 v[76:77], v[76:77], -v[80:81]
	s_waitcnt lgkmcnt(1)
	v_mul_f64 v[80:81], v[148:149], v[82:83]
	v_fma_f64 v[80:81], v[146:147], v[140:141], -v[80:81]
	v_mul_f64 v[146:147], v[146:147], v[82:83]
	v_fmac_f64_e32 v[146:147], v[148:149], v[140:141]
	s_waitcnt vmcnt(33)
	v_add_f64 v[72:73], v[72:73], -v[80:81]
	v_add_f64 v[74:75], v[74:75], -v[146:147]
	ds_read2_b64 v[146:149], v226 offset0:20 offset1:21
	s_waitcnt lgkmcnt(1)
	v_mul_f64 v[80:81], v[144:145], v[82:83]
	v_fma_f64 v[80:81], v[142:143], v[140:141], -v[80:81]
	v_mul_f64 v[142:143], v[142:143], v[82:83]
	v_fmac_f64_e32 v[142:143], v[144:145], v[140:141]
	s_waitcnt vmcnt(32)
	v_add_f64 v[70:71], v[70:71], -v[142:143]
	ds_read2_b64 v[142:145], v226 offset0:22 offset1:23
	v_add_f64 v[68:69], v[68:69], -v[80:81]
	s_waitcnt lgkmcnt(1)
	v_mul_f64 v[80:81], v[148:149], v[82:83]
	v_fma_f64 v[80:81], v[146:147], v[140:141], -v[80:81]
	v_mul_f64 v[146:147], v[146:147], v[82:83]
	v_fmac_f64_e32 v[146:147], v[148:149], v[140:141]
	s_waitcnt vmcnt(31)
	v_add_f64 v[64:65], v[64:65], -v[80:81]
	v_add_f64 v[66:67], v[66:67], -v[146:147]
	ds_read2_b64 v[146:149], v226 offset0:24 offset1:25
	;; [unrolled: 18-line block ×9, first 2 shown]
	s_waitcnt lgkmcnt(1)
	v_mul_f64 v[80:81], v[144:145], v[82:83]
	v_fma_f64 v[80:81], v[142:143], v[140:141], -v[80:81]
	v_mul_f64 v[142:143], v[142:143], v[82:83]
	v_fmac_f64_e32 v[142:143], v[144:145], v[140:141]
	s_waitcnt vmcnt(5)
	v_add_f64 v[6:7], v[6:7], -v[142:143]
	ds_read2_b64 v[142:145], v226 offset0:54 offset1:55
	v_add_f64 v[4:5], v[4:5], -v[80:81]
	s_waitcnt lgkmcnt(1)
	v_mul_f64 v[80:81], v[148:149], v[82:83]
	v_fma_f64 v[80:81], v[146:147], v[140:141], -v[80:81]
	v_add_f64 v[0:1], v[0:1], -v[80:81]
	s_waitcnt lgkmcnt(0)
	v_mul_f64 v[80:81], v[144:145], v[82:83]
	v_mul_f64 v[146:147], v[146:147], v[82:83]
	v_fma_f64 v[80:81], v[142:143], v[140:141], -v[80:81]
	v_mul_f64 v[142:143], v[142:143], v[82:83]
	v_fmac_f64_e32 v[146:147], v[148:149], v[140:141]
	v_fmac_f64_e32 v[142:143], v[144:145], v[140:141]
	v_add_f64 v[2:3], v[2:3], -v[146:147]
	s_waitcnt vmcnt(4)
	v_add_f64 v[108:109], v[108:109], -v[80:81]
	v_add_f64 v[110:111], v[110:111], -v[142:143]
	v_mov_b64_e32 v[80:81], v[140:141]
.LBB55_64:
	s_or_b64 exec, exec, s[2:3]
	v_cmp_eq_u32_e32 vcc, 7, v254
	s_waitcnt lgkmcnt(0)
	s_barrier
	s_and_saveexec_b64 s[4:5], vcc
	s_cbranch_execz .LBB55_71
; %bb.65:
	s_waitcnt vmcnt(34)
	ds_write2_b64 v255, v[76:77], v[78:79] offset1:1
	s_waitcnt vmcnt(33)
	ds_write2_b64 v226, v[72:73], v[74:75] offset0:16 offset1:17
	s_waitcnt vmcnt(32)
	ds_write2_b64 v226, v[68:69], v[70:71] offset0:18 offset1:19
	;; [unrolled: 2-line block ×18, first 2 shown]
	ds_write2_b64 v226, v[0:1], v[2:3] offset0:52 offset1:53
	s_waitcnt vmcnt(4)
	ds_write2_b64 v226, v[108:109], v[110:111] offset0:54 offset1:55
	ds_read2_b64 v[140:143], v255 offset1:1
	s_waitcnt lgkmcnt(0)
	v_cmp_neq_f64_e32 vcc, 0, v[140:141]
	v_cmp_neq_f64_e64 s[2:3], 0, v[142:143]
	s_or_b64 s[2:3], vcc, s[2:3]
	s_and_b64 exec, exec, s[2:3]
	s_cbranch_execz .LBB55_71
; %bb.66:
	v_cmp_ngt_f64_e64 s[2:3], |v[140:141]|, |v[142:143]|
                                        ; implicit-def: $vgpr144_vgpr145
	s_and_saveexec_b64 s[10:11], s[2:3]
	s_xor_b64 s[2:3], exec, s[10:11]
                                        ; implicit-def: $vgpr146_vgpr147
	s_cbranch_execz .LBB55_68
; %bb.67:
	v_div_scale_f64 v[144:145], s[10:11], v[142:143], v[142:143], v[140:141]
	v_rcp_f64_e32 v[146:147], v[144:145]
	v_div_scale_f64 v[148:149], vcc, v[140:141], v[142:143], v[140:141]
	v_fma_f64 v[150:151], -v[144:145], v[146:147], 1.0
	v_fmac_f64_e32 v[146:147], v[146:147], v[150:151]
	v_fma_f64 v[150:151], -v[144:145], v[146:147], 1.0
	v_fmac_f64_e32 v[146:147], v[146:147], v[150:151]
	v_mul_f64 v[150:151], v[148:149], v[146:147]
	v_fma_f64 v[144:145], -v[144:145], v[150:151], v[148:149]
	v_div_fmas_f64 v[144:145], v[144:145], v[146:147], v[150:151]
	v_div_fixup_f64 v[144:145], v[144:145], v[142:143], v[140:141]
	v_fmac_f64_e32 v[142:143], v[140:141], v[144:145]
	v_div_scale_f64 v[140:141], s[10:11], v[142:143], v[142:143], 1.0
	v_rcp_f64_e32 v[146:147], v[140:141]
	s_nop 0
	v_fma_f64 v[148:149], -v[140:141], v[146:147], 1.0
	v_fmac_f64_e32 v[146:147], v[146:147], v[148:149]
	v_fma_f64 v[148:149], -v[140:141], v[146:147], 1.0
	v_fmac_f64_e32 v[146:147], v[146:147], v[148:149]
	v_div_scale_f64 v[148:149], vcc, 1.0, v[142:143], 1.0
	v_mul_f64 v[150:151], v[148:149], v[146:147]
	v_fma_f64 v[140:141], -v[140:141], v[150:151], v[148:149]
	s_nop 1
	v_div_fmas_f64 v[140:141], v[140:141], v[146:147], v[150:151]
	v_div_fixup_f64 v[146:147], v[140:141], v[142:143], 1.0
	v_mul_f64 v[144:145], v[144:145], v[146:147]
	v_xor_b32_e32 v147, 0x80000000, v147
                                        ; implicit-def: $vgpr140_vgpr141
.LBB55_68:
	s_andn2_saveexec_b64 s[2:3], s[2:3]
	s_cbranch_execz .LBB55_70
; %bb.69:
	v_div_scale_f64 v[144:145], s[10:11], v[140:141], v[140:141], v[142:143]
	v_rcp_f64_e32 v[146:147], v[144:145]
	v_div_scale_f64 v[148:149], vcc, v[142:143], v[140:141], v[142:143]
	v_fma_f64 v[150:151], -v[144:145], v[146:147], 1.0
	v_fmac_f64_e32 v[146:147], v[146:147], v[150:151]
	v_fma_f64 v[150:151], -v[144:145], v[146:147], 1.0
	v_fmac_f64_e32 v[146:147], v[146:147], v[150:151]
	v_mul_f64 v[150:151], v[148:149], v[146:147]
	v_fma_f64 v[144:145], -v[144:145], v[150:151], v[148:149]
	v_div_fmas_f64 v[144:145], v[144:145], v[146:147], v[150:151]
	v_div_fixup_f64 v[146:147], v[144:145], v[140:141], v[142:143]
	v_fmac_f64_e32 v[140:141], v[142:143], v[146:147]
	v_div_scale_f64 v[142:143], s[10:11], v[140:141], v[140:141], 1.0
	v_rcp_f64_e32 v[144:145], v[142:143]
	s_nop 0
	v_fma_f64 v[148:149], -v[142:143], v[144:145], 1.0
	v_fmac_f64_e32 v[144:145], v[144:145], v[148:149]
	v_fma_f64 v[148:149], -v[142:143], v[144:145], 1.0
	v_fmac_f64_e32 v[144:145], v[144:145], v[148:149]
	v_div_scale_f64 v[148:149], vcc, 1.0, v[140:141], 1.0
	v_mul_f64 v[150:151], v[148:149], v[144:145]
	v_fma_f64 v[142:143], -v[142:143], v[150:151], v[148:149]
	s_nop 1
	v_div_fmas_f64 v[142:143], v[142:143], v[144:145], v[150:151]
	v_div_fixup_f64 v[144:145], v[142:143], v[140:141], 1.0
	v_mul_f64 v[146:147], v[146:147], -v[144:145]
.LBB55_70:
	s_or_b64 exec, exec, s[2:3]
	ds_write2_b64 v255, v[144:145], v[146:147] offset1:1
.LBB55_71:
	s_or_b64 exec, exec, s[4:5]
	s_waitcnt lgkmcnt(0)
	s_barrier
	ds_read2_b64 v[140:143], v255 offset1:1
	v_cmp_lt_u32_e32 vcc, 7, v254
	s_and_saveexec_b64 s[2:3], vcc
	s_cbranch_execz .LBB55_73
; %bb.72:
	ds_read2_b64 v[146:149], v226 offset0:16 offset1:17
	ds_read2_b64 v[150:153], v226 offset0:18 offset1:19
	s_waitcnt vmcnt(34) lgkmcnt(2)
	v_mul_f64 v[144:145], v[142:143], v[78:79]
	v_mul_f64 v[78:79], v[140:141], v[78:79]
	v_fmac_f64_e32 v[78:79], v[142:143], v[76:77]
	v_fma_f64 v[144:145], v[140:141], v[76:77], -v[144:145]
	s_waitcnt lgkmcnt(1)
	v_mul_f64 v[76:77], v[148:149], v[78:79]
	v_fma_f64 v[76:77], v[146:147], v[144:145], -v[76:77]
	v_mul_f64 v[146:147], v[146:147], v[78:79]
	v_fmac_f64_e32 v[146:147], v[148:149], v[144:145]
	s_waitcnt vmcnt(33)
	v_add_f64 v[72:73], v[72:73], -v[76:77]
	v_add_f64 v[74:75], v[74:75], -v[146:147]
	s_waitcnt lgkmcnt(0)
	v_mul_f64 v[76:77], v[152:153], v[78:79]
	ds_read2_b64 v[146:149], v226 offset0:20 offset1:21
	v_fma_f64 v[76:77], v[150:151], v[144:145], -v[76:77]
	v_mul_f64 v[150:151], v[150:151], v[78:79]
	v_fmac_f64_e32 v[150:151], v[152:153], v[144:145]
	s_waitcnt vmcnt(32)
	v_add_f64 v[70:71], v[70:71], -v[150:151]
	ds_read2_b64 v[150:153], v226 offset0:22 offset1:23
	v_add_f64 v[68:69], v[68:69], -v[76:77]
	s_waitcnt lgkmcnt(1)
	v_mul_f64 v[76:77], v[148:149], v[78:79]
	v_fma_f64 v[76:77], v[146:147], v[144:145], -v[76:77]
	v_mul_f64 v[146:147], v[146:147], v[78:79]
	v_fmac_f64_e32 v[146:147], v[148:149], v[144:145]
	s_waitcnt vmcnt(31)
	v_add_f64 v[64:65], v[64:65], -v[76:77]
	v_add_f64 v[66:67], v[66:67], -v[146:147]
	s_waitcnt lgkmcnt(0)
	v_mul_f64 v[76:77], v[152:153], v[78:79]
	ds_read2_b64 v[146:149], v226 offset0:24 offset1:25
	v_fma_f64 v[76:77], v[150:151], v[144:145], -v[76:77]
	v_mul_f64 v[150:151], v[150:151], v[78:79]
	v_fmac_f64_e32 v[150:151], v[152:153], v[144:145]
	s_waitcnt vmcnt(30)
	v_add_f64 v[62:63], v[62:63], -v[150:151]
	ds_read2_b64 v[150:153], v226 offset0:26 offset1:27
	v_add_f64 v[60:61], v[60:61], -v[76:77]
	;; [unrolled: 18-line block ×9, first 2 shown]
	s_waitcnt lgkmcnt(1)
	v_mul_f64 v[76:77], v[148:149], v[78:79]
	v_fma_f64 v[76:77], v[146:147], v[144:145], -v[76:77]
	v_mul_f64 v[146:147], v[146:147], v[78:79]
	v_fmac_f64_e32 v[146:147], v[148:149], v[144:145]
	v_add_f64 v[0:1], v[0:1], -v[76:77]
	v_add_f64 v[2:3], v[2:3], -v[146:147]
	s_waitcnt lgkmcnt(0)
	v_mul_f64 v[76:77], v[152:153], v[78:79]
	v_mul_f64 v[146:147], v[150:151], v[78:79]
	v_fma_f64 v[76:77], v[150:151], v[144:145], -v[76:77]
	v_fmac_f64_e32 v[146:147], v[152:153], v[144:145]
	s_waitcnt vmcnt(4)
	v_add_f64 v[108:109], v[108:109], -v[76:77]
	v_add_f64 v[110:111], v[110:111], -v[146:147]
	v_mov_b64_e32 v[76:77], v[144:145]
.LBB55_73:
	s_or_b64 exec, exec, s[2:3]
	v_cmp_eq_u32_e32 vcc, 8, v254
	s_waitcnt lgkmcnt(0)
	s_barrier
	s_and_saveexec_b64 s[4:5], vcc
	s_cbranch_execz .LBB55_80
; %bb.74:
	s_waitcnt vmcnt(33)
	ds_write2_b64 v255, v[72:73], v[74:75] offset1:1
	s_waitcnt vmcnt(32)
	ds_write2_b64 v226, v[68:69], v[70:71] offset0:18 offset1:19
	s_waitcnt vmcnt(31)
	ds_write2_b64 v226, v[64:65], v[66:67] offset0:20 offset1:21
	;; [unrolled: 2-line block ×17, first 2 shown]
	ds_write2_b64 v226, v[0:1], v[2:3] offset0:52 offset1:53
	s_waitcnt vmcnt(4)
	ds_write2_b64 v226, v[108:109], v[110:111] offset0:54 offset1:55
	ds_read2_b64 v[144:147], v255 offset1:1
	s_waitcnt lgkmcnt(0)
	v_cmp_neq_f64_e32 vcc, 0, v[144:145]
	v_cmp_neq_f64_e64 s[2:3], 0, v[146:147]
	s_or_b64 s[2:3], vcc, s[2:3]
	s_and_b64 exec, exec, s[2:3]
	s_cbranch_execz .LBB55_80
; %bb.75:
	v_cmp_ngt_f64_e64 s[2:3], |v[144:145]|, |v[146:147]|
                                        ; implicit-def: $vgpr148_vgpr149
	s_and_saveexec_b64 s[10:11], s[2:3]
	s_xor_b64 s[2:3], exec, s[10:11]
                                        ; implicit-def: $vgpr150_vgpr151
	s_cbranch_execz .LBB55_77
; %bb.76:
	v_div_scale_f64 v[148:149], s[10:11], v[146:147], v[146:147], v[144:145]
	v_rcp_f64_e32 v[150:151], v[148:149]
	v_div_scale_f64 v[152:153], vcc, v[144:145], v[146:147], v[144:145]
	v_fma_f64 v[154:155], -v[148:149], v[150:151], 1.0
	v_fmac_f64_e32 v[150:151], v[150:151], v[154:155]
	v_fma_f64 v[154:155], -v[148:149], v[150:151], 1.0
	v_fmac_f64_e32 v[150:151], v[150:151], v[154:155]
	v_mul_f64 v[154:155], v[152:153], v[150:151]
	v_fma_f64 v[148:149], -v[148:149], v[154:155], v[152:153]
	v_div_fmas_f64 v[148:149], v[148:149], v[150:151], v[154:155]
	v_div_fixup_f64 v[148:149], v[148:149], v[146:147], v[144:145]
	v_fmac_f64_e32 v[146:147], v[144:145], v[148:149]
	v_div_scale_f64 v[144:145], s[10:11], v[146:147], v[146:147], 1.0
	v_rcp_f64_e32 v[150:151], v[144:145]
	s_nop 0
	v_fma_f64 v[152:153], -v[144:145], v[150:151], 1.0
	v_fmac_f64_e32 v[150:151], v[150:151], v[152:153]
	v_fma_f64 v[152:153], -v[144:145], v[150:151], 1.0
	v_fmac_f64_e32 v[150:151], v[150:151], v[152:153]
	v_div_scale_f64 v[152:153], vcc, 1.0, v[146:147], 1.0
	v_mul_f64 v[154:155], v[152:153], v[150:151]
	v_fma_f64 v[144:145], -v[144:145], v[154:155], v[152:153]
	s_nop 1
	v_div_fmas_f64 v[144:145], v[144:145], v[150:151], v[154:155]
	v_div_fixup_f64 v[150:151], v[144:145], v[146:147], 1.0
	v_mul_f64 v[148:149], v[148:149], v[150:151]
	v_xor_b32_e32 v151, 0x80000000, v151
                                        ; implicit-def: $vgpr144_vgpr145
.LBB55_77:
	s_andn2_saveexec_b64 s[2:3], s[2:3]
	s_cbranch_execz .LBB55_79
; %bb.78:
	v_div_scale_f64 v[148:149], s[10:11], v[144:145], v[144:145], v[146:147]
	v_rcp_f64_e32 v[150:151], v[148:149]
	v_div_scale_f64 v[152:153], vcc, v[146:147], v[144:145], v[146:147]
	v_fma_f64 v[154:155], -v[148:149], v[150:151], 1.0
	v_fmac_f64_e32 v[150:151], v[150:151], v[154:155]
	v_fma_f64 v[154:155], -v[148:149], v[150:151], 1.0
	v_fmac_f64_e32 v[150:151], v[150:151], v[154:155]
	v_mul_f64 v[154:155], v[152:153], v[150:151]
	v_fma_f64 v[148:149], -v[148:149], v[154:155], v[152:153]
	v_div_fmas_f64 v[148:149], v[148:149], v[150:151], v[154:155]
	v_div_fixup_f64 v[150:151], v[148:149], v[144:145], v[146:147]
	v_fmac_f64_e32 v[144:145], v[146:147], v[150:151]
	v_div_scale_f64 v[146:147], s[10:11], v[144:145], v[144:145], 1.0
	v_rcp_f64_e32 v[148:149], v[146:147]
	s_nop 0
	v_fma_f64 v[152:153], -v[146:147], v[148:149], 1.0
	v_fmac_f64_e32 v[148:149], v[148:149], v[152:153]
	v_fma_f64 v[152:153], -v[146:147], v[148:149], 1.0
	v_fmac_f64_e32 v[148:149], v[148:149], v[152:153]
	v_div_scale_f64 v[152:153], vcc, 1.0, v[144:145], 1.0
	v_mul_f64 v[154:155], v[152:153], v[148:149]
	v_fma_f64 v[146:147], -v[146:147], v[154:155], v[152:153]
	s_nop 1
	v_div_fmas_f64 v[146:147], v[146:147], v[148:149], v[154:155]
	v_div_fixup_f64 v[148:149], v[146:147], v[144:145], 1.0
	v_mul_f64 v[150:151], v[150:151], -v[148:149]
.LBB55_79:
	s_or_b64 exec, exec, s[2:3]
	ds_write2_b64 v255, v[148:149], v[150:151] offset1:1
.LBB55_80:
	s_or_b64 exec, exec, s[4:5]
	s_waitcnt lgkmcnt(0)
	s_barrier
	ds_read2_b64 v[144:147], v255 offset1:1
	v_cmp_lt_u32_e32 vcc, 8, v254
	s_and_saveexec_b64 s[2:3], vcc
	s_cbranch_execz .LBB55_82
; %bb.81:
	ds_read2_b64 v[150:153], v226 offset0:18 offset1:19
	ds_read2_b64 v[154:157], v226 offset0:20 offset1:21
	s_waitcnt vmcnt(33) lgkmcnt(2)
	v_mul_f64 v[148:149], v[146:147], v[74:75]
	v_mul_f64 v[74:75], v[144:145], v[74:75]
	v_fmac_f64_e32 v[74:75], v[146:147], v[72:73]
	v_fma_f64 v[148:149], v[144:145], v[72:73], -v[148:149]
	s_waitcnt lgkmcnt(1)
	v_mul_f64 v[72:73], v[152:153], v[74:75]
	v_fma_f64 v[72:73], v[150:151], v[148:149], -v[72:73]
	v_mul_f64 v[150:151], v[150:151], v[74:75]
	v_fmac_f64_e32 v[150:151], v[152:153], v[148:149]
	s_waitcnt vmcnt(32)
	v_add_f64 v[70:71], v[70:71], -v[150:151]
	ds_read2_b64 v[150:153], v226 offset0:22 offset1:23
	v_add_f64 v[68:69], v[68:69], -v[72:73]
	s_waitcnt lgkmcnt(1)
	v_mul_f64 v[72:73], v[156:157], v[74:75]
	v_fma_f64 v[72:73], v[154:155], v[148:149], -v[72:73]
	v_mul_f64 v[154:155], v[154:155], v[74:75]
	v_fmac_f64_e32 v[154:155], v[156:157], v[148:149]
	s_waitcnt vmcnt(31)
	v_add_f64 v[64:65], v[64:65], -v[72:73]
	v_add_f64 v[66:67], v[66:67], -v[154:155]
	ds_read2_b64 v[154:157], v226 offset0:24 offset1:25
	s_waitcnt lgkmcnt(1)
	v_mul_f64 v[72:73], v[152:153], v[74:75]
	v_fma_f64 v[72:73], v[150:151], v[148:149], -v[72:73]
	v_mul_f64 v[150:151], v[150:151], v[74:75]
	v_fmac_f64_e32 v[150:151], v[152:153], v[148:149]
	s_waitcnt vmcnt(30)
	v_add_f64 v[62:63], v[62:63], -v[150:151]
	ds_read2_b64 v[150:153], v226 offset0:26 offset1:27
	v_add_f64 v[60:61], v[60:61], -v[72:73]
	s_waitcnt lgkmcnt(1)
	v_mul_f64 v[72:73], v[156:157], v[74:75]
	v_fma_f64 v[72:73], v[154:155], v[148:149], -v[72:73]
	v_mul_f64 v[154:155], v[154:155], v[74:75]
	v_fmac_f64_e32 v[154:155], v[156:157], v[148:149]
	s_waitcnt vmcnt(29)
	v_add_f64 v[56:57], v[56:57], -v[72:73]
	v_add_f64 v[58:59], v[58:59], -v[154:155]
	ds_read2_b64 v[154:157], v226 offset0:28 offset1:29
	;; [unrolled: 18-line block ×8, first 2 shown]
	s_waitcnt lgkmcnt(1)
	v_mul_f64 v[72:73], v[152:153], v[74:75]
	v_fma_f64 v[72:73], v[150:151], v[148:149], -v[72:73]
	v_mul_f64 v[150:151], v[150:151], v[74:75]
	v_fmac_f64_e32 v[150:151], v[152:153], v[148:149]
	s_waitcnt vmcnt(5)
	v_add_f64 v[6:7], v[6:7], -v[150:151]
	ds_read2_b64 v[150:153], v226 offset0:54 offset1:55
	v_add_f64 v[4:5], v[4:5], -v[72:73]
	s_waitcnt lgkmcnt(1)
	v_mul_f64 v[72:73], v[156:157], v[74:75]
	v_fma_f64 v[72:73], v[154:155], v[148:149], -v[72:73]
	v_add_f64 v[0:1], v[0:1], -v[72:73]
	s_waitcnt lgkmcnt(0)
	v_mul_f64 v[72:73], v[152:153], v[74:75]
	v_mul_f64 v[154:155], v[154:155], v[74:75]
	v_fma_f64 v[72:73], v[150:151], v[148:149], -v[72:73]
	v_mul_f64 v[150:151], v[150:151], v[74:75]
	v_fmac_f64_e32 v[154:155], v[156:157], v[148:149]
	v_fmac_f64_e32 v[150:151], v[152:153], v[148:149]
	v_add_f64 v[2:3], v[2:3], -v[154:155]
	s_waitcnt vmcnt(4)
	v_add_f64 v[108:109], v[108:109], -v[72:73]
	v_add_f64 v[110:111], v[110:111], -v[150:151]
	v_mov_b64_e32 v[72:73], v[148:149]
.LBB55_82:
	s_or_b64 exec, exec, s[2:3]
	v_cmp_eq_u32_e32 vcc, 9, v254
	s_waitcnt lgkmcnt(0)
	s_barrier
	s_and_saveexec_b64 s[4:5], vcc
	s_cbranch_execz .LBB55_89
; %bb.83:
	s_waitcnt vmcnt(32)
	ds_write2_b64 v255, v[68:69], v[70:71] offset1:1
	s_waitcnt vmcnt(31)
	ds_write2_b64 v226, v[64:65], v[66:67] offset0:20 offset1:21
	s_waitcnt vmcnt(30)
	ds_write2_b64 v226, v[60:61], v[62:63] offset0:22 offset1:23
	;; [unrolled: 2-line block ×16, first 2 shown]
	ds_write2_b64 v226, v[0:1], v[2:3] offset0:52 offset1:53
	s_waitcnt vmcnt(4)
	ds_write2_b64 v226, v[108:109], v[110:111] offset0:54 offset1:55
	ds_read2_b64 v[148:151], v255 offset1:1
	s_waitcnt lgkmcnt(0)
	v_cmp_neq_f64_e32 vcc, 0, v[148:149]
	v_cmp_neq_f64_e64 s[2:3], 0, v[150:151]
	s_or_b64 s[2:3], vcc, s[2:3]
	s_and_b64 exec, exec, s[2:3]
	s_cbranch_execz .LBB55_89
; %bb.84:
	v_cmp_ngt_f64_e64 s[2:3], |v[148:149]|, |v[150:151]|
                                        ; implicit-def: $vgpr152_vgpr153
	s_and_saveexec_b64 s[10:11], s[2:3]
	s_xor_b64 s[2:3], exec, s[10:11]
                                        ; implicit-def: $vgpr154_vgpr155
	s_cbranch_execz .LBB55_86
; %bb.85:
	v_div_scale_f64 v[152:153], s[10:11], v[150:151], v[150:151], v[148:149]
	v_rcp_f64_e32 v[154:155], v[152:153]
	v_div_scale_f64 v[156:157], vcc, v[148:149], v[150:151], v[148:149]
	v_fma_f64 v[158:159], -v[152:153], v[154:155], 1.0
	v_fmac_f64_e32 v[154:155], v[154:155], v[158:159]
	v_fma_f64 v[158:159], -v[152:153], v[154:155], 1.0
	v_fmac_f64_e32 v[154:155], v[154:155], v[158:159]
	v_mul_f64 v[158:159], v[156:157], v[154:155]
	v_fma_f64 v[152:153], -v[152:153], v[158:159], v[156:157]
	v_div_fmas_f64 v[152:153], v[152:153], v[154:155], v[158:159]
	v_div_fixup_f64 v[152:153], v[152:153], v[150:151], v[148:149]
	v_fmac_f64_e32 v[150:151], v[148:149], v[152:153]
	v_div_scale_f64 v[148:149], s[10:11], v[150:151], v[150:151], 1.0
	v_rcp_f64_e32 v[154:155], v[148:149]
	s_nop 0
	v_fma_f64 v[156:157], -v[148:149], v[154:155], 1.0
	v_fmac_f64_e32 v[154:155], v[154:155], v[156:157]
	v_fma_f64 v[156:157], -v[148:149], v[154:155], 1.0
	v_fmac_f64_e32 v[154:155], v[154:155], v[156:157]
	v_div_scale_f64 v[156:157], vcc, 1.0, v[150:151], 1.0
	v_mul_f64 v[158:159], v[156:157], v[154:155]
	v_fma_f64 v[148:149], -v[148:149], v[158:159], v[156:157]
	s_nop 1
	v_div_fmas_f64 v[148:149], v[148:149], v[154:155], v[158:159]
	v_div_fixup_f64 v[154:155], v[148:149], v[150:151], 1.0
	v_mul_f64 v[152:153], v[152:153], v[154:155]
	v_xor_b32_e32 v155, 0x80000000, v155
                                        ; implicit-def: $vgpr148_vgpr149
.LBB55_86:
	s_andn2_saveexec_b64 s[2:3], s[2:3]
	s_cbranch_execz .LBB55_88
; %bb.87:
	v_div_scale_f64 v[152:153], s[10:11], v[148:149], v[148:149], v[150:151]
	v_rcp_f64_e32 v[154:155], v[152:153]
	v_div_scale_f64 v[156:157], vcc, v[150:151], v[148:149], v[150:151]
	v_fma_f64 v[158:159], -v[152:153], v[154:155], 1.0
	v_fmac_f64_e32 v[154:155], v[154:155], v[158:159]
	v_fma_f64 v[158:159], -v[152:153], v[154:155], 1.0
	v_fmac_f64_e32 v[154:155], v[154:155], v[158:159]
	v_mul_f64 v[158:159], v[156:157], v[154:155]
	v_fma_f64 v[152:153], -v[152:153], v[158:159], v[156:157]
	v_div_fmas_f64 v[152:153], v[152:153], v[154:155], v[158:159]
	v_div_fixup_f64 v[154:155], v[152:153], v[148:149], v[150:151]
	v_fmac_f64_e32 v[148:149], v[150:151], v[154:155]
	v_div_scale_f64 v[150:151], s[10:11], v[148:149], v[148:149], 1.0
	v_rcp_f64_e32 v[152:153], v[150:151]
	s_nop 0
	v_fma_f64 v[156:157], -v[150:151], v[152:153], 1.0
	v_fmac_f64_e32 v[152:153], v[152:153], v[156:157]
	v_fma_f64 v[156:157], -v[150:151], v[152:153], 1.0
	v_fmac_f64_e32 v[152:153], v[152:153], v[156:157]
	v_div_scale_f64 v[156:157], vcc, 1.0, v[148:149], 1.0
	v_mul_f64 v[158:159], v[156:157], v[152:153]
	v_fma_f64 v[150:151], -v[150:151], v[158:159], v[156:157]
	s_nop 1
	v_div_fmas_f64 v[150:151], v[150:151], v[152:153], v[158:159]
	v_div_fixup_f64 v[152:153], v[150:151], v[148:149], 1.0
	v_mul_f64 v[154:155], v[154:155], -v[152:153]
.LBB55_88:
	s_or_b64 exec, exec, s[2:3]
	ds_write2_b64 v255, v[152:153], v[154:155] offset1:1
.LBB55_89:
	s_or_b64 exec, exec, s[4:5]
	s_waitcnt lgkmcnt(0)
	s_barrier
	ds_read2_b64 v[148:151], v255 offset1:1
	v_cmp_lt_u32_e32 vcc, 9, v254
	s_and_saveexec_b64 s[2:3], vcc
	s_cbranch_execz .LBB55_91
; %bb.90:
	ds_read2_b64 v[154:157], v226 offset0:20 offset1:21
	ds_read2_b64 v[158:161], v226 offset0:22 offset1:23
	s_waitcnt vmcnt(32) lgkmcnt(2)
	v_mul_f64 v[152:153], v[150:151], v[70:71]
	v_mul_f64 v[70:71], v[148:149], v[70:71]
	v_fmac_f64_e32 v[70:71], v[150:151], v[68:69]
	v_fma_f64 v[152:153], v[148:149], v[68:69], -v[152:153]
	s_waitcnt lgkmcnt(1)
	v_mul_f64 v[68:69], v[156:157], v[70:71]
	v_fma_f64 v[68:69], v[154:155], v[152:153], -v[68:69]
	v_mul_f64 v[154:155], v[154:155], v[70:71]
	v_fmac_f64_e32 v[154:155], v[156:157], v[152:153]
	s_waitcnt vmcnt(31)
	v_add_f64 v[64:65], v[64:65], -v[68:69]
	v_add_f64 v[66:67], v[66:67], -v[154:155]
	s_waitcnt lgkmcnt(0)
	v_mul_f64 v[68:69], v[160:161], v[70:71]
	ds_read2_b64 v[154:157], v226 offset0:24 offset1:25
	v_fma_f64 v[68:69], v[158:159], v[152:153], -v[68:69]
	v_mul_f64 v[158:159], v[158:159], v[70:71]
	v_fmac_f64_e32 v[158:159], v[160:161], v[152:153]
	s_waitcnt vmcnt(30)
	v_add_f64 v[62:63], v[62:63], -v[158:159]
	ds_read2_b64 v[158:161], v226 offset0:26 offset1:27
	v_add_f64 v[60:61], v[60:61], -v[68:69]
	s_waitcnt lgkmcnt(1)
	v_mul_f64 v[68:69], v[156:157], v[70:71]
	v_fma_f64 v[68:69], v[154:155], v[152:153], -v[68:69]
	v_mul_f64 v[154:155], v[154:155], v[70:71]
	v_fmac_f64_e32 v[154:155], v[156:157], v[152:153]
	s_waitcnt vmcnt(29)
	v_add_f64 v[56:57], v[56:57], -v[68:69]
	v_add_f64 v[58:59], v[58:59], -v[154:155]
	s_waitcnt lgkmcnt(0)
	v_mul_f64 v[68:69], v[160:161], v[70:71]
	ds_read2_b64 v[154:157], v226 offset0:28 offset1:29
	v_fma_f64 v[68:69], v[158:159], v[152:153], -v[68:69]
	v_mul_f64 v[158:159], v[158:159], v[70:71]
	v_fmac_f64_e32 v[158:159], v[160:161], v[152:153]
	s_waitcnt vmcnt(28)
	v_add_f64 v[54:55], v[54:55], -v[158:159]
	ds_read2_b64 v[158:161], v226 offset0:30 offset1:31
	v_add_f64 v[52:53], v[52:53], -v[68:69]
	;; [unrolled: 18-line block ×8, first 2 shown]
	s_waitcnt lgkmcnt(1)
	v_mul_f64 v[68:69], v[156:157], v[70:71]
	v_fma_f64 v[68:69], v[154:155], v[152:153], -v[68:69]
	v_mul_f64 v[154:155], v[154:155], v[70:71]
	v_fmac_f64_e32 v[154:155], v[156:157], v[152:153]
	v_add_f64 v[0:1], v[0:1], -v[68:69]
	v_add_f64 v[2:3], v[2:3], -v[154:155]
	s_waitcnt lgkmcnt(0)
	v_mul_f64 v[68:69], v[160:161], v[70:71]
	v_mul_f64 v[154:155], v[158:159], v[70:71]
	v_fma_f64 v[68:69], v[158:159], v[152:153], -v[68:69]
	v_fmac_f64_e32 v[154:155], v[160:161], v[152:153]
	s_waitcnt vmcnt(4)
	v_add_f64 v[108:109], v[108:109], -v[68:69]
	v_add_f64 v[110:111], v[110:111], -v[154:155]
	v_mov_b64_e32 v[68:69], v[152:153]
.LBB55_91:
	s_or_b64 exec, exec, s[2:3]
	v_cmp_eq_u32_e32 vcc, 10, v254
	s_waitcnt lgkmcnt(0)
	s_barrier
	s_and_saveexec_b64 s[4:5], vcc
	s_cbranch_execz .LBB55_98
; %bb.92:
	s_waitcnt vmcnt(31)
	ds_write2_b64 v255, v[64:65], v[66:67] offset1:1
	s_waitcnt vmcnt(30)
	ds_write2_b64 v226, v[60:61], v[62:63] offset0:22 offset1:23
	s_waitcnt vmcnt(29)
	ds_write2_b64 v226, v[56:57], v[58:59] offset0:24 offset1:25
	;; [unrolled: 2-line block ×15, first 2 shown]
	ds_write2_b64 v226, v[0:1], v[2:3] offset0:52 offset1:53
	s_waitcnt vmcnt(4)
	ds_write2_b64 v226, v[108:109], v[110:111] offset0:54 offset1:55
	ds_read2_b64 v[152:155], v255 offset1:1
	s_waitcnt lgkmcnt(0)
	v_cmp_neq_f64_e32 vcc, 0, v[152:153]
	v_cmp_neq_f64_e64 s[2:3], 0, v[154:155]
	s_or_b64 s[2:3], vcc, s[2:3]
	s_and_b64 exec, exec, s[2:3]
	s_cbranch_execz .LBB55_98
; %bb.93:
	v_cmp_ngt_f64_e64 s[2:3], |v[152:153]|, |v[154:155]|
                                        ; implicit-def: $vgpr156_vgpr157
	s_and_saveexec_b64 s[10:11], s[2:3]
	s_xor_b64 s[2:3], exec, s[10:11]
                                        ; implicit-def: $vgpr158_vgpr159
	s_cbranch_execz .LBB55_95
; %bb.94:
	v_div_scale_f64 v[156:157], s[10:11], v[154:155], v[154:155], v[152:153]
	v_rcp_f64_e32 v[158:159], v[156:157]
	v_div_scale_f64 v[160:161], vcc, v[152:153], v[154:155], v[152:153]
	v_fma_f64 v[162:163], -v[156:157], v[158:159], 1.0
	v_fmac_f64_e32 v[158:159], v[158:159], v[162:163]
	v_fma_f64 v[162:163], -v[156:157], v[158:159], 1.0
	v_fmac_f64_e32 v[158:159], v[158:159], v[162:163]
	v_mul_f64 v[162:163], v[160:161], v[158:159]
	v_fma_f64 v[156:157], -v[156:157], v[162:163], v[160:161]
	v_div_fmas_f64 v[156:157], v[156:157], v[158:159], v[162:163]
	v_div_fixup_f64 v[156:157], v[156:157], v[154:155], v[152:153]
	v_fmac_f64_e32 v[154:155], v[152:153], v[156:157]
	v_div_scale_f64 v[152:153], s[10:11], v[154:155], v[154:155], 1.0
	v_rcp_f64_e32 v[158:159], v[152:153]
	s_nop 0
	v_fma_f64 v[160:161], -v[152:153], v[158:159], 1.0
	v_fmac_f64_e32 v[158:159], v[158:159], v[160:161]
	v_fma_f64 v[160:161], -v[152:153], v[158:159], 1.0
	v_fmac_f64_e32 v[158:159], v[158:159], v[160:161]
	v_div_scale_f64 v[160:161], vcc, 1.0, v[154:155], 1.0
	v_mul_f64 v[162:163], v[160:161], v[158:159]
	v_fma_f64 v[152:153], -v[152:153], v[162:163], v[160:161]
	s_nop 1
	v_div_fmas_f64 v[152:153], v[152:153], v[158:159], v[162:163]
	v_div_fixup_f64 v[158:159], v[152:153], v[154:155], 1.0
	v_mul_f64 v[156:157], v[156:157], v[158:159]
	v_xor_b32_e32 v159, 0x80000000, v159
                                        ; implicit-def: $vgpr152_vgpr153
.LBB55_95:
	s_andn2_saveexec_b64 s[2:3], s[2:3]
	s_cbranch_execz .LBB55_97
; %bb.96:
	v_div_scale_f64 v[156:157], s[10:11], v[152:153], v[152:153], v[154:155]
	v_rcp_f64_e32 v[158:159], v[156:157]
	v_div_scale_f64 v[160:161], vcc, v[154:155], v[152:153], v[154:155]
	v_fma_f64 v[162:163], -v[156:157], v[158:159], 1.0
	v_fmac_f64_e32 v[158:159], v[158:159], v[162:163]
	v_fma_f64 v[162:163], -v[156:157], v[158:159], 1.0
	v_fmac_f64_e32 v[158:159], v[158:159], v[162:163]
	v_mul_f64 v[162:163], v[160:161], v[158:159]
	v_fma_f64 v[156:157], -v[156:157], v[162:163], v[160:161]
	v_div_fmas_f64 v[156:157], v[156:157], v[158:159], v[162:163]
	v_div_fixup_f64 v[158:159], v[156:157], v[152:153], v[154:155]
	v_fmac_f64_e32 v[152:153], v[154:155], v[158:159]
	v_div_scale_f64 v[154:155], s[10:11], v[152:153], v[152:153], 1.0
	v_rcp_f64_e32 v[156:157], v[154:155]
	s_nop 0
	v_fma_f64 v[160:161], -v[154:155], v[156:157], 1.0
	v_fmac_f64_e32 v[156:157], v[156:157], v[160:161]
	v_fma_f64 v[160:161], -v[154:155], v[156:157], 1.0
	v_fmac_f64_e32 v[156:157], v[156:157], v[160:161]
	v_div_scale_f64 v[160:161], vcc, 1.0, v[152:153], 1.0
	v_mul_f64 v[162:163], v[160:161], v[156:157]
	v_fma_f64 v[154:155], -v[154:155], v[162:163], v[160:161]
	s_nop 1
	v_div_fmas_f64 v[154:155], v[154:155], v[156:157], v[162:163]
	v_div_fixup_f64 v[156:157], v[154:155], v[152:153], 1.0
	v_mul_f64 v[158:159], v[158:159], -v[156:157]
.LBB55_97:
	s_or_b64 exec, exec, s[2:3]
	ds_write2_b64 v255, v[156:157], v[158:159] offset1:1
.LBB55_98:
	s_or_b64 exec, exec, s[4:5]
	s_waitcnt lgkmcnt(0)
	s_barrier
	ds_read2_b64 v[152:155], v255 offset1:1
	v_cmp_lt_u32_e32 vcc, 10, v254
	s_and_saveexec_b64 s[2:3], vcc
	s_cbranch_execz .LBB55_100
; %bb.99:
	ds_read2_b64 v[158:161], v226 offset0:22 offset1:23
	ds_read2_b64 v[162:165], v226 offset0:24 offset1:25
	s_waitcnt vmcnt(31) lgkmcnt(2)
	v_mul_f64 v[156:157], v[154:155], v[66:67]
	v_mul_f64 v[66:67], v[152:153], v[66:67]
	v_fmac_f64_e32 v[66:67], v[154:155], v[64:65]
	v_fma_f64 v[156:157], v[152:153], v[64:65], -v[156:157]
	s_waitcnt lgkmcnt(1)
	v_mul_f64 v[64:65], v[160:161], v[66:67]
	v_fma_f64 v[64:65], v[158:159], v[156:157], -v[64:65]
	v_mul_f64 v[158:159], v[158:159], v[66:67]
	v_fmac_f64_e32 v[158:159], v[160:161], v[156:157]
	s_waitcnt vmcnt(30)
	v_add_f64 v[62:63], v[62:63], -v[158:159]
	ds_read2_b64 v[158:161], v226 offset0:26 offset1:27
	v_add_f64 v[60:61], v[60:61], -v[64:65]
	s_waitcnt lgkmcnt(1)
	v_mul_f64 v[64:65], v[164:165], v[66:67]
	v_fma_f64 v[64:65], v[162:163], v[156:157], -v[64:65]
	v_mul_f64 v[162:163], v[162:163], v[66:67]
	v_fmac_f64_e32 v[162:163], v[164:165], v[156:157]
	s_waitcnt vmcnt(29)
	v_add_f64 v[56:57], v[56:57], -v[64:65]
	v_add_f64 v[58:59], v[58:59], -v[162:163]
	ds_read2_b64 v[162:165], v226 offset0:28 offset1:29
	s_waitcnt lgkmcnt(1)
	v_mul_f64 v[64:65], v[160:161], v[66:67]
	v_fma_f64 v[64:65], v[158:159], v[156:157], -v[64:65]
	v_mul_f64 v[158:159], v[158:159], v[66:67]
	v_fmac_f64_e32 v[158:159], v[160:161], v[156:157]
	s_waitcnt vmcnt(28)
	v_add_f64 v[54:55], v[54:55], -v[158:159]
	ds_read2_b64 v[158:161], v226 offset0:30 offset1:31
	v_add_f64 v[52:53], v[52:53], -v[64:65]
	s_waitcnt lgkmcnt(1)
	v_mul_f64 v[64:65], v[164:165], v[66:67]
	v_fma_f64 v[64:65], v[162:163], v[156:157], -v[64:65]
	v_mul_f64 v[162:163], v[162:163], v[66:67]
	v_fmac_f64_e32 v[162:163], v[164:165], v[156:157]
	s_waitcnt vmcnt(27)
	v_add_f64 v[48:49], v[48:49], -v[64:65]
	v_add_f64 v[50:51], v[50:51], -v[162:163]
	ds_read2_b64 v[162:165], v226 offset0:32 offset1:33
	s_waitcnt lgkmcnt(1)
	v_mul_f64 v[64:65], v[160:161], v[66:67]
	v_fma_f64 v[64:65], v[158:159], v[156:157], -v[64:65]
	v_mul_f64 v[158:159], v[158:159], v[66:67]
	v_fmac_f64_e32 v[158:159], v[160:161], v[156:157]
	s_waitcnt vmcnt(26)
	v_add_f64 v[46:47], v[46:47], -v[158:159]
	ds_read2_b64 v[158:161], v226 offset0:34 offset1:35
	v_add_f64 v[44:45], v[44:45], -v[64:65]
	s_waitcnt lgkmcnt(1)
	v_mul_f64 v[64:65], v[164:165], v[66:67]
	v_fma_f64 v[64:65], v[162:163], v[156:157], -v[64:65]
	v_mul_f64 v[162:163], v[162:163], v[66:67]
	v_fmac_f64_e32 v[162:163], v[164:165], v[156:157]
	s_waitcnt vmcnt(25)
	v_add_f64 v[40:41], v[40:41], -v[64:65]
	v_add_f64 v[42:43], v[42:43], -v[162:163]
	ds_read2_b64 v[162:165], v226 offset0:36 offset1:37
	s_waitcnt lgkmcnt(1)
	v_mul_f64 v[64:65], v[160:161], v[66:67]
	v_fma_f64 v[64:65], v[158:159], v[156:157], -v[64:65]
	v_mul_f64 v[158:159], v[158:159], v[66:67]
	v_fmac_f64_e32 v[158:159], v[160:161], v[156:157]
	s_waitcnt vmcnt(24)
	v_add_f64 v[38:39], v[38:39], -v[158:159]
	ds_read2_b64 v[158:161], v226 offset0:38 offset1:39
	v_add_f64 v[36:37], v[36:37], -v[64:65]
	s_waitcnt lgkmcnt(1)
	v_mul_f64 v[64:65], v[164:165], v[66:67]
	v_fma_f64 v[64:65], v[162:163], v[156:157], -v[64:65]
	v_mul_f64 v[162:163], v[162:163], v[66:67]
	v_fmac_f64_e32 v[162:163], v[164:165], v[156:157]
	s_waitcnt vmcnt(23)
	v_add_f64 v[32:33], v[32:33], -v[64:65]
	v_add_f64 v[34:35], v[34:35], -v[162:163]
	ds_read2_b64 v[162:165], v226 offset0:40 offset1:41
	s_waitcnt lgkmcnt(1)
	v_mul_f64 v[64:65], v[160:161], v[66:67]
	v_fma_f64 v[64:65], v[158:159], v[156:157], -v[64:65]
	v_mul_f64 v[158:159], v[158:159], v[66:67]
	v_fmac_f64_e32 v[158:159], v[160:161], v[156:157]
	s_waitcnt vmcnt(22)
	v_add_f64 v[30:31], v[30:31], -v[158:159]
	ds_read2_b64 v[158:161], v226 offset0:42 offset1:43
	v_add_f64 v[28:29], v[28:29], -v[64:65]
	s_waitcnt lgkmcnt(1)
	v_mul_f64 v[64:65], v[164:165], v[66:67]
	v_fma_f64 v[64:65], v[162:163], v[156:157], -v[64:65]
	v_mul_f64 v[162:163], v[162:163], v[66:67]
	v_fmac_f64_e32 v[162:163], v[164:165], v[156:157]
	s_waitcnt vmcnt(21)
	v_add_f64 v[24:25], v[24:25], -v[64:65]
	v_add_f64 v[26:27], v[26:27], -v[162:163]
	ds_read2_b64 v[162:165], v226 offset0:44 offset1:45
	s_waitcnt lgkmcnt(1)
	v_mul_f64 v[64:65], v[160:161], v[66:67]
	v_fma_f64 v[64:65], v[158:159], v[156:157], -v[64:65]
	v_mul_f64 v[158:159], v[158:159], v[66:67]
	v_fmac_f64_e32 v[158:159], v[160:161], v[156:157]
	s_waitcnt vmcnt(20)
	v_add_f64 v[22:23], v[22:23], -v[158:159]
	ds_read2_b64 v[158:161], v226 offset0:46 offset1:47
	v_add_f64 v[20:21], v[20:21], -v[64:65]
	s_waitcnt lgkmcnt(1)
	v_mul_f64 v[64:65], v[164:165], v[66:67]
	v_fma_f64 v[64:65], v[162:163], v[156:157], -v[64:65]
	v_mul_f64 v[162:163], v[162:163], v[66:67]
	v_fmac_f64_e32 v[162:163], v[164:165], v[156:157]
	s_waitcnt vmcnt(9)
	v_add_f64 v[16:17], v[16:17], -v[64:65]
	v_add_f64 v[18:19], v[18:19], -v[162:163]
	ds_read2_b64 v[162:165], v226 offset0:48 offset1:49
	s_waitcnt lgkmcnt(1)
	v_mul_f64 v[64:65], v[160:161], v[66:67]
	v_fma_f64 v[64:65], v[158:159], v[156:157], -v[64:65]
	v_mul_f64 v[158:159], v[158:159], v[66:67]
	v_fmac_f64_e32 v[158:159], v[160:161], v[156:157]
	s_waitcnt vmcnt(7)
	v_add_f64 v[14:15], v[14:15], -v[158:159]
	ds_read2_b64 v[158:161], v226 offset0:50 offset1:51
	v_add_f64 v[12:13], v[12:13], -v[64:65]
	s_waitcnt lgkmcnt(1)
	v_mul_f64 v[64:65], v[164:165], v[66:67]
	v_fma_f64 v[64:65], v[162:163], v[156:157], -v[64:65]
	v_mul_f64 v[162:163], v[162:163], v[66:67]
	v_fmac_f64_e32 v[162:163], v[164:165], v[156:157]
	s_waitcnt vmcnt(6)
	v_add_f64 v[8:9], v[8:9], -v[64:65]
	v_add_f64 v[10:11], v[10:11], -v[162:163]
	ds_read2_b64 v[162:165], v226 offset0:52 offset1:53
	s_waitcnt lgkmcnt(1)
	v_mul_f64 v[64:65], v[160:161], v[66:67]
	v_fma_f64 v[64:65], v[158:159], v[156:157], -v[64:65]
	v_mul_f64 v[158:159], v[158:159], v[66:67]
	v_fmac_f64_e32 v[158:159], v[160:161], v[156:157]
	s_waitcnt vmcnt(5)
	v_add_f64 v[6:7], v[6:7], -v[158:159]
	ds_read2_b64 v[158:161], v226 offset0:54 offset1:55
	v_add_f64 v[4:5], v[4:5], -v[64:65]
	s_waitcnt lgkmcnt(1)
	v_mul_f64 v[64:65], v[164:165], v[66:67]
	v_fma_f64 v[64:65], v[162:163], v[156:157], -v[64:65]
	v_add_f64 v[0:1], v[0:1], -v[64:65]
	s_waitcnt lgkmcnt(0)
	v_mul_f64 v[64:65], v[160:161], v[66:67]
	v_mul_f64 v[162:163], v[162:163], v[66:67]
	v_fma_f64 v[64:65], v[158:159], v[156:157], -v[64:65]
	v_mul_f64 v[158:159], v[158:159], v[66:67]
	v_fmac_f64_e32 v[162:163], v[164:165], v[156:157]
	v_fmac_f64_e32 v[158:159], v[160:161], v[156:157]
	v_add_f64 v[2:3], v[2:3], -v[162:163]
	s_waitcnt vmcnt(4)
	v_add_f64 v[108:109], v[108:109], -v[64:65]
	v_add_f64 v[110:111], v[110:111], -v[158:159]
	v_mov_b64_e32 v[64:65], v[156:157]
.LBB55_100:
	s_or_b64 exec, exec, s[2:3]
	v_cmp_eq_u32_e32 vcc, 11, v254
	s_waitcnt lgkmcnt(0)
	s_barrier
	s_and_saveexec_b64 s[4:5], vcc
	s_cbranch_execz .LBB55_107
; %bb.101:
	s_waitcnt vmcnt(30)
	ds_write2_b64 v255, v[60:61], v[62:63] offset1:1
	s_waitcnt vmcnt(29)
	ds_write2_b64 v226, v[56:57], v[58:59] offset0:24 offset1:25
	s_waitcnt vmcnt(28)
	ds_write2_b64 v226, v[52:53], v[54:55] offset0:26 offset1:27
	s_waitcnt vmcnt(27)
	ds_write2_b64 v226, v[48:49], v[50:51] offset0:28 offset1:29
	s_waitcnt vmcnt(26)
	ds_write2_b64 v226, v[44:45], v[46:47] offset0:30 offset1:31
	s_waitcnt vmcnt(25)
	ds_write2_b64 v226, v[40:41], v[42:43] offset0:32 offset1:33
	s_waitcnt vmcnt(24)
	ds_write2_b64 v226, v[36:37], v[38:39] offset0:34 offset1:35
	s_waitcnt vmcnt(23)
	ds_write2_b64 v226, v[32:33], v[34:35] offset0:36 offset1:37
	s_waitcnt vmcnt(22)
	ds_write2_b64 v226, v[28:29], v[30:31] offset0:38 offset1:39
	s_waitcnt vmcnt(21)
	ds_write2_b64 v226, v[24:25], v[26:27] offset0:40 offset1:41
	s_waitcnt vmcnt(20)
	ds_write2_b64 v226, v[20:21], v[22:23] offset0:42 offset1:43
	s_waitcnt vmcnt(9)
	ds_write2_b64 v226, v[16:17], v[18:19] offset0:44 offset1:45
	s_waitcnt vmcnt(7)
	ds_write2_b64 v226, v[12:13], v[14:15] offset0:46 offset1:47
	s_waitcnt vmcnt(6)
	ds_write2_b64 v226, v[8:9], v[10:11] offset0:48 offset1:49
	s_waitcnt vmcnt(5)
	ds_write2_b64 v226, v[4:5], v[6:7] offset0:50 offset1:51
	ds_write2_b64 v226, v[0:1], v[2:3] offset0:52 offset1:53
	s_waitcnt vmcnt(4)
	ds_write2_b64 v226, v[108:109], v[110:111] offset0:54 offset1:55
	ds_read2_b64 v[156:159], v255 offset1:1
	s_waitcnt lgkmcnt(0)
	v_cmp_neq_f64_e32 vcc, 0, v[156:157]
	v_cmp_neq_f64_e64 s[2:3], 0, v[158:159]
	s_or_b64 s[2:3], vcc, s[2:3]
	s_and_b64 exec, exec, s[2:3]
	s_cbranch_execz .LBB55_107
; %bb.102:
	v_cmp_ngt_f64_e64 s[2:3], |v[156:157]|, |v[158:159]|
                                        ; implicit-def: $vgpr160_vgpr161
	s_and_saveexec_b64 s[10:11], s[2:3]
	s_xor_b64 s[2:3], exec, s[10:11]
                                        ; implicit-def: $vgpr162_vgpr163
	s_cbranch_execz .LBB55_104
; %bb.103:
	v_div_scale_f64 v[160:161], s[10:11], v[158:159], v[158:159], v[156:157]
	v_rcp_f64_e32 v[162:163], v[160:161]
	v_div_scale_f64 v[164:165], vcc, v[156:157], v[158:159], v[156:157]
	v_fma_f64 v[166:167], -v[160:161], v[162:163], 1.0
	v_fmac_f64_e32 v[162:163], v[162:163], v[166:167]
	v_fma_f64 v[166:167], -v[160:161], v[162:163], 1.0
	v_fmac_f64_e32 v[162:163], v[162:163], v[166:167]
	v_mul_f64 v[166:167], v[164:165], v[162:163]
	v_fma_f64 v[160:161], -v[160:161], v[166:167], v[164:165]
	v_div_fmas_f64 v[160:161], v[160:161], v[162:163], v[166:167]
	v_div_fixup_f64 v[160:161], v[160:161], v[158:159], v[156:157]
	v_fmac_f64_e32 v[158:159], v[156:157], v[160:161]
	v_div_scale_f64 v[156:157], s[10:11], v[158:159], v[158:159], 1.0
	v_rcp_f64_e32 v[162:163], v[156:157]
	s_nop 0
	v_fma_f64 v[164:165], -v[156:157], v[162:163], 1.0
	v_fmac_f64_e32 v[162:163], v[162:163], v[164:165]
	v_fma_f64 v[164:165], -v[156:157], v[162:163], 1.0
	v_fmac_f64_e32 v[162:163], v[162:163], v[164:165]
	v_div_scale_f64 v[164:165], vcc, 1.0, v[158:159], 1.0
	v_mul_f64 v[166:167], v[164:165], v[162:163]
	v_fma_f64 v[156:157], -v[156:157], v[166:167], v[164:165]
	s_nop 1
	v_div_fmas_f64 v[156:157], v[156:157], v[162:163], v[166:167]
	v_div_fixup_f64 v[162:163], v[156:157], v[158:159], 1.0
	v_mul_f64 v[160:161], v[160:161], v[162:163]
	v_xor_b32_e32 v163, 0x80000000, v163
                                        ; implicit-def: $vgpr156_vgpr157
.LBB55_104:
	s_andn2_saveexec_b64 s[2:3], s[2:3]
	s_cbranch_execz .LBB55_106
; %bb.105:
	v_div_scale_f64 v[160:161], s[10:11], v[156:157], v[156:157], v[158:159]
	v_rcp_f64_e32 v[162:163], v[160:161]
	v_div_scale_f64 v[164:165], vcc, v[158:159], v[156:157], v[158:159]
	v_fma_f64 v[166:167], -v[160:161], v[162:163], 1.0
	v_fmac_f64_e32 v[162:163], v[162:163], v[166:167]
	v_fma_f64 v[166:167], -v[160:161], v[162:163], 1.0
	v_fmac_f64_e32 v[162:163], v[162:163], v[166:167]
	v_mul_f64 v[166:167], v[164:165], v[162:163]
	v_fma_f64 v[160:161], -v[160:161], v[166:167], v[164:165]
	v_div_fmas_f64 v[160:161], v[160:161], v[162:163], v[166:167]
	v_div_fixup_f64 v[162:163], v[160:161], v[156:157], v[158:159]
	v_fmac_f64_e32 v[156:157], v[158:159], v[162:163]
	v_div_scale_f64 v[158:159], s[10:11], v[156:157], v[156:157], 1.0
	v_rcp_f64_e32 v[160:161], v[158:159]
	s_nop 0
	v_fma_f64 v[164:165], -v[158:159], v[160:161], 1.0
	v_fmac_f64_e32 v[160:161], v[160:161], v[164:165]
	v_fma_f64 v[164:165], -v[158:159], v[160:161], 1.0
	v_fmac_f64_e32 v[160:161], v[160:161], v[164:165]
	v_div_scale_f64 v[164:165], vcc, 1.0, v[156:157], 1.0
	v_mul_f64 v[166:167], v[164:165], v[160:161]
	v_fma_f64 v[158:159], -v[158:159], v[166:167], v[164:165]
	s_nop 1
	v_div_fmas_f64 v[158:159], v[158:159], v[160:161], v[166:167]
	v_div_fixup_f64 v[160:161], v[158:159], v[156:157], 1.0
	v_mul_f64 v[162:163], v[162:163], -v[160:161]
.LBB55_106:
	s_or_b64 exec, exec, s[2:3]
	ds_write2_b64 v255, v[160:161], v[162:163] offset1:1
.LBB55_107:
	s_or_b64 exec, exec, s[4:5]
	s_waitcnt lgkmcnt(0)
	s_barrier
	ds_read2_b64 v[156:159], v255 offset1:1
	v_cmp_lt_u32_e32 vcc, 11, v254
	s_and_saveexec_b64 s[2:3], vcc
	s_cbranch_execz .LBB55_109
; %bb.108:
	ds_read2_b64 v[162:165], v226 offset0:24 offset1:25
	ds_read2_b64 v[166:169], v226 offset0:26 offset1:27
	s_waitcnt vmcnt(30) lgkmcnt(2)
	v_mul_f64 v[160:161], v[156:157], v[62:63]
	v_fmac_f64_e32 v[160:161], v[158:159], v[60:61]
	v_mul_f64 v[62:63], v[158:159], v[62:63]
	v_fma_f64 v[60:61], v[156:157], v[60:61], -v[62:63]
	s_waitcnt lgkmcnt(1)
	v_mul_f64 v[62:63], v[164:165], v[160:161]
	v_fma_f64 v[62:63], v[162:163], v[60:61], -v[62:63]
	v_mul_f64 v[162:163], v[162:163], v[160:161]
	v_fmac_f64_e32 v[162:163], v[164:165], v[60:61]
	s_waitcnt vmcnt(29)
	v_add_f64 v[56:57], v[56:57], -v[62:63]
	v_add_f64 v[58:59], v[58:59], -v[162:163]
	s_waitcnt lgkmcnt(0)
	v_mul_f64 v[62:63], v[168:169], v[160:161]
	ds_read2_b64 v[162:165], v226 offset0:28 offset1:29
	v_fma_f64 v[62:63], v[166:167], v[60:61], -v[62:63]
	v_mul_f64 v[166:167], v[166:167], v[160:161]
	v_fmac_f64_e32 v[166:167], v[168:169], v[60:61]
	s_waitcnt vmcnt(28)
	v_add_f64 v[54:55], v[54:55], -v[166:167]
	ds_read2_b64 v[166:169], v226 offset0:30 offset1:31
	v_add_f64 v[52:53], v[52:53], -v[62:63]
	s_waitcnt lgkmcnt(1)
	v_mul_f64 v[62:63], v[164:165], v[160:161]
	v_fma_f64 v[62:63], v[162:163], v[60:61], -v[62:63]
	v_mul_f64 v[162:163], v[162:163], v[160:161]
	v_fmac_f64_e32 v[162:163], v[164:165], v[60:61]
	s_waitcnt vmcnt(27)
	v_add_f64 v[48:49], v[48:49], -v[62:63]
	v_add_f64 v[50:51], v[50:51], -v[162:163]
	s_waitcnt lgkmcnt(0)
	v_mul_f64 v[62:63], v[168:169], v[160:161]
	ds_read2_b64 v[162:165], v226 offset0:32 offset1:33
	v_fma_f64 v[62:63], v[166:167], v[60:61], -v[62:63]
	v_mul_f64 v[166:167], v[166:167], v[160:161]
	v_fmac_f64_e32 v[166:167], v[168:169], v[60:61]
	s_waitcnt vmcnt(26)
	v_add_f64 v[46:47], v[46:47], -v[166:167]
	ds_read2_b64 v[166:169], v226 offset0:34 offset1:35
	v_add_f64 v[44:45], v[44:45], -v[62:63]
	;; [unrolled: 18-line block ×7, first 2 shown]
	s_waitcnt lgkmcnt(1)
	v_mul_f64 v[62:63], v[164:165], v[160:161]
	v_fma_f64 v[62:63], v[162:163], v[60:61], -v[62:63]
	v_mul_f64 v[162:163], v[162:163], v[160:161]
	v_fmac_f64_e32 v[162:163], v[164:165], v[60:61]
	v_add_f64 v[0:1], v[0:1], -v[62:63]
	v_add_f64 v[2:3], v[2:3], -v[162:163]
	s_waitcnt lgkmcnt(0)
	v_mul_f64 v[62:63], v[168:169], v[160:161]
	v_mul_f64 v[162:163], v[166:167], v[160:161]
	v_fma_f64 v[62:63], v[166:167], v[60:61], -v[62:63]
	v_fmac_f64_e32 v[162:163], v[168:169], v[60:61]
	s_waitcnt vmcnt(4)
	v_add_f64 v[108:109], v[108:109], -v[62:63]
	v_add_f64 v[110:111], v[110:111], -v[162:163]
	v_mov_b64_e32 v[62:63], v[160:161]
.LBB55_109:
	s_or_b64 exec, exec, s[2:3]
	v_cmp_eq_u32_e32 vcc, 12, v254
	s_waitcnt lgkmcnt(0)
	s_barrier
	s_and_saveexec_b64 s[4:5], vcc
	s_cbranch_execz .LBB55_116
; %bb.110:
	s_waitcnt vmcnt(29)
	ds_write2_b64 v255, v[56:57], v[58:59] offset1:1
	s_waitcnt vmcnt(28)
	ds_write2_b64 v226, v[52:53], v[54:55] offset0:26 offset1:27
	s_waitcnt vmcnt(27)
	ds_write2_b64 v226, v[48:49], v[50:51] offset0:28 offset1:29
	;; [unrolled: 2-line block ×13, first 2 shown]
	ds_write2_b64 v226, v[0:1], v[2:3] offset0:52 offset1:53
	s_waitcnt vmcnt(4)
	ds_write2_b64 v226, v[108:109], v[110:111] offset0:54 offset1:55
	ds_read2_b64 v[160:163], v255 offset1:1
	s_waitcnt lgkmcnt(0)
	v_cmp_neq_f64_e32 vcc, 0, v[160:161]
	v_cmp_neq_f64_e64 s[2:3], 0, v[162:163]
	s_or_b64 s[2:3], vcc, s[2:3]
	s_and_b64 exec, exec, s[2:3]
	s_cbranch_execz .LBB55_116
; %bb.111:
	v_cmp_ngt_f64_e64 s[2:3], |v[160:161]|, |v[162:163]|
                                        ; implicit-def: $vgpr164_vgpr165
	s_and_saveexec_b64 s[10:11], s[2:3]
	s_xor_b64 s[2:3], exec, s[10:11]
                                        ; implicit-def: $vgpr166_vgpr167
	s_cbranch_execz .LBB55_113
; %bb.112:
	v_div_scale_f64 v[164:165], s[10:11], v[162:163], v[162:163], v[160:161]
	v_rcp_f64_e32 v[166:167], v[164:165]
	v_div_scale_f64 v[168:169], vcc, v[160:161], v[162:163], v[160:161]
	v_fma_f64 v[170:171], -v[164:165], v[166:167], 1.0
	v_fmac_f64_e32 v[166:167], v[166:167], v[170:171]
	v_fma_f64 v[170:171], -v[164:165], v[166:167], 1.0
	v_fmac_f64_e32 v[166:167], v[166:167], v[170:171]
	v_mul_f64 v[170:171], v[168:169], v[166:167]
	v_fma_f64 v[164:165], -v[164:165], v[170:171], v[168:169]
	v_div_fmas_f64 v[164:165], v[164:165], v[166:167], v[170:171]
	v_div_fixup_f64 v[164:165], v[164:165], v[162:163], v[160:161]
	v_fmac_f64_e32 v[162:163], v[160:161], v[164:165]
	v_div_scale_f64 v[160:161], s[10:11], v[162:163], v[162:163], 1.0
	v_rcp_f64_e32 v[166:167], v[160:161]
	s_nop 0
	v_fma_f64 v[168:169], -v[160:161], v[166:167], 1.0
	v_fmac_f64_e32 v[166:167], v[166:167], v[168:169]
	v_fma_f64 v[168:169], -v[160:161], v[166:167], 1.0
	v_fmac_f64_e32 v[166:167], v[166:167], v[168:169]
	v_div_scale_f64 v[168:169], vcc, 1.0, v[162:163], 1.0
	v_mul_f64 v[170:171], v[168:169], v[166:167]
	v_fma_f64 v[160:161], -v[160:161], v[170:171], v[168:169]
	s_nop 1
	v_div_fmas_f64 v[160:161], v[160:161], v[166:167], v[170:171]
	v_div_fixup_f64 v[166:167], v[160:161], v[162:163], 1.0
	v_mul_f64 v[164:165], v[164:165], v[166:167]
	v_xor_b32_e32 v167, 0x80000000, v167
                                        ; implicit-def: $vgpr160_vgpr161
.LBB55_113:
	s_andn2_saveexec_b64 s[2:3], s[2:3]
	s_cbranch_execz .LBB55_115
; %bb.114:
	v_div_scale_f64 v[164:165], s[10:11], v[160:161], v[160:161], v[162:163]
	v_rcp_f64_e32 v[166:167], v[164:165]
	v_div_scale_f64 v[168:169], vcc, v[162:163], v[160:161], v[162:163]
	v_fma_f64 v[170:171], -v[164:165], v[166:167], 1.0
	v_fmac_f64_e32 v[166:167], v[166:167], v[170:171]
	v_fma_f64 v[170:171], -v[164:165], v[166:167], 1.0
	v_fmac_f64_e32 v[166:167], v[166:167], v[170:171]
	v_mul_f64 v[170:171], v[168:169], v[166:167]
	v_fma_f64 v[164:165], -v[164:165], v[170:171], v[168:169]
	v_div_fmas_f64 v[164:165], v[164:165], v[166:167], v[170:171]
	v_div_fixup_f64 v[166:167], v[164:165], v[160:161], v[162:163]
	v_fmac_f64_e32 v[160:161], v[162:163], v[166:167]
	v_div_scale_f64 v[162:163], s[10:11], v[160:161], v[160:161], 1.0
	v_rcp_f64_e32 v[164:165], v[162:163]
	s_nop 0
	v_fma_f64 v[168:169], -v[162:163], v[164:165], 1.0
	v_fmac_f64_e32 v[164:165], v[164:165], v[168:169]
	v_fma_f64 v[168:169], -v[162:163], v[164:165], 1.0
	v_fmac_f64_e32 v[164:165], v[164:165], v[168:169]
	v_div_scale_f64 v[168:169], vcc, 1.0, v[160:161], 1.0
	v_mul_f64 v[170:171], v[168:169], v[164:165]
	v_fma_f64 v[162:163], -v[162:163], v[170:171], v[168:169]
	s_nop 1
	v_div_fmas_f64 v[162:163], v[162:163], v[164:165], v[170:171]
	v_div_fixup_f64 v[164:165], v[162:163], v[160:161], 1.0
	v_mul_f64 v[166:167], v[166:167], -v[164:165]
.LBB55_115:
	s_or_b64 exec, exec, s[2:3]
	ds_write2_b64 v255, v[164:165], v[166:167] offset1:1
.LBB55_116:
	s_or_b64 exec, exec, s[4:5]
	s_waitcnt lgkmcnt(0)
	s_barrier
	ds_read2_b64 v[160:163], v255 offset1:1
	v_cmp_lt_u32_e32 vcc, 12, v254
	s_and_saveexec_b64 s[2:3], vcc
	s_cbranch_execz .LBB55_118
; %bb.117:
	ds_read2_b64 v[166:169], v226 offset0:26 offset1:27
	ds_read2_b64 v[170:173], v226 offset0:28 offset1:29
	s_waitcnt vmcnt(29) lgkmcnt(2)
	v_mul_f64 v[164:165], v[160:161], v[58:59]
	v_fmac_f64_e32 v[164:165], v[162:163], v[56:57]
	v_mul_f64 v[58:59], v[162:163], v[58:59]
	v_fma_f64 v[56:57], v[160:161], v[56:57], -v[58:59]
	s_waitcnt lgkmcnt(1)
	v_mul_f64 v[58:59], v[168:169], v[164:165]
	v_fma_f64 v[58:59], v[166:167], v[56:57], -v[58:59]
	v_mul_f64 v[166:167], v[166:167], v[164:165]
	v_fmac_f64_e32 v[166:167], v[168:169], v[56:57]
	s_waitcnt vmcnt(28)
	v_add_f64 v[54:55], v[54:55], -v[166:167]
	ds_read2_b64 v[166:169], v226 offset0:30 offset1:31
	v_add_f64 v[52:53], v[52:53], -v[58:59]
	s_waitcnt lgkmcnt(1)
	v_mul_f64 v[58:59], v[172:173], v[164:165]
	v_fma_f64 v[58:59], v[170:171], v[56:57], -v[58:59]
	v_mul_f64 v[170:171], v[170:171], v[164:165]
	v_fmac_f64_e32 v[170:171], v[172:173], v[56:57]
	s_waitcnt vmcnt(27)
	v_add_f64 v[48:49], v[48:49], -v[58:59]
	v_add_f64 v[50:51], v[50:51], -v[170:171]
	ds_read2_b64 v[170:173], v226 offset0:32 offset1:33
	s_waitcnt lgkmcnt(1)
	v_mul_f64 v[58:59], v[168:169], v[164:165]
	v_fma_f64 v[58:59], v[166:167], v[56:57], -v[58:59]
	v_mul_f64 v[166:167], v[166:167], v[164:165]
	v_fmac_f64_e32 v[166:167], v[168:169], v[56:57]
	s_waitcnt vmcnt(26)
	v_add_f64 v[46:47], v[46:47], -v[166:167]
	ds_read2_b64 v[166:169], v226 offset0:34 offset1:35
	v_add_f64 v[44:45], v[44:45], -v[58:59]
	s_waitcnt lgkmcnt(1)
	v_mul_f64 v[58:59], v[172:173], v[164:165]
	v_fma_f64 v[58:59], v[170:171], v[56:57], -v[58:59]
	v_mul_f64 v[170:171], v[170:171], v[164:165]
	v_fmac_f64_e32 v[170:171], v[172:173], v[56:57]
	s_waitcnt vmcnt(25)
	v_add_f64 v[40:41], v[40:41], -v[58:59]
	v_add_f64 v[42:43], v[42:43], -v[170:171]
	ds_read2_b64 v[170:173], v226 offset0:36 offset1:37
	;; [unrolled: 18-line block ×6, first 2 shown]
	s_waitcnt lgkmcnt(1)
	v_mul_f64 v[58:59], v[168:169], v[164:165]
	v_fma_f64 v[58:59], v[166:167], v[56:57], -v[58:59]
	v_mul_f64 v[166:167], v[166:167], v[164:165]
	v_fmac_f64_e32 v[166:167], v[168:169], v[56:57]
	s_waitcnt vmcnt(5)
	v_add_f64 v[6:7], v[6:7], -v[166:167]
	ds_read2_b64 v[166:169], v226 offset0:54 offset1:55
	v_add_f64 v[4:5], v[4:5], -v[58:59]
	s_waitcnt lgkmcnt(1)
	v_mul_f64 v[58:59], v[172:173], v[164:165]
	v_fma_f64 v[58:59], v[170:171], v[56:57], -v[58:59]
	v_add_f64 v[0:1], v[0:1], -v[58:59]
	s_waitcnt lgkmcnt(0)
	v_mul_f64 v[58:59], v[168:169], v[164:165]
	v_mul_f64 v[170:171], v[170:171], v[164:165]
	v_fma_f64 v[58:59], v[166:167], v[56:57], -v[58:59]
	v_mul_f64 v[166:167], v[166:167], v[164:165]
	v_fmac_f64_e32 v[170:171], v[172:173], v[56:57]
	v_fmac_f64_e32 v[166:167], v[168:169], v[56:57]
	v_add_f64 v[2:3], v[2:3], -v[170:171]
	s_waitcnt vmcnt(4)
	v_add_f64 v[108:109], v[108:109], -v[58:59]
	v_add_f64 v[110:111], v[110:111], -v[166:167]
	v_mov_b64_e32 v[58:59], v[164:165]
.LBB55_118:
	s_or_b64 exec, exec, s[2:3]
	v_cmp_eq_u32_e32 vcc, 13, v254
	s_waitcnt lgkmcnt(0)
	s_barrier
	s_and_saveexec_b64 s[4:5], vcc
	s_cbranch_execz .LBB55_125
; %bb.119:
	s_waitcnt vmcnt(28)
	ds_write2_b64 v255, v[52:53], v[54:55] offset1:1
	s_waitcnt vmcnt(27)
	ds_write2_b64 v226, v[48:49], v[50:51] offset0:28 offset1:29
	s_waitcnt vmcnt(26)
	ds_write2_b64 v226, v[44:45], v[46:47] offset0:30 offset1:31
	;; [unrolled: 2-line block ×12, first 2 shown]
	ds_write2_b64 v226, v[0:1], v[2:3] offset0:52 offset1:53
	s_waitcnt vmcnt(4)
	ds_write2_b64 v226, v[108:109], v[110:111] offset0:54 offset1:55
	ds_read2_b64 v[164:167], v255 offset1:1
	s_waitcnt lgkmcnt(0)
	v_cmp_neq_f64_e32 vcc, 0, v[164:165]
	v_cmp_neq_f64_e64 s[2:3], 0, v[166:167]
	s_or_b64 s[2:3], vcc, s[2:3]
	s_and_b64 exec, exec, s[2:3]
	s_cbranch_execz .LBB55_125
; %bb.120:
	v_cmp_ngt_f64_e64 s[2:3], |v[164:165]|, |v[166:167]|
                                        ; implicit-def: $vgpr168_vgpr169
	s_and_saveexec_b64 s[10:11], s[2:3]
	s_xor_b64 s[2:3], exec, s[10:11]
                                        ; implicit-def: $vgpr170_vgpr171
	s_cbranch_execz .LBB55_122
; %bb.121:
	v_div_scale_f64 v[168:169], s[10:11], v[166:167], v[166:167], v[164:165]
	v_rcp_f64_e32 v[170:171], v[168:169]
	v_div_scale_f64 v[172:173], vcc, v[164:165], v[166:167], v[164:165]
	v_fma_f64 v[174:175], -v[168:169], v[170:171], 1.0
	v_fmac_f64_e32 v[170:171], v[170:171], v[174:175]
	v_fma_f64 v[174:175], -v[168:169], v[170:171], 1.0
	v_fmac_f64_e32 v[170:171], v[170:171], v[174:175]
	v_mul_f64 v[174:175], v[172:173], v[170:171]
	v_fma_f64 v[168:169], -v[168:169], v[174:175], v[172:173]
	v_div_fmas_f64 v[168:169], v[168:169], v[170:171], v[174:175]
	v_div_fixup_f64 v[168:169], v[168:169], v[166:167], v[164:165]
	v_fmac_f64_e32 v[166:167], v[164:165], v[168:169]
	v_div_scale_f64 v[164:165], s[10:11], v[166:167], v[166:167], 1.0
	v_rcp_f64_e32 v[170:171], v[164:165]
	s_nop 0
	v_fma_f64 v[172:173], -v[164:165], v[170:171], 1.0
	v_fmac_f64_e32 v[170:171], v[170:171], v[172:173]
	v_fma_f64 v[172:173], -v[164:165], v[170:171], 1.0
	v_fmac_f64_e32 v[170:171], v[170:171], v[172:173]
	v_div_scale_f64 v[172:173], vcc, 1.0, v[166:167], 1.0
	v_mul_f64 v[174:175], v[172:173], v[170:171]
	v_fma_f64 v[164:165], -v[164:165], v[174:175], v[172:173]
	s_nop 1
	v_div_fmas_f64 v[164:165], v[164:165], v[170:171], v[174:175]
	v_div_fixup_f64 v[170:171], v[164:165], v[166:167], 1.0
	v_mul_f64 v[168:169], v[168:169], v[170:171]
	v_xor_b32_e32 v171, 0x80000000, v171
                                        ; implicit-def: $vgpr164_vgpr165
.LBB55_122:
	s_andn2_saveexec_b64 s[2:3], s[2:3]
	s_cbranch_execz .LBB55_124
; %bb.123:
	v_div_scale_f64 v[168:169], s[10:11], v[164:165], v[164:165], v[166:167]
	v_rcp_f64_e32 v[170:171], v[168:169]
	v_div_scale_f64 v[172:173], vcc, v[166:167], v[164:165], v[166:167]
	v_fma_f64 v[174:175], -v[168:169], v[170:171], 1.0
	v_fmac_f64_e32 v[170:171], v[170:171], v[174:175]
	v_fma_f64 v[174:175], -v[168:169], v[170:171], 1.0
	v_fmac_f64_e32 v[170:171], v[170:171], v[174:175]
	v_mul_f64 v[174:175], v[172:173], v[170:171]
	v_fma_f64 v[168:169], -v[168:169], v[174:175], v[172:173]
	v_div_fmas_f64 v[168:169], v[168:169], v[170:171], v[174:175]
	v_div_fixup_f64 v[170:171], v[168:169], v[164:165], v[166:167]
	v_fmac_f64_e32 v[164:165], v[166:167], v[170:171]
	v_div_scale_f64 v[166:167], s[10:11], v[164:165], v[164:165], 1.0
	v_rcp_f64_e32 v[168:169], v[166:167]
	s_nop 0
	v_fma_f64 v[172:173], -v[166:167], v[168:169], 1.0
	v_fmac_f64_e32 v[168:169], v[168:169], v[172:173]
	v_fma_f64 v[172:173], -v[166:167], v[168:169], 1.0
	v_fmac_f64_e32 v[168:169], v[168:169], v[172:173]
	v_div_scale_f64 v[172:173], vcc, 1.0, v[164:165], 1.0
	v_mul_f64 v[174:175], v[172:173], v[168:169]
	v_fma_f64 v[166:167], -v[166:167], v[174:175], v[172:173]
	s_nop 1
	v_div_fmas_f64 v[166:167], v[166:167], v[168:169], v[174:175]
	v_div_fixup_f64 v[168:169], v[166:167], v[164:165], 1.0
	v_mul_f64 v[170:171], v[170:171], -v[168:169]
.LBB55_124:
	s_or_b64 exec, exec, s[2:3]
	ds_write2_b64 v255, v[168:169], v[170:171] offset1:1
.LBB55_125:
	s_or_b64 exec, exec, s[4:5]
	s_waitcnt lgkmcnt(0)
	s_barrier
	ds_read2_b64 v[164:167], v255 offset1:1
	v_cmp_lt_u32_e32 vcc, 13, v254
	s_and_saveexec_b64 s[2:3], vcc
	s_cbranch_execz .LBB55_127
; %bb.126:
	ds_read2_b64 v[170:173], v226 offset0:28 offset1:29
	ds_read2_b64 v[174:177], v226 offset0:30 offset1:31
	s_waitcnt vmcnt(28) lgkmcnt(2)
	v_mul_f64 v[168:169], v[164:165], v[54:55]
	v_fmac_f64_e32 v[168:169], v[166:167], v[52:53]
	v_mul_f64 v[54:55], v[166:167], v[54:55]
	v_fma_f64 v[52:53], v[164:165], v[52:53], -v[54:55]
	s_waitcnt lgkmcnt(1)
	v_mul_f64 v[54:55], v[172:173], v[168:169]
	v_fma_f64 v[54:55], v[170:171], v[52:53], -v[54:55]
	v_mul_f64 v[170:171], v[170:171], v[168:169]
	v_fmac_f64_e32 v[170:171], v[172:173], v[52:53]
	s_waitcnt vmcnt(27)
	v_add_f64 v[48:49], v[48:49], -v[54:55]
	v_add_f64 v[50:51], v[50:51], -v[170:171]
	s_waitcnt lgkmcnt(0)
	v_mul_f64 v[54:55], v[176:177], v[168:169]
	ds_read2_b64 v[170:173], v226 offset0:32 offset1:33
	v_fma_f64 v[54:55], v[174:175], v[52:53], -v[54:55]
	v_mul_f64 v[174:175], v[174:175], v[168:169]
	v_fmac_f64_e32 v[174:175], v[176:177], v[52:53]
	s_waitcnt vmcnt(26)
	v_add_f64 v[46:47], v[46:47], -v[174:175]
	ds_read2_b64 v[174:177], v226 offset0:34 offset1:35
	v_add_f64 v[44:45], v[44:45], -v[54:55]
	s_waitcnt lgkmcnt(1)
	v_mul_f64 v[54:55], v[172:173], v[168:169]
	v_fma_f64 v[54:55], v[170:171], v[52:53], -v[54:55]
	v_mul_f64 v[170:171], v[170:171], v[168:169]
	v_fmac_f64_e32 v[170:171], v[172:173], v[52:53]
	s_waitcnt vmcnt(25)
	v_add_f64 v[40:41], v[40:41], -v[54:55]
	v_add_f64 v[42:43], v[42:43], -v[170:171]
	s_waitcnt lgkmcnt(0)
	v_mul_f64 v[54:55], v[176:177], v[168:169]
	ds_read2_b64 v[170:173], v226 offset0:36 offset1:37
	v_fma_f64 v[54:55], v[174:175], v[52:53], -v[54:55]
	v_mul_f64 v[174:175], v[174:175], v[168:169]
	v_fmac_f64_e32 v[174:175], v[176:177], v[52:53]
	s_waitcnt vmcnt(24)
	v_add_f64 v[38:39], v[38:39], -v[174:175]
	ds_read2_b64 v[174:177], v226 offset0:38 offset1:39
	v_add_f64 v[36:37], v[36:37], -v[54:55]
	;; [unrolled: 18-line block ×6, first 2 shown]
	s_waitcnt lgkmcnt(1)
	v_mul_f64 v[54:55], v[172:173], v[168:169]
	v_fma_f64 v[54:55], v[170:171], v[52:53], -v[54:55]
	v_mul_f64 v[170:171], v[170:171], v[168:169]
	v_fmac_f64_e32 v[170:171], v[172:173], v[52:53]
	v_add_f64 v[0:1], v[0:1], -v[54:55]
	v_add_f64 v[2:3], v[2:3], -v[170:171]
	s_waitcnt lgkmcnt(0)
	v_mul_f64 v[54:55], v[176:177], v[168:169]
	v_mul_f64 v[170:171], v[174:175], v[168:169]
	v_fma_f64 v[54:55], v[174:175], v[52:53], -v[54:55]
	v_fmac_f64_e32 v[170:171], v[176:177], v[52:53]
	s_waitcnt vmcnt(4)
	v_add_f64 v[108:109], v[108:109], -v[54:55]
	v_add_f64 v[110:111], v[110:111], -v[170:171]
	v_mov_b64_e32 v[54:55], v[168:169]
.LBB55_127:
	s_or_b64 exec, exec, s[2:3]
	v_cmp_eq_u32_e32 vcc, 14, v254
	s_waitcnt lgkmcnt(0)
	s_barrier
	s_and_saveexec_b64 s[4:5], vcc
	s_cbranch_execz .LBB55_134
; %bb.128:
	s_waitcnt vmcnt(27)
	ds_write2_b64 v255, v[48:49], v[50:51] offset1:1
	s_waitcnt vmcnt(26)
	ds_write2_b64 v226, v[44:45], v[46:47] offset0:30 offset1:31
	s_waitcnt vmcnt(25)
	ds_write2_b64 v226, v[40:41], v[42:43] offset0:32 offset1:33
	;; [unrolled: 2-line block ×11, first 2 shown]
	ds_write2_b64 v226, v[0:1], v[2:3] offset0:52 offset1:53
	s_waitcnt vmcnt(4)
	ds_write2_b64 v226, v[108:109], v[110:111] offset0:54 offset1:55
	ds_read2_b64 v[168:171], v255 offset1:1
	s_waitcnt lgkmcnt(0)
	v_cmp_neq_f64_e32 vcc, 0, v[168:169]
	v_cmp_neq_f64_e64 s[2:3], 0, v[170:171]
	s_or_b64 s[2:3], vcc, s[2:3]
	s_and_b64 exec, exec, s[2:3]
	s_cbranch_execz .LBB55_134
; %bb.129:
	v_cmp_ngt_f64_e64 s[2:3], |v[168:169]|, |v[170:171]|
                                        ; implicit-def: $vgpr172_vgpr173
	s_and_saveexec_b64 s[10:11], s[2:3]
	s_xor_b64 s[2:3], exec, s[10:11]
                                        ; implicit-def: $vgpr174_vgpr175
	s_cbranch_execz .LBB55_131
; %bb.130:
	v_div_scale_f64 v[172:173], s[10:11], v[170:171], v[170:171], v[168:169]
	v_rcp_f64_e32 v[174:175], v[172:173]
	v_div_scale_f64 v[176:177], vcc, v[168:169], v[170:171], v[168:169]
	v_fma_f64 v[178:179], -v[172:173], v[174:175], 1.0
	v_fmac_f64_e32 v[174:175], v[174:175], v[178:179]
	v_fma_f64 v[178:179], -v[172:173], v[174:175], 1.0
	v_fmac_f64_e32 v[174:175], v[174:175], v[178:179]
	v_mul_f64 v[178:179], v[176:177], v[174:175]
	v_fma_f64 v[172:173], -v[172:173], v[178:179], v[176:177]
	v_div_fmas_f64 v[172:173], v[172:173], v[174:175], v[178:179]
	v_div_fixup_f64 v[172:173], v[172:173], v[170:171], v[168:169]
	v_fmac_f64_e32 v[170:171], v[168:169], v[172:173]
	v_div_scale_f64 v[168:169], s[10:11], v[170:171], v[170:171], 1.0
	v_rcp_f64_e32 v[174:175], v[168:169]
	s_nop 0
	v_fma_f64 v[176:177], -v[168:169], v[174:175], 1.0
	v_fmac_f64_e32 v[174:175], v[174:175], v[176:177]
	v_fma_f64 v[176:177], -v[168:169], v[174:175], 1.0
	v_fmac_f64_e32 v[174:175], v[174:175], v[176:177]
	v_div_scale_f64 v[176:177], vcc, 1.0, v[170:171], 1.0
	v_mul_f64 v[178:179], v[176:177], v[174:175]
	v_fma_f64 v[168:169], -v[168:169], v[178:179], v[176:177]
	s_nop 1
	v_div_fmas_f64 v[168:169], v[168:169], v[174:175], v[178:179]
	v_div_fixup_f64 v[174:175], v[168:169], v[170:171], 1.0
	v_mul_f64 v[172:173], v[172:173], v[174:175]
	v_xor_b32_e32 v175, 0x80000000, v175
                                        ; implicit-def: $vgpr168_vgpr169
.LBB55_131:
	s_andn2_saveexec_b64 s[2:3], s[2:3]
	s_cbranch_execz .LBB55_133
; %bb.132:
	v_div_scale_f64 v[172:173], s[10:11], v[168:169], v[168:169], v[170:171]
	v_rcp_f64_e32 v[174:175], v[172:173]
	v_div_scale_f64 v[176:177], vcc, v[170:171], v[168:169], v[170:171]
	v_fma_f64 v[178:179], -v[172:173], v[174:175], 1.0
	v_fmac_f64_e32 v[174:175], v[174:175], v[178:179]
	v_fma_f64 v[178:179], -v[172:173], v[174:175], 1.0
	v_fmac_f64_e32 v[174:175], v[174:175], v[178:179]
	v_mul_f64 v[178:179], v[176:177], v[174:175]
	v_fma_f64 v[172:173], -v[172:173], v[178:179], v[176:177]
	v_div_fmas_f64 v[172:173], v[172:173], v[174:175], v[178:179]
	v_div_fixup_f64 v[174:175], v[172:173], v[168:169], v[170:171]
	v_fmac_f64_e32 v[168:169], v[170:171], v[174:175]
	v_div_scale_f64 v[170:171], s[10:11], v[168:169], v[168:169], 1.0
	v_rcp_f64_e32 v[172:173], v[170:171]
	s_nop 0
	v_fma_f64 v[176:177], -v[170:171], v[172:173], 1.0
	v_fmac_f64_e32 v[172:173], v[172:173], v[176:177]
	v_fma_f64 v[176:177], -v[170:171], v[172:173], 1.0
	v_fmac_f64_e32 v[172:173], v[172:173], v[176:177]
	v_div_scale_f64 v[176:177], vcc, 1.0, v[168:169], 1.0
	v_mul_f64 v[178:179], v[176:177], v[172:173]
	v_fma_f64 v[170:171], -v[170:171], v[178:179], v[176:177]
	s_nop 1
	v_div_fmas_f64 v[170:171], v[170:171], v[172:173], v[178:179]
	v_div_fixup_f64 v[172:173], v[170:171], v[168:169], 1.0
	v_mul_f64 v[174:175], v[174:175], -v[172:173]
.LBB55_133:
	s_or_b64 exec, exec, s[2:3]
	ds_write2_b64 v255, v[172:173], v[174:175] offset1:1
.LBB55_134:
	s_or_b64 exec, exec, s[4:5]
	s_waitcnt lgkmcnt(0)
	s_barrier
	ds_read2_b64 v[168:171], v255 offset1:1
	v_cmp_lt_u32_e32 vcc, 14, v254
	s_and_saveexec_b64 s[2:3], vcc
	s_cbranch_execz .LBB55_136
; %bb.135:
	ds_read2_b64 v[172:175], v226 offset0:30 offset1:31
	ds_read2_b64 v[176:179], v226 offset0:32 offset1:33
	s_waitcnt vmcnt(27) lgkmcnt(2)
	v_mul_f64 v[180:181], v[168:169], v[50:51]
	v_fmac_f64_e32 v[180:181], v[170:171], v[48:49]
	v_mul_f64 v[50:51], v[170:171], v[50:51]
	v_fma_f64 v[48:49], v[168:169], v[48:49], -v[50:51]
	s_waitcnt lgkmcnt(1)
	v_mul_f64 v[50:51], v[174:175], v[180:181]
	v_fma_f64 v[50:51], v[172:173], v[48:49], -v[50:51]
	v_mul_f64 v[172:173], v[172:173], v[180:181]
	v_fmac_f64_e32 v[172:173], v[174:175], v[48:49]
	s_waitcnt vmcnt(26)
	v_add_f64 v[46:47], v[46:47], -v[172:173]
	ds_read2_b64 v[172:175], v226 offset0:34 offset1:35
	v_add_f64 v[44:45], v[44:45], -v[50:51]
	s_waitcnt lgkmcnt(1)
	v_mul_f64 v[50:51], v[178:179], v[180:181]
	v_fma_f64 v[50:51], v[176:177], v[48:49], -v[50:51]
	v_mul_f64 v[176:177], v[176:177], v[180:181]
	v_fmac_f64_e32 v[176:177], v[178:179], v[48:49]
	s_waitcnt vmcnt(25)
	v_add_f64 v[40:41], v[40:41], -v[50:51]
	v_add_f64 v[42:43], v[42:43], -v[176:177]
	ds_read2_b64 v[176:179], v226 offset0:36 offset1:37
	s_waitcnt lgkmcnt(1)
	v_mul_f64 v[50:51], v[174:175], v[180:181]
	v_fma_f64 v[50:51], v[172:173], v[48:49], -v[50:51]
	v_mul_f64 v[172:173], v[172:173], v[180:181]
	v_fmac_f64_e32 v[172:173], v[174:175], v[48:49]
	s_waitcnt vmcnt(24)
	v_add_f64 v[38:39], v[38:39], -v[172:173]
	ds_read2_b64 v[172:175], v226 offset0:38 offset1:39
	v_add_f64 v[36:37], v[36:37], -v[50:51]
	s_waitcnt lgkmcnt(1)
	v_mul_f64 v[50:51], v[178:179], v[180:181]
	v_fma_f64 v[50:51], v[176:177], v[48:49], -v[50:51]
	v_mul_f64 v[176:177], v[176:177], v[180:181]
	v_fmac_f64_e32 v[176:177], v[178:179], v[48:49]
	s_waitcnt vmcnt(23)
	v_add_f64 v[32:33], v[32:33], -v[50:51]
	v_add_f64 v[34:35], v[34:35], -v[176:177]
	ds_read2_b64 v[176:179], v226 offset0:40 offset1:41
	;; [unrolled: 18-line block ×5, first 2 shown]
	s_waitcnt lgkmcnt(1)
	v_mul_f64 v[50:51], v[174:175], v[180:181]
	v_fma_f64 v[50:51], v[172:173], v[48:49], -v[50:51]
	v_mul_f64 v[172:173], v[172:173], v[180:181]
	v_fmac_f64_e32 v[172:173], v[174:175], v[48:49]
	s_waitcnt vmcnt(5)
	v_add_f64 v[6:7], v[6:7], -v[172:173]
	ds_read2_b64 v[172:175], v226 offset0:54 offset1:55
	v_add_f64 v[4:5], v[4:5], -v[50:51]
	s_waitcnt lgkmcnt(1)
	v_mul_f64 v[50:51], v[178:179], v[180:181]
	v_fma_f64 v[50:51], v[176:177], v[48:49], -v[50:51]
	v_add_f64 v[0:1], v[0:1], -v[50:51]
	s_waitcnt lgkmcnt(0)
	v_mul_f64 v[50:51], v[174:175], v[180:181]
	v_mul_f64 v[176:177], v[176:177], v[180:181]
	v_fma_f64 v[50:51], v[172:173], v[48:49], -v[50:51]
	v_mul_f64 v[172:173], v[172:173], v[180:181]
	v_fmac_f64_e32 v[176:177], v[178:179], v[48:49]
	v_fmac_f64_e32 v[172:173], v[174:175], v[48:49]
	v_add_f64 v[2:3], v[2:3], -v[176:177]
	s_waitcnt vmcnt(4)
	v_add_f64 v[108:109], v[108:109], -v[50:51]
	v_add_f64 v[110:111], v[110:111], -v[172:173]
	v_mov_b64_e32 v[50:51], v[180:181]
.LBB55_136:
	s_or_b64 exec, exec, s[2:3]
	v_cmp_eq_u32_e32 vcc, 15, v254
	s_waitcnt lgkmcnt(0)
	s_barrier
	s_and_saveexec_b64 s[4:5], vcc
	s_cbranch_execz .LBB55_143
; %bb.137:
	s_waitcnt vmcnt(26)
	ds_write2_b64 v255, v[44:45], v[46:47] offset1:1
	s_waitcnt vmcnt(25)
	ds_write2_b64 v226, v[40:41], v[42:43] offset0:32 offset1:33
	s_waitcnt vmcnt(24)
	ds_write2_b64 v226, v[36:37], v[38:39] offset0:34 offset1:35
	;; [unrolled: 2-line block ×10, first 2 shown]
	ds_write2_b64 v226, v[0:1], v[2:3] offset0:52 offset1:53
	s_waitcnt vmcnt(4)
	ds_write2_b64 v226, v[108:109], v[110:111] offset0:54 offset1:55
	ds_read2_b64 v[172:175], v255 offset1:1
	s_waitcnt lgkmcnt(0)
	v_cmp_neq_f64_e32 vcc, 0, v[172:173]
	v_cmp_neq_f64_e64 s[2:3], 0, v[174:175]
	s_or_b64 s[2:3], vcc, s[2:3]
	s_and_b64 exec, exec, s[2:3]
	s_cbranch_execz .LBB55_143
; %bb.138:
	v_cmp_ngt_f64_e64 s[2:3], |v[172:173]|, |v[174:175]|
                                        ; implicit-def: $vgpr176_vgpr177
	s_and_saveexec_b64 s[10:11], s[2:3]
	s_xor_b64 s[2:3], exec, s[10:11]
                                        ; implicit-def: $vgpr178_vgpr179
	s_cbranch_execz .LBB55_140
; %bb.139:
	v_div_scale_f64 v[176:177], s[10:11], v[174:175], v[174:175], v[172:173]
	v_rcp_f64_e32 v[178:179], v[176:177]
	v_div_scale_f64 v[180:181], vcc, v[172:173], v[174:175], v[172:173]
	v_fma_f64 v[182:183], -v[176:177], v[178:179], 1.0
	v_fmac_f64_e32 v[178:179], v[178:179], v[182:183]
	v_fma_f64 v[182:183], -v[176:177], v[178:179], 1.0
	v_fmac_f64_e32 v[178:179], v[178:179], v[182:183]
	v_mul_f64 v[182:183], v[180:181], v[178:179]
	v_fma_f64 v[176:177], -v[176:177], v[182:183], v[180:181]
	v_div_fmas_f64 v[176:177], v[176:177], v[178:179], v[182:183]
	v_div_fixup_f64 v[176:177], v[176:177], v[174:175], v[172:173]
	v_fmac_f64_e32 v[174:175], v[172:173], v[176:177]
	v_div_scale_f64 v[172:173], s[10:11], v[174:175], v[174:175], 1.0
	v_rcp_f64_e32 v[178:179], v[172:173]
	s_nop 0
	v_fma_f64 v[180:181], -v[172:173], v[178:179], 1.0
	v_fmac_f64_e32 v[178:179], v[178:179], v[180:181]
	v_fma_f64 v[180:181], -v[172:173], v[178:179], 1.0
	v_fmac_f64_e32 v[178:179], v[178:179], v[180:181]
	v_div_scale_f64 v[180:181], vcc, 1.0, v[174:175], 1.0
	v_mul_f64 v[182:183], v[180:181], v[178:179]
	v_fma_f64 v[172:173], -v[172:173], v[182:183], v[180:181]
	s_nop 1
	v_div_fmas_f64 v[172:173], v[172:173], v[178:179], v[182:183]
	v_div_fixup_f64 v[178:179], v[172:173], v[174:175], 1.0
	v_mul_f64 v[176:177], v[176:177], v[178:179]
	v_xor_b32_e32 v179, 0x80000000, v179
                                        ; implicit-def: $vgpr172_vgpr173
.LBB55_140:
	s_andn2_saveexec_b64 s[2:3], s[2:3]
	s_cbranch_execz .LBB55_142
; %bb.141:
	v_div_scale_f64 v[176:177], s[10:11], v[172:173], v[172:173], v[174:175]
	v_rcp_f64_e32 v[178:179], v[176:177]
	v_div_scale_f64 v[180:181], vcc, v[174:175], v[172:173], v[174:175]
	v_fma_f64 v[182:183], -v[176:177], v[178:179], 1.0
	v_fmac_f64_e32 v[178:179], v[178:179], v[182:183]
	v_fma_f64 v[182:183], -v[176:177], v[178:179], 1.0
	v_fmac_f64_e32 v[178:179], v[178:179], v[182:183]
	v_mul_f64 v[182:183], v[180:181], v[178:179]
	v_fma_f64 v[176:177], -v[176:177], v[182:183], v[180:181]
	v_div_fmas_f64 v[176:177], v[176:177], v[178:179], v[182:183]
	v_div_fixup_f64 v[178:179], v[176:177], v[172:173], v[174:175]
	v_fmac_f64_e32 v[172:173], v[174:175], v[178:179]
	v_div_scale_f64 v[174:175], s[10:11], v[172:173], v[172:173], 1.0
	v_rcp_f64_e32 v[176:177], v[174:175]
	s_nop 0
	v_fma_f64 v[180:181], -v[174:175], v[176:177], 1.0
	v_fmac_f64_e32 v[176:177], v[176:177], v[180:181]
	v_fma_f64 v[180:181], -v[174:175], v[176:177], 1.0
	v_fmac_f64_e32 v[176:177], v[176:177], v[180:181]
	v_div_scale_f64 v[180:181], vcc, 1.0, v[172:173], 1.0
	v_mul_f64 v[182:183], v[180:181], v[176:177]
	v_fma_f64 v[174:175], -v[174:175], v[182:183], v[180:181]
	s_nop 1
	v_div_fmas_f64 v[174:175], v[174:175], v[176:177], v[182:183]
	v_div_fixup_f64 v[176:177], v[174:175], v[172:173], 1.0
	v_mul_f64 v[178:179], v[178:179], -v[176:177]
.LBB55_142:
	s_or_b64 exec, exec, s[2:3]
	ds_write2_b64 v255, v[176:177], v[178:179] offset1:1
.LBB55_143:
	s_or_b64 exec, exec, s[4:5]
	s_waitcnt lgkmcnt(0)
	s_barrier
	ds_read2_b64 v[172:175], v255 offset1:1
	v_cmp_lt_u32_e32 vcc, 15, v254
	s_and_saveexec_b64 s[2:3], vcc
	s_cbranch_execz .LBB55_145
; %bb.144:
	ds_read2_b64 v[176:179], v226 offset0:32 offset1:33
	ds_read2_b64 v[180:183], v226 offset0:34 offset1:35
	s_waitcnt vmcnt(26) lgkmcnt(2)
	v_mul_f64 v[184:185], v[172:173], v[46:47]
	v_fmac_f64_e32 v[184:185], v[174:175], v[44:45]
	v_mul_f64 v[46:47], v[174:175], v[46:47]
	v_fma_f64 v[44:45], v[172:173], v[44:45], -v[46:47]
	s_waitcnt lgkmcnt(1)
	v_mul_f64 v[46:47], v[178:179], v[184:185]
	v_fma_f64 v[46:47], v[176:177], v[44:45], -v[46:47]
	v_mul_f64 v[176:177], v[176:177], v[184:185]
	v_fmac_f64_e32 v[176:177], v[178:179], v[44:45]
	s_waitcnt vmcnt(25)
	v_add_f64 v[40:41], v[40:41], -v[46:47]
	v_add_f64 v[42:43], v[42:43], -v[176:177]
	s_waitcnt lgkmcnt(0)
	v_mul_f64 v[46:47], v[182:183], v[184:185]
	ds_read2_b64 v[176:179], v226 offset0:36 offset1:37
	v_fma_f64 v[46:47], v[180:181], v[44:45], -v[46:47]
	v_mul_f64 v[180:181], v[180:181], v[184:185]
	v_fmac_f64_e32 v[180:181], v[182:183], v[44:45]
	s_waitcnt vmcnt(24)
	v_add_f64 v[38:39], v[38:39], -v[180:181]
	ds_read2_b64 v[180:183], v226 offset0:38 offset1:39
	v_add_f64 v[36:37], v[36:37], -v[46:47]
	s_waitcnt lgkmcnt(1)
	v_mul_f64 v[46:47], v[178:179], v[184:185]
	v_fma_f64 v[46:47], v[176:177], v[44:45], -v[46:47]
	v_mul_f64 v[176:177], v[176:177], v[184:185]
	v_fmac_f64_e32 v[176:177], v[178:179], v[44:45]
	s_waitcnt vmcnt(23)
	v_add_f64 v[32:33], v[32:33], -v[46:47]
	v_add_f64 v[34:35], v[34:35], -v[176:177]
	s_waitcnt lgkmcnt(0)
	v_mul_f64 v[46:47], v[182:183], v[184:185]
	ds_read2_b64 v[176:179], v226 offset0:40 offset1:41
	v_fma_f64 v[46:47], v[180:181], v[44:45], -v[46:47]
	v_mul_f64 v[180:181], v[180:181], v[184:185]
	v_fmac_f64_e32 v[180:181], v[182:183], v[44:45]
	s_waitcnt vmcnt(22)
	v_add_f64 v[30:31], v[30:31], -v[180:181]
	ds_read2_b64 v[180:183], v226 offset0:42 offset1:43
	v_add_f64 v[28:29], v[28:29], -v[46:47]
	;; [unrolled: 18-line block ×5, first 2 shown]
	s_waitcnt lgkmcnt(1)
	v_mul_f64 v[46:47], v[178:179], v[184:185]
	v_fma_f64 v[46:47], v[176:177], v[44:45], -v[46:47]
	v_mul_f64 v[176:177], v[176:177], v[184:185]
	v_fmac_f64_e32 v[176:177], v[178:179], v[44:45]
	v_add_f64 v[0:1], v[0:1], -v[46:47]
	v_add_f64 v[2:3], v[2:3], -v[176:177]
	s_waitcnt lgkmcnt(0)
	v_mul_f64 v[46:47], v[182:183], v[184:185]
	v_mul_f64 v[176:177], v[180:181], v[184:185]
	v_fma_f64 v[46:47], v[180:181], v[44:45], -v[46:47]
	v_fmac_f64_e32 v[176:177], v[182:183], v[44:45]
	s_waitcnt vmcnt(4)
	v_add_f64 v[108:109], v[108:109], -v[46:47]
	v_add_f64 v[110:111], v[110:111], -v[176:177]
	v_mov_b64_e32 v[46:47], v[184:185]
.LBB55_145:
	s_or_b64 exec, exec, s[2:3]
	v_cmp_eq_u32_e32 vcc, 16, v254
	s_waitcnt lgkmcnt(0)
	s_barrier
	s_and_saveexec_b64 s[4:5], vcc
	s_cbranch_execz .LBB55_152
; %bb.146:
	s_waitcnt vmcnt(25)
	ds_write2_b64 v255, v[40:41], v[42:43] offset1:1
	s_waitcnt vmcnt(24)
	ds_write2_b64 v226, v[36:37], v[38:39] offset0:34 offset1:35
	s_waitcnt vmcnt(23)
	ds_write2_b64 v226, v[32:33], v[34:35] offset0:36 offset1:37
	s_waitcnt vmcnt(22)
	ds_write2_b64 v226, v[28:29], v[30:31] offset0:38 offset1:39
	s_waitcnt vmcnt(21)
	ds_write2_b64 v226, v[24:25], v[26:27] offset0:40 offset1:41
	s_waitcnt vmcnt(20)
	ds_write2_b64 v226, v[20:21], v[22:23] offset0:42 offset1:43
	s_waitcnt vmcnt(9)
	ds_write2_b64 v226, v[16:17], v[18:19] offset0:44 offset1:45
	s_waitcnt vmcnt(7)
	ds_write2_b64 v226, v[12:13], v[14:15] offset0:46 offset1:47
	s_waitcnt vmcnt(6)
	ds_write2_b64 v226, v[8:9], v[10:11] offset0:48 offset1:49
	s_waitcnt vmcnt(5)
	ds_write2_b64 v226, v[4:5], v[6:7] offset0:50 offset1:51
	ds_write2_b64 v226, v[0:1], v[2:3] offset0:52 offset1:53
	s_waitcnt vmcnt(4)
	ds_write2_b64 v226, v[108:109], v[110:111] offset0:54 offset1:55
	ds_read2_b64 v[176:179], v255 offset1:1
	s_waitcnt lgkmcnt(0)
	v_cmp_neq_f64_e32 vcc, 0, v[176:177]
	v_cmp_neq_f64_e64 s[2:3], 0, v[178:179]
	s_or_b64 s[2:3], vcc, s[2:3]
	s_and_b64 exec, exec, s[2:3]
	s_cbranch_execz .LBB55_152
; %bb.147:
	v_cmp_ngt_f64_e64 s[2:3], |v[176:177]|, |v[178:179]|
                                        ; implicit-def: $vgpr180_vgpr181
	s_and_saveexec_b64 s[10:11], s[2:3]
	s_xor_b64 s[2:3], exec, s[10:11]
                                        ; implicit-def: $vgpr182_vgpr183
	s_cbranch_execz .LBB55_149
; %bb.148:
	v_div_scale_f64 v[180:181], s[10:11], v[178:179], v[178:179], v[176:177]
	v_rcp_f64_e32 v[182:183], v[180:181]
	v_div_scale_f64 v[184:185], vcc, v[176:177], v[178:179], v[176:177]
	v_fma_f64 v[186:187], -v[180:181], v[182:183], 1.0
	v_fmac_f64_e32 v[182:183], v[182:183], v[186:187]
	v_fma_f64 v[186:187], -v[180:181], v[182:183], 1.0
	v_fmac_f64_e32 v[182:183], v[182:183], v[186:187]
	v_mul_f64 v[186:187], v[184:185], v[182:183]
	v_fma_f64 v[180:181], -v[180:181], v[186:187], v[184:185]
	v_div_fmas_f64 v[180:181], v[180:181], v[182:183], v[186:187]
	v_div_fixup_f64 v[180:181], v[180:181], v[178:179], v[176:177]
	v_fmac_f64_e32 v[178:179], v[176:177], v[180:181]
	v_div_scale_f64 v[176:177], s[10:11], v[178:179], v[178:179], 1.0
	v_rcp_f64_e32 v[182:183], v[176:177]
	s_nop 0
	v_fma_f64 v[184:185], -v[176:177], v[182:183], 1.0
	v_fmac_f64_e32 v[182:183], v[182:183], v[184:185]
	v_fma_f64 v[184:185], -v[176:177], v[182:183], 1.0
	v_fmac_f64_e32 v[182:183], v[182:183], v[184:185]
	v_div_scale_f64 v[184:185], vcc, 1.0, v[178:179], 1.0
	v_mul_f64 v[186:187], v[184:185], v[182:183]
	v_fma_f64 v[176:177], -v[176:177], v[186:187], v[184:185]
	s_nop 1
	v_div_fmas_f64 v[176:177], v[176:177], v[182:183], v[186:187]
	v_div_fixup_f64 v[182:183], v[176:177], v[178:179], 1.0
	v_mul_f64 v[180:181], v[180:181], v[182:183]
	v_xor_b32_e32 v183, 0x80000000, v183
                                        ; implicit-def: $vgpr176_vgpr177
.LBB55_149:
	s_andn2_saveexec_b64 s[2:3], s[2:3]
	s_cbranch_execz .LBB55_151
; %bb.150:
	v_div_scale_f64 v[180:181], s[10:11], v[176:177], v[176:177], v[178:179]
	v_rcp_f64_e32 v[182:183], v[180:181]
	v_div_scale_f64 v[184:185], vcc, v[178:179], v[176:177], v[178:179]
	v_fma_f64 v[186:187], -v[180:181], v[182:183], 1.0
	v_fmac_f64_e32 v[182:183], v[182:183], v[186:187]
	v_fma_f64 v[186:187], -v[180:181], v[182:183], 1.0
	v_fmac_f64_e32 v[182:183], v[182:183], v[186:187]
	v_mul_f64 v[186:187], v[184:185], v[182:183]
	v_fma_f64 v[180:181], -v[180:181], v[186:187], v[184:185]
	v_div_fmas_f64 v[180:181], v[180:181], v[182:183], v[186:187]
	v_div_fixup_f64 v[182:183], v[180:181], v[176:177], v[178:179]
	v_fmac_f64_e32 v[176:177], v[178:179], v[182:183]
	v_div_scale_f64 v[178:179], s[10:11], v[176:177], v[176:177], 1.0
	v_rcp_f64_e32 v[180:181], v[178:179]
	s_nop 0
	v_fma_f64 v[184:185], -v[178:179], v[180:181], 1.0
	v_fmac_f64_e32 v[180:181], v[180:181], v[184:185]
	v_fma_f64 v[184:185], -v[178:179], v[180:181], 1.0
	v_fmac_f64_e32 v[180:181], v[180:181], v[184:185]
	v_div_scale_f64 v[184:185], vcc, 1.0, v[176:177], 1.0
	v_mul_f64 v[186:187], v[184:185], v[180:181]
	v_fma_f64 v[178:179], -v[178:179], v[186:187], v[184:185]
	s_nop 1
	v_div_fmas_f64 v[178:179], v[178:179], v[180:181], v[186:187]
	v_div_fixup_f64 v[180:181], v[178:179], v[176:177], 1.0
	v_mul_f64 v[182:183], v[182:183], -v[180:181]
.LBB55_151:
	s_or_b64 exec, exec, s[2:3]
	ds_write2_b64 v255, v[180:181], v[182:183] offset1:1
.LBB55_152:
	s_or_b64 exec, exec, s[4:5]
	s_waitcnt lgkmcnt(0)
	s_barrier
	ds_read2_b64 v[176:179], v255 offset1:1
	v_cmp_lt_u32_e32 vcc, 16, v254
	s_and_saveexec_b64 s[2:3], vcc
	s_cbranch_execz .LBB55_154
; %bb.153:
	ds_read2_b64 v[180:183], v226 offset0:34 offset1:35
	ds_read2_b64 v[184:187], v226 offset0:36 offset1:37
	s_waitcnt vmcnt(25) lgkmcnt(2)
	v_mul_f64 v[188:189], v[176:177], v[42:43]
	v_fmac_f64_e32 v[188:189], v[178:179], v[40:41]
	v_mul_f64 v[42:43], v[178:179], v[42:43]
	v_fma_f64 v[40:41], v[176:177], v[40:41], -v[42:43]
	s_waitcnt lgkmcnt(1)
	v_mul_f64 v[42:43], v[182:183], v[188:189]
	v_fma_f64 v[42:43], v[180:181], v[40:41], -v[42:43]
	v_mul_f64 v[180:181], v[180:181], v[188:189]
	v_fmac_f64_e32 v[180:181], v[182:183], v[40:41]
	s_waitcnt vmcnt(24)
	v_add_f64 v[38:39], v[38:39], -v[180:181]
	ds_read2_b64 v[180:183], v226 offset0:38 offset1:39
	v_add_f64 v[36:37], v[36:37], -v[42:43]
	s_waitcnt lgkmcnt(1)
	v_mul_f64 v[42:43], v[186:187], v[188:189]
	v_fma_f64 v[42:43], v[184:185], v[40:41], -v[42:43]
	v_mul_f64 v[184:185], v[184:185], v[188:189]
	v_fmac_f64_e32 v[184:185], v[186:187], v[40:41]
	s_waitcnt vmcnt(23)
	v_add_f64 v[32:33], v[32:33], -v[42:43]
	v_add_f64 v[34:35], v[34:35], -v[184:185]
	ds_read2_b64 v[184:187], v226 offset0:40 offset1:41
	s_waitcnt lgkmcnt(1)
	v_mul_f64 v[42:43], v[182:183], v[188:189]
	v_fma_f64 v[42:43], v[180:181], v[40:41], -v[42:43]
	v_mul_f64 v[180:181], v[180:181], v[188:189]
	v_fmac_f64_e32 v[180:181], v[182:183], v[40:41]
	s_waitcnt vmcnt(22)
	v_add_f64 v[30:31], v[30:31], -v[180:181]
	ds_read2_b64 v[180:183], v226 offset0:42 offset1:43
	v_add_f64 v[28:29], v[28:29], -v[42:43]
	s_waitcnt lgkmcnt(1)
	v_mul_f64 v[42:43], v[186:187], v[188:189]
	v_fma_f64 v[42:43], v[184:185], v[40:41], -v[42:43]
	v_mul_f64 v[184:185], v[184:185], v[188:189]
	v_fmac_f64_e32 v[184:185], v[186:187], v[40:41]
	s_waitcnt vmcnt(21)
	v_add_f64 v[24:25], v[24:25], -v[42:43]
	v_add_f64 v[26:27], v[26:27], -v[184:185]
	ds_read2_b64 v[184:187], v226 offset0:44 offset1:45
	s_waitcnt lgkmcnt(1)
	v_mul_f64 v[42:43], v[182:183], v[188:189]
	v_fma_f64 v[42:43], v[180:181], v[40:41], -v[42:43]
	v_mul_f64 v[180:181], v[180:181], v[188:189]
	v_fmac_f64_e32 v[180:181], v[182:183], v[40:41]
	s_waitcnt vmcnt(20)
	v_add_f64 v[22:23], v[22:23], -v[180:181]
	ds_read2_b64 v[180:183], v226 offset0:46 offset1:47
	v_add_f64 v[20:21], v[20:21], -v[42:43]
	s_waitcnt lgkmcnt(1)
	v_mul_f64 v[42:43], v[186:187], v[188:189]
	v_fma_f64 v[42:43], v[184:185], v[40:41], -v[42:43]
	v_mul_f64 v[184:185], v[184:185], v[188:189]
	v_fmac_f64_e32 v[184:185], v[186:187], v[40:41]
	s_waitcnt vmcnt(9)
	v_add_f64 v[16:17], v[16:17], -v[42:43]
	v_add_f64 v[18:19], v[18:19], -v[184:185]
	ds_read2_b64 v[184:187], v226 offset0:48 offset1:49
	s_waitcnt lgkmcnt(1)
	v_mul_f64 v[42:43], v[182:183], v[188:189]
	v_fma_f64 v[42:43], v[180:181], v[40:41], -v[42:43]
	v_mul_f64 v[180:181], v[180:181], v[188:189]
	v_fmac_f64_e32 v[180:181], v[182:183], v[40:41]
	s_waitcnt vmcnt(7)
	v_add_f64 v[14:15], v[14:15], -v[180:181]
	ds_read2_b64 v[180:183], v226 offset0:50 offset1:51
	v_add_f64 v[12:13], v[12:13], -v[42:43]
	s_waitcnt lgkmcnt(1)
	v_mul_f64 v[42:43], v[186:187], v[188:189]
	v_fma_f64 v[42:43], v[184:185], v[40:41], -v[42:43]
	v_mul_f64 v[184:185], v[184:185], v[188:189]
	v_fmac_f64_e32 v[184:185], v[186:187], v[40:41]
	s_waitcnt vmcnt(6)
	v_add_f64 v[8:9], v[8:9], -v[42:43]
	v_add_f64 v[10:11], v[10:11], -v[184:185]
	ds_read2_b64 v[184:187], v226 offset0:52 offset1:53
	s_waitcnt lgkmcnt(1)
	v_mul_f64 v[42:43], v[182:183], v[188:189]
	v_fma_f64 v[42:43], v[180:181], v[40:41], -v[42:43]
	v_mul_f64 v[180:181], v[180:181], v[188:189]
	v_fmac_f64_e32 v[180:181], v[182:183], v[40:41]
	s_waitcnt vmcnt(5)
	v_add_f64 v[6:7], v[6:7], -v[180:181]
	ds_read2_b64 v[180:183], v226 offset0:54 offset1:55
	v_add_f64 v[4:5], v[4:5], -v[42:43]
	s_waitcnt lgkmcnt(1)
	v_mul_f64 v[42:43], v[186:187], v[188:189]
	v_fma_f64 v[42:43], v[184:185], v[40:41], -v[42:43]
	v_add_f64 v[0:1], v[0:1], -v[42:43]
	s_waitcnt lgkmcnt(0)
	v_mul_f64 v[42:43], v[182:183], v[188:189]
	v_mul_f64 v[184:185], v[184:185], v[188:189]
	v_fma_f64 v[42:43], v[180:181], v[40:41], -v[42:43]
	v_mul_f64 v[180:181], v[180:181], v[188:189]
	v_fmac_f64_e32 v[184:185], v[186:187], v[40:41]
	v_fmac_f64_e32 v[180:181], v[182:183], v[40:41]
	v_add_f64 v[2:3], v[2:3], -v[184:185]
	s_waitcnt vmcnt(4)
	v_add_f64 v[108:109], v[108:109], -v[42:43]
	v_add_f64 v[110:111], v[110:111], -v[180:181]
	v_mov_b64_e32 v[42:43], v[188:189]
.LBB55_154:
	s_or_b64 exec, exec, s[2:3]
	v_cmp_eq_u32_e32 vcc, 17, v254
	s_waitcnt lgkmcnt(0)
	s_barrier
	s_and_saveexec_b64 s[4:5], vcc
	s_cbranch_execz .LBB55_161
; %bb.155:
	s_waitcnt vmcnt(24)
	ds_write2_b64 v255, v[36:37], v[38:39] offset1:1
	s_waitcnt vmcnt(23)
	ds_write2_b64 v226, v[32:33], v[34:35] offset0:36 offset1:37
	s_waitcnt vmcnt(22)
	ds_write2_b64 v226, v[28:29], v[30:31] offset0:38 offset1:39
	;; [unrolled: 2-line block ×8, first 2 shown]
	ds_write2_b64 v226, v[0:1], v[2:3] offset0:52 offset1:53
	s_waitcnt vmcnt(4)
	ds_write2_b64 v226, v[108:109], v[110:111] offset0:54 offset1:55
	ds_read2_b64 v[180:183], v255 offset1:1
	s_waitcnt lgkmcnt(0)
	v_cmp_neq_f64_e32 vcc, 0, v[180:181]
	v_cmp_neq_f64_e64 s[2:3], 0, v[182:183]
	s_or_b64 s[2:3], vcc, s[2:3]
	s_and_b64 exec, exec, s[2:3]
	s_cbranch_execz .LBB55_161
; %bb.156:
	v_cmp_ngt_f64_e64 s[2:3], |v[180:181]|, |v[182:183]|
                                        ; implicit-def: $vgpr184_vgpr185
	s_and_saveexec_b64 s[10:11], s[2:3]
	s_xor_b64 s[2:3], exec, s[10:11]
                                        ; implicit-def: $vgpr186_vgpr187
	s_cbranch_execz .LBB55_158
; %bb.157:
	v_div_scale_f64 v[184:185], s[10:11], v[182:183], v[182:183], v[180:181]
	v_rcp_f64_e32 v[186:187], v[184:185]
	v_div_scale_f64 v[188:189], vcc, v[180:181], v[182:183], v[180:181]
	v_fma_f64 v[190:191], -v[184:185], v[186:187], 1.0
	v_fmac_f64_e32 v[186:187], v[186:187], v[190:191]
	v_fma_f64 v[190:191], -v[184:185], v[186:187], 1.0
	v_fmac_f64_e32 v[186:187], v[186:187], v[190:191]
	v_mul_f64 v[190:191], v[188:189], v[186:187]
	v_fma_f64 v[184:185], -v[184:185], v[190:191], v[188:189]
	v_div_fmas_f64 v[184:185], v[184:185], v[186:187], v[190:191]
	v_div_fixup_f64 v[184:185], v[184:185], v[182:183], v[180:181]
	v_fmac_f64_e32 v[182:183], v[180:181], v[184:185]
	v_div_scale_f64 v[180:181], s[10:11], v[182:183], v[182:183], 1.0
	v_rcp_f64_e32 v[186:187], v[180:181]
	s_nop 0
	v_fma_f64 v[188:189], -v[180:181], v[186:187], 1.0
	v_fmac_f64_e32 v[186:187], v[186:187], v[188:189]
	v_fma_f64 v[188:189], -v[180:181], v[186:187], 1.0
	v_fmac_f64_e32 v[186:187], v[186:187], v[188:189]
	v_div_scale_f64 v[188:189], vcc, 1.0, v[182:183], 1.0
	v_mul_f64 v[190:191], v[188:189], v[186:187]
	v_fma_f64 v[180:181], -v[180:181], v[190:191], v[188:189]
	s_nop 1
	v_div_fmas_f64 v[180:181], v[180:181], v[186:187], v[190:191]
	v_div_fixup_f64 v[186:187], v[180:181], v[182:183], 1.0
	v_mul_f64 v[184:185], v[184:185], v[186:187]
	v_xor_b32_e32 v187, 0x80000000, v187
                                        ; implicit-def: $vgpr180_vgpr181
.LBB55_158:
	s_andn2_saveexec_b64 s[2:3], s[2:3]
	s_cbranch_execz .LBB55_160
; %bb.159:
	v_div_scale_f64 v[184:185], s[10:11], v[180:181], v[180:181], v[182:183]
	v_rcp_f64_e32 v[186:187], v[184:185]
	v_div_scale_f64 v[188:189], vcc, v[182:183], v[180:181], v[182:183]
	v_fma_f64 v[190:191], -v[184:185], v[186:187], 1.0
	v_fmac_f64_e32 v[186:187], v[186:187], v[190:191]
	v_fma_f64 v[190:191], -v[184:185], v[186:187], 1.0
	v_fmac_f64_e32 v[186:187], v[186:187], v[190:191]
	v_mul_f64 v[190:191], v[188:189], v[186:187]
	v_fma_f64 v[184:185], -v[184:185], v[190:191], v[188:189]
	v_div_fmas_f64 v[184:185], v[184:185], v[186:187], v[190:191]
	v_div_fixup_f64 v[186:187], v[184:185], v[180:181], v[182:183]
	v_fmac_f64_e32 v[180:181], v[182:183], v[186:187]
	v_div_scale_f64 v[182:183], s[10:11], v[180:181], v[180:181], 1.0
	v_rcp_f64_e32 v[184:185], v[182:183]
	s_nop 0
	v_fma_f64 v[188:189], -v[182:183], v[184:185], 1.0
	v_fmac_f64_e32 v[184:185], v[184:185], v[188:189]
	v_fma_f64 v[188:189], -v[182:183], v[184:185], 1.0
	v_fmac_f64_e32 v[184:185], v[184:185], v[188:189]
	v_div_scale_f64 v[188:189], vcc, 1.0, v[180:181], 1.0
	v_mul_f64 v[190:191], v[188:189], v[184:185]
	v_fma_f64 v[182:183], -v[182:183], v[190:191], v[188:189]
	s_nop 1
	v_div_fmas_f64 v[182:183], v[182:183], v[184:185], v[190:191]
	v_div_fixup_f64 v[184:185], v[182:183], v[180:181], 1.0
	v_mul_f64 v[186:187], v[186:187], -v[184:185]
.LBB55_160:
	s_or_b64 exec, exec, s[2:3]
	ds_write2_b64 v255, v[184:185], v[186:187] offset1:1
.LBB55_161:
	s_or_b64 exec, exec, s[4:5]
	s_waitcnt lgkmcnt(0)
	s_barrier
	ds_read2_b64 v[180:183], v255 offset1:1
	v_cmp_lt_u32_e32 vcc, 17, v254
	s_and_saveexec_b64 s[2:3], vcc
	s_cbranch_execz .LBB55_163
; %bb.162:
	ds_read2_b64 v[186:189], v226 offset0:36 offset1:37
	s_waitcnt vmcnt(24) lgkmcnt(1)
	v_mul_f64 v[184:185], v[180:181], v[38:39]
	v_fmac_f64_e32 v[184:185], v[182:183], v[36:37]
	v_mul_f64 v[38:39], v[182:183], v[38:39]
	v_fma_f64 v[36:37], v[180:181], v[36:37], -v[38:39]
	s_waitcnt lgkmcnt(0)
	v_mul_f64 v[38:39], v[188:189], v[184:185]
	v_fma_f64 v[38:39], v[186:187], v[36:37], -v[38:39]
	v_mul_f64 v[186:187], v[186:187], v[184:185]
	v_fmac_f64_e32 v[186:187], v[188:189], v[36:37]
	s_waitcnt vmcnt(23)
	v_add_f64 v[34:35], v[34:35], -v[186:187]
	ds_read2_b64 v[186:189], v226 offset0:38 offset1:39
	v_add_f64 v[32:33], v[32:33], -v[38:39]
	s_waitcnt lgkmcnt(0)
	v_mul_f64 v[38:39], v[188:189], v[184:185]
	v_fma_f64 v[38:39], v[186:187], v[36:37], -v[38:39]
	v_mul_f64 v[186:187], v[186:187], v[184:185]
	v_fmac_f64_e32 v[186:187], v[188:189], v[36:37]
	s_waitcnt vmcnt(22)
	v_add_f64 v[30:31], v[30:31], -v[186:187]
	ds_read2_b64 v[186:189], v226 offset0:40 offset1:41
	v_add_f64 v[28:29], v[28:29], -v[38:39]
	;; [unrolled: 9-line block ×8, first 2 shown]
	s_waitcnt lgkmcnt(0)
	v_mul_f64 v[38:39], v[188:189], v[184:185]
	v_fma_f64 v[38:39], v[186:187], v[36:37], -v[38:39]
	v_mul_f64 v[186:187], v[186:187], v[184:185]
	v_fmac_f64_e32 v[186:187], v[188:189], v[36:37]
	v_add_f64 v[2:3], v[2:3], -v[186:187]
	ds_read2_b64 v[186:189], v226 offset0:54 offset1:55
	v_add_f64 v[0:1], v[0:1], -v[38:39]
	s_waitcnt lgkmcnt(0)
	v_mul_f64 v[38:39], v[188:189], v[184:185]
	v_fma_f64 v[38:39], v[186:187], v[36:37], -v[38:39]
	v_mul_f64 v[186:187], v[186:187], v[184:185]
	v_fmac_f64_e32 v[186:187], v[188:189], v[36:37]
	s_waitcnt vmcnt(4)
	v_add_f64 v[108:109], v[108:109], -v[38:39]
	v_add_f64 v[110:111], v[110:111], -v[186:187]
	v_mov_b64_e32 v[38:39], v[184:185]
.LBB55_163:
	s_or_b64 exec, exec, s[2:3]
	v_cmp_eq_u32_e32 vcc, 18, v254
	s_waitcnt lgkmcnt(0)
	s_barrier
	s_and_saveexec_b64 s[4:5], vcc
	s_cbranch_execz .LBB55_170
; %bb.164:
	s_waitcnt vmcnt(23)
	ds_write2_b64 v255, v[32:33], v[34:35] offset1:1
	s_waitcnt vmcnt(22)
	ds_write2_b64 v226, v[28:29], v[30:31] offset0:38 offset1:39
	s_waitcnt vmcnt(21)
	ds_write2_b64 v226, v[24:25], v[26:27] offset0:40 offset1:41
	;; [unrolled: 2-line block ×7, first 2 shown]
	ds_write2_b64 v226, v[0:1], v[2:3] offset0:52 offset1:53
	s_waitcnt vmcnt(4)
	ds_write2_b64 v226, v[108:109], v[110:111] offset0:54 offset1:55
	ds_read2_b64 v[184:187], v255 offset1:1
	s_waitcnt lgkmcnt(0)
	v_cmp_neq_f64_e32 vcc, 0, v[184:185]
	v_cmp_neq_f64_e64 s[2:3], 0, v[186:187]
	s_or_b64 s[2:3], vcc, s[2:3]
	s_and_b64 exec, exec, s[2:3]
	s_cbranch_execz .LBB55_170
; %bb.165:
	v_cmp_ngt_f64_e64 s[2:3], |v[184:185]|, |v[186:187]|
                                        ; implicit-def: $vgpr188_vgpr189
	s_and_saveexec_b64 s[10:11], s[2:3]
	s_xor_b64 s[2:3], exec, s[10:11]
                                        ; implicit-def: $vgpr190_vgpr191
	s_cbranch_execz .LBB55_167
; %bb.166:
	v_div_scale_f64 v[188:189], s[10:11], v[186:187], v[186:187], v[184:185]
	v_rcp_f64_e32 v[190:191], v[188:189]
	v_div_scale_f64 v[192:193], vcc, v[184:185], v[186:187], v[184:185]
	v_fma_f64 v[194:195], -v[188:189], v[190:191], 1.0
	v_fmac_f64_e32 v[190:191], v[190:191], v[194:195]
	v_fma_f64 v[194:195], -v[188:189], v[190:191], 1.0
	v_fmac_f64_e32 v[190:191], v[190:191], v[194:195]
	v_mul_f64 v[194:195], v[192:193], v[190:191]
	v_fma_f64 v[188:189], -v[188:189], v[194:195], v[192:193]
	v_div_fmas_f64 v[188:189], v[188:189], v[190:191], v[194:195]
	v_div_fixup_f64 v[188:189], v[188:189], v[186:187], v[184:185]
	v_fmac_f64_e32 v[186:187], v[184:185], v[188:189]
	v_div_scale_f64 v[184:185], s[10:11], v[186:187], v[186:187], 1.0
	v_rcp_f64_e32 v[190:191], v[184:185]
	s_nop 0
	v_fma_f64 v[192:193], -v[184:185], v[190:191], 1.0
	v_fmac_f64_e32 v[190:191], v[190:191], v[192:193]
	v_fma_f64 v[192:193], -v[184:185], v[190:191], 1.0
	v_fmac_f64_e32 v[190:191], v[190:191], v[192:193]
	v_div_scale_f64 v[192:193], vcc, 1.0, v[186:187], 1.0
	v_mul_f64 v[194:195], v[192:193], v[190:191]
	v_fma_f64 v[184:185], -v[184:185], v[194:195], v[192:193]
	s_nop 1
	v_div_fmas_f64 v[184:185], v[184:185], v[190:191], v[194:195]
	v_div_fixup_f64 v[190:191], v[184:185], v[186:187], 1.0
	v_mul_f64 v[188:189], v[188:189], v[190:191]
	v_xor_b32_e32 v191, 0x80000000, v191
                                        ; implicit-def: $vgpr184_vgpr185
.LBB55_167:
	s_andn2_saveexec_b64 s[2:3], s[2:3]
	s_cbranch_execz .LBB55_169
; %bb.168:
	v_div_scale_f64 v[188:189], s[10:11], v[184:185], v[184:185], v[186:187]
	v_rcp_f64_e32 v[190:191], v[188:189]
	v_div_scale_f64 v[192:193], vcc, v[186:187], v[184:185], v[186:187]
	v_fma_f64 v[194:195], -v[188:189], v[190:191], 1.0
	v_fmac_f64_e32 v[190:191], v[190:191], v[194:195]
	v_fma_f64 v[194:195], -v[188:189], v[190:191], 1.0
	v_fmac_f64_e32 v[190:191], v[190:191], v[194:195]
	v_mul_f64 v[194:195], v[192:193], v[190:191]
	v_fma_f64 v[188:189], -v[188:189], v[194:195], v[192:193]
	v_div_fmas_f64 v[188:189], v[188:189], v[190:191], v[194:195]
	v_div_fixup_f64 v[190:191], v[188:189], v[184:185], v[186:187]
	v_fmac_f64_e32 v[184:185], v[186:187], v[190:191]
	v_div_scale_f64 v[186:187], s[10:11], v[184:185], v[184:185], 1.0
	v_rcp_f64_e32 v[188:189], v[186:187]
	s_nop 0
	v_fma_f64 v[192:193], -v[186:187], v[188:189], 1.0
	v_fmac_f64_e32 v[188:189], v[188:189], v[192:193]
	v_fma_f64 v[192:193], -v[186:187], v[188:189], 1.0
	v_fmac_f64_e32 v[188:189], v[188:189], v[192:193]
	v_div_scale_f64 v[192:193], vcc, 1.0, v[184:185], 1.0
	v_mul_f64 v[194:195], v[192:193], v[188:189]
	v_fma_f64 v[186:187], -v[186:187], v[194:195], v[192:193]
	s_nop 1
	v_div_fmas_f64 v[186:187], v[186:187], v[188:189], v[194:195]
	v_div_fixup_f64 v[188:189], v[186:187], v[184:185], 1.0
	v_mul_f64 v[190:191], v[190:191], -v[188:189]
.LBB55_169:
	s_or_b64 exec, exec, s[2:3]
	ds_write2_b64 v255, v[188:189], v[190:191] offset1:1
.LBB55_170:
	s_or_b64 exec, exec, s[4:5]
	s_waitcnt lgkmcnt(0)
	s_barrier
	ds_read2_b64 v[184:187], v255 offset1:1
	v_cmp_lt_u32_e32 vcc, 18, v254
	s_and_saveexec_b64 s[2:3], vcc
	s_cbranch_execz .LBB55_172
; %bb.171:
	ds_read2_b64 v[190:193], v226 offset0:38 offset1:39
	s_waitcnt vmcnt(23) lgkmcnt(1)
	v_mul_f64 v[188:189], v[184:185], v[34:35]
	v_fmac_f64_e32 v[188:189], v[186:187], v[32:33]
	v_mul_f64 v[34:35], v[186:187], v[34:35]
	v_fma_f64 v[32:33], v[184:185], v[32:33], -v[34:35]
	s_waitcnt lgkmcnt(0)
	v_mul_f64 v[34:35], v[192:193], v[188:189]
	v_fma_f64 v[34:35], v[190:191], v[32:33], -v[34:35]
	v_mul_f64 v[190:191], v[190:191], v[188:189]
	v_fmac_f64_e32 v[190:191], v[192:193], v[32:33]
	s_waitcnt vmcnt(22)
	v_add_f64 v[30:31], v[30:31], -v[190:191]
	ds_read2_b64 v[190:193], v226 offset0:40 offset1:41
	v_add_f64 v[28:29], v[28:29], -v[34:35]
	s_waitcnt lgkmcnt(0)
	v_mul_f64 v[34:35], v[192:193], v[188:189]
	v_fma_f64 v[34:35], v[190:191], v[32:33], -v[34:35]
	v_mul_f64 v[190:191], v[190:191], v[188:189]
	v_fmac_f64_e32 v[190:191], v[192:193], v[32:33]
	s_waitcnt vmcnt(21)
	v_add_f64 v[26:27], v[26:27], -v[190:191]
	ds_read2_b64 v[190:193], v226 offset0:42 offset1:43
	v_add_f64 v[24:25], v[24:25], -v[34:35]
	;; [unrolled: 9-line block ×7, first 2 shown]
	s_waitcnt lgkmcnt(0)
	v_mul_f64 v[34:35], v[192:193], v[188:189]
	v_fma_f64 v[34:35], v[190:191], v[32:33], -v[34:35]
	v_mul_f64 v[190:191], v[190:191], v[188:189]
	v_fmac_f64_e32 v[190:191], v[192:193], v[32:33]
	v_add_f64 v[2:3], v[2:3], -v[190:191]
	ds_read2_b64 v[190:193], v226 offset0:54 offset1:55
	v_add_f64 v[0:1], v[0:1], -v[34:35]
	s_waitcnt lgkmcnt(0)
	v_mul_f64 v[34:35], v[192:193], v[188:189]
	v_fma_f64 v[34:35], v[190:191], v[32:33], -v[34:35]
	v_mul_f64 v[190:191], v[190:191], v[188:189]
	v_fmac_f64_e32 v[190:191], v[192:193], v[32:33]
	s_waitcnt vmcnt(4)
	v_add_f64 v[108:109], v[108:109], -v[34:35]
	v_add_f64 v[110:111], v[110:111], -v[190:191]
	v_mov_b64_e32 v[34:35], v[188:189]
.LBB55_172:
	s_or_b64 exec, exec, s[2:3]
	v_cmp_eq_u32_e32 vcc, 19, v254
	s_waitcnt lgkmcnt(0)
	s_barrier
	s_and_saveexec_b64 s[4:5], vcc
	s_cbranch_execz .LBB55_179
; %bb.173:
	s_waitcnt vmcnt(22)
	ds_write2_b64 v255, v[28:29], v[30:31] offset1:1
	s_waitcnt vmcnt(21)
	ds_write2_b64 v226, v[24:25], v[26:27] offset0:40 offset1:41
	s_waitcnt vmcnt(20)
	ds_write2_b64 v226, v[20:21], v[22:23] offset0:42 offset1:43
	;; [unrolled: 2-line block ×6, first 2 shown]
	ds_write2_b64 v226, v[0:1], v[2:3] offset0:52 offset1:53
	s_waitcnt vmcnt(4)
	ds_write2_b64 v226, v[108:109], v[110:111] offset0:54 offset1:55
	ds_read2_b64 v[188:191], v255 offset1:1
	s_waitcnt lgkmcnt(0)
	v_cmp_neq_f64_e32 vcc, 0, v[188:189]
	v_cmp_neq_f64_e64 s[2:3], 0, v[190:191]
	s_or_b64 s[2:3], vcc, s[2:3]
	s_and_b64 exec, exec, s[2:3]
	s_cbranch_execz .LBB55_179
; %bb.174:
	v_cmp_ngt_f64_e64 s[2:3], |v[188:189]|, |v[190:191]|
                                        ; implicit-def: $vgpr192_vgpr193
	s_and_saveexec_b64 s[10:11], s[2:3]
	s_xor_b64 s[2:3], exec, s[10:11]
                                        ; implicit-def: $vgpr194_vgpr195
	s_cbranch_execz .LBB55_176
; %bb.175:
	v_div_scale_f64 v[192:193], s[10:11], v[190:191], v[190:191], v[188:189]
	v_rcp_f64_e32 v[194:195], v[192:193]
	v_div_scale_f64 v[196:197], vcc, v[188:189], v[190:191], v[188:189]
	v_fma_f64 v[198:199], -v[192:193], v[194:195], 1.0
	v_fmac_f64_e32 v[194:195], v[194:195], v[198:199]
	v_fma_f64 v[198:199], -v[192:193], v[194:195], 1.0
	v_fmac_f64_e32 v[194:195], v[194:195], v[198:199]
	v_mul_f64 v[198:199], v[196:197], v[194:195]
	v_fma_f64 v[192:193], -v[192:193], v[198:199], v[196:197]
	v_div_fmas_f64 v[192:193], v[192:193], v[194:195], v[198:199]
	v_div_fixup_f64 v[192:193], v[192:193], v[190:191], v[188:189]
	v_fmac_f64_e32 v[190:191], v[188:189], v[192:193]
	v_div_scale_f64 v[188:189], s[10:11], v[190:191], v[190:191], 1.0
	v_rcp_f64_e32 v[194:195], v[188:189]
	s_nop 0
	v_fma_f64 v[196:197], -v[188:189], v[194:195], 1.0
	v_fmac_f64_e32 v[194:195], v[194:195], v[196:197]
	v_fma_f64 v[196:197], -v[188:189], v[194:195], 1.0
	v_fmac_f64_e32 v[194:195], v[194:195], v[196:197]
	v_div_scale_f64 v[196:197], vcc, 1.0, v[190:191], 1.0
	v_mul_f64 v[198:199], v[196:197], v[194:195]
	v_fma_f64 v[188:189], -v[188:189], v[198:199], v[196:197]
	s_nop 1
	v_div_fmas_f64 v[188:189], v[188:189], v[194:195], v[198:199]
	v_div_fixup_f64 v[194:195], v[188:189], v[190:191], 1.0
	v_mul_f64 v[192:193], v[192:193], v[194:195]
	v_xor_b32_e32 v195, 0x80000000, v195
                                        ; implicit-def: $vgpr188_vgpr189
.LBB55_176:
	s_andn2_saveexec_b64 s[2:3], s[2:3]
	s_cbranch_execz .LBB55_178
; %bb.177:
	v_div_scale_f64 v[192:193], s[10:11], v[188:189], v[188:189], v[190:191]
	v_rcp_f64_e32 v[194:195], v[192:193]
	v_div_scale_f64 v[196:197], vcc, v[190:191], v[188:189], v[190:191]
	v_fma_f64 v[198:199], -v[192:193], v[194:195], 1.0
	v_fmac_f64_e32 v[194:195], v[194:195], v[198:199]
	v_fma_f64 v[198:199], -v[192:193], v[194:195], 1.0
	v_fmac_f64_e32 v[194:195], v[194:195], v[198:199]
	v_mul_f64 v[198:199], v[196:197], v[194:195]
	v_fma_f64 v[192:193], -v[192:193], v[198:199], v[196:197]
	v_div_fmas_f64 v[192:193], v[192:193], v[194:195], v[198:199]
	v_div_fixup_f64 v[194:195], v[192:193], v[188:189], v[190:191]
	v_fmac_f64_e32 v[188:189], v[190:191], v[194:195]
	v_div_scale_f64 v[190:191], s[10:11], v[188:189], v[188:189], 1.0
	v_rcp_f64_e32 v[192:193], v[190:191]
	s_nop 0
	v_fma_f64 v[196:197], -v[190:191], v[192:193], 1.0
	v_fmac_f64_e32 v[192:193], v[192:193], v[196:197]
	v_fma_f64 v[196:197], -v[190:191], v[192:193], 1.0
	v_fmac_f64_e32 v[192:193], v[192:193], v[196:197]
	v_div_scale_f64 v[196:197], vcc, 1.0, v[188:189], 1.0
	v_mul_f64 v[198:199], v[196:197], v[192:193]
	v_fma_f64 v[190:191], -v[190:191], v[198:199], v[196:197]
	s_nop 1
	v_div_fmas_f64 v[190:191], v[190:191], v[192:193], v[198:199]
	v_div_fixup_f64 v[192:193], v[190:191], v[188:189], 1.0
	v_mul_f64 v[194:195], v[194:195], -v[192:193]
.LBB55_178:
	s_or_b64 exec, exec, s[2:3]
	ds_write2_b64 v255, v[192:193], v[194:195] offset1:1
.LBB55_179:
	s_or_b64 exec, exec, s[4:5]
	s_waitcnt lgkmcnt(0)
	s_barrier
	ds_read2_b64 v[188:191], v255 offset1:1
	v_cmp_lt_u32_e32 vcc, 19, v254
	s_and_saveexec_b64 s[2:3], vcc
	s_cbranch_execz .LBB55_181
; %bb.180:
	ds_read2_b64 v[194:197], v226 offset0:40 offset1:41
	s_waitcnt vmcnt(22) lgkmcnt(1)
	v_mul_f64 v[192:193], v[188:189], v[30:31]
	v_fmac_f64_e32 v[192:193], v[190:191], v[28:29]
	v_mul_f64 v[30:31], v[190:191], v[30:31]
	v_fma_f64 v[28:29], v[188:189], v[28:29], -v[30:31]
	s_waitcnt lgkmcnt(0)
	v_mul_f64 v[30:31], v[196:197], v[192:193]
	v_fma_f64 v[30:31], v[194:195], v[28:29], -v[30:31]
	v_mul_f64 v[194:195], v[194:195], v[192:193]
	v_fmac_f64_e32 v[194:195], v[196:197], v[28:29]
	s_waitcnt vmcnt(21)
	v_add_f64 v[26:27], v[26:27], -v[194:195]
	ds_read2_b64 v[194:197], v226 offset0:42 offset1:43
	v_add_f64 v[24:25], v[24:25], -v[30:31]
	s_waitcnt lgkmcnt(0)
	v_mul_f64 v[30:31], v[196:197], v[192:193]
	v_fma_f64 v[30:31], v[194:195], v[28:29], -v[30:31]
	v_mul_f64 v[194:195], v[194:195], v[192:193]
	v_fmac_f64_e32 v[194:195], v[196:197], v[28:29]
	s_waitcnt vmcnt(20)
	v_add_f64 v[22:23], v[22:23], -v[194:195]
	ds_read2_b64 v[194:197], v226 offset0:44 offset1:45
	v_add_f64 v[20:21], v[20:21], -v[30:31]
	s_waitcnt lgkmcnt(0)
	v_mul_f64 v[30:31], v[196:197], v[192:193]
	v_fma_f64 v[30:31], v[194:195], v[28:29], -v[30:31]
	v_mul_f64 v[194:195], v[194:195], v[192:193]
	v_fmac_f64_e32 v[194:195], v[196:197], v[28:29]
	s_waitcnt vmcnt(9)
	v_add_f64 v[18:19], v[18:19], -v[194:195]
	ds_read2_b64 v[194:197], v226 offset0:46 offset1:47
	v_add_f64 v[16:17], v[16:17], -v[30:31]
	s_waitcnt lgkmcnt(0)
	v_mul_f64 v[30:31], v[196:197], v[192:193]
	v_fma_f64 v[30:31], v[194:195], v[28:29], -v[30:31]
	v_mul_f64 v[194:195], v[194:195], v[192:193]
	v_fmac_f64_e32 v[194:195], v[196:197], v[28:29]
	s_waitcnt vmcnt(7)
	v_add_f64 v[14:15], v[14:15], -v[194:195]
	ds_read2_b64 v[194:197], v226 offset0:48 offset1:49
	v_add_f64 v[12:13], v[12:13], -v[30:31]
	s_waitcnt lgkmcnt(0)
	v_mul_f64 v[30:31], v[196:197], v[192:193]
	v_fma_f64 v[30:31], v[194:195], v[28:29], -v[30:31]
	v_mul_f64 v[194:195], v[194:195], v[192:193]
	v_fmac_f64_e32 v[194:195], v[196:197], v[28:29]
	s_waitcnt vmcnt(6)
	v_add_f64 v[10:11], v[10:11], -v[194:195]
	ds_read2_b64 v[194:197], v226 offset0:50 offset1:51
	v_add_f64 v[8:9], v[8:9], -v[30:31]
	s_waitcnt lgkmcnt(0)
	v_mul_f64 v[30:31], v[196:197], v[192:193]
	v_fma_f64 v[30:31], v[194:195], v[28:29], -v[30:31]
	v_mul_f64 v[194:195], v[194:195], v[192:193]
	v_fmac_f64_e32 v[194:195], v[196:197], v[28:29]
	s_waitcnt vmcnt(5)
	v_add_f64 v[6:7], v[6:7], -v[194:195]
	ds_read2_b64 v[194:197], v226 offset0:52 offset1:53
	v_add_f64 v[4:5], v[4:5], -v[30:31]
	s_waitcnt lgkmcnt(0)
	v_mul_f64 v[30:31], v[196:197], v[192:193]
	v_fma_f64 v[30:31], v[194:195], v[28:29], -v[30:31]
	v_mul_f64 v[194:195], v[194:195], v[192:193]
	v_fmac_f64_e32 v[194:195], v[196:197], v[28:29]
	v_add_f64 v[2:3], v[2:3], -v[194:195]
	ds_read2_b64 v[194:197], v226 offset0:54 offset1:55
	v_add_f64 v[0:1], v[0:1], -v[30:31]
	s_waitcnt lgkmcnt(0)
	v_mul_f64 v[30:31], v[196:197], v[192:193]
	v_fma_f64 v[30:31], v[194:195], v[28:29], -v[30:31]
	v_mul_f64 v[194:195], v[194:195], v[192:193]
	v_fmac_f64_e32 v[194:195], v[196:197], v[28:29]
	s_waitcnt vmcnt(4)
	v_add_f64 v[108:109], v[108:109], -v[30:31]
	v_add_f64 v[110:111], v[110:111], -v[194:195]
	v_mov_b64_e32 v[30:31], v[192:193]
.LBB55_181:
	s_or_b64 exec, exec, s[2:3]
	v_cmp_eq_u32_e32 vcc, 20, v254
	s_waitcnt lgkmcnt(0)
	s_barrier
	s_and_saveexec_b64 s[4:5], vcc
	s_cbranch_execz .LBB55_188
; %bb.182:
	s_waitcnt vmcnt(21)
	ds_write2_b64 v255, v[24:25], v[26:27] offset1:1
	s_waitcnt vmcnt(20)
	ds_write2_b64 v226, v[20:21], v[22:23] offset0:42 offset1:43
	s_waitcnt vmcnt(9)
	ds_write2_b64 v226, v[16:17], v[18:19] offset0:44 offset1:45
	;; [unrolled: 2-line block ×5, first 2 shown]
	ds_write2_b64 v226, v[0:1], v[2:3] offset0:52 offset1:53
	s_waitcnt vmcnt(4)
	ds_write2_b64 v226, v[108:109], v[110:111] offset0:54 offset1:55
	ds_read2_b64 v[192:195], v255 offset1:1
	s_waitcnt lgkmcnt(0)
	v_cmp_neq_f64_e32 vcc, 0, v[192:193]
	v_cmp_neq_f64_e64 s[2:3], 0, v[194:195]
	s_or_b64 s[2:3], vcc, s[2:3]
	s_and_b64 exec, exec, s[2:3]
	s_cbranch_execz .LBB55_188
; %bb.183:
	v_cmp_ngt_f64_e64 s[2:3], |v[192:193]|, |v[194:195]|
                                        ; implicit-def: $vgpr196_vgpr197
	s_and_saveexec_b64 s[10:11], s[2:3]
	s_xor_b64 s[2:3], exec, s[10:11]
                                        ; implicit-def: $vgpr198_vgpr199
	s_cbranch_execz .LBB55_185
; %bb.184:
	v_div_scale_f64 v[196:197], s[10:11], v[194:195], v[194:195], v[192:193]
	v_rcp_f64_e32 v[198:199], v[196:197]
	v_div_scale_f64 v[200:201], vcc, v[192:193], v[194:195], v[192:193]
	v_fma_f64 v[202:203], -v[196:197], v[198:199], 1.0
	v_fmac_f64_e32 v[198:199], v[198:199], v[202:203]
	v_fma_f64 v[202:203], -v[196:197], v[198:199], 1.0
	v_fmac_f64_e32 v[198:199], v[198:199], v[202:203]
	v_mul_f64 v[202:203], v[200:201], v[198:199]
	v_fma_f64 v[196:197], -v[196:197], v[202:203], v[200:201]
	v_div_fmas_f64 v[196:197], v[196:197], v[198:199], v[202:203]
	v_div_fixup_f64 v[196:197], v[196:197], v[194:195], v[192:193]
	v_fmac_f64_e32 v[194:195], v[192:193], v[196:197]
	v_div_scale_f64 v[192:193], s[10:11], v[194:195], v[194:195], 1.0
	v_rcp_f64_e32 v[198:199], v[192:193]
	s_nop 0
	v_fma_f64 v[200:201], -v[192:193], v[198:199], 1.0
	v_fmac_f64_e32 v[198:199], v[198:199], v[200:201]
	v_fma_f64 v[200:201], -v[192:193], v[198:199], 1.0
	v_fmac_f64_e32 v[198:199], v[198:199], v[200:201]
	v_div_scale_f64 v[200:201], vcc, 1.0, v[194:195], 1.0
	v_mul_f64 v[202:203], v[200:201], v[198:199]
	v_fma_f64 v[192:193], -v[192:193], v[202:203], v[200:201]
	s_nop 1
	v_div_fmas_f64 v[192:193], v[192:193], v[198:199], v[202:203]
	v_div_fixup_f64 v[198:199], v[192:193], v[194:195], 1.0
	v_mul_f64 v[196:197], v[196:197], v[198:199]
	v_xor_b32_e32 v199, 0x80000000, v199
                                        ; implicit-def: $vgpr192_vgpr193
.LBB55_185:
	s_andn2_saveexec_b64 s[2:3], s[2:3]
	s_cbranch_execz .LBB55_187
; %bb.186:
	v_div_scale_f64 v[196:197], s[10:11], v[192:193], v[192:193], v[194:195]
	v_rcp_f64_e32 v[198:199], v[196:197]
	v_div_scale_f64 v[200:201], vcc, v[194:195], v[192:193], v[194:195]
	v_fma_f64 v[202:203], -v[196:197], v[198:199], 1.0
	v_fmac_f64_e32 v[198:199], v[198:199], v[202:203]
	v_fma_f64 v[202:203], -v[196:197], v[198:199], 1.0
	v_fmac_f64_e32 v[198:199], v[198:199], v[202:203]
	v_mul_f64 v[202:203], v[200:201], v[198:199]
	v_fma_f64 v[196:197], -v[196:197], v[202:203], v[200:201]
	v_div_fmas_f64 v[196:197], v[196:197], v[198:199], v[202:203]
	v_div_fixup_f64 v[198:199], v[196:197], v[192:193], v[194:195]
	v_fmac_f64_e32 v[192:193], v[194:195], v[198:199]
	v_div_scale_f64 v[194:195], s[10:11], v[192:193], v[192:193], 1.0
	v_rcp_f64_e32 v[196:197], v[194:195]
	s_nop 0
	v_fma_f64 v[200:201], -v[194:195], v[196:197], 1.0
	v_fmac_f64_e32 v[196:197], v[196:197], v[200:201]
	v_fma_f64 v[200:201], -v[194:195], v[196:197], 1.0
	v_fmac_f64_e32 v[196:197], v[196:197], v[200:201]
	v_div_scale_f64 v[200:201], vcc, 1.0, v[192:193], 1.0
	v_mul_f64 v[202:203], v[200:201], v[196:197]
	v_fma_f64 v[194:195], -v[194:195], v[202:203], v[200:201]
	s_nop 1
	v_div_fmas_f64 v[194:195], v[194:195], v[196:197], v[202:203]
	v_div_fixup_f64 v[196:197], v[194:195], v[192:193], 1.0
	v_mul_f64 v[198:199], v[198:199], -v[196:197]
.LBB55_187:
	s_or_b64 exec, exec, s[2:3]
	ds_write2_b64 v255, v[196:197], v[198:199] offset1:1
.LBB55_188:
	s_or_b64 exec, exec, s[4:5]
	s_waitcnt lgkmcnt(0)
	s_barrier
	ds_read2_b64 v[192:195], v255 offset1:1
	v_cmp_lt_u32_e32 vcc, 20, v254
	s_and_saveexec_b64 s[2:3], vcc
	s_cbranch_execz .LBB55_190
; %bb.189:
	ds_read2_b64 v[198:201], v226 offset0:42 offset1:43
	s_waitcnt vmcnt(21) lgkmcnt(1)
	v_mul_f64 v[196:197], v[192:193], v[26:27]
	v_fmac_f64_e32 v[196:197], v[194:195], v[24:25]
	v_mul_f64 v[26:27], v[194:195], v[26:27]
	v_fma_f64 v[24:25], v[192:193], v[24:25], -v[26:27]
	s_waitcnt lgkmcnt(0)
	v_mul_f64 v[26:27], v[200:201], v[196:197]
	v_fma_f64 v[26:27], v[198:199], v[24:25], -v[26:27]
	v_mul_f64 v[198:199], v[198:199], v[196:197]
	v_fmac_f64_e32 v[198:199], v[200:201], v[24:25]
	s_waitcnt vmcnt(20)
	v_add_f64 v[22:23], v[22:23], -v[198:199]
	ds_read2_b64 v[198:201], v226 offset0:44 offset1:45
	v_add_f64 v[20:21], v[20:21], -v[26:27]
	s_waitcnt lgkmcnt(0)
	v_mul_f64 v[26:27], v[200:201], v[196:197]
	v_fma_f64 v[26:27], v[198:199], v[24:25], -v[26:27]
	v_mul_f64 v[198:199], v[198:199], v[196:197]
	v_fmac_f64_e32 v[198:199], v[200:201], v[24:25]
	s_waitcnt vmcnt(9)
	v_add_f64 v[18:19], v[18:19], -v[198:199]
	ds_read2_b64 v[198:201], v226 offset0:46 offset1:47
	v_add_f64 v[16:17], v[16:17], -v[26:27]
	;; [unrolled: 9-line block ×5, first 2 shown]
	s_waitcnt lgkmcnt(0)
	v_mul_f64 v[26:27], v[200:201], v[196:197]
	v_fma_f64 v[26:27], v[198:199], v[24:25], -v[26:27]
	v_mul_f64 v[198:199], v[198:199], v[196:197]
	v_fmac_f64_e32 v[198:199], v[200:201], v[24:25]
	v_add_f64 v[2:3], v[2:3], -v[198:199]
	ds_read2_b64 v[198:201], v226 offset0:54 offset1:55
	v_add_f64 v[0:1], v[0:1], -v[26:27]
	s_waitcnt lgkmcnt(0)
	v_mul_f64 v[26:27], v[200:201], v[196:197]
	v_fma_f64 v[26:27], v[198:199], v[24:25], -v[26:27]
	v_mul_f64 v[198:199], v[198:199], v[196:197]
	v_fmac_f64_e32 v[198:199], v[200:201], v[24:25]
	s_waitcnt vmcnt(4)
	v_add_f64 v[108:109], v[108:109], -v[26:27]
	v_add_f64 v[110:111], v[110:111], -v[198:199]
	v_mov_b64_e32 v[26:27], v[196:197]
.LBB55_190:
	s_or_b64 exec, exec, s[2:3]
	v_cmp_eq_u32_e32 vcc, 21, v254
	s_waitcnt lgkmcnt(0)
	s_barrier
	s_and_saveexec_b64 s[4:5], vcc
	s_cbranch_execz .LBB55_197
; %bb.191:
	s_waitcnt vmcnt(20)
	ds_write2_b64 v255, v[20:21], v[22:23] offset1:1
	s_waitcnt vmcnt(9)
	ds_write2_b64 v226, v[16:17], v[18:19] offset0:44 offset1:45
	s_waitcnt vmcnt(7)
	ds_write2_b64 v226, v[12:13], v[14:15] offset0:46 offset1:47
	;; [unrolled: 2-line block ×4, first 2 shown]
	ds_write2_b64 v226, v[0:1], v[2:3] offset0:52 offset1:53
	s_waitcnt vmcnt(4)
	ds_write2_b64 v226, v[108:109], v[110:111] offset0:54 offset1:55
	ds_read2_b64 v[196:199], v255 offset1:1
	s_waitcnt lgkmcnt(0)
	v_cmp_neq_f64_e32 vcc, 0, v[196:197]
	v_cmp_neq_f64_e64 s[2:3], 0, v[198:199]
	s_or_b64 s[2:3], vcc, s[2:3]
	s_and_b64 exec, exec, s[2:3]
	s_cbranch_execz .LBB55_197
; %bb.192:
	v_cmp_ngt_f64_e64 s[2:3], |v[196:197]|, |v[198:199]|
                                        ; implicit-def: $vgpr200_vgpr201
	s_and_saveexec_b64 s[10:11], s[2:3]
	s_xor_b64 s[2:3], exec, s[10:11]
                                        ; implicit-def: $vgpr202_vgpr203
	s_cbranch_execz .LBB55_194
; %bb.193:
	v_div_scale_f64 v[200:201], s[10:11], v[198:199], v[198:199], v[196:197]
	v_rcp_f64_e32 v[202:203], v[200:201]
	v_div_scale_f64 v[204:205], vcc, v[196:197], v[198:199], v[196:197]
	v_fma_f64 v[206:207], -v[200:201], v[202:203], 1.0
	v_fmac_f64_e32 v[202:203], v[202:203], v[206:207]
	v_fma_f64 v[206:207], -v[200:201], v[202:203], 1.0
	v_fmac_f64_e32 v[202:203], v[202:203], v[206:207]
	v_mul_f64 v[206:207], v[204:205], v[202:203]
	v_fma_f64 v[200:201], -v[200:201], v[206:207], v[204:205]
	v_div_fmas_f64 v[200:201], v[200:201], v[202:203], v[206:207]
	v_div_fixup_f64 v[200:201], v[200:201], v[198:199], v[196:197]
	v_fmac_f64_e32 v[198:199], v[196:197], v[200:201]
	v_div_scale_f64 v[196:197], s[10:11], v[198:199], v[198:199], 1.0
	v_rcp_f64_e32 v[202:203], v[196:197]
	s_nop 0
	v_fma_f64 v[204:205], -v[196:197], v[202:203], 1.0
	v_fmac_f64_e32 v[202:203], v[202:203], v[204:205]
	v_fma_f64 v[204:205], -v[196:197], v[202:203], 1.0
	v_fmac_f64_e32 v[202:203], v[202:203], v[204:205]
	v_div_scale_f64 v[204:205], vcc, 1.0, v[198:199], 1.0
	v_mul_f64 v[206:207], v[204:205], v[202:203]
	v_fma_f64 v[196:197], -v[196:197], v[206:207], v[204:205]
	s_nop 1
	v_div_fmas_f64 v[196:197], v[196:197], v[202:203], v[206:207]
	v_div_fixup_f64 v[202:203], v[196:197], v[198:199], 1.0
	v_mul_f64 v[200:201], v[200:201], v[202:203]
	v_xor_b32_e32 v203, 0x80000000, v203
                                        ; implicit-def: $vgpr196_vgpr197
.LBB55_194:
	s_andn2_saveexec_b64 s[2:3], s[2:3]
	s_cbranch_execz .LBB55_196
; %bb.195:
	v_div_scale_f64 v[200:201], s[10:11], v[196:197], v[196:197], v[198:199]
	v_rcp_f64_e32 v[202:203], v[200:201]
	v_div_scale_f64 v[204:205], vcc, v[198:199], v[196:197], v[198:199]
	v_fma_f64 v[206:207], -v[200:201], v[202:203], 1.0
	v_fmac_f64_e32 v[202:203], v[202:203], v[206:207]
	v_fma_f64 v[206:207], -v[200:201], v[202:203], 1.0
	v_fmac_f64_e32 v[202:203], v[202:203], v[206:207]
	v_mul_f64 v[206:207], v[204:205], v[202:203]
	v_fma_f64 v[200:201], -v[200:201], v[206:207], v[204:205]
	v_div_fmas_f64 v[200:201], v[200:201], v[202:203], v[206:207]
	v_div_fixup_f64 v[202:203], v[200:201], v[196:197], v[198:199]
	v_fmac_f64_e32 v[196:197], v[198:199], v[202:203]
	v_div_scale_f64 v[198:199], s[10:11], v[196:197], v[196:197], 1.0
	v_rcp_f64_e32 v[200:201], v[198:199]
	s_nop 0
	v_fma_f64 v[204:205], -v[198:199], v[200:201], 1.0
	v_fmac_f64_e32 v[200:201], v[200:201], v[204:205]
	v_fma_f64 v[204:205], -v[198:199], v[200:201], 1.0
	v_fmac_f64_e32 v[200:201], v[200:201], v[204:205]
	v_div_scale_f64 v[204:205], vcc, 1.0, v[196:197], 1.0
	v_mul_f64 v[206:207], v[204:205], v[200:201]
	v_fma_f64 v[198:199], -v[198:199], v[206:207], v[204:205]
	s_nop 1
	v_div_fmas_f64 v[198:199], v[198:199], v[200:201], v[206:207]
	v_div_fixup_f64 v[200:201], v[198:199], v[196:197], 1.0
	v_mul_f64 v[202:203], v[202:203], -v[200:201]
.LBB55_196:
	s_or_b64 exec, exec, s[2:3]
	ds_write2_b64 v255, v[200:201], v[202:203] offset1:1
.LBB55_197:
	s_or_b64 exec, exec, s[4:5]
	s_waitcnt lgkmcnt(0)
	s_barrier
	ds_read2_b64 v[196:199], v255 offset1:1
	v_cmp_lt_u32_e32 vcc, 21, v254
	s_and_saveexec_b64 s[2:3], vcc
	s_cbranch_execz .LBB55_199
; %bb.198:
	ds_read2_b64 v[200:203], v226 offset0:44 offset1:45
	s_waitcnt vmcnt(20) lgkmcnt(1)
	v_mul_f64 v[204:205], v[196:197], v[22:23]
	v_fmac_f64_e32 v[204:205], v[198:199], v[20:21]
	v_mul_f64 v[22:23], v[198:199], v[22:23]
	v_fma_f64 v[20:21], v[196:197], v[20:21], -v[22:23]
	s_waitcnt lgkmcnt(0)
	v_mul_f64 v[22:23], v[202:203], v[204:205]
	v_fma_f64 v[22:23], v[200:201], v[20:21], -v[22:23]
	v_mul_f64 v[200:201], v[200:201], v[204:205]
	v_fmac_f64_e32 v[200:201], v[202:203], v[20:21]
	s_waitcnt vmcnt(9)
	v_add_f64 v[18:19], v[18:19], -v[200:201]
	ds_read2_b64 v[200:203], v226 offset0:46 offset1:47
	v_add_f64 v[16:17], v[16:17], -v[22:23]
	s_waitcnt lgkmcnt(0)
	v_mul_f64 v[22:23], v[202:203], v[204:205]
	v_fma_f64 v[22:23], v[200:201], v[20:21], -v[22:23]
	v_mul_f64 v[200:201], v[200:201], v[204:205]
	v_fmac_f64_e32 v[200:201], v[202:203], v[20:21]
	s_waitcnt vmcnt(7)
	v_add_f64 v[14:15], v[14:15], -v[200:201]
	ds_read2_b64 v[200:203], v226 offset0:48 offset1:49
	v_add_f64 v[12:13], v[12:13], -v[22:23]
	;; [unrolled: 9-line block ×4, first 2 shown]
	s_waitcnt lgkmcnt(0)
	v_mul_f64 v[22:23], v[202:203], v[204:205]
	v_fma_f64 v[22:23], v[200:201], v[20:21], -v[22:23]
	v_mul_f64 v[200:201], v[200:201], v[204:205]
	v_fmac_f64_e32 v[200:201], v[202:203], v[20:21]
	v_add_f64 v[2:3], v[2:3], -v[200:201]
	ds_read2_b64 v[200:203], v226 offset0:54 offset1:55
	v_add_f64 v[0:1], v[0:1], -v[22:23]
	s_waitcnt lgkmcnt(0)
	v_mul_f64 v[22:23], v[202:203], v[204:205]
	v_fma_f64 v[22:23], v[200:201], v[20:21], -v[22:23]
	v_mul_f64 v[200:201], v[200:201], v[204:205]
	v_fmac_f64_e32 v[200:201], v[202:203], v[20:21]
	s_waitcnt vmcnt(4)
	v_add_f64 v[108:109], v[108:109], -v[22:23]
	v_add_f64 v[110:111], v[110:111], -v[200:201]
	v_mov_b64_e32 v[22:23], v[204:205]
.LBB55_199:
	s_or_b64 exec, exec, s[2:3]
	v_cmp_eq_u32_e32 vcc, 22, v254
	s_waitcnt lgkmcnt(0)
	s_barrier
	s_and_saveexec_b64 s[4:5], vcc
	s_cbranch_execz .LBB55_206
; %bb.200:
	s_waitcnt vmcnt(9)
	ds_write2_b64 v255, v[16:17], v[18:19] offset1:1
	s_waitcnt vmcnt(7)
	ds_write2_b64 v226, v[12:13], v[14:15] offset0:46 offset1:47
	s_waitcnt vmcnt(6)
	ds_write2_b64 v226, v[8:9], v[10:11] offset0:48 offset1:49
	;; [unrolled: 2-line block ×3, first 2 shown]
	ds_write2_b64 v226, v[0:1], v[2:3] offset0:52 offset1:53
	s_waitcnt vmcnt(4)
	ds_write2_b64 v226, v[108:109], v[110:111] offset0:54 offset1:55
	ds_read2_b64 v[200:203], v255 offset1:1
	s_waitcnt lgkmcnt(0)
	v_cmp_neq_f64_e32 vcc, 0, v[200:201]
	v_cmp_neq_f64_e64 s[2:3], 0, v[202:203]
	s_or_b64 s[2:3], vcc, s[2:3]
	s_and_b64 exec, exec, s[2:3]
	s_cbranch_execz .LBB55_206
; %bb.201:
	v_cmp_ngt_f64_e64 s[2:3], |v[200:201]|, |v[202:203]|
                                        ; implicit-def: $vgpr204_vgpr205
	s_and_saveexec_b64 s[10:11], s[2:3]
	s_xor_b64 s[2:3], exec, s[10:11]
                                        ; implicit-def: $vgpr206_vgpr207
	s_cbranch_execz .LBB55_203
; %bb.202:
	v_div_scale_f64 v[204:205], s[10:11], v[202:203], v[202:203], v[200:201]
	v_rcp_f64_e32 v[206:207], v[204:205]
	v_div_scale_f64 v[208:209], vcc, v[200:201], v[202:203], v[200:201]
	v_fma_f64 v[210:211], -v[204:205], v[206:207], 1.0
	v_fmac_f64_e32 v[206:207], v[206:207], v[210:211]
	v_fma_f64 v[210:211], -v[204:205], v[206:207], 1.0
	v_fmac_f64_e32 v[206:207], v[206:207], v[210:211]
	v_mul_f64 v[210:211], v[208:209], v[206:207]
	v_fma_f64 v[204:205], -v[204:205], v[210:211], v[208:209]
	v_div_fmas_f64 v[204:205], v[204:205], v[206:207], v[210:211]
	v_div_fixup_f64 v[204:205], v[204:205], v[202:203], v[200:201]
	v_fmac_f64_e32 v[202:203], v[200:201], v[204:205]
	v_div_scale_f64 v[200:201], s[10:11], v[202:203], v[202:203], 1.0
	v_rcp_f64_e32 v[206:207], v[200:201]
	s_nop 0
	v_fma_f64 v[208:209], -v[200:201], v[206:207], 1.0
	v_fmac_f64_e32 v[206:207], v[206:207], v[208:209]
	v_fma_f64 v[208:209], -v[200:201], v[206:207], 1.0
	v_fmac_f64_e32 v[206:207], v[206:207], v[208:209]
	v_div_scale_f64 v[208:209], vcc, 1.0, v[202:203], 1.0
	v_mul_f64 v[210:211], v[208:209], v[206:207]
	v_fma_f64 v[200:201], -v[200:201], v[210:211], v[208:209]
	s_nop 1
	v_div_fmas_f64 v[200:201], v[200:201], v[206:207], v[210:211]
	v_div_fixup_f64 v[206:207], v[200:201], v[202:203], 1.0
	v_mul_f64 v[204:205], v[204:205], v[206:207]
	v_xor_b32_e32 v207, 0x80000000, v207
                                        ; implicit-def: $vgpr200_vgpr201
.LBB55_203:
	s_andn2_saveexec_b64 s[2:3], s[2:3]
	s_cbranch_execz .LBB55_205
; %bb.204:
	v_div_scale_f64 v[204:205], s[10:11], v[200:201], v[200:201], v[202:203]
	v_rcp_f64_e32 v[206:207], v[204:205]
	v_div_scale_f64 v[208:209], vcc, v[202:203], v[200:201], v[202:203]
	v_fma_f64 v[210:211], -v[204:205], v[206:207], 1.0
	v_fmac_f64_e32 v[206:207], v[206:207], v[210:211]
	v_fma_f64 v[210:211], -v[204:205], v[206:207], 1.0
	v_fmac_f64_e32 v[206:207], v[206:207], v[210:211]
	v_mul_f64 v[210:211], v[208:209], v[206:207]
	v_fma_f64 v[204:205], -v[204:205], v[210:211], v[208:209]
	v_div_fmas_f64 v[204:205], v[204:205], v[206:207], v[210:211]
	v_div_fixup_f64 v[206:207], v[204:205], v[200:201], v[202:203]
	v_fmac_f64_e32 v[200:201], v[202:203], v[206:207]
	v_div_scale_f64 v[202:203], s[10:11], v[200:201], v[200:201], 1.0
	v_rcp_f64_e32 v[204:205], v[202:203]
	s_nop 0
	v_fma_f64 v[208:209], -v[202:203], v[204:205], 1.0
	v_fmac_f64_e32 v[204:205], v[204:205], v[208:209]
	v_fma_f64 v[208:209], -v[202:203], v[204:205], 1.0
	v_fmac_f64_e32 v[204:205], v[204:205], v[208:209]
	v_div_scale_f64 v[208:209], vcc, 1.0, v[200:201], 1.0
	v_mul_f64 v[210:211], v[208:209], v[204:205]
	v_fma_f64 v[202:203], -v[202:203], v[210:211], v[208:209]
	s_nop 1
	v_div_fmas_f64 v[202:203], v[202:203], v[204:205], v[210:211]
	v_div_fixup_f64 v[204:205], v[202:203], v[200:201], 1.0
	v_mul_f64 v[206:207], v[206:207], -v[204:205]
.LBB55_205:
	s_or_b64 exec, exec, s[2:3]
	ds_write2_b64 v255, v[204:205], v[206:207] offset1:1
.LBB55_206:
	s_or_b64 exec, exec, s[4:5]
	s_waitcnt lgkmcnt(0)
	s_barrier
	ds_read2_b64 v[200:203], v255 offset1:1
	v_cmp_lt_u32_e32 vcc, 22, v254
	s_and_saveexec_b64 s[2:3], vcc
	s_cbranch_execz .LBB55_208
; %bb.207:
	ds_read2_b64 v[204:207], v226 offset0:46 offset1:47
	s_waitcnt vmcnt(9) lgkmcnt(1)
	v_mul_f64 v[208:209], v[200:201], v[18:19]
	v_fmac_f64_e32 v[208:209], v[202:203], v[16:17]
	v_mul_f64 v[18:19], v[202:203], v[18:19]
	v_fma_f64 v[16:17], v[200:201], v[16:17], -v[18:19]
	s_waitcnt lgkmcnt(0)
	v_mul_f64 v[18:19], v[206:207], v[208:209]
	v_fma_f64 v[18:19], v[204:205], v[16:17], -v[18:19]
	v_mul_f64 v[204:205], v[204:205], v[208:209]
	v_fmac_f64_e32 v[204:205], v[206:207], v[16:17]
	s_waitcnt vmcnt(7)
	v_add_f64 v[14:15], v[14:15], -v[204:205]
	ds_read2_b64 v[204:207], v226 offset0:48 offset1:49
	v_add_f64 v[12:13], v[12:13], -v[18:19]
	s_waitcnt lgkmcnt(0)
	v_mul_f64 v[18:19], v[206:207], v[208:209]
	v_fma_f64 v[18:19], v[204:205], v[16:17], -v[18:19]
	v_mul_f64 v[204:205], v[204:205], v[208:209]
	v_fmac_f64_e32 v[204:205], v[206:207], v[16:17]
	s_waitcnt vmcnt(6)
	v_add_f64 v[10:11], v[10:11], -v[204:205]
	ds_read2_b64 v[204:207], v226 offset0:50 offset1:51
	v_add_f64 v[8:9], v[8:9], -v[18:19]
	;; [unrolled: 9-line block ×3, first 2 shown]
	s_waitcnt lgkmcnt(0)
	v_mul_f64 v[18:19], v[206:207], v[208:209]
	v_fma_f64 v[18:19], v[204:205], v[16:17], -v[18:19]
	v_mul_f64 v[204:205], v[204:205], v[208:209]
	v_fmac_f64_e32 v[204:205], v[206:207], v[16:17]
	v_add_f64 v[2:3], v[2:3], -v[204:205]
	ds_read2_b64 v[204:207], v226 offset0:54 offset1:55
	v_add_f64 v[0:1], v[0:1], -v[18:19]
	s_waitcnt lgkmcnt(0)
	v_mul_f64 v[18:19], v[206:207], v[208:209]
	v_fma_f64 v[18:19], v[204:205], v[16:17], -v[18:19]
	v_mul_f64 v[204:205], v[204:205], v[208:209]
	v_fmac_f64_e32 v[204:205], v[206:207], v[16:17]
	s_waitcnt vmcnt(4)
	v_add_f64 v[108:109], v[108:109], -v[18:19]
	v_add_f64 v[110:111], v[110:111], -v[204:205]
	v_mov_b64_e32 v[18:19], v[208:209]
.LBB55_208:
	s_or_b64 exec, exec, s[2:3]
	v_cmp_eq_u32_e32 vcc, 23, v254
	s_waitcnt lgkmcnt(0)
	s_barrier
	s_and_saveexec_b64 s[4:5], vcc
	s_cbranch_execz .LBB55_215
; %bb.209:
	s_waitcnt vmcnt(7)
	ds_write2_b64 v255, v[12:13], v[14:15] offset1:1
	s_waitcnt vmcnt(6)
	ds_write2_b64 v226, v[8:9], v[10:11] offset0:48 offset1:49
	s_waitcnt vmcnt(5)
	ds_write2_b64 v226, v[4:5], v[6:7] offset0:50 offset1:51
	ds_write2_b64 v226, v[0:1], v[2:3] offset0:52 offset1:53
	s_waitcnt vmcnt(4)
	ds_write2_b64 v226, v[108:109], v[110:111] offset0:54 offset1:55
	ds_read2_b64 v[204:207], v255 offset1:1
	s_waitcnt lgkmcnt(0)
	v_cmp_neq_f64_e32 vcc, 0, v[204:205]
	v_cmp_neq_f64_e64 s[2:3], 0, v[206:207]
	s_or_b64 s[2:3], vcc, s[2:3]
	s_and_b64 exec, exec, s[2:3]
	s_cbranch_execz .LBB55_215
; %bb.210:
	v_cmp_ngt_f64_e64 s[2:3], |v[204:205]|, |v[206:207]|
                                        ; implicit-def: $vgpr208_vgpr209
	s_and_saveexec_b64 s[10:11], s[2:3]
	s_xor_b64 s[2:3], exec, s[10:11]
                                        ; implicit-def: $vgpr210_vgpr211
	s_cbranch_execz .LBB55_212
; %bb.211:
	v_div_scale_f64 v[208:209], s[10:11], v[206:207], v[206:207], v[204:205]
	v_rcp_f64_e32 v[210:211], v[208:209]
	v_div_scale_f64 v[212:213], vcc, v[204:205], v[206:207], v[204:205]
	v_fma_f64 v[214:215], -v[208:209], v[210:211], 1.0
	v_fmac_f64_e32 v[210:211], v[210:211], v[214:215]
	v_fma_f64 v[214:215], -v[208:209], v[210:211], 1.0
	v_fmac_f64_e32 v[210:211], v[210:211], v[214:215]
	v_mul_f64 v[214:215], v[212:213], v[210:211]
	v_fma_f64 v[208:209], -v[208:209], v[214:215], v[212:213]
	v_div_fmas_f64 v[208:209], v[208:209], v[210:211], v[214:215]
	v_div_fixup_f64 v[208:209], v[208:209], v[206:207], v[204:205]
	v_fmac_f64_e32 v[206:207], v[204:205], v[208:209]
	v_div_scale_f64 v[204:205], s[10:11], v[206:207], v[206:207], 1.0
	v_rcp_f64_e32 v[210:211], v[204:205]
	s_nop 0
	v_fma_f64 v[212:213], -v[204:205], v[210:211], 1.0
	v_fmac_f64_e32 v[210:211], v[210:211], v[212:213]
	v_fma_f64 v[212:213], -v[204:205], v[210:211], 1.0
	v_fmac_f64_e32 v[210:211], v[210:211], v[212:213]
	v_div_scale_f64 v[212:213], vcc, 1.0, v[206:207], 1.0
	v_mul_f64 v[214:215], v[212:213], v[210:211]
	v_fma_f64 v[204:205], -v[204:205], v[214:215], v[212:213]
	s_nop 1
	v_div_fmas_f64 v[204:205], v[204:205], v[210:211], v[214:215]
	v_div_fixup_f64 v[210:211], v[204:205], v[206:207], 1.0
	v_mul_f64 v[208:209], v[208:209], v[210:211]
	v_xor_b32_e32 v211, 0x80000000, v211
                                        ; implicit-def: $vgpr204_vgpr205
.LBB55_212:
	s_andn2_saveexec_b64 s[2:3], s[2:3]
	s_cbranch_execz .LBB55_214
; %bb.213:
	v_div_scale_f64 v[208:209], s[10:11], v[204:205], v[204:205], v[206:207]
	v_rcp_f64_e32 v[210:211], v[208:209]
	v_div_scale_f64 v[212:213], vcc, v[206:207], v[204:205], v[206:207]
	v_fma_f64 v[214:215], -v[208:209], v[210:211], 1.0
	v_fmac_f64_e32 v[210:211], v[210:211], v[214:215]
	v_fma_f64 v[214:215], -v[208:209], v[210:211], 1.0
	v_fmac_f64_e32 v[210:211], v[210:211], v[214:215]
	v_mul_f64 v[214:215], v[212:213], v[210:211]
	v_fma_f64 v[208:209], -v[208:209], v[214:215], v[212:213]
	v_div_fmas_f64 v[208:209], v[208:209], v[210:211], v[214:215]
	v_div_fixup_f64 v[210:211], v[208:209], v[204:205], v[206:207]
	v_fmac_f64_e32 v[204:205], v[206:207], v[210:211]
	v_div_scale_f64 v[206:207], s[10:11], v[204:205], v[204:205], 1.0
	v_rcp_f64_e32 v[208:209], v[206:207]
	s_nop 0
	v_fma_f64 v[212:213], -v[206:207], v[208:209], 1.0
	v_fmac_f64_e32 v[208:209], v[208:209], v[212:213]
	v_fma_f64 v[212:213], -v[206:207], v[208:209], 1.0
	v_fmac_f64_e32 v[208:209], v[208:209], v[212:213]
	v_div_scale_f64 v[212:213], vcc, 1.0, v[204:205], 1.0
	v_mul_f64 v[214:215], v[212:213], v[208:209]
	v_fma_f64 v[206:207], -v[206:207], v[214:215], v[212:213]
	s_nop 1
	v_div_fmas_f64 v[206:207], v[206:207], v[208:209], v[214:215]
	v_div_fixup_f64 v[208:209], v[206:207], v[204:205], 1.0
	v_mul_f64 v[210:211], v[210:211], -v[208:209]
.LBB55_214:
	s_or_b64 exec, exec, s[2:3]
	ds_write2_b64 v255, v[208:209], v[210:211] offset1:1
.LBB55_215:
	s_or_b64 exec, exec, s[4:5]
	s_waitcnt lgkmcnt(0)
	s_barrier
	ds_read2_b64 v[204:207], v255 offset1:1
	v_cmp_lt_u32_e32 vcc, 23, v254
	s_and_saveexec_b64 s[2:3], vcc
	s_cbranch_execz .LBB55_217
; %bb.216:
	ds_read2_b64 v[208:211], v226 offset0:48 offset1:49
	s_waitcnt vmcnt(7) lgkmcnt(1)
	v_mul_f64 v[212:213], v[204:205], v[14:15]
	v_fmac_f64_e32 v[212:213], v[206:207], v[12:13]
	v_mul_f64 v[14:15], v[206:207], v[14:15]
	v_fma_f64 v[12:13], v[204:205], v[12:13], -v[14:15]
	s_waitcnt lgkmcnt(0)
	v_mul_f64 v[14:15], v[210:211], v[212:213]
	v_fma_f64 v[14:15], v[208:209], v[12:13], -v[14:15]
	v_mul_f64 v[208:209], v[208:209], v[212:213]
	v_fmac_f64_e32 v[208:209], v[210:211], v[12:13]
	s_waitcnt vmcnt(6)
	v_add_f64 v[10:11], v[10:11], -v[208:209]
	ds_read2_b64 v[208:211], v226 offset0:50 offset1:51
	v_add_f64 v[8:9], v[8:9], -v[14:15]
	s_waitcnt lgkmcnt(0)
	v_mul_f64 v[14:15], v[210:211], v[212:213]
	v_fma_f64 v[14:15], v[208:209], v[12:13], -v[14:15]
	v_mul_f64 v[208:209], v[208:209], v[212:213]
	v_fmac_f64_e32 v[208:209], v[210:211], v[12:13]
	s_waitcnt vmcnt(5)
	v_add_f64 v[6:7], v[6:7], -v[208:209]
	ds_read2_b64 v[208:211], v226 offset0:52 offset1:53
	v_add_f64 v[4:5], v[4:5], -v[14:15]
	s_waitcnt lgkmcnt(0)
	v_mul_f64 v[14:15], v[210:211], v[212:213]
	v_fma_f64 v[14:15], v[208:209], v[12:13], -v[14:15]
	v_mul_f64 v[208:209], v[208:209], v[212:213]
	v_fmac_f64_e32 v[208:209], v[210:211], v[12:13]
	v_add_f64 v[2:3], v[2:3], -v[208:209]
	ds_read2_b64 v[208:211], v226 offset0:54 offset1:55
	v_add_f64 v[0:1], v[0:1], -v[14:15]
	s_waitcnt lgkmcnt(0)
	v_mul_f64 v[14:15], v[210:211], v[212:213]
	v_fma_f64 v[14:15], v[208:209], v[12:13], -v[14:15]
	v_mul_f64 v[208:209], v[208:209], v[212:213]
	v_fmac_f64_e32 v[208:209], v[210:211], v[12:13]
	s_waitcnt vmcnt(4)
	v_add_f64 v[108:109], v[108:109], -v[14:15]
	v_add_f64 v[110:111], v[110:111], -v[208:209]
	v_mov_b64_e32 v[14:15], v[212:213]
.LBB55_217:
	s_or_b64 exec, exec, s[2:3]
	v_cmp_eq_u32_e32 vcc, 24, v254
	s_waitcnt lgkmcnt(0)
	s_barrier
	s_and_saveexec_b64 s[4:5], vcc
	s_cbranch_execz .LBB55_224
; %bb.218:
	s_waitcnt vmcnt(6)
	ds_write2_b64 v255, v[8:9], v[10:11] offset1:1
	s_waitcnt vmcnt(5)
	ds_write2_b64 v226, v[4:5], v[6:7] offset0:50 offset1:51
	ds_write2_b64 v226, v[0:1], v[2:3] offset0:52 offset1:53
	s_waitcnt vmcnt(4)
	ds_write2_b64 v226, v[108:109], v[110:111] offset0:54 offset1:55
	ds_read2_b64 v[208:211], v255 offset1:1
	s_waitcnt lgkmcnt(0)
	v_cmp_neq_f64_e32 vcc, 0, v[208:209]
	v_cmp_neq_f64_e64 s[2:3], 0, v[210:211]
	s_or_b64 s[2:3], vcc, s[2:3]
	s_and_b64 exec, exec, s[2:3]
	s_cbranch_execz .LBB55_224
; %bb.219:
	v_cmp_ngt_f64_e64 s[2:3], |v[208:209]|, |v[210:211]|
                                        ; implicit-def: $vgpr212_vgpr213
	s_and_saveexec_b64 s[10:11], s[2:3]
	s_xor_b64 s[2:3], exec, s[10:11]
                                        ; implicit-def: $vgpr214_vgpr215
	s_cbranch_execz .LBB55_221
; %bb.220:
	v_div_scale_f64 v[212:213], s[10:11], v[210:211], v[210:211], v[208:209]
	v_rcp_f64_e32 v[214:215], v[212:213]
	v_div_scale_f64 v[216:217], vcc, v[208:209], v[210:211], v[208:209]
	v_fma_f64 v[218:219], -v[212:213], v[214:215], 1.0
	v_fmac_f64_e32 v[214:215], v[214:215], v[218:219]
	v_fma_f64 v[218:219], -v[212:213], v[214:215], 1.0
	v_fmac_f64_e32 v[214:215], v[214:215], v[218:219]
	v_mul_f64 v[218:219], v[216:217], v[214:215]
	v_fma_f64 v[212:213], -v[212:213], v[218:219], v[216:217]
	v_div_fmas_f64 v[212:213], v[212:213], v[214:215], v[218:219]
	v_div_fixup_f64 v[212:213], v[212:213], v[210:211], v[208:209]
	v_fmac_f64_e32 v[210:211], v[208:209], v[212:213]
	v_div_scale_f64 v[208:209], s[10:11], v[210:211], v[210:211], 1.0
	v_rcp_f64_e32 v[214:215], v[208:209]
	s_nop 0
	v_fma_f64 v[216:217], -v[208:209], v[214:215], 1.0
	v_fmac_f64_e32 v[214:215], v[214:215], v[216:217]
	v_fma_f64 v[216:217], -v[208:209], v[214:215], 1.0
	v_fmac_f64_e32 v[214:215], v[214:215], v[216:217]
	v_div_scale_f64 v[216:217], vcc, 1.0, v[210:211], 1.0
	v_mul_f64 v[218:219], v[216:217], v[214:215]
	v_fma_f64 v[208:209], -v[208:209], v[218:219], v[216:217]
	s_nop 1
	v_div_fmas_f64 v[208:209], v[208:209], v[214:215], v[218:219]
	v_div_fixup_f64 v[214:215], v[208:209], v[210:211], 1.0
	v_mul_f64 v[212:213], v[212:213], v[214:215]
	v_xor_b32_e32 v215, 0x80000000, v215
                                        ; implicit-def: $vgpr208_vgpr209
.LBB55_221:
	s_andn2_saveexec_b64 s[2:3], s[2:3]
	s_cbranch_execz .LBB55_223
; %bb.222:
	v_div_scale_f64 v[212:213], s[10:11], v[208:209], v[208:209], v[210:211]
	v_rcp_f64_e32 v[214:215], v[212:213]
	v_div_scale_f64 v[216:217], vcc, v[210:211], v[208:209], v[210:211]
	v_fma_f64 v[218:219], -v[212:213], v[214:215], 1.0
	v_fmac_f64_e32 v[214:215], v[214:215], v[218:219]
	v_fma_f64 v[218:219], -v[212:213], v[214:215], 1.0
	v_fmac_f64_e32 v[214:215], v[214:215], v[218:219]
	v_mul_f64 v[218:219], v[216:217], v[214:215]
	v_fma_f64 v[212:213], -v[212:213], v[218:219], v[216:217]
	v_div_fmas_f64 v[212:213], v[212:213], v[214:215], v[218:219]
	v_div_fixup_f64 v[214:215], v[212:213], v[208:209], v[210:211]
	v_fmac_f64_e32 v[208:209], v[210:211], v[214:215]
	v_div_scale_f64 v[210:211], s[10:11], v[208:209], v[208:209], 1.0
	v_rcp_f64_e32 v[212:213], v[210:211]
	s_nop 0
	v_fma_f64 v[216:217], -v[210:211], v[212:213], 1.0
	v_fmac_f64_e32 v[212:213], v[212:213], v[216:217]
	v_fma_f64 v[216:217], -v[210:211], v[212:213], 1.0
	v_fmac_f64_e32 v[212:213], v[212:213], v[216:217]
	v_div_scale_f64 v[216:217], vcc, 1.0, v[208:209], 1.0
	v_mul_f64 v[218:219], v[216:217], v[212:213]
	v_fma_f64 v[210:211], -v[210:211], v[218:219], v[216:217]
	s_nop 1
	v_div_fmas_f64 v[210:211], v[210:211], v[212:213], v[218:219]
	v_div_fixup_f64 v[212:213], v[210:211], v[208:209], 1.0
	v_mul_f64 v[214:215], v[214:215], -v[212:213]
.LBB55_223:
	s_or_b64 exec, exec, s[2:3]
	ds_write2_b64 v255, v[212:213], v[214:215] offset1:1
.LBB55_224:
	s_or_b64 exec, exec, s[4:5]
	s_waitcnt lgkmcnt(0)
	s_barrier
	ds_read2_b64 v[208:211], v255 offset1:1
	v_cmp_lt_u32_e32 vcc, 24, v254
	s_and_saveexec_b64 s[2:3], vcc
	s_cbranch_execz .LBB55_226
; %bb.225:
	ds_read2_b64 v[212:215], v226 offset0:50 offset1:51
	s_waitcnt vmcnt(6) lgkmcnt(1)
	v_mul_f64 v[216:217], v[208:209], v[10:11]
	v_fmac_f64_e32 v[216:217], v[210:211], v[8:9]
	v_mul_f64 v[10:11], v[210:211], v[10:11]
	v_fma_f64 v[8:9], v[208:209], v[8:9], -v[10:11]
	s_waitcnt lgkmcnt(0)
	v_mul_f64 v[10:11], v[214:215], v[216:217]
	v_fma_f64 v[10:11], v[212:213], v[8:9], -v[10:11]
	v_mul_f64 v[212:213], v[212:213], v[216:217]
	v_fmac_f64_e32 v[212:213], v[214:215], v[8:9]
	s_waitcnt vmcnt(5)
	v_add_f64 v[6:7], v[6:7], -v[212:213]
	ds_read2_b64 v[212:215], v226 offset0:52 offset1:53
	v_add_f64 v[4:5], v[4:5], -v[10:11]
	s_waitcnt lgkmcnt(0)
	v_mul_f64 v[10:11], v[214:215], v[216:217]
	v_fma_f64 v[10:11], v[212:213], v[8:9], -v[10:11]
	v_mul_f64 v[212:213], v[212:213], v[216:217]
	v_fmac_f64_e32 v[212:213], v[214:215], v[8:9]
	v_add_f64 v[2:3], v[2:3], -v[212:213]
	ds_read2_b64 v[212:215], v226 offset0:54 offset1:55
	v_add_f64 v[0:1], v[0:1], -v[10:11]
	s_waitcnt lgkmcnt(0)
	v_mul_f64 v[10:11], v[214:215], v[216:217]
	v_fma_f64 v[10:11], v[212:213], v[8:9], -v[10:11]
	v_mul_f64 v[212:213], v[212:213], v[216:217]
	v_fmac_f64_e32 v[212:213], v[214:215], v[8:9]
	s_waitcnt vmcnt(4)
	v_add_f64 v[108:109], v[108:109], -v[10:11]
	v_add_f64 v[110:111], v[110:111], -v[212:213]
	v_mov_b64_e32 v[10:11], v[216:217]
.LBB55_226:
	s_or_b64 exec, exec, s[2:3]
	v_cmp_eq_u32_e32 vcc, 25, v254
	s_waitcnt lgkmcnt(0)
	s_barrier
	s_and_saveexec_b64 s[4:5], vcc
	s_cbranch_execz .LBB55_233
; %bb.227:
	s_waitcnt vmcnt(5)
	ds_write2_b64 v255, v[4:5], v[6:7] offset1:1
	ds_write2_b64 v226, v[0:1], v[2:3] offset0:52 offset1:53
	s_waitcnt vmcnt(4)
	ds_write2_b64 v226, v[108:109], v[110:111] offset0:54 offset1:55
	ds_read2_b64 v[212:215], v255 offset1:1
	s_waitcnt lgkmcnt(0)
	v_cmp_neq_f64_e32 vcc, 0, v[212:213]
	v_cmp_neq_f64_e64 s[2:3], 0, v[214:215]
	s_or_b64 s[2:3], vcc, s[2:3]
	s_and_b64 exec, exec, s[2:3]
	s_cbranch_execz .LBB55_233
; %bb.228:
	v_cmp_ngt_f64_e64 s[2:3], |v[212:213]|, |v[214:215]|
                                        ; implicit-def: $vgpr216_vgpr217
	s_and_saveexec_b64 s[10:11], s[2:3]
	s_xor_b64 s[2:3], exec, s[10:11]
                                        ; implicit-def: $vgpr218_vgpr219
	s_cbranch_execz .LBB55_230
; %bb.229:
	v_div_scale_f64 v[216:217], s[10:11], v[214:215], v[214:215], v[212:213]
	v_rcp_f64_e32 v[218:219], v[216:217]
	v_div_scale_f64 v[220:221], vcc, v[212:213], v[214:215], v[212:213]
	v_fma_f64 v[222:223], -v[216:217], v[218:219], 1.0
	v_fmac_f64_e32 v[218:219], v[218:219], v[222:223]
	v_fma_f64 v[222:223], -v[216:217], v[218:219], 1.0
	v_fmac_f64_e32 v[218:219], v[218:219], v[222:223]
	v_mul_f64 v[222:223], v[220:221], v[218:219]
	v_fma_f64 v[216:217], -v[216:217], v[222:223], v[220:221]
	v_div_fmas_f64 v[216:217], v[216:217], v[218:219], v[222:223]
	v_div_fixup_f64 v[216:217], v[216:217], v[214:215], v[212:213]
	v_fmac_f64_e32 v[214:215], v[212:213], v[216:217]
	v_div_scale_f64 v[212:213], s[10:11], v[214:215], v[214:215], 1.0
	v_rcp_f64_e32 v[218:219], v[212:213]
	s_nop 0
	v_fma_f64 v[220:221], -v[212:213], v[218:219], 1.0
	v_fmac_f64_e32 v[218:219], v[218:219], v[220:221]
	v_fma_f64 v[220:221], -v[212:213], v[218:219], 1.0
	v_fmac_f64_e32 v[218:219], v[218:219], v[220:221]
	v_div_scale_f64 v[220:221], vcc, 1.0, v[214:215], 1.0
	v_mul_f64 v[222:223], v[220:221], v[218:219]
	v_fma_f64 v[212:213], -v[212:213], v[222:223], v[220:221]
	s_nop 1
	v_div_fmas_f64 v[212:213], v[212:213], v[218:219], v[222:223]
	v_div_fixup_f64 v[218:219], v[212:213], v[214:215], 1.0
	v_mul_f64 v[216:217], v[216:217], v[218:219]
	v_xor_b32_e32 v219, 0x80000000, v219
                                        ; implicit-def: $vgpr212_vgpr213
.LBB55_230:
	s_andn2_saveexec_b64 s[2:3], s[2:3]
	s_cbranch_execz .LBB55_232
; %bb.231:
	v_div_scale_f64 v[216:217], s[10:11], v[212:213], v[212:213], v[214:215]
	v_rcp_f64_e32 v[218:219], v[216:217]
	v_div_scale_f64 v[220:221], vcc, v[214:215], v[212:213], v[214:215]
	v_fma_f64 v[222:223], -v[216:217], v[218:219], 1.0
	v_fmac_f64_e32 v[218:219], v[218:219], v[222:223]
	v_fma_f64 v[222:223], -v[216:217], v[218:219], 1.0
	v_fmac_f64_e32 v[218:219], v[218:219], v[222:223]
	v_mul_f64 v[222:223], v[220:221], v[218:219]
	v_fma_f64 v[216:217], -v[216:217], v[222:223], v[220:221]
	v_div_fmas_f64 v[216:217], v[216:217], v[218:219], v[222:223]
	v_div_fixup_f64 v[218:219], v[216:217], v[212:213], v[214:215]
	v_fmac_f64_e32 v[212:213], v[214:215], v[218:219]
	v_div_scale_f64 v[214:215], s[10:11], v[212:213], v[212:213], 1.0
	v_rcp_f64_e32 v[216:217], v[214:215]
	s_nop 0
	v_fma_f64 v[220:221], -v[214:215], v[216:217], 1.0
	v_fmac_f64_e32 v[216:217], v[216:217], v[220:221]
	v_fma_f64 v[220:221], -v[214:215], v[216:217], 1.0
	v_fmac_f64_e32 v[216:217], v[216:217], v[220:221]
	v_div_scale_f64 v[220:221], vcc, 1.0, v[212:213], 1.0
	v_mul_f64 v[222:223], v[220:221], v[216:217]
	v_fma_f64 v[214:215], -v[214:215], v[222:223], v[220:221]
	s_nop 1
	v_div_fmas_f64 v[214:215], v[214:215], v[216:217], v[222:223]
	v_div_fixup_f64 v[216:217], v[214:215], v[212:213], 1.0
	v_mul_f64 v[218:219], v[218:219], -v[216:217]
.LBB55_232:
	s_or_b64 exec, exec, s[2:3]
	ds_write2_b64 v255, v[216:217], v[218:219] offset1:1
.LBB55_233:
	s_or_b64 exec, exec, s[4:5]
	s_waitcnt lgkmcnt(0)
	s_barrier
	ds_read2_b64 v[212:215], v255 offset1:1
	v_cmp_lt_u32_e32 vcc, 25, v254
	s_and_saveexec_b64 s[2:3], vcc
	s_cbranch_execz .LBB55_235
; %bb.234:
	ds_read2_b64 v[216:219], v226 offset0:52 offset1:53
	s_waitcnt vmcnt(5) lgkmcnt(1)
	v_mul_f64 v[220:221], v[212:213], v[6:7]
	v_fmac_f64_e32 v[220:221], v[214:215], v[4:5]
	v_mul_f64 v[6:7], v[214:215], v[6:7]
	v_fma_f64 v[4:5], v[212:213], v[4:5], -v[6:7]
	s_waitcnt lgkmcnt(0)
	v_mul_f64 v[6:7], v[218:219], v[220:221]
	v_fma_f64 v[6:7], v[216:217], v[4:5], -v[6:7]
	v_mul_f64 v[216:217], v[216:217], v[220:221]
	v_fmac_f64_e32 v[216:217], v[218:219], v[4:5]
	v_add_f64 v[2:3], v[2:3], -v[216:217]
	ds_read2_b64 v[216:219], v226 offset0:54 offset1:55
	v_add_f64 v[0:1], v[0:1], -v[6:7]
	s_waitcnt lgkmcnt(0)
	v_mul_f64 v[6:7], v[218:219], v[220:221]
	v_fma_f64 v[6:7], v[216:217], v[4:5], -v[6:7]
	v_mul_f64 v[216:217], v[216:217], v[220:221]
	v_fmac_f64_e32 v[216:217], v[218:219], v[4:5]
	s_waitcnt vmcnt(4)
	v_add_f64 v[108:109], v[108:109], -v[6:7]
	v_add_f64 v[110:111], v[110:111], -v[216:217]
	v_mov_b64_e32 v[6:7], v[220:221]
.LBB55_235:
	s_or_b64 exec, exec, s[2:3]
	v_cmp_eq_u32_e32 vcc, 26, v254
	s_waitcnt lgkmcnt(0)
	s_barrier
	s_and_saveexec_b64 s[4:5], vcc
	s_cbranch_execz .LBB55_242
; %bb.236:
	s_waitcnt vmcnt(19)
	ds_write2_b64 v255, v[0:1], v[2:3] offset1:1
	s_waitcnt vmcnt(4)
	ds_write2_b64 v226, v[108:109], v[110:111] offset0:54 offset1:55
	ds_read2_b64 v[216:219], v255 offset1:1
	s_waitcnt lgkmcnt(0)
	v_cmp_neq_f64_e32 vcc, 0, v[216:217]
	v_cmp_neq_f64_e64 s[2:3], 0, v[218:219]
	s_or_b64 s[2:3], vcc, s[2:3]
	s_and_b64 exec, exec, s[2:3]
	s_cbranch_execz .LBB55_242
; %bb.237:
	v_cmp_ngt_f64_e64 s[2:3], |v[216:217]|, |v[218:219]|
                                        ; implicit-def: $vgpr220_vgpr221
	s_and_saveexec_b64 s[10:11], s[2:3]
	s_xor_b64 s[2:3], exec, s[10:11]
                                        ; implicit-def: $vgpr222_vgpr223
	s_cbranch_execz .LBB55_239
; %bb.238:
	v_mov_b64_e32 v[234:235], v[58:59]
	v_mov_b64_e32 v[232:233], v[56:57]
	v_mov_b64_e32 v[56:57], v[204:205]
	v_mov_b64_e32 v[58:59], v[206:207]
	v_mov_b64_e32 v[206:207], v[62:63]
	v_mov_b64_e32 v[204:205], v[60:61]
	v_mov_b64_e32 v[60:61], v[64:65]
	v_mov_b64_e32 v[62:63], v[66:67]
	v_mov_b64_e32 v[64:65], v[200:201]
	v_mov_b64_e32 v[66:67], v[202:203]
	v_mov_b64_e32 v[202:203], v[70:71]
	v_mov_b64_e32 v[200:201], v[68:69]
	v_mov_b64_e32 v[68:69], v[72:73]
	v_mov_b64_e32 v[70:71], v[74:75]
	v_mov_b64_e32 v[72:73], v[76:77]
	v_mov_b64_e32 v[74:75], v[78:79]
	v_mov_b64_e32 v[76:77], v[80:81]
	v_mov_b64_e32 v[78:79], v[82:83]
	v_mov_b64_e32 v[80:81], v[84:85]
	v_mov_b64_e32 v[82:83], v[86:87]
	v_mov_b64_e32 v[84:85], v[88:89]
	v_mov_b64_e32 v[86:87], v[90:91]
	v_mov_b64_e32 v[88:89], v[92:93]
	v_mov_b64_e32 v[90:91], v[94:95]
	v_mov_b64_e32 v[92:93], v[196:197]
	v_mov_b64_e32 v[94:95], v[198:199]
	v_mov_b64_e32 v[198:199], v[98:99]
	v_mov_b64_e32 v[196:197], v[96:97]
	v_mov_b64_e32 v[96:97], v[100:101]
	v_mov_b64_e32 v[98:99], v[102:103]
	v_mov_b64_e32 v[100:101], v[104:105]
	v_mov_b64_e32 v[102:103], v[106:107]
	v_mov_b64_e32 v[104:105], v[192:193]
	v_mov_b64_e32 v[106:107], v[194:195]
	v_mov_b64_e32 v[194:195], v[190:191]
	v_mov_b64_e32 v[192:193], v[188:189]
	v_mov_b64_e32 v[190:191], v[186:187]
	v_mov_b64_e32 v[188:189], v[184:185]
	v_mov_b64_e32 v[186:187], v[182:183]
	v_mov_b64_e32 v[184:185], v[180:181]
	v_mov_b64_e32 v[182:183], v[178:179]
	v_mov_b64_e32 v[180:181], v[176:177]
	v_mov_b64_e32 v[178:179], v[174:175]
	v_mov_b64_e32 v[176:177], v[172:173]
	v_mov_b64_e32 v[174:175], v[170:171]
	v_mov_b64_e32 v[172:173], v[168:169]
	v_mov_b64_e32 v[170:171], v[166:167]
	v_mov_b64_e32 v[168:169], v[164:165]
	v_mov_b64_e32 v[166:167], v[162:163]
	v_mov_b64_e32 v[164:165], v[160:161]
	v_mov_b64_e32 v[162:163], v[158:159]
	v_mov_b64_e32 v[160:161], v[156:157]
	v_mov_b64_e32 v[158:159], v[154:155]
	v_mov_b64_e32 v[156:157], v[152:153]
	v_mov_b64_e32 v[154:155], v[150:151]
	v_mov_b64_e32 v[152:153], v[148:149]
	v_mov_b64_e32 v[150:151], v[146:147]
	v_mov_b64_e32 v[148:149], v[144:145]
	v_mov_b64_e32 v[146:147], v[142:143]
	v_mov_b64_e32 v[144:145], v[140:141]
	v_mov_b64_e32 v[142:143], v[138:139]
	v_mov_b64_e32 v[140:141], v[136:137]
	v_mov_b64_e32 v[138:139], v[134:135]
	v_div_scale_f64 v[220:221], s[10:11], v[218:219], v[218:219], v[216:217]
	v_mov_b64_e32 v[136:137], v[132:133]
	v_mov_b64_e32 v[134:135], v[130:131]
	v_rcp_f64_e32 v[222:223], v[220:221]
	v_mov_b64_e32 v[132:133], v[128:129]
	v_mov_b64_e32 v[130:131], v[126:127]
	;; [unrolled: 1-line block ×10, first 2 shown]
	v_fma_f64 v[230:231], -v[220:221], v[222:223], 1.0
	v_fmac_f64_e32 v[222:223], v[222:223], v[230:231]
	v_fma_f64 v[230:231], -v[220:221], v[222:223], 1.0
	v_mov_b64_e32 v[112:113], v[228:229]
	v_div_scale_f64 v[228:229], vcc, v[216:217], v[218:219], v[216:217]
	v_fmac_f64_e32 v[222:223], v[222:223], v[230:231]
	v_mul_f64 v[230:231], v[228:229], v[222:223]
	v_fma_f64 v[220:221], -v[220:221], v[230:231], v[228:229]
	s_nop 0
	v_div_fmas_f64 v[220:221], v[220:221], v[222:223], v[230:231]
	v_div_fixup_f64 v[220:221], v[220:221], v[218:219], v[216:217]
	v_fmac_f64_e32 v[218:219], v[216:217], v[220:221]
	v_div_scale_f64 v[216:217], s[10:11], v[218:219], v[218:219], 1.0
	v_rcp_f64_e32 v[222:223], v[216:217]
	s_nop 0
	v_fma_f64 v[228:229], -v[216:217], v[222:223], 1.0
	v_fmac_f64_e32 v[222:223], v[222:223], v[228:229]
	v_fma_f64 v[228:229], -v[216:217], v[222:223], 1.0
	v_fmac_f64_e32 v[222:223], v[222:223], v[228:229]
	v_div_scale_f64 v[228:229], vcc, 1.0, v[218:219], 1.0
	v_mul_f64 v[230:231], v[228:229], v[222:223]
	v_fma_f64 v[216:217], -v[216:217], v[230:231], v[228:229]
	v_mov_b64_e32 v[228:229], v[112:113]
	s_nop 0
	v_div_fmas_f64 v[216:217], v[216:217], v[222:223], v[230:231]
	v_mov_b64_e32 v[230:231], v[114:115]
	v_mov_b64_e32 v[112:113], v[116:117]
	;; [unrolled: 1-line block ×74, first 2 shown]
	v_div_fixup_f64 v[222:223], v[216:217], v[218:219], 1.0
	v_mov_b64_e32 v[58:59], v[234:235]
	v_mul_f64 v[220:221], v[220:221], v[222:223]
	v_xor_b32_e32 v223, 0x80000000, v223
                                        ; implicit-def: $vgpr216_vgpr217
.LBB55_239:
	s_andn2_saveexec_b64 s[2:3], s[2:3]
	s_cbranch_execz .LBB55_241
; %bb.240:
	v_mov_b64_e32 v[234:235], v[58:59]
	v_mov_b64_e32 v[232:233], v[56:57]
	;; [unrolled: 1-line block ×63, first 2 shown]
	v_div_scale_f64 v[220:221], s[10:11], v[216:217], v[216:217], v[218:219]
	v_mov_b64_e32 v[136:137], v[132:133]
	v_mov_b64_e32 v[134:135], v[130:131]
	v_rcp_f64_e32 v[222:223], v[220:221]
	v_mov_b64_e32 v[132:133], v[128:129]
	v_mov_b64_e32 v[130:131], v[126:127]
	;; [unrolled: 1-line block ×10, first 2 shown]
	v_fma_f64 v[230:231], -v[220:221], v[222:223], 1.0
	v_fmac_f64_e32 v[222:223], v[222:223], v[230:231]
	v_fma_f64 v[230:231], -v[220:221], v[222:223], 1.0
	v_mov_b64_e32 v[112:113], v[228:229]
	v_div_scale_f64 v[228:229], vcc, v[218:219], v[216:217], v[218:219]
	v_fmac_f64_e32 v[222:223], v[222:223], v[230:231]
	v_mul_f64 v[230:231], v[228:229], v[222:223]
	v_fma_f64 v[220:221], -v[220:221], v[230:231], v[228:229]
	s_nop 0
	v_div_fmas_f64 v[220:221], v[220:221], v[222:223], v[230:231]
	v_div_fixup_f64 v[222:223], v[220:221], v[216:217], v[218:219]
	v_fmac_f64_e32 v[216:217], v[218:219], v[222:223]
	v_div_scale_f64 v[218:219], s[10:11], v[216:217], v[216:217], 1.0
	v_rcp_f64_e32 v[220:221], v[218:219]
	s_nop 0
	v_fma_f64 v[228:229], -v[218:219], v[220:221], 1.0
	v_fmac_f64_e32 v[220:221], v[220:221], v[228:229]
	v_fma_f64 v[228:229], -v[218:219], v[220:221], 1.0
	v_fmac_f64_e32 v[220:221], v[220:221], v[228:229]
	v_div_scale_f64 v[228:229], vcc, 1.0, v[216:217], 1.0
	v_mul_f64 v[230:231], v[228:229], v[220:221]
	v_fma_f64 v[218:219], -v[218:219], v[230:231], v[228:229]
	v_mov_b64_e32 v[228:229], v[112:113]
	s_nop 0
	v_div_fmas_f64 v[218:219], v[218:219], v[220:221], v[230:231]
	v_mov_b64_e32 v[230:231], v[114:115]
	v_mov_b64_e32 v[112:113], v[116:117]
	;; [unrolled: 1-line block ×74, first 2 shown]
	v_div_fixup_f64 v[220:221], v[218:219], v[216:217], 1.0
	v_mov_b64_e32 v[58:59], v[234:235]
	v_mul_f64 v[222:223], v[222:223], -v[220:221]
.LBB55_241:
	s_or_b64 exec, exec, s[2:3]
	ds_write2_b64 v255, v[220:221], v[222:223] offset1:1
.LBB55_242:
	s_or_b64 exec, exec, s[4:5]
	s_waitcnt lgkmcnt(0)
	s_barrier
	ds_read2_b64 v[216:219], v255 offset1:1
	v_cmp_lt_u32_e32 vcc, 26, v254
	s_and_saveexec_b64 s[2:3], vcc
	s_cbranch_execz .LBB55_244
; %bb.243:
	ds_read2_b64 v[220:223], v226 offset0:54 offset1:55
	s_waitcnt vmcnt(19) lgkmcnt(1)
	v_mul_f64 v[226:227], v[216:217], v[2:3]
	v_mul_f64 v[2:3], v[218:219], v[2:3]
	v_fmac_f64_e32 v[226:227], v[218:219], v[0:1]
	v_fma_f64 v[0:1], v[216:217], v[0:1], -v[2:3]
	s_waitcnt lgkmcnt(0)
	v_mul_f64 v[2:3], v[222:223], v[226:227]
	v_fma_f64 v[2:3], v[220:221], v[0:1], -v[2:3]
	v_mul_f64 v[220:221], v[220:221], v[226:227]
	v_fmac_f64_e32 v[220:221], v[222:223], v[0:1]
	s_waitcnt vmcnt(4)
	v_add_f64 v[108:109], v[108:109], -v[2:3]
	v_add_f64 v[110:111], v[110:111], -v[220:221]
	v_mov_b64_e32 v[2:3], v[226:227]
.LBB55_244:
	s_or_b64 exec, exec, s[2:3]
	v_cmp_eq_u32_e32 vcc, 27, v254
	s_waitcnt lgkmcnt(0)
	s_barrier
	s_and_saveexec_b64 s[4:5], vcc
	s_cbranch_execz .LBB55_251
; %bb.245:
	s_waitcnt vmcnt(4)
	v_cmp_neq_f64_e32 vcc, 0, v[108:109]
	v_cmp_neq_f64_e64 s[2:3], 0, v[110:111]
	s_or_b64 s[2:3], vcc, s[2:3]
	ds_write2_b64 v255, v[108:109], v[110:111] offset1:1
	s_and_b64 exec, exec, s[2:3]
	s_cbranch_execz .LBB55_251
; %bb.246:
	v_cmp_ngt_f64_e64 s[2:3], |v[108:109]|, |v[110:111]|
                                        ; implicit-def: $vgpr220_vgpr221
	s_mov_b64 s[10:11], exec
	s_and_b64 s[12:13], s[10:11], s[2:3]
	s_xor_b64 s[2:3], s[12:13], s[10:11]
                                        ; implicit-def: $vgpr222_vgpr223
	scratch_store_dwordx4 off, v[60:63], off offset:136 ; 16-byte Folded Spill
	scratch_store_dwordx4 off, v[56:59], off offset:152 ; 16-byte Folded Spill
	s_mov_b64 exec, s[12:13]
	s_cbranch_execz .LBB55_248
; %bb.247:
	v_mov_b64_e32 v[60:61], v[64:65]
	v_mov_b64_e32 v[62:63], v[66:67]
	v_mov_b64_e32 v[64:65], v[200:201]
	v_mov_b64_e32 v[56:57], v[204:205]
	v_mov_b64_e32 v[66:67], v[202:203]
	v_mov_b64_e32 v[58:59], v[206:207]
	v_mov_b64_e32 v[204:205], v[70:71]
	v_mov_b64_e32 v[202:203], v[68:69]
	v_mov_b64_e32 v[68:69], v[72:73]
	v_mov_b64_e32 v[70:71], v[74:75]
	v_mov_b64_e32 v[72:73], v[76:77]
	v_mov_b64_e32 v[74:75], v[78:79]
	v_mov_b64_e32 v[76:77], v[80:81]
	v_mov_b64_e32 v[78:79], v[82:83]
	v_mov_b64_e32 v[80:81], v[84:85]
	v_mov_b64_e32 v[82:83], v[86:87]
	v_mov_b64_e32 v[84:85], v[88:89]
	v_mov_b64_e32 v[86:87], v[90:91]
	v_mov_b64_e32 v[88:89], v[92:93]
	v_mov_b64_e32 v[90:91], v[94:95]
	v_mov_b64_e32 v[92:93], v[196:197]
	v_mov_b64_e32 v[94:95], v[198:199]
	v_mov_b64_e32 v[200:201], v[98:99]
	v_mov_b64_e32 v[198:199], v[96:97]
	v_mov_b64_e32 v[96:97], v[100:101]
	v_mov_b64_e32 v[98:99], v[102:103]
	v_mov_b64_e32 v[100:101], v[104:105]
	v_mov_b64_e32 v[102:103], v[106:107]
	v_mov_b64_e32 v[104:105], v[192:193]
	v_mov_b64_e32 v[106:107], v[194:195]
	v_mov_b64_e32 v[196:197], v[190:191]
	v_mov_b64_e32 v[194:195], v[188:189]
	v_mov_b64_e32 v[192:193], v[186:187]
	v_mov_b64_e32 v[190:191], v[184:185]
	v_mov_b64_e32 v[188:189], v[182:183]
	v_mov_b64_e32 v[186:187], v[180:181]
	v_mov_b64_e32 v[184:185], v[178:179]
	v_mov_b64_e32 v[182:183], v[176:177]
	v_mov_b64_e32 v[180:181], v[174:175]
	v_mov_b64_e32 v[178:179], v[172:173]
	v_mov_b64_e32 v[176:177], v[170:171]
	v_mov_b64_e32 v[174:175], v[168:169]
	v_mov_b64_e32 v[172:173], v[166:167]
	v_mov_b64_e32 v[170:171], v[164:165]
	v_mov_b64_e32 v[168:169], v[162:163]
	v_mov_b64_e32 v[166:167], v[160:161]
	v_mov_b64_e32 v[164:165], v[158:159]
	v_mov_b64_e32 v[162:163], v[156:157]
	v_mov_b64_e32 v[160:161], v[154:155]
	v_mov_b64_e32 v[158:159], v[152:153]
	v_mov_b64_e32 v[156:157], v[150:151]
	v_mov_b64_e32 v[154:155], v[148:149]
	v_mov_b64_e32 v[152:153], v[146:147]
	v_mov_b64_e32 v[150:151], v[144:145]
	v_mov_b64_e32 v[148:149], v[142:143]
	v_mov_b64_e32 v[146:147], v[140:141]
	v_mov_b64_e32 v[144:145], v[138:139]
	v_mov_b64_e32 v[142:143], v[136:137]
	v_mov_b64_e32 v[140:141], v[134:135]
	v_div_scale_f64 v[220:221], s[10:11], v[110:111], v[110:111], v[108:109]
	v_mov_b64_e32 v[138:139], v[132:133]
	v_mov_b64_e32 v[136:137], v[130:131]
	v_rcp_f64_e32 v[222:223], v[220:221]
	v_mov_b64_e32 v[134:135], v[128:129]
	v_mov_b64_e32 v[132:133], v[126:127]
	;; [unrolled: 1-line block ×10, first 2 shown]
	v_fma_f64 v[228:229], -v[220:221], v[222:223], 1.0
	v_fmac_f64_e32 v[222:223], v[222:223], v[228:229]
	v_fma_f64 v[228:229], -v[220:221], v[222:223], 1.0
	v_div_scale_f64 v[226:227], vcc, v[108:109], v[110:111], v[108:109]
	v_fmac_f64_e32 v[222:223], v[222:223], v[228:229]
	v_mul_f64 v[228:229], v[226:227], v[222:223]
	v_fma_f64 v[220:221], -v[220:221], v[228:229], v[226:227]
	s_nop 0
	v_div_fmas_f64 v[220:221], v[220:221], v[222:223], v[228:229]
	v_div_fixup_f64 v[220:221], v[220:221], v[110:111], v[108:109]
	v_fma_f64 v[222:223], v[108:109], v[220:221], v[110:111]
	v_div_scale_f64 v[226:227], s[10:11], v[222:223], v[222:223], 1.0
	v_rcp_f64_e32 v[228:229], v[226:227]
	v_mov_b64_e32 v[116:117], v[230:231]
	v_mov_b64_e32 v[112:113], v[224:225]
	;; [unrolled: 1-line block ×3, first 2 shown]
	v_fma_f64 v[230:231], -v[226:227], v[228:229], 1.0
	v_fmac_f64_e32 v[228:229], v[228:229], v[230:231]
	v_fma_f64 v[230:231], -v[226:227], v[228:229], 1.0
	v_fmac_f64_e32 v[228:229], v[228:229], v[230:231]
	v_div_scale_f64 v[230:231], vcc, 1.0, v[222:223], 1.0
	v_mul_f64 v[232:233], v[230:231], v[228:229]
	v_mov_b64_e32 v[252:253], v[250:251]
	v_mov_b64_e32 v[250:251], v[248:249]
	;; [unrolled: 1-line block ×5, first 2 shown]
	v_fma_f64 v[226:227], -v[226:227], v[232:233], v[230:231]
	v_div_fmas_f64 v[226:227], v[226:227], v[228:229], v[232:233]
	v_mov_b64_e32 v[228:229], v[114:115]
	v_mov_b64_e32 v[240:241], v[242:243]
	;; [unrolled: 1-line block ×78, first 2 shown]
	scratch_load_dwordx4 v[56:59], off, off offset:152 ; 16-byte Folded Reload
	v_mov_b64_e32 v[64:65], v[60:61]
	scratch_load_dwordx4 v[60:63], off, off offset:136 ; 16-byte Folded Reload
	v_div_fixup_f64 v[222:223], v[226:227], v[222:223], 1.0
	v_mul_f64 v[220:221], v[220:221], v[222:223]
	v_xor_b32_e32 v223, 0x80000000, v223
.LBB55_248:
	s_andn2_saveexec_b64 s[2:3], s[2:3]
	s_cbranch_execz .LBB55_250
; %bb.249:
	s_waitcnt vmcnt(0)
	v_mov_b64_e32 v[60:61], v[64:65]
	v_mov_b64_e32 v[62:63], v[66:67]
	;; [unrolled: 1-line block ×59, first 2 shown]
	v_div_scale_f64 v[220:221], s[10:11], v[108:109], v[108:109], v[110:111]
	v_mov_b64_e32 v[138:139], v[132:133]
	v_mov_b64_e32 v[136:137], v[130:131]
	v_rcp_f64_e32 v[222:223], v[220:221]
	v_mov_b64_e32 v[134:135], v[128:129]
	v_mov_b64_e32 v[132:133], v[126:127]
	;; [unrolled: 1-line block ×10, first 2 shown]
	v_fma_f64 v[228:229], -v[220:221], v[222:223], 1.0
	v_fmac_f64_e32 v[222:223], v[222:223], v[228:229]
	v_fma_f64 v[228:229], -v[220:221], v[222:223], 1.0
	v_div_scale_f64 v[226:227], vcc, v[110:111], v[108:109], v[110:111]
	v_fmac_f64_e32 v[222:223], v[222:223], v[228:229]
	v_mul_f64 v[228:229], v[226:227], v[222:223]
	v_fma_f64 v[220:221], -v[220:221], v[228:229], v[226:227]
	s_nop 0
	v_div_fmas_f64 v[220:221], v[220:221], v[222:223], v[228:229]
	v_div_fixup_f64 v[222:223], v[220:221], v[108:109], v[110:111]
	v_fma_f64 v[220:221], v[110:111], v[222:223], v[108:109]
	v_div_scale_f64 v[226:227], s[10:11], v[220:221], v[220:221], 1.0
	v_rcp_f64_e32 v[228:229], v[226:227]
	v_mov_b64_e32 v[116:117], v[230:231]
	v_mov_b64_e32 v[112:113], v[224:225]
	v_mov_b64_e32 v[224:225], v[252:253]
	v_fma_f64 v[230:231], -v[226:227], v[228:229], 1.0
	v_fmac_f64_e32 v[228:229], v[228:229], v[230:231]
	v_fma_f64 v[230:231], -v[226:227], v[228:229], 1.0
	v_fmac_f64_e32 v[228:229], v[228:229], v[230:231]
	v_div_scale_f64 v[230:231], vcc, 1.0, v[220:221], 1.0
	v_mul_f64 v[232:233], v[230:231], v[228:229]
	v_mov_b64_e32 v[252:253], v[250:251]
	v_mov_b64_e32 v[250:251], v[248:249]
	;; [unrolled: 1-line block ×5, first 2 shown]
	v_fma_f64 v[226:227], -v[226:227], v[232:233], v[230:231]
	v_div_fmas_f64 v[226:227], v[226:227], v[228:229], v[232:233]
	v_mov_b64_e32 v[228:229], v[114:115]
	v_mov_b64_e32 v[240:241], v[242:243]
	;; [unrolled: 1-line block ×78, first 2 shown]
	scratch_load_dwordx4 v[56:59], off, off offset:152 ; 16-byte Folded Reload
	v_mov_b64_e32 v[64:65], v[60:61]
	scratch_load_dwordx4 v[60:63], off, off offset:136 ; 16-byte Folded Reload
	v_div_fixup_f64 v[220:221], v[226:227], v[220:221], 1.0
	v_mul_f64 v[222:223], v[222:223], -v[220:221]
.LBB55_250:
	s_or_b64 exec, exec, s[2:3]
	ds_write2_b64 v255, v[220:221], v[222:223] offset1:1
.LBB55_251:
	s_or_b64 exec, exec, s[4:5]
	s_waitcnt lgkmcnt(0)
	s_barrier
	ds_read2_b64 v[220:223], v255 offset1:1
	s_waitcnt lgkmcnt(0)
	s_barrier
	s_and_saveexec_b64 s[2:3], s[0:1]
	s_cbranch_execz .LBB55_254
; %bb.252:
	v_cmp_eq_f64_e32 vcc, 0, v[112:113]
	v_cmp_eq_f64_e64 s[0:1], 0, v[114:115]
	s_and_b64 s[4:5], vcc, s[0:1]
	v_cmp_neq_f64_e32 vcc, 0, v[116:117]
	v_cmp_neq_f64_e64 s[0:1], 0, v[118:119]
	s_or_b64 s[0:1], vcc, s[0:1]
	v_cndmask_b32_e64 v112, 0, 1, s[4:5]
	s_or_b64 vcc, s[0:1], s[4:5]
	v_cndmask_b32_e32 v112, 2, v112, vcc
	v_cmp_eq_f64_e32 vcc, 0, v[120:121]
	v_cmp_eq_f64_e64 s[0:1], 0, v[122:123]
	s_and_b64 s[0:1], vcc, s[0:1]
	v_cmp_eq_u32_e32 vcc, 0, v112
	s_and_b64 s[0:1], s[0:1], vcc
	v_cndmask_b32_e64 v112, v112, 3, s[0:1]
	v_cmp_eq_f64_e32 vcc, 0, v[124:125]
	v_cmp_eq_f64_e64 s[0:1], 0, v[126:127]
	s_and_b64 s[0:1], vcc, s[0:1]
	v_cmp_eq_u32_e32 vcc, 0, v112
	s_and_b64 s[0:1], s[0:1], vcc
	v_cndmask_b32_e64 v112, v112, 4, s[0:1]
	;; [unrolled: 6-line block ×12, first 2 shown]
	v_mov_b32_e32 v112, s6
	v_mov_b32_e32 v113, s7
	v_lshl_add_u64 v[112:113], v[244:245], 2, v[112:113]
	global_load_dword v115, v[112:113], off
	v_cmp_eq_f64_e32 vcc, 0, v[168:169]
	v_cmp_eq_f64_e64 s[0:1], 0, v[170:171]
	s_and_b64 s[0:1], vcc, s[0:1]
	v_cmp_eq_u32_e32 vcc, 0, v114
	s_and_b64 s[0:1], s[0:1], vcc
	v_cndmask_b32_e64 v114, v114, 15, s[0:1]
	v_cmp_eq_f64_e32 vcc, 0, v[172:173]
	v_cmp_eq_f64_e64 s[0:1], 0, v[174:175]
	s_and_b64 s[0:1], vcc, s[0:1]
	v_cmp_eq_u32_e32 vcc, 0, v114
	s_and_b64 s[0:1], s[0:1], vcc
	v_cndmask_b32_e64 v114, v114, 16, s[0:1]
	;; [unrolled: 6-line block ×14, first 2 shown]
	s_waitcnt vmcnt(0)
	v_cmp_eq_u32_e32 vcc, 0, v115
	v_cmp_ne_u32_e64 s[0:1], 0, v114
	s_and_b64 s[0:1], vcc, s[0:1]
	s_and_b64 exec, exec, s[0:1]
	s_cbranch_execz .LBB55_254
; %bb.253:
	v_add_u32_e32 v114, s9, v114
	global_store_dword v[112:113], v114, off
.LBB55_254:
	s_or_b64 exec, exec, s[2:3]
	s_waitcnt vmcnt(41)
	global_store_dwordx4 v[224:225], v[104:107], off
	scratch_load_dwordx2 v[104:105], off, off offset:112 ; 8-byte Folded Reload
	s_waitcnt vmcnt(6)
	v_mul_f64 v[112:113], v[222:223], v[110:111]
	v_mul_f64 v[114:115], v[220:221], v[110:111]
	v_fma_f64 v[112:113], v[220:221], v[108:109], -v[112:113]
	v_fmac_f64_e32 v[114:115], v[222:223], v[108:109]
	v_cmp_lt_u32_e32 vcc, 27, v254
	s_waitcnt vmcnt(0)
	global_store_dwordx4 v[104:105], v[100:103], off
	scratch_load_dwordx2 v[100:101], off, off offset:128 ; 8-byte Folded Reload
	v_cndmask_b32_e32 v111, v111, v115, vcc
	v_cndmask_b32_e32 v110, v110, v114, vcc
	;; [unrolled: 1-line block ×4, first 2 shown]
	s_waitcnt vmcnt(0)
	global_store_dwordx4 v[100:101], v[96:99], off
	scratch_load_dwordx2 v[96:97], off, off offset:120 ; 8-byte Folded Reload
	s_waitcnt vmcnt(0)
	global_store_dwordx4 v[96:97], v[92:95], off
	global_store_dwordx4 v[236:237], v[88:91], off
	;; [unrolled: 1-line block ×11, first 2 shown]
	scratch_load_dwordx2 v[52:53], off, off ; 8-byte Folded Reload
	s_waitcnt vmcnt(0)
	global_store_dwordx4 v[52:53], v[48:51], off
	scratch_load_dwordx2 v[48:49], off, off offset:8 ; 8-byte Folded Reload
	s_waitcnt vmcnt(0)
	global_store_dwordx4 v[48:49], v[44:47], off
	scratch_load_dwordx2 v[44:45], off, off offset:16 ; 8-byte Folded Reload
	;; [unrolled: 3-line block ×13, first 2 shown]
	s_waitcnt vmcnt(0)
	global_store_dwordx4 v[0:1], v[108:111], off
.LBB55_255:
	s_endpgm
	.section	.rodata,"a",@progbits
	.p2align	6, 0x0
	.amdhsa_kernel _ZN9rocsolver6v33100L23getf2_npvt_small_kernelILi28E19rocblas_complex_numIdEiiPS3_EEvT1_T3_lS5_lPT2_S5_S5_
		.amdhsa_group_segment_fixed_size 0
		.amdhsa_private_segment_fixed_size 172
		.amdhsa_kernarg_size 312
		.amdhsa_user_sgpr_count 2
		.amdhsa_user_sgpr_dispatch_ptr 0
		.amdhsa_user_sgpr_queue_ptr 0
		.amdhsa_user_sgpr_kernarg_segment_ptr 1
		.amdhsa_user_sgpr_dispatch_id 0
		.amdhsa_user_sgpr_kernarg_preload_length 0
		.amdhsa_user_sgpr_kernarg_preload_offset 0
		.amdhsa_user_sgpr_private_segment_size 0
		.amdhsa_uses_dynamic_stack 0
		.amdhsa_enable_private_segment 1
		.amdhsa_system_sgpr_workgroup_id_x 1
		.amdhsa_system_sgpr_workgroup_id_y 1
		.amdhsa_system_sgpr_workgroup_id_z 0
		.amdhsa_system_sgpr_workgroup_info 0
		.amdhsa_system_vgpr_workitem_id 1
		.amdhsa_next_free_vgpr 256
		.amdhsa_next_free_sgpr 16
		.amdhsa_accum_offset 256
		.amdhsa_reserve_vcc 1
		.amdhsa_float_round_mode_32 0
		.amdhsa_float_round_mode_16_64 0
		.amdhsa_float_denorm_mode_32 3
		.amdhsa_float_denorm_mode_16_64 3
		.amdhsa_dx10_clamp 1
		.amdhsa_ieee_mode 1
		.amdhsa_fp16_overflow 0
		.amdhsa_tg_split 0
		.amdhsa_exception_fp_ieee_invalid_op 0
		.amdhsa_exception_fp_denorm_src 0
		.amdhsa_exception_fp_ieee_div_zero 0
		.amdhsa_exception_fp_ieee_overflow 0
		.amdhsa_exception_fp_ieee_underflow 0
		.amdhsa_exception_fp_ieee_inexact 0
		.amdhsa_exception_int_div_zero 0
	.end_amdhsa_kernel
	.section	.text._ZN9rocsolver6v33100L23getf2_npvt_small_kernelILi28E19rocblas_complex_numIdEiiPS3_EEvT1_T3_lS5_lPT2_S5_S5_,"axG",@progbits,_ZN9rocsolver6v33100L23getf2_npvt_small_kernelILi28E19rocblas_complex_numIdEiiPS3_EEvT1_T3_lS5_lPT2_S5_S5_,comdat
.Lfunc_end55:
	.size	_ZN9rocsolver6v33100L23getf2_npvt_small_kernelILi28E19rocblas_complex_numIdEiiPS3_EEvT1_T3_lS5_lPT2_S5_S5_, .Lfunc_end55-_ZN9rocsolver6v33100L23getf2_npvt_small_kernelILi28E19rocblas_complex_numIdEiiPS3_EEvT1_T3_lS5_lPT2_S5_S5_
                                        ; -- End function
	.set _ZN9rocsolver6v33100L23getf2_npvt_small_kernelILi28E19rocblas_complex_numIdEiiPS3_EEvT1_T3_lS5_lPT2_S5_S5_.num_vgpr, 256
	.set _ZN9rocsolver6v33100L23getf2_npvt_small_kernelILi28E19rocblas_complex_numIdEiiPS3_EEvT1_T3_lS5_lPT2_S5_S5_.num_agpr, 0
	.set _ZN9rocsolver6v33100L23getf2_npvt_small_kernelILi28E19rocblas_complex_numIdEiiPS3_EEvT1_T3_lS5_lPT2_S5_S5_.numbered_sgpr, 16
	.set _ZN9rocsolver6v33100L23getf2_npvt_small_kernelILi28E19rocblas_complex_numIdEiiPS3_EEvT1_T3_lS5_lPT2_S5_S5_.num_named_barrier, 0
	.set _ZN9rocsolver6v33100L23getf2_npvt_small_kernelILi28E19rocblas_complex_numIdEiiPS3_EEvT1_T3_lS5_lPT2_S5_S5_.private_seg_size, 172
	.set _ZN9rocsolver6v33100L23getf2_npvt_small_kernelILi28E19rocblas_complex_numIdEiiPS3_EEvT1_T3_lS5_lPT2_S5_S5_.uses_vcc, 1
	.set _ZN9rocsolver6v33100L23getf2_npvt_small_kernelILi28E19rocblas_complex_numIdEiiPS3_EEvT1_T3_lS5_lPT2_S5_S5_.uses_flat_scratch, 0
	.set _ZN9rocsolver6v33100L23getf2_npvt_small_kernelILi28E19rocblas_complex_numIdEiiPS3_EEvT1_T3_lS5_lPT2_S5_S5_.has_dyn_sized_stack, 0
	.set _ZN9rocsolver6v33100L23getf2_npvt_small_kernelILi28E19rocblas_complex_numIdEiiPS3_EEvT1_T3_lS5_lPT2_S5_S5_.has_recursion, 0
	.set _ZN9rocsolver6v33100L23getf2_npvt_small_kernelILi28E19rocblas_complex_numIdEiiPS3_EEvT1_T3_lS5_lPT2_S5_S5_.has_indirect_call, 0
	.section	.AMDGPU.csdata,"",@progbits
; Kernel info:
; codeLenInByte = 46824
; TotalNumSgprs: 22
; NumVgprs: 256
; NumAgprs: 0
; TotalNumVgprs: 256
; ScratchSize: 172
; MemoryBound: 1
; FloatMode: 240
; IeeeMode: 1
; LDSByteSize: 0 bytes/workgroup (compile time only)
; SGPRBlocks: 2
; VGPRBlocks: 31
; NumSGPRsForWavesPerEU: 22
; NumVGPRsForWavesPerEU: 256
; AccumOffset: 256
; Occupancy: 2
; WaveLimiterHint : 0
; COMPUTE_PGM_RSRC2:SCRATCH_EN: 1
; COMPUTE_PGM_RSRC2:USER_SGPR: 2
; COMPUTE_PGM_RSRC2:TRAP_HANDLER: 0
; COMPUTE_PGM_RSRC2:TGID_X_EN: 1
; COMPUTE_PGM_RSRC2:TGID_Y_EN: 1
; COMPUTE_PGM_RSRC2:TGID_Z_EN: 0
; COMPUTE_PGM_RSRC2:TIDIG_COMP_CNT: 1
; COMPUTE_PGM_RSRC3_GFX90A:ACCUM_OFFSET: 63
; COMPUTE_PGM_RSRC3_GFX90A:TG_SPLIT: 0
	.section	.text._ZN9rocsolver6v33100L18getf2_small_kernelILi29E19rocblas_complex_numIdEiiPS3_EEvT1_T3_lS5_lPS5_llPT2_S5_S5_S7_l,"axG",@progbits,_ZN9rocsolver6v33100L18getf2_small_kernelILi29E19rocblas_complex_numIdEiiPS3_EEvT1_T3_lS5_lPS5_llPT2_S5_S5_S7_l,comdat
	.globl	_ZN9rocsolver6v33100L18getf2_small_kernelILi29E19rocblas_complex_numIdEiiPS3_EEvT1_T3_lS5_lPS5_llPT2_S5_S5_S7_l ; -- Begin function _ZN9rocsolver6v33100L18getf2_small_kernelILi29E19rocblas_complex_numIdEiiPS3_EEvT1_T3_lS5_lPS5_llPT2_S5_S5_S7_l
	.p2align	8
	.type	_ZN9rocsolver6v33100L18getf2_small_kernelILi29E19rocblas_complex_numIdEiiPS3_EEvT1_T3_lS5_lPS5_llPT2_S5_S5_S7_l,@function
_ZN9rocsolver6v33100L18getf2_small_kernelILi29E19rocblas_complex_numIdEiiPS3_EEvT1_T3_lS5_lPS5_llPT2_S5_S5_S7_l: ; @_ZN9rocsolver6v33100L18getf2_small_kernelILi29E19rocblas_complex_numIdEiiPS3_EEvT1_T3_lS5_lPS5_llPT2_S5_S5_S7_l
; %bb.0:
	s_load_dword s2, s[0:1], 0x6c
	s_load_dwordx2 s[12:13], s[0:1], 0x48
	v_bfe_u32 v116, v0, 10, 10
	s_waitcnt lgkmcnt(0)
	s_lshr_b32 s2, s2, 16
	s_mul_i32 s3, s3, s2
	v_add_u32_e32 v122, s3, v116
	v_cmp_gt_i32_e32 vcc, s12, v122
	s_and_saveexec_b64 s[2:3], vcc
	s_cbranch_execz .LBB56_610
; %bb.1:
	s_load_dwordx4 s[4:7], s[0:1], 0x50
	v_ashrrev_i32_e32 v123, 31, v122
	v_mov_b64_e32 v[124:125], 0
	s_waitcnt lgkmcnt(0)
	s_cmp_eq_u64 s[4:5], 0
	s_cselect_b64 s[14:15], -1, 0
	s_and_b64 vcc, exec, s[14:15]
	s_cbranch_vccnz .LBB56_3
; %bb.2:
	v_mul_lo_u32 v1, s7, v122
	v_mul_lo_u32 v4, s6, v123
	v_mad_u64_u32 v[2:3], s[2:3], s6, v122, 0
	v_add3_u32 v3, v3, v4, v1
	v_lshl_add_u64 v[124:125], v[2:3], 2, s[4:5]
.LBB56_3:
	s_load_dwordx4 s[16:19], s[0:1], 0x8
	s_load_dwordx8 s[4:11], s[0:1], 0x20
	s_load_dword s2, s[0:1], 0x18
	s_load_dword s20, s[0:1], 0x0
	v_and_b32_e32 v131, 0x3ff, v0
	s_waitcnt lgkmcnt(0)
	v_mov_b32_e32 v2, s16
	v_mul_lo_u32 v1, s5, v122
	v_mul_lo_u32 v6, s4, v123
	v_mad_u64_u32 v[4:5], s[4:5], s4, v122, 0
	v_mov_b32_e32 v3, s17
	v_add3_u32 v5, v5, v6, v1
	v_lshl_add_u64 v[2:3], v[4:5], 4, v[2:3]
	s_add_i32 s12, s2, s2
	v_lshl_add_u64 v[120:121], s[18:19], 4, v[2:3]
	v_add_u32_e32 v2, s12, v131
	v_add_u32_e32 v4, s2, v2
	;; [unrolled: 1-line block ×3, first 2 shown]
	v_lshlrev_b32_e32 v126, 4, v131
	v_mov_b32_e32 v127, 0
	v_add_u32_e32 v8, s2, v6
	v_lshl_add_u64 v[0:1], v[120:121], 0, v[126:127]
	s_ashr_i32 s3, s2, 31
	v_ashrrev_i32_e32 v9, 31, v8
	v_add_u32_e32 v12, s2, v8
	v_lshl_add_u64 v[10:11], s[2:3], 4, v[0:1]
	global_load_dwordx4 v[80:83], v[0:1], off
	global_load_dwordx4 v[72:75], v[10:11], off
	v_lshl_add_u64 v[0:1], v[8:9], 4, v[120:121]
	v_ashrrev_i32_e32 v13, 31, v12
	v_add_u32_e32 v8, s2, v12
	v_lshl_add_u64 v[10:11], v[12:13], 4, v[120:121]
	v_add_u32_e32 v12, s2, v8
	v_add_u32_e32 v14, s2, v12
	v_add_u32_e32 v16, s2, v14
	v_add_u32_e32 v18, s2, v16
	v_add_u32_e32 v20, s2, v18
	v_add_u32_e32 v22, s2, v20
	v_add_u32_e32 v24, s2, v22
	v_add_u32_e32 v26, s2, v24
	v_add_u32_e32 v28, s2, v26
	v_ashrrev_i32_e32 v29, 31, v28
	v_add_u32_e32 v30, s2, v28
	v_lshl_add_u64 v[112:113], v[28:29], 4, v[120:121]
	v_ashrrev_i32_e32 v31, 31, v30
	v_add_u32_e32 v28, s2, v30
	v_lshl_add_u64 v[114:115], v[30:31], 4, v[120:121]
	;; [unrolled: 3-line block ×5, first 2 shown]
	v_add_u32_e32 v28, s2, v30
	v_ashrrev_i32_e32 v29, 31, v28
	v_lshl_add_u64 v[136:137], v[28:29], 4, v[120:121]
	v_add_u32_e32 v28, s2, v28
	v_ashrrev_i32_e32 v29, 31, v28
	v_lshl_add_u64 v[138:139], v[28:29], 4, v[120:121]
	;; [unrolled: 3-line block ×5, first 2 shown]
	v_add_u32_e32 v28, s2, v28
	v_ashrrev_i32_e32 v29, 31, v28
	v_ashrrev_i32_e32 v3, 31, v2
	;; [unrolled: 1-line block ×13, first 2 shown]
	v_lshl_add_u64 v[146:147], v[28:29], 4, v[120:121]
	v_add_u32_e32 v28, s2, v28
	v_lshl_add_u64 v[2:3], v[2:3], 4, v[120:121]
	v_lshl_add_u64 v[4:5], v[4:5], 4, v[120:121]
	;; [unrolled: 1-line block ×12, first 2 shown]
	v_ashrrev_i32_e32 v31, 31, v30
	v_ashrrev_i32_e32 v29, 31, v28
	v_lshl_add_u64 v[134:135], v[30:31], 4, v[120:121]
	v_lshl_add_u64 v[148:149], v[28:29], 4, v[120:121]
	global_load_dwordx4 v[108:111], v[2:3], off
	global_load_dwordx4 v[104:107], v[4:5], off
	;; [unrolled: 1-line block ×14, first 2 shown]
                                        ; kill: killed $vgpr12_vgpr13
                                        ; kill: killed $vgpr14_vgpr15
                                        ; kill: killed $vgpr16_vgpr17
                                        ; kill: killed $vgpr18_vgpr19
                                        ; kill: killed $vgpr2_vgpr3
                                        ; kill: killed $vgpr20_vgpr21
                                        ; kill: killed $vgpr4_vgpr5
                                        ; kill: killed $vgpr22_vgpr23
                                        ; kill: killed $vgpr6_vgpr7
                                        ; kill: killed $vgpr24_vgpr25
                                        ; kill: killed $vgpr0_vgpr1
                                        ; kill: killed $vgpr26_vgpr27
                                        ; kill: killed $vgpr10_vgpr11
                                        ; kill: killed $vgpr8_vgpr9
	global_load_dwordx4 v[48:51], v[112:113], off
	global_load_dwordx4 v[40:43], v[114:115], off
	;; [unrolled: 1-line block ×7, first 2 shown]
                                        ; kill: killed $vgpr114_vgpr115
                                        ; kill: killed $vgpr118_vgpr119
                                        ; kill: killed $vgpr128_vgpr129
                                        ; kill: killed $vgpr132_vgpr133
                                        ; kill: killed $vgpr134_vgpr135
                                        ; kill: killed $vgpr136_vgpr137
                                        ; kill: killed $vgpr112_vgpr113
	global_load_dwordx4 v[16:19], v[138:139], off
	global_load_dwordx4 v[12:15], v[140:141], off
	;; [unrolled: 1-line block ×3, first 2 shown]
                                        ; kill: killed $vgpr138_vgpr139
                                        ; kill: killed $vgpr140_vgpr141
                                        ; kill: killed $vgpr142_vgpr143
	global_load_dwordx4 v[4:7], v[144:145], off
	global_load_dwordx4 v[0:3], v[146:147], off
                                        ; kill: killed $vgpr144_vgpr145
                                        ; kill: killed $vgpr146_vgpr147
	global_load_dwordx4 v[112:115], v[148:149], off
	s_load_dwordx2 s[4:5], s[0:1], 0x40
	s_max_i32 s0, s20, 29
	v_mul_lo_u32 v129, s0, v116
	v_lshl_add_u32 v128, v129, 4, 0
	v_add_u32_e32 v116, v128, v126
	s_waitcnt vmcnt(28)
	ds_write2_b64 v116, v[80:81], v[82:83] offset1:1
	s_waitcnt lgkmcnt(0)
	s_barrier
	ds_read2_b64 v[116:119], v128 offset1:1
	s_cmp_lt_i32 s20, 2
	v_lshlrev_b32_e32 v132, 4, v129
	s_cbranch_scc1 .LBB56_6
; %bb.4:
	v_add3_u32 v126, v132, 0, 16
	s_mov_b32 s16, 1
	v_mov_b32_e32 v127, 0
.LBB56_5:                               ; =>This Inner Loop Header: Depth=1
	ds_read2_b64 v[134:137], v126 offset1:1
	s_waitcnt lgkmcnt(1)
	v_xor_b32_e32 v129, 0x80000000, v117
	v_xor_b32_e32 v130, 0x80000000, v119
	v_cmp_gt_f64_e32 vcc, 0, v[118:119]
	v_cmp_gt_f64_e64 s[0:1], 0, v[116:117]
	v_mov_b32_e32 v138, v116
	v_mov_b32_e32 v140, v118
	v_cndmask_b32_e64 v139, v117, v129, s[0:1]
	v_cndmask_b32_e32 v141, v119, v130, vcc
	s_waitcnt lgkmcnt(0)
	v_xor_b32_e32 v129, 0x80000000, v135
	v_xor_b32_e32 v130, 0x80000000, v137
	v_cmp_gt_f64_e32 vcc, 0, v[136:137]
	v_cmp_gt_f64_e64 s[0:1], 0, v[134:135]
	v_add_f64 v[138:139], v[138:139], v[140:141]
	v_mov_b32_e32 v140, v134
	v_mov_b32_e32 v142, v136
	v_cndmask_b32_e64 v141, v135, v129, s[0:1]
	v_cndmask_b32_e32 v143, v137, v130, vcc
	v_add_f64 v[140:141], v[140:141], v[142:143]
	v_mov_b32_e32 v133, s16
	s_add_i32 s16, s16, 1
	v_cmp_lt_f64_e32 vcc, v[138:139], v[140:141]
	v_add_u32_e32 v126, 16, v126
	s_cmp_eq_u32 s20, s16
	v_cndmask_b32_e32 v117, v117, v135, vcc
	v_cndmask_b32_e32 v116, v116, v134, vcc
	;; [unrolled: 1-line block ×5, first 2 shown]
	s_cbranch_scc0 .LBB56_5
.LBB56_6:
	s_waitcnt lgkmcnt(0)
	v_cmp_neq_f64_e32 vcc, 0, v[116:117]
	v_cmp_neq_f64_e64 s[0:1], 0, v[118:119]
	s_or_b64 s[16:17], vcc, s[0:1]
	v_mov_b32_e32 v130, 1
	v_mov_b32_e32 v133, 1
	s_and_saveexec_b64 s[0:1], s[16:17]
	s_cbranch_execz .LBB56_12
; %bb.7:
	v_cmp_ngt_f64_e64 s[16:17], |v[116:117]|, |v[118:119]|
	s_and_saveexec_b64 s[18:19], s[16:17]
	s_xor_b64 s[16:17], exec, s[18:19]
	s_cbranch_execz .LBB56_9
; %bb.8:
	v_div_scale_f64 v[134:135], s[18:19], v[118:119], v[118:119], v[116:117]
	v_rcp_f64_e32 v[136:137], v[134:135]
	v_div_scale_f64 v[138:139], vcc, v[116:117], v[118:119], v[116:117]
	v_fma_f64 v[140:141], -v[134:135], v[136:137], 1.0
	v_fmac_f64_e32 v[136:137], v[136:137], v[140:141]
	v_fma_f64 v[140:141], -v[134:135], v[136:137], 1.0
	v_fmac_f64_e32 v[136:137], v[136:137], v[140:141]
	v_mul_f64 v[140:141], v[138:139], v[136:137]
	v_fma_f64 v[134:135], -v[134:135], v[140:141], v[138:139]
	v_div_fmas_f64 v[134:135], v[134:135], v[136:137], v[140:141]
	v_div_fixup_f64 v[134:135], v[134:135], v[118:119], v[116:117]
	v_fmac_f64_e32 v[118:119], v[116:117], v[134:135]
	v_div_scale_f64 v[116:117], s[18:19], v[118:119], v[118:119], 1.0
	v_rcp_f64_e32 v[136:137], v[116:117]
	s_nop 0
	v_fma_f64 v[138:139], -v[116:117], v[136:137], 1.0
	v_fmac_f64_e32 v[136:137], v[136:137], v[138:139]
	v_fma_f64 v[138:139], -v[116:117], v[136:137], 1.0
	v_fmac_f64_e32 v[136:137], v[136:137], v[138:139]
	v_div_scale_f64 v[138:139], vcc, 1.0, v[118:119], 1.0
	v_mul_f64 v[140:141], v[138:139], v[136:137]
	v_fma_f64 v[116:117], -v[116:117], v[140:141], v[138:139]
	s_nop 1
	v_div_fmas_f64 v[116:117], v[116:117], v[136:137], v[140:141]
	v_div_fixup_f64 v[118:119], v[116:117], v[118:119], 1.0
	v_mul_f64 v[116:117], v[134:135], v[118:119]
	v_xor_b32_e32 v119, 0x80000000, v119
.LBB56_9:
	s_andn2_saveexec_b64 s[16:17], s[16:17]
	s_cbranch_execz .LBB56_11
; %bb.10:
	v_div_scale_f64 v[134:135], s[18:19], v[116:117], v[116:117], v[118:119]
	v_rcp_f64_e32 v[136:137], v[134:135]
	v_div_scale_f64 v[138:139], vcc, v[118:119], v[116:117], v[118:119]
	v_fma_f64 v[140:141], -v[134:135], v[136:137], 1.0
	v_fmac_f64_e32 v[136:137], v[136:137], v[140:141]
	v_fma_f64 v[140:141], -v[134:135], v[136:137], 1.0
	v_fmac_f64_e32 v[136:137], v[136:137], v[140:141]
	v_mul_f64 v[140:141], v[138:139], v[136:137]
	v_fma_f64 v[134:135], -v[134:135], v[140:141], v[138:139]
	v_div_fmas_f64 v[134:135], v[134:135], v[136:137], v[140:141]
	v_div_fixup_f64 v[134:135], v[134:135], v[116:117], v[118:119]
	v_fmac_f64_e32 v[116:117], v[118:119], v[134:135]
	v_div_scale_f64 v[118:119], s[18:19], v[116:117], v[116:117], 1.0
	v_rcp_f64_e32 v[136:137], v[118:119]
	s_nop 0
	v_fma_f64 v[138:139], -v[118:119], v[136:137], 1.0
	v_fmac_f64_e32 v[136:137], v[136:137], v[138:139]
	v_fma_f64 v[138:139], -v[118:119], v[136:137], 1.0
	v_fmac_f64_e32 v[136:137], v[136:137], v[138:139]
	v_div_scale_f64 v[138:139], vcc, 1.0, v[116:117], 1.0
	v_mul_f64 v[140:141], v[138:139], v[136:137]
	v_fma_f64 v[118:119], -v[118:119], v[140:141], v[138:139]
	s_nop 1
	v_div_fmas_f64 v[118:119], v[118:119], v[136:137], v[140:141]
	v_div_fixup_f64 v[116:117], v[118:119], v[116:117], 1.0
	v_mul_f64 v[118:119], v[134:135], -v[116:117]
.LBB56_11:
	s_or_b64 exec, exec, s[16:17]
	v_mov_b32_e32 v133, 0
	v_mov_b32_e32 v130, 2
.LBB56_12:
	s_or_b64 exec, exec, s[0:1]
	v_cmp_ne_u32_e32 vcc, v131, v127
	s_and_saveexec_b64 s[0:1], vcc
	s_xor_b64 s[0:1], exec, s[0:1]
	s_cbranch_execz .LBB56_18
; %bb.13:
	v_cmp_eq_u32_e32 vcc, 0, v131
	s_and_saveexec_b64 s[16:17], vcc
	s_cbranch_execz .LBB56_17
; %bb.14:
	v_cmp_ne_u32_e32 vcc, 0, v127
	s_xor_b64 s[18:19], s[14:15], -1
	s_and_b64 s[22:23], s[18:19], vcc
	s_and_saveexec_b64 s[18:19], s[22:23]
	s_cbranch_execz .LBB56_16
; %bb.15:
	v_ashrrev_i32_e32 v135, 31, v127
	v_mov_b32_e32 v134, v127
	v_lshl_add_u64 v[134:135], v[134:135], 2, v[124:125]
	global_load_dword v126, v[134:135], off
	global_load_dword v129, v[124:125], off
	s_waitcnt vmcnt(1)
	global_store_dword v[124:125], v126, off
	s_waitcnt vmcnt(1)
	global_store_dword v[134:135], v129, off
.LBB56_16:
	s_or_b64 exec, exec, s[18:19]
	v_mov_b32_e32 v131, v127
.LBB56_17:
	s_or_b64 exec, exec, s[16:17]
.LBB56_18:
	s_or_saveexec_b64 s[0:1], s[0:1]
	v_mov_b32_e32 v129, v131
	s_xor_b64 exec, exec, s[0:1]
	s_cbranch_execz .LBB56_20
; %bb.19:
	v_mov_b32_e32 v129, 0
	s_waitcnt vmcnt(27)
	ds_write2_b64 v128, v[72:73], v[74:75] offset0:2 offset1:3
	s_waitcnt vmcnt(26)
	ds_write2_b64 v128, v[108:109], v[110:111] offset0:4 offset1:5
	;; [unrolled: 2-line block ×28, first 2 shown]
.LBB56_20:
	s_or_b64 exec, exec, s[0:1]
	v_cmp_lt_i32_e32 vcc, 0, v129
	s_waitcnt lgkmcnt(0)
	s_barrier
	s_and_saveexec_b64 s[0:1], vcc
	s_cbranch_execz .LBB56_22
; %bb.21:
	ds_read2_b64 v[134:137], v128 offset0:2 offset1:3
	v_mul_f64 v[126:127], v[118:119], v[82:83]
	v_mul_f64 v[82:83], v[116:117], v[82:83]
	v_fma_f64 v[126:127], v[116:117], v[80:81], -v[126:127]
	v_fmac_f64_e32 v[82:83], v[118:119], v[80:81]
	ds_read2_b64 v[116:119], v128 offset0:4 offset1:5
	s_waitcnt lgkmcnt(1)
	v_mul_f64 v[80:81], v[136:137], v[82:83]
	v_fma_f64 v[80:81], v[134:135], v[126:127], -v[80:81]
	v_mul_f64 v[134:135], v[134:135], v[82:83]
	v_fmac_f64_e32 v[134:135], v[136:137], v[126:127]
	s_waitcnt vmcnt(27)
	v_add_f64 v[72:73], v[72:73], -v[80:81]
	s_waitcnt lgkmcnt(0)
	v_mul_f64 v[80:81], v[118:119], v[82:83]
	v_add_f64 v[74:75], v[74:75], -v[134:135]
	v_fma_f64 v[80:81], v[116:117], v[126:127], -v[80:81]
	v_mul_f64 v[116:117], v[116:117], v[82:83]
	ds_read2_b64 v[134:137], v128 offset0:6 offset1:7
	v_fmac_f64_e32 v[116:117], v[118:119], v[126:127]
	s_waitcnt vmcnt(26)
	v_add_f64 v[110:111], v[110:111], -v[116:117]
	ds_read2_b64 v[116:119], v128 offset0:8 offset1:9
	v_add_f64 v[108:109], v[108:109], -v[80:81]
	s_waitcnt lgkmcnt(1)
	v_mul_f64 v[80:81], v[136:137], v[82:83]
	v_fma_f64 v[80:81], v[134:135], v[126:127], -v[80:81]
	v_mul_f64 v[134:135], v[134:135], v[82:83]
	v_fmac_f64_e32 v[134:135], v[136:137], v[126:127]
	s_waitcnt vmcnt(25)
	v_add_f64 v[104:105], v[104:105], -v[80:81]
	s_waitcnt lgkmcnt(0)
	v_mul_f64 v[80:81], v[118:119], v[82:83]
	v_add_f64 v[106:107], v[106:107], -v[134:135]
	v_fma_f64 v[80:81], v[116:117], v[126:127], -v[80:81]
	v_mul_f64 v[116:117], v[116:117], v[82:83]
	ds_read2_b64 v[134:137], v128 offset0:10 offset1:11
	v_fmac_f64_e32 v[116:117], v[118:119], v[126:127]
	s_waitcnt vmcnt(24)
	v_add_f64 v[102:103], v[102:103], -v[116:117]
	ds_read2_b64 v[116:119], v128 offset0:12 offset1:13
	v_add_f64 v[100:101], v[100:101], -v[80:81]
	;; [unrolled: 18-line block ×13, first 2 shown]
	s_waitcnt lgkmcnt(1)
	v_mul_f64 v[80:81], v[136:137], v[82:83]
	v_fma_f64 v[80:81], v[134:135], v[126:127], -v[80:81]
	s_waitcnt vmcnt(1)
	v_add_f64 v[0:1], v[0:1], -v[80:81]
	s_waitcnt lgkmcnt(0)
	v_mul_f64 v[80:81], v[118:119], v[82:83]
	v_mul_f64 v[134:135], v[134:135], v[82:83]
	v_fma_f64 v[80:81], v[116:117], v[126:127], -v[80:81]
	v_mul_f64 v[116:117], v[116:117], v[82:83]
	v_fmac_f64_e32 v[134:135], v[136:137], v[126:127]
	v_fmac_f64_e32 v[116:117], v[118:119], v[126:127]
	v_add_f64 v[2:3], v[2:3], -v[134:135]
	s_waitcnt vmcnt(0)
	v_add_f64 v[112:113], v[112:113], -v[80:81]
	v_add_f64 v[114:115], v[114:115], -v[116:117]
	v_mov_b64_e32 v[80:81], v[126:127]
.LBB56_22:
	s_or_b64 exec, exec, s[0:1]
	v_lshl_add_u32 v116, v129, 4, v128
	s_barrier
	s_waitcnt vmcnt(27)
	ds_write2_b64 v116, v[72:73], v[74:75] offset1:1
	s_waitcnt lgkmcnt(0)
	s_barrier
	ds_read2_b64 v[116:119], v128 offset0:2 offset1:3
	s_cmp_lt_i32 s20, 3
	v_mov_b32_e32 v126, 1
	s_cbranch_scc1 .LBB56_25
; %bb.23:
	v_add3_u32 v127, v132, 0, 32
	s_mov_b32 s16, 2
	v_mov_b32_e32 v126, 1
.LBB56_24:                              ; =>This Inner Loop Header: Depth=1
	ds_read2_b64 v[134:137], v127 offset1:1
	s_waitcnt lgkmcnt(1)
	v_xor_b32_e32 v139, 0x80000000, v117
	v_xor_b32_e32 v141, 0x80000000, v119
	v_cmp_gt_f64_e32 vcc, 0, v[118:119]
	v_cmp_gt_f64_e64 s[0:1], 0, v[116:117]
	v_mov_b32_e32 v138, v116
	v_mov_b32_e32 v140, v118
	v_cndmask_b32_e64 v139, v117, v139, s[0:1]
	v_cndmask_b32_e32 v141, v119, v141, vcc
	v_add_f64 v[138:139], v[138:139], v[140:141]
	s_waitcnt lgkmcnt(0)
	v_xor_b32_e32 v141, 0x80000000, v135
	v_xor_b32_e32 v143, 0x80000000, v137
	v_cmp_gt_f64_e32 vcc, 0, v[136:137]
	v_cmp_gt_f64_e64 s[0:1], 0, v[134:135]
	v_mov_b32_e32 v140, v134
	v_mov_b32_e32 v142, v136
	v_cndmask_b32_e64 v141, v135, v141, s[0:1]
	v_cndmask_b32_e32 v143, v137, v143, vcc
	v_add_f64 v[140:141], v[140:141], v[142:143]
	v_mov_b32_e32 v144, s16
	s_add_i32 s16, s16, 1
	v_cmp_lt_f64_e32 vcc, v[138:139], v[140:141]
	v_add_u32_e32 v127, 16, v127
	s_cmp_lg_u32 s20, s16
	v_cndmask_b32_e32 v117, v117, v135, vcc
	v_cndmask_b32_e32 v116, v116, v134, vcc
	v_cndmask_b32_e32 v119, v119, v137, vcc
	v_cndmask_b32_e32 v118, v118, v136, vcc
	v_cndmask_b32_e32 v126, v126, v144, vcc
	s_cbranch_scc1 .LBB56_24
.LBB56_25:
	s_waitcnt lgkmcnt(0)
	v_cmp_neq_f64_e32 vcc, 0, v[116:117]
	v_cmp_neq_f64_e64 s[0:1], 0, v[118:119]
	s_or_b64 s[16:17], vcc, s[0:1]
	s_and_saveexec_b64 s[0:1], s[16:17]
	s_cbranch_execz .LBB56_31
; %bb.26:
	v_cmp_ngt_f64_e64 s[16:17], |v[116:117]|, |v[118:119]|
	s_and_saveexec_b64 s[18:19], s[16:17]
	s_xor_b64 s[16:17], exec, s[18:19]
	s_cbranch_execz .LBB56_28
; %bb.27:
	v_div_scale_f64 v[134:135], s[18:19], v[118:119], v[118:119], v[116:117]
	v_rcp_f64_e32 v[136:137], v[134:135]
	v_div_scale_f64 v[138:139], vcc, v[116:117], v[118:119], v[116:117]
	v_fma_f64 v[140:141], -v[134:135], v[136:137], 1.0
	v_fmac_f64_e32 v[136:137], v[136:137], v[140:141]
	v_fma_f64 v[140:141], -v[134:135], v[136:137], 1.0
	v_fmac_f64_e32 v[136:137], v[136:137], v[140:141]
	v_mul_f64 v[140:141], v[138:139], v[136:137]
	v_fma_f64 v[134:135], -v[134:135], v[140:141], v[138:139]
	v_div_fmas_f64 v[134:135], v[134:135], v[136:137], v[140:141]
	v_div_fixup_f64 v[134:135], v[134:135], v[118:119], v[116:117]
	v_fmac_f64_e32 v[118:119], v[116:117], v[134:135]
	v_div_scale_f64 v[116:117], s[18:19], v[118:119], v[118:119], 1.0
	v_rcp_f64_e32 v[136:137], v[116:117]
	s_nop 0
	v_fma_f64 v[138:139], -v[116:117], v[136:137], 1.0
	v_fmac_f64_e32 v[136:137], v[136:137], v[138:139]
	v_fma_f64 v[138:139], -v[116:117], v[136:137], 1.0
	v_fmac_f64_e32 v[136:137], v[136:137], v[138:139]
	v_div_scale_f64 v[138:139], vcc, 1.0, v[118:119], 1.0
	v_mul_f64 v[140:141], v[138:139], v[136:137]
	v_fma_f64 v[116:117], -v[116:117], v[140:141], v[138:139]
	s_nop 1
	v_div_fmas_f64 v[116:117], v[116:117], v[136:137], v[140:141]
	v_div_fixup_f64 v[118:119], v[116:117], v[118:119], 1.0
	v_mul_f64 v[116:117], v[134:135], v[118:119]
	v_xor_b32_e32 v119, 0x80000000, v119
.LBB56_28:
	s_andn2_saveexec_b64 s[16:17], s[16:17]
	s_cbranch_execz .LBB56_30
; %bb.29:
	v_div_scale_f64 v[134:135], s[18:19], v[116:117], v[116:117], v[118:119]
	v_rcp_f64_e32 v[136:137], v[134:135]
	v_div_scale_f64 v[138:139], vcc, v[118:119], v[116:117], v[118:119]
	v_fma_f64 v[140:141], -v[134:135], v[136:137], 1.0
	v_fmac_f64_e32 v[136:137], v[136:137], v[140:141]
	v_fma_f64 v[140:141], -v[134:135], v[136:137], 1.0
	v_fmac_f64_e32 v[136:137], v[136:137], v[140:141]
	v_mul_f64 v[140:141], v[138:139], v[136:137]
	v_fma_f64 v[134:135], -v[134:135], v[140:141], v[138:139]
	v_div_fmas_f64 v[134:135], v[134:135], v[136:137], v[140:141]
	v_div_fixup_f64 v[134:135], v[134:135], v[116:117], v[118:119]
	v_fmac_f64_e32 v[116:117], v[118:119], v[134:135]
	v_div_scale_f64 v[118:119], s[18:19], v[116:117], v[116:117], 1.0
	v_rcp_f64_e32 v[136:137], v[118:119]
	s_nop 0
	v_fma_f64 v[138:139], -v[118:119], v[136:137], 1.0
	v_fmac_f64_e32 v[136:137], v[136:137], v[138:139]
	v_fma_f64 v[138:139], -v[118:119], v[136:137], 1.0
	v_fmac_f64_e32 v[136:137], v[136:137], v[138:139]
	v_div_scale_f64 v[138:139], vcc, 1.0, v[116:117], 1.0
	v_mul_f64 v[140:141], v[138:139], v[136:137]
	v_fma_f64 v[118:119], -v[118:119], v[140:141], v[138:139]
	s_nop 1
	v_div_fmas_f64 v[118:119], v[118:119], v[136:137], v[140:141]
	v_div_fixup_f64 v[116:117], v[118:119], v[116:117], 1.0
	v_mul_f64 v[118:119], v[134:135], -v[116:117]
.LBB56_30:
	s_or_b64 exec, exec, s[16:17]
	v_mov_b32_e32 v130, v133
.LBB56_31:
	s_or_b64 exec, exec, s[0:1]
	v_cmp_ne_u32_e32 vcc, v129, v126
	s_and_saveexec_b64 s[0:1], vcc
	s_xor_b64 s[0:1], exec, s[0:1]
	s_cbranch_execz .LBB56_37
; %bb.32:
	v_cmp_eq_u32_e32 vcc, 1, v129
	s_and_saveexec_b64 s[16:17], vcc
	s_cbranch_execz .LBB56_36
; %bb.33:
	v_cmp_ne_u32_e32 vcc, 1, v126
	s_xor_b64 s[18:19], s[14:15], -1
	s_and_b64 s[22:23], s[18:19], vcc
	s_and_saveexec_b64 s[18:19], s[22:23]
	s_cbranch_execz .LBB56_35
; %bb.34:
	v_ashrrev_i32_e32 v127, 31, v126
	v_lshl_add_u64 v[134:135], v[126:127], 2, v[124:125]
	global_load_dword v127, v[134:135], off
	global_load_dword v129, v[124:125], off offset:4
	s_waitcnt vmcnt(1)
	global_store_dword v[124:125], v127, off offset:4
	s_waitcnt vmcnt(1)
	global_store_dword v[134:135], v129, off
.LBB56_35:
	s_or_b64 exec, exec, s[18:19]
	v_mov_b32_e32 v129, v126
	v_mov_b32_e32 v131, v126
.LBB56_36:
	s_or_b64 exec, exec, s[16:17]
.LBB56_37:
	s_andn2_saveexec_b64 s[0:1], s[0:1]
	s_cbranch_execz .LBB56_39
; %bb.38:
	v_mov_b32_e32 v129, 1
	s_waitcnt vmcnt(26)
	ds_write2_b64 v128, v[108:109], v[110:111] offset0:4 offset1:5
	s_waitcnt vmcnt(25)
	ds_write2_b64 v128, v[104:105], v[106:107] offset0:6 offset1:7
	;; [unrolled: 2-line block ×27, first 2 shown]
.LBB56_39:
	s_or_b64 exec, exec, s[0:1]
	v_cmp_lt_i32_e32 vcc, 1, v129
	s_waitcnt lgkmcnt(0)
	s_barrier
	s_and_saveexec_b64 s[0:1], vcc
	s_cbranch_execz .LBB56_41
; %bb.40:
	ds_read2_b64 v[134:137], v128 offset0:4 offset1:5
	v_mul_f64 v[126:127], v[118:119], v[74:75]
	v_mul_f64 v[74:75], v[116:117], v[74:75]
	v_fmac_f64_e32 v[74:75], v[118:119], v[72:73]
	v_fma_f64 v[126:127], v[116:117], v[72:73], -v[126:127]
	ds_read2_b64 v[116:119], v128 offset0:6 offset1:7
	s_waitcnt lgkmcnt(1)
	v_mul_f64 v[72:73], v[136:137], v[74:75]
	v_fma_f64 v[72:73], v[134:135], v[126:127], -v[72:73]
	v_mul_f64 v[134:135], v[134:135], v[74:75]
	v_fmac_f64_e32 v[134:135], v[136:137], v[126:127]
	s_waitcnt vmcnt(26)
	v_add_f64 v[110:111], v[110:111], -v[134:135]
	ds_read2_b64 v[134:137], v128 offset0:8 offset1:9
	v_add_f64 v[108:109], v[108:109], -v[72:73]
	s_waitcnt lgkmcnt(1)
	v_mul_f64 v[72:73], v[118:119], v[74:75]
	v_fma_f64 v[72:73], v[116:117], v[126:127], -v[72:73]
	v_mul_f64 v[116:117], v[116:117], v[74:75]
	v_fmac_f64_e32 v[116:117], v[118:119], v[126:127]
	s_waitcnt vmcnt(25)
	v_add_f64 v[104:105], v[104:105], -v[72:73]
	v_add_f64 v[106:107], v[106:107], -v[116:117]
	ds_read2_b64 v[116:119], v128 offset0:10 offset1:11
	s_waitcnt lgkmcnt(1)
	v_mul_f64 v[72:73], v[136:137], v[74:75]
	v_fma_f64 v[72:73], v[134:135], v[126:127], -v[72:73]
	v_mul_f64 v[134:135], v[134:135], v[74:75]
	v_fmac_f64_e32 v[134:135], v[136:137], v[126:127]
	s_waitcnt vmcnt(24)
	v_add_f64 v[102:103], v[102:103], -v[134:135]
	ds_read2_b64 v[134:137], v128 offset0:12 offset1:13
	v_add_f64 v[100:101], v[100:101], -v[72:73]
	s_waitcnt lgkmcnt(1)
	v_mul_f64 v[72:73], v[118:119], v[74:75]
	v_fma_f64 v[72:73], v[116:117], v[126:127], -v[72:73]
	v_mul_f64 v[116:117], v[116:117], v[74:75]
	v_fmac_f64_e32 v[116:117], v[118:119], v[126:127]
	s_waitcnt vmcnt(23)
	v_add_f64 v[96:97], v[96:97], -v[72:73]
	v_add_f64 v[98:99], v[98:99], -v[116:117]
	;; [unrolled: 18-line block ×13, first 2 shown]
	s_waitcnt lgkmcnt(0)
	v_mul_f64 v[72:73], v[136:137], v[74:75]
	v_mul_f64 v[116:117], v[134:135], v[74:75]
	v_fma_f64 v[72:73], v[134:135], v[126:127], -v[72:73]
	v_fmac_f64_e32 v[116:117], v[136:137], v[126:127]
	s_waitcnt vmcnt(0)
	v_add_f64 v[112:113], v[112:113], -v[72:73]
	v_add_f64 v[114:115], v[114:115], -v[116:117]
	v_mov_b64_e32 v[72:73], v[126:127]
.LBB56_41:
	s_or_b64 exec, exec, s[0:1]
	v_lshl_add_u32 v116, v129, 4, v128
	s_barrier
	s_waitcnt vmcnt(26)
	ds_write2_b64 v116, v[108:109], v[110:111] offset1:1
	s_waitcnt lgkmcnt(0)
	s_barrier
	ds_read2_b64 v[116:119], v128 offset0:4 offset1:5
	s_cmp_lt_i32 s20, 4
	v_mov_b32_e32 v126, 2
	s_cbranch_scc1 .LBB56_44
; %bb.42:
	v_add3_u32 v127, v132, 0, 48
	s_mov_b32 s16, 3
	v_mov_b32_e32 v126, 2
.LBB56_43:                              ; =>This Inner Loop Header: Depth=1
	ds_read2_b64 v[134:137], v127 offset1:1
	s_waitcnt lgkmcnt(1)
	v_xor_b32_e32 v133, 0x80000000, v117
	v_xor_b32_e32 v141, 0x80000000, v119
	v_cmp_gt_f64_e32 vcc, 0, v[118:119]
	v_cmp_gt_f64_e64 s[0:1], 0, v[116:117]
	v_mov_b32_e32 v138, v116
	v_mov_b32_e32 v140, v118
	v_cndmask_b32_e64 v139, v117, v133, s[0:1]
	v_cndmask_b32_e32 v141, v119, v141, vcc
	s_waitcnt lgkmcnt(0)
	v_xor_b32_e32 v133, 0x80000000, v135
	v_xor_b32_e32 v143, 0x80000000, v137
	v_cmp_gt_f64_e32 vcc, 0, v[136:137]
	v_cmp_gt_f64_e64 s[0:1], 0, v[134:135]
	v_add_f64 v[138:139], v[138:139], v[140:141]
	v_mov_b32_e32 v140, v134
	v_mov_b32_e32 v142, v136
	v_cndmask_b32_e64 v141, v135, v133, s[0:1]
	v_cndmask_b32_e32 v143, v137, v143, vcc
	v_add_f64 v[140:141], v[140:141], v[142:143]
	v_mov_b32_e32 v144, s16
	s_add_i32 s16, s16, 1
	v_cmp_lt_f64_e32 vcc, v[138:139], v[140:141]
	v_add_u32_e32 v127, 16, v127
	s_cmp_lg_u32 s20, s16
	v_cndmask_b32_e32 v117, v117, v135, vcc
	v_cndmask_b32_e32 v116, v116, v134, vcc
	;; [unrolled: 1-line block ×5, first 2 shown]
	s_cbranch_scc1 .LBB56_43
.LBB56_44:
	s_waitcnt lgkmcnt(0)
	v_cmp_eq_f64_e32 vcc, 0, v[116:117]
	v_cmp_eq_f64_e64 s[0:1], 0, v[118:119]
	s_and_b64 s[0:1], vcc, s[0:1]
	s_and_saveexec_b64 s[16:17], s[0:1]
	s_xor_b64 s[0:1], exec, s[16:17]
; %bb.45:
	v_cmp_ne_u32_e32 vcc, 0, v130
	s_nop 1
	v_cndmask_b32_e32 v130, 3, v130, vcc
; %bb.46:
	s_andn2_saveexec_b64 s[0:1], s[0:1]
	s_cbranch_execz .LBB56_52
; %bb.47:
	v_cmp_ngt_f64_e64 s[16:17], |v[116:117]|, |v[118:119]|
	s_and_saveexec_b64 s[18:19], s[16:17]
	s_xor_b64 s[16:17], exec, s[18:19]
	s_cbranch_execz .LBB56_49
; %bb.48:
	v_div_scale_f64 v[134:135], s[18:19], v[118:119], v[118:119], v[116:117]
	v_rcp_f64_e32 v[136:137], v[134:135]
	v_div_scale_f64 v[138:139], vcc, v[116:117], v[118:119], v[116:117]
	v_fma_f64 v[140:141], -v[134:135], v[136:137], 1.0
	v_fmac_f64_e32 v[136:137], v[136:137], v[140:141]
	v_fma_f64 v[140:141], -v[134:135], v[136:137], 1.0
	v_fmac_f64_e32 v[136:137], v[136:137], v[140:141]
	v_mul_f64 v[140:141], v[138:139], v[136:137]
	v_fma_f64 v[134:135], -v[134:135], v[140:141], v[138:139]
	v_div_fmas_f64 v[134:135], v[134:135], v[136:137], v[140:141]
	v_div_fixup_f64 v[134:135], v[134:135], v[118:119], v[116:117]
	v_fmac_f64_e32 v[118:119], v[116:117], v[134:135]
	v_div_scale_f64 v[116:117], s[18:19], v[118:119], v[118:119], 1.0
	v_rcp_f64_e32 v[136:137], v[116:117]
	s_nop 0
	v_fma_f64 v[138:139], -v[116:117], v[136:137], 1.0
	v_fmac_f64_e32 v[136:137], v[136:137], v[138:139]
	v_fma_f64 v[138:139], -v[116:117], v[136:137], 1.0
	v_fmac_f64_e32 v[136:137], v[136:137], v[138:139]
	v_div_scale_f64 v[138:139], vcc, 1.0, v[118:119], 1.0
	v_mul_f64 v[140:141], v[138:139], v[136:137]
	v_fma_f64 v[116:117], -v[116:117], v[140:141], v[138:139]
	s_nop 1
	v_div_fmas_f64 v[116:117], v[116:117], v[136:137], v[140:141]
	v_div_fixup_f64 v[118:119], v[116:117], v[118:119], 1.0
	v_mul_f64 v[116:117], v[134:135], v[118:119]
	v_xor_b32_e32 v119, 0x80000000, v119
.LBB56_49:
	s_andn2_saveexec_b64 s[16:17], s[16:17]
	s_cbranch_execz .LBB56_51
; %bb.50:
	v_div_scale_f64 v[134:135], s[18:19], v[116:117], v[116:117], v[118:119]
	v_rcp_f64_e32 v[136:137], v[134:135]
	v_div_scale_f64 v[138:139], vcc, v[118:119], v[116:117], v[118:119]
	v_fma_f64 v[140:141], -v[134:135], v[136:137], 1.0
	v_fmac_f64_e32 v[136:137], v[136:137], v[140:141]
	v_fma_f64 v[140:141], -v[134:135], v[136:137], 1.0
	v_fmac_f64_e32 v[136:137], v[136:137], v[140:141]
	v_mul_f64 v[140:141], v[138:139], v[136:137]
	v_fma_f64 v[134:135], -v[134:135], v[140:141], v[138:139]
	v_div_fmas_f64 v[134:135], v[134:135], v[136:137], v[140:141]
	v_div_fixup_f64 v[134:135], v[134:135], v[116:117], v[118:119]
	v_fmac_f64_e32 v[116:117], v[118:119], v[134:135]
	v_div_scale_f64 v[118:119], s[18:19], v[116:117], v[116:117], 1.0
	v_rcp_f64_e32 v[136:137], v[118:119]
	s_nop 0
	v_fma_f64 v[138:139], -v[118:119], v[136:137], 1.0
	v_fmac_f64_e32 v[136:137], v[136:137], v[138:139]
	v_fma_f64 v[138:139], -v[118:119], v[136:137], 1.0
	v_fmac_f64_e32 v[136:137], v[136:137], v[138:139]
	v_div_scale_f64 v[138:139], vcc, 1.0, v[116:117], 1.0
	v_mul_f64 v[140:141], v[138:139], v[136:137]
	v_fma_f64 v[118:119], -v[118:119], v[140:141], v[138:139]
	s_nop 1
	v_div_fmas_f64 v[118:119], v[118:119], v[136:137], v[140:141]
	v_div_fixup_f64 v[116:117], v[118:119], v[116:117], 1.0
	v_mul_f64 v[118:119], v[134:135], -v[116:117]
.LBB56_51:
	s_or_b64 exec, exec, s[16:17]
.LBB56_52:
	s_or_b64 exec, exec, s[0:1]
	v_cmp_ne_u32_e32 vcc, v129, v126
	s_and_saveexec_b64 s[0:1], vcc
	s_xor_b64 s[0:1], exec, s[0:1]
	s_cbranch_execz .LBB56_58
; %bb.53:
	v_cmp_eq_u32_e32 vcc, 2, v129
	s_and_saveexec_b64 s[16:17], vcc
	s_cbranch_execz .LBB56_57
; %bb.54:
	v_cmp_ne_u32_e32 vcc, 2, v126
	s_xor_b64 s[18:19], s[14:15], -1
	s_and_b64 s[22:23], s[18:19], vcc
	s_and_saveexec_b64 s[18:19], s[22:23]
	s_cbranch_execz .LBB56_56
; %bb.55:
	v_ashrrev_i32_e32 v127, 31, v126
	v_lshl_add_u64 v[134:135], v[126:127], 2, v[124:125]
	global_load_dword v127, v[134:135], off
	global_load_dword v129, v[124:125], off offset:8
	s_waitcnt vmcnt(1)
	global_store_dword v[124:125], v127, off offset:8
	s_waitcnt vmcnt(1)
	global_store_dword v[134:135], v129, off
.LBB56_56:
	s_or_b64 exec, exec, s[18:19]
	v_mov_b32_e32 v129, v126
	v_mov_b32_e32 v131, v126
.LBB56_57:
	s_or_b64 exec, exec, s[16:17]
.LBB56_58:
	s_andn2_saveexec_b64 s[0:1], s[0:1]
	s_cbranch_execz .LBB56_60
; %bb.59:
	v_mov_b32_e32 v129, 2
	s_waitcnt vmcnt(25)
	ds_write2_b64 v128, v[104:105], v[106:107] offset0:6 offset1:7
	s_waitcnt vmcnt(24)
	ds_write2_b64 v128, v[100:101], v[102:103] offset0:8 offset1:9
	;; [unrolled: 2-line block ×26, first 2 shown]
.LBB56_60:
	s_or_b64 exec, exec, s[0:1]
	v_cmp_lt_i32_e32 vcc, 2, v129
	s_waitcnt lgkmcnt(0)
	s_barrier
	s_and_saveexec_b64 s[0:1], vcc
	s_cbranch_execz .LBB56_62
; %bb.61:
	ds_read2_b64 v[134:137], v128 offset0:6 offset1:7
	v_mul_f64 v[126:127], v[118:119], v[110:111]
	v_mul_f64 v[110:111], v[116:117], v[110:111]
	v_fma_f64 v[126:127], v[116:117], v[108:109], -v[126:127]
	v_fmac_f64_e32 v[110:111], v[118:119], v[108:109]
	ds_read2_b64 v[116:119], v128 offset0:8 offset1:9
	s_waitcnt lgkmcnt(1)
	v_mul_f64 v[108:109], v[136:137], v[110:111]
	v_fma_f64 v[108:109], v[134:135], v[126:127], -v[108:109]
	v_mul_f64 v[134:135], v[134:135], v[110:111]
	v_fmac_f64_e32 v[134:135], v[136:137], v[126:127]
	s_waitcnt vmcnt(25)
	v_add_f64 v[104:105], v[104:105], -v[108:109]
	s_waitcnt lgkmcnt(0)
	v_mul_f64 v[108:109], v[118:119], v[110:111]
	v_add_f64 v[106:107], v[106:107], -v[134:135]
	v_fma_f64 v[108:109], v[116:117], v[126:127], -v[108:109]
	v_mul_f64 v[116:117], v[116:117], v[110:111]
	ds_read2_b64 v[134:137], v128 offset0:10 offset1:11
	v_fmac_f64_e32 v[116:117], v[118:119], v[126:127]
	s_waitcnt vmcnt(24)
	v_add_f64 v[102:103], v[102:103], -v[116:117]
	ds_read2_b64 v[116:119], v128 offset0:12 offset1:13
	v_add_f64 v[100:101], v[100:101], -v[108:109]
	s_waitcnt lgkmcnt(1)
	v_mul_f64 v[108:109], v[136:137], v[110:111]
	v_fma_f64 v[108:109], v[134:135], v[126:127], -v[108:109]
	v_mul_f64 v[134:135], v[134:135], v[110:111]
	v_fmac_f64_e32 v[134:135], v[136:137], v[126:127]
	s_waitcnt vmcnt(23)
	v_add_f64 v[96:97], v[96:97], -v[108:109]
	s_waitcnt lgkmcnt(0)
	v_mul_f64 v[108:109], v[118:119], v[110:111]
	v_add_f64 v[98:99], v[98:99], -v[134:135]
	v_fma_f64 v[108:109], v[116:117], v[126:127], -v[108:109]
	v_mul_f64 v[116:117], v[116:117], v[110:111]
	ds_read2_b64 v[134:137], v128 offset0:14 offset1:15
	v_fmac_f64_e32 v[116:117], v[118:119], v[126:127]
	s_waitcnt vmcnt(22)
	v_add_f64 v[94:95], v[94:95], -v[116:117]
	ds_read2_b64 v[116:119], v128 offset0:16 offset1:17
	v_add_f64 v[92:93], v[92:93], -v[108:109]
	;; [unrolled: 18-line block ×12, first 2 shown]
	s_waitcnt lgkmcnt(1)
	v_mul_f64 v[108:109], v[136:137], v[110:111]
	v_fma_f64 v[108:109], v[134:135], v[126:127], -v[108:109]
	s_waitcnt vmcnt(1)
	v_add_f64 v[0:1], v[0:1], -v[108:109]
	s_waitcnt lgkmcnt(0)
	v_mul_f64 v[108:109], v[118:119], v[110:111]
	v_mul_f64 v[134:135], v[134:135], v[110:111]
	v_fma_f64 v[108:109], v[116:117], v[126:127], -v[108:109]
	v_mul_f64 v[116:117], v[116:117], v[110:111]
	v_fmac_f64_e32 v[134:135], v[136:137], v[126:127]
	v_fmac_f64_e32 v[116:117], v[118:119], v[126:127]
	v_add_f64 v[2:3], v[2:3], -v[134:135]
	s_waitcnt vmcnt(0)
	v_add_f64 v[112:113], v[112:113], -v[108:109]
	v_add_f64 v[114:115], v[114:115], -v[116:117]
	v_mov_b64_e32 v[108:109], v[126:127]
.LBB56_62:
	s_or_b64 exec, exec, s[0:1]
	v_lshl_add_u32 v116, v129, 4, v128
	s_barrier
	s_waitcnt vmcnt(25)
	ds_write2_b64 v116, v[104:105], v[106:107] offset1:1
	s_waitcnt lgkmcnt(0)
	s_barrier
	ds_read2_b64 v[116:119], v128 offset0:6 offset1:7
	s_mov_b32 s16, 4
	s_cmp_lt_i32 s20, 5
	v_mov_b32_e32 v126, 3
	s_cbranch_scc1 .LBB56_65
; %bb.63:
	v_add3_u32 v127, v132, 0, 64
	v_mov_b32_e32 v126, 3
.LBB56_64:                              ; =>This Inner Loop Header: Depth=1
	ds_read2_b64 v[132:135], v127 offset1:1
	s_waitcnt lgkmcnt(1)
	v_xor_b32_e32 v137, 0x80000000, v117
	v_xor_b32_e32 v139, 0x80000000, v119
	v_cmp_gt_f64_e32 vcc, 0, v[118:119]
	v_cmp_gt_f64_e64 s[0:1], 0, v[116:117]
	v_mov_b32_e32 v136, v116
	v_mov_b32_e32 v138, v118
	v_cndmask_b32_e64 v137, v117, v137, s[0:1]
	v_cndmask_b32_e32 v139, v119, v139, vcc
	v_add_f64 v[136:137], v[136:137], v[138:139]
	s_waitcnt lgkmcnt(0)
	v_xor_b32_e32 v139, 0x80000000, v133
	v_xor_b32_e32 v141, 0x80000000, v135
	v_cmp_gt_f64_e32 vcc, 0, v[134:135]
	v_cmp_gt_f64_e64 s[0:1], 0, v[132:133]
	v_mov_b32_e32 v138, v132
	v_mov_b32_e32 v140, v134
	v_cndmask_b32_e64 v139, v133, v139, s[0:1]
	v_cndmask_b32_e32 v141, v135, v141, vcc
	v_add_f64 v[138:139], v[138:139], v[140:141]
	v_mov_b32_e32 v142, s16
	s_add_i32 s16, s16, 1
	v_cmp_lt_f64_e32 vcc, v[136:137], v[138:139]
	v_add_u32_e32 v127, 16, v127
	s_cmp_lg_u32 s20, s16
	v_cndmask_b32_e32 v117, v117, v133, vcc
	v_cndmask_b32_e32 v116, v116, v132, vcc
	;; [unrolled: 1-line block ×5, first 2 shown]
	s_cbranch_scc1 .LBB56_64
.LBB56_65:
	s_waitcnt lgkmcnt(0)
	v_cmp_eq_f64_e32 vcc, 0, v[116:117]
	v_cmp_eq_f64_e64 s[0:1], 0, v[118:119]
	s_and_b64 s[0:1], vcc, s[0:1]
	s_and_saveexec_b64 s[16:17], s[0:1]
	s_xor_b64 s[0:1], exec, s[16:17]
; %bb.66:
	v_cmp_ne_u32_e32 vcc, 0, v130
	s_nop 1
	v_cndmask_b32_e32 v130, 4, v130, vcc
; %bb.67:
	s_andn2_saveexec_b64 s[0:1], s[0:1]
	s_cbranch_execz .LBB56_73
; %bb.68:
	v_cmp_ngt_f64_e64 s[16:17], |v[116:117]|, |v[118:119]|
	s_and_saveexec_b64 s[18:19], s[16:17]
	s_xor_b64 s[16:17], exec, s[18:19]
	s_cbranch_execz .LBB56_70
; %bb.69:
	v_div_scale_f64 v[132:133], s[18:19], v[118:119], v[118:119], v[116:117]
	v_rcp_f64_e32 v[134:135], v[132:133]
	v_div_scale_f64 v[136:137], vcc, v[116:117], v[118:119], v[116:117]
	v_fma_f64 v[138:139], -v[132:133], v[134:135], 1.0
	v_fmac_f64_e32 v[134:135], v[134:135], v[138:139]
	v_fma_f64 v[138:139], -v[132:133], v[134:135], 1.0
	v_fmac_f64_e32 v[134:135], v[134:135], v[138:139]
	v_mul_f64 v[138:139], v[136:137], v[134:135]
	v_fma_f64 v[132:133], -v[132:133], v[138:139], v[136:137]
	v_div_fmas_f64 v[132:133], v[132:133], v[134:135], v[138:139]
	v_div_fixup_f64 v[132:133], v[132:133], v[118:119], v[116:117]
	v_fmac_f64_e32 v[118:119], v[116:117], v[132:133]
	v_div_scale_f64 v[116:117], s[18:19], v[118:119], v[118:119], 1.0
	v_rcp_f64_e32 v[134:135], v[116:117]
	s_nop 0
	v_fma_f64 v[136:137], -v[116:117], v[134:135], 1.0
	v_fmac_f64_e32 v[134:135], v[134:135], v[136:137]
	v_fma_f64 v[136:137], -v[116:117], v[134:135], 1.0
	v_fmac_f64_e32 v[134:135], v[134:135], v[136:137]
	v_div_scale_f64 v[136:137], vcc, 1.0, v[118:119], 1.0
	v_mul_f64 v[138:139], v[136:137], v[134:135]
	v_fma_f64 v[116:117], -v[116:117], v[138:139], v[136:137]
	s_nop 1
	v_div_fmas_f64 v[116:117], v[116:117], v[134:135], v[138:139]
	v_div_fixup_f64 v[118:119], v[116:117], v[118:119], 1.0
	v_mul_f64 v[116:117], v[132:133], v[118:119]
	v_xor_b32_e32 v119, 0x80000000, v119
.LBB56_70:
	s_andn2_saveexec_b64 s[16:17], s[16:17]
	s_cbranch_execz .LBB56_72
; %bb.71:
	v_div_scale_f64 v[132:133], s[18:19], v[116:117], v[116:117], v[118:119]
	v_rcp_f64_e32 v[134:135], v[132:133]
	v_div_scale_f64 v[136:137], vcc, v[118:119], v[116:117], v[118:119]
	v_fma_f64 v[138:139], -v[132:133], v[134:135], 1.0
	v_fmac_f64_e32 v[134:135], v[134:135], v[138:139]
	v_fma_f64 v[138:139], -v[132:133], v[134:135], 1.0
	v_fmac_f64_e32 v[134:135], v[134:135], v[138:139]
	v_mul_f64 v[138:139], v[136:137], v[134:135]
	v_fma_f64 v[132:133], -v[132:133], v[138:139], v[136:137]
	v_div_fmas_f64 v[132:133], v[132:133], v[134:135], v[138:139]
	v_div_fixup_f64 v[132:133], v[132:133], v[116:117], v[118:119]
	v_fmac_f64_e32 v[116:117], v[118:119], v[132:133]
	v_div_scale_f64 v[118:119], s[18:19], v[116:117], v[116:117], 1.0
	v_rcp_f64_e32 v[134:135], v[118:119]
	s_nop 0
	v_fma_f64 v[136:137], -v[118:119], v[134:135], 1.0
	v_fmac_f64_e32 v[134:135], v[134:135], v[136:137]
	v_fma_f64 v[136:137], -v[118:119], v[134:135], 1.0
	v_fmac_f64_e32 v[134:135], v[134:135], v[136:137]
	v_div_scale_f64 v[136:137], vcc, 1.0, v[116:117], 1.0
	v_mul_f64 v[138:139], v[136:137], v[134:135]
	v_fma_f64 v[118:119], -v[118:119], v[138:139], v[136:137]
	s_nop 1
	v_div_fmas_f64 v[118:119], v[118:119], v[134:135], v[138:139]
	v_div_fixup_f64 v[116:117], v[118:119], v[116:117], 1.0
	v_mul_f64 v[118:119], v[132:133], -v[116:117]
.LBB56_72:
	s_or_b64 exec, exec, s[16:17]
.LBB56_73:
	s_or_b64 exec, exec, s[0:1]
	v_cmp_ne_u32_e32 vcc, v129, v126
	s_and_saveexec_b64 s[0:1], vcc
	s_xor_b64 s[0:1], exec, s[0:1]
	s_cbranch_execz .LBB56_79
; %bb.74:
	v_cmp_eq_u32_e32 vcc, 3, v129
	s_and_saveexec_b64 s[16:17], vcc
	s_cbranch_execz .LBB56_78
; %bb.75:
	v_cmp_ne_u32_e32 vcc, 3, v126
	s_xor_b64 s[18:19], s[14:15], -1
	s_and_b64 s[22:23], s[18:19], vcc
	s_and_saveexec_b64 s[18:19], s[22:23]
	s_cbranch_execz .LBB56_77
; %bb.76:
	v_ashrrev_i32_e32 v127, 31, v126
	v_lshl_add_u64 v[132:133], v[126:127], 2, v[124:125]
	global_load_dword v127, v[132:133], off
	global_load_dword v129, v[124:125], off offset:12
	s_waitcnt vmcnt(1)
	global_store_dword v[124:125], v127, off offset:12
	s_waitcnt vmcnt(1)
	global_store_dword v[132:133], v129, off
.LBB56_77:
	s_or_b64 exec, exec, s[18:19]
	v_mov_b32_e32 v129, v126
	v_mov_b32_e32 v131, v126
.LBB56_78:
	s_or_b64 exec, exec, s[16:17]
.LBB56_79:
	s_andn2_saveexec_b64 s[0:1], s[0:1]
	s_cbranch_execz .LBB56_81
; %bb.80:
	v_mov_b32_e32 v129, 3
	s_waitcnt vmcnt(24)
	ds_write2_b64 v128, v[100:101], v[102:103] offset0:8 offset1:9
	s_waitcnt vmcnt(23)
	ds_write2_b64 v128, v[96:97], v[98:99] offset0:10 offset1:11
	;; [unrolled: 2-line block ×25, first 2 shown]
.LBB56_81:
	s_or_b64 exec, exec, s[0:1]
	v_cmp_lt_i32_e32 vcc, 3, v129
	s_waitcnt lgkmcnt(0)
	s_barrier
	s_and_saveexec_b64 s[0:1], vcc
	s_cbranch_execz .LBB56_83
; %bb.82:
	ds_read2_b64 v[132:135], v128 offset0:8 offset1:9
	v_mul_f64 v[126:127], v[118:119], v[106:107]
	v_mul_f64 v[106:107], v[116:117], v[106:107]
	v_fmac_f64_e32 v[106:107], v[118:119], v[104:105]
	v_fma_f64 v[126:127], v[116:117], v[104:105], -v[126:127]
	ds_read2_b64 v[116:119], v128 offset0:10 offset1:11
	s_waitcnt lgkmcnt(1)
	v_mul_f64 v[104:105], v[134:135], v[106:107]
	v_fma_f64 v[104:105], v[132:133], v[126:127], -v[104:105]
	v_mul_f64 v[132:133], v[132:133], v[106:107]
	v_fmac_f64_e32 v[132:133], v[134:135], v[126:127]
	s_waitcnt vmcnt(24)
	v_add_f64 v[102:103], v[102:103], -v[132:133]
	ds_read2_b64 v[132:135], v128 offset0:12 offset1:13
	v_add_f64 v[100:101], v[100:101], -v[104:105]
	s_waitcnt lgkmcnt(1)
	v_mul_f64 v[104:105], v[118:119], v[106:107]
	v_fma_f64 v[104:105], v[116:117], v[126:127], -v[104:105]
	v_mul_f64 v[116:117], v[116:117], v[106:107]
	v_fmac_f64_e32 v[116:117], v[118:119], v[126:127]
	s_waitcnt vmcnt(23)
	v_add_f64 v[96:97], v[96:97], -v[104:105]
	v_add_f64 v[98:99], v[98:99], -v[116:117]
	ds_read2_b64 v[116:119], v128 offset0:14 offset1:15
	s_waitcnt lgkmcnt(1)
	v_mul_f64 v[104:105], v[134:135], v[106:107]
	v_fma_f64 v[104:105], v[132:133], v[126:127], -v[104:105]
	v_mul_f64 v[132:133], v[132:133], v[106:107]
	v_fmac_f64_e32 v[132:133], v[134:135], v[126:127]
	s_waitcnt vmcnt(22)
	v_add_f64 v[94:95], v[94:95], -v[132:133]
	ds_read2_b64 v[132:135], v128 offset0:16 offset1:17
	v_add_f64 v[92:93], v[92:93], -v[104:105]
	s_waitcnt lgkmcnt(1)
	v_mul_f64 v[104:105], v[118:119], v[106:107]
	v_fma_f64 v[104:105], v[116:117], v[126:127], -v[104:105]
	v_mul_f64 v[116:117], v[116:117], v[106:107]
	v_fmac_f64_e32 v[116:117], v[118:119], v[126:127]
	s_waitcnt vmcnt(21)
	v_add_f64 v[88:89], v[88:89], -v[104:105]
	v_add_f64 v[90:91], v[90:91], -v[116:117]
	;; [unrolled: 18-line block ×12, first 2 shown]
	s_waitcnt lgkmcnt(0)
	v_mul_f64 v[104:105], v[134:135], v[106:107]
	v_mul_f64 v[116:117], v[132:133], v[106:107]
	v_fma_f64 v[104:105], v[132:133], v[126:127], -v[104:105]
	v_fmac_f64_e32 v[116:117], v[134:135], v[126:127]
	s_waitcnt vmcnt(0)
	v_add_f64 v[112:113], v[112:113], -v[104:105]
	v_add_f64 v[114:115], v[114:115], -v[116:117]
	v_mov_b64_e32 v[104:105], v[126:127]
.LBB56_83:
	s_or_b64 exec, exec, s[0:1]
	v_lshl_add_u32 v116, v129, 4, v128
	s_barrier
	s_waitcnt vmcnt(24)
	ds_write2_b64 v116, v[100:101], v[102:103] offset1:1
	s_waitcnt lgkmcnt(0)
	s_barrier
	ds_read2_b64 v[116:119], v128 offset0:8 offset1:9
	s_cmp_lt_i32 s20, 6
	v_mov_b32_e32 v126, 4
	s_cbranch_scc1 .LBB56_86
; %bb.84:
	v_mov_b32_e32 v126, 4
	v_add_u32_e32 v127, 0x50, v128
	s_mov_b32 s16, 5
.LBB56_85:                              ; =>This Inner Loop Header: Depth=1
	ds_read2_b64 v[132:135], v127 offset1:1
	s_waitcnt lgkmcnt(1)
	v_xor_b32_e32 v137, 0x80000000, v117
	v_xor_b32_e32 v139, 0x80000000, v119
	v_cmp_gt_f64_e32 vcc, 0, v[118:119]
	v_cmp_gt_f64_e64 s[0:1], 0, v[116:117]
	v_mov_b32_e32 v136, v116
	v_mov_b32_e32 v138, v118
	v_cndmask_b32_e64 v137, v117, v137, s[0:1]
	v_cndmask_b32_e32 v139, v119, v139, vcc
	v_add_f64 v[136:137], v[136:137], v[138:139]
	s_waitcnt lgkmcnt(0)
	v_xor_b32_e32 v139, 0x80000000, v133
	v_xor_b32_e32 v141, 0x80000000, v135
	v_cmp_gt_f64_e32 vcc, 0, v[134:135]
	v_cmp_gt_f64_e64 s[0:1], 0, v[132:133]
	v_mov_b32_e32 v138, v132
	v_mov_b32_e32 v140, v134
	v_cndmask_b32_e64 v139, v133, v139, s[0:1]
	v_cndmask_b32_e32 v141, v135, v141, vcc
	v_add_f64 v[138:139], v[138:139], v[140:141]
	v_mov_b32_e32 v142, s16
	s_add_i32 s16, s16, 1
	v_cmp_lt_f64_e32 vcc, v[136:137], v[138:139]
	v_add_u32_e32 v127, 16, v127
	s_cmp_lg_u32 s20, s16
	v_cndmask_b32_e32 v117, v117, v133, vcc
	v_cndmask_b32_e32 v116, v116, v132, vcc
	;; [unrolled: 1-line block ×5, first 2 shown]
	s_cbranch_scc1 .LBB56_85
.LBB56_86:
	s_waitcnt lgkmcnt(0)
	v_cmp_eq_f64_e32 vcc, 0, v[116:117]
	v_cmp_eq_f64_e64 s[0:1], 0, v[118:119]
	s_and_b64 s[0:1], vcc, s[0:1]
	s_and_saveexec_b64 s[16:17], s[0:1]
	s_xor_b64 s[0:1], exec, s[16:17]
; %bb.87:
	v_cmp_ne_u32_e32 vcc, 0, v130
	s_nop 1
	v_cndmask_b32_e32 v130, 5, v130, vcc
; %bb.88:
	s_andn2_saveexec_b64 s[0:1], s[0:1]
	s_cbranch_execz .LBB56_94
; %bb.89:
	v_cmp_ngt_f64_e64 s[16:17], |v[116:117]|, |v[118:119]|
	s_and_saveexec_b64 s[18:19], s[16:17]
	s_xor_b64 s[16:17], exec, s[18:19]
	s_cbranch_execz .LBB56_91
; %bb.90:
	v_div_scale_f64 v[132:133], s[18:19], v[118:119], v[118:119], v[116:117]
	v_rcp_f64_e32 v[134:135], v[132:133]
	v_div_scale_f64 v[136:137], vcc, v[116:117], v[118:119], v[116:117]
	v_fma_f64 v[138:139], -v[132:133], v[134:135], 1.0
	v_fmac_f64_e32 v[134:135], v[134:135], v[138:139]
	v_fma_f64 v[138:139], -v[132:133], v[134:135], 1.0
	v_fmac_f64_e32 v[134:135], v[134:135], v[138:139]
	v_mul_f64 v[138:139], v[136:137], v[134:135]
	v_fma_f64 v[132:133], -v[132:133], v[138:139], v[136:137]
	v_div_fmas_f64 v[132:133], v[132:133], v[134:135], v[138:139]
	v_div_fixup_f64 v[132:133], v[132:133], v[118:119], v[116:117]
	v_fmac_f64_e32 v[118:119], v[116:117], v[132:133]
	v_div_scale_f64 v[116:117], s[18:19], v[118:119], v[118:119], 1.0
	v_rcp_f64_e32 v[134:135], v[116:117]
	s_nop 0
	v_fma_f64 v[136:137], -v[116:117], v[134:135], 1.0
	v_fmac_f64_e32 v[134:135], v[134:135], v[136:137]
	v_fma_f64 v[136:137], -v[116:117], v[134:135], 1.0
	v_fmac_f64_e32 v[134:135], v[134:135], v[136:137]
	v_div_scale_f64 v[136:137], vcc, 1.0, v[118:119], 1.0
	v_mul_f64 v[138:139], v[136:137], v[134:135]
	v_fma_f64 v[116:117], -v[116:117], v[138:139], v[136:137]
	s_nop 1
	v_div_fmas_f64 v[116:117], v[116:117], v[134:135], v[138:139]
	v_div_fixup_f64 v[118:119], v[116:117], v[118:119], 1.0
	v_mul_f64 v[116:117], v[132:133], v[118:119]
	v_xor_b32_e32 v119, 0x80000000, v119
.LBB56_91:
	s_andn2_saveexec_b64 s[16:17], s[16:17]
	s_cbranch_execz .LBB56_93
; %bb.92:
	v_div_scale_f64 v[132:133], s[18:19], v[116:117], v[116:117], v[118:119]
	v_rcp_f64_e32 v[134:135], v[132:133]
	v_div_scale_f64 v[136:137], vcc, v[118:119], v[116:117], v[118:119]
	v_fma_f64 v[138:139], -v[132:133], v[134:135], 1.0
	v_fmac_f64_e32 v[134:135], v[134:135], v[138:139]
	v_fma_f64 v[138:139], -v[132:133], v[134:135], 1.0
	v_fmac_f64_e32 v[134:135], v[134:135], v[138:139]
	v_mul_f64 v[138:139], v[136:137], v[134:135]
	v_fma_f64 v[132:133], -v[132:133], v[138:139], v[136:137]
	v_div_fmas_f64 v[132:133], v[132:133], v[134:135], v[138:139]
	v_div_fixup_f64 v[132:133], v[132:133], v[116:117], v[118:119]
	v_fmac_f64_e32 v[116:117], v[118:119], v[132:133]
	v_div_scale_f64 v[118:119], s[18:19], v[116:117], v[116:117], 1.0
	v_rcp_f64_e32 v[134:135], v[118:119]
	s_nop 0
	v_fma_f64 v[136:137], -v[118:119], v[134:135], 1.0
	v_fmac_f64_e32 v[134:135], v[134:135], v[136:137]
	v_fma_f64 v[136:137], -v[118:119], v[134:135], 1.0
	v_fmac_f64_e32 v[134:135], v[134:135], v[136:137]
	v_div_scale_f64 v[136:137], vcc, 1.0, v[116:117], 1.0
	v_mul_f64 v[138:139], v[136:137], v[134:135]
	v_fma_f64 v[118:119], -v[118:119], v[138:139], v[136:137]
	s_nop 1
	v_div_fmas_f64 v[118:119], v[118:119], v[134:135], v[138:139]
	v_div_fixup_f64 v[116:117], v[118:119], v[116:117], 1.0
	v_mul_f64 v[118:119], v[132:133], -v[116:117]
.LBB56_93:
	s_or_b64 exec, exec, s[16:17]
.LBB56_94:
	s_or_b64 exec, exec, s[0:1]
	v_cmp_ne_u32_e32 vcc, v129, v126
	s_and_saveexec_b64 s[0:1], vcc
	s_xor_b64 s[0:1], exec, s[0:1]
	s_cbranch_execz .LBB56_100
; %bb.95:
	v_cmp_eq_u32_e32 vcc, 4, v129
	s_and_saveexec_b64 s[16:17], vcc
	s_cbranch_execz .LBB56_99
; %bb.96:
	v_cmp_ne_u32_e32 vcc, 4, v126
	s_xor_b64 s[18:19], s[14:15], -1
	s_and_b64 s[22:23], s[18:19], vcc
	s_and_saveexec_b64 s[18:19], s[22:23]
	s_cbranch_execz .LBB56_98
; %bb.97:
	v_ashrrev_i32_e32 v127, 31, v126
	v_lshl_add_u64 v[132:133], v[126:127], 2, v[124:125]
	global_load_dword v127, v[132:133], off
	global_load_dword v129, v[124:125], off offset:16
	s_waitcnt vmcnt(1)
	global_store_dword v[124:125], v127, off offset:16
	s_waitcnt vmcnt(1)
	global_store_dword v[132:133], v129, off
.LBB56_98:
	s_or_b64 exec, exec, s[18:19]
	v_mov_b32_e32 v129, v126
	v_mov_b32_e32 v131, v126
.LBB56_99:
	s_or_b64 exec, exec, s[16:17]
.LBB56_100:
	s_andn2_saveexec_b64 s[0:1], s[0:1]
	s_cbranch_execz .LBB56_102
; %bb.101:
	v_mov_b32_e32 v129, 4
	s_waitcnt vmcnt(23)
	ds_write2_b64 v128, v[96:97], v[98:99] offset0:10 offset1:11
	s_waitcnt vmcnt(22)
	ds_write2_b64 v128, v[92:93], v[94:95] offset0:12 offset1:13
	;; [unrolled: 2-line block ×24, first 2 shown]
.LBB56_102:
	s_or_b64 exec, exec, s[0:1]
	v_cmp_lt_i32_e32 vcc, 4, v129
	s_waitcnt lgkmcnt(0)
	s_barrier
	s_and_saveexec_b64 s[0:1], vcc
	s_cbranch_execz .LBB56_104
; %bb.103:
	ds_read2_b64 v[132:135], v128 offset0:10 offset1:11
	v_mul_f64 v[126:127], v[118:119], v[102:103]
	v_mul_f64 v[102:103], v[116:117], v[102:103]
	v_fma_f64 v[126:127], v[116:117], v[100:101], -v[126:127]
	v_fmac_f64_e32 v[102:103], v[118:119], v[100:101]
	ds_read2_b64 v[116:119], v128 offset0:12 offset1:13
	s_waitcnt lgkmcnt(1)
	v_mul_f64 v[100:101], v[134:135], v[102:103]
	v_fma_f64 v[100:101], v[132:133], v[126:127], -v[100:101]
	v_mul_f64 v[132:133], v[132:133], v[102:103]
	v_fmac_f64_e32 v[132:133], v[134:135], v[126:127]
	s_waitcnt vmcnt(23)
	v_add_f64 v[96:97], v[96:97], -v[100:101]
	s_waitcnt lgkmcnt(0)
	v_mul_f64 v[100:101], v[118:119], v[102:103]
	v_add_f64 v[98:99], v[98:99], -v[132:133]
	v_fma_f64 v[100:101], v[116:117], v[126:127], -v[100:101]
	v_mul_f64 v[116:117], v[116:117], v[102:103]
	ds_read2_b64 v[132:135], v128 offset0:14 offset1:15
	v_fmac_f64_e32 v[116:117], v[118:119], v[126:127]
	s_waitcnt vmcnt(22)
	v_add_f64 v[94:95], v[94:95], -v[116:117]
	ds_read2_b64 v[116:119], v128 offset0:16 offset1:17
	v_add_f64 v[92:93], v[92:93], -v[100:101]
	s_waitcnt lgkmcnt(1)
	v_mul_f64 v[100:101], v[134:135], v[102:103]
	v_fma_f64 v[100:101], v[132:133], v[126:127], -v[100:101]
	v_mul_f64 v[132:133], v[132:133], v[102:103]
	v_fmac_f64_e32 v[132:133], v[134:135], v[126:127]
	s_waitcnt vmcnt(21)
	v_add_f64 v[88:89], v[88:89], -v[100:101]
	s_waitcnt lgkmcnt(0)
	v_mul_f64 v[100:101], v[118:119], v[102:103]
	v_add_f64 v[90:91], v[90:91], -v[132:133]
	v_fma_f64 v[100:101], v[116:117], v[126:127], -v[100:101]
	v_mul_f64 v[116:117], v[116:117], v[102:103]
	ds_read2_b64 v[132:135], v128 offset0:18 offset1:19
	v_fmac_f64_e32 v[116:117], v[118:119], v[126:127]
	s_waitcnt vmcnt(20)
	v_add_f64 v[86:87], v[86:87], -v[116:117]
	ds_read2_b64 v[116:119], v128 offset0:20 offset1:21
	v_add_f64 v[84:85], v[84:85], -v[100:101]
	;; [unrolled: 18-line block ×11, first 2 shown]
	s_waitcnt lgkmcnt(1)
	v_mul_f64 v[100:101], v[134:135], v[102:103]
	v_fma_f64 v[100:101], v[132:133], v[126:127], -v[100:101]
	s_waitcnt vmcnt(1)
	v_add_f64 v[0:1], v[0:1], -v[100:101]
	s_waitcnt lgkmcnt(0)
	v_mul_f64 v[100:101], v[118:119], v[102:103]
	v_mul_f64 v[132:133], v[132:133], v[102:103]
	v_fma_f64 v[100:101], v[116:117], v[126:127], -v[100:101]
	v_mul_f64 v[116:117], v[116:117], v[102:103]
	v_fmac_f64_e32 v[132:133], v[134:135], v[126:127]
	v_fmac_f64_e32 v[116:117], v[118:119], v[126:127]
	v_add_f64 v[2:3], v[2:3], -v[132:133]
	s_waitcnt vmcnt(0)
	v_add_f64 v[112:113], v[112:113], -v[100:101]
	v_add_f64 v[114:115], v[114:115], -v[116:117]
	v_mov_b64_e32 v[100:101], v[126:127]
.LBB56_104:
	s_or_b64 exec, exec, s[0:1]
	v_lshl_add_u32 v116, v129, 4, v128
	s_barrier
	s_waitcnt vmcnt(23)
	ds_write2_b64 v116, v[96:97], v[98:99] offset1:1
	s_waitcnt lgkmcnt(0)
	s_barrier
	ds_read2_b64 v[116:119], v128 offset0:10 offset1:11
	s_cmp_lt_i32 s20, 7
	v_mov_b32_e32 v126, 5
	s_cbranch_scc1 .LBB56_107
; %bb.105:
	v_add_u32_e32 v127, 0x60, v128
	s_mov_b32 s16, 6
	v_mov_b32_e32 v126, 5
.LBB56_106:                             ; =>This Inner Loop Header: Depth=1
	ds_read2_b64 v[132:135], v127 offset1:1
	s_waitcnt lgkmcnt(1)
	v_xor_b32_e32 v137, 0x80000000, v117
	v_xor_b32_e32 v139, 0x80000000, v119
	v_cmp_gt_f64_e32 vcc, 0, v[118:119]
	v_cmp_gt_f64_e64 s[0:1], 0, v[116:117]
	v_mov_b32_e32 v136, v116
	v_mov_b32_e32 v138, v118
	v_cndmask_b32_e64 v137, v117, v137, s[0:1]
	v_cndmask_b32_e32 v139, v119, v139, vcc
	v_add_f64 v[136:137], v[136:137], v[138:139]
	s_waitcnt lgkmcnt(0)
	v_xor_b32_e32 v139, 0x80000000, v133
	v_xor_b32_e32 v141, 0x80000000, v135
	v_cmp_gt_f64_e32 vcc, 0, v[134:135]
	v_cmp_gt_f64_e64 s[0:1], 0, v[132:133]
	v_mov_b32_e32 v138, v132
	v_mov_b32_e32 v140, v134
	v_cndmask_b32_e64 v139, v133, v139, s[0:1]
	v_cndmask_b32_e32 v141, v135, v141, vcc
	v_add_f64 v[138:139], v[138:139], v[140:141]
	v_mov_b32_e32 v142, s16
	s_add_i32 s16, s16, 1
	v_cmp_lt_f64_e32 vcc, v[136:137], v[138:139]
	v_add_u32_e32 v127, 16, v127
	s_cmp_lg_u32 s20, s16
	v_cndmask_b32_e32 v117, v117, v133, vcc
	v_cndmask_b32_e32 v116, v116, v132, vcc
	v_cndmask_b32_e32 v119, v119, v135, vcc
	v_cndmask_b32_e32 v118, v118, v134, vcc
	v_cndmask_b32_e32 v126, v126, v142, vcc
	s_cbranch_scc1 .LBB56_106
.LBB56_107:
	s_waitcnt lgkmcnt(0)
	v_cmp_eq_f64_e32 vcc, 0, v[116:117]
	v_cmp_eq_f64_e64 s[0:1], 0, v[118:119]
	s_and_b64 s[0:1], vcc, s[0:1]
	s_and_saveexec_b64 s[16:17], s[0:1]
	s_xor_b64 s[0:1], exec, s[16:17]
; %bb.108:
	v_cmp_ne_u32_e32 vcc, 0, v130
	s_nop 1
	v_cndmask_b32_e32 v130, 6, v130, vcc
; %bb.109:
	s_andn2_saveexec_b64 s[0:1], s[0:1]
	s_cbranch_execz .LBB56_115
; %bb.110:
	v_cmp_ngt_f64_e64 s[16:17], |v[116:117]|, |v[118:119]|
	s_and_saveexec_b64 s[18:19], s[16:17]
	s_xor_b64 s[16:17], exec, s[18:19]
	s_cbranch_execz .LBB56_112
; %bb.111:
	v_div_scale_f64 v[132:133], s[18:19], v[118:119], v[118:119], v[116:117]
	v_rcp_f64_e32 v[134:135], v[132:133]
	v_div_scale_f64 v[136:137], vcc, v[116:117], v[118:119], v[116:117]
	v_fma_f64 v[138:139], -v[132:133], v[134:135], 1.0
	v_fmac_f64_e32 v[134:135], v[134:135], v[138:139]
	v_fma_f64 v[138:139], -v[132:133], v[134:135], 1.0
	v_fmac_f64_e32 v[134:135], v[134:135], v[138:139]
	v_mul_f64 v[138:139], v[136:137], v[134:135]
	v_fma_f64 v[132:133], -v[132:133], v[138:139], v[136:137]
	v_div_fmas_f64 v[132:133], v[132:133], v[134:135], v[138:139]
	v_div_fixup_f64 v[132:133], v[132:133], v[118:119], v[116:117]
	v_fmac_f64_e32 v[118:119], v[116:117], v[132:133]
	v_div_scale_f64 v[116:117], s[18:19], v[118:119], v[118:119], 1.0
	v_rcp_f64_e32 v[134:135], v[116:117]
	s_nop 0
	v_fma_f64 v[136:137], -v[116:117], v[134:135], 1.0
	v_fmac_f64_e32 v[134:135], v[134:135], v[136:137]
	v_fma_f64 v[136:137], -v[116:117], v[134:135], 1.0
	v_fmac_f64_e32 v[134:135], v[134:135], v[136:137]
	v_div_scale_f64 v[136:137], vcc, 1.0, v[118:119], 1.0
	v_mul_f64 v[138:139], v[136:137], v[134:135]
	v_fma_f64 v[116:117], -v[116:117], v[138:139], v[136:137]
	s_nop 1
	v_div_fmas_f64 v[116:117], v[116:117], v[134:135], v[138:139]
	v_div_fixup_f64 v[118:119], v[116:117], v[118:119], 1.0
	v_mul_f64 v[116:117], v[132:133], v[118:119]
	v_xor_b32_e32 v119, 0x80000000, v119
.LBB56_112:
	s_andn2_saveexec_b64 s[16:17], s[16:17]
	s_cbranch_execz .LBB56_114
; %bb.113:
	v_div_scale_f64 v[132:133], s[18:19], v[116:117], v[116:117], v[118:119]
	v_rcp_f64_e32 v[134:135], v[132:133]
	v_div_scale_f64 v[136:137], vcc, v[118:119], v[116:117], v[118:119]
	v_fma_f64 v[138:139], -v[132:133], v[134:135], 1.0
	v_fmac_f64_e32 v[134:135], v[134:135], v[138:139]
	v_fma_f64 v[138:139], -v[132:133], v[134:135], 1.0
	v_fmac_f64_e32 v[134:135], v[134:135], v[138:139]
	v_mul_f64 v[138:139], v[136:137], v[134:135]
	v_fma_f64 v[132:133], -v[132:133], v[138:139], v[136:137]
	v_div_fmas_f64 v[132:133], v[132:133], v[134:135], v[138:139]
	v_div_fixup_f64 v[132:133], v[132:133], v[116:117], v[118:119]
	v_fmac_f64_e32 v[116:117], v[118:119], v[132:133]
	v_div_scale_f64 v[118:119], s[18:19], v[116:117], v[116:117], 1.0
	v_rcp_f64_e32 v[134:135], v[118:119]
	s_nop 0
	v_fma_f64 v[136:137], -v[118:119], v[134:135], 1.0
	v_fmac_f64_e32 v[134:135], v[134:135], v[136:137]
	v_fma_f64 v[136:137], -v[118:119], v[134:135], 1.0
	v_fmac_f64_e32 v[134:135], v[134:135], v[136:137]
	v_div_scale_f64 v[136:137], vcc, 1.0, v[116:117], 1.0
	v_mul_f64 v[138:139], v[136:137], v[134:135]
	v_fma_f64 v[118:119], -v[118:119], v[138:139], v[136:137]
	s_nop 1
	v_div_fmas_f64 v[118:119], v[118:119], v[134:135], v[138:139]
	v_div_fixup_f64 v[116:117], v[118:119], v[116:117], 1.0
	v_mul_f64 v[118:119], v[132:133], -v[116:117]
.LBB56_114:
	s_or_b64 exec, exec, s[16:17]
.LBB56_115:
	s_or_b64 exec, exec, s[0:1]
	v_cmp_ne_u32_e32 vcc, v129, v126
	s_and_saveexec_b64 s[0:1], vcc
	s_xor_b64 s[0:1], exec, s[0:1]
	s_cbranch_execz .LBB56_121
; %bb.116:
	v_cmp_eq_u32_e32 vcc, 5, v129
	s_and_saveexec_b64 s[16:17], vcc
	s_cbranch_execz .LBB56_120
; %bb.117:
	v_cmp_ne_u32_e32 vcc, 5, v126
	s_xor_b64 s[18:19], s[14:15], -1
	s_and_b64 s[22:23], s[18:19], vcc
	s_and_saveexec_b64 s[18:19], s[22:23]
	s_cbranch_execz .LBB56_119
; %bb.118:
	v_ashrrev_i32_e32 v127, 31, v126
	v_lshl_add_u64 v[132:133], v[126:127], 2, v[124:125]
	global_load_dword v127, v[132:133], off
	global_load_dword v129, v[124:125], off offset:20
	s_waitcnt vmcnt(1)
	global_store_dword v[124:125], v127, off offset:20
	s_waitcnt vmcnt(1)
	global_store_dword v[132:133], v129, off
.LBB56_119:
	s_or_b64 exec, exec, s[18:19]
	v_mov_b32_e32 v129, v126
	v_mov_b32_e32 v131, v126
.LBB56_120:
	s_or_b64 exec, exec, s[16:17]
.LBB56_121:
	s_andn2_saveexec_b64 s[0:1], s[0:1]
	s_cbranch_execz .LBB56_123
; %bb.122:
	v_mov_b32_e32 v129, 5
	s_waitcnt vmcnt(22)
	ds_write2_b64 v128, v[92:93], v[94:95] offset0:12 offset1:13
	s_waitcnt vmcnt(21)
	ds_write2_b64 v128, v[88:89], v[90:91] offset0:14 offset1:15
	;; [unrolled: 2-line block ×23, first 2 shown]
.LBB56_123:
	s_or_b64 exec, exec, s[0:1]
	v_cmp_lt_i32_e32 vcc, 5, v129
	s_waitcnt lgkmcnt(0)
	s_barrier
	s_and_saveexec_b64 s[0:1], vcc
	s_cbranch_execz .LBB56_125
; %bb.124:
	ds_read2_b64 v[132:135], v128 offset0:12 offset1:13
	v_mul_f64 v[126:127], v[118:119], v[98:99]
	v_mul_f64 v[98:99], v[116:117], v[98:99]
	v_fmac_f64_e32 v[98:99], v[118:119], v[96:97]
	v_fma_f64 v[126:127], v[116:117], v[96:97], -v[126:127]
	ds_read2_b64 v[116:119], v128 offset0:14 offset1:15
	s_waitcnt lgkmcnt(1)
	v_mul_f64 v[96:97], v[134:135], v[98:99]
	v_fma_f64 v[96:97], v[132:133], v[126:127], -v[96:97]
	v_mul_f64 v[132:133], v[132:133], v[98:99]
	v_fmac_f64_e32 v[132:133], v[134:135], v[126:127]
	s_waitcnt vmcnt(22)
	v_add_f64 v[94:95], v[94:95], -v[132:133]
	ds_read2_b64 v[132:135], v128 offset0:16 offset1:17
	v_add_f64 v[92:93], v[92:93], -v[96:97]
	s_waitcnt lgkmcnt(1)
	v_mul_f64 v[96:97], v[118:119], v[98:99]
	v_fma_f64 v[96:97], v[116:117], v[126:127], -v[96:97]
	v_mul_f64 v[116:117], v[116:117], v[98:99]
	v_fmac_f64_e32 v[116:117], v[118:119], v[126:127]
	s_waitcnt vmcnt(21)
	v_add_f64 v[88:89], v[88:89], -v[96:97]
	v_add_f64 v[90:91], v[90:91], -v[116:117]
	ds_read2_b64 v[116:119], v128 offset0:18 offset1:19
	s_waitcnt lgkmcnt(1)
	v_mul_f64 v[96:97], v[134:135], v[98:99]
	v_fma_f64 v[96:97], v[132:133], v[126:127], -v[96:97]
	v_mul_f64 v[132:133], v[132:133], v[98:99]
	v_fmac_f64_e32 v[132:133], v[134:135], v[126:127]
	s_waitcnt vmcnt(20)
	v_add_f64 v[86:87], v[86:87], -v[132:133]
	ds_read2_b64 v[132:135], v128 offset0:20 offset1:21
	v_add_f64 v[84:85], v[84:85], -v[96:97]
	s_waitcnt lgkmcnt(1)
	v_mul_f64 v[96:97], v[118:119], v[98:99]
	v_fma_f64 v[96:97], v[116:117], v[126:127], -v[96:97]
	v_mul_f64 v[116:117], v[116:117], v[98:99]
	v_fmac_f64_e32 v[116:117], v[118:119], v[126:127]
	s_waitcnt vmcnt(19)
	v_add_f64 v[76:77], v[76:77], -v[96:97]
	v_add_f64 v[78:79], v[78:79], -v[116:117]
	;; [unrolled: 18-line block ×11, first 2 shown]
	s_waitcnt lgkmcnt(0)
	v_mul_f64 v[96:97], v[134:135], v[98:99]
	v_mul_f64 v[116:117], v[132:133], v[98:99]
	v_fma_f64 v[96:97], v[132:133], v[126:127], -v[96:97]
	v_fmac_f64_e32 v[116:117], v[134:135], v[126:127]
	s_waitcnt vmcnt(0)
	v_add_f64 v[112:113], v[112:113], -v[96:97]
	v_add_f64 v[114:115], v[114:115], -v[116:117]
	v_mov_b64_e32 v[96:97], v[126:127]
.LBB56_125:
	s_or_b64 exec, exec, s[0:1]
	v_lshl_add_u32 v116, v129, 4, v128
	s_barrier
	s_waitcnt vmcnt(22)
	ds_write2_b64 v116, v[92:93], v[94:95] offset1:1
	s_waitcnt lgkmcnt(0)
	s_barrier
	ds_read2_b64 v[116:119], v128 offset0:12 offset1:13
	s_cmp_lt_i32 s20, 8
	v_mov_b32_e32 v126, 6
	s_cbranch_scc1 .LBB56_128
; %bb.126:
	v_add_u32_e32 v127, 0x70, v128
	s_mov_b32 s16, 7
	v_mov_b32_e32 v126, 6
.LBB56_127:                             ; =>This Inner Loop Header: Depth=1
	ds_read2_b64 v[132:135], v127 offset1:1
	s_waitcnt lgkmcnt(1)
	v_xor_b32_e32 v137, 0x80000000, v117
	v_xor_b32_e32 v139, 0x80000000, v119
	v_cmp_gt_f64_e32 vcc, 0, v[118:119]
	v_cmp_gt_f64_e64 s[0:1], 0, v[116:117]
	v_mov_b32_e32 v136, v116
	v_mov_b32_e32 v138, v118
	v_cndmask_b32_e64 v137, v117, v137, s[0:1]
	v_cndmask_b32_e32 v139, v119, v139, vcc
	v_add_f64 v[136:137], v[136:137], v[138:139]
	s_waitcnt lgkmcnt(0)
	v_xor_b32_e32 v139, 0x80000000, v133
	v_xor_b32_e32 v141, 0x80000000, v135
	v_cmp_gt_f64_e32 vcc, 0, v[134:135]
	v_cmp_gt_f64_e64 s[0:1], 0, v[132:133]
	v_mov_b32_e32 v138, v132
	v_mov_b32_e32 v140, v134
	v_cndmask_b32_e64 v139, v133, v139, s[0:1]
	v_cndmask_b32_e32 v141, v135, v141, vcc
	v_add_f64 v[138:139], v[138:139], v[140:141]
	v_mov_b32_e32 v142, s16
	s_add_i32 s16, s16, 1
	v_cmp_lt_f64_e32 vcc, v[136:137], v[138:139]
	v_add_u32_e32 v127, 16, v127
	s_cmp_lg_u32 s20, s16
	v_cndmask_b32_e32 v117, v117, v133, vcc
	v_cndmask_b32_e32 v116, v116, v132, vcc
	;; [unrolled: 1-line block ×5, first 2 shown]
	s_cbranch_scc1 .LBB56_127
.LBB56_128:
	s_waitcnt lgkmcnt(0)
	v_cmp_eq_f64_e32 vcc, 0, v[116:117]
	v_cmp_eq_f64_e64 s[0:1], 0, v[118:119]
	s_and_b64 s[0:1], vcc, s[0:1]
	s_and_saveexec_b64 s[16:17], s[0:1]
	s_xor_b64 s[0:1], exec, s[16:17]
; %bb.129:
	v_cmp_ne_u32_e32 vcc, 0, v130
	s_nop 1
	v_cndmask_b32_e32 v130, 7, v130, vcc
; %bb.130:
	s_andn2_saveexec_b64 s[0:1], s[0:1]
	s_cbranch_execz .LBB56_136
; %bb.131:
	v_cmp_ngt_f64_e64 s[16:17], |v[116:117]|, |v[118:119]|
	s_and_saveexec_b64 s[18:19], s[16:17]
	s_xor_b64 s[16:17], exec, s[18:19]
	s_cbranch_execz .LBB56_133
; %bb.132:
	v_div_scale_f64 v[132:133], s[18:19], v[118:119], v[118:119], v[116:117]
	v_rcp_f64_e32 v[134:135], v[132:133]
	v_div_scale_f64 v[136:137], vcc, v[116:117], v[118:119], v[116:117]
	v_fma_f64 v[138:139], -v[132:133], v[134:135], 1.0
	v_fmac_f64_e32 v[134:135], v[134:135], v[138:139]
	v_fma_f64 v[138:139], -v[132:133], v[134:135], 1.0
	v_fmac_f64_e32 v[134:135], v[134:135], v[138:139]
	v_mul_f64 v[138:139], v[136:137], v[134:135]
	v_fma_f64 v[132:133], -v[132:133], v[138:139], v[136:137]
	v_div_fmas_f64 v[132:133], v[132:133], v[134:135], v[138:139]
	v_div_fixup_f64 v[132:133], v[132:133], v[118:119], v[116:117]
	v_fmac_f64_e32 v[118:119], v[116:117], v[132:133]
	v_div_scale_f64 v[116:117], s[18:19], v[118:119], v[118:119], 1.0
	v_rcp_f64_e32 v[134:135], v[116:117]
	s_nop 0
	v_fma_f64 v[136:137], -v[116:117], v[134:135], 1.0
	v_fmac_f64_e32 v[134:135], v[134:135], v[136:137]
	v_fma_f64 v[136:137], -v[116:117], v[134:135], 1.0
	v_fmac_f64_e32 v[134:135], v[134:135], v[136:137]
	v_div_scale_f64 v[136:137], vcc, 1.0, v[118:119], 1.0
	v_mul_f64 v[138:139], v[136:137], v[134:135]
	v_fma_f64 v[116:117], -v[116:117], v[138:139], v[136:137]
	s_nop 1
	v_div_fmas_f64 v[116:117], v[116:117], v[134:135], v[138:139]
	v_div_fixup_f64 v[118:119], v[116:117], v[118:119], 1.0
	v_mul_f64 v[116:117], v[132:133], v[118:119]
	v_xor_b32_e32 v119, 0x80000000, v119
.LBB56_133:
	s_andn2_saveexec_b64 s[16:17], s[16:17]
	s_cbranch_execz .LBB56_135
; %bb.134:
	v_div_scale_f64 v[132:133], s[18:19], v[116:117], v[116:117], v[118:119]
	v_rcp_f64_e32 v[134:135], v[132:133]
	v_div_scale_f64 v[136:137], vcc, v[118:119], v[116:117], v[118:119]
	v_fma_f64 v[138:139], -v[132:133], v[134:135], 1.0
	v_fmac_f64_e32 v[134:135], v[134:135], v[138:139]
	v_fma_f64 v[138:139], -v[132:133], v[134:135], 1.0
	v_fmac_f64_e32 v[134:135], v[134:135], v[138:139]
	v_mul_f64 v[138:139], v[136:137], v[134:135]
	v_fma_f64 v[132:133], -v[132:133], v[138:139], v[136:137]
	v_div_fmas_f64 v[132:133], v[132:133], v[134:135], v[138:139]
	v_div_fixup_f64 v[132:133], v[132:133], v[116:117], v[118:119]
	v_fmac_f64_e32 v[116:117], v[118:119], v[132:133]
	v_div_scale_f64 v[118:119], s[18:19], v[116:117], v[116:117], 1.0
	v_rcp_f64_e32 v[134:135], v[118:119]
	s_nop 0
	v_fma_f64 v[136:137], -v[118:119], v[134:135], 1.0
	v_fmac_f64_e32 v[134:135], v[134:135], v[136:137]
	v_fma_f64 v[136:137], -v[118:119], v[134:135], 1.0
	v_fmac_f64_e32 v[134:135], v[134:135], v[136:137]
	v_div_scale_f64 v[136:137], vcc, 1.0, v[116:117], 1.0
	v_mul_f64 v[138:139], v[136:137], v[134:135]
	v_fma_f64 v[118:119], -v[118:119], v[138:139], v[136:137]
	s_nop 1
	v_div_fmas_f64 v[118:119], v[118:119], v[134:135], v[138:139]
	v_div_fixup_f64 v[116:117], v[118:119], v[116:117], 1.0
	v_mul_f64 v[118:119], v[132:133], -v[116:117]
.LBB56_135:
	s_or_b64 exec, exec, s[16:17]
.LBB56_136:
	s_or_b64 exec, exec, s[0:1]
	v_cmp_ne_u32_e32 vcc, v129, v126
	s_and_saveexec_b64 s[0:1], vcc
	s_xor_b64 s[0:1], exec, s[0:1]
	s_cbranch_execz .LBB56_142
; %bb.137:
	v_cmp_eq_u32_e32 vcc, 6, v129
	s_and_saveexec_b64 s[16:17], vcc
	s_cbranch_execz .LBB56_141
; %bb.138:
	v_cmp_ne_u32_e32 vcc, 6, v126
	s_xor_b64 s[18:19], s[14:15], -1
	s_and_b64 s[22:23], s[18:19], vcc
	s_and_saveexec_b64 s[18:19], s[22:23]
	s_cbranch_execz .LBB56_140
; %bb.139:
	v_ashrrev_i32_e32 v127, 31, v126
	v_lshl_add_u64 v[132:133], v[126:127], 2, v[124:125]
	global_load_dword v127, v[132:133], off
	global_load_dword v129, v[124:125], off offset:24
	s_waitcnt vmcnt(1)
	global_store_dword v[124:125], v127, off offset:24
	s_waitcnt vmcnt(1)
	global_store_dword v[132:133], v129, off
.LBB56_140:
	s_or_b64 exec, exec, s[18:19]
	v_mov_b32_e32 v129, v126
	v_mov_b32_e32 v131, v126
.LBB56_141:
	s_or_b64 exec, exec, s[16:17]
.LBB56_142:
	s_andn2_saveexec_b64 s[0:1], s[0:1]
	s_cbranch_execz .LBB56_144
; %bb.143:
	v_mov_b32_e32 v129, 6
	s_waitcnt vmcnt(21)
	ds_write2_b64 v128, v[88:89], v[90:91] offset0:14 offset1:15
	s_waitcnt vmcnt(20)
	ds_write2_b64 v128, v[84:85], v[86:87] offset0:16 offset1:17
	;; [unrolled: 2-line block ×22, first 2 shown]
.LBB56_144:
	s_or_b64 exec, exec, s[0:1]
	v_cmp_lt_i32_e32 vcc, 6, v129
	s_waitcnt lgkmcnt(0)
	s_barrier
	s_and_saveexec_b64 s[0:1], vcc
	s_cbranch_execz .LBB56_146
; %bb.145:
	ds_read2_b64 v[132:135], v128 offset0:14 offset1:15
	v_mul_f64 v[126:127], v[118:119], v[94:95]
	v_mul_f64 v[94:95], v[116:117], v[94:95]
	v_fma_f64 v[126:127], v[116:117], v[92:93], -v[126:127]
	v_fmac_f64_e32 v[94:95], v[118:119], v[92:93]
	ds_read2_b64 v[116:119], v128 offset0:16 offset1:17
	s_waitcnt lgkmcnt(1)
	v_mul_f64 v[92:93], v[134:135], v[94:95]
	v_fma_f64 v[92:93], v[132:133], v[126:127], -v[92:93]
	v_mul_f64 v[132:133], v[132:133], v[94:95]
	v_fmac_f64_e32 v[132:133], v[134:135], v[126:127]
	s_waitcnt vmcnt(21)
	v_add_f64 v[88:89], v[88:89], -v[92:93]
	s_waitcnt lgkmcnt(0)
	v_mul_f64 v[92:93], v[118:119], v[94:95]
	v_add_f64 v[90:91], v[90:91], -v[132:133]
	v_fma_f64 v[92:93], v[116:117], v[126:127], -v[92:93]
	v_mul_f64 v[116:117], v[116:117], v[94:95]
	ds_read2_b64 v[132:135], v128 offset0:18 offset1:19
	v_fmac_f64_e32 v[116:117], v[118:119], v[126:127]
	s_waitcnt vmcnt(20)
	v_add_f64 v[86:87], v[86:87], -v[116:117]
	ds_read2_b64 v[116:119], v128 offset0:20 offset1:21
	v_add_f64 v[84:85], v[84:85], -v[92:93]
	s_waitcnt lgkmcnt(1)
	v_mul_f64 v[92:93], v[134:135], v[94:95]
	v_fma_f64 v[92:93], v[132:133], v[126:127], -v[92:93]
	v_mul_f64 v[132:133], v[132:133], v[94:95]
	v_fmac_f64_e32 v[132:133], v[134:135], v[126:127]
	s_waitcnt vmcnt(19)
	v_add_f64 v[76:77], v[76:77], -v[92:93]
	s_waitcnt lgkmcnt(0)
	v_mul_f64 v[92:93], v[118:119], v[94:95]
	v_add_f64 v[78:79], v[78:79], -v[132:133]
	v_fma_f64 v[92:93], v[116:117], v[126:127], -v[92:93]
	v_mul_f64 v[116:117], v[116:117], v[94:95]
	ds_read2_b64 v[132:135], v128 offset0:22 offset1:23
	v_fmac_f64_e32 v[116:117], v[118:119], v[126:127]
	s_waitcnt vmcnt(18)
	v_add_f64 v[70:71], v[70:71], -v[116:117]
	ds_read2_b64 v[116:119], v128 offset0:24 offset1:25
	v_add_f64 v[68:69], v[68:69], -v[92:93]
	;; [unrolled: 18-line block ×10, first 2 shown]
	s_waitcnt lgkmcnt(1)
	v_mul_f64 v[92:93], v[134:135], v[94:95]
	v_fma_f64 v[92:93], v[132:133], v[126:127], -v[92:93]
	s_waitcnt vmcnt(1)
	v_add_f64 v[0:1], v[0:1], -v[92:93]
	s_waitcnt lgkmcnt(0)
	v_mul_f64 v[92:93], v[118:119], v[94:95]
	v_mul_f64 v[132:133], v[132:133], v[94:95]
	v_fma_f64 v[92:93], v[116:117], v[126:127], -v[92:93]
	v_mul_f64 v[116:117], v[116:117], v[94:95]
	v_fmac_f64_e32 v[132:133], v[134:135], v[126:127]
	v_fmac_f64_e32 v[116:117], v[118:119], v[126:127]
	v_add_f64 v[2:3], v[2:3], -v[132:133]
	s_waitcnt vmcnt(0)
	v_add_f64 v[112:113], v[112:113], -v[92:93]
	v_add_f64 v[114:115], v[114:115], -v[116:117]
	v_mov_b64_e32 v[92:93], v[126:127]
.LBB56_146:
	s_or_b64 exec, exec, s[0:1]
	v_lshl_add_u32 v116, v129, 4, v128
	s_barrier
	s_waitcnt vmcnt(21)
	ds_write2_b64 v116, v[88:89], v[90:91] offset1:1
	s_waitcnt lgkmcnt(0)
	s_barrier
	ds_read2_b64 v[116:119], v128 offset0:14 offset1:15
	s_cmp_lt_i32 s20, 9
	v_mov_b32_e32 v126, 7
	s_cbranch_scc1 .LBB56_149
; %bb.147:
	v_add_u32_e32 v127, 0x80, v128
	s_mov_b32 s16, 8
	v_mov_b32_e32 v126, 7
.LBB56_148:                             ; =>This Inner Loop Header: Depth=1
	ds_read2_b64 v[132:135], v127 offset1:1
	s_waitcnt lgkmcnt(1)
	v_xor_b32_e32 v137, 0x80000000, v117
	v_xor_b32_e32 v139, 0x80000000, v119
	v_cmp_gt_f64_e32 vcc, 0, v[118:119]
	v_cmp_gt_f64_e64 s[0:1], 0, v[116:117]
	v_mov_b32_e32 v136, v116
	v_mov_b32_e32 v138, v118
	v_cndmask_b32_e64 v137, v117, v137, s[0:1]
	v_cndmask_b32_e32 v139, v119, v139, vcc
	v_add_f64 v[136:137], v[136:137], v[138:139]
	s_waitcnt lgkmcnt(0)
	v_xor_b32_e32 v139, 0x80000000, v133
	v_xor_b32_e32 v141, 0x80000000, v135
	v_cmp_gt_f64_e32 vcc, 0, v[134:135]
	v_cmp_gt_f64_e64 s[0:1], 0, v[132:133]
	v_mov_b32_e32 v138, v132
	v_mov_b32_e32 v140, v134
	v_cndmask_b32_e64 v139, v133, v139, s[0:1]
	v_cndmask_b32_e32 v141, v135, v141, vcc
	v_add_f64 v[138:139], v[138:139], v[140:141]
	v_mov_b32_e32 v142, s16
	s_add_i32 s16, s16, 1
	v_cmp_lt_f64_e32 vcc, v[136:137], v[138:139]
	v_add_u32_e32 v127, 16, v127
	s_cmp_lg_u32 s20, s16
	v_cndmask_b32_e32 v117, v117, v133, vcc
	v_cndmask_b32_e32 v116, v116, v132, vcc
	;; [unrolled: 1-line block ×5, first 2 shown]
	s_cbranch_scc1 .LBB56_148
.LBB56_149:
	s_waitcnt lgkmcnt(0)
	v_cmp_eq_f64_e32 vcc, 0, v[116:117]
	v_cmp_eq_f64_e64 s[0:1], 0, v[118:119]
	s_and_b64 s[0:1], vcc, s[0:1]
	s_and_saveexec_b64 s[16:17], s[0:1]
	s_xor_b64 s[0:1], exec, s[16:17]
; %bb.150:
	v_cmp_ne_u32_e32 vcc, 0, v130
	s_nop 1
	v_cndmask_b32_e32 v130, 8, v130, vcc
; %bb.151:
	s_andn2_saveexec_b64 s[0:1], s[0:1]
	s_cbranch_execz .LBB56_157
; %bb.152:
	v_cmp_ngt_f64_e64 s[16:17], |v[116:117]|, |v[118:119]|
	s_and_saveexec_b64 s[18:19], s[16:17]
	s_xor_b64 s[16:17], exec, s[18:19]
	s_cbranch_execz .LBB56_154
; %bb.153:
	v_div_scale_f64 v[132:133], s[18:19], v[118:119], v[118:119], v[116:117]
	v_rcp_f64_e32 v[134:135], v[132:133]
	v_div_scale_f64 v[136:137], vcc, v[116:117], v[118:119], v[116:117]
	v_fma_f64 v[138:139], -v[132:133], v[134:135], 1.0
	v_fmac_f64_e32 v[134:135], v[134:135], v[138:139]
	v_fma_f64 v[138:139], -v[132:133], v[134:135], 1.0
	v_fmac_f64_e32 v[134:135], v[134:135], v[138:139]
	v_mul_f64 v[138:139], v[136:137], v[134:135]
	v_fma_f64 v[132:133], -v[132:133], v[138:139], v[136:137]
	v_div_fmas_f64 v[132:133], v[132:133], v[134:135], v[138:139]
	v_div_fixup_f64 v[132:133], v[132:133], v[118:119], v[116:117]
	v_fmac_f64_e32 v[118:119], v[116:117], v[132:133]
	v_div_scale_f64 v[116:117], s[18:19], v[118:119], v[118:119], 1.0
	v_rcp_f64_e32 v[134:135], v[116:117]
	s_nop 0
	v_fma_f64 v[136:137], -v[116:117], v[134:135], 1.0
	v_fmac_f64_e32 v[134:135], v[134:135], v[136:137]
	v_fma_f64 v[136:137], -v[116:117], v[134:135], 1.0
	v_fmac_f64_e32 v[134:135], v[134:135], v[136:137]
	v_div_scale_f64 v[136:137], vcc, 1.0, v[118:119], 1.0
	v_mul_f64 v[138:139], v[136:137], v[134:135]
	v_fma_f64 v[116:117], -v[116:117], v[138:139], v[136:137]
	s_nop 1
	v_div_fmas_f64 v[116:117], v[116:117], v[134:135], v[138:139]
	v_div_fixup_f64 v[118:119], v[116:117], v[118:119], 1.0
	v_mul_f64 v[116:117], v[132:133], v[118:119]
	v_xor_b32_e32 v119, 0x80000000, v119
.LBB56_154:
	s_andn2_saveexec_b64 s[16:17], s[16:17]
	s_cbranch_execz .LBB56_156
; %bb.155:
	v_div_scale_f64 v[132:133], s[18:19], v[116:117], v[116:117], v[118:119]
	v_rcp_f64_e32 v[134:135], v[132:133]
	v_div_scale_f64 v[136:137], vcc, v[118:119], v[116:117], v[118:119]
	v_fma_f64 v[138:139], -v[132:133], v[134:135], 1.0
	v_fmac_f64_e32 v[134:135], v[134:135], v[138:139]
	v_fma_f64 v[138:139], -v[132:133], v[134:135], 1.0
	v_fmac_f64_e32 v[134:135], v[134:135], v[138:139]
	v_mul_f64 v[138:139], v[136:137], v[134:135]
	v_fma_f64 v[132:133], -v[132:133], v[138:139], v[136:137]
	v_div_fmas_f64 v[132:133], v[132:133], v[134:135], v[138:139]
	v_div_fixup_f64 v[132:133], v[132:133], v[116:117], v[118:119]
	v_fmac_f64_e32 v[116:117], v[118:119], v[132:133]
	v_div_scale_f64 v[118:119], s[18:19], v[116:117], v[116:117], 1.0
	v_rcp_f64_e32 v[134:135], v[118:119]
	s_nop 0
	v_fma_f64 v[136:137], -v[118:119], v[134:135], 1.0
	v_fmac_f64_e32 v[134:135], v[134:135], v[136:137]
	v_fma_f64 v[136:137], -v[118:119], v[134:135], 1.0
	v_fmac_f64_e32 v[134:135], v[134:135], v[136:137]
	v_div_scale_f64 v[136:137], vcc, 1.0, v[116:117], 1.0
	v_mul_f64 v[138:139], v[136:137], v[134:135]
	v_fma_f64 v[118:119], -v[118:119], v[138:139], v[136:137]
	s_nop 1
	v_div_fmas_f64 v[118:119], v[118:119], v[134:135], v[138:139]
	v_div_fixup_f64 v[116:117], v[118:119], v[116:117], 1.0
	v_mul_f64 v[118:119], v[132:133], -v[116:117]
.LBB56_156:
	s_or_b64 exec, exec, s[16:17]
.LBB56_157:
	s_or_b64 exec, exec, s[0:1]
	v_cmp_ne_u32_e32 vcc, v129, v126
	s_and_saveexec_b64 s[0:1], vcc
	s_xor_b64 s[0:1], exec, s[0:1]
	s_cbranch_execz .LBB56_163
; %bb.158:
	v_cmp_eq_u32_e32 vcc, 7, v129
	s_and_saveexec_b64 s[16:17], vcc
	s_cbranch_execz .LBB56_162
; %bb.159:
	v_cmp_ne_u32_e32 vcc, 7, v126
	s_xor_b64 s[18:19], s[14:15], -1
	s_and_b64 s[22:23], s[18:19], vcc
	s_and_saveexec_b64 s[18:19], s[22:23]
	s_cbranch_execz .LBB56_161
; %bb.160:
	v_ashrrev_i32_e32 v127, 31, v126
	v_lshl_add_u64 v[132:133], v[126:127], 2, v[124:125]
	global_load_dword v127, v[132:133], off
	global_load_dword v129, v[124:125], off offset:28
	s_waitcnt vmcnt(1)
	global_store_dword v[124:125], v127, off offset:28
	s_waitcnt vmcnt(1)
	global_store_dword v[132:133], v129, off
.LBB56_161:
	s_or_b64 exec, exec, s[18:19]
	v_mov_b32_e32 v129, v126
	v_mov_b32_e32 v131, v126
.LBB56_162:
	s_or_b64 exec, exec, s[16:17]
.LBB56_163:
	s_andn2_saveexec_b64 s[0:1], s[0:1]
	s_cbranch_execz .LBB56_165
; %bb.164:
	v_mov_b32_e32 v129, 7
	s_waitcnt vmcnt(20)
	ds_write2_b64 v128, v[84:85], v[86:87] offset0:16 offset1:17
	s_waitcnt vmcnt(19)
	ds_write2_b64 v128, v[76:77], v[78:79] offset0:18 offset1:19
	;; [unrolled: 2-line block ×21, first 2 shown]
.LBB56_165:
	s_or_b64 exec, exec, s[0:1]
	v_cmp_lt_i32_e32 vcc, 7, v129
	s_waitcnt lgkmcnt(0)
	s_barrier
	s_and_saveexec_b64 s[0:1], vcc
	s_cbranch_execz .LBB56_167
; %bb.166:
	ds_read2_b64 v[132:135], v128 offset0:16 offset1:17
	v_mul_f64 v[126:127], v[118:119], v[90:91]
	v_mul_f64 v[90:91], v[116:117], v[90:91]
	v_fmac_f64_e32 v[90:91], v[118:119], v[88:89]
	v_fma_f64 v[126:127], v[116:117], v[88:89], -v[126:127]
	ds_read2_b64 v[116:119], v128 offset0:18 offset1:19
	s_waitcnt lgkmcnt(1)
	v_mul_f64 v[88:89], v[134:135], v[90:91]
	v_fma_f64 v[88:89], v[132:133], v[126:127], -v[88:89]
	v_mul_f64 v[132:133], v[132:133], v[90:91]
	v_fmac_f64_e32 v[132:133], v[134:135], v[126:127]
	s_waitcnt vmcnt(20)
	v_add_f64 v[86:87], v[86:87], -v[132:133]
	ds_read2_b64 v[132:135], v128 offset0:20 offset1:21
	v_add_f64 v[84:85], v[84:85], -v[88:89]
	s_waitcnt lgkmcnt(1)
	v_mul_f64 v[88:89], v[118:119], v[90:91]
	v_fma_f64 v[88:89], v[116:117], v[126:127], -v[88:89]
	v_mul_f64 v[116:117], v[116:117], v[90:91]
	v_fmac_f64_e32 v[116:117], v[118:119], v[126:127]
	s_waitcnt vmcnt(19)
	v_add_f64 v[76:77], v[76:77], -v[88:89]
	v_add_f64 v[78:79], v[78:79], -v[116:117]
	ds_read2_b64 v[116:119], v128 offset0:22 offset1:23
	s_waitcnt lgkmcnt(1)
	v_mul_f64 v[88:89], v[134:135], v[90:91]
	v_fma_f64 v[88:89], v[132:133], v[126:127], -v[88:89]
	v_mul_f64 v[132:133], v[132:133], v[90:91]
	v_fmac_f64_e32 v[132:133], v[134:135], v[126:127]
	s_waitcnt vmcnt(18)
	v_add_f64 v[70:71], v[70:71], -v[132:133]
	ds_read2_b64 v[132:135], v128 offset0:24 offset1:25
	v_add_f64 v[68:69], v[68:69], -v[88:89]
	s_waitcnt lgkmcnt(1)
	v_mul_f64 v[88:89], v[118:119], v[90:91]
	v_fma_f64 v[88:89], v[116:117], v[126:127], -v[88:89]
	v_mul_f64 v[116:117], v[116:117], v[90:91]
	v_fmac_f64_e32 v[116:117], v[118:119], v[126:127]
	s_waitcnt vmcnt(17)
	v_add_f64 v[64:65], v[64:65], -v[88:89]
	v_add_f64 v[66:67], v[66:67], -v[116:117]
	;; [unrolled: 18-line block ×10, first 2 shown]
	s_waitcnt lgkmcnt(0)
	v_mul_f64 v[88:89], v[134:135], v[90:91]
	v_mul_f64 v[116:117], v[132:133], v[90:91]
	v_fma_f64 v[88:89], v[132:133], v[126:127], -v[88:89]
	v_fmac_f64_e32 v[116:117], v[134:135], v[126:127]
	s_waitcnt vmcnt(0)
	v_add_f64 v[112:113], v[112:113], -v[88:89]
	v_add_f64 v[114:115], v[114:115], -v[116:117]
	v_mov_b64_e32 v[88:89], v[126:127]
.LBB56_167:
	s_or_b64 exec, exec, s[0:1]
	v_lshl_add_u32 v116, v129, 4, v128
	s_barrier
	s_waitcnt vmcnt(20)
	ds_write2_b64 v116, v[84:85], v[86:87] offset1:1
	s_waitcnt lgkmcnt(0)
	s_barrier
	ds_read2_b64 v[116:119], v128 offset0:16 offset1:17
	s_cmp_lt_i32 s20, 10
	v_mov_b32_e32 v126, 8
	s_cbranch_scc1 .LBB56_170
; %bb.168:
	v_add_u32_e32 v127, 0x90, v128
	s_mov_b32 s16, 9
	v_mov_b32_e32 v126, 8
.LBB56_169:                             ; =>This Inner Loop Header: Depth=1
	ds_read2_b64 v[132:135], v127 offset1:1
	s_waitcnt lgkmcnt(1)
	v_xor_b32_e32 v137, 0x80000000, v117
	v_xor_b32_e32 v139, 0x80000000, v119
	v_cmp_gt_f64_e32 vcc, 0, v[118:119]
	v_cmp_gt_f64_e64 s[0:1], 0, v[116:117]
	v_mov_b32_e32 v136, v116
	v_mov_b32_e32 v138, v118
	v_cndmask_b32_e64 v137, v117, v137, s[0:1]
	v_cndmask_b32_e32 v139, v119, v139, vcc
	v_add_f64 v[136:137], v[136:137], v[138:139]
	s_waitcnt lgkmcnt(0)
	v_xor_b32_e32 v139, 0x80000000, v133
	v_xor_b32_e32 v141, 0x80000000, v135
	v_cmp_gt_f64_e32 vcc, 0, v[134:135]
	v_cmp_gt_f64_e64 s[0:1], 0, v[132:133]
	v_mov_b32_e32 v138, v132
	v_mov_b32_e32 v140, v134
	v_cndmask_b32_e64 v139, v133, v139, s[0:1]
	v_cndmask_b32_e32 v141, v135, v141, vcc
	v_add_f64 v[138:139], v[138:139], v[140:141]
	v_mov_b32_e32 v142, s16
	s_add_i32 s16, s16, 1
	v_cmp_lt_f64_e32 vcc, v[136:137], v[138:139]
	v_add_u32_e32 v127, 16, v127
	s_cmp_lg_u32 s20, s16
	v_cndmask_b32_e32 v117, v117, v133, vcc
	v_cndmask_b32_e32 v116, v116, v132, vcc
	;; [unrolled: 1-line block ×5, first 2 shown]
	s_cbranch_scc1 .LBB56_169
.LBB56_170:
	s_waitcnt lgkmcnt(0)
	v_cmp_eq_f64_e32 vcc, 0, v[116:117]
	v_cmp_eq_f64_e64 s[0:1], 0, v[118:119]
	s_and_b64 s[0:1], vcc, s[0:1]
	s_and_saveexec_b64 s[16:17], s[0:1]
	s_xor_b64 s[0:1], exec, s[16:17]
; %bb.171:
	v_cmp_ne_u32_e32 vcc, 0, v130
	s_nop 1
	v_cndmask_b32_e32 v130, 9, v130, vcc
; %bb.172:
	s_andn2_saveexec_b64 s[0:1], s[0:1]
	s_cbranch_execz .LBB56_178
; %bb.173:
	v_cmp_ngt_f64_e64 s[16:17], |v[116:117]|, |v[118:119]|
	s_and_saveexec_b64 s[18:19], s[16:17]
	s_xor_b64 s[16:17], exec, s[18:19]
	s_cbranch_execz .LBB56_175
; %bb.174:
	v_div_scale_f64 v[132:133], s[18:19], v[118:119], v[118:119], v[116:117]
	v_rcp_f64_e32 v[134:135], v[132:133]
	v_div_scale_f64 v[136:137], vcc, v[116:117], v[118:119], v[116:117]
	v_fma_f64 v[138:139], -v[132:133], v[134:135], 1.0
	v_fmac_f64_e32 v[134:135], v[134:135], v[138:139]
	v_fma_f64 v[138:139], -v[132:133], v[134:135], 1.0
	v_fmac_f64_e32 v[134:135], v[134:135], v[138:139]
	v_mul_f64 v[138:139], v[136:137], v[134:135]
	v_fma_f64 v[132:133], -v[132:133], v[138:139], v[136:137]
	v_div_fmas_f64 v[132:133], v[132:133], v[134:135], v[138:139]
	v_div_fixup_f64 v[132:133], v[132:133], v[118:119], v[116:117]
	v_fmac_f64_e32 v[118:119], v[116:117], v[132:133]
	v_div_scale_f64 v[116:117], s[18:19], v[118:119], v[118:119], 1.0
	v_rcp_f64_e32 v[134:135], v[116:117]
	s_nop 0
	v_fma_f64 v[136:137], -v[116:117], v[134:135], 1.0
	v_fmac_f64_e32 v[134:135], v[134:135], v[136:137]
	v_fma_f64 v[136:137], -v[116:117], v[134:135], 1.0
	v_fmac_f64_e32 v[134:135], v[134:135], v[136:137]
	v_div_scale_f64 v[136:137], vcc, 1.0, v[118:119], 1.0
	v_mul_f64 v[138:139], v[136:137], v[134:135]
	v_fma_f64 v[116:117], -v[116:117], v[138:139], v[136:137]
	s_nop 1
	v_div_fmas_f64 v[116:117], v[116:117], v[134:135], v[138:139]
	v_div_fixup_f64 v[118:119], v[116:117], v[118:119], 1.0
	v_mul_f64 v[116:117], v[132:133], v[118:119]
	v_xor_b32_e32 v119, 0x80000000, v119
.LBB56_175:
	s_andn2_saveexec_b64 s[16:17], s[16:17]
	s_cbranch_execz .LBB56_177
; %bb.176:
	v_div_scale_f64 v[132:133], s[18:19], v[116:117], v[116:117], v[118:119]
	v_rcp_f64_e32 v[134:135], v[132:133]
	v_div_scale_f64 v[136:137], vcc, v[118:119], v[116:117], v[118:119]
	v_fma_f64 v[138:139], -v[132:133], v[134:135], 1.0
	v_fmac_f64_e32 v[134:135], v[134:135], v[138:139]
	v_fma_f64 v[138:139], -v[132:133], v[134:135], 1.0
	v_fmac_f64_e32 v[134:135], v[134:135], v[138:139]
	v_mul_f64 v[138:139], v[136:137], v[134:135]
	v_fma_f64 v[132:133], -v[132:133], v[138:139], v[136:137]
	v_div_fmas_f64 v[132:133], v[132:133], v[134:135], v[138:139]
	v_div_fixup_f64 v[132:133], v[132:133], v[116:117], v[118:119]
	v_fmac_f64_e32 v[116:117], v[118:119], v[132:133]
	v_div_scale_f64 v[118:119], s[18:19], v[116:117], v[116:117], 1.0
	v_rcp_f64_e32 v[134:135], v[118:119]
	s_nop 0
	v_fma_f64 v[136:137], -v[118:119], v[134:135], 1.0
	v_fmac_f64_e32 v[134:135], v[134:135], v[136:137]
	v_fma_f64 v[136:137], -v[118:119], v[134:135], 1.0
	v_fmac_f64_e32 v[134:135], v[134:135], v[136:137]
	v_div_scale_f64 v[136:137], vcc, 1.0, v[116:117], 1.0
	v_mul_f64 v[138:139], v[136:137], v[134:135]
	v_fma_f64 v[118:119], -v[118:119], v[138:139], v[136:137]
	s_nop 1
	v_div_fmas_f64 v[118:119], v[118:119], v[134:135], v[138:139]
	v_div_fixup_f64 v[116:117], v[118:119], v[116:117], 1.0
	v_mul_f64 v[118:119], v[132:133], -v[116:117]
.LBB56_177:
	s_or_b64 exec, exec, s[16:17]
.LBB56_178:
	s_or_b64 exec, exec, s[0:1]
	v_cmp_ne_u32_e32 vcc, v129, v126
	s_and_saveexec_b64 s[0:1], vcc
	s_xor_b64 s[0:1], exec, s[0:1]
	s_cbranch_execz .LBB56_184
; %bb.179:
	v_cmp_eq_u32_e32 vcc, 8, v129
	s_and_saveexec_b64 s[16:17], vcc
	s_cbranch_execz .LBB56_183
; %bb.180:
	v_cmp_ne_u32_e32 vcc, 8, v126
	s_xor_b64 s[18:19], s[14:15], -1
	s_and_b64 s[22:23], s[18:19], vcc
	s_and_saveexec_b64 s[18:19], s[22:23]
	s_cbranch_execz .LBB56_182
; %bb.181:
	v_ashrrev_i32_e32 v127, 31, v126
	v_lshl_add_u64 v[132:133], v[126:127], 2, v[124:125]
	global_load_dword v127, v[132:133], off
	global_load_dword v129, v[124:125], off offset:32
	s_waitcnt vmcnt(1)
	global_store_dword v[124:125], v127, off offset:32
	s_waitcnt vmcnt(1)
	global_store_dword v[132:133], v129, off
.LBB56_182:
	s_or_b64 exec, exec, s[18:19]
	v_mov_b32_e32 v129, v126
	v_mov_b32_e32 v131, v126
.LBB56_183:
	s_or_b64 exec, exec, s[16:17]
.LBB56_184:
	s_andn2_saveexec_b64 s[0:1], s[0:1]
	s_cbranch_execz .LBB56_186
; %bb.185:
	v_mov_b32_e32 v129, 8
	s_waitcnt vmcnt(19)
	ds_write2_b64 v128, v[76:77], v[78:79] offset0:18 offset1:19
	s_waitcnt vmcnt(18)
	ds_write2_b64 v128, v[68:69], v[70:71] offset0:20 offset1:21
	s_waitcnt vmcnt(17)
	ds_write2_b64 v128, v[64:65], v[66:67] offset0:22 offset1:23
	s_waitcnt vmcnt(16)
	ds_write2_b64 v128, v[60:61], v[62:63] offset0:24 offset1:25
	s_waitcnt vmcnt(15)
	ds_write2_b64 v128, v[56:57], v[58:59] offset0:26 offset1:27
	s_waitcnt vmcnt(14)
	ds_write2_b64 v128, v[52:53], v[54:55] offset0:28 offset1:29
	s_waitcnt vmcnt(13)
	ds_write2_b64 v128, v[44:45], v[46:47] offset0:30 offset1:31
	s_waitcnt vmcnt(12)
	ds_write2_b64 v128, v[48:49], v[50:51] offset0:32 offset1:33
	s_waitcnt vmcnt(11)
	ds_write2_b64 v128, v[40:41], v[42:43] offset0:34 offset1:35
	s_waitcnt vmcnt(10)
	ds_write2_b64 v128, v[36:37], v[38:39] offset0:36 offset1:37
	s_waitcnt vmcnt(9)
	ds_write2_b64 v128, v[32:33], v[34:35] offset0:38 offset1:39
	s_waitcnt vmcnt(8)
	ds_write2_b64 v128, v[28:29], v[30:31] offset0:40 offset1:41
	s_waitcnt vmcnt(7)
	ds_write2_b64 v128, v[24:25], v[26:27] offset0:42 offset1:43
	s_waitcnt vmcnt(6)
	ds_write2_b64 v128, v[20:21], v[22:23] offset0:44 offset1:45
	s_waitcnt vmcnt(5)
	ds_write2_b64 v128, v[16:17], v[18:19] offset0:46 offset1:47
	s_waitcnt vmcnt(4)
	ds_write2_b64 v128, v[12:13], v[14:15] offset0:48 offset1:49
	s_waitcnt vmcnt(3)
	ds_write2_b64 v128, v[8:9], v[10:11] offset0:50 offset1:51
	s_waitcnt vmcnt(2)
	ds_write2_b64 v128, v[4:5], v[6:7] offset0:52 offset1:53
	s_waitcnt vmcnt(1)
	ds_write2_b64 v128, v[0:1], v[2:3] offset0:54 offset1:55
	s_waitcnt vmcnt(0)
	ds_write2_b64 v128, v[112:113], v[114:115] offset0:56 offset1:57
.LBB56_186:
	s_or_b64 exec, exec, s[0:1]
	v_cmp_lt_i32_e32 vcc, 8, v129
	s_waitcnt lgkmcnt(0)
	s_barrier
	s_and_saveexec_b64 s[0:1], vcc
	s_cbranch_execz .LBB56_188
; %bb.187:
	ds_read2_b64 v[132:135], v128 offset0:18 offset1:19
	v_mul_f64 v[126:127], v[118:119], v[86:87]
	v_mul_f64 v[86:87], v[116:117], v[86:87]
	v_fma_f64 v[126:127], v[116:117], v[84:85], -v[126:127]
	v_fmac_f64_e32 v[86:87], v[118:119], v[84:85]
	ds_read2_b64 v[116:119], v128 offset0:20 offset1:21
	s_waitcnt lgkmcnt(1)
	v_mul_f64 v[84:85], v[134:135], v[86:87]
	v_fma_f64 v[84:85], v[132:133], v[126:127], -v[84:85]
	v_mul_f64 v[132:133], v[132:133], v[86:87]
	v_fmac_f64_e32 v[132:133], v[134:135], v[126:127]
	s_waitcnt vmcnt(19)
	v_add_f64 v[76:77], v[76:77], -v[84:85]
	s_waitcnt lgkmcnt(0)
	v_mul_f64 v[84:85], v[118:119], v[86:87]
	v_add_f64 v[78:79], v[78:79], -v[132:133]
	v_fma_f64 v[84:85], v[116:117], v[126:127], -v[84:85]
	v_mul_f64 v[116:117], v[116:117], v[86:87]
	ds_read2_b64 v[132:135], v128 offset0:22 offset1:23
	v_fmac_f64_e32 v[116:117], v[118:119], v[126:127]
	s_waitcnt vmcnt(18)
	v_add_f64 v[70:71], v[70:71], -v[116:117]
	ds_read2_b64 v[116:119], v128 offset0:24 offset1:25
	v_add_f64 v[68:69], v[68:69], -v[84:85]
	s_waitcnt lgkmcnt(1)
	v_mul_f64 v[84:85], v[134:135], v[86:87]
	v_fma_f64 v[84:85], v[132:133], v[126:127], -v[84:85]
	v_mul_f64 v[132:133], v[132:133], v[86:87]
	v_fmac_f64_e32 v[132:133], v[134:135], v[126:127]
	s_waitcnt vmcnt(17)
	v_add_f64 v[64:65], v[64:65], -v[84:85]
	s_waitcnt lgkmcnt(0)
	v_mul_f64 v[84:85], v[118:119], v[86:87]
	v_add_f64 v[66:67], v[66:67], -v[132:133]
	v_fma_f64 v[84:85], v[116:117], v[126:127], -v[84:85]
	v_mul_f64 v[116:117], v[116:117], v[86:87]
	ds_read2_b64 v[132:135], v128 offset0:26 offset1:27
	v_fmac_f64_e32 v[116:117], v[118:119], v[126:127]
	s_waitcnt vmcnt(16)
	v_add_f64 v[62:63], v[62:63], -v[116:117]
	ds_read2_b64 v[116:119], v128 offset0:28 offset1:29
	v_add_f64 v[60:61], v[60:61], -v[84:85]
	s_waitcnt lgkmcnt(1)
	v_mul_f64 v[84:85], v[134:135], v[86:87]
	v_fma_f64 v[84:85], v[132:133], v[126:127], -v[84:85]
	v_mul_f64 v[132:133], v[132:133], v[86:87]
	v_fmac_f64_e32 v[132:133], v[134:135], v[126:127]
	s_waitcnt vmcnt(15)
	v_add_f64 v[56:57], v[56:57], -v[84:85]
	s_waitcnt lgkmcnt(0)
	v_mul_f64 v[84:85], v[118:119], v[86:87]
	v_add_f64 v[58:59], v[58:59], -v[132:133]
	v_fma_f64 v[84:85], v[116:117], v[126:127], -v[84:85]
	v_mul_f64 v[116:117], v[116:117], v[86:87]
	ds_read2_b64 v[132:135], v128 offset0:30 offset1:31
	v_fmac_f64_e32 v[116:117], v[118:119], v[126:127]
	s_waitcnt vmcnt(14)
	v_add_f64 v[54:55], v[54:55], -v[116:117]
	ds_read2_b64 v[116:119], v128 offset0:32 offset1:33
	v_add_f64 v[52:53], v[52:53], -v[84:85]
	s_waitcnt lgkmcnt(1)
	v_mul_f64 v[84:85], v[134:135], v[86:87]
	v_fma_f64 v[84:85], v[132:133], v[126:127], -v[84:85]
	v_mul_f64 v[132:133], v[132:133], v[86:87]
	v_fmac_f64_e32 v[132:133], v[134:135], v[126:127]
	s_waitcnt vmcnt(13)
	v_add_f64 v[44:45], v[44:45], -v[84:85]
	s_waitcnt lgkmcnt(0)
	v_mul_f64 v[84:85], v[118:119], v[86:87]
	v_add_f64 v[46:47], v[46:47], -v[132:133]
	v_fma_f64 v[84:85], v[116:117], v[126:127], -v[84:85]
	v_mul_f64 v[116:117], v[116:117], v[86:87]
	ds_read2_b64 v[132:135], v128 offset0:34 offset1:35
	v_fmac_f64_e32 v[116:117], v[118:119], v[126:127]
	s_waitcnt vmcnt(12)
	v_add_f64 v[50:51], v[50:51], -v[116:117]
	ds_read2_b64 v[116:119], v128 offset0:36 offset1:37
	v_add_f64 v[48:49], v[48:49], -v[84:85]
	s_waitcnt lgkmcnt(1)
	v_mul_f64 v[84:85], v[134:135], v[86:87]
	v_fma_f64 v[84:85], v[132:133], v[126:127], -v[84:85]
	v_mul_f64 v[132:133], v[132:133], v[86:87]
	v_fmac_f64_e32 v[132:133], v[134:135], v[126:127]
	s_waitcnt vmcnt(11)
	v_add_f64 v[40:41], v[40:41], -v[84:85]
	s_waitcnt lgkmcnt(0)
	v_mul_f64 v[84:85], v[118:119], v[86:87]
	v_add_f64 v[42:43], v[42:43], -v[132:133]
	v_fma_f64 v[84:85], v[116:117], v[126:127], -v[84:85]
	v_mul_f64 v[116:117], v[116:117], v[86:87]
	ds_read2_b64 v[132:135], v128 offset0:38 offset1:39
	v_fmac_f64_e32 v[116:117], v[118:119], v[126:127]
	s_waitcnt vmcnt(10)
	v_add_f64 v[38:39], v[38:39], -v[116:117]
	ds_read2_b64 v[116:119], v128 offset0:40 offset1:41
	v_add_f64 v[36:37], v[36:37], -v[84:85]
	s_waitcnt lgkmcnt(1)
	v_mul_f64 v[84:85], v[134:135], v[86:87]
	v_fma_f64 v[84:85], v[132:133], v[126:127], -v[84:85]
	v_mul_f64 v[132:133], v[132:133], v[86:87]
	v_fmac_f64_e32 v[132:133], v[134:135], v[126:127]
	s_waitcnt vmcnt(9)
	v_add_f64 v[32:33], v[32:33], -v[84:85]
	s_waitcnt lgkmcnt(0)
	v_mul_f64 v[84:85], v[118:119], v[86:87]
	v_add_f64 v[34:35], v[34:35], -v[132:133]
	v_fma_f64 v[84:85], v[116:117], v[126:127], -v[84:85]
	v_mul_f64 v[116:117], v[116:117], v[86:87]
	ds_read2_b64 v[132:135], v128 offset0:42 offset1:43
	v_fmac_f64_e32 v[116:117], v[118:119], v[126:127]
	s_waitcnt vmcnt(8)
	v_add_f64 v[30:31], v[30:31], -v[116:117]
	ds_read2_b64 v[116:119], v128 offset0:44 offset1:45
	v_add_f64 v[28:29], v[28:29], -v[84:85]
	s_waitcnt lgkmcnt(1)
	v_mul_f64 v[84:85], v[134:135], v[86:87]
	v_fma_f64 v[84:85], v[132:133], v[126:127], -v[84:85]
	v_mul_f64 v[132:133], v[132:133], v[86:87]
	v_fmac_f64_e32 v[132:133], v[134:135], v[126:127]
	s_waitcnt vmcnt(7)
	v_add_f64 v[24:25], v[24:25], -v[84:85]
	s_waitcnt lgkmcnt(0)
	v_mul_f64 v[84:85], v[118:119], v[86:87]
	v_add_f64 v[26:27], v[26:27], -v[132:133]
	v_fma_f64 v[84:85], v[116:117], v[126:127], -v[84:85]
	v_mul_f64 v[116:117], v[116:117], v[86:87]
	ds_read2_b64 v[132:135], v128 offset0:46 offset1:47
	v_fmac_f64_e32 v[116:117], v[118:119], v[126:127]
	s_waitcnt vmcnt(6)
	v_add_f64 v[22:23], v[22:23], -v[116:117]
	ds_read2_b64 v[116:119], v128 offset0:48 offset1:49
	v_add_f64 v[20:21], v[20:21], -v[84:85]
	s_waitcnt lgkmcnt(1)
	v_mul_f64 v[84:85], v[134:135], v[86:87]
	v_fma_f64 v[84:85], v[132:133], v[126:127], -v[84:85]
	v_mul_f64 v[132:133], v[132:133], v[86:87]
	v_fmac_f64_e32 v[132:133], v[134:135], v[126:127]
	s_waitcnt vmcnt(5)
	v_add_f64 v[16:17], v[16:17], -v[84:85]
	s_waitcnt lgkmcnt(0)
	v_mul_f64 v[84:85], v[118:119], v[86:87]
	v_add_f64 v[18:19], v[18:19], -v[132:133]
	v_fma_f64 v[84:85], v[116:117], v[126:127], -v[84:85]
	v_mul_f64 v[116:117], v[116:117], v[86:87]
	ds_read2_b64 v[132:135], v128 offset0:50 offset1:51
	v_fmac_f64_e32 v[116:117], v[118:119], v[126:127]
	s_waitcnt vmcnt(4)
	v_add_f64 v[14:15], v[14:15], -v[116:117]
	ds_read2_b64 v[116:119], v128 offset0:52 offset1:53
	v_add_f64 v[12:13], v[12:13], -v[84:85]
	s_waitcnt lgkmcnt(1)
	v_mul_f64 v[84:85], v[134:135], v[86:87]
	v_fma_f64 v[84:85], v[132:133], v[126:127], -v[84:85]
	v_mul_f64 v[132:133], v[132:133], v[86:87]
	v_fmac_f64_e32 v[132:133], v[134:135], v[126:127]
	s_waitcnt vmcnt(3)
	v_add_f64 v[8:9], v[8:9], -v[84:85]
	s_waitcnt lgkmcnt(0)
	v_mul_f64 v[84:85], v[118:119], v[86:87]
	v_add_f64 v[10:11], v[10:11], -v[132:133]
	v_fma_f64 v[84:85], v[116:117], v[126:127], -v[84:85]
	v_mul_f64 v[116:117], v[116:117], v[86:87]
	ds_read2_b64 v[132:135], v128 offset0:54 offset1:55
	v_fmac_f64_e32 v[116:117], v[118:119], v[126:127]
	s_waitcnt vmcnt(2)
	v_add_f64 v[6:7], v[6:7], -v[116:117]
	ds_read2_b64 v[116:119], v128 offset0:56 offset1:57
	v_add_f64 v[4:5], v[4:5], -v[84:85]
	s_waitcnt lgkmcnt(1)
	v_mul_f64 v[84:85], v[134:135], v[86:87]
	v_fma_f64 v[84:85], v[132:133], v[126:127], -v[84:85]
	s_waitcnt vmcnt(1)
	v_add_f64 v[0:1], v[0:1], -v[84:85]
	s_waitcnt lgkmcnt(0)
	v_mul_f64 v[84:85], v[118:119], v[86:87]
	v_mul_f64 v[132:133], v[132:133], v[86:87]
	v_fma_f64 v[84:85], v[116:117], v[126:127], -v[84:85]
	v_mul_f64 v[116:117], v[116:117], v[86:87]
	v_fmac_f64_e32 v[132:133], v[134:135], v[126:127]
	v_fmac_f64_e32 v[116:117], v[118:119], v[126:127]
	v_add_f64 v[2:3], v[2:3], -v[132:133]
	s_waitcnt vmcnt(0)
	v_add_f64 v[112:113], v[112:113], -v[84:85]
	v_add_f64 v[114:115], v[114:115], -v[116:117]
	v_mov_b64_e32 v[84:85], v[126:127]
.LBB56_188:
	s_or_b64 exec, exec, s[0:1]
	v_lshl_add_u32 v116, v129, 4, v128
	s_barrier
	s_waitcnt vmcnt(19)
	ds_write2_b64 v116, v[76:77], v[78:79] offset1:1
	s_waitcnt lgkmcnt(0)
	s_barrier
	ds_read2_b64 v[116:119], v128 offset0:18 offset1:19
	s_cmp_lt_i32 s20, 11
	v_mov_b32_e32 v126, 9
	s_cbranch_scc1 .LBB56_191
; %bb.189:
	v_add_u32_e32 v127, 0xa0, v128
	s_mov_b32 s16, 10
	v_mov_b32_e32 v126, 9
.LBB56_190:                             ; =>This Inner Loop Header: Depth=1
	ds_read2_b64 v[132:135], v127 offset1:1
	s_waitcnt lgkmcnt(1)
	v_xor_b32_e32 v137, 0x80000000, v117
	v_xor_b32_e32 v139, 0x80000000, v119
	v_cmp_gt_f64_e32 vcc, 0, v[118:119]
	v_cmp_gt_f64_e64 s[0:1], 0, v[116:117]
	v_mov_b32_e32 v136, v116
	v_mov_b32_e32 v138, v118
	v_cndmask_b32_e64 v137, v117, v137, s[0:1]
	v_cndmask_b32_e32 v139, v119, v139, vcc
	v_add_f64 v[136:137], v[136:137], v[138:139]
	s_waitcnt lgkmcnt(0)
	v_xor_b32_e32 v139, 0x80000000, v133
	v_xor_b32_e32 v141, 0x80000000, v135
	v_cmp_gt_f64_e32 vcc, 0, v[134:135]
	v_cmp_gt_f64_e64 s[0:1], 0, v[132:133]
	v_mov_b32_e32 v138, v132
	v_mov_b32_e32 v140, v134
	v_cndmask_b32_e64 v139, v133, v139, s[0:1]
	v_cndmask_b32_e32 v141, v135, v141, vcc
	v_add_f64 v[138:139], v[138:139], v[140:141]
	v_mov_b32_e32 v142, s16
	s_add_i32 s16, s16, 1
	v_cmp_lt_f64_e32 vcc, v[136:137], v[138:139]
	v_add_u32_e32 v127, 16, v127
	s_cmp_lg_u32 s20, s16
	v_cndmask_b32_e32 v117, v117, v133, vcc
	v_cndmask_b32_e32 v116, v116, v132, vcc
	;; [unrolled: 1-line block ×5, first 2 shown]
	s_cbranch_scc1 .LBB56_190
.LBB56_191:
	s_waitcnt lgkmcnt(0)
	v_cmp_eq_f64_e32 vcc, 0, v[116:117]
	v_cmp_eq_f64_e64 s[0:1], 0, v[118:119]
	s_and_b64 s[0:1], vcc, s[0:1]
	s_and_saveexec_b64 s[16:17], s[0:1]
	s_xor_b64 s[0:1], exec, s[16:17]
; %bb.192:
	v_cmp_ne_u32_e32 vcc, 0, v130
	s_nop 1
	v_cndmask_b32_e32 v130, 10, v130, vcc
; %bb.193:
	s_andn2_saveexec_b64 s[0:1], s[0:1]
	s_cbranch_execz .LBB56_199
; %bb.194:
	v_cmp_ngt_f64_e64 s[16:17], |v[116:117]|, |v[118:119]|
	s_and_saveexec_b64 s[18:19], s[16:17]
	s_xor_b64 s[16:17], exec, s[18:19]
	s_cbranch_execz .LBB56_196
; %bb.195:
	v_div_scale_f64 v[132:133], s[18:19], v[118:119], v[118:119], v[116:117]
	v_rcp_f64_e32 v[134:135], v[132:133]
	v_div_scale_f64 v[136:137], vcc, v[116:117], v[118:119], v[116:117]
	v_fma_f64 v[138:139], -v[132:133], v[134:135], 1.0
	v_fmac_f64_e32 v[134:135], v[134:135], v[138:139]
	v_fma_f64 v[138:139], -v[132:133], v[134:135], 1.0
	v_fmac_f64_e32 v[134:135], v[134:135], v[138:139]
	v_mul_f64 v[138:139], v[136:137], v[134:135]
	v_fma_f64 v[132:133], -v[132:133], v[138:139], v[136:137]
	v_div_fmas_f64 v[132:133], v[132:133], v[134:135], v[138:139]
	v_div_fixup_f64 v[132:133], v[132:133], v[118:119], v[116:117]
	v_fmac_f64_e32 v[118:119], v[116:117], v[132:133]
	v_div_scale_f64 v[116:117], s[18:19], v[118:119], v[118:119], 1.0
	v_rcp_f64_e32 v[134:135], v[116:117]
	s_nop 0
	v_fma_f64 v[136:137], -v[116:117], v[134:135], 1.0
	v_fmac_f64_e32 v[134:135], v[134:135], v[136:137]
	v_fma_f64 v[136:137], -v[116:117], v[134:135], 1.0
	v_fmac_f64_e32 v[134:135], v[134:135], v[136:137]
	v_div_scale_f64 v[136:137], vcc, 1.0, v[118:119], 1.0
	v_mul_f64 v[138:139], v[136:137], v[134:135]
	v_fma_f64 v[116:117], -v[116:117], v[138:139], v[136:137]
	s_nop 1
	v_div_fmas_f64 v[116:117], v[116:117], v[134:135], v[138:139]
	v_div_fixup_f64 v[118:119], v[116:117], v[118:119], 1.0
	v_mul_f64 v[116:117], v[132:133], v[118:119]
	v_xor_b32_e32 v119, 0x80000000, v119
.LBB56_196:
	s_andn2_saveexec_b64 s[16:17], s[16:17]
	s_cbranch_execz .LBB56_198
; %bb.197:
	v_div_scale_f64 v[132:133], s[18:19], v[116:117], v[116:117], v[118:119]
	v_rcp_f64_e32 v[134:135], v[132:133]
	v_div_scale_f64 v[136:137], vcc, v[118:119], v[116:117], v[118:119]
	v_fma_f64 v[138:139], -v[132:133], v[134:135], 1.0
	v_fmac_f64_e32 v[134:135], v[134:135], v[138:139]
	v_fma_f64 v[138:139], -v[132:133], v[134:135], 1.0
	v_fmac_f64_e32 v[134:135], v[134:135], v[138:139]
	v_mul_f64 v[138:139], v[136:137], v[134:135]
	v_fma_f64 v[132:133], -v[132:133], v[138:139], v[136:137]
	v_div_fmas_f64 v[132:133], v[132:133], v[134:135], v[138:139]
	v_div_fixup_f64 v[132:133], v[132:133], v[116:117], v[118:119]
	v_fmac_f64_e32 v[116:117], v[118:119], v[132:133]
	v_div_scale_f64 v[118:119], s[18:19], v[116:117], v[116:117], 1.0
	v_rcp_f64_e32 v[134:135], v[118:119]
	s_nop 0
	v_fma_f64 v[136:137], -v[118:119], v[134:135], 1.0
	v_fmac_f64_e32 v[134:135], v[134:135], v[136:137]
	v_fma_f64 v[136:137], -v[118:119], v[134:135], 1.0
	v_fmac_f64_e32 v[134:135], v[134:135], v[136:137]
	v_div_scale_f64 v[136:137], vcc, 1.0, v[116:117], 1.0
	v_mul_f64 v[138:139], v[136:137], v[134:135]
	v_fma_f64 v[118:119], -v[118:119], v[138:139], v[136:137]
	s_nop 1
	v_div_fmas_f64 v[118:119], v[118:119], v[134:135], v[138:139]
	v_div_fixup_f64 v[116:117], v[118:119], v[116:117], 1.0
	v_mul_f64 v[118:119], v[132:133], -v[116:117]
.LBB56_198:
	s_or_b64 exec, exec, s[16:17]
.LBB56_199:
	s_or_b64 exec, exec, s[0:1]
	v_cmp_ne_u32_e32 vcc, v129, v126
	s_and_saveexec_b64 s[0:1], vcc
	s_xor_b64 s[0:1], exec, s[0:1]
	s_cbranch_execz .LBB56_205
; %bb.200:
	v_cmp_eq_u32_e32 vcc, 9, v129
	s_and_saveexec_b64 s[16:17], vcc
	s_cbranch_execz .LBB56_204
; %bb.201:
	v_cmp_ne_u32_e32 vcc, 9, v126
	s_xor_b64 s[18:19], s[14:15], -1
	s_and_b64 s[22:23], s[18:19], vcc
	s_and_saveexec_b64 s[18:19], s[22:23]
	s_cbranch_execz .LBB56_203
; %bb.202:
	v_ashrrev_i32_e32 v127, 31, v126
	v_lshl_add_u64 v[132:133], v[126:127], 2, v[124:125]
	global_load_dword v127, v[132:133], off
	global_load_dword v129, v[124:125], off offset:36
	s_waitcnt vmcnt(1)
	global_store_dword v[124:125], v127, off offset:36
	s_waitcnt vmcnt(1)
	global_store_dword v[132:133], v129, off
.LBB56_203:
	s_or_b64 exec, exec, s[18:19]
	v_mov_b32_e32 v129, v126
	v_mov_b32_e32 v131, v126
.LBB56_204:
	s_or_b64 exec, exec, s[16:17]
.LBB56_205:
	s_andn2_saveexec_b64 s[0:1], s[0:1]
	s_cbranch_execz .LBB56_207
; %bb.206:
	v_mov_b32_e32 v129, 9
	s_waitcnt vmcnt(18)
	ds_write2_b64 v128, v[68:69], v[70:71] offset0:20 offset1:21
	s_waitcnt vmcnt(17)
	ds_write2_b64 v128, v[64:65], v[66:67] offset0:22 offset1:23
	s_waitcnt vmcnt(16)
	ds_write2_b64 v128, v[60:61], v[62:63] offset0:24 offset1:25
	s_waitcnt vmcnt(15)
	ds_write2_b64 v128, v[56:57], v[58:59] offset0:26 offset1:27
	s_waitcnt vmcnt(14)
	ds_write2_b64 v128, v[52:53], v[54:55] offset0:28 offset1:29
	s_waitcnt vmcnt(13)
	ds_write2_b64 v128, v[44:45], v[46:47] offset0:30 offset1:31
	s_waitcnt vmcnt(12)
	ds_write2_b64 v128, v[48:49], v[50:51] offset0:32 offset1:33
	s_waitcnt vmcnt(11)
	ds_write2_b64 v128, v[40:41], v[42:43] offset0:34 offset1:35
	s_waitcnt vmcnt(10)
	ds_write2_b64 v128, v[36:37], v[38:39] offset0:36 offset1:37
	s_waitcnt vmcnt(9)
	ds_write2_b64 v128, v[32:33], v[34:35] offset0:38 offset1:39
	s_waitcnt vmcnt(8)
	ds_write2_b64 v128, v[28:29], v[30:31] offset0:40 offset1:41
	s_waitcnt vmcnt(7)
	ds_write2_b64 v128, v[24:25], v[26:27] offset0:42 offset1:43
	s_waitcnt vmcnt(6)
	ds_write2_b64 v128, v[20:21], v[22:23] offset0:44 offset1:45
	s_waitcnt vmcnt(5)
	ds_write2_b64 v128, v[16:17], v[18:19] offset0:46 offset1:47
	s_waitcnt vmcnt(4)
	ds_write2_b64 v128, v[12:13], v[14:15] offset0:48 offset1:49
	s_waitcnt vmcnt(3)
	ds_write2_b64 v128, v[8:9], v[10:11] offset0:50 offset1:51
	s_waitcnt vmcnt(2)
	ds_write2_b64 v128, v[4:5], v[6:7] offset0:52 offset1:53
	s_waitcnt vmcnt(1)
	ds_write2_b64 v128, v[0:1], v[2:3] offset0:54 offset1:55
	s_waitcnt vmcnt(0)
	ds_write2_b64 v128, v[112:113], v[114:115] offset0:56 offset1:57
.LBB56_207:
	s_or_b64 exec, exec, s[0:1]
	v_cmp_lt_i32_e32 vcc, 9, v129
	s_waitcnt lgkmcnt(0)
	s_barrier
	s_and_saveexec_b64 s[0:1], vcc
	s_cbranch_execz .LBB56_209
; %bb.208:
	ds_read2_b64 v[132:135], v128 offset0:20 offset1:21
	v_mul_f64 v[126:127], v[118:119], v[78:79]
	v_mul_f64 v[78:79], v[116:117], v[78:79]
	v_fmac_f64_e32 v[78:79], v[118:119], v[76:77]
	v_fma_f64 v[126:127], v[116:117], v[76:77], -v[126:127]
	ds_read2_b64 v[116:119], v128 offset0:22 offset1:23
	s_waitcnt lgkmcnt(1)
	v_mul_f64 v[76:77], v[134:135], v[78:79]
	v_fma_f64 v[76:77], v[132:133], v[126:127], -v[76:77]
	v_mul_f64 v[132:133], v[132:133], v[78:79]
	v_fmac_f64_e32 v[132:133], v[134:135], v[126:127]
	s_waitcnt vmcnt(18)
	v_add_f64 v[70:71], v[70:71], -v[132:133]
	ds_read2_b64 v[132:135], v128 offset0:24 offset1:25
	v_add_f64 v[68:69], v[68:69], -v[76:77]
	s_waitcnt lgkmcnt(1)
	v_mul_f64 v[76:77], v[118:119], v[78:79]
	v_fma_f64 v[76:77], v[116:117], v[126:127], -v[76:77]
	v_mul_f64 v[116:117], v[116:117], v[78:79]
	v_fmac_f64_e32 v[116:117], v[118:119], v[126:127]
	s_waitcnt vmcnt(17)
	v_add_f64 v[64:65], v[64:65], -v[76:77]
	v_add_f64 v[66:67], v[66:67], -v[116:117]
	ds_read2_b64 v[116:119], v128 offset0:26 offset1:27
	s_waitcnt lgkmcnt(1)
	v_mul_f64 v[76:77], v[134:135], v[78:79]
	v_fma_f64 v[76:77], v[132:133], v[126:127], -v[76:77]
	v_mul_f64 v[132:133], v[132:133], v[78:79]
	v_fmac_f64_e32 v[132:133], v[134:135], v[126:127]
	s_waitcnt vmcnt(16)
	v_add_f64 v[62:63], v[62:63], -v[132:133]
	ds_read2_b64 v[132:135], v128 offset0:28 offset1:29
	v_add_f64 v[60:61], v[60:61], -v[76:77]
	s_waitcnt lgkmcnt(1)
	v_mul_f64 v[76:77], v[118:119], v[78:79]
	v_fma_f64 v[76:77], v[116:117], v[126:127], -v[76:77]
	v_mul_f64 v[116:117], v[116:117], v[78:79]
	v_fmac_f64_e32 v[116:117], v[118:119], v[126:127]
	s_waitcnt vmcnt(15)
	v_add_f64 v[56:57], v[56:57], -v[76:77]
	v_add_f64 v[58:59], v[58:59], -v[116:117]
	;; [unrolled: 18-line block ×9, first 2 shown]
	s_waitcnt lgkmcnt(0)
	v_mul_f64 v[76:77], v[134:135], v[78:79]
	v_mul_f64 v[116:117], v[132:133], v[78:79]
	v_fma_f64 v[76:77], v[132:133], v[126:127], -v[76:77]
	v_fmac_f64_e32 v[116:117], v[134:135], v[126:127]
	s_waitcnt vmcnt(0)
	v_add_f64 v[112:113], v[112:113], -v[76:77]
	v_add_f64 v[114:115], v[114:115], -v[116:117]
	v_mov_b64_e32 v[76:77], v[126:127]
.LBB56_209:
	s_or_b64 exec, exec, s[0:1]
	v_lshl_add_u32 v116, v129, 4, v128
	s_barrier
	s_waitcnt vmcnt(18)
	ds_write2_b64 v116, v[68:69], v[70:71] offset1:1
	s_waitcnt lgkmcnt(0)
	s_barrier
	ds_read2_b64 v[116:119], v128 offset0:20 offset1:21
	s_cmp_lt_i32 s20, 12
	v_mov_b32_e32 v126, 10
	s_cbranch_scc1 .LBB56_212
; %bb.210:
	v_add_u32_e32 v127, 0xb0, v128
	s_mov_b32 s16, 11
	v_mov_b32_e32 v126, 10
.LBB56_211:                             ; =>This Inner Loop Header: Depth=1
	ds_read2_b64 v[132:135], v127 offset1:1
	s_waitcnt lgkmcnt(1)
	v_xor_b32_e32 v137, 0x80000000, v117
	v_xor_b32_e32 v139, 0x80000000, v119
	v_cmp_gt_f64_e32 vcc, 0, v[118:119]
	v_cmp_gt_f64_e64 s[0:1], 0, v[116:117]
	v_mov_b32_e32 v136, v116
	v_mov_b32_e32 v138, v118
	v_cndmask_b32_e64 v137, v117, v137, s[0:1]
	v_cndmask_b32_e32 v139, v119, v139, vcc
	v_add_f64 v[136:137], v[136:137], v[138:139]
	s_waitcnt lgkmcnt(0)
	v_xor_b32_e32 v139, 0x80000000, v133
	v_xor_b32_e32 v141, 0x80000000, v135
	v_cmp_gt_f64_e32 vcc, 0, v[134:135]
	v_cmp_gt_f64_e64 s[0:1], 0, v[132:133]
	v_mov_b32_e32 v138, v132
	v_mov_b32_e32 v140, v134
	v_cndmask_b32_e64 v139, v133, v139, s[0:1]
	v_cndmask_b32_e32 v141, v135, v141, vcc
	v_add_f64 v[138:139], v[138:139], v[140:141]
	v_mov_b32_e32 v142, s16
	s_add_i32 s16, s16, 1
	v_cmp_lt_f64_e32 vcc, v[136:137], v[138:139]
	v_add_u32_e32 v127, 16, v127
	s_cmp_lg_u32 s20, s16
	v_cndmask_b32_e32 v117, v117, v133, vcc
	v_cndmask_b32_e32 v116, v116, v132, vcc
	;; [unrolled: 1-line block ×5, first 2 shown]
	s_cbranch_scc1 .LBB56_211
.LBB56_212:
	s_waitcnt lgkmcnt(0)
	v_cmp_eq_f64_e32 vcc, 0, v[116:117]
	v_cmp_eq_f64_e64 s[0:1], 0, v[118:119]
	s_and_b64 s[0:1], vcc, s[0:1]
	s_and_saveexec_b64 s[16:17], s[0:1]
	s_xor_b64 s[0:1], exec, s[16:17]
; %bb.213:
	v_cmp_ne_u32_e32 vcc, 0, v130
	s_nop 1
	v_cndmask_b32_e32 v130, 11, v130, vcc
; %bb.214:
	s_andn2_saveexec_b64 s[0:1], s[0:1]
	s_cbranch_execz .LBB56_220
; %bb.215:
	v_cmp_ngt_f64_e64 s[16:17], |v[116:117]|, |v[118:119]|
	s_and_saveexec_b64 s[18:19], s[16:17]
	s_xor_b64 s[16:17], exec, s[18:19]
	s_cbranch_execz .LBB56_217
; %bb.216:
	v_div_scale_f64 v[132:133], s[18:19], v[118:119], v[118:119], v[116:117]
	v_rcp_f64_e32 v[134:135], v[132:133]
	v_div_scale_f64 v[136:137], vcc, v[116:117], v[118:119], v[116:117]
	v_fma_f64 v[138:139], -v[132:133], v[134:135], 1.0
	v_fmac_f64_e32 v[134:135], v[134:135], v[138:139]
	v_fma_f64 v[138:139], -v[132:133], v[134:135], 1.0
	v_fmac_f64_e32 v[134:135], v[134:135], v[138:139]
	v_mul_f64 v[138:139], v[136:137], v[134:135]
	v_fma_f64 v[132:133], -v[132:133], v[138:139], v[136:137]
	v_div_fmas_f64 v[132:133], v[132:133], v[134:135], v[138:139]
	v_div_fixup_f64 v[132:133], v[132:133], v[118:119], v[116:117]
	v_fmac_f64_e32 v[118:119], v[116:117], v[132:133]
	v_div_scale_f64 v[116:117], s[18:19], v[118:119], v[118:119], 1.0
	v_rcp_f64_e32 v[134:135], v[116:117]
	s_nop 0
	v_fma_f64 v[136:137], -v[116:117], v[134:135], 1.0
	v_fmac_f64_e32 v[134:135], v[134:135], v[136:137]
	v_fma_f64 v[136:137], -v[116:117], v[134:135], 1.0
	v_fmac_f64_e32 v[134:135], v[134:135], v[136:137]
	v_div_scale_f64 v[136:137], vcc, 1.0, v[118:119], 1.0
	v_mul_f64 v[138:139], v[136:137], v[134:135]
	v_fma_f64 v[116:117], -v[116:117], v[138:139], v[136:137]
	s_nop 1
	v_div_fmas_f64 v[116:117], v[116:117], v[134:135], v[138:139]
	v_div_fixup_f64 v[118:119], v[116:117], v[118:119], 1.0
	v_mul_f64 v[116:117], v[132:133], v[118:119]
	v_xor_b32_e32 v119, 0x80000000, v119
.LBB56_217:
	s_andn2_saveexec_b64 s[16:17], s[16:17]
	s_cbranch_execz .LBB56_219
; %bb.218:
	v_div_scale_f64 v[132:133], s[18:19], v[116:117], v[116:117], v[118:119]
	v_rcp_f64_e32 v[134:135], v[132:133]
	v_div_scale_f64 v[136:137], vcc, v[118:119], v[116:117], v[118:119]
	v_fma_f64 v[138:139], -v[132:133], v[134:135], 1.0
	v_fmac_f64_e32 v[134:135], v[134:135], v[138:139]
	v_fma_f64 v[138:139], -v[132:133], v[134:135], 1.0
	v_fmac_f64_e32 v[134:135], v[134:135], v[138:139]
	v_mul_f64 v[138:139], v[136:137], v[134:135]
	v_fma_f64 v[132:133], -v[132:133], v[138:139], v[136:137]
	v_div_fmas_f64 v[132:133], v[132:133], v[134:135], v[138:139]
	v_div_fixup_f64 v[132:133], v[132:133], v[116:117], v[118:119]
	v_fmac_f64_e32 v[116:117], v[118:119], v[132:133]
	v_div_scale_f64 v[118:119], s[18:19], v[116:117], v[116:117], 1.0
	v_rcp_f64_e32 v[134:135], v[118:119]
	s_nop 0
	v_fma_f64 v[136:137], -v[118:119], v[134:135], 1.0
	v_fmac_f64_e32 v[134:135], v[134:135], v[136:137]
	v_fma_f64 v[136:137], -v[118:119], v[134:135], 1.0
	v_fmac_f64_e32 v[134:135], v[134:135], v[136:137]
	v_div_scale_f64 v[136:137], vcc, 1.0, v[116:117], 1.0
	v_mul_f64 v[138:139], v[136:137], v[134:135]
	v_fma_f64 v[118:119], -v[118:119], v[138:139], v[136:137]
	s_nop 1
	v_div_fmas_f64 v[118:119], v[118:119], v[134:135], v[138:139]
	v_div_fixup_f64 v[116:117], v[118:119], v[116:117], 1.0
	v_mul_f64 v[118:119], v[132:133], -v[116:117]
.LBB56_219:
	s_or_b64 exec, exec, s[16:17]
.LBB56_220:
	s_or_b64 exec, exec, s[0:1]
	v_cmp_ne_u32_e32 vcc, v129, v126
	s_and_saveexec_b64 s[0:1], vcc
	s_xor_b64 s[0:1], exec, s[0:1]
	s_cbranch_execz .LBB56_226
; %bb.221:
	v_cmp_eq_u32_e32 vcc, 10, v129
	s_and_saveexec_b64 s[16:17], vcc
	s_cbranch_execz .LBB56_225
; %bb.222:
	v_cmp_ne_u32_e32 vcc, 10, v126
	s_xor_b64 s[18:19], s[14:15], -1
	s_and_b64 s[22:23], s[18:19], vcc
	s_and_saveexec_b64 s[18:19], s[22:23]
	s_cbranch_execz .LBB56_224
; %bb.223:
	v_ashrrev_i32_e32 v127, 31, v126
	v_lshl_add_u64 v[132:133], v[126:127], 2, v[124:125]
	global_load_dword v127, v[132:133], off
	global_load_dword v129, v[124:125], off offset:40
	s_waitcnt vmcnt(1)
	global_store_dword v[124:125], v127, off offset:40
	s_waitcnt vmcnt(1)
	global_store_dword v[132:133], v129, off
.LBB56_224:
	s_or_b64 exec, exec, s[18:19]
	v_mov_b32_e32 v129, v126
	v_mov_b32_e32 v131, v126
.LBB56_225:
	s_or_b64 exec, exec, s[16:17]
.LBB56_226:
	s_andn2_saveexec_b64 s[0:1], s[0:1]
	s_cbranch_execz .LBB56_228
; %bb.227:
	v_mov_b32_e32 v129, 10
	s_waitcnt vmcnt(17)
	ds_write2_b64 v128, v[64:65], v[66:67] offset0:22 offset1:23
	s_waitcnt vmcnt(16)
	ds_write2_b64 v128, v[60:61], v[62:63] offset0:24 offset1:25
	s_waitcnt vmcnt(15)
	ds_write2_b64 v128, v[56:57], v[58:59] offset0:26 offset1:27
	s_waitcnt vmcnt(14)
	ds_write2_b64 v128, v[52:53], v[54:55] offset0:28 offset1:29
	s_waitcnt vmcnt(13)
	ds_write2_b64 v128, v[44:45], v[46:47] offset0:30 offset1:31
	s_waitcnt vmcnt(12)
	ds_write2_b64 v128, v[48:49], v[50:51] offset0:32 offset1:33
	s_waitcnt vmcnt(11)
	ds_write2_b64 v128, v[40:41], v[42:43] offset0:34 offset1:35
	s_waitcnt vmcnt(10)
	ds_write2_b64 v128, v[36:37], v[38:39] offset0:36 offset1:37
	s_waitcnt vmcnt(9)
	ds_write2_b64 v128, v[32:33], v[34:35] offset0:38 offset1:39
	s_waitcnt vmcnt(8)
	ds_write2_b64 v128, v[28:29], v[30:31] offset0:40 offset1:41
	s_waitcnt vmcnt(7)
	ds_write2_b64 v128, v[24:25], v[26:27] offset0:42 offset1:43
	s_waitcnt vmcnt(6)
	ds_write2_b64 v128, v[20:21], v[22:23] offset0:44 offset1:45
	s_waitcnt vmcnt(5)
	ds_write2_b64 v128, v[16:17], v[18:19] offset0:46 offset1:47
	s_waitcnt vmcnt(4)
	ds_write2_b64 v128, v[12:13], v[14:15] offset0:48 offset1:49
	s_waitcnt vmcnt(3)
	ds_write2_b64 v128, v[8:9], v[10:11] offset0:50 offset1:51
	s_waitcnt vmcnt(2)
	ds_write2_b64 v128, v[4:5], v[6:7] offset0:52 offset1:53
	s_waitcnt vmcnt(1)
	ds_write2_b64 v128, v[0:1], v[2:3] offset0:54 offset1:55
	s_waitcnt vmcnt(0)
	ds_write2_b64 v128, v[112:113], v[114:115] offset0:56 offset1:57
.LBB56_228:
	s_or_b64 exec, exec, s[0:1]
	v_cmp_lt_i32_e32 vcc, 10, v129
	s_waitcnt lgkmcnt(0)
	s_barrier
	s_and_saveexec_b64 s[0:1], vcc
	s_cbranch_execz .LBB56_230
; %bb.229:
	ds_read2_b64 v[132:135], v128 offset0:22 offset1:23
	v_mul_f64 v[126:127], v[118:119], v[70:71]
	v_mul_f64 v[70:71], v[116:117], v[70:71]
	v_fma_f64 v[126:127], v[116:117], v[68:69], -v[126:127]
	v_fmac_f64_e32 v[70:71], v[118:119], v[68:69]
	ds_read2_b64 v[116:119], v128 offset0:24 offset1:25
	s_waitcnt lgkmcnt(1)
	v_mul_f64 v[68:69], v[134:135], v[70:71]
	v_fma_f64 v[68:69], v[132:133], v[126:127], -v[68:69]
	v_mul_f64 v[132:133], v[132:133], v[70:71]
	v_fmac_f64_e32 v[132:133], v[134:135], v[126:127]
	s_waitcnt vmcnt(17)
	v_add_f64 v[64:65], v[64:65], -v[68:69]
	s_waitcnt lgkmcnt(0)
	v_mul_f64 v[68:69], v[118:119], v[70:71]
	v_add_f64 v[66:67], v[66:67], -v[132:133]
	v_fma_f64 v[68:69], v[116:117], v[126:127], -v[68:69]
	v_mul_f64 v[116:117], v[116:117], v[70:71]
	ds_read2_b64 v[132:135], v128 offset0:26 offset1:27
	v_fmac_f64_e32 v[116:117], v[118:119], v[126:127]
	s_waitcnt vmcnt(16)
	v_add_f64 v[62:63], v[62:63], -v[116:117]
	ds_read2_b64 v[116:119], v128 offset0:28 offset1:29
	v_add_f64 v[60:61], v[60:61], -v[68:69]
	s_waitcnt lgkmcnt(1)
	v_mul_f64 v[68:69], v[134:135], v[70:71]
	v_fma_f64 v[68:69], v[132:133], v[126:127], -v[68:69]
	v_mul_f64 v[132:133], v[132:133], v[70:71]
	v_fmac_f64_e32 v[132:133], v[134:135], v[126:127]
	s_waitcnt vmcnt(15)
	v_add_f64 v[56:57], v[56:57], -v[68:69]
	s_waitcnt lgkmcnt(0)
	v_mul_f64 v[68:69], v[118:119], v[70:71]
	v_add_f64 v[58:59], v[58:59], -v[132:133]
	v_fma_f64 v[68:69], v[116:117], v[126:127], -v[68:69]
	v_mul_f64 v[116:117], v[116:117], v[70:71]
	ds_read2_b64 v[132:135], v128 offset0:30 offset1:31
	v_fmac_f64_e32 v[116:117], v[118:119], v[126:127]
	s_waitcnt vmcnt(14)
	v_add_f64 v[54:55], v[54:55], -v[116:117]
	ds_read2_b64 v[116:119], v128 offset0:32 offset1:33
	v_add_f64 v[52:53], v[52:53], -v[68:69]
	;; [unrolled: 18-line block ×8, first 2 shown]
	s_waitcnt lgkmcnt(1)
	v_mul_f64 v[68:69], v[134:135], v[70:71]
	v_fma_f64 v[68:69], v[132:133], v[126:127], -v[68:69]
	s_waitcnt vmcnt(1)
	v_add_f64 v[0:1], v[0:1], -v[68:69]
	s_waitcnt lgkmcnt(0)
	v_mul_f64 v[68:69], v[118:119], v[70:71]
	v_mul_f64 v[132:133], v[132:133], v[70:71]
	v_fma_f64 v[68:69], v[116:117], v[126:127], -v[68:69]
	v_mul_f64 v[116:117], v[116:117], v[70:71]
	v_fmac_f64_e32 v[132:133], v[134:135], v[126:127]
	v_fmac_f64_e32 v[116:117], v[118:119], v[126:127]
	v_add_f64 v[2:3], v[2:3], -v[132:133]
	s_waitcnt vmcnt(0)
	v_add_f64 v[112:113], v[112:113], -v[68:69]
	v_add_f64 v[114:115], v[114:115], -v[116:117]
	v_mov_b64_e32 v[68:69], v[126:127]
.LBB56_230:
	s_or_b64 exec, exec, s[0:1]
	v_lshl_add_u32 v116, v129, 4, v128
	s_barrier
	s_waitcnt vmcnt(17)
	ds_write2_b64 v116, v[64:65], v[66:67] offset1:1
	s_waitcnt lgkmcnt(0)
	s_barrier
	ds_read2_b64 v[116:119], v128 offset0:22 offset1:23
	s_cmp_lt_i32 s20, 13
	v_mov_b32_e32 v126, 11
	s_cbranch_scc1 .LBB56_233
; %bb.231:
	v_add_u32_e32 v127, 0xc0, v128
	s_mov_b32 s16, 12
	v_mov_b32_e32 v126, 11
.LBB56_232:                             ; =>This Inner Loop Header: Depth=1
	ds_read2_b64 v[132:135], v127 offset1:1
	s_waitcnt lgkmcnt(1)
	v_xor_b32_e32 v137, 0x80000000, v117
	v_xor_b32_e32 v139, 0x80000000, v119
	v_cmp_gt_f64_e32 vcc, 0, v[118:119]
	v_cmp_gt_f64_e64 s[0:1], 0, v[116:117]
	v_mov_b32_e32 v136, v116
	v_mov_b32_e32 v138, v118
	v_cndmask_b32_e64 v137, v117, v137, s[0:1]
	v_cndmask_b32_e32 v139, v119, v139, vcc
	v_add_f64 v[136:137], v[136:137], v[138:139]
	s_waitcnt lgkmcnt(0)
	v_xor_b32_e32 v139, 0x80000000, v133
	v_xor_b32_e32 v141, 0x80000000, v135
	v_cmp_gt_f64_e32 vcc, 0, v[134:135]
	v_cmp_gt_f64_e64 s[0:1], 0, v[132:133]
	v_mov_b32_e32 v138, v132
	v_mov_b32_e32 v140, v134
	v_cndmask_b32_e64 v139, v133, v139, s[0:1]
	v_cndmask_b32_e32 v141, v135, v141, vcc
	v_add_f64 v[138:139], v[138:139], v[140:141]
	v_mov_b32_e32 v142, s16
	s_add_i32 s16, s16, 1
	v_cmp_lt_f64_e32 vcc, v[136:137], v[138:139]
	v_add_u32_e32 v127, 16, v127
	s_cmp_lg_u32 s20, s16
	v_cndmask_b32_e32 v117, v117, v133, vcc
	v_cndmask_b32_e32 v116, v116, v132, vcc
	;; [unrolled: 1-line block ×5, first 2 shown]
	s_cbranch_scc1 .LBB56_232
.LBB56_233:
	s_waitcnt lgkmcnt(0)
	v_cmp_eq_f64_e32 vcc, 0, v[116:117]
	v_cmp_eq_f64_e64 s[0:1], 0, v[118:119]
	s_and_b64 s[0:1], vcc, s[0:1]
	s_and_saveexec_b64 s[16:17], s[0:1]
	s_xor_b64 s[0:1], exec, s[16:17]
; %bb.234:
	v_cmp_ne_u32_e32 vcc, 0, v130
	s_nop 1
	v_cndmask_b32_e32 v130, 12, v130, vcc
; %bb.235:
	s_andn2_saveexec_b64 s[0:1], s[0:1]
	s_cbranch_execz .LBB56_241
; %bb.236:
	v_cmp_ngt_f64_e64 s[16:17], |v[116:117]|, |v[118:119]|
	s_and_saveexec_b64 s[18:19], s[16:17]
	s_xor_b64 s[16:17], exec, s[18:19]
	s_cbranch_execz .LBB56_238
; %bb.237:
	v_div_scale_f64 v[132:133], s[18:19], v[118:119], v[118:119], v[116:117]
	v_rcp_f64_e32 v[134:135], v[132:133]
	v_div_scale_f64 v[136:137], vcc, v[116:117], v[118:119], v[116:117]
	v_fma_f64 v[138:139], -v[132:133], v[134:135], 1.0
	v_fmac_f64_e32 v[134:135], v[134:135], v[138:139]
	v_fma_f64 v[138:139], -v[132:133], v[134:135], 1.0
	v_fmac_f64_e32 v[134:135], v[134:135], v[138:139]
	v_mul_f64 v[138:139], v[136:137], v[134:135]
	v_fma_f64 v[132:133], -v[132:133], v[138:139], v[136:137]
	v_div_fmas_f64 v[132:133], v[132:133], v[134:135], v[138:139]
	v_div_fixup_f64 v[132:133], v[132:133], v[118:119], v[116:117]
	v_fmac_f64_e32 v[118:119], v[116:117], v[132:133]
	v_div_scale_f64 v[116:117], s[18:19], v[118:119], v[118:119], 1.0
	v_rcp_f64_e32 v[134:135], v[116:117]
	s_nop 0
	v_fma_f64 v[136:137], -v[116:117], v[134:135], 1.0
	v_fmac_f64_e32 v[134:135], v[134:135], v[136:137]
	v_fma_f64 v[136:137], -v[116:117], v[134:135], 1.0
	v_fmac_f64_e32 v[134:135], v[134:135], v[136:137]
	v_div_scale_f64 v[136:137], vcc, 1.0, v[118:119], 1.0
	v_mul_f64 v[138:139], v[136:137], v[134:135]
	v_fma_f64 v[116:117], -v[116:117], v[138:139], v[136:137]
	s_nop 1
	v_div_fmas_f64 v[116:117], v[116:117], v[134:135], v[138:139]
	v_div_fixup_f64 v[118:119], v[116:117], v[118:119], 1.0
	v_mul_f64 v[116:117], v[132:133], v[118:119]
	v_xor_b32_e32 v119, 0x80000000, v119
.LBB56_238:
	s_andn2_saveexec_b64 s[16:17], s[16:17]
	s_cbranch_execz .LBB56_240
; %bb.239:
	v_div_scale_f64 v[132:133], s[18:19], v[116:117], v[116:117], v[118:119]
	v_rcp_f64_e32 v[134:135], v[132:133]
	v_div_scale_f64 v[136:137], vcc, v[118:119], v[116:117], v[118:119]
	v_fma_f64 v[138:139], -v[132:133], v[134:135], 1.0
	v_fmac_f64_e32 v[134:135], v[134:135], v[138:139]
	v_fma_f64 v[138:139], -v[132:133], v[134:135], 1.0
	v_fmac_f64_e32 v[134:135], v[134:135], v[138:139]
	v_mul_f64 v[138:139], v[136:137], v[134:135]
	v_fma_f64 v[132:133], -v[132:133], v[138:139], v[136:137]
	v_div_fmas_f64 v[132:133], v[132:133], v[134:135], v[138:139]
	v_div_fixup_f64 v[132:133], v[132:133], v[116:117], v[118:119]
	v_fmac_f64_e32 v[116:117], v[118:119], v[132:133]
	v_div_scale_f64 v[118:119], s[18:19], v[116:117], v[116:117], 1.0
	v_rcp_f64_e32 v[134:135], v[118:119]
	s_nop 0
	v_fma_f64 v[136:137], -v[118:119], v[134:135], 1.0
	v_fmac_f64_e32 v[134:135], v[134:135], v[136:137]
	v_fma_f64 v[136:137], -v[118:119], v[134:135], 1.0
	v_fmac_f64_e32 v[134:135], v[134:135], v[136:137]
	v_div_scale_f64 v[136:137], vcc, 1.0, v[116:117], 1.0
	v_mul_f64 v[138:139], v[136:137], v[134:135]
	v_fma_f64 v[118:119], -v[118:119], v[138:139], v[136:137]
	s_nop 1
	v_div_fmas_f64 v[118:119], v[118:119], v[134:135], v[138:139]
	v_div_fixup_f64 v[116:117], v[118:119], v[116:117], 1.0
	v_mul_f64 v[118:119], v[132:133], -v[116:117]
.LBB56_240:
	s_or_b64 exec, exec, s[16:17]
.LBB56_241:
	s_or_b64 exec, exec, s[0:1]
	v_cmp_ne_u32_e32 vcc, v129, v126
	s_and_saveexec_b64 s[0:1], vcc
	s_xor_b64 s[0:1], exec, s[0:1]
	s_cbranch_execz .LBB56_247
; %bb.242:
	v_cmp_eq_u32_e32 vcc, 11, v129
	s_and_saveexec_b64 s[16:17], vcc
	s_cbranch_execz .LBB56_246
; %bb.243:
	v_cmp_ne_u32_e32 vcc, 11, v126
	s_xor_b64 s[18:19], s[14:15], -1
	s_and_b64 s[22:23], s[18:19], vcc
	s_and_saveexec_b64 s[18:19], s[22:23]
	s_cbranch_execz .LBB56_245
; %bb.244:
	v_ashrrev_i32_e32 v127, 31, v126
	v_lshl_add_u64 v[132:133], v[126:127], 2, v[124:125]
	global_load_dword v127, v[132:133], off
	global_load_dword v129, v[124:125], off offset:44
	s_waitcnt vmcnt(1)
	global_store_dword v[124:125], v127, off offset:44
	s_waitcnt vmcnt(1)
	global_store_dword v[132:133], v129, off
.LBB56_245:
	s_or_b64 exec, exec, s[18:19]
	v_mov_b32_e32 v129, v126
	v_mov_b32_e32 v131, v126
.LBB56_246:
	s_or_b64 exec, exec, s[16:17]
.LBB56_247:
	s_andn2_saveexec_b64 s[0:1], s[0:1]
	s_cbranch_execz .LBB56_249
; %bb.248:
	v_mov_b32_e32 v129, 11
	s_waitcnt vmcnt(16)
	ds_write2_b64 v128, v[60:61], v[62:63] offset0:24 offset1:25
	s_waitcnt vmcnt(15)
	ds_write2_b64 v128, v[56:57], v[58:59] offset0:26 offset1:27
	;; [unrolled: 2-line block ×17, first 2 shown]
.LBB56_249:
	s_or_b64 exec, exec, s[0:1]
	v_cmp_lt_i32_e32 vcc, 11, v129
	s_waitcnt lgkmcnt(0)
	s_barrier
	s_and_saveexec_b64 s[0:1], vcc
	s_cbranch_execz .LBB56_251
; %bb.250:
	ds_read2_b64 v[132:135], v128 offset0:24 offset1:25
	v_mul_f64 v[126:127], v[118:119], v[66:67]
	v_mul_f64 v[66:67], v[116:117], v[66:67]
	v_fmac_f64_e32 v[66:67], v[118:119], v[64:65]
	v_fma_f64 v[126:127], v[116:117], v[64:65], -v[126:127]
	ds_read2_b64 v[116:119], v128 offset0:26 offset1:27
	s_waitcnt lgkmcnt(1)
	v_mul_f64 v[64:65], v[134:135], v[66:67]
	v_fma_f64 v[64:65], v[132:133], v[126:127], -v[64:65]
	v_mul_f64 v[132:133], v[132:133], v[66:67]
	v_fmac_f64_e32 v[132:133], v[134:135], v[126:127]
	s_waitcnt vmcnt(16)
	v_add_f64 v[62:63], v[62:63], -v[132:133]
	ds_read2_b64 v[132:135], v128 offset0:28 offset1:29
	v_add_f64 v[60:61], v[60:61], -v[64:65]
	s_waitcnt lgkmcnt(1)
	v_mul_f64 v[64:65], v[118:119], v[66:67]
	v_fma_f64 v[64:65], v[116:117], v[126:127], -v[64:65]
	v_mul_f64 v[116:117], v[116:117], v[66:67]
	v_fmac_f64_e32 v[116:117], v[118:119], v[126:127]
	s_waitcnt vmcnt(15)
	v_add_f64 v[56:57], v[56:57], -v[64:65]
	v_add_f64 v[58:59], v[58:59], -v[116:117]
	ds_read2_b64 v[116:119], v128 offset0:30 offset1:31
	s_waitcnt lgkmcnt(1)
	v_mul_f64 v[64:65], v[134:135], v[66:67]
	v_fma_f64 v[64:65], v[132:133], v[126:127], -v[64:65]
	v_mul_f64 v[132:133], v[132:133], v[66:67]
	v_fmac_f64_e32 v[132:133], v[134:135], v[126:127]
	s_waitcnt vmcnt(14)
	v_add_f64 v[54:55], v[54:55], -v[132:133]
	ds_read2_b64 v[132:135], v128 offset0:32 offset1:33
	v_add_f64 v[52:53], v[52:53], -v[64:65]
	s_waitcnt lgkmcnt(1)
	v_mul_f64 v[64:65], v[118:119], v[66:67]
	v_fma_f64 v[64:65], v[116:117], v[126:127], -v[64:65]
	v_mul_f64 v[116:117], v[116:117], v[66:67]
	v_fmac_f64_e32 v[116:117], v[118:119], v[126:127]
	s_waitcnt vmcnt(13)
	v_add_f64 v[44:45], v[44:45], -v[64:65]
	v_add_f64 v[46:47], v[46:47], -v[116:117]
	ds_read2_b64 v[116:119], v128 offset0:34 offset1:35
	s_waitcnt lgkmcnt(1)
	v_mul_f64 v[64:65], v[134:135], v[66:67]
	v_fma_f64 v[64:65], v[132:133], v[126:127], -v[64:65]
	v_mul_f64 v[132:133], v[132:133], v[66:67]
	v_fmac_f64_e32 v[132:133], v[134:135], v[126:127]
	s_waitcnt vmcnt(12)
	v_add_f64 v[50:51], v[50:51], -v[132:133]
	ds_read2_b64 v[132:135], v128 offset0:36 offset1:37
	v_add_f64 v[48:49], v[48:49], -v[64:65]
	s_waitcnt lgkmcnt(1)
	v_mul_f64 v[64:65], v[118:119], v[66:67]
	v_fma_f64 v[64:65], v[116:117], v[126:127], -v[64:65]
	v_mul_f64 v[116:117], v[116:117], v[66:67]
	v_fmac_f64_e32 v[116:117], v[118:119], v[126:127]
	s_waitcnt vmcnt(11)
	v_add_f64 v[40:41], v[40:41], -v[64:65]
	v_add_f64 v[42:43], v[42:43], -v[116:117]
	ds_read2_b64 v[116:119], v128 offset0:38 offset1:39
	s_waitcnt lgkmcnt(1)
	v_mul_f64 v[64:65], v[134:135], v[66:67]
	v_fma_f64 v[64:65], v[132:133], v[126:127], -v[64:65]
	v_mul_f64 v[132:133], v[132:133], v[66:67]
	v_fmac_f64_e32 v[132:133], v[134:135], v[126:127]
	s_waitcnt vmcnt(10)
	v_add_f64 v[38:39], v[38:39], -v[132:133]
	ds_read2_b64 v[132:135], v128 offset0:40 offset1:41
	v_add_f64 v[36:37], v[36:37], -v[64:65]
	s_waitcnt lgkmcnt(1)
	v_mul_f64 v[64:65], v[118:119], v[66:67]
	v_fma_f64 v[64:65], v[116:117], v[126:127], -v[64:65]
	v_mul_f64 v[116:117], v[116:117], v[66:67]
	v_fmac_f64_e32 v[116:117], v[118:119], v[126:127]
	s_waitcnt vmcnt(9)
	v_add_f64 v[32:33], v[32:33], -v[64:65]
	v_add_f64 v[34:35], v[34:35], -v[116:117]
	ds_read2_b64 v[116:119], v128 offset0:42 offset1:43
	s_waitcnt lgkmcnt(1)
	v_mul_f64 v[64:65], v[134:135], v[66:67]
	v_fma_f64 v[64:65], v[132:133], v[126:127], -v[64:65]
	v_mul_f64 v[132:133], v[132:133], v[66:67]
	v_fmac_f64_e32 v[132:133], v[134:135], v[126:127]
	s_waitcnt vmcnt(8)
	v_add_f64 v[30:31], v[30:31], -v[132:133]
	ds_read2_b64 v[132:135], v128 offset0:44 offset1:45
	v_add_f64 v[28:29], v[28:29], -v[64:65]
	s_waitcnt lgkmcnt(1)
	v_mul_f64 v[64:65], v[118:119], v[66:67]
	v_fma_f64 v[64:65], v[116:117], v[126:127], -v[64:65]
	v_mul_f64 v[116:117], v[116:117], v[66:67]
	v_fmac_f64_e32 v[116:117], v[118:119], v[126:127]
	s_waitcnt vmcnt(7)
	v_add_f64 v[24:25], v[24:25], -v[64:65]
	v_add_f64 v[26:27], v[26:27], -v[116:117]
	ds_read2_b64 v[116:119], v128 offset0:46 offset1:47
	s_waitcnt lgkmcnt(1)
	v_mul_f64 v[64:65], v[134:135], v[66:67]
	v_fma_f64 v[64:65], v[132:133], v[126:127], -v[64:65]
	v_mul_f64 v[132:133], v[132:133], v[66:67]
	v_fmac_f64_e32 v[132:133], v[134:135], v[126:127]
	s_waitcnt vmcnt(6)
	v_add_f64 v[22:23], v[22:23], -v[132:133]
	ds_read2_b64 v[132:135], v128 offset0:48 offset1:49
	v_add_f64 v[20:21], v[20:21], -v[64:65]
	s_waitcnt lgkmcnt(1)
	v_mul_f64 v[64:65], v[118:119], v[66:67]
	v_fma_f64 v[64:65], v[116:117], v[126:127], -v[64:65]
	v_mul_f64 v[116:117], v[116:117], v[66:67]
	v_fmac_f64_e32 v[116:117], v[118:119], v[126:127]
	s_waitcnt vmcnt(5)
	v_add_f64 v[16:17], v[16:17], -v[64:65]
	v_add_f64 v[18:19], v[18:19], -v[116:117]
	ds_read2_b64 v[116:119], v128 offset0:50 offset1:51
	s_waitcnt lgkmcnt(1)
	v_mul_f64 v[64:65], v[134:135], v[66:67]
	v_fma_f64 v[64:65], v[132:133], v[126:127], -v[64:65]
	v_mul_f64 v[132:133], v[132:133], v[66:67]
	v_fmac_f64_e32 v[132:133], v[134:135], v[126:127]
	s_waitcnt vmcnt(4)
	v_add_f64 v[14:15], v[14:15], -v[132:133]
	ds_read2_b64 v[132:135], v128 offset0:52 offset1:53
	v_add_f64 v[12:13], v[12:13], -v[64:65]
	s_waitcnt lgkmcnt(1)
	v_mul_f64 v[64:65], v[118:119], v[66:67]
	v_fma_f64 v[64:65], v[116:117], v[126:127], -v[64:65]
	v_mul_f64 v[116:117], v[116:117], v[66:67]
	v_fmac_f64_e32 v[116:117], v[118:119], v[126:127]
	s_waitcnt vmcnt(3)
	v_add_f64 v[8:9], v[8:9], -v[64:65]
	v_add_f64 v[10:11], v[10:11], -v[116:117]
	ds_read2_b64 v[116:119], v128 offset0:54 offset1:55
	s_waitcnt lgkmcnt(1)
	v_mul_f64 v[64:65], v[134:135], v[66:67]
	v_fma_f64 v[64:65], v[132:133], v[126:127], -v[64:65]
	v_mul_f64 v[132:133], v[132:133], v[66:67]
	v_fmac_f64_e32 v[132:133], v[134:135], v[126:127]
	s_waitcnt vmcnt(2)
	v_add_f64 v[6:7], v[6:7], -v[132:133]
	ds_read2_b64 v[132:135], v128 offset0:56 offset1:57
	v_add_f64 v[4:5], v[4:5], -v[64:65]
	s_waitcnt lgkmcnt(1)
	v_mul_f64 v[64:65], v[118:119], v[66:67]
	v_fma_f64 v[64:65], v[116:117], v[126:127], -v[64:65]
	v_mul_f64 v[116:117], v[116:117], v[66:67]
	v_fmac_f64_e32 v[116:117], v[118:119], v[126:127]
	s_waitcnt vmcnt(1)
	v_add_f64 v[0:1], v[0:1], -v[64:65]
	v_add_f64 v[2:3], v[2:3], -v[116:117]
	s_waitcnt lgkmcnt(0)
	v_mul_f64 v[64:65], v[134:135], v[66:67]
	v_mul_f64 v[116:117], v[132:133], v[66:67]
	v_fma_f64 v[64:65], v[132:133], v[126:127], -v[64:65]
	v_fmac_f64_e32 v[116:117], v[134:135], v[126:127]
	s_waitcnt vmcnt(0)
	v_add_f64 v[112:113], v[112:113], -v[64:65]
	v_add_f64 v[114:115], v[114:115], -v[116:117]
	v_mov_b64_e32 v[64:65], v[126:127]
.LBB56_251:
	s_or_b64 exec, exec, s[0:1]
	v_lshl_add_u32 v116, v129, 4, v128
	s_barrier
	s_waitcnt vmcnt(16)
	ds_write2_b64 v116, v[60:61], v[62:63] offset1:1
	s_waitcnt lgkmcnt(0)
	s_barrier
	ds_read2_b64 v[116:119], v128 offset0:24 offset1:25
	s_cmp_lt_i32 s20, 14
	v_mov_b32_e32 v126, 12
	s_cbranch_scc1 .LBB56_254
; %bb.252:
	v_add_u32_e32 v127, 0xd0, v128
	s_mov_b32 s16, 13
	v_mov_b32_e32 v126, 12
.LBB56_253:                             ; =>This Inner Loop Header: Depth=1
	ds_read2_b64 v[132:135], v127 offset1:1
	s_waitcnt lgkmcnt(1)
	v_xor_b32_e32 v137, 0x80000000, v117
	v_xor_b32_e32 v139, 0x80000000, v119
	v_cmp_gt_f64_e32 vcc, 0, v[118:119]
	v_cmp_gt_f64_e64 s[0:1], 0, v[116:117]
	v_mov_b32_e32 v136, v116
	v_mov_b32_e32 v138, v118
	v_cndmask_b32_e64 v137, v117, v137, s[0:1]
	v_cndmask_b32_e32 v139, v119, v139, vcc
	v_add_f64 v[136:137], v[136:137], v[138:139]
	s_waitcnt lgkmcnt(0)
	v_xor_b32_e32 v139, 0x80000000, v133
	v_xor_b32_e32 v141, 0x80000000, v135
	v_cmp_gt_f64_e32 vcc, 0, v[134:135]
	v_cmp_gt_f64_e64 s[0:1], 0, v[132:133]
	v_mov_b32_e32 v138, v132
	v_mov_b32_e32 v140, v134
	v_cndmask_b32_e64 v139, v133, v139, s[0:1]
	v_cndmask_b32_e32 v141, v135, v141, vcc
	v_add_f64 v[138:139], v[138:139], v[140:141]
	v_mov_b32_e32 v142, s16
	s_add_i32 s16, s16, 1
	v_cmp_lt_f64_e32 vcc, v[136:137], v[138:139]
	v_add_u32_e32 v127, 16, v127
	s_cmp_lg_u32 s20, s16
	v_cndmask_b32_e32 v117, v117, v133, vcc
	v_cndmask_b32_e32 v116, v116, v132, vcc
	;; [unrolled: 1-line block ×5, first 2 shown]
	s_cbranch_scc1 .LBB56_253
.LBB56_254:
	s_waitcnt lgkmcnt(0)
	v_cmp_eq_f64_e32 vcc, 0, v[116:117]
	v_cmp_eq_f64_e64 s[0:1], 0, v[118:119]
	s_and_b64 s[0:1], vcc, s[0:1]
	s_and_saveexec_b64 s[16:17], s[0:1]
	s_xor_b64 s[0:1], exec, s[16:17]
; %bb.255:
	v_cmp_ne_u32_e32 vcc, 0, v130
	s_nop 1
	v_cndmask_b32_e32 v130, 13, v130, vcc
; %bb.256:
	s_andn2_saveexec_b64 s[0:1], s[0:1]
	s_cbranch_execz .LBB56_262
; %bb.257:
	v_cmp_ngt_f64_e64 s[16:17], |v[116:117]|, |v[118:119]|
	s_and_saveexec_b64 s[18:19], s[16:17]
	s_xor_b64 s[16:17], exec, s[18:19]
	s_cbranch_execz .LBB56_259
; %bb.258:
	v_div_scale_f64 v[132:133], s[18:19], v[118:119], v[118:119], v[116:117]
	v_rcp_f64_e32 v[134:135], v[132:133]
	v_div_scale_f64 v[136:137], vcc, v[116:117], v[118:119], v[116:117]
	v_fma_f64 v[138:139], -v[132:133], v[134:135], 1.0
	v_fmac_f64_e32 v[134:135], v[134:135], v[138:139]
	v_fma_f64 v[138:139], -v[132:133], v[134:135], 1.0
	v_fmac_f64_e32 v[134:135], v[134:135], v[138:139]
	v_mul_f64 v[138:139], v[136:137], v[134:135]
	v_fma_f64 v[132:133], -v[132:133], v[138:139], v[136:137]
	v_div_fmas_f64 v[132:133], v[132:133], v[134:135], v[138:139]
	v_div_fixup_f64 v[132:133], v[132:133], v[118:119], v[116:117]
	v_fmac_f64_e32 v[118:119], v[116:117], v[132:133]
	v_div_scale_f64 v[116:117], s[18:19], v[118:119], v[118:119], 1.0
	v_rcp_f64_e32 v[134:135], v[116:117]
	s_nop 0
	v_fma_f64 v[136:137], -v[116:117], v[134:135], 1.0
	v_fmac_f64_e32 v[134:135], v[134:135], v[136:137]
	v_fma_f64 v[136:137], -v[116:117], v[134:135], 1.0
	v_fmac_f64_e32 v[134:135], v[134:135], v[136:137]
	v_div_scale_f64 v[136:137], vcc, 1.0, v[118:119], 1.0
	v_mul_f64 v[138:139], v[136:137], v[134:135]
	v_fma_f64 v[116:117], -v[116:117], v[138:139], v[136:137]
	s_nop 1
	v_div_fmas_f64 v[116:117], v[116:117], v[134:135], v[138:139]
	v_div_fixup_f64 v[118:119], v[116:117], v[118:119], 1.0
	v_mul_f64 v[116:117], v[132:133], v[118:119]
	v_xor_b32_e32 v119, 0x80000000, v119
.LBB56_259:
	s_andn2_saveexec_b64 s[16:17], s[16:17]
	s_cbranch_execz .LBB56_261
; %bb.260:
	v_div_scale_f64 v[132:133], s[18:19], v[116:117], v[116:117], v[118:119]
	v_rcp_f64_e32 v[134:135], v[132:133]
	v_div_scale_f64 v[136:137], vcc, v[118:119], v[116:117], v[118:119]
	v_fma_f64 v[138:139], -v[132:133], v[134:135], 1.0
	v_fmac_f64_e32 v[134:135], v[134:135], v[138:139]
	v_fma_f64 v[138:139], -v[132:133], v[134:135], 1.0
	v_fmac_f64_e32 v[134:135], v[134:135], v[138:139]
	v_mul_f64 v[138:139], v[136:137], v[134:135]
	v_fma_f64 v[132:133], -v[132:133], v[138:139], v[136:137]
	v_div_fmas_f64 v[132:133], v[132:133], v[134:135], v[138:139]
	v_div_fixup_f64 v[132:133], v[132:133], v[116:117], v[118:119]
	v_fmac_f64_e32 v[116:117], v[118:119], v[132:133]
	v_div_scale_f64 v[118:119], s[18:19], v[116:117], v[116:117], 1.0
	v_rcp_f64_e32 v[134:135], v[118:119]
	s_nop 0
	v_fma_f64 v[136:137], -v[118:119], v[134:135], 1.0
	v_fmac_f64_e32 v[134:135], v[134:135], v[136:137]
	v_fma_f64 v[136:137], -v[118:119], v[134:135], 1.0
	v_fmac_f64_e32 v[134:135], v[134:135], v[136:137]
	v_div_scale_f64 v[136:137], vcc, 1.0, v[116:117], 1.0
	v_mul_f64 v[138:139], v[136:137], v[134:135]
	v_fma_f64 v[118:119], -v[118:119], v[138:139], v[136:137]
	s_nop 1
	v_div_fmas_f64 v[118:119], v[118:119], v[134:135], v[138:139]
	v_div_fixup_f64 v[116:117], v[118:119], v[116:117], 1.0
	v_mul_f64 v[118:119], v[132:133], -v[116:117]
.LBB56_261:
	s_or_b64 exec, exec, s[16:17]
.LBB56_262:
	s_or_b64 exec, exec, s[0:1]
	v_cmp_ne_u32_e32 vcc, v129, v126
	s_and_saveexec_b64 s[0:1], vcc
	s_xor_b64 s[0:1], exec, s[0:1]
	s_cbranch_execz .LBB56_268
; %bb.263:
	v_cmp_eq_u32_e32 vcc, 12, v129
	s_and_saveexec_b64 s[16:17], vcc
	s_cbranch_execz .LBB56_267
; %bb.264:
	v_cmp_ne_u32_e32 vcc, 12, v126
	s_xor_b64 s[18:19], s[14:15], -1
	s_and_b64 s[22:23], s[18:19], vcc
	s_and_saveexec_b64 s[18:19], s[22:23]
	s_cbranch_execz .LBB56_266
; %bb.265:
	v_ashrrev_i32_e32 v127, 31, v126
	v_lshl_add_u64 v[132:133], v[126:127], 2, v[124:125]
	global_load_dword v127, v[132:133], off
	global_load_dword v129, v[124:125], off offset:48
	s_waitcnt vmcnt(1)
	global_store_dword v[124:125], v127, off offset:48
	s_waitcnt vmcnt(1)
	global_store_dword v[132:133], v129, off
.LBB56_266:
	s_or_b64 exec, exec, s[18:19]
	v_mov_b32_e32 v129, v126
	v_mov_b32_e32 v131, v126
.LBB56_267:
	s_or_b64 exec, exec, s[16:17]
.LBB56_268:
	s_andn2_saveexec_b64 s[0:1], s[0:1]
	s_cbranch_execz .LBB56_270
; %bb.269:
	v_mov_b32_e32 v129, 12
	s_waitcnt vmcnt(15)
	ds_write2_b64 v128, v[56:57], v[58:59] offset0:26 offset1:27
	s_waitcnt vmcnt(14)
	ds_write2_b64 v128, v[52:53], v[54:55] offset0:28 offset1:29
	;; [unrolled: 2-line block ×16, first 2 shown]
.LBB56_270:
	s_or_b64 exec, exec, s[0:1]
	v_cmp_lt_i32_e32 vcc, 12, v129
	s_waitcnt lgkmcnt(0)
	s_barrier
	s_and_saveexec_b64 s[0:1], vcc
	s_cbranch_execz .LBB56_272
; %bb.271:
	ds_read2_b64 v[132:135], v128 offset0:26 offset1:27
	v_mul_f64 v[126:127], v[116:117], v[62:63]
	v_mul_f64 v[62:63], v[118:119], v[62:63]
	v_fmac_f64_e32 v[126:127], v[118:119], v[60:61]
	v_fma_f64 v[60:61], v[116:117], v[60:61], -v[62:63]
	ds_read2_b64 v[116:119], v128 offset0:28 offset1:29
	s_waitcnt lgkmcnt(1)
	v_mul_f64 v[62:63], v[134:135], v[126:127]
	v_fma_f64 v[62:63], v[132:133], v[60:61], -v[62:63]
	v_mul_f64 v[132:133], v[132:133], v[126:127]
	v_fmac_f64_e32 v[132:133], v[134:135], v[60:61]
	s_waitcnt vmcnt(15)
	v_add_f64 v[56:57], v[56:57], -v[62:63]
	s_waitcnt lgkmcnt(0)
	v_mul_f64 v[62:63], v[118:119], v[126:127]
	v_add_f64 v[58:59], v[58:59], -v[132:133]
	v_fma_f64 v[62:63], v[116:117], v[60:61], -v[62:63]
	v_mul_f64 v[116:117], v[116:117], v[126:127]
	ds_read2_b64 v[132:135], v128 offset0:30 offset1:31
	v_fmac_f64_e32 v[116:117], v[118:119], v[60:61]
	s_waitcnt vmcnt(14)
	v_add_f64 v[54:55], v[54:55], -v[116:117]
	ds_read2_b64 v[116:119], v128 offset0:32 offset1:33
	v_add_f64 v[52:53], v[52:53], -v[62:63]
	s_waitcnt lgkmcnt(1)
	v_mul_f64 v[62:63], v[134:135], v[126:127]
	v_fma_f64 v[62:63], v[132:133], v[60:61], -v[62:63]
	v_mul_f64 v[132:133], v[132:133], v[126:127]
	v_fmac_f64_e32 v[132:133], v[134:135], v[60:61]
	s_waitcnt vmcnt(13)
	v_add_f64 v[44:45], v[44:45], -v[62:63]
	s_waitcnt lgkmcnt(0)
	v_mul_f64 v[62:63], v[118:119], v[126:127]
	v_add_f64 v[46:47], v[46:47], -v[132:133]
	v_fma_f64 v[62:63], v[116:117], v[60:61], -v[62:63]
	v_mul_f64 v[116:117], v[116:117], v[126:127]
	ds_read2_b64 v[132:135], v128 offset0:34 offset1:35
	v_fmac_f64_e32 v[116:117], v[118:119], v[60:61]
	s_waitcnt vmcnt(12)
	v_add_f64 v[50:51], v[50:51], -v[116:117]
	ds_read2_b64 v[116:119], v128 offset0:36 offset1:37
	v_add_f64 v[48:49], v[48:49], -v[62:63]
	;; [unrolled: 18-line block ×7, first 2 shown]
	s_waitcnt lgkmcnt(1)
	v_mul_f64 v[62:63], v[134:135], v[126:127]
	v_fma_f64 v[62:63], v[132:133], v[60:61], -v[62:63]
	s_waitcnt vmcnt(1)
	v_add_f64 v[0:1], v[0:1], -v[62:63]
	s_waitcnt lgkmcnt(0)
	v_mul_f64 v[62:63], v[118:119], v[126:127]
	v_mul_f64 v[132:133], v[132:133], v[126:127]
	v_fma_f64 v[62:63], v[116:117], v[60:61], -v[62:63]
	v_mul_f64 v[116:117], v[116:117], v[126:127]
	v_fmac_f64_e32 v[132:133], v[134:135], v[60:61]
	v_fmac_f64_e32 v[116:117], v[118:119], v[60:61]
	v_add_f64 v[2:3], v[2:3], -v[132:133]
	s_waitcnt vmcnt(0)
	v_add_f64 v[112:113], v[112:113], -v[62:63]
	v_add_f64 v[114:115], v[114:115], -v[116:117]
	v_mov_b64_e32 v[62:63], v[126:127]
.LBB56_272:
	s_or_b64 exec, exec, s[0:1]
	v_lshl_add_u32 v116, v129, 4, v128
	s_barrier
	s_waitcnt vmcnt(15)
	ds_write2_b64 v116, v[56:57], v[58:59] offset1:1
	s_waitcnt lgkmcnt(0)
	s_barrier
	ds_read2_b64 v[116:119], v128 offset0:26 offset1:27
	s_cmp_lt_i32 s20, 15
	v_mov_b32_e32 v126, 13
	s_cbranch_scc1 .LBB56_275
; %bb.273:
	v_add_u32_e32 v127, 0xe0, v128
	s_mov_b32 s16, 14
	v_mov_b32_e32 v126, 13
.LBB56_274:                             ; =>This Inner Loop Header: Depth=1
	ds_read2_b64 v[132:135], v127 offset1:1
	s_waitcnt lgkmcnt(1)
	v_xor_b32_e32 v137, 0x80000000, v117
	v_xor_b32_e32 v139, 0x80000000, v119
	v_cmp_gt_f64_e32 vcc, 0, v[118:119]
	v_cmp_gt_f64_e64 s[0:1], 0, v[116:117]
	v_mov_b32_e32 v136, v116
	v_mov_b32_e32 v138, v118
	v_cndmask_b32_e64 v137, v117, v137, s[0:1]
	v_cndmask_b32_e32 v139, v119, v139, vcc
	v_add_f64 v[136:137], v[136:137], v[138:139]
	s_waitcnt lgkmcnt(0)
	v_xor_b32_e32 v139, 0x80000000, v133
	v_xor_b32_e32 v141, 0x80000000, v135
	v_cmp_gt_f64_e32 vcc, 0, v[134:135]
	v_cmp_gt_f64_e64 s[0:1], 0, v[132:133]
	v_mov_b32_e32 v138, v132
	v_mov_b32_e32 v140, v134
	v_cndmask_b32_e64 v139, v133, v139, s[0:1]
	v_cndmask_b32_e32 v141, v135, v141, vcc
	v_add_f64 v[138:139], v[138:139], v[140:141]
	v_mov_b32_e32 v142, s16
	s_add_i32 s16, s16, 1
	v_cmp_lt_f64_e32 vcc, v[136:137], v[138:139]
	v_add_u32_e32 v127, 16, v127
	s_cmp_lg_u32 s20, s16
	v_cndmask_b32_e32 v117, v117, v133, vcc
	v_cndmask_b32_e32 v116, v116, v132, vcc
	;; [unrolled: 1-line block ×5, first 2 shown]
	s_cbranch_scc1 .LBB56_274
.LBB56_275:
	s_waitcnt lgkmcnt(0)
	v_cmp_eq_f64_e32 vcc, 0, v[116:117]
	v_cmp_eq_f64_e64 s[0:1], 0, v[118:119]
	s_and_b64 s[0:1], vcc, s[0:1]
	s_and_saveexec_b64 s[16:17], s[0:1]
	s_xor_b64 s[0:1], exec, s[16:17]
; %bb.276:
	v_cmp_ne_u32_e32 vcc, 0, v130
	s_nop 1
	v_cndmask_b32_e32 v130, 14, v130, vcc
; %bb.277:
	s_andn2_saveexec_b64 s[0:1], s[0:1]
	s_cbranch_execz .LBB56_283
; %bb.278:
	v_cmp_ngt_f64_e64 s[16:17], |v[116:117]|, |v[118:119]|
	s_and_saveexec_b64 s[18:19], s[16:17]
	s_xor_b64 s[16:17], exec, s[18:19]
	s_cbranch_execz .LBB56_280
; %bb.279:
	v_div_scale_f64 v[132:133], s[18:19], v[118:119], v[118:119], v[116:117]
	v_rcp_f64_e32 v[134:135], v[132:133]
	v_div_scale_f64 v[136:137], vcc, v[116:117], v[118:119], v[116:117]
	v_fma_f64 v[138:139], -v[132:133], v[134:135], 1.0
	v_fmac_f64_e32 v[134:135], v[134:135], v[138:139]
	v_fma_f64 v[138:139], -v[132:133], v[134:135], 1.0
	v_fmac_f64_e32 v[134:135], v[134:135], v[138:139]
	v_mul_f64 v[138:139], v[136:137], v[134:135]
	v_fma_f64 v[132:133], -v[132:133], v[138:139], v[136:137]
	v_div_fmas_f64 v[132:133], v[132:133], v[134:135], v[138:139]
	v_div_fixup_f64 v[132:133], v[132:133], v[118:119], v[116:117]
	v_fmac_f64_e32 v[118:119], v[116:117], v[132:133]
	v_div_scale_f64 v[116:117], s[18:19], v[118:119], v[118:119], 1.0
	v_rcp_f64_e32 v[134:135], v[116:117]
	s_nop 0
	v_fma_f64 v[136:137], -v[116:117], v[134:135], 1.0
	v_fmac_f64_e32 v[134:135], v[134:135], v[136:137]
	v_fma_f64 v[136:137], -v[116:117], v[134:135], 1.0
	v_fmac_f64_e32 v[134:135], v[134:135], v[136:137]
	v_div_scale_f64 v[136:137], vcc, 1.0, v[118:119], 1.0
	v_mul_f64 v[138:139], v[136:137], v[134:135]
	v_fma_f64 v[116:117], -v[116:117], v[138:139], v[136:137]
	s_nop 1
	v_div_fmas_f64 v[116:117], v[116:117], v[134:135], v[138:139]
	v_div_fixup_f64 v[118:119], v[116:117], v[118:119], 1.0
	v_mul_f64 v[116:117], v[132:133], v[118:119]
	v_xor_b32_e32 v119, 0x80000000, v119
.LBB56_280:
	s_andn2_saveexec_b64 s[16:17], s[16:17]
	s_cbranch_execz .LBB56_282
; %bb.281:
	v_div_scale_f64 v[132:133], s[18:19], v[116:117], v[116:117], v[118:119]
	v_rcp_f64_e32 v[134:135], v[132:133]
	v_div_scale_f64 v[136:137], vcc, v[118:119], v[116:117], v[118:119]
	v_fma_f64 v[138:139], -v[132:133], v[134:135], 1.0
	v_fmac_f64_e32 v[134:135], v[134:135], v[138:139]
	v_fma_f64 v[138:139], -v[132:133], v[134:135], 1.0
	v_fmac_f64_e32 v[134:135], v[134:135], v[138:139]
	v_mul_f64 v[138:139], v[136:137], v[134:135]
	v_fma_f64 v[132:133], -v[132:133], v[138:139], v[136:137]
	v_div_fmas_f64 v[132:133], v[132:133], v[134:135], v[138:139]
	v_div_fixup_f64 v[132:133], v[132:133], v[116:117], v[118:119]
	v_fmac_f64_e32 v[116:117], v[118:119], v[132:133]
	v_div_scale_f64 v[118:119], s[18:19], v[116:117], v[116:117], 1.0
	v_rcp_f64_e32 v[134:135], v[118:119]
	s_nop 0
	v_fma_f64 v[136:137], -v[118:119], v[134:135], 1.0
	v_fmac_f64_e32 v[134:135], v[134:135], v[136:137]
	v_fma_f64 v[136:137], -v[118:119], v[134:135], 1.0
	v_fmac_f64_e32 v[134:135], v[134:135], v[136:137]
	v_div_scale_f64 v[136:137], vcc, 1.0, v[116:117], 1.0
	v_mul_f64 v[138:139], v[136:137], v[134:135]
	v_fma_f64 v[118:119], -v[118:119], v[138:139], v[136:137]
	s_nop 1
	v_div_fmas_f64 v[118:119], v[118:119], v[134:135], v[138:139]
	v_div_fixup_f64 v[116:117], v[118:119], v[116:117], 1.0
	v_mul_f64 v[118:119], v[132:133], -v[116:117]
.LBB56_282:
	s_or_b64 exec, exec, s[16:17]
.LBB56_283:
	s_or_b64 exec, exec, s[0:1]
	v_cmp_ne_u32_e32 vcc, v129, v126
	s_and_saveexec_b64 s[0:1], vcc
	s_xor_b64 s[0:1], exec, s[0:1]
	s_cbranch_execz .LBB56_289
; %bb.284:
	v_cmp_eq_u32_e32 vcc, 13, v129
	s_and_saveexec_b64 s[16:17], vcc
	s_cbranch_execz .LBB56_288
; %bb.285:
	v_cmp_ne_u32_e32 vcc, 13, v126
	s_xor_b64 s[18:19], s[14:15], -1
	s_and_b64 s[22:23], s[18:19], vcc
	s_and_saveexec_b64 s[18:19], s[22:23]
	s_cbranch_execz .LBB56_287
; %bb.286:
	v_ashrrev_i32_e32 v127, 31, v126
	v_lshl_add_u64 v[132:133], v[126:127], 2, v[124:125]
	global_load_dword v127, v[132:133], off
	global_load_dword v129, v[124:125], off offset:52
	s_waitcnt vmcnt(1)
	global_store_dword v[124:125], v127, off offset:52
	s_waitcnt vmcnt(1)
	global_store_dword v[132:133], v129, off
.LBB56_287:
	s_or_b64 exec, exec, s[18:19]
	v_mov_b32_e32 v129, v126
	v_mov_b32_e32 v131, v126
.LBB56_288:
	s_or_b64 exec, exec, s[16:17]
.LBB56_289:
	s_andn2_saveexec_b64 s[0:1], s[0:1]
	s_cbranch_execz .LBB56_291
; %bb.290:
	v_mov_b32_e32 v129, 13
	s_waitcnt vmcnt(14)
	ds_write2_b64 v128, v[52:53], v[54:55] offset0:28 offset1:29
	s_waitcnt vmcnt(13)
	ds_write2_b64 v128, v[44:45], v[46:47] offset0:30 offset1:31
	s_waitcnt vmcnt(12)
	ds_write2_b64 v128, v[48:49], v[50:51] offset0:32 offset1:33
	s_waitcnt vmcnt(11)
	ds_write2_b64 v128, v[40:41], v[42:43] offset0:34 offset1:35
	s_waitcnt vmcnt(10)
	ds_write2_b64 v128, v[36:37], v[38:39] offset0:36 offset1:37
	s_waitcnt vmcnt(9)
	ds_write2_b64 v128, v[32:33], v[34:35] offset0:38 offset1:39
	s_waitcnt vmcnt(8)
	ds_write2_b64 v128, v[28:29], v[30:31] offset0:40 offset1:41
	s_waitcnt vmcnt(7)
	ds_write2_b64 v128, v[24:25], v[26:27] offset0:42 offset1:43
	s_waitcnt vmcnt(6)
	ds_write2_b64 v128, v[20:21], v[22:23] offset0:44 offset1:45
	s_waitcnt vmcnt(5)
	ds_write2_b64 v128, v[16:17], v[18:19] offset0:46 offset1:47
	s_waitcnt vmcnt(4)
	ds_write2_b64 v128, v[12:13], v[14:15] offset0:48 offset1:49
	s_waitcnt vmcnt(3)
	ds_write2_b64 v128, v[8:9], v[10:11] offset0:50 offset1:51
	s_waitcnt vmcnt(2)
	ds_write2_b64 v128, v[4:5], v[6:7] offset0:52 offset1:53
	s_waitcnt vmcnt(1)
	ds_write2_b64 v128, v[0:1], v[2:3] offset0:54 offset1:55
	s_waitcnt vmcnt(0)
	ds_write2_b64 v128, v[112:113], v[114:115] offset0:56 offset1:57
.LBB56_291:
	s_or_b64 exec, exec, s[0:1]
	v_cmp_lt_i32_e32 vcc, 13, v129
	s_waitcnt lgkmcnt(0)
	s_barrier
	s_and_saveexec_b64 s[0:1], vcc
	s_cbranch_execz .LBB56_293
; %bb.292:
	ds_read2_b64 v[132:135], v128 offset0:28 offset1:29
	v_mul_f64 v[126:127], v[116:117], v[58:59]
	v_fmac_f64_e32 v[126:127], v[118:119], v[56:57]
	v_mul_f64 v[58:59], v[118:119], v[58:59]
	v_fma_f64 v[56:57], v[116:117], v[56:57], -v[58:59]
	ds_read2_b64 v[116:119], v128 offset0:30 offset1:31
	s_waitcnt lgkmcnt(1)
	v_mul_f64 v[58:59], v[134:135], v[126:127]
	v_fma_f64 v[58:59], v[132:133], v[56:57], -v[58:59]
	v_mul_f64 v[132:133], v[132:133], v[126:127]
	v_fmac_f64_e32 v[132:133], v[134:135], v[56:57]
	s_waitcnt vmcnt(14)
	v_add_f64 v[54:55], v[54:55], -v[132:133]
	ds_read2_b64 v[132:135], v128 offset0:32 offset1:33
	v_add_f64 v[52:53], v[52:53], -v[58:59]
	s_waitcnt lgkmcnt(1)
	v_mul_f64 v[58:59], v[118:119], v[126:127]
	v_fma_f64 v[58:59], v[116:117], v[56:57], -v[58:59]
	v_mul_f64 v[116:117], v[116:117], v[126:127]
	v_fmac_f64_e32 v[116:117], v[118:119], v[56:57]
	s_waitcnt vmcnt(13)
	v_add_f64 v[44:45], v[44:45], -v[58:59]
	v_add_f64 v[46:47], v[46:47], -v[116:117]
	ds_read2_b64 v[116:119], v128 offset0:34 offset1:35
	s_waitcnt lgkmcnt(1)
	v_mul_f64 v[58:59], v[134:135], v[126:127]
	v_fma_f64 v[58:59], v[132:133], v[56:57], -v[58:59]
	v_mul_f64 v[132:133], v[132:133], v[126:127]
	v_fmac_f64_e32 v[132:133], v[134:135], v[56:57]
	s_waitcnt vmcnt(12)
	v_add_f64 v[50:51], v[50:51], -v[132:133]
	ds_read2_b64 v[132:135], v128 offset0:36 offset1:37
	v_add_f64 v[48:49], v[48:49], -v[58:59]
	s_waitcnt lgkmcnt(1)
	v_mul_f64 v[58:59], v[118:119], v[126:127]
	v_fma_f64 v[58:59], v[116:117], v[56:57], -v[58:59]
	v_mul_f64 v[116:117], v[116:117], v[126:127]
	v_fmac_f64_e32 v[116:117], v[118:119], v[56:57]
	s_waitcnt vmcnt(11)
	v_add_f64 v[40:41], v[40:41], -v[58:59]
	v_add_f64 v[42:43], v[42:43], -v[116:117]
	;; [unrolled: 18-line block ×7, first 2 shown]
	s_waitcnt lgkmcnt(0)
	v_mul_f64 v[58:59], v[134:135], v[126:127]
	v_mul_f64 v[116:117], v[132:133], v[126:127]
	v_fma_f64 v[58:59], v[132:133], v[56:57], -v[58:59]
	v_fmac_f64_e32 v[116:117], v[134:135], v[56:57]
	s_waitcnt vmcnt(0)
	v_add_f64 v[112:113], v[112:113], -v[58:59]
	v_add_f64 v[114:115], v[114:115], -v[116:117]
	v_mov_b64_e32 v[58:59], v[126:127]
.LBB56_293:
	s_or_b64 exec, exec, s[0:1]
	v_lshl_add_u32 v116, v129, 4, v128
	s_barrier
	s_waitcnt vmcnt(14)
	ds_write2_b64 v116, v[52:53], v[54:55] offset1:1
	s_waitcnt lgkmcnt(0)
	s_barrier
	ds_read2_b64 v[116:119], v128 offset0:28 offset1:29
	s_cmp_lt_i32 s20, 16
	v_mov_b32_e32 v126, 14
	s_cbranch_scc1 .LBB56_296
; %bb.294:
	v_add_u32_e32 v127, 0xf0, v128
	s_mov_b32 s16, 15
	v_mov_b32_e32 v126, 14
.LBB56_295:                             ; =>This Inner Loop Header: Depth=1
	ds_read2_b64 v[132:135], v127 offset1:1
	s_waitcnt lgkmcnt(1)
	v_xor_b32_e32 v137, 0x80000000, v117
	v_xor_b32_e32 v139, 0x80000000, v119
	v_cmp_gt_f64_e32 vcc, 0, v[118:119]
	v_cmp_gt_f64_e64 s[0:1], 0, v[116:117]
	v_mov_b32_e32 v136, v116
	v_mov_b32_e32 v138, v118
	v_cndmask_b32_e64 v137, v117, v137, s[0:1]
	v_cndmask_b32_e32 v139, v119, v139, vcc
	v_add_f64 v[136:137], v[136:137], v[138:139]
	s_waitcnt lgkmcnt(0)
	v_xor_b32_e32 v139, 0x80000000, v133
	v_xor_b32_e32 v141, 0x80000000, v135
	v_cmp_gt_f64_e32 vcc, 0, v[134:135]
	v_cmp_gt_f64_e64 s[0:1], 0, v[132:133]
	v_mov_b32_e32 v138, v132
	v_mov_b32_e32 v140, v134
	v_cndmask_b32_e64 v139, v133, v139, s[0:1]
	v_cndmask_b32_e32 v141, v135, v141, vcc
	v_add_f64 v[138:139], v[138:139], v[140:141]
	v_mov_b32_e32 v142, s16
	s_add_i32 s16, s16, 1
	v_cmp_lt_f64_e32 vcc, v[136:137], v[138:139]
	v_add_u32_e32 v127, 16, v127
	s_cmp_lg_u32 s20, s16
	v_cndmask_b32_e32 v117, v117, v133, vcc
	v_cndmask_b32_e32 v116, v116, v132, vcc
	;; [unrolled: 1-line block ×5, first 2 shown]
	s_cbranch_scc1 .LBB56_295
.LBB56_296:
	s_waitcnt lgkmcnt(0)
	v_cmp_eq_f64_e32 vcc, 0, v[116:117]
	v_cmp_eq_f64_e64 s[0:1], 0, v[118:119]
	s_and_b64 s[0:1], vcc, s[0:1]
	s_and_saveexec_b64 s[16:17], s[0:1]
	s_xor_b64 s[0:1], exec, s[16:17]
; %bb.297:
	v_cmp_ne_u32_e32 vcc, 0, v130
	s_nop 1
	v_cndmask_b32_e32 v130, 15, v130, vcc
; %bb.298:
	s_andn2_saveexec_b64 s[0:1], s[0:1]
	s_cbranch_execz .LBB56_304
; %bb.299:
	v_cmp_ngt_f64_e64 s[16:17], |v[116:117]|, |v[118:119]|
	s_and_saveexec_b64 s[18:19], s[16:17]
	s_xor_b64 s[16:17], exec, s[18:19]
	s_cbranch_execz .LBB56_301
; %bb.300:
	v_div_scale_f64 v[132:133], s[18:19], v[118:119], v[118:119], v[116:117]
	v_rcp_f64_e32 v[134:135], v[132:133]
	v_div_scale_f64 v[136:137], vcc, v[116:117], v[118:119], v[116:117]
	v_fma_f64 v[138:139], -v[132:133], v[134:135], 1.0
	v_fmac_f64_e32 v[134:135], v[134:135], v[138:139]
	v_fma_f64 v[138:139], -v[132:133], v[134:135], 1.0
	v_fmac_f64_e32 v[134:135], v[134:135], v[138:139]
	v_mul_f64 v[138:139], v[136:137], v[134:135]
	v_fma_f64 v[132:133], -v[132:133], v[138:139], v[136:137]
	v_div_fmas_f64 v[132:133], v[132:133], v[134:135], v[138:139]
	v_div_fixup_f64 v[132:133], v[132:133], v[118:119], v[116:117]
	v_fmac_f64_e32 v[118:119], v[116:117], v[132:133]
	v_div_scale_f64 v[116:117], s[18:19], v[118:119], v[118:119], 1.0
	v_rcp_f64_e32 v[134:135], v[116:117]
	s_nop 0
	v_fma_f64 v[136:137], -v[116:117], v[134:135], 1.0
	v_fmac_f64_e32 v[134:135], v[134:135], v[136:137]
	v_fma_f64 v[136:137], -v[116:117], v[134:135], 1.0
	v_fmac_f64_e32 v[134:135], v[134:135], v[136:137]
	v_div_scale_f64 v[136:137], vcc, 1.0, v[118:119], 1.0
	v_mul_f64 v[138:139], v[136:137], v[134:135]
	v_fma_f64 v[116:117], -v[116:117], v[138:139], v[136:137]
	s_nop 1
	v_div_fmas_f64 v[116:117], v[116:117], v[134:135], v[138:139]
	v_div_fixup_f64 v[118:119], v[116:117], v[118:119], 1.0
	v_mul_f64 v[116:117], v[132:133], v[118:119]
	v_xor_b32_e32 v119, 0x80000000, v119
.LBB56_301:
	s_andn2_saveexec_b64 s[16:17], s[16:17]
	s_cbranch_execz .LBB56_303
; %bb.302:
	v_div_scale_f64 v[132:133], s[18:19], v[116:117], v[116:117], v[118:119]
	v_rcp_f64_e32 v[134:135], v[132:133]
	v_div_scale_f64 v[136:137], vcc, v[118:119], v[116:117], v[118:119]
	v_fma_f64 v[138:139], -v[132:133], v[134:135], 1.0
	v_fmac_f64_e32 v[134:135], v[134:135], v[138:139]
	v_fma_f64 v[138:139], -v[132:133], v[134:135], 1.0
	v_fmac_f64_e32 v[134:135], v[134:135], v[138:139]
	v_mul_f64 v[138:139], v[136:137], v[134:135]
	v_fma_f64 v[132:133], -v[132:133], v[138:139], v[136:137]
	v_div_fmas_f64 v[132:133], v[132:133], v[134:135], v[138:139]
	v_div_fixup_f64 v[132:133], v[132:133], v[116:117], v[118:119]
	v_fmac_f64_e32 v[116:117], v[118:119], v[132:133]
	v_div_scale_f64 v[118:119], s[18:19], v[116:117], v[116:117], 1.0
	v_rcp_f64_e32 v[134:135], v[118:119]
	s_nop 0
	v_fma_f64 v[136:137], -v[118:119], v[134:135], 1.0
	v_fmac_f64_e32 v[134:135], v[134:135], v[136:137]
	v_fma_f64 v[136:137], -v[118:119], v[134:135], 1.0
	v_fmac_f64_e32 v[134:135], v[134:135], v[136:137]
	v_div_scale_f64 v[136:137], vcc, 1.0, v[116:117], 1.0
	v_mul_f64 v[138:139], v[136:137], v[134:135]
	v_fma_f64 v[118:119], -v[118:119], v[138:139], v[136:137]
	s_nop 1
	v_div_fmas_f64 v[118:119], v[118:119], v[134:135], v[138:139]
	v_div_fixup_f64 v[116:117], v[118:119], v[116:117], 1.0
	v_mul_f64 v[118:119], v[132:133], -v[116:117]
.LBB56_303:
	s_or_b64 exec, exec, s[16:17]
.LBB56_304:
	s_or_b64 exec, exec, s[0:1]
	v_cmp_ne_u32_e32 vcc, v129, v126
	s_and_saveexec_b64 s[0:1], vcc
	s_xor_b64 s[0:1], exec, s[0:1]
	s_cbranch_execz .LBB56_310
; %bb.305:
	v_cmp_eq_u32_e32 vcc, 14, v129
	s_and_saveexec_b64 s[16:17], vcc
	s_cbranch_execz .LBB56_309
; %bb.306:
	v_cmp_ne_u32_e32 vcc, 14, v126
	s_xor_b64 s[18:19], s[14:15], -1
	s_and_b64 s[22:23], s[18:19], vcc
	s_and_saveexec_b64 s[18:19], s[22:23]
	s_cbranch_execz .LBB56_308
; %bb.307:
	v_ashrrev_i32_e32 v127, 31, v126
	v_lshl_add_u64 v[132:133], v[126:127], 2, v[124:125]
	global_load_dword v127, v[132:133], off
	global_load_dword v129, v[124:125], off offset:56
	s_waitcnt vmcnt(1)
	global_store_dword v[124:125], v127, off offset:56
	s_waitcnt vmcnt(1)
	global_store_dword v[132:133], v129, off
.LBB56_308:
	s_or_b64 exec, exec, s[18:19]
	v_mov_b32_e32 v129, v126
	v_mov_b32_e32 v131, v126
.LBB56_309:
	s_or_b64 exec, exec, s[16:17]
.LBB56_310:
	s_andn2_saveexec_b64 s[0:1], s[0:1]
	s_cbranch_execz .LBB56_312
; %bb.311:
	v_mov_b32_e32 v129, 14
	s_waitcnt vmcnt(13)
	ds_write2_b64 v128, v[44:45], v[46:47] offset0:30 offset1:31
	s_waitcnt vmcnt(12)
	ds_write2_b64 v128, v[48:49], v[50:51] offset0:32 offset1:33
	;; [unrolled: 2-line block ×14, first 2 shown]
.LBB56_312:
	s_or_b64 exec, exec, s[0:1]
	v_cmp_lt_i32_e32 vcc, 14, v129
	s_waitcnt lgkmcnt(0)
	s_barrier
	s_and_saveexec_b64 s[0:1], vcc
	s_cbranch_execz .LBB56_314
; %bb.313:
	ds_read2_b64 v[132:135], v128 offset0:30 offset1:31
	v_mul_f64 v[126:127], v[116:117], v[54:55]
	v_mul_f64 v[54:55], v[118:119], v[54:55]
	v_fmac_f64_e32 v[126:127], v[118:119], v[52:53]
	v_fma_f64 v[52:53], v[116:117], v[52:53], -v[54:55]
	ds_read2_b64 v[116:119], v128 offset0:32 offset1:33
	s_waitcnt lgkmcnt(1)
	v_mul_f64 v[54:55], v[134:135], v[126:127]
	v_fma_f64 v[54:55], v[132:133], v[52:53], -v[54:55]
	v_mul_f64 v[132:133], v[132:133], v[126:127]
	v_fmac_f64_e32 v[132:133], v[134:135], v[52:53]
	s_waitcnt vmcnt(13)
	v_add_f64 v[44:45], v[44:45], -v[54:55]
	s_waitcnt lgkmcnt(0)
	v_mul_f64 v[54:55], v[118:119], v[126:127]
	v_add_f64 v[46:47], v[46:47], -v[132:133]
	v_fma_f64 v[54:55], v[116:117], v[52:53], -v[54:55]
	v_mul_f64 v[116:117], v[116:117], v[126:127]
	ds_read2_b64 v[132:135], v128 offset0:34 offset1:35
	v_fmac_f64_e32 v[116:117], v[118:119], v[52:53]
	s_waitcnt vmcnt(12)
	v_add_f64 v[50:51], v[50:51], -v[116:117]
	ds_read2_b64 v[116:119], v128 offset0:36 offset1:37
	v_add_f64 v[48:49], v[48:49], -v[54:55]
	s_waitcnt lgkmcnt(1)
	v_mul_f64 v[54:55], v[134:135], v[126:127]
	v_fma_f64 v[54:55], v[132:133], v[52:53], -v[54:55]
	v_mul_f64 v[132:133], v[132:133], v[126:127]
	v_fmac_f64_e32 v[132:133], v[134:135], v[52:53]
	s_waitcnt vmcnt(11)
	v_add_f64 v[40:41], v[40:41], -v[54:55]
	s_waitcnt lgkmcnt(0)
	v_mul_f64 v[54:55], v[118:119], v[126:127]
	v_add_f64 v[42:43], v[42:43], -v[132:133]
	v_fma_f64 v[54:55], v[116:117], v[52:53], -v[54:55]
	v_mul_f64 v[116:117], v[116:117], v[126:127]
	ds_read2_b64 v[132:135], v128 offset0:38 offset1:39
	v_fmac_f64_e32 v[116:117], v[118:119], v[52:53]
	s_waitcnt vmcnt(10)
	v_add_f64 v[38:39], v[38:39], -v[116:117]
	ds_read2_b64 v[116:119], v128 offset0:40 offset1:41
	v_add_f64 v[36:37], v[36:37], -v[54:55]
	;; [unrolled: 18-line block ×6, first 2 shown]
	s_waitcnt lgkmcnt(1)
	v_mul_f64 v[54:55], v[134:135], v[126:127]
	v_fma_f64 v[54:55], v[132:133], v[52:53], -v[54:55]
	s_waitcnt vmcnt(1)
	v_add_f64 v[0:1], v[0:1], -v[54:55]
	s_waitcnt lgkmcnt(0)
	v_mul_f64 v[54:55], v[118:119], v[126:127]
	v_mul_f64 v[132:133], v[132:133], v[126:127]
	v_fma_f64 v[54:55], v[116:117], v[52:53], -v[54:55]
	v_mul_f64 v[116:117], v[116:117], v[126:127]
	v_fmac_f64_e32 v[132:133], v[134:135], v[52:53]
	v_fmac_f64_e32 v[116:117], v[118:119], v[52:53]
	v_add_f64 v[2:3], v[2:3], -v[132:133]
	s_waitcnt vmcnt(0)
	v_add_f64 v[112:113], v[112:113], -v[54:55]
	v_add_f64 v[114:115], v[114:115], -v[116:117]
	v_mov_b64_e32 v[54:55], v[126:127]
.LBB56_314:
	s_or_b64 exec, exec, s[0:1]
	v_lshl_add_u32 v116, v129, 4, v128
	s_barrier
	s_waitcnt vmcnt(13)
	ds_write2_b64 v116, v[44:45], v[46:47] offset1:1
	s_waitcnt lgkmcnt(0)
	s_barrier
	ds_read2_b64 v[116:119], v128 offset0:30 offset1:31
	s_cmp_lt_i32 s20, 17
	v_mov_b32_e32 v126, 15
	s_cbranch_scc1 .LBB56_317
; %bb.315:
	v_add_u32_e32 v127, 0x100, v128
	s_mov_b32 s16, 16
	v_mov_b32_e32 v126, 15
.LBB56_316:                             ; =>This Inner Loop Header: Depth=1
	ds_read2_b64 v[132:135], v127 offset1:1
	s_waitcnt lgkmcnt(1)
	v_xor_b32_e32 v137, 0x80000000, v117
	v_xor_b32_e32 v139, 0x80000000, v119
	v_cmp_gt_f64_e32 vcc, 0, v[118:119]
	v_cmp_gt_f64_e64 s[0:1], 0, v[116:117]
	v_mov_b32_e32 v136, v116
	v_mov_b32_e32 v138, v118
	v_cndmask_b32_e64 v137, v117, v137, s[0:1]
	v_cndmask_b32_e32 v139, v119, v139, vcc
	v_add_f64 v[136:137], v[136:137], v[138:139]
	s_waitcnt lgkmcnt(0)
	v_xor_b32_e32 v139, 0x80000000, v133
	v_xor_b32_e32 v141, 0x80000000, v135
	v_cmp_gt_f64_e32 vcc, 0, v[134:135]
	v_cmp_gt_f64_e64 s[0:1], 0, v[132:133]
	v_mov_b32_e32 v138, v132
	v_mov_b32_e32 v140, v134
	v_cndmask_b32_e64 v139, v133, v139, s[0:1]
	v_cndmask_b32_e32 v141, v135, v141, vcc
	v_add_f64 v[138:139], v[138:139], v[140:141]
	v_mov_b32_e32 v142, s16
	s_add_i32 s16, s16, 1
	v_cmp_lt_f64_e32 vcc, v[136:137], v[138:139]
	v_add_u32_e32 v127, 16, v127
	s_cmp_lg_u32 s20, s16
	v_cndmask_b32_e32 v117, v117, v133, vcc
	v_cndmask_b32_e32 v116, v116, v132, vcc
	;; [unrolled: 1-line block ×5, first 2 shown]
	s_cbranch_scc1 .LBB56_316
.LBB56_317:
	s_waitcnt lgkmcnt(0)
	v_cmp_eq_f64_e32 vcc, 0, v[116:117]
	v_cmp_eq_f64_e64 s[0:1], 0, v[118:119]
	s_and_b64 s[0:1], vcc, s[0:1]
	s_and_saveexec_b64 s[16:17], s[0:1]
	s_xor_b64 s[0:1], exec, s[16:17]
; %bb.318:
	v_cmp_ne_u32_e32 vcc, 0, v130
	s_nop 1
	v_cndmask_b32_e32 v130, 16, v130, vcc
; %bb.319:
	s_andn2_saveexec_b64 s[0:1], s[0:1]
	s_cbranch_execz .LBB56_325
; %bb.320:
	v_cmp_ngt_f64_e64 s[16:17], |v[116:117]|, |v[118:119]|
	s_and_saveexec_b64 s[18:19], s[16:17]
	s_xor_b64 s[16:17], exec, s[18:19]
	s_cbranch_execz .LBB56_322
; %bb.321:
	v_div_scale_f64 v[132:133], s[18:19], v[118:119], v[118:119], v[116:117]
	v_rcp_f64_e32 v[134:135], v[132:133]
	v_div_scale_f64 v[136:137], vcc, v[116:117], v[118:119], v[116:117]
	v_fma_f64 v[138:139], -v[132:133], v[134:135], 1.0
	v_fmac_f64_e32 v[134:135], v[134:135], v[138:139]
	v_fma_f64 v[138:139], -v[132:133], v[134:135], 1.0
	v_fmac_f64_e32 v[134:135], v[134:135], v[138:139]
	v_mul_f64 v[138:139], v[136:137], v[134:135]
	v_fma_f64 v[132:133], -v[132:133], v[138:139], v[136:137]
	v_div_fmas_f64 v[132:133], v[132:133], v[134:135], v[138:139]
	v_div_fixup_f64 v[132:133], v[132:133], v[118:119], v[116:117]
	v_fmac_f64_e32 v[118:119], v[116:117], v[132:133]
	v_div_scale_f64 v[116:117], s[18:19], v[118:119], v[118:119], 1.0
	v_rcp_f64_e32 v[134:135], v[116:117]
	s_nop 0
	v_fma_f64 v[136:137], -v[116:117], v[134:135], 1.0
	v_fmac_f64_e32 v[134:135], v[134:135], v[136:137]
	v_fma_f64 v[136:137], -v[116:117], v[134:135], 1.0
	v_fmac_f64_e32 v[134:135], v[134:135], v[136:137]
	v_div_scale_f64 v[136:137], vcc, 1.0, v[118:119], 1.0
	v_mul_f64 v[138:139], v[136:137], v[134:135]
	v_fma_f64 v[116:117], -v[116:117], v[138:139], v[136:137]
	s_nop 1
	v_div_fmas_f64 v[116:117], v[116:117], v[134:135], v[138:139]
	v_div_fixup_f64 v[118:119], v[116:117], v[118:119], 1.0
	v_mul_f64 v[116:117], v[132:133], v[118:119]
	v_xor_b32_e32 v119, 0x80000000, v119
.LBB56_322:
	s_andn2_saveexec_b64 s[16:17], s[16:17]
	s_cbranch_execz .LBB56_324
; %bb.323:
	v_div_scale_f64 v[132:133], s[18:19], v[116:117], v[116:117], v[118:119]
	v_rcp_f64_e32 v[134:135], v[132:133]
	v_div_scale_f64 v[136:137], vcc, v[118:119], v[116:117], v[118:119]
	v_fma_f64 v[138:139], -v[132:133], v[134:135], 1.0
	v_fmac_f64_e32 v[134:135], v[134:135], v[138:139]
	v_fma_f64 v[138:139], -v[132:133], v[134:135], 1.0
	v_fmac_f64_e32 v[134:135], v[134:135], v[138:139]
	v_mul_f64 v[138:139], v[136:137], v[134:135]
	v_fma_f64 v[132:133], -v[132:133], v[138:139], v[136:137]
	v_div_fmas_f64 v[132:133], v[132:133], v[134:135], v[138:139]
	v_div_fixup_f64 v[132:133], v[132:133], v[116:117], v[118:119]
	v_fmac_f64_e32 v[116:117], v[118:119], v[132:133]
	v_div_scale_f64 v[118:119], s[18:19], v[116:117], v[116:117], 1.0
	v_rcp_f64_e32 v[134:135], v[118:119]
	s_nop 0
	v_fma_f64 v[136:137], -v[118:119], v[134:135], 1.0
	v_fmac_f64_e32 v[134:135], v[134:135], v[136:137]
	v_fma_f64 v[136:137], -v[118:119], v[134:135], 1.0
	v_fmac_f64_e32 v[134:135], v[134:135], v[136:137]
	v_div_scale_f64 v[136:137], vcc, 1.0, v[116:117], 1.0
	v_mul_f64 v[138:139], v[136:137], v[134:135]
	v_fma_f64 v[118:119], -v[118:119], v[138:139], v[136:137]
	s_nop 1
	v_div_fmas_f64 v[118:119], v[118:119], v[134:135], v[138:139]
	v_div_fixup_f64 v[116:117], v[118:119], v[116:117], 1.0
	v_mul_f64 v[118:119], v[132:133], -v[116:117]
.LBB56_324:
	s_or_b64 exec, exec, s[16:17]
.LBB56_325:
	s_or_b64 exec, exec, s[0:1]
	v_cmp_ne_u32_e32 vcc, v129, v126
	s_and_saveexec_b64 s[0:1], vcc
	s_xor_b64 s[0:1], exec, s[0:1]
	s_cbranch_execz .LBB56_331
; %bb.326:
	v_cmp_eq_u32_e32 vcc, 15, v129
	s_and_saveexec_b64 s[16:17], vcc
	s_cbranch_execz .LBB56_330
; %bb.327:
	v_cmp_ne_u32_e32 vcc, 15, v126
	s_xor_b64 s[18:19], s[14:15], -1
	s_and_b64 s[22:23], s[18:19], vcc
	s_and_saveexec_b64 s[18:19], s[22:23]
	s_cbranch_execz .LBB56_329
; %bb.328:
	v_ashrrev_i32_e32 v127, 31, v126
	v_lshl_add_u64 v[132:133], v[126:127], 2, v[124:125]
	global_load_dword v127, v[132:133], off
	global_load_dword v129, v[124:125], off offset:60
	s_waitcnt vmcnt(1)
	global_store_dword v[124:125], v127, off offset:60
	s_waitcnt vmcnt(1)
	global_store_dword v[132:133], v129, off
.LBB56_329:
	s_or_b64 exec, exec, s[18:19]
	v_mov_b32_e32 v129, v126
	v_mov_b32_e32 v131, v126
.LBB56_330:
	s_or_b64 exec, exec, s[16:17]
.LBB56_331:
	s_andn2_saveexec_b64 s[0:1], s[0:1]
	s_cbranch_execz .LBB56_333
; %bb.332:
	v_mov_b32_e32 v129, 15
	s_waitcnt vmcnt(12)
	ds_write2_b64 v128, v[48:49], v[50:51] offset0:32 offset1:33
	s_waitcnt vmcnt(11)
	ds_write2_b64 v128, v[40:41], v[42:43] offset0:34 offset1:35
	;; [unrolled: 2-line block ×13, first 2 shown]
.LBB56_333:
	s_or_b64 exec, exec, s[0:1]
	v_cmp_lt_i32_e32 vcc, 15, v129
	s_waitcnt lgkmcnt(0)
	s_barrier
	s_and_saveexec_b64 s[0:1], vcc
	s_cbranch_execz .LBB56_335
; %bb.334:
	ds_read2_b64 v[132:135], v128 offset0:32 offset1:33
	v_mul_f64 v[126:127], v[116:117], v[46:47]
	v_fmac_f64_e32 v[126:127], v[118:119], v[44:45]
	v_mul_f64 v[46:47], v[118:119], v[46:47]
	v_fma_f64 v[44:45], v[116:117], v[44:45], -v[46:47]
	ds_read2_b64 v[116:119], v128 offset0:34 offset1:35
	s_waitcnt lgkmcnt(1)
	v_mul_f64 v[46:47], v[134:135], v[126:127]
	v_fma_f64 v[46:47], v[132:133], v[44:45], -v[46:47]
	v_mul_f64 v[132:133], v[132:133], v[126:127]
	v_fmac_f64_e32 v[132:133], v[134:135], v[44:45]
	s_waitcnt vmcnt(12)
	v_add_f64 v[50:51], v[50:51], -v[132:133]
	ds_read2_b64 v[132:135], v128 offset0:36 offset1:37
	v_add_f64 v[48:49], v[48:49], -v[46:47]
	s_waitcnt lgkmcnt(1)
	v_mul_f64 v[46:47], v[118:119], v[126:127]
	v_fma_f64 v[46:47], v[116:117], v[44:45], -v[46:47]
	v_mul_f64 v[116:117], v[116:117], v[126:127]
	v_fmac_f64_e32 v[116:117], v[118:119], v[44:45]
	s_waitcnt vmcnt(11)
	v_add_f64 v[40:41], v[40:41], -v[46:47]
	v_add_f64 v[42:43], v[42:43], -v[116:117]
	ds_read2_b64 v[116:119], v128 offset0:38 offset1:39
	s_waitcnt lgkmcnt(1)
	v_mul_f64 v[46:47], v[134:135], v[126:127]
	v_fma_f64 v[46:47], v[132:133], v[44:45], -v[46:47]
	v_mul_f64 v[132:133], v[132:133], v[126:127]
	v_fmac_f64_e32 v[132:133], v[134:135], v[44:45]
	s_waitcnt vmcnt(10)
	v_add_f64 v[38:39], v[38:39], -v[132:133]
	ds_read2_b64 v[132:135], v128 offset0:40 offset1:41
	v_add_f64 v[36:37], v[36:37], -v[46:47]
	s_waitcnt lgkmcnt(1)
	v_mul_f64 v[46:47], v[118:119], v[126:127]
	v_fma_f64 v[46:47], v[116:117], v[44:45], -v[46:47]
	v_mul_f64 v[116:117], v[116:117], v[126:127]
	v_fmac_f64_e32 v[116:117], v[118:119], v[44:45]
	s_waitcnt vmcnt(9)
	v_add_f64 v[32:33], v[32:33], -v[46:47]
	v_add_f64 v[34:35], v[34:35], -v[116:117]
	;; [unrolled: 18-line block ×6, first 2 shown]
	s_waitcnt lgkmcnt(0)
	v_mul_f64 v[46:47], v[134:135], v[126:127]
	v_mul_f64 v[116:117], v[132:133], v[126:127]
	v_fma_f64 v[46:47], v[132:133], v[44:45], -v[46:47]
	v_fmac_f64_e32 v[116:117], v[134:135], v[44:45]
	s_waitcnt vmcnt(0)
	v_add_f64 v[112:113], v[112:113], -v[46:47]
	v_add_f64 v[114:115], v[114:115], -v[116:117]
	v_mov_b64_e32 v[46:47], v[126:127]
.LBB56_335:
	s_or_b64 exec, exec, s[0:1]
	v_lshl_add_u32 v116, v129, 4, v128
	s_barrier
	s_waitcnt vmcnt(12)
	ds_write2_b64 v116, v[48:49], v[50:51] offset1:1
	s_waitcnt lgkmcnt(0)
	s_barrier
	ds_read2_b64 v[116:119], v128 offset0:32 offset1:33
	s_cmp_lt_i32 s20, 18
	v_mov_b32_e32 v126, 16
	s_cbranch_scc1 .LBB56_338
; %bb.336:
	v_add_u32_e32 v127, 0x110, v128
	s_mov_b32 s16, 17
	v_mov_b32_e32 v126, 16
.LBB56_337:                             ; =>This Inner Loop Header: Depth=1
	ds_read2_b64 v[132:135], v127 offset1:1
	s_waitcnt lgkmcnt(1)
	v_xor_b32_e32 v137, 0x80000000, v117
	v_xor_b32_e32 v139, 0x80000000, v119
	v_cmp_gt_f64_e32 vcc, 0, v[118:119]
	v_cmp_gt_f64_e64 s[0:1], 0, v[116:117]
	v_mov_b32_e32 v136, v116
	v_mov_b32_e32 v138, v118
	v_cndmask_b32_e64 v137, v117, v137, s[0:1]
	v_cndmask_b32_e32 v139, v119, v139, vcc
	v_add_f64 v[136:137], v[136:137], v[138:139]
	s_waitcnt lgkmcnt(0)
	v_xor_b32_e32 v139, 0x80000000, v133
	v_xor_b32_e32 v141, 0x80000000, v135
	v_cmp_gt_f64_e32 vcc, 0, v[134:135]
	v_cmp_gt_f64_e64 s[0:1], 0, v[132:133]
	v_mov_b32_e32 v138, v132
	v_mov_b32_e32 v140, v134
	v_cndmask_b32_e64 v139, v133, v139, s[0:1]
	v_cndmask_b32_e32 v141, v135, v141, vcc
	v_add_f64 v[138:139], v[138:139], v[140:141]
	v_mov_b32_e32 v142, s16
	s_add_i32 s16, s16, 1
	v_cmp_lt_f64_e32 vcc, v[136:137], v[138:139]
	v_add_u32_e32 v127, 16, v127
	s_cmp_lg_u32 s20, s16
	v_cndmask_b32_e32 v117, v117, v133, vcc
	v_cndmask_b32_e32 v116, v116, v132, vcc
	;; [unrolled: 1-line block ×5, first 2 shown]
	s_cbranch_scc1 .LBB56_337
.LBB56_338:
	s_waitcnt lgkmcnt(0)
	v_cmp_eq_f64_e32 vcc, 0, v[116:117]
	v_cmp_eq_f64_e64 s[0:1], 0, v[118:119]
	s_and_b64 s[0:1], vcc, s[0:1]
	s_and_saveexec_b64 s[16:17], s[0:1]
	s_xor_b64 s[0:1], exec, s[16:17]
; %bb.339:
	v_cmp_ne_u32_e32 vcc, 0, v130
	s_nop 1
	v_cndmask_b32_e32 v130, 17, v130, vcc
; %bb.340:
	s_andn2_saveexec_b64 s[0:1], s[0:1]
	s_cbranch_execz .LBB56_346
; %bb.341:
	v_cmp_ngt_f64_e64 s[16:17], |v[116:117]|, |v[118:119]|
	s_and_saveexec_b64 s[18:19], s[16:17]
	s_xor_b64 s[16:17], exec, s[18:19]
	s_cbranch_execz .LBB56_343
; %bb.342:
	v_div_scale_f64 v[132:133], s[18:19], v[118:119], v[118:119], v[116:117]
	v_rcp_f64_e32 v[134:135], v[132:133]
	v_div_scale_f64 v[136:137], vcc, v[116:117], v[118:119], v[116:117]
	v_fma_f64 v[138:139], -v[132:133], v[134:135], 1.0
	v_fmac_f64_e32 v[134:135], v[134:135], v[138:139]
	v_fma_f64 v[138:139], -v[132:133], v[134:135], 1.0
	v_fmac_f64_e32 v[134:135], v[134:135], v[138:139]
	v_mul_f64 v[138:139], v[136:137], v[134:135]
	v_fma_f64 v[132:133], -v[132:133], v[138:139], v[136:137]
	v_div_fmas_f64 v[132:133], v[132:133], v[134:135], v[138:139]
	v_div_fixup_f64 v[132:133], v[132:133], v[118:119], v[116:117]
	v_fmac_f64_e32 v[118:119], v[116:117], v[132:133]
	v_div_scale_f64 v[116:117], s[18:19], v[118:119], v[118:119], 1.0
	v_rcp_f64_e32 v[134:135], v[116:117]
	s_nop 0
	v_fma_f64 v[136:137], -v[116:117], v[134:135], 1.0
	v_fmac_f64_e32 v[134:135], v[134:135], v[136:137]
	v_fma_f64 v[136:137], -v[116:117], v[134:135], 1.0
	v_fmac_f64_e32 v[134:135], v[134:135], v[136:137]
	v_div_scale_f64 v[136:137], vcc, 1.0, v[118:119], 1.0
	v_mul_f64 v[138:139], v[136:137], v[134:135]
	v_fma_f64 v[116:117], -v[116:117], v[138:139], v[136:137]
	s_nop 1
	v_div_fmas_f64 v[116:117], v[116:117], v[134:135], v[138:139]
	v_div_fixup_f64 v[118:119], v[116:117], v[118:119], 1.0
	v_mul_f64 v[116:117], v[132:133], v[118:119]
	v_xor_b32_e32 v119, 0x80000000, v119
.LBB56_343:
	s_andn2_saveexec_b64 s[16:17], s[16:17]
	s_cbranch_execz .LBB56_345
; %bb.344:
	v_div_scale_f64 v[132:133], s[18:19], v[116:117], v[116:117], v[118:119]
	v_rcp_f64_e32 v[134:135], v[132:133]
	v_div_scale_f64 v[136:137], vcc, v[118:119], v[116:117], v[118:119]
	v_fma_f64 v[138:139], -v[132:133], v[134:135], 1.0
	v_fmac_f64_e32 v[134:135], v[134:135], v[138:139]
	v_fma_f64 v[138:139], -v[132:133], v[134:135], 1.0
	v_fmac_f64_e32 v[134:135], v[134:135], v[138:139]
	v_mul_f64 v[138:139], v[136:137], v[134:135]
	v_fma_f64 v[132:133], -v[132:133], v[138:139], v[136:137]
	v_div_fmas_f64 v[132:133], v[132:133], v[134:135], v[138:139]
	v_div_fixup_f64 v[132:133], v[132:133], v[116:117], v[118:119]
	v_fmac_f64_e32 v[116:117], v[118:119], v[132:133]
	v_div_scale_f64 v[118:119], s[18:19], v[116:117], v[116:117], 1.0
	v_rcp_f64_e32 v[134:135], v[118:119]
	s_nop 0
	v_fma_f64 v[136:137], -v[118:119], v[134:135], 1.0
	v_fmac_f64_e32 v[134:135], v[134:135], v[136:137]
	v_fma_f64 v[136:137], -v[118:119], v[134:135], 1.0
	v_fmac_f64_e32 v[134:135], v[134:135], v[136:137]
	v_div_scale_f64 v[136:137], vcc, 1.0, v[116:117], 1.0
	v_mul_f64 v[138:139], v[136:137], v[134:135]
	v_fma_f64 v[118:119], -v[118:119], v[138:139], v[136:137]
	s_nop 1
	v_div_fmas_f64 v[118:119], v[118:119], v[134:135], v[138:139]
	v_div_fixup_f64 v[116:117], v[118:119], v[116:117], 1.0
	v_mul_f64 v[118:119], v[132:133], -v[116:117]
.LBB56_345:
	s_or_b64 exec, exec, s[16:17]
.LBB56_346:
	s_or_b64 exec, exec, s[0:1]
	v_cmp_ne_u32_e32 vcc, v129, v126
	s_and_saveexec_b64 s[0:1], vcc
	s_xor_b64 s[0:1], exec, s[0:1]
	s_cbranch_execz .LBB56_352
; %bb.347:
	v_cmp_eq_u32_e32 vcc, 16, v129
	s_and_saveexec_b64 s[16:17], vcc
	s_cbranch_execz .LBB56_351
; %bb.348:
	v_cmp_ne_u32_e32 vcc, 16, v126
	s_xor_b64 s[18:19], s[14:15], -1
	s_and_b64 s[22:23], s[18:19], vcc
	s_and_saveexec_b64 s[18:19], s[22:23]
	s_cbranch_execz .LBB56_350
; %bb.349:
	v_ashrrev_i32_e32 v127, 31, v126
	v_lshl_add_u64 v[132:133], v[126:127], 2, v[124:125]
	global_load_dword v127, v[132:133], off
	global_load_dword v129, v[124:125], off offset:64
	s_waitcnt vmcnt(1)
	global_store_dword v[124:125], v127, off offset:64
	s_waitcnt vmcnt(1)
	global_store_dword v[132:133], v129, off
.LBB56_350:
	s_or_b64 exec, exec, s[18:19]
	v_mov_b32_e32 v129, v126
	v_mov_b32_e32 v131, v126
.LBB56_351:
	s_or_b64 exec, exec, s[16:17]
.LBB56_352:
	s_andn2_saveexec_b64 s[0:1], s[0:1]
	s_cbranch_execz .LBB56_354
; %bb.353:
	v_mov_b32_e32 v129, 16
	s_waitcnt vmcnt(11)
	ds_write2_b64 v128, v[40:41], v[42:43] offset0:34 offset1:35
	s_waitcnt vmcnt(10)
	ds_write2_b64 v128, v[36:37], v[38:39] offset0:36 offset1:37
	s_waitcnt vmcnt(9)
	ds_write2_b64 v128, v[32:33], v[34:35] offset0:38 offset1:39
	s_waitcnt vmcnt(8)
	ds_write2_b64 v128, v[28:29], v[30:31] offset0:40 offset1:41
	s_waitcnt vmcnt(7)
	ds_write2_b64 v128, v[24:25], v[26:27] offset0:42 offset1:43
	s_waitcnt vmcnt(6)
	ds_write2_b64 v128, v[20:21], v[22:23] offset0:44 offset1:45
	s_waitcnt vmcnt(5)
	ds_write2_b64 v128, v[16:17], v[18:19] offset0:46 offset1:47
	s_waitcnt vmcnt(4)
	ds_write2_b64 v128, v[12:13], v[14:15] offset0:48 offset1:49
	s_waitcnt vmcnt(3)
	ds_write2_b64 v128, v[8:9], v[10:11] offset0:50 offset1:51
	s_waitcnt vmcnt(2)
	ds_write2_b64 v128, v[4:5], v[6:7] offset0:52 offset1:53
	s_waitcnt vmcnt(1)
	ds_write2_b64 v128, v[0:1], v[2:3] offset0:54 offset1:55
	s_waitcnt vmcnt(0)
	ds_write2_b64 v128, v[112:113], v[114:115] offset0:56 offset1:57
.LBB56_354:
	s_or_b64 exec, exec, s[0:1]
	v_cmp_lt_i32_e32 vcc, 16, v129
	s_waitcnt lgkmcnt(0)
	s_barrier
	s_and_saveexec_b64 s[0:1], vcc
	s_cbranch_execz .LBB56_356
; %bb.355:
	ds_read2_b64 v[132:135], v128 offset0:34 offset1:35
	v_mul_f64 v[126:127], v[116:117], v[50:51]
	v_mul_f64 v[50:51], v[118:119], v[50:51]
	v_fmac_f64_e32 v[126:127], v[118:119], v[48:49]
	v_fma_f64 v[48:49], v[116:117], v[48:49], -v[50:51]
	ds_read2_b64 v[116:119], v128 offset0:36 offset1:37
	s_waitcnt lgkmcnt(1)
	v_mul_f64 v[50:51], v[134:135], v[126:127]
	v_fma_f64 v[50:51], v[132:133], v[48:49], -v[50:51]
	v_mul_f64 v[132:133], v[132:133], v[126:127]
	v_fmac_f64_e32 v[132:133], v[134:135], v[48:49]
	s_waitcnt vmcnt(11)
	v_add_f64 v[40:41], v[40:41], -v[50:51]
	s_waitcnt lgkmcnt(0)
	v_mul_f64 v[50:51], v[118:119], v[126:127]
	v_add_f64 v[42:43], v[42:43], -v[132:133]
	v_fma_f64 v[50:51], v[116:117], v[48:49], -v[50:51]
	v_mul_f64 v[116:117], v[116:117], v[126:127]
	ds_read2_b64 v[132:135], v128 offset0:38 offset1:39
	v_fmac_f64_e32 v[116:117], v[118:119], v[48:49]
	s_waitcnt vmcnt(10)
	v_add_f64 v[38:39], v[38:39], -v[116:117]
	ds_read2_b64 v[116:119], v128 offset0:40 offset1:41
	v_add_f64 v[36:37], v[36:37], -v[50:51]
	s_waitcnt lgkmcnt(1)
	v_mul_f64 v[50:51], v[134:135], v[126:127]
	v_fma_f64 v[50:51], v[132:133], v[48:49], -v[50:51]
	v_mul_f64 v[132:133], v[132:133], v[126:127]
	v_fmac_f64_e32 v[132:133], v[134:135], v[48:49]
	s_waitcnt vmcnt(9)
	v_add_f64 v[32:33], v[32:33], -v[50:51]
	s_waitcnt lgkmcnt(0)
	v_mul_f64 v[50:51], v[118:119], v[126:127]
	v_add_f64 v[34:35], v[34:35], -v[132:133]
	v_fma_f64 v[50:51], v[116:117], v[48:49], -v[50:51]
	v_mul_f64 v[116:117], v[116:117], v[126:127]
	ds_read2_b64 v[132:135], v128 offset0:42 offset1:43
	v_fmac_f64_e32 v[116:117], v[118:119], v[48:49]
	s_waitcnt vmcnt(8)
	v_add_f64 v[30:31], v[30:31], -v[116:117]
	ds_read2_b64 v[116:119], v128 offset0:44 offset1:45
	v_add_f64 v[28:29], v[28:29], -v[50:51]
	;; [unrolled: 18-line block ×5, first 2 shown]
	s_waitcnt lgkmcnt(1)
	v_mul_f64 v[50:51], v[134:135], v[126:127]
	v_fma_f64 v[50:51], v[132:133], v[48:49], -v[50:51]
	s_waitcnt vmcnt(1)
	v_add_f64 v[0:1], v[0:1], -v[50:51]
	s_waitcnt lgkmcnt(0)
	v_mul_f64 v[50:51], v[118:119], v[126:127]
	v_mul_f64 v[132:133], v[132:133], v[126:127]
	v_fma_f64 v[50:51], v[116:117], v[48:49], -v[50:51]
	v_mul_f64 v[116:117], v[116:117], v[126:127]
	v_fmac_f64_e32 v[132:133], v[134:135], v[48:49]
	v_fmac_f64_e32 v[116:117], v[118:119], v[48:49]
	v_add_f64 v[2:3], v[2:3], -v[132:133]
	s_waitcnt vmcnt(0)
	v_add_f64 v[112:113], v[112:113], -v[50:51]
	v_add_f64 v[114:115], v[114:115], -v[116:117]
	v_mov_b64_e32 v[50:51], v[126:127]
.LBB56_356:
	s_or_b64 exec, exec, s[0:1]
	v_lshl_add_u32 v116, v129, 4, v128
	s_barrier
	s_waitcnt vmcnt(11)
	ds_write2_b64 v116, v[40:41], v[42:43] offset1:1
	s_waitcnt lgkmcnt(0)
	s_barrier
	ds_read2_b64 v[116:119], v128 offset0:34 offset1:35
	s_cmp_lt_i32 s20, 19
	v_mov_b32_e32 v126, 17
	s_cbranch_scc1 .LBB56_359
; %bb.357:
	v_add_u32_e32 v127, 0x120, v128
	s_mov_b32 s16, 18
	v_mov_b32_e32 v126, 17
.LBB56_358:                             ; =>This Inner Loop Header: Depth=1
	ds_read2_b64 v[132:135], v127 offset1:1
	s_waitcnt lgkmcnt(1)
	v_xor_b32_e32 v137, 0x80000000, v117
	v_xor_b32_e32 v139, 0x80000000, v119
	v_cmp_gt_f64_e32 vcc, 0, v[118:119]
	v_cmp_gt_f64_e64 s[0:1], 0, v[116:117]
	v_mov_b32_e32 v136, v116
	v_mov_b32_e32 v138, v118
	v_cndmask_b32_e64 v137, v117, v137, s[0:1]
	v_cndmask_b32_e32 v139, v119, v139, vcc
	v_add_f64 v[136:137], v[136:137], v[138:139]
	s_waitcnt lgkmcnt(0)
	v_xor_b32_e32 v139, 0x80000000, v133
	v_xor_b32_e32 v141, 0x80000000, v135
	v_cmp_gt_f64_e32 vcc, 0, v[134:135]
	v_cmp_gt_f64_e64 s[0:1], 0, v[132:133]
	v_mov_b32_e32 v138, v132
	v_mov_b32_e32 v140, v134
	v_cndmask_b32_e64 v139, v133, v139, s[0:1]
	v_cndmask_b32_e32 v141, v135, v141, vcc
	v_add_f64 v[138:139], v[138:139], v[140:141]
	v_mov_b32_e32 v142, s16
	s_add_i32 s16, s16, 1
	v_cmp_lt_f64_e32 vcc, v[136:137], v[138:139]
	v_add_u32_e32 v127, 16, v127
	s_cmp_lg_u32 s20, s16
	v_cndmask_b32_e32 v117, v117, v133, vcc
	v_cndmask_b32_e32 v116, v116, v132, vcc
	v_cndmask_b32_e32 v119, v119, v135, vcc
	v_cndmask_b32_e32 v118, v118, v134, vcc
	v_cndmask_b32_e32 v126, v126, v142, vcc
	s_cbranch_scc1 .LBB56_358
.LBB56_359:
	s_waitcnt lgkmcnt(0)
	v_cmp_eq_f64_e32 vcc, 0, v[116:117]
	v_cmp_eq_f64_e64 s[0:1], 0, v[118:119]
	s_and_b64 s[0:1], vcc, s[0:1]
	s_and_saveexec_b64 s[16:17], s[0:1]
	s_xor_b64 s[0:1], exec, s[16:17]
; %bb.360:
	v_cmp_ne_u32_e32 vcc, 0, v130
	s_nop 1
	v_cndmask_b32_e32 v130, 18, v130, vcc
; %bb.361:
	s_andn2_saveexec_b64 s[0:1], s[0:1]
	s_cbranch_execz .LBB56_367
; %bb.362:
	v_cmp_ngt_f64_e64 s[16:17], |v[116:117]|, |v[118:119]|
	s_and_saveexec_b64 s[18:19], s[16:17]
	s_xor_b64 s[16:17], exec, s[18:19]
	s_cbranch_execz .LBB56_364
; %bb.363:
	v_div_scale_f64 v[132:133], s[18:19], v[118:119], v[118:119], v[116:117]
	v_rcp_f64_e32 v[134:135], v[132:133]
	v_div_scale_f64 v[136:137], vcc, v[116:117], v[118:119], v[116:117]
	v_fma_f64 v[138:139], -v[132:133], v[134:135], 1.0
	v_fmac_f64_e32 v[134:135], v[134:135], v[138:139]
	v_fma_f64 v[138:139], -v[132:133], v[134:135], 1.0
	v_fmac_f64_e32 v[134:135], v[134:135], v[138:139]
	v_mul_f64 v[138:139], v[136:137], v[134:135]
	v_fma_f64 v[132:133], -v[132:133], v[138:139], v[136:137]
	v_div_fmas_f64 v[132:133], v[132:133], v[134:135], v[138:139]
	v_div_fixup_f64 v[132:133], v[132:133], v[118:119], v[116:117]
	v_fmac_f64_e32 v[118:119], v[116:117], v[132:133]
	v_div_scale_f64 v[116:117], s[18:19], v[118:119], v[118:119], 1.0
	v_rcp_f64_e32 v[134:135], v[116:117]
	s_nop 0
	v_fma_f64 v[136:137], -v[116:117], v[134:135], 1.0
	v_fmac_f64_e32 v[134:135], v[134:135], v[136:137]
	v_fma_f64 v[136:137], -v[116:117], v[134:135], 1.0
	v_fmac_f64_e32 v[134:135], v[134:135], v[136:137]
	v_div_scale_f64 v[136:137], vcc, 1.0, v[118:119], 1.0
	v_mul_f64 v[138:139], v[136:137], v[134:135]
	v_fma_f64 v[116:117], -v[116:117], v[138:139], v[136:137]
	s_nop 1
	v_div_fmas_f64 v[116:117], v[116:117], v[134:135], v[138:139]
	v_div_fixup_f64 v[118:119], v[116:117], v[118:119], 1.0
	v_mul_f64 v[116:117], v[132:133], v[118:119]
	v_xor_b32_e32 v119, 0x80000000, v119
.LBB56_364:
	s_andn2_saveexec_b64 s[16:17], s[16:17]
	s_cbranch_execz .LBB56_366
; %bb.365:
	v_div_scale_f64 v[132:133], s[18:19], v[116:117], v[116:117], v[118:119]
	v_rcp_f64_e32 v[134:135], v[132:133]
	v_div_scale_f64 v[136:137], vcc, v[118:119], v[116:117], v[118:119]
	v_fma_f64 v[138:139], -v[132:133], v[134:135], 1.0
	v_fmac_f64_e32 v[134:135], v[134:135], v[138:139]
	v_fma_f64 v[138:139], -v[132:133], v[134:135], 1.0
	v_fmac_f64_e32 v[134:135], v[134:135], v[138:139]
	v_mul_f64 v[138:139], v[136:137], v[134:135]
	v_fma_f64 v[132:133], -v[132:133], v[138:139], v[136:137]
	v_div_fmas_f64 v[132:133], v[132:133], v[134:135], v[138:139]
	v_div_fixup_f64 v[132:133], v[132:133], v[116:117], v[118:119]
	v_fmac_f64_e32 v[116:117], v[118:119], v[132:133]
	v_div_scale_f64 v[118:119], s[18:19], v[116:117], v[116:117], 1.0
	v_rcp_f64_e32 v[134:135], v[118:119]
	s_nop 0
	v_fma_f64 v[136:137], -v[118:119], v[134:135], 1.0
	v_fmac_f64_e32 v[134:135], v[134:135], v[136:137]
	v_fma_f64 v[136:137], -v[118:119], v[134:135], 1.0
	v_fmac_f64_e32 v[134:135], v[134:135], v[136:137]
	v_div_scale_f64 v[136:137], vcc, 1.0, v[116:117], 1.0
	v_mul_f64 v[138:139], v[136:137], v[134:135]
	v_fma_f64 v[118:119], -v[118:119], v[138:139], v[136:137]
	s_nop 1
	v_div_fmas_f64 v[118:119], v[118:119], v[134:135], v[138:139]
	v_div_fixup_f64 v[116:117], v[118:119], v[116:117], 1.0
	v_mul_f64 v[118:119], v[132:133], -v[116:117]
.LBB56_366:
	s_or_b64 exec, exec, s[16:17]
.LBB56_367:
	s_or_b64 exec, exec, s[0:1]
	v_cmp_ne_u32_e32 vcc, v129, v126
	s_and_saveexec_b64 s[0:1], vcc
	s_xor_b64 s[0:1], exec, s[0:1]
	s_cbranch_execz .LBB56_373
; %bb.368:
	v_cmp_eq_u32_e32 vcc, 17, v129
	s_and_saveexec_b64 s[16:17], vcc
	s_cbranch_execz .LBB56_372
; %bb.369:
	v_cmp_ne_u32_e32 vcc, 17, v126
	s_xor_b64 s[18:19], s[14:15], -1
	s_and_b64 s[22:23], s[18:19], vcc
	s_and_saveexec_b64 s[18:19], s[22:23]
	s_cbranch_execz .LBB56_371
; %bb.370:
	v_ashrrev_i32_e32 v127, 31, v126
	v_lshl_add_u64 v[132:133], v[126:127], 2, v[124:125]
	global_load_dword v127, v[132:133], off
	global_load_dword v129, v[124:125], off offset:68
	s_waitcnt vmcnt(1)
	global_store_dword v[124:125], v127, off offset:68
	s_waitcnt vmcnt(1)
	global_store_dword v[132:133], v129, off
.LBB56_371:
	s_or_b64 exec, exec, s[18:19]
	v_mov_b32_e32 v129, v126
	v_mov_b32_e32 v131, v126
.LBB56_372:
	s_or_b64 exec, exec, s[16:17]
.LBB56_373:
	s_andn2_saveexec_b64 s[0:1], s[0:1]
	s_cbranch_execz .LBB56_375
; %bb.374:
	v_mov_b32_e32 v129, 17
	s_waitcnt vmcnt(10)
	ds_write2_b64 v128, v[36:37], v[38:39] offset0:36 offset1:37
	s_waitcnt vmcnt(9)
	ds_write2_b64 v128, v[32:33], v[34:35] offset0:38 offset1:39
	;; [unrolled: 2-line block ×11, first 2 shown]
.LBB56_375:
	s_or_b64 exec, exec, s[0:1]
	v_cmp_lt_i32_e32 vcc, 17, v129
	s_waitcnt lgkmcnt(0)
	s_barrier
	s_and_saveexec_b64 s[0:1], vcc
	s_cbranch_execz .LBB56_377
; %bb.376:
	ds_read2_b64 v[132:135], v128 offset0:36 offset1:37
	v_mul_f64 v[126:127], v[116:117], v[42:43]
	v_fmac_f64_e32 v[126:127], v[118:119], v[40:41]
	v_mul_f64 v[42:43], v[118:119], v[42:43]
	v_fma_f64 v[40:41], v[116:117], v[40:41], -v[42:43]
	ds_read2_b64 v[116:119], v128 offset0:38 offset1:39
	s_waitcnt lgkmcnt(1)
	v_mul_f64 v[42:43], v[134:135], v[126:127]
	v_fma_f64 v[42:43], v[132:133], v[40:41], -v[42:43]
	v_mul_f64 v[132:133], v[132:133], v[126:127]
	v_fmac_f64_e32 v[132:133], v[134:135], v[40:41]
	s_waitcnt vmcnt(10)
	v_add_f64 v[38:39], v[38:39], -v[132:133]
	ds_read2_b64 v[132:135], v128 offset0:40 offset1:41
	v_add_f64 v[36:37], v[36:37], -v[42:43]
	s_waitcnt lgkmcnt(1)
	v_mul_f64 v[42:43], v[118:119], v[126:127]
	v_fma_f64 v[42:43], v[116:117], v[40:41], -v[42:43]
	v_mul_f64 v[116:117], v[116:117], v[126:127]
	v_fmac_f64_e32 v[116:117], v[118:119], v[40:41]
	s_waitcnt vmcnt(9)
	v_add_f64 v[32:33], v[32:33], -v[42:43]
	v_add_f64 v[34:35], v[34:35], -v[116:117]
	ds_read2_b64 v[116:119], v128 offset0:42 offset1:43
	s_waitcnt lgkmcnt(1)
	v_mul_f64 v[42:43], v[134:135], v[126:127]
	v_fma_f64 v[42:43], v[132:133], v[40:41], -v[42:43]
	v_mul_f64 v[132:133], v[132:133], v[126:127]
	v_fmac_f64_e32 v[132:133], v[134:135], v[40:41]
	s_waitcnt vmcnt(8)
	v_add_f64 v[30:31], v[30:31], -v[132:133]
	ds_read2_b64 v[132:135], v128 offset0:44 offset1:45
	v_add_f64 v[28:29], v[28:29], -v[42:43]
	s_waitcnt lgkmcnt(1)
	v_mul_f64 v[42:43], v[118:119], v[126:127]
	v_fma_f64 v[42:43], v[116:117], v[40:41], -v[42:43]
	v_mul_f64 v[116:117], v[116:117], v[126:127]
	v_fmac_f64_e32 v[116:117], v[118:119], v[40:41]
	s_waitcnt vmcnt(7)
	v_add_f64 v[24:25], v[24:25], -v[42:43]
	v_add_f64 v[26:27], v[26:27], -v[116:117]
	;; [unrolled: 18-line block ×5, first 2 shown]
	s_waitcnt lgkmcnt(0)
	v_mul_f64 v[42:43], v[134:135], v[126:127]
	v_mul_f64 v[116:117], v[132:133], v[126:127]
	v_fma_f64 v[42:43], v[132:133], v[40:41], -v[42:43]
	v_fmac_f64_e32 v[116:117], v[134:135], v[40:41]
	s_waitcnt vmcnt(0)
	v_add_f64 v[112:113], v[112:113], -v[42:43]
	v_add_f64 v[114:115], v[114:115], -v[116:117]
	v_mov_b64_e32 v[42:43], v[126:127]
.LBB56_377:
	s_or_b64 exec, exec, s[0:1]
	v_lshl_add_u32 v116, v129, 4, v128
	s_barrier
	s_waitcnt vmcnt(10)
	ds_write2_b64 v116, v[36:37], v[38:39] offset1:1
	s_waitcnt lgkmcnt(0)
	s_barrier
	ds_read2_b64 v[116:119], v128 offset0:36 offset1:37
	s_cmp_lt_i32 s20, 20
	v_mov_b32_e32 v126, 18
	s_cbranch_scc1 .LBB56_380
; %bb.378:
	v_add_u32_e32 v127, 0x130, v128
	s_mov_b32 s16, 19
	v_mov_b32_e32 v126, 18
.LBB56_379:                             ; =>This Inner Loop Header: Depth=1
	ds_read2_b64 v[132:135], v127 offset1:1
	s_waitcnt lgkmcnt(1)
	v_xor_b32_e32 v137, 0x80000000, v117
	v_xor_b32_e32 v139, 0x80000000, v119
	v_cmp_gt_f64_e32 vcc, 0, v[118:119]
	v_cmp_gt_f64_e64 s[0:1], 0, v[116:117]
	v_mov_b32_e32 v136, v116
	v_mov_b32_e32 v138, v118
	v_cndmask_b32_e64 v137, v117, v137, s[0:1]
	v_cndmask_b32_e32 v139, v119, v139, vcc
	v_add_f64 v[136:137], v[136:137], v[138:139]
	s_waitcnt lgkmcnt(0)
	v_xor_b32_e32 v139, 0x80000000, v133
	v_xor_b32_e32 v141, 0x80000000, v135
	v_cmp_gt_f64_e32 vcc, 0, v[134:135]
	v_cmp_gt_f64_e64 s[0:1], 0, v[132:133]
	v_mov_b32_e32 v138, v132
	v_mov_b32_e32 v140, v134
	v_cndmask_b32_e64 v139, v133, v139, s[0:1]
	v_cndmask_b32_e32 v141, v135, v141, vcc
	v_add_f64 v[138:139], v[138:139], v[140:141]
	v_mov_b32_e32 v142, s16
	s_add_i32 s16, s16, 1
	v_cmp_lt_f64_e32 vcc, v[136:137], v[138:139]
	v_add_u32_e32 v127, 16, v127
	s_cmp_lg_u32 s20, s16
	v_cndmask_b32_e32 v117, v117, v133, vcc
	v_cndmask_b32_e32 v116, v116, v132, vcc
	;; [unrolled: 1-line block ×5, first 2 shown]
	s_cbranch_scc1 .LBB56_379
.LBB56_380:
	s_waitcnt lgkmcnt(0)
	v_cmp_eq_f64_e32 vcc, 0, v[116:117]
	v_cmp_eq_f64_e64 s[0:1], 0, v[118:119]
	s_and_b64 s[0:1], vcc, s[0:1]
	s_and_saveexec_b64 s[16:17], s[0:1]
	s_xor_b64 s[0:1], exec, s[16:17]
; %bb.381:
	v_cmp_ne_u32_e32 vcc, 0, v130
	s_nop 1
	v_cndmask_b32_e32 v130, 19, v130, vcc
; %bb.382:
	s_andn2_saveexec_b64 s[0:1], s[0:1]
	s_cbranch_execz .LBB56_388
; %bb.383:
	v_cmp_ngt_f64_e64 s[16:17], |v[116:117]|, |v[118:119]|
	s_and_saveexec_b64 s[18:19], s[16:17]
	s_xor_b64 s[16:17], exec, s[18:19]
	s_cbranch_execz .LBB56_385
; %bb.384:
	v_div_scale_f64 v[132:133], s[18:19], v[118:119], v[118:119], v[116:117]
	v_rcp_f64_e32 v[134:135], v[132:133]
	v_div_scale_f64 v[136:137], vcc, v[116:117], v[118:119], v[116:117]
	v_fma_f64 v[138:139], -v[132:133], v[134:135], 1.0
	v_fmac_f64_e32 v[134:135], v[134:135], v[138:139]
	v_fma_f64 v[138:139], -v[132:133], v[134:135], 1.0
	v_fmac_f64_e32 v[134:135], v[134:135], v[138:139]
	v_mul_f64 v[138:139], v[136:137], v[134:135]
	v_fma_f64 v[132:133], -v[132:133], v[138:139], v[136:137]
	v_div_fmas_f64 v[132:133], v[132:133], v[134:135], v[138:139]
	v_div_fixup_f64 v[132:133], v[132:133], v[118:119], v[116:117]
	v_fmac_f64_e32 v[118:119], v[116:117], v[132:133]
	v_div_scale_f64 v[116:117], s[18:19], v[118:119], v[118:119], 1.0
	v_rcp_f64_e32 v[134:135], v[116:117]
	s_nop 0
	v_fma_f64 v[136:137], -v[116:117], v[134:135], 1.0
	v_fmac_f64_e32 v[134:135], v[134:135], v[136:137]
	v_fma_f64 v[136:137], -v[116:117], v[134:135], 1.0
	v_fmac_f64_e32 v[134:135], v[134:135], v[136:137]
	v_div_scale_f64 v[136:137], vcc, 1.0, v[118:119], 1.0
	v_mul_f64 v[138:139], v[136:137], v[134:135]
	v_fma_f64 v[116:117], -v[116:117], v[138:139], v[136:137]
	s_nop 1
	v_div_fmas_f64 v[116:117], v[116:117], v[134:135], v[138:139]
	v_div_fixup_f64 v[118:119], v[116:117], v[118:119], 1.0
	v_mul_f64 v[116:117], v[132:133], v[118:119]
	v_xor_b32_e32 v119, 0x80000000, v119
.LBB56_385:
	s_andn2_saveexec_b64 s[16:17], s[16:17]
	s_cbranch_execz .LBB56_387
; %bb.386:
	v_div_scale_f64 v[132:133], s[18:19], v[116:117], v[116:117], v[118:119]
	v_rcp_f64_e32 v[134:135], v[132:133]
	v_div_scale_f64 v[136:137], vcc, v[118:119], v[116:117], v[118:119]
	v_fma_f64 v[138:139], -v[132:133], v[134:135], 1.0
	v_fmac_f64_e32 v[134:135], v[134:135], v[138:139]
	v_fma_f64 v[138:139], -v[132:133], v[134:135], 1.0
	v_fmac_f64_e32 v[134:135], v[134:135], v[138:139]
	v_mul_f64 v[138:139], v[136:137], v[134:135]
	v_fma_f64 v[132:133], -v[132:133], v[138:139], v[136:137]
	v_div_fmas_f64 v[132:133], v[132:133], v[134:135], v[138:139]
	v_div_fixup_f64 v[132:133], v[132:133], v[116:117], v[118:119]
	v_fmac_f64_e32 v[116:117], v[118:119], v[132:133]
	v_div_scale_f64 v[118:119], s[18:19], v[116:117], v[116:117], 1.0
	v_rcp_f64_e32 v[134:135], v[118:119]
	s_nop 0
	v_fma_f64 v[136:137], -v[118:119], v[134:135], 1.0
	v_fmac_f64_e32 v[134:135], v[134:135], v[136:137]
	v_fma_f64 v[136:137], -v[118:119], v[134:135], 1.0
	v_fmac_f64_e32 v[134:135], v[134:135], v[136:137]
	v_div_scale_f64 v[136:137], vcc, 1.0, v[116:117], 1.0
	v_mul_f64 v[138:139], v[136:137], v[134:135]
	v_fma_f64 v[118:119], -v[118:119], v[138:139], v[136:137]
	s_nop 1
	v_div_fmas_f64 v[118:119], v[118:119], v[134:135], v[138:139]
	v_div_fixup_f64 v[116:117], v[118:119], v[116:117], 1.0
	v_mul_f64 v[118:119], v[132:133], -v[116:117]
.LBB56_387:
	s_or_b64 exec, exec, s[16:17]
.LBB56_388:
	s_or_b64 exec, exec, s[0:1]
	v_cmp_ne_u32_e32 vcc, v129, v126
	s_and_saveexec_b64 s[0:1], vcc
	s_xor_b64 s[0:1], exec, s[0:1]
	s_cbranch_execz .LBB56_394
; %bb.389:
	v_cmp_eq_u32_e32 vcc, 18, v129
	s_and_saveexec_b64 s[16:17], vcc
	s_cbranch_execz .LBB56_393
; %bb.390:
	v_cmp_ne_u32_e32 vcc, 18, v126
	s_xor_b64 s[18:19], s[14:15], -1
	s_and_b64 s[22:23], s[18:19], vcc
	s_and_saveexec_b64 s[18:19], s[22:23]
	s_cbranch_execz .LBB56_392
; %bb.391:
	v_ashrrev_i32_e32 v127, 31, v126
	v_lshl_add_u64 v[132:133], v[126:127], 2, v[124:125]
	global_load_dword v127, v[132:133], off
	global_load_dword v129, v[124:125], off offset:72
	s_waitcnt vmcnt(1)
	global_store_dword v[124:125], v127, off offset:72
	s_waitcnt vmcnt(1)
	global_store_dword v[132:133], v129, off
.LBB56_392:
	s_or_b64 exec, exec, s[18:19]
	v_mov_b32_e32 v129, v126
	v_mov_b32_e32 v131, v126
.LBB56_393:
	s_or_b64 exec, exec, s[16:17]
.LBB56_394:
	s_andn2_saveexec_b64 s[0:1], s[0:1]
	s_cbranch_execz .LBB56_396
; %bb.395:
	v_mov_b32_e32 v129, 18
	s_waitcnt vmcnt(9)
	ds_write2_b64 v128, v[32:33], v[34:35] offset0:38 offset1:39
	s_waitcnt vmcnt(8)
	ds_write2_b64 v128, v[28:29], v[30:31] offset0:40 offset1:41
	;; [unrolled: 2-line block ×10, first 2 shown]
.LBB56_396:
	s_or_b64 exec, exec, s[0:1]
	v_cmp_lt_i32_e32 vcc, 18, v129
	s_waitcnt lgkmcnt(0)
	s_barrier
	s_and_saveexec_b64 s[0:1], vcc
	s_cbranch_execz .LBB56_398
; %bb.397:
	ds_read2_b64 v[132:135], v128 offset0:38 offset1:39
	v_mul_f64 v[126:127], v[116:117], v[38:39]
	v_mul_f64 v[38:39], v[118:119], v[38:39]
	v_fmac_f64_e32 v[126:127], v[118:119], v[36:37]
	v_fma_f64 v[36:37], v[116:117], v[36:37], -v[38:39]
	ds_read2_b64 v[116:119], v128 offset0:40 offset1:41
	s_waitcnt lgkmcnt(1)
	v_mul_f64 v[38:39], v[134:135], v[126:127]
	v_fma_f64 v[38:39], v[132:133], v[36:37], -v[38:39]
	v_mul_f64 v[132:133], v[132:133], v[126:127]
	v_fmac_f64_e32 v[132:133], v[134:135], v[36:37]
	s_waitcnt vmcnt(9)
	v_add_f64 v[32:33], v[32:33], -v[38:39]
	s_waitcnt lgkmcnt(0)
	v_mul_f64 v[38:39], v[118:119], v[126:127]
	v_add_f64 v[34:35], v[34:35], -v[132:133]
	v_fma_f64 v[38:39], v[116:117], v[36:37], -v[38:39]
	v_mul_f64 v[116:117], v[116:117], v[126:127]
	ds_read2_b64 v[132:135], v128 offset0:42 offset1:43
	v_fmac_f64_e32 v[116:117], v[118:119], v[36:37]
	s_waitcnt vmcnt(8)
	v_add_f64 v[30:31], v[30:31], -v[116:117]
	ds_read2_b64 v[116:119], v128 offset0:44 offset1:45
	v_add_f64 v[28:29], v[28:29], -v[38:39]
	s_waitcnt lgkmcnt(1)
	v_mul_f64 v[38:39], v[134:135], v[126:127]
	v_fma_f64 v[38:39], v[132:133], v[36:37], -v[38:39]
	v_mul_f64 v[132:133], v[132:133], v[126:127]
	v_fmac_f64_e32 v[132:133], v[134:135], v[36:37]
	s_waitcnt vmcnt(7)
	v_add_f64 v[24:25], v[24:25], -v[38:39]
	s_waitcnt lgkmcnt(0)
	v_mul_f64 v[38:39], v[118:119], v[126:127]
	v_add_f64 v[26:27], v[26:27], -v[132:133]
	v_fma_f64 v[38:39], v[116:117], v[36:37], -v[38:39]
	v_mul_f64 v[116:117], v[116:117], v[126:127]
	ds_read2_b64 v[132:135], v128 offset0:46 offset1:47
	v_fmac_f64_e32 v[116:117], v[118:119], v[36:37]
	s_waitcnt vmcnt(6)
	v_add_f64 v[22:23], v[22:23], -v[116:117]
	ds_read2_b64 v[116:119], v128 offset0:48 offset1:49
	v_add_f64 v[20:21], v[20:21], -v[38:39]
	;; [unrolled: 18-line block ×4, first 2 shown]
	s_waitcnt lgkmcnt(1)
	v_mul_f64 v[38:39], v[134:135], v[126:127]
	v_fma_f64 v[38:39], v[132:133], v[36:37], -v[38:39]
	s_waitcnt vmcnt(1)
	v_add_f64 v[0:1], v[0:1], -v[38:39]
	s_waitcnt lgkmcnt(0)
	v_mul_f64 v[38:39], v[118:119], v[126:127]
	v_mul_f64 v[132:133], v[132:133], v[126:127]
	v_fma_f64 v[38:39], v[116:117], v[36:37], -v[38:39]
	v_mul_f64 v[116:117], v[116:117], v[126:127]
	v_fmac_f64_e32 v[132:133], v[134:135], v[36:37]
	v_fmac_f64_e32 v[116:117], v[118:119], v[36:37]
	v_add_f64 v[2:3], v[2:3], -v[132:133]
	s_waitcnt vmcnt(0)
	v_add_f64 v[112:113], v[112:113], -v[38:39]
	v_add_f64 v[114:115], v[114:115], -v[116:117]
	v_mov_b64_e32 v[38:39], v[126:127]
.LBB56_398:
	s_or_b64 exec, exec, s[0:1]
	v_lshl_add_u32 v116, v129, 4, v128
	s_barrier
	s_waitcnt vmcnt(9)
	ds_write2_b64 v116, v[32:33], v[34:35] offset1:1
	s_waitcnt lgkmcnt(0)
	s_barrier
	ds_read2_b64 v[116:119], v128 offset0:38 offset1:39
	s_cmp_lt_i32 s20, 21
	v_mov_b32_e32 v126, 19
	s_cbranch_scc1 .LBB56_401
; %bb.399:
	v_add_u32_e32 v127, 0x140, v128
	s_mov_b32 s16, 20
	v_mov_b32_e32 v126, 19
.LBB56_400:                             ; =>This Inner Loop Header: Depth=1
	ds_read2_b64 v[132:135], v127 offset1:1
	s_waitcnt lgkmcnt(1)
	v_xor_b32_e32 v137, 0x80000000, v117
	v_xor_b32_e32 v139, 0x80000000, v119
	v_cmp_gt_f64_e32 vcc, 0, v[118:119]
	v_cmp_gt_f64_e64 s[0:1], 0, v[116:117]
	v_mov_b32_e32 v136, v116
	v_mov_b32_e32 v138, v118
	v_cndmask_b32_e64 v137, v117, v137, s[0:1]
	v_cndmask_b32_e32 v139, v119, v139, vcc
	v_add_f64 v[136:137], v[136:137], v[138:139]
	s_waitcnt lgkmcnt(0)
	v_xor_b32_e32 v139, 0x80000000, v133
	v_xor_b32_e32 v141, 0x80000000, v135
	v_cmp_gt_f64_e32 vcc, 0, v[134:135]
	v_cmp_gt_f64_e64 s[0:1], 0, v[132:133]
	v_mov_b32_e32 v138, v132
	v_mov_b32_e32 v140, v134
	v_cndmask_b32_e64 v139, v133, v139, s[0:1]
	v_cndmask_b32_e32 v141, v135, v141, vcc
	v_add_f64 v[138:139], v[138:139], v[140:141]
	v_mov_b32_e32 v142, s16
	s_add_i32 s16, s16, 1
	v_cmp_lt_f64_e32 vcc, v[136:137], v[138:139]
	v_add_u32_e32 v127, 16, v127
	s_cmp_lg_u32 s20, s16
	v_cndmask_b32_e32 v117, v117, v133, vcc
	v_cndmask_b32_e32 v116, v116, v132, vcc
	;; [unrolled: 1-line block ×5, first 2 shown]
	s_cbranch_scc1 .LBB56_400
.LBB56_401:
	s_waitcnt lgkmcnt(0)
	v_cmp_eq_f64_e32 vcc, 0, v[116:117]
	v_cmp_eq_f64_e64 s[0:1], 0, v[118:119]
	s_and_b64 s[0:1], vcc, s[0:1]
	s_and_saveexec_b64 s[16:17], s[0:1]
	s_xor_b64 s[0:1], exec, s[16:17]
; %bb.402:
	v_cmp_ne_u32_e32 vcc, 0, v130
	s_nop 1
	v_cndmask_b32_e32 v130, 20, v130, vcc
; %bb.403:
	s_andn2_saveexec_b64 s[0:1], s[0:1]
	s_cbranch_execz .LBB56_409
; %bb.404:
	v_cmp_ngt_f64_e64 s[16:17], |v[116:117]|, |v[118:119]|
	s_and_saveexec_b64 s[18:19], s[16:17]
	s_xor_b64 s[16:17], exec, s[18:19]
	s_cbranch_execz .LBB56_406
; %bb.405:
	v_div_scale_f64 v[132:133], s[18:19], v[118:119], v[118:119], v[116:117]
	v_rcp_f64_e32 v[134:135], v[132:133]
	v_div_scale_f64 v[136:137], vcc, v[116:117], v[118:119], v[116:117]
	v_fma_f64 v[138:139], -v[132:133], v[134:135], 1.0
	v_fmac_f64_e32 v[134:135], v[134:135], v[138:139]
	v_fma_f64 v[138:139], -v[132:133], v[134:135], 1.0
	v_fmac_f64_e32 v[134:135], v[134:135], v[138:139]
	v_mul_f64 v[138:139], v[136:137], v[134:135]
	v_fma_f64 v[132:133], -v[132:133], v[138:139], v[136:137]
	v_div_fmas_f64 v[132:133], v[132:133], v[134:135], v[138:139]
	v_div_fixup_f64 v[132:133], v[132:133], v[118:119], v[116:117]
	v_fmac_f64_e32 v[118:119], v[116:117], v[132:133]
	v_div_scale_f64 v[116:117], s[18:19], v[118:119], v[118:119], 1.0
	v_rcp_f64_e32 v[134:135], v[116:117]
	s_nop 0
	v_fma_f64 v[136:137], -v[116:117], v[134:135], 1.0
	v_fmac_f64_e32 v[134:135], v[134:135], v[136:137]
	v_fma_f64 v[136:137], -v[116:117], v[134:135], 1.0
	v_fmac_f64_e32 v[134:135], v[134:135], v[136:137]
	v_div_scale_f64 v[136:137], vcc, 1.0, v[118:119], 1.0
	v_mul_f64 v[138:139], v[136:137], v[134:135]
	v_fma_f64 v[116:117], -v[116:117], v[138:139], v[136:137]
	s_nop 1
	v_div_fmas_f64 v[116:117], v[116:117], v[134:135], v[138:139]
	v_div_fixup_f64 v[118:119], v[116:117], v[118:119], 1.0
	v_mul_f64 v[116:117], v[132:133], v[118:119]
	v_xor_b32_e32 v119, 0x80000000, v119
.LBB56_406:
	s_andn2_saveexec_b64 s[16:17], s[16:17]
	s_cbranch_execz .LBB56_408
; %bb.407:
	v_div_scale_f64 v[132:133], s[18:19], v[116:117], v[116:117], v[118:119]
	v_rcp_f64_e32 v[134:135], v[132:133]
	v_div_scale_f64 v[136:137], vcc, v[118:119], v[116:117], v[118:119]
	v_fma_f64 v[138:139], -v[132:133], v[134:135], 1.0
	v_fmac_f64_e32 v[134:135], v[134:135], v[138:139]
	v_fma_f64 v[138:139], -v[132:133], v[134:135], 1.0
	v_fmac_f64_e32 v[134:135], v[134:135], v[138:139]
	v_mul_f64 v[138:139], v[136:137], v[134:135]
	v_fma_f64 v[132:133], -v[132:133], v[138:139], v[136:137]
	v_div_fmas_f64 v[132:133], v[132:133], v[134:135], v[138:139]
	v_div_fixup_f64 v[132:133], v[132:133], v[116:117], v[118:119]
	v_fmac_f64_e32 v[116:117], v[118:119], v[132:133]
	v_div_scale_f64 v[118:119], s[18:19], v[116:117], v[116:117], 1.0
	v_rcp_f64_e32 v[134:135], v[118:119]
	s_nop 0
	v_fma_f64 v[136:137], -v[118:119], v[134:135], 1.0
	v_fmac_f64_e32 v[134:135], v[134:135], v[136:137]
	v_fma_f64 v[136:137], -v[118:119], v[134:135], 1.0
	v_fmac_f64_e32 v[134:135], v[134:135], v[136:137]
	v_div_scale_f64 v[136:137], vcc, 1.0, v[116:117], 1.0
	v_mul_f64 v[138:139], v[136:137], v[134:135]
	v_fma_f64 v[118:119], -v[118:119], v[138:139], v[136:137]
	s_nop 1
	v_div_fmas_f64 v[118:119], v[118:119], v[134:135], v[138:139]
	v_div_fixup_f64 v[116:117], v[118:119], v[116:117], 1.0
	v_mul_f64 v[118:119], v[132:133], -v[116:117]
.LBB56_408:
	s_or_b64 exec, exec, s[16:17]
.LBB56_409:
	s_or_b64 exec, exec, s[0:1]
	v_cmp_ne_u32_e32 vcc, v129, v126
	s_and_saveexec_b64 s[0:1], vcc
	s_xor_b64 s[0:1], exec, s[0:1]
	s_cbranch_execz .LBB56_415
; %bb.410:
	v_cmp_eq_u32_e32 vcc, 19, v129
	s_and_saveexec_b64 s[16:17], vcc
	s_cbranch_execz .LBB56_414
; %bb.411:
	v_cmp_ne_u32_e32 vcc, 19, v126
	s_xor_b64 s[18:19], s[14:15], -1
	s_and_b64 s[22:23], s[18:19], vcc
	s_and_saveexec_b64 s[18:19], s[22:23]
	s_cbranch_execz .LBB56_413
; %bb.412:
	v_ashrrev_i32_e32 v127, 31, v126
	v_lshl_add_u64 v[132:133], v[126:127], 2, v[124:125]
	global_load_dword v127, v[132:133], off
	global_load_dword v129, v[124:125], off offset:76
	s_waitcnt vmcnt(1)
	global_store_dword v[124:125], v127, off offset:76
	s_waitcnt vmcnt(1)
	global_store_dword v[132:133], v129, off
.LBB56_413:
	s_or_b64 exec, exec, s[18:19]
	v_mov_b32_e32 v129, v126
	v_mov_b32_e32 v131, v126
.LBB56_414:
	s_or_b64 exec, exec, s[16:17]
.LBB56_415:
	s_andn2_saveexec_b64 s[0:1], s[0:1]
	s_cbranch_execz .LBB56_417
; %bb.416:
	v_mov_b32_e32 v129, 19
	s_waitcnt vmcnt(8)
	ds_write2_b64 v128, v[28:29], v[30:31] offset0:40 offset1:41
	s_waitcnt vmcnt(7)
	ds_write2_b64 v128, v[24:25], v[26:27] offset0:42 offset1:43
	;; [unrolled: 2-line block ×9, first 2 shown]
.LBB56_417:
	s_or_b64 exec, exec, s[0:1]
	v_cmp_lt_i32_e32 vcc, 19, v129
	s_waitcnt lgkmcnt(0)
	s_barrier
	s_and_saveexec_b64 s[0:1], vcc
	s_cbranch_execz .LBB56_419
; %bb.418:
	ds_read2_b64 v[132:135], v128 offset0:40 offset1:41
	v_mul_f64 v[126:127], v[116:117], v[34:35]
	v_fmac_f64_e32 v[126:127], v[118:119], v[32:33]
	v_mul_f64 v[34:35], v[118:119], v[34:35]
	v_fma_f64 v[32:33], v[116:117], v[32:33], -v[34:35]
	ds_read2_b64 v[116:119], v128 offset0:42 offset1:43
	s_waitcnt lgkmcnt(1)
	v_mul_f64 v[34:35], v[134:135], v[126:127]
	v_fma_f64 v[34:35], v[132:133], v[32:33], -v[34:35]
	v_mul_f64 v[132:133], v[132:133], v[126:127]
	v_fmac_f64_e32 v[132:133], v[134:135], v[32:33]
	s_waitcnt vmcnt(8)
	v_add_f64 v[30:31], v[30:31], -v[132:133]
	ds_read2_b64 v[132:135], v128 offset0:44 offset1:45
	v_add_f64 v[28:29], v[28:29], -v[34:35]
	s_waitcnt lgkmcnt(1)
	v_mul_f64 v[34:35], v[118:119], v[126:127]
	v_fma_f64 v[34:35], v[116:117], v[32:33], -v[34:35]
	v_mul_f64 v[116:117], v[116:117], v[126:127]
	v_fmac_f64_e32 v[116:117], v[118:119], v[32:33]
	s_waitcnt vmcnt(7)
	v_add_f64 v[24:25], v[24:25], -v[34:35]
	v_add_f64 v[26:27], v[26:27], -v[116:117]
	ds_read2_b64 v[116:119], v128 offset0:46 offset1:47
	s_waitcnt lgkmcnt(1)
	v_mul_f64 v[34:35], v[134:135], v[126:127]
	v_fma_f64 v[34:35], v[132:133], v[32:33], -v[34:35]
	v_mul_f64 v[132:133], v[132:133], v[126:127]
	v_fmac_f64_e32 v[132:133], v[134:135], v[32:33]
	s_waitcnt vmcnt(6)
	v_add_f64 v[22:23], v[22:23], -v[132:133]
	ds_read2_b64 v[132:135], v128 offset0:48 offset1:49
	v_add_f64 v[20:21], v[20:21], -v[34:35]
	s_waitcnt lgkmcnt(1)
	v_mul_f64 v[34:35], v[118:119], v[126:127]
	v_fma_f64 v[34:35], v[116:117], v[32:33], -v[34:35]
	v_mul_f64 v[116:117], v[116:117], v[126:127]
	v_fmac_f64_e32 v[116:117], v[118:119], v[32:33]
	s_waitcnt vmcnt(5)
	v_add_f64 v[16:17], v[16:17], -v[34:35]
	v_add_f64 v[18:19], v[18:19], -v[116:117]
	;; [unrolled: 18-line block ×4, first 2 shown]
	s_waitcnt lgkmcnt(0)
	v_mul_f64 v[34:35], v[134:135], v[126:127]
	v_mul_f64 v[116:117], v[132:133], v[126:127]
	v_fma_f64 v[34:35], v[132:133], v[32:33], -v[34:35]
	v_fmac_f64_e32 v[116:117], v[134:135], v[32:33]
	s_waitcnt vmcnt(0)
	v_add_f64 v[112:113], v[112:113], -v[34:35]
	v_add_f64 v[114:115], v[114:115], -v[116:117]
	v_mov_b64_e32 v[34:35], v[126:127]
.LBB56_419:
	s_or_b64 exec, exec, s[0:1]
	v_lshl_add_u32 v116, v129, 4, v128
	s_barrier
	s_waitcnt vmcnt(8)
	ds_write2_b64 v116, v[28:29], v[30:31] offset1:1
	s_waitcnt lgkmcnt(0)
	s_barrier
	ds_read2_b64 v[116:119], v128 offset0:40 offset1:41
	s_cmp_lt_i32 s20, 22
	v_mov_b32_e32 v126, 20
	s_cbranch_scc1 .LBB56_422
; %bb.420:
	v_add_u32_e32 v127, 0x150, v128
	s_mov_b32 s16, 21
	v_mov_b32_e32 v126, 20
.LBB56_421:                             ; =>This Inner Loop Header: Depth=1
	ds_read2_b64 v[132:135], v127 offset1:1
	s_waitcnt lgkmcnt(1)
	v_xor_b32_e32 v137, 0x80000000, v117
	v_xor_b32_e32 v139, 0x80000000, v119
	v_cmp_gt_f64_e32 vcc, 0, v[118:119]
	v_cmp_gt_f64_e64 s[0:1], 0, v[116:117]
	v_mov_b32_e32 v136, v116
	v_mov_b32_e32 v138, v118
	v_cndmask_b32_e64 v137, v117, v137, s[0:1]
	v_cndmask_b32_e32 v139, v119, v139, vcc
	v_add_f64 v[136:137], v[136:137], v[138:139]
	s_waitcnt lgkmcnt(0)
	v_xor_b32_e32 v139, 0x80000000, v133
	v_xor_b32_e32 v141, 0x80000000, v135
	v_cmp_gt_f64_e32 vcc, 0, v[134:135]
	v_cmp_gt_f64_e64 s[0:1], 0, v[132:133]
	v_mov_b32_e32 v138, v132
	v_mov_b32_e32 v140, v134
	v_cndmask_b32_e64 v139, v133, v139, s[0:1]
	v_cndmask_b32_e32 v141, v135, v141, vcc
	v_add_f64 v[138:139], v[138:139], v[140:141]
	v_mov_b32_e32 v142, s16
	s_add_i32 s16, s16, 1
	v_cmp_lt_f64_e32 vcc, v[136:137], v[138:139]
	v_add_u32_e32 v127, 16, v127
	s_cmp_lg_u32 s20, s16
	v_cndmask_b32_e32 v117, v117, v133, vcc
	v_cndmask_b32_e32 v116, v116, v132, vcc
	v_cndmask_b32_e32 v119, v119, v135, vcc
	v_cndmask_b32_e32 v118, v118, v134, vcc
	v_cndmask_b32_e32 v126, v126, v142, vcc
	s_cbranch_scc1 .LBB56_421
.LBB56_422:
	s_waitcnt lgkmcnt(0)
	v_cmp_eq_f64_e32 vcc, 0, v[116:117]
	v_cmp_eq_f64_e64 s[0:1], 0, v[118:119]
	s_and_b64 s[0:1], vcc, s[0:1]
	s_and_saveexec_b64 s[16:17], s[0:1]
	s_xor_b64 s[0:1], exec, s[16:17]
; %bb.423:
	v_cmp_ne_u32_e32 vcc, 0, v130
	s_nop 1
	v_cndmask_b32_e32 v130, 21, v130, vcc
; %bb.424:
	s_andn2_saveexec_b64 s[0:1], s[0:1]
	s_cbranch_execz .LBB56_430
; %bb.425:
	v_cmp_ngt_f64_e64 s[16:17], |v[116:117]|, |v[118:119]|
	s_and_saveexec_b64 s[18:19], s[16:17]
	s_xor_b64 s[16:17], exec, s[18:19]
	s_cbranch_execz .LBB56_427
; %bb.426:
	v_div_scale_f64 v[132:133], s[18:19], v[118:119], v[118:119], v[116:117]
	v_rcp_f64_e32 v[134:135], v[132:133]
	v_div_scale_f64 v[136:137], vcc, v[116:117], v[118:119], v[116:117]
	v_fma_f64 v[138:139], -v[132:133], v[134:135], 1.0
	v_fmac_f64_e32 v[134:135], v[134:135], v[138:139]
	v_fma_f64 v[138:139], -v[132:133], v[134:135], 1.0
	v_fmac_f64_e32 v[134:135], v[134:135], v[138:139]
	v_mul_f64 v[138:139], v[136:137], v[134:135]
	v_fma_f64 v[132:133], -v[132:133], v[138:139], v[136:137]
	v_div_fmas_f64 v[132:133], v[132:133], v[134:135], v[138:139]
	v_div_fixup_f64 v[132:133], v[132:133], v[118:119], v[116:117]
	v_fmac_f64_e32 v[118:119], v[116:117], v[132:133]
	v_div_scale_f64 v[116:117], s[18:19], v[118:119], v[118:119], 1.0
	v_rcp_f64_e32 v[134:135], v[116:117]
	s_nop 0
	v_fma_f64 v[136:137], -v[116:117], v[134:135], 1.0
	v_fmac_f64_e32 v[134:135], v[134:135], v[136:137]
	v_fma_f64 v[136:137], -v[116:117], v[134:135], 1.0
	v_fmac_f64_e32 v[134:135], v[134:135], v[136:137]
	v_div_scale_f64 v[136:137], vcc, 1.0, v[118:119], 1.0
	v_mul_f64 v[138:139], v[136:137], v[134:135]
	v_fma_f64 v[116:117], -v[116:117], v[138:139], v[136:137]
	s_nop 1
	v_div_fmas_f64 v[116:117], v[116:117], v[134:135], v[138:139]
	v_div_fixup_f64 v[118:119], v[116:117], v[118:119], 1.0
	v_mul_f64 v[116:117], v[132:133], v[118:119]
	v_xor_b32_e32 v119, 0x80000000, v119
.LBB56_427:
	s_andn2_saveexec_b64 s[16:17], s[16:17]
	s_cbranch_execz .LBB56_429
; %bb.428:
	v_div_scale_f64 v[132:133], s[18:19], v[116:117], v[116:117], v[118:119]
	v_rcp_f64_e32 v[134:135], v[132:133]
	v_div_scale_f64 v[136:137], vcc, v[118:119], v[116:117], v[118:119]
	v_fma_f64 v[138:139], -v[132:133], v[134:135], 1.0
	v_fmac_f64_e32 v[134:135], v[134:135], v[138:139]
	v_fma_f64 v[138:139], -v[132:133], v[134:135], 1.0
	v_fmac_f64_e32 v[134:135], v[134:135], v[138:139]
	v_mul_f64 v[138:139], v[136:137], v[134:135]
	v_fma_f64 v[132:133], -v[132:133], v[138:139], v[136:137]
	v_div_fmas_f64 v[132:133], v[132:133], v[134:135], v[138:139]
	v_div_fixup_f64 v[132:133], v[132:133], v[116:117], v[118:119]
	v_fmac_f64_e32 v[116:117], v[118:119], v[132:133]
	v_div_scale_f64 v[118:119], s[18:19], v[116:117], v[116:117], 1.0
	v_rcp_f64_e32 v[134:135], v[118:119]
	s_nop 0
	v_fma_f64 v[136:137], -v[118:119], v[134:135], 1.0
	v_fmac_f64_e32 v[134:135], v[134:135], v[136:137]
	v_fma_f64 v[136:137], -v[118:119], v[134:135], 1.0
	v_fmac_f64_e32 v[134:135], v[134:135], v[136:137]
	v_div_scale_f64 v[136:137], vcc, 1.0, v[116:117], 1.0
	v_mul_f64 v[138:139], v[136:137], v[134:135]
	v_fma_f64 v[118:119], -v[118:119], v[138:139], v[136:137]
	s_nop 1
	v_div_fmas_f64 v[118:119], v[118:119], v[134:135], v[138:139]
	v_div_fixup_f64 v[116:117], v[118:119], v[116:117], 1.0
	v_mul_f64 v[118:119], v[132:133], -v[116:117]
.LBB56_429:
	s_or_b64 exec, exec, s[16:17]
.LBB56_430:
	s_or_b64 exec, exec, s[0:1]
	v_cmp_ne_u32_e32 vcc, v129, v126
	s_and_saveexec_b64 s[0:1], vcc
	s_xor_b64 s[0:1], exec, s[0:1]
	s_cbranch_execz .LBB56_436
; %bb.431:
	v_cmp_eq_u32_e32 vcc, 20, v129
	s_and_saveexec_b64 s[16:17], vcc
	s_cbranch_execz .LBB56_435
; %bb.432:
	v_cmp_ne_u32_e32 vcc, 20, v126
	s_xor_b64 s[18:19], s[14:15], -1
	s_and_b64 s[22:23], s[18:19], vcc
	s_and_saveexec_b64 s[18:19], s[22:23]
	s_cbranch_execz .LBB56_434
; %bb.433:
	v_ashrrev_i32_e32 v127, 31, v126
	v_lshl_add_u64 v[132:133], v[126:127], 2, v[124:125]
	global_load_dword v127, v[132:133], off
	global_load_dword v129, v[124:125], off offset:80
	s_waitcnt vmcnt(1)
	global_store_dword v[124:125], v127, off offset:80
	s_waitcnt vmcnt(1)
	global_store_dword v[132:133], v129, off
.LBB56_434:
	s_or_b64 exec, exec, s[18:19]
	v_mov_b32_e32 v129, v126
	v_mov_b32_e32 v131, v126
.LBB56_435:
	s_or_b64 exec, exec, s[16:17]
.LBB56_436:
	s_andn2_saveexec_b64 s[0:1], s[0:1]
	s_cbranch_execz .LBB56_438
; %bb.437:
	v_mov_b32_e32 v129, 20
	s_waitcnt vmcnt(7)
	ds_write2_b64 v128, v[24:25], v[26:27] offset0:42 offset1:43
	s_waitcnt vmcnt(6)
	ds_write2_b64 v128, v[20:21], v[22:23] offset0:44 offset1:45
	s_waitcnt vmcnt(5)
	ds_write2_b64 v128, v[16:17], v[18:19] offset0:46 offset1:47
	s_waitcnt vmcnt(4)
	ds_write2_b64 v128, v[12:13], v[14:15] offset0:48 offset1:49
	s_waitcnt vmcnt(3)
	ds_write2_b64 v128, v[8:9], v[10:11] offset0:50 offset1:51
	s_waitcnt vmcnt(2)
	ds_write2_b64 v128, v[4:5], v[6:7] offset0:52 offset1:53
	s_waitcnt vmcnt(1)
	ds_write2_b64 v128, v[0:1], v[2:3] offset0:54 offset1:55
	s_waitcnt vmcnt(0)
	ds_write2_b64 v128, v[112:113], v[114:115] offset0:56 offset1:57
.LBB56_438:
	s_or_b64 exec, exec, s[0:1]
	v_cmp_lt_i32_e32 vcc, 20, v129
	s_waitcnt lgkmcnt(0)
	s_barrier
	s_and_saveexec_b64 s[0:1], vcc
	s_cbranch_execz .LBB56_440
; %bb.439:
	ds_read2_b64 v[132:135], v128 offset0:42 offset1:43
	v_mul_f64 v[126:127], v[116:117], v[30:31]
	v_mul_f64 v[30:31], v[118:119], v[30:31]
	v_fmac_f64_e32 v[126:127], v[118:119], v[28:29]
	v_fma_f64 v[28:29], v[116:117], v[28:29], -v[30:31]
	ds_read2_b64 v[116:119], v128 offset0:44 offset1:45
	s_waitcnt lgkmcnt(1)
	v_mul_f64 v[30:31], v[134:135], v[126:127]
	v_fma_f64 v[30:31], v[132:133], v[28:29], -v[30:31]
	v_mul_f64 v[132:133], v[132:133], v[126:127]
	v_fmac_f64_e32 v[132:133], v[134:135], v[28:29]
	s_waitcnt vmcnt(7)
	v_add_f64 v[24:25], v[24:25], -v[30:31]
	s_waitcnt lgkmcnt(0)
	v_mul_f64 v[30:31], v[118:119], v[126:127]
	v_add_f64 v[26:27], v[26:27], -v[132:133]
	v_fma_f64 v[30:31], v[116:117], v[28:29], -v[30:31]
	v_mul_f64 v[116:117], v[116:117], v[126:127]
	ds_read2_b64 v[132:135], v128 offset0:46 offset1:47
	v_fmac_f64_e32 v[116:117], v[118:119], v[28:29]
	s_waitcnt vmcnt(6)
	v_add_f64 v[22:23], v[22:23], -v[116:117]
	ds_read2_b64 v[116:119], v128 offset0:48 offset1:49
	v_add_f64 v[20:21], v[20:21], -v[30:31]
	s_waitcnt lgkmcnt(1)
	v_mul_f64 v[30:31], v[134:135], v[126:127]
	v_fma_f64 v[30:31], v[132:133], v[28:29], -v[30:31]
	v_mul_f64 v[132:133], v[132:133], v[126:127]
	v_fmac_f64_e32 v[132:133], v[134:135], v[28:29]
	s_waitcnt vmcnt(5)
	v_add_f64 v[16:17], v[16:17], -v[30:31]
	s_waitcnt lgkmcnt(0)
	v_mul_f64 v[30:31], v[118:119], v[126:127]
	v_add_f64 v[18:19], v[18:19], -v[132:133]
	v_fma_f64 v[30:31], v[116:117], v[28:29], -v[30:31]
	v_mul_f64 v[116:117], v[116:117], v[126:127]
	ds_read2_b64 v[132:135], v128 offset0:50 offset1:51
	v_fmac_f64_e32 v[116:117], v[118:119], v[28:29]
	s_waitcnt vmcnt(4)
	v_add_f64 v[14:15], v[14:15], -v[116:117]
	ds_read2_b64 v[116:119], v128 offset0:52 offset1:53
	v_add_f64 v[12:13], v[12:13], -v[30:31]
	;; [unrolled: 18-line block ×3, first 2 shown]
	s_waitcnt lgkmcnt(1)
	v_mul_f64 v[30:31], v[134:135], v[126:127]
	v_fma_f64 v[30:31], v[132:133], v[28:29], -v[30:31]
	s_waitcnt vmcnt(1)
	v_add_f64 v[0:1], v[0:1], -v[30:31]
	s_waitcnt lgkmcnt(0)
	v_mul_f64 v[30:31], v[118:119], v[126:127]
	v_mul_f64 v[132:133], v[132:133], v[126:127]
	v_fma_f64 v[30:31], v[116:117], v[28:29], -v[30:31]
	v_mul_f64 v[116:117], v[116:117], v[126:127]
	v_fmac_f64_e32 v[132:133], v[134:135], v[28:29]
	v_fmac_f64_e32 v[116:117], v[118:119], v[28:29]
	v_add_f64 v[2:3], v[2:3], -v[132:133]
	s_waitcnt vmcnt(0)
	v_add_f64 v[112:113], v[112:113], -v[30:31]
	v_add_f64 v[114:115], v[114:115], -v[116:117]
	v_mov_b64_e32 v[30:31], v[126:127]
.LBB56_440:
	s_or_b64 exec, exec, s[0:1]
	v_lshl_add_u32 v116, v129, 4, v128
	s_barrier
	s_waitcnt vmcnt(7)
	ds_write2_b64 v116, v[24:25], v[26:27] offset1:1
	s_waitcnt lgkmcnt(0)
	s_barrier
	ds_read2_b64 v[116:119], v128 offset0:42 offset1:43
	s_cmp_lt_i32 s20, 23
	v_mov_b32_e32 v126, 21
	s_cbranch_scc1 .LBB56_443
; %bb.441:
	v_add_u32_e32 v127, 0x160, v128
	s_mov_b32 s16, 22
	v_mov_b32_e32 v126, 21
.LBB56_442:                             ; =>This Inner Loop Header: Depth=1
	ds_read2_b64 v[132:135], v127 offset1:1
	s_waitcnt lgkmcnt(1)
	v_xor_b32_e32 v137, 0x80000000, v117
	v_xor_b32_e32 v139, 0x80000000, v119
	v_cmp_gt_f64_e32 vcc, 0, v[118:119]
	v_cmp_gt_f64_e64 s[0:1], 0, v[116:117]
	v_mov_b32_e32 v136, v116
	v_mov_b32_e32 v138, v118
	v_cndmask_b32_e64 v137, v117, v137, s[0:1]
	v_cndmask_b32_e32 v139, v119, v139, vcc
	v_add_f64 v[136:137], v[136:137], v[138:139]
	s_waitcnt lgkmcnt(0)
	v_xor_b32_e32 v139, 0x80000000, v133
	v_xor_b32_e32 v141, 0x80000000, v135
	v_cmp_gt_f64_e32 vcc, 0, v[134:135]
	v_cmp_gt_f64_e64 s[0:1], 0, v[132:133]
	v_mov_b32_e32 v138, v132
	v_mov_b32_e32 v140, v134
	v_cndmask_b32_e64 v139, v133, v139, s[0:1]
	v_cndmask_b32_e32 v141, v135, v141, vcc
	v_add_f64 v[138:139], v[138:139], v[140:141]
	v_mov_b32_e32 v142, s16
	s_add_i32 s16, s16, 1
	v_cmp_lt_f64_e32 vcc, v[136:137], v[138:139]
	v_add_u32_e32 v127, 16, v127
	s_cmp_lg_u32 s20, s16
	v_cndmask_b32_e32 v117, v117, v133, vcc
	v_cndmask_b32_e32 v116, v116, v132, vcc
	;; [unrolled: 1-line block ×5, first 2 shown]
	s_cbranch_scc1 .LBB56_442
.LBB56_443:
	s_waitcnt lgkmcnt(0)
	v_cmp_eq_f64_e32 vcc, 0, v[116:117]
	v_cmp_eq_f64_e64 s[0:1], 0, v[118:119]
	s_and_b64 s[0:1], vcc, s[0:1]
	s_and_saveexec_b64 s[16:17], s[0:1]
	s_xor_b64 s[0:1], exec, s[16:17]
; %bb.444:
	v_cmp_ne_u32_e32 vcc, 0, v130
	s_nop 1
	v_cndmask_b32_e32 v130, 22, v130, vcc
; %bb.445:
	s_andn2_saveexec_b64 s[0:1], s[0:1]
	s_cbranch_execz .LBB56_451
; %bb.446:
	v_cmp_ngt_f64_e64 s[16:17], |v[116:117]|, |v[118:119]|
	s_and_saveexec_b64 s[18:19], s[16:17]
	s_xor_b64 s[16:17], exec, s[18:19]
	s_cbranch_execz .LBB56_448
; %bb.447:
	v_div_scale_f64 v[132:133], s[18:19], v[118:119], v[118:119], v[116:117]
	v_rcp_f64_e32 v[134:135], v[132:133]
	v_div_scale_f64 v[136:137], vcc, v[116:117], v[118:119], v[116:117]
	v_fma_f64 v[138:139], -v[132:133], v[134:135], 1.0
	v_fmac_f64_e32 v[134:135], v[134:135], v[138:139]
	v_fma_f64 v[138:139], -v[132:133], v[134:135], 1.0
	v_fmac_f64_e32 v[134:135], v[134:135], v[138:139]
	v_mul_f64 v[138:139], v[136:137], v[134:135]
	v_fma_f64 v[132:133], -v[132:133], v[138:139], v[136:137]
	v_div_fmas_f64 v[132:133], v[132:133], v[134:135], v[138:139]
	v_div_fixup_f64 v[132:133], v[132:133], v[118:119], v[116:117]
	v_fmac_f64_e32 v[118:119], v[116:117], v[132:133]
	v_div_scale_f64 v[116:117], s[18:19], v[118:119], v[118:119], 1.0
	v_rcp_f64_e32 v[134:135], v[116:117]
	s_nop 0
	v_fma_f64 v[136:137], -v[116:117], v[134:135], 1.0
	v_fmac_f64_e32 v[134:135], v[134:135], v[136:137]
	v_fma_f64 v[136:137], -v[116:117], v[134:135], 1.0
	v_fmac_f64_e32 v[134:135], v[134:135], v[136:137]
	v_div_scale_f64 v[136:137], vcc, 1.0, v[118:119], 1.0
	v_mul_f64 v[138:139], v[136:137], v[134:135]
	v_fma_f64 v[116:117], -v[116:117], v[138:139], v[136:137]
	s_nop 1
	v_div_fmas_f64 v[116:117], v[116:117], v[134:135], v[138:139]
	v_div_fixup_f64 v[118:119], v[116:117], v[118:119], 1.0
	v_mul_f64 v[116:117], v[132:133], v[118:119]
	v_xor_b32_e32 v119, 0x80000000, v119
.LBB56_448:
	s_andn2_saveexec_b64 s[16:17], s[16:17]
	s_cbranch_execz .LBB56_450
; %bb.449:
	v_div_scale_f64 v[132:133], s[18:19], v[116:117], v[116:117], v[118:119]
	v_rcp_f64_e32 v[134:135], v[132:133]
	v_div_scale_f64 v[136:137], vcc, v[118:119], v[116:117], v[118:119]
	v_fma_f64 v[138:139], -v[132:133], v[134:135], 1.0
	v_fmac_f64_e32 v[134:135], v[134:135], v[138:139]
	v_fma_f64 v[138:139], -v[132:133], v[134:135], 1.0
	v_fmac_f64_e32 v[134:135], v[134:135], v[138:139]
	v_mul_f64 v[138:139], v[136:137], v[134:135]
	v_fma_f64 v[132:133], -v[132:133], v[138:139], v[136:137]
	v_div_fmas_f64 v[132:133], v[132:133], v[134:135], v[138:139]
	v_div_fixup_f64 v[132:133], v[132:133], v[116:117], v[118:119]
	v_fmac_f64_e32 v[116:117], v[118:119], v[132:133]
	v_div_scale_f64 v[118:119], s[18:19], v[116:117], v[116:117], 1.0
	v_rcp_f64_e32 v[134:135], v[118:119]
	s_nop 0
	v_fma_f64 v[136:137], -v[118:119], v[134:135], 1.0
	v_fmac_f64_e32 v[134:135], v[134:135], v[136:137]
	v_fma_f64 v[136:137], -v[118:119], v[134:135], 1.0
	v_fmac_f64_e32 v[134:135], v[134:135], v[136:137]
	v_div_scale_f64 v[136:137], vcc, 1.0, v[116:117], 1.0
	v_mul_f64 v[138:139], v[136:137], v[134:135]
	v_fma_f64 v[118:119], -v[118:119], v[138:139], v[136:137]
	s_nop 1
	v_div_fmas_f64 v[118:119], v[118:119], v[134:135], v[138:139]
	v_div_fixup_f64 v[116:117], v[118:119], v[116:117], 1.0
	v_mul_f64 v[118:119], v[132:133], -v[116:117]
.LBB56_450:
	s_or_b64 exec, exec, s[16:17]
.LBB56_451:
	s_or_b64 exec, exec, s[0:1]
	v_cmp_ne_u32_e32 vcc, v129, v126
	s_and_saveexec_b64 s[0:1], vcc
	s_xor_b64 s[0:1], exec, s[0:1]
	s_cbranch_execz .LBB56_457
; %bb.452:
	v_cmp_eq_u32_e32 vcc, 21, v129
	s_and_saveexec_b64 s[16:17], vcc
	s_cbranch_execz .LBB56_456
; %bb.453:
	v_cmp_ne_u32_e32 vcc, 21, v126
	s_xor_b64 s[18:19], s[14:15], -1
	s_and_b64 s[22:23], s[18:19], vcc
	s_and_saveexec_b64 s[18:19], s[22:23]
	s_cbranch_execz .LBB56_455
; %bb.454:
	v_ashrrev_i32_e32 v127, 31, v126
	v_lshl_add_u64 v[132:133], v[126:127], 2, v[124:125]
	global_load_dword v127, v[132:133], off
	global_load_dword v129, v[124:125], off offset:84
	s_waitcnt vmcnt(1)
	global_store_dword v[124:125], v127, off offset:84
	s_waitcnt vmcnt(1)
	global_store_dword v[132:133], v129, off
.LBB56_455:
	s_or_b64 exec, exec, s[18:19]
	v_mov_b32_e32 v129, v126
	v_mov_b32_e32 v131, v126
.LBB56_456:
	s_or_b64 exec, exec, s[16:17]
.LBB56_457:
	s_andn2_saveexec_b64 s[0:1], s[0:1]
	s_cbranch_execz .LBB56_459
; %bb.458:
	v_mov_b32_e32 v129, 21
	s_waitcnt vmcnt(6)
	ds_write2_b64 v128, v[20:21], v[22:23] offset0:44 offset1:45
	s_waitcnt vmcnt(5)
	ds_write2_b64 v128, v[16:17], v[18:19] offset0:46 offset1:47
	;; [unrolled: 2-line block ×7, first 2 shown]
.LBB56_459:
	s_or_b64 exec, exec, s[0:1]
	v_cmp_lt_i32_e32 vcc, 21, v129
	s_waitcnt lgkmcnt(0)
	s_barrier
	s_and_saveexec_b64 s[0:1], vcc
	s_cbranch_execz .LBB56_461
; %bb.460:
	ds_read2_b64 v[132:135], v128 offset0:44 offset1:45
	v_mul_f64 v[126:127], v[116:117], v[26:27]
	v_fmac_f64_e32 v[126:127], v[118:119], v[24:25]
	v_mul_f64 v[26:27], v[118:119], v[26:27]
	v_fma_f64 v[24:25], v[116:117], v[24:25], -v[26:27]
	ds_read2_b64 v[116:119], v128 offset0:46 offset1:47
	s_waitcnt lgkmcnt(1)
	v_mul_f64 v[26:27], v[134:135], v[126:127]
	v_fma_f64 v[26:27], v[132:133], v[24:25], -v[26:27]
	v_mul_f64 v[132:133], v[132:133], v[126:127]
	v_fmac_f64_e32 v[132:133], v[134:135], v[24:25]
	s_waitcnt vmcnt(6)
	v_add_f64 v[22:23], v[22:23], -v[132:133]
	ds_read2_b64 v[132:135], v128 offset0:48 offset1:49
	v_add_f64 v[20:21], v[20:21], -v[26:27]
	s_waitcnt lgkmcnt(1)
	v_mul_f64 v[26:27], v[118:119], v[126:127]
	v_fma_f64 v[26:27], v[116:117], v[24:25], -v[26:27]
	v_mul_f64 v[116:117], v[116:117], v[126:127]
	v_fmac_f64_e32 v[116:117], v[118:119], v[24:25]
	s_waitcnt vmcnt(5)
	v_add_f64 v[16:17], v[16:17], -v[26:27]
	v_add_f64 v[18:19], v[18:19], -v[116:117]
	ds_read2_b64 v[116:119], v128 offset0:50 offset1:51
	s_waitcnt lgkmcnt(1)
	v_mul_f64 v[26:27], v[134:135], v[126:127]
	v_fma_f64 v[26:27], v[132:133], v[24:25], -v[26:27]
	v_mul_f64 v[132:133], v[132:133], v[126:127]
	v_fmac_f64_e32 v[132:133], v[134:135], v[24:25]
	s_waitcnt vmcnt(4)
	v_add_f64 v[14:15], v[14:15], -v[132:133]
	ds_read2_b64 v[132:135], v128 offset0:52 offset1:53
	v_add_f64 v[12:13], v[12:13], -v[26:27]
	s_waitcnt lgkmcnt(1)
	v_mul_f64 v[26:27], v[118:119], v[126:127]
	v_fma_f64 v[26:27], v[116:117], v[24:25], -v[26:27]
	v_mul_f64 v[116:117], v[116:117], v[126:127]
	v_fmac_f64_e32 v[116:117], v[118:119], v[24:25]
	s_waitcnt vmcnt(3)
	v_add_f64 v[8:9], v[8:9], -v[26:27]
	v_add_f64 v[10:11], v[10:11], -v[116:117]
	;; [unrolled: 18-line block ×3, first 2 shown]
	s_waitcnt lgkmcnt(0)
	v_mul_f64 v[26:27], v[134:135], v[126:127]
	v_mul_f64 v[116:117], v[132:133], v[126:127]
	v_fma_f64 v[26:27], v[132:133], v[24:25], -v[26:27]
	v_fmac_f64_e32 v[116:117], v[134:135], v[24:25]
	s_waitcnt vmcnt(0)
	v_add_f64 v[112:113], v[112:113], -v[26:27]
	v_add_f64 v[114:115], v[114:115], -v[116:117]
	v_mov_b64_e32 v[26:27], v[126:127]
.LBB56_461:
	s_or_b64 exec, exec, s[0:1]
	v_lshl_add_u32 v116, v129, 4, v128
	s_barrier
	s_waitcnt vmcnt(6)
	ds_write2_b64 v116, v[20:21], v[22:23] offset1:1
	s_waitcnt lgkmcnt(0)
	s_barrier
	ds_read2_b64 v[116:119], v128 offset0:44 offset1:45
	s_cmp_lt_i32 s20, 24
	v_mov_b32_e32 v126, 22
	s_cbranch_scc1 .LBB56_464
; %bb.462:
	v_add_u32_e32 v127, 0x170, v128
	s_mov_b32 s16, 23
	v_mov_b32_e32 v126, 22
.LBB56_463:                             ; =>This Inner Loop Header: Depth=1
	ds_read2_b64 v[132:135], v127 offset1:1
	s_waitcnt lgkmcnt(1)
	v_xor_b32_e32 v137, 0x80000000, v117
	v_xor_b32_e32 v139, 0x80000000, v119
	v_cmp_gt_f64_e32 vcc, 0, v[118:119]
	v_cmp_gt_f64_e64 s[0:1], 0, v[116:117]
	v_mov_b32_e32 v136, v116
	v_mov_b32_e32 v138, v118
	v_cndmask_b32_e64 v137, v117, v137, s[0:1]
	v_cndmask_b32_e32 v139, v119, v139, vcc
	v_add_f64 v[136:137], v[136:137], v[138:139]
	s_waitcnt lgkmcnt(0)
	v_xor_b32_e32 v139, 0x80000000, v133
	v_xor_b32_e32 v141, 0x80000000, v135
	v_cmp_gt_f64_e32 vcc, 0, v[134:135]
	v_cmp_gt_f64_e64 s[0:1], 0, v[132:133]
	v_mov_b32_e32 v138, v132
	v_mov_b32_e32 v140, v134
	v_cndmask_b32_e64 v139, v133, v139, s[0:1]
	v_cndmask_b32_e32 v141, v135, v141, vcc
	v_add_f64 v[138:139], v[138:139], v[140:141]
	v_mov_b32_e32 v142, s16
	s_add_i32 s16, s16, 1
	v_cmp_lt_f64_e32 vcc, v[136:137], v[138:139]
	v_add_u32_e32 v127, 16, v127
	s_cmp_lg_u32 s20, s16
	v_cndmask_b32_e32 v117, v117, v133, vcc
	v_cndmask_b32_e32 v116, v116, v132, vcc
	;; [unrolled: 1-line block ×5, first 2 shown]
	s_cbranch_scc1 .LBB56_463
.LBB56_464:
	s_waitcnt lgkmcnt(0)
	v_cmp_eq_f64_e32 vcc, 0, v[116:117]
	v_cmp_eq_f64_e64 s[0:1], 0, v[118:119]
	s_and_b64 s[0:1], vcc, s[0:1]
	s_and_saveexec_b64 s[16:17], s[0:1]
	s_xor_b64 s[0:1], exec, s[16:17]
; %bb.465:
	v_cmp_ne_u32_e32 vcc, 0, v130
	s_nop 1
	v_cndmask_b32_e32 v130, 23, v130, vcc
; %bb.466:
	s_andn2_saveexec_b64 s[0:1], s[0:1]
	s_cbranch_execz .LBB56_472
; %bb.467:
	v_cmp_ngt_f64_e64 s[16:17], |v[116:117]|, |v[118:119]|
	s_and_saveexec_b64 s[18:19], s[16:17]
	s_xor_b64 s[16:17], exec, s[18:19]
	s_cbranch_execz .LBB56_469
; %bb.468:
	v_div_scale_f64 v[132:133], s[18:19], v[118:119], v[118:119], v[116:117]
	v_rcp_f64_e32 v[134:135], v[132:133]
	v_div_scale_f64 v[136:137], vcc, v[116:117], v[118:119], v[116:117]
	v_fma_f64 v[138:139], -v[132:133], v[134:135], 1.0
	v_fmac_f64_e32 v[134:135], v[134:135], v[138:139]
	v_fma_f64 v[138:139], -v[132:133], v[134:135], 1.0
	v_fmac_f64_e32 v[134:135], v[134:135], v[138:139]
	v_mul_f64 v[138:139], v[136:137], v[134:135]
	v_fma_f64 v[132:133], -v[132:133], v[138:139], v[136:137]
	v_div_fmas_f64 v[132:133], v[132:133], v[134:135], v[138:139]
	v_div_fixup_f64 v[132:133], v[132:133], v[118:119], v[116:117]
	v_fmac_f64_e32 v[118:119], v[116:117], v[132:133]
	v_div_scale_f64 v[116:117], s[18:19], v[118:119], v[118:119], 1.0
	v_rcp_f64_e32 v[134:135], v[116:117]
	s_nop 0
	v_fma_f64 v[136:137], -v[116:117], v[134:135], 1.0
	v_fmac_f64_e32 v[134:135], v[134:135], v[136:137]
	v_fma_f64 v[136:137], -v[116:117], v[134:135], 1.0
	v_fmac_f64_e32 v[134:135], v[134:135], v[136:137]
	v_div_scale_f64 v[136:137], vcc, 1.0, v[118:119], 1.0
	v_mul_f64 v[138:139], v[136:137], v[134:135]
	v_fma_f64 v[116:117], -v[116:117], v[138:139], v[136:137]
	s_nop 1
	v_div_fmas_f64 v[116:117], v[116:117], v[134:135], v[138:139]
	v_div_fixup_f64 v[118:119], v[116:117], v[118:119], 1.0
	v_mul_f64 v[116:117], v[132:133], v[118:119]
	v_xor_b32_e32 v119, 0x80000000, v119
.LBB56_469:
	s_andn2_saveexec_b64 s[16:17], s[16:17]
	s_cbranch_execz .LBB56_471
; %bb.470:
	v_div_scale_f64 v[132:133], s[18:19], v[116:117], v[116:117], v[118:119]
	v_rcp_f64_e32 v[134:135], v[132:133]
	v_div_scale_f64 v[136:137], vcc, v[118:119], v[116:117], v[118:119]
	v_fma_f64 v[138:139], -v[132:133], v[134:135], 1.0
	v_fmac_f64_e32 v[134:135], v[134:135], v[138:139]
	v_fma_f64 v[138:139], -v[132:133], v[134:135], 1.0
	v_fmac_f64_e32 v[134:135], v[134:135], v[138:139]
	v_mul_f64 v[138:139], v[136:137], v[134:135]
	v_fma_f64 v[132:133], -v[132:133], v[138:139], v[136:137]
	v_div_fmas_f64 v[132:133], v[132:133], v[134:135], v[138:139]
	v_div_fixup_f64 v[132:133], v[132:133], v[116:117], v[118:119]
	v_fmac_f64_e32 v[116:117], v[118:119], v[132:133]
	v_div_scale_f64 v[118:119], s[18:19], v[116:117], v[116:117], 1.0
	v_rcp_f64_e32 v[134:135], v[118:119]
	s_nop 0
	v_fma_f64 v[136:137], -v[118:119], v[134:135], 1.0
	v_fmac_f64_e32 v[134:135], v[134:135], v[136:137]
	v_fma_f64 v[136:137], -v[118:119], v[134:135], 1.0
	v_fmac_f64_e32 v[134:135], v[134:135], v[136:137]
	v_div_scale_f64 v[136:137], vcc, 1.0, v[116:117], 1.0
	v_mul_f64 v[138:139], v[136:137], v[134:135]
	v_fma_f64 v[118:119], -v[118:119], v[138:139], v[136:137]
	s_nop 1
	v_div_fmas_f64 v[118:119], v[118:119], v[134:135], v[138:139]
	v_div_fixup_f64 v[116:117], v[118:119], v[116:117], 1.0
	v_mul_f64 v[118:119], v[132:133], -v[116:117]
.LBB56_471:
	s_or_b64 exec, exec, s[16:17]
.LBB56_472:
	s_or_b64 exec, exec, s[0:1]
	v_cmp_ne_u32_e32 vcc, v129, v126
	s_and_saveexec_b64 s[0:1], vcc
	s_xor_b64 s[0:1], exec, s[0:1]
	s_cbranch_execz .LBB56_478
; %bb.473:
	v_cmp_eq_u32_e32 vcc, 22, v129
	s_and_saveexec_b64 s[16:17], vcc
	s_cbranch_execz .LBB56_477
; %bb.474:
	v_cmp_ne_u32_e32 vcc, 22, v126
	s_xor_b64 s[18:19], s[14:15], -1
	s_and_b64 s[22:23], s[18:19], vcc
	s_and_saveexec_b64 s[18:19], s[22:23]
	s_cbranch_execz .LBB56_476
; %bb.475:
	v_ashrrev_i32_e32 v127, 31, v126
	v_lshl_add_u64 v[132:133], v[126:127], 2, v[124:125]
	global_load_dword v127, v[132:133], off
	global_load_dword v129, v[124:125], off offset:88
	s_waitcnt vmcnt(1)
	global_store_dword v[124:125], v127, off offset:88
	s_waitcnt vmcnt(1)
	global_store_dword v[132:133], v129, off
.LBB56_476:
	s_or_b64 exec, exec, s[18:19]
	v_mov_b32_e32 v129, v126
	v_mov_b32_e32 v131, v126
.LBB56_477:
	s_or_b64 exec, exec, s[16:17]
.LBB56_478:
	s_andn2_saveexec_b64 s[0:1], s[0:1]
	s_cbranch_execz .LBB56_480
; %bb.479:
	v_mov_b32_e32 v129, 22
	s_waitcnt vmcnt(5)
	ds_write2_b64 v128, v[16:17], v[18:19] offset0:46 offset1:47
	s_waitcnt vmcnt(4)
	ds_write2_b64 v128, v[12:13], v[14:15] offset0:48 offset1:49
	;; [unrolled: 2-line block ×6, first 2 shown]
.LBB56_480:
	s_or_b64 exec, exec, s[0:1]
	v_cmp_lt_i32_e32 vcc, 22, v129
	s_waitcnt lgkmcnt(0)
	s_barrier
	s_and_saveexec_b64 s[0:1], vcc
	s_cbranch_execz .LBB56_482
; %bb.481:
	ds_read2_b64 v[132:135], v128 offset0:46 offset1:47
	v_mul_f64 v[126:127], v[116:117], v[22:23]
	v_mul_f64 v[22:23], v[118:119], v[22:23]
	v_fmac_f64_e32 v[126:127], v[118:119], v[20:21]
	v_fma_f64 v[20:21], v[116:117], v[20:21], -v[22:23]
	ds_read2_b64 v[116:119], v128 offset0:48 offset1:49
	s_waitcnt lgkmcnt(1)
	v_mul_f64 v[22:23], v[134:135], v[126:127]
	v_fma_f64 v[22:23], v[132:133], v[20:21], -v[22:23]
	v_mul_f64 v[132:133], v[132:133], v[126:127]
	v_fmac_f64_e32 v[132:133], v[134:135], v[20:21]
	s_waitcnt vmcnt(5)
	v_add_f64 v[16:17], v[16:17], -v[22:23]
	s_waitcnt lgkmcnt(0)
	v_mul_f64 v[22:23], v[118:119], v[126:127]
	v_add_f64 v[18:19], v[18:19], -v[132:133]
	v_fma_f64 v[22:23], v[116:117], v[20:21], -v[22:23]
	v_mul_f64 v[116:117], v[116:117], v[126:127]
	ds_read2_b64 v[132:135], v128 offset0:50 offset1:51
	v_fmac_f64_e32 v[116:117], v[118:119], v[20:21]
	s_waitcnt vmcnt(4)
	v_add_f64 v[14:15], v[14:15], -v[116:117]
	ds_read2_b64 v[116:119], v128 offset0:52 offset1:53
	v_add_f64 v[12:13], v[12:13], -v[22:23]
	s_waitcnt lgkmcnt(1)
	v_mul_f64 v[22:23], v[134:135], v[126:127]
	v_fma_f64 v[22:23], v[132:133], v[20:21], -v[22:23]
	v_mul_f64 v[132:133], v[132:133], v[126:127]
	v_fmac_f64_e32 v[132:133], v[134:135], v[20:21]
	s_waitcnt vmcnt(3)
	v_add_f64 v[8:9], v[8:9], -v[22:23]
	s_waitcnt lgkmcnt(0)
	v_mul_f64 v[22:23], v[118:119], v[126:127]
	v_add_f64 v[10:11], v[10:11], -v[132:133]
	v_fma_f64 v[22:23], v[116:117], v[20:21], -v[22:23]
	v_mul_f64 v[116:117], v[116:117], v[126:127]
	ds_read2_b64 v[132:135], v128 offset0:54 offset1:55
	v_fmac_f64_e32 v[116:117], v[118:119], v[20:21]
	s_waitcnt vmcnt(2)
	v_add_f64 v[6:7], v[6:7], -v[116:117]
	ds_read2_b64 v[116:119], v128 offset0:56 offset1:57
	v_add_f64 v[4:5], v[4:5], -v[22:23]
	s_waitcnt lgkmcnt(1)
	v_mul_f64 v[22:23], v[134:135], v[126:127]
	v_fma_f64 v[22:23], v[132:133], v[20:21], -v[22:23]
	s_waitcnt vmcnt(1)
	v_add_f64 v[0:1], v[0:1], -v[22:23]
	s_waitcnt lgkmcnt(0)
	v_mul_f64 v[22:23], v[118:119], v[126:127]
	v_mul_f64 v[132:133], v[132:133], v[126:127]
	v_fma_f64 v[22:23], v[116:117], v[20:21], -v[22:23]
	v_mul_f64 v[116:117], v[116:117], v[126:127]
	v_fmac_f64_e32 v[132:133], v[134:135], v[20:21]
	v_fmac_f64_e32 v[116:117], v[118:119], v[20:21]
	v_add_f64 v[2:3], v[2:3], -v[132:133]
	s_waitcnt vmcnt(0)
	v_add_f64 v[112:113], v[112:113], -v[22:23]
	v_add_f64 v[114:115], v[114:115], -v[116:117]
	v_mov_b64_e32 v[22:23], v[126:127]
.LBB56_482:
	s_or_b64 exec, exec, s[0:1]
	v_lshl_add_u32 v116, v129, 4, v128
	s_barrier
	s_waitcnt vmcnt(5)
	ds_write2_b64 v116, v[16:17], v[18:19] offset1:1
	s_waitcnt lgkmcnt(0)
	s_barrier
	ds_read2_b64 v[116:119], v128 offset0:46 offset1:47
	s_cmp_lt_i32 s20, 25
	v_mov_b32_e32 v126, 23
	s_cbranch_scc1 .LBB56_485
; %bb.483:
	v_add_u32_e32 v127, 0x180, v128
	s_mov_b32 s16, 24
	v_mov_b32_e32 v126, 23
.LBB56_484:                             ; =>This Inner Loop Header: Depth=1
	ds_read2_b64 v[132:135], v127 offset1:1
	s_waitcnt lgkmcnt(1)
	v_xor_b32_e32 v137, 0x80000000, v117
	v_xor_b32_e32 v139, 0x80000000, v119
	v_cmp_gt_f64_e32 vcc, 0, v[118:119]
	v_cmp_gt_f64_e64 s[0:1], 0, v[116:117]
	v_mov_b32_e32 v136, v116
	v_mov_b32_e32 v138, v118
	v_cndmask_b32_e64 v137, v117, v137, s[0:1]
	v_cndmask_b32_e32 v139, v119, v139, vcc
	v_add_f64 v[136:137], v[136:137], v[138:139]
	s_waitcnt lgkmcnt(0)
	v_xor_b32_e32 v139, 0x80000000, v133
	v_xor_b32_e32 v141, 0x80000000, v135
	v_cmp_gt_f64_e32 vcc, 0, v[134:135]
	v_cmp_gt_f64_e64 s[0:1], 0, v[132:133]
	v_mov_b32_e32 v138, v132
	v_mov_b32_e32 v140, v134
	v_cndmask_b32_e64 v139, v133, v139, s[0:1]
	v_cndmask_b32_e32 v141, v135, v141, vcc
	v_add_f64 v[138:139], v[138:139], v[140:141]
	v_mov_b32_e32 v142, s16
	s_add_i32 s16, s16, 1
	v_cmp_lt_f64_e32 vcc, v[136:137], v[138:139]
	v_add_u32_e32 v127, 16, v127
	s_cmp_lg_u32 s20, s16
	v_cndmask_b32_e32 v117, v117, v133, vcc
	v_cndmask_b32_e32 v116, v116, v132, vcc
	;; [unrolled: 1-line block ×5, first 2 shown]
	s_cbranch_scc1 .LBB56_484
.LBB56_485:
	s_waitcnt lgkmcnt(0)
	v_cmp_eq_f64_e32 vcc, 0, v[116:117]
	v_cmp_eq_f64_e64 s[0:1], 0, v[118:119]
	s_and_b64 s[0:1], vcc, s[0:1]
	s_and_saveexec_b64 s[16:17], s[0:1]
	s_xor_b64 s[0:1], exec, s[16:17]
; %bb.486:
	v_cmp_ne_u32_e32 vcc, 0, v130
	s_nop 1
	v_cndmask_b32_e32 v130, 24, v130, vcc
; %bb.487:
	s_andn2_saveexec_b64 s[0:1], s[0:1]
	s_cbranch_execz .LBB56_493
; %bb.488:
	v_cmp_ngt_f64_e64 s[16:17], |v[116:117]|, |v[118:119]|
	s_and_saveexec_b64 s[18:19], s[16:17]
	s_xor_b64 s[16:17], exec, s[18:19]
	s_cbranch_execz .LBB56_490
; %bb.489:
	v_div_scale_f64 v[132:133], s[18:19], v[118:119], v[118:119], v[116:117]
	v_rcp_f64_e32 v[134:135], v[132:133]
	v_div_scale_f64 v[136:137], vcc, v[116:117], v[118:119], v[116:117]
	v_fma_f64 v[138:139], -v[132:133], v[134:135], 1.0
	v_fmac_f64_e32 v[134:135], v[134:135], v[138:139]
	v_fma_f64 v[138:139], -v[132:133], v[134:135], 1.0
	v_fmac_f64_e32 v[134:135], v[134:135], v[138:139]
	v_mul_f64 v[138:139], v[136:137], v[134:135]
	v_fma_f64 v[132:133], -v[132:133], v[138:139], v[136:137]
	v_div_fmas_f64 v[132:133], v[132:133], v[134:135], v[138:139]
	v_div_fixup_f64 v[132:133], v[132:133], v[118:119], v[116:117]
	v_fmac_f64_e32 v[118:119], v[116:117], v[132:133]
	v_div_scale_f64 v[116:117], s[18:19], v[118:119], v[118:119], 1.0
	v_rcp_f64_e32 v[134:135], v[116:117]
	s_nop 0
	v_fma_f64 v[136:137], -v[116:117], v[134:135], 1.0
	v_fmac_f64_e32 v[134:135], v[134:135], v[136:137]
	v_fma_f64 v[136:137], -v[116:117], v[134:135], 1.0
	v_fmac_f64_e32 v[134:135], v[134:135], v[136:137]
	v_div_scale_f64 v[136:137], vcc, 1.0, v[118:119], 1.0
	v_mul_f64 v[138:139], v[136:137], v[134:135]
	v_fma_f64 v[116:117], -v[116:117], v[138:139], v[136:137]
	s_nop 1
	v_div_fmas_f64 v[116:117], v[116:117], v[134:135], v[138:139]
	v_div_fixup_f64 v[118:119], v[116:117], v[118:119], 1.0
	v_mul_f64 v[116:117], v[132:133], v[118:119]
	v_xor_b32_e32 v119, 0x80000000, v119
.LBB56_490:
	s_andn2_saveexec_b64 s[16:17], s[16:17]
	s_cbranch_execz .LBB56_492
; %bb.491:
	v_div_scale_f64 v[132:133], s[18:19], v[116:117], v[116:117], v[118:119]
	v_rcp_f64_e32 v[134:135], v[132:133]
	v_div_scale_f64 v[136:137], vcc, v[118:119], v[116:117], v[118:119]
	v_fma_f64 v[138:139], -v[132:133], v[134:135], 1.0
	v_fmac_f64_e32 v[134:135], v[134:135], v[138:139]
	v_fma_f64 v[138:139], -v[132:133], v[134:135], 1.0
	v_fmac_f64_e32 v[134:135], v[134:135], v[138:139]
	v_mul_f64 v[138:139], v[136:137], v[134:135]
	v_fma_f64 v[132:133], -v[132:133], v[138:139], v[136:137]
	v_div_fmas_f64 v[132:133], v[132:133], v[134:135], v[138:139]
	v_div_fixup_f64 v[132:133], v[132:133], v[116:117], v[118:119]
	v_fmac_f64_e32 v[116:117], v[118:119], v[132:133]
	v_div_scale_f64 v[118:119], s[18:19], v[116:117], v[116:117], 1.0
	v_rcp_f64_e32 v[134:135], v[118:119]
	s_nop 0
	v_fma_f64 v[136:137], -v[118:119], v[134:135], 1.0
	v_fmac_f64_e32 v[134:135], v[134:135], v[136:137]
	v_fma_f64 v[136:137], -v[118:119], v[134:135], 1.0
	v_fmac_f64_e32 v[134:135], v[134:135], v[136:137]
	v_div_scale_f64 v[136:137], vcc, 1.0, v[116:117], 1.0
	v_mul_f64 v[138:139], v[136:137], v[134:135]
	v_fma_f64 v[118:119], -v[118:119], v[138:139], v[136:137]
	s_nop 1
	v_div_fmas_f64 v[118:119], v[118:119], v[134:135], v[138:139]
	v_div_fixup_f64 v[116:117], v[118:119], v[116:117], 1.0
	v_mul_f64 v[118:119], v[132:133], -v[116:117]
.LBB56_492:
	s_or_b64 exec, exec, s[16:17]
.LBB56_493:
	s_or_b64 exec, exec, s[0:1]
	v_cmp_ne_u32_e32 vcc, v129, v126
	s_and_saveexec_b64 s[0:1], vcc
	s_xor_b64 s[0:1], exec, s[0:1]
	s_cbranch_execz .LBB56_499
; %bb.494:
	v_cmp_eq_u32_e32 vcc, 23, v129
	s_and_saveexec_b64 s[16:17], vcc
	s_cbranch_execz .LBB56_498
; %bb.495:
	v_cmp_ne_u32_e32 vcc, 23, v126
	s_xor_b64 s[18:19], s[14:15], -1
	s_and_b64 s[22:23], s[18:19], vcc
	s_and_saveexec_b64 s[18:19], s[22:23]
	s_cbranch_execz .LBB56_497
; %bb.496:
	v_ashrrev_i32_e32 v127, 31, v126
	v_lshl_add_u64 v[132:133], v[126:127], 2, v[124:125]
	global_load_dword v127, v[132:133], off
	global_load_dword v129, v[124:125], off offset:92
	s_waitcnt vmcnt(1)
	global_store_dword v[124:125], v127, off offset:92
	s_waitcnt vmcnt(1)
	global_store_dword v[132:133], v129, off
.LBB56_497:
	s_or_b64 exec, exec, s[18:19]
	v_mov_b32_e32 v129, v126
	v_mov_b32_e32 v131, v126
.LBB56_498:
	s_or_b64 exec, exec, s[16:17]
.LBB56_499:
	s_andn2_saveexec_b64 s[0:1], s[0:1]
	s_cbranch_execz .LBB56_501
; %bb.500:
	v_mov_b32_e32 v129, 23
	s_waitcnt vmcnt(4)
	ds_write2_b64 v128, v[12:13], v[14:15] offset0:48 offset1:49
	s_waitcnt vmcnt(3)
	ds_write2_b64 v128, v[8:9], v[10:11] offset0:50 offset1:51
	;; [unrolled: 2-line block ×5, first 2 shown]
.LBB56_501:
	s_or_b64 exec, exec, s[0:1]
	v_cmp_lt_i32_e32 vcc, 23, v129
	s_waitcnt lgkmcnt(0)
	s_barrier
	s_and_saveexec_b64 s[0:1], vcc
	s_cbranch_execz .LBB56_503
; %bb.502:
	ds_read2_b64 v[132:135], v128 offset0:48 offset1:49
	v_mul_f64 v[126:127], v[116:117], v[18:19]
	v_fmac_f64_e32 v[126:127], v[118:119], v[16:17]
	v_mul_f64 v[18:19], v[118:119], v[18:19]
	v_fma_f64 v[16:17], v[116:117], v[16:17], -v[18:19]
	ds_read2_b64 v[116:119], v128 offset0:50 offset1:51
	s_waitcnt lgkmcnt(1)
	v_mul_f64 v[18:19], v[134:135], v[126:127]
	v_fma_f64 v[18:19], v[132:133], v[16:17], -v[18:19]
	v_mul_f64 v[132:133], v[132:133], v[126:127]
	v_fmac_f64_e32 v[132:133], v[134:135], v[16:17]
	s_waitcnt vmcnt(4)
	v_add_f64 v[14:15], v[14:15], -v[132:133]
	ds_read2_b64 v[132:135], v128 offset0:52 offset1:53
	v_add_f64 v[12:13], v[12:13], -v[18:19]
	s_waitcnt lgkmcnt(1)
	v_mul_f64 v[18:19], v[118:119], v[126:127]
	v_fma_f64 v[18:19], v[116:117], v[16:17], -v[18:19]
	v_mul_f64 v[116:117], v[116:117], v[126:127]
	v_fmac_f64_e32 v[116:117], v[118:119], v[16:17]
	s_waitcnt vmcnt(3)
	v_add_f64 v[8:9], v[8:9], -v[18:19]
	v_add_f64 v[10:11], v[10:11], -v[116:117]
	ds_read2_b64 v[116:119], v128 offset0:54 offset1:55
	s_waitcnt lgkmcnt(1)
	v_mul_f64 v[18:19], v[134:135], v[126:127]
	v_fma_f64 v[18:19], v[132:133], v[16:17], -v[18:19]
	v_mul_f64 v[132:133], v[132:133], v[126:127]
	v_fmac_f64_e32 v[132:133], v[134:135], v[16:17]
	s_waitcnt vmcnt(2)
	v_add_f64 v[6:7], v[6:7], -v[132:133]
	ds_read2_b64 v[132:135], v128 offset0:56 offset1:57
	v_add_f64 v[4:5], v[4:5], -v[18:19]
	s_waitcnt lgkmcnt(1)
	v_mul_f64 v[18:19], v[118:119], v[126:127]
	v_fma_f64 v[18:19], v[116:117], v[16:17], -v[18:19]
	v_mul_f64 v[116:117], v[116:117], v[126:127]
	v_fmac_f64_e32 v[116:117], v[118:119], v[16:17]
	s_waitcnt vmcnt(1)
	v_add_f64 v[0:1], v[0:1], -v[18:19]
	v_add_f64 v[2:3], v[2:3], -v[116:117]
	s_waitcnt lgkmcnt(0)
	v_mul_f64 v[18:19], v[134:135], v[126:127]
	v_mul_f64 v[116:117], v[132:133], v[126:127]
	v_fma_f64 v[18:19], v[132:133], v[16:17], -v[18:19]
	v_fmac_f64_e32 v[116:117], v[134:135], v[16:17]
	s_waitcnt vmcnt(0)
	v_add_f64 v[112:113], v[112:113], -v[18:19]
	v_add_f64 v[114:115], v[114:115], -v[116:117]
	v_mov_b64_e32 v[18:19], v[126:127]
.LBB56_503:
	s_or_b64 exec, exec, s[0:1]
	v_lshl_add_u32 v116, v129, 4, v128
	s_barrier
	s_waitcnt vmcnt(4)
	ds_write2_b64 v116, v[12:13], v[14:15] offset1:1
	s_waitcnt lgkmcnt(0)
	s_barrier
	ds_read2_b64 v[116:119], v128 offset0:48 offset1:49
	s_cmp_lt_i32 s20, 26
	v_mov_b32_e32 v126, 24
	s_cbranch_scc1 .LBB56_506
; %bb.504:
	v_add_u32_e32 v127, 0x190, v128
	s_mov_b32 s16, 25
	v_mov_b32_e32 v126, 24
.LBB56_505:                             ; =>This Inner Loop Header: Depth=1
	ds_read2_b64 v[132:135], v127 offset1:1
	s_waitcnt lgkmcnt(1)
	v_xor_b32_e32 v137, 0x80000000, v117
	v_xor_b32_e32 v139, 0x80000000, v119
	v_cmp_gt_f64_e32 vcc, 0, v[118:119]
	v_cmp_gt_f64_e64 s[0:1], 0, v[116:117]
	v_mov_b32_e32 v136, v116
	v_mov_b32_e32 v138, v118
	v_cndmask_b32_e64 v137, v117, v137, s[0:1]
	v_cndmask_b32_e32 v139, v119, v139, vcc
	v_add_f64 v[136:137], v[136:137], v[138:139]
	s_waitcnt lgkmcnt(0)
	v_xor_b32_e32 v139, 0x80000000, v133
	v_xor_b32_e32 v141, 0x80000000, v135
	v_cmp_gt_f64_e32 vcc, 0, v[134:135]
	v_cmp_gt_f64_e64 s[0:1], 0, v[132:133]
	v_mov_b32_e32 v138, v132
	v_mov_b32_e32 v140, v134
	v_cndmask_b32_e64 v139, v133, v139, s[0:1]
	v_cndmask_b32_e32 v141, v135, v141, vcc
	v_add_f64 v[138:139], v[138:139], v[140:141]
	v_mov_b32_e32 v142, s16
	s_add_i32 s16, s16, 1
	v_cmp_lt_f64_e32 vcc, v[136:137], v[138:139]
	v_add_u32_e32 v127, 16, v127
	s_cmp_lg_u32 s20, s16
	v_cndmask_b32_e32 v117, v117, v133, vcc
	v_cndmask_b32_e32 v116, v116, v132, vcc
	;; [unrolled: 1-line block ×5, first 2 shown]
	s_cbranch_scc1 .LBB56_505
.LBB56_506:
	s_waitcnt lgkmcnt(0)
	v_cmp_eq_f64_e32 vcc, 0, v[116:117]
	v_cmp_eq_f64_e64 s[0:1], 0, v[118:119]
	s_and_b64 s[0:1], vcc, s[0:1]
	s_and_saveexec_b64 s[16:17], s[0:1]
	s_xor_b64 s[0:1], exec, s[16:17]
; %bb.507:
	v_cmp_ne_u32_e32 vcc, 0, v130
	s_nop 1
	v_cndmask_b32_e32 v130, 25, v130, vcc
; %bb.508:
	s_andn2_saveexec_b64 s[0:1], s[0:1]
	s_cbranch_execz .LBB56_514
; %bb.509:
	v_cmp_ngt_f64_e64 s[16:17], |v[116:117]|, |v[118:119]|
	s_and_saveexec_b64 s[18:19], s[16:17]
	s_xor_b64 s[16:17], exec, s[18:19]
	s_cbranch_execz .LBB56_511
; %bb.510:
	v_div_scale_f64 v[132:133], s[18:19], v[118:119], v[118:119], v[116:117]
	v_rcp_f64_e32 v[134:135], v[132:133]
	v_div_scale_f64 v[136:137], vcc, v[116:117], v[118:119], v[116:117]
	v_fma_f64 v[138:139], -v[132:133], v[134:135], 1.0
	v_fmac_f64_e32 v[134:135], v[134:135], v[138:139]
	v_fma_f64 v[138:139], -v[132:133], v[134:135], 1.0
	v_fmac_f64_e32 v[134:135], v[134:135], v[138:139]
	v_mul_f64 v[138:139], v[136:137], v[134:135]
	v_fma_f64 v[132:133], -v[132:133], v[138:139], v[136:137]
	v_div_fmas_f64 v[132:133], v[132:133], v[134:135], v[138:139]
	v_div_fixup_f64 v[132:133], v[132:133], v[118:119], v[116:117]
	v_fmac_f64_e32 v[118:119], v[116:117], v[132:133]
	v_div_scale_f64 v[116:117], s[18:19], v[118:119], v[118:119], 1.0
	v_rcp_f64_e32 v[134:135], v[116:117]
	s_nop 0
	v_fma_f64 v[136:137], -v[116:117], v[134:135], 1.0
	v_fmac_f64_e32 v[134:135], v[134:135], v[136:137]
	v_fma_f64 v[136:137], -v[116:117], v[134:135], 1.0
	v_fmac_f64_e32 v[134:135], v[134:135], v[136:137]
	v_div_scale_f64 v[136:137], vcc, 1.0, v[118:119], 1.0
	v_mul_f64 v[138:139], v[136:137], v[134:135]
	v_fma_f64 v[116:117], -v[116:117], v[138:139], v[136:137]
	s_nop 1
	v_div_fmas_f64 v[116:117], v[116:117], v[134:135], v[138:139]
	v_div_fixup_f64 v[118:119], v[116:117], v[118:119], 1.0
	v_mul_f64 v[116:117], v[132:133], v[118:119]
	v_xor_b32_e32 v119, 0x80000000, v119
.LBB56_511:
	s_andn2_saveexec_b64 s[16:17], s[16:17]
	s_cbranch_execz .LBB56_513
; %bb.512:
	v_div_scale_f64 v[132:133], s[18:19], v[116:117], v[116:117], v[118:119]
	v_rcp_f64_e32 v[134:135], v[132:133]
	v_div_scale_f64 v[136:137], vcc, v[118:119], v[116:117], v[118:119]
	v_fma_f64 v[138:139], -v[132:133], v[134:135], 1.0
	v_fmac_f64_e32 v[134:135], v[134:135], v[138:139]
	v_fma_f64 v[138:139], -v[132:133], v[134:135], 1.0
	v_fmac_f64_e32 v[134:135], v[134:135], v[138:139]
	v_mul_f64 v[138:139], v[136:137], v[134:135]
	v_fma_f64 v[132:133], -v[132:133], v[138:139], v[136:137]
	v_div_fmas_f64 v[132:133], v[132:133], v[134:135], v[138:139]
	v_div_fixup_f64 v[132:133], v[132:133], v[116:117], v[118:119]
	v_fmac_f64_e32 v[116:117], v[118:119], v[132:133]
	v_div_scale_f64 v[118:119], s[18:19], v[116:117], v[116:117], 1.0
	v_rcp_f64_e32 v[134:135], v[118:119]
	s_nop 0
	v_fma_f64 v[136:137], -v[118:119], v[134:135], 1.0
	v_fmac_f64_e32 v[134:135], v[134:135], v[136:137]
	v_fma_f64 v[136:137], -v[118:119], v[134:135], 1.0
	v_fmac_f64_e32 v[134:135], v[134:135], v[136:137]
	v_div_scale_f64 v[136:137], vcc, 1.0, v[116:117], 1.0
	v_mul_f64 v[138:139], v[136:137], v[134:135]
	v_fma_f64 v[118:119], -v[118:119], v[138:139], v[136:137]
	s_nop 1
	v_div_fmas_f64 v[118:119], v[118:119], v[134:135], v[138:139]
	v_div_fixup_f64 v[116:117], v[118:119], v[116:117], 1.0
	v_mul_f64 v[118:119], v[132:133], -v[116:117]
.LBB56_513:
	s_or_b64 exec, exec, s[16:17]
.LBB56_514:
	s_or_b64 exec, exec, s[0:1]
	v_cmp_ne_u32_e32 vcc, v129, v126
	s_and_saveexec_b64 s[0:1], vcc
	s_xor_b64 s[0:1], exec, s[0:1]
	s_cbranch_execz .LBB56_520
; %bb.515:
	v_cmp_eq_u32_e32 vcc, 24, v129
	s_and_saveexec_b64 s[16:17], vcc
	s_cbranch_execz .LBB56_519
; %bb.516:
	v_cmp_ne_u32_e32 vcc, 24, v126
	s_xor_b64 s[18:19], s[14:15], -1
	s_and_b64 s[22:23], s[18:19], vcc
	s_and_saveexec_b64 s[18:19], s[22:23]
	s_cbranch_execz .LBB56_518
; %bb.517:
	v_ashrrev_i32_e32 v127, 31, v126
	v_lshl_add_u64 v[132:133], v[126:127], 2, v[124:125]
	global_load_dword v127, v[132:133], off
	global_load_dword v129, v[124:125], off offset:96
	s_waitcnt vmcnt(1)
	global_store_dword v[124:125], v127, off offset:96
	s_waitcnt vmcnt(1)
	global_store_dword v[132:133], v129, off
.LBB56_518:
	s_or_b64 exec, exec, s[18:19]
	v_mov_b32_e32 v129, v126
	v_mov_b32_e32 v131, v126
.LBB56_519:
	s_or_b64 exec, exec, s[16:17]
.LBB56_520:
	s_andn2_saveexec_b64 s[0:1], s[0:1]
	s_cbranch_execz .LBB56_522
; %bb.521:
	v_mov_b32_e32 v129, 24
	s_waitcnt vmcnt(3)
	ds_write2_b64 v128, v[8:9], v[10:11] offset0:50 offset1:51
	s_waitcnt vmcnt(2)
	ds_write2_b64 v128, v[4:5], v[6:7] offset0:52 offset1:53
	;; [unrolled: 2-line block ×4, first 2 shown]
.LBB56_522:
	s_or_b64 exec, exec, s[0:1]
	v_cmp_lt_i32_e32 vcc, 24, v129
	s_waitcnt lgkmcnt(0)
	s_barrier
	s_and_saveexec_b64 s[0:1], vcc
	s_cbranch_execz .LBB56_524
; %bb.523:
	ds_read2_b64 v[132:135], v128 offset0:50 offset1:51
	v_mul_f64 v[126:127], v[116:117], v[14:15]
	v_mul_f64 v[14:15], v[118:119], v[14:15]
	v_fmac_f64_e32 v[126:127], v[118:119], v[12:13]
	v_fma_f64 v[12:13], v[116:117], v[12:13], -v[14:15]
	ds_read2_b64 v[116:119], v128 offset0:52 offset1:53
	s_waitcnt lgkmcnt(1)
	v_mul_f64 v[14:15], v[134:135], v[126:127]
	v_fma_f64 v[14:15], v[132:133], v[12:13], -v[14:15]
	v_mul_f64 v[132:133], v[132:133], v[126:127]
	v_fmac_f64_e32 v[132:133], v[134:135], v[12:13]
	s_waitcnt vmcnt(3)
	v_add_f64 v[8:9], v[8:9], -v[14:15]
	s_waitcnt lgkmcnt(0)
	v_mul_f64 v[14:15], v[118:119], v[126:127]
	v_add_f64 v[10:11], v[10:11], -v[132:133]
	v_fma_f64 v[14:15], v[116:117], v[12:13], -v[14:15]
	v_mul_f64 v[116:117], v[116:117], v[126:127]
	ds_read2_b64 v[132:135], v128 offset0:54 offset1:55
	v_fmac_f64_e32 v[116:117], v[118:119], v[12:13]
	s_waitcnt vmcnt(2)
	v_add_f64 v[6:7], v[6:7], -v[116:117]
	ds_read2_b64 v[116:119], v128 offset0:56 offset1:57
	v_add_f64 v[4:5], v[4:5], -v[14:15]
	s_waitcnt lgkmcnt(1)
	v_mul_f64 v[14:15], v[134:135], v[126:127]
	v_fma_f64 v[14:15], v[132:133], v[12:13], -v[14:15]
	s_waitcnt vmcnt(1)
	v_add_f64 v[0:1], v[0:1], -v[14:15]
	s_waitcnt lgkmcnt(0)
	v_mul_f64 v[14:15], v[118:119], v[126:127]
	v_mul_f64 v[132:133], v[132:133], v[126:127]
	v_fma_f64 v[14:15], v[116:117], v[12:13], -v[14:15]
	v_mul_f64 v[116:117], v[116:117], v[126:127]
	v_fmac_f64_e32 v[132:133], v[134:135], v[12:13]
	v_fmac_f64_e32 v[116:117], v[118:119], v[12:13]
	v_add_f64 v[2:3], v[2:3], -v[132:133]
	s_waitcnt vmcnt(0)
	v_add_f64 v[112:113], v[112:113], -v[14:15]
	v_add_f64 v[114:115], v[114:115], -v[116:117]
	v_mov_b64_e32 v[14:15], v[126:127]
.LBB56_524:
	s_or_b64 exec, exec, s[0:1]
	v_lshl_add_u32 v116, v129, 4, v128
	s_barrier
	s_waitcnt vmcnt(3)
	ds_write2_b64 v116, v[8:9], v[10:11] offset1:1
	s_waitcnt lgkmcnt(0)
	s_barrier
	ds_read2_b64 v[116:119], v128 offset0:50 offset1:51
	s_cmp_lt_i32 s20, 27
	v_mov_b32_e32 v126, 25
	s_cbranch_scc1 .LBB56_527
; %bb.525:
	v_add_u32_e32 v127, 0x1a0, v128
	s_mov_b32 s16, 26
	v_mov_b32_e32 v126, 25
.LBB56_526:                             ; =>This Inner Loop Header: Depth=1
	ds_read2_b64 v[132:135], v127 offset1:1
	s_waitcnt lgkmcnt(1)
	v_xor_b32_e32 v137, 0x80000000, v117
	v_xor_b32_e32 v139, 0x80000000, v119
	v_cmp_gt_f64_e32 vcc, 0, v[118:119]
	v_cmp_gt_f64_e64 s[0:1], 0, v[116:117]
	v_mov_b32_e32 v136, v116
	v_mov_b32_e32 v138, v118
	v_cndmask_b32_e64 v137, v117, v137, s[0:1]
	v_cndmask_b32_e32 v139, v119, v139, vcc
	v_add_f64 v[136:137], v[136:137], v[138:139]
	s_waitcnt lgkmcnt(0)
	v_xor_b32_e32 v139, 0x80000000, v133
	v_xor_b32_e32 v141, 0x80000000, v135
	v_cmp_gt_f64_e32 vcc, 0, v[134:135]
	v_cmp_gt_f64_e64 s[0:1], 0, v[132:133]
	v_mov_b32_e32 v138, v132
	v_mov_b32_e32 v140, v134
	v_cndmask_b32_e64 v139, v133, v139, s[0:1]
	v_cndmask_b32_e32 v141, v135, v141, vcc
	v_add_f64 v[138:139], v[138:139], v[140:141]
	v_mov_b32_e32 v142, s16
	s_add_i32 s16, s16, 1
	v_cmp_lt_f64_e32 vcc, v[136:137], v[138:139]
	v_add_u32_e32 v127, 16, v127
	s_cmp_lg_u32 s20, s16
	v_cndmask_b32_e32 v117, v117, v133, vcc
	v_cndmask_b32_e32 v116, v116, v132, vcc
	v_cndmask_b32_e32 v119, v119, v135, vcc
	v_cndmask_b32_e32 v118, v118, v134, vcc
	v_cndmask_b32_e32 v126, v126, v142, vcc
	s_cbranch_scc1 .LBB56_526
.LBB56_527:
	s_waitcnt lgkmcnt(0)
	v_cmp_eq_f64_e32 vcc, 0, v[116:117]
	v_cmp_eq_f64_e64 s[0:1], 0, v[118:119]
	s_and_b64 s[0:1], vcc, s[0:1]
	s_and_saveexec_b64 s[16:17], s[0:1]
	s_xor_b64 s[0:1], exec, s[16:17]
; %bb.528:
	v_cmp_ne_u32_e32 vcc, 0, v130
	s_nop 1
	v_cndmask_b32_e32 v130, 26, v130, vcc
; %bb.529:
	s_andn2_saveexec_b64 s[0:1], s[0:1]
	s_cbranch_execz .LBB56_535
; %bb.530:
	v_cmp_ngt_f64_e64 s[16:17], |v[116:117]|, |v[118:119]|
	s_and_saveexec_b64 s[18:19], s[16:17]
	s_xor_b64 s[16:17], exec, s[18:19]
	s_cbranch_execz .LBB56_532
; %bb.531:
	v_div_scale_f64 v[132:133], s[18:19], v[118:119], v[118:119], v[116:117]
	v_rcp_f64_e32 v[134:135], v[132:133]
	v_div_scale_f64 v[136:137], vcc, v[116:117], v[118:119], v[116:117]
	v_fma_f64 v[138:139], -v[132:133], v[134:135], 1.0
	v_fmac_f64_e32 v[134:135], v[134:135], v[138:139]
	v_fma_f64 v[138:139], -v[132:133], v[134:135], 1.0
	v_fmac_f64_e32 v[134:135], v[134:135], v[138:139]
	v_mul_f64 v[138:139], v[136:137], v[134:135]
	v_fma_f64 v[132:133], -v[132:133], v[138:139], v[136:137]
	v_div_fmas_f64 v[132:133], v[132:133], v[134:135], v[138:139]
	v_div_fixup_f64 v[132:133], v[132:133], v[118:119], v[116:117]
	v_fmac_f64_e32 v[118:119], v[116:117], v[132:133]
	v_div_scale_f64 v[116:117], s[18:19], v[118:119], v[118:119], 1.0
	v_rcp_f64_e32 v[134:135], v[116:117]
	s_nop 0
	v_fma_f64 v[136:137], -v[116:117], v[134:135], 1.0
	v_fmac_f64_e32 v[134:135], v[134:135], v[136:137]
	v_fma_f64 v[136:137], -v[116:117], v[134:135], 1.0
	v_fmac_f64_e32 v[134:135], v[134:135], v[136:137]
	v_div_scale_f64 v[136:137], vcc, 1.0, v[118:119], 1.0
	v_mul_f64 v[138:139], v[136:137], v[134:135]
	v_fma_f64 v[116:117], -v[116:117], v[138:139], v[136:137]
	s_nop 1
	v_div_fmas_f64 v[116:117], v[116:117], v[134:135], v[138:139]
	v_div_fixup_f64 v[118:119], v[116:117], v[118:119], 1.0
	v_mul_f64 v[116:117], v[132:133], v[118:119]
	v_xor_b32_e32 v119, 0x80000000, v119
.LBB56_532:
	s_andn2_saveexec_b64 s[16:17], s[16:17]
	s_cbranch_execz .LBB56_534
; %bb.533:
	v_div_scale_f64 v[132:133], s[18:19], v[116:117], v[116:117], v[118:119]
	v_rcp_f64_e32 v[134:135], v[132:133]
	v_div_scale_f64 v[136:137], vcc, v[118:119], v[116:117], v[118:119]
	v_fma_f64 v[138:139], -v[132:133], v[134:135], 1.0
	v_fmac_f64_e32 v[134:135], v[134:135], v[138:139]
	v_fma_f64 v[138:139], -v[132:133], v[134:135], 1.0
	v_fmac_f64_e32 v[134:135], v[134:135], v[138:139]
	v_mul_f64 v[138:139], v[136:137], v[134:135]
	v_fma_f64 v[132:133], -v[132:133], v[138:139], v[136:137]
	v_div_fmas_f64 v[132:133], v[132:133], v[134:135], v[138:139]
	v_div_fixup_f64 v[132:133], v[132:133], v[116:117], v[118:119]
	v_fmac_f64_e32 v[116:117], v[118:119], v[132:133]
	v_div_scale_f64 v[118:119], s[18:19], v[116:117], v[116:117], 1.0
	v_rcp_f64_e32 v[134:135], v[118:119]
	s_nop 0
	v_fma_f64 v[136:137], -v[118:119], v[134:135], 1.0
	v_fmac_f64_e32 v[134:135], v[134:135], v[136:137]
	v_fma_f64 v[136:137], -v[118:119], v[134:135], 1.0
	v_fmac_f64_e32 v[134:135], v[134:135], v[136:137]
	v_div_scale_f64 v[136:137], vcc, 1.0, v[116:117], 1.0
	v_mul_f64 v[138:139], v[136:137], v[134:135]
	v_fma_f64 v[118:119], -v[118:119], v[138:139], v[136:137]
	s_nop 1
	v_div_fmas_f64 v[118:119], v[118:119], v[134:135], v[138:139]
	v_div_fixup_f64 v[116:117], v[118:119], v[116:117], 1.0
	v_mul_f64 v[118:119], v[132:133], -v[116:117]
.LBB56_534:
	s_or_b64 exec, exec, s[16:17]
.LBB56_535:
	s_or_b64 exec, exec, s[0:1]
	v_cmp_ne_u32_e32 vcc, v129, v126
	s_and_saveexec_b64 s[0:1], vcc
	s_xor_b64 s[0:1], exec, s[0:1]
	s_cbranch_execz .LBB56_541
; %bb.536:
	v_cmp_eq_u32_e32 vcc, 25, v129
	s_and_saveexec_b64 s[16:17], vcc
	s_cbranch_execz .LBB56_540
; %bb.537:
	v_cmp_ne_u32_e32 vcc, 25, v126
	s_xor_b64 s[18:19], s[14:15], -1
	s_and_b64 s[22:23], s[18:19], vcc
	s_and_saveexec_b64 s[18:19], s[22:23]
	s_cbranch_execz .LBB56_539
; %bb.538:
	v_ashrrev_i32_e32 v127, 31, v126
	v_lshl_add_u64 v[132:133], v[126:127], 2, v[124:125]
	global_load_dword v127, v[132:133], off
	global_load_dword v129, v[124:125], off offset:100
	s_waitcnt vmcnt(1)
	global_store_dword v[124:125], v127, off offset:100
	s_waitcnt vmcnt(1)
	global_store_dword v[132:133], v129, off
.LBB56_539:
	s_or_b64 exec, exec, s[18:19]
	v_mov_b32_e32 v129, v126
	v_mov_b32_e32 v131, v126
.LBB56_540:
	s_or_b64 exec, exec, s[16:17]
.LBB56_541:
	s_andn2_saveexec_b64 s[0:1], s[0:1]
	s_cbranch_execz .LBB56_543
; %bb.542:
	v_mov_b32_e32 v129, 25
	s_waitcnt vmcnt(2)
	ds_write2_b64 v128, v[4:5], v[6:7] offset0:52 offset1:53
	s_waitcnt vmcnt(1)
	ds_write2_b64 v128, v[0:1], v[2:3] offset0:54 offset1:55
	;; [unrolled: 2-line block ×3, first 2 shown]
.LBB56_543:
	s_or_b64 exec, exec, s[0:1]
	v_cmp_lt_i32_e32 vcc, 25, v129
	s_waitcnt lgkmcnt(0)
	s_barrier
	s_and_saveexec_b64 s[0:1], vcc
	s_cbranch_execz .LBB56_545
; %bb.544:
	ds_read2_b64 v[132:135], v128 offset0:52 offset1:53
	v_mul_f64 v[126:127], v[116:117], v[10:11]
	v_fmac_f64_e32 v[126:127], v[118:119], v[8:9]
	v_mul_f64 v[10:11], v[118:119], v[10:11]
	v_fma_f64 v[8:9], v[116:117], v[8:9], -v[10:11]
	ds_read2_b64 v[116:119], v128 offset0:54 offset1:55
	s_waitcnt lgkmcnt(1)
	v_mul_f64 v[10:11], v[134:135], v[126:127]
	v_fma_f64 v[10:11], v[132:133], v[8:9], -v[10:11]
	v_mul_f64 v[132:133], v[132:133], v[126:127]
	v_fmac_f64_e32 v[132:133], v[134:135], v[8:9]
	s_waitcnt vmcnt(2)
	v_add_f64 v[6:7], v[6:7], -v[132:133]
	ds_read2_b64 v[132:135], v128 offset0:56 offset1:57
	v_add_f64 v[4:5], v[4:5], -v[10:11]
	s_waitcnt lgkmcnt(1)
	v_mul_f64 v[10:11], v[118:119], v[126:127]
	v_fma_f64 v[10:11], v[116:117], v[8:9], -v[10:11]
	v_mul_f64 v[116:117], v[116:117], v[126:127]
	v_fmac_f64_e32 v[116:117], v[118:119], v[8:9]
	s_waitcnt vmcnt(1)
	v_add_f64 v[0:1], v[0:1], -v[10:11]
	v_add_f64 v[2:3], v[2:3], -v[116:117]
	s_waitcnt lgkmcnt(0)
	v_mul_f64 v[10:11], v[134:135], v[126:127]
	v_mul_f64 v[116:117], v[132:133], v[126:127]
	v_fma_f64 v[10:11], v[132:133], v[8:9], -v[10:11]
	v_fmac_f64_e32 v[116:117], v[134:135], v[8:9]
	s_waitcnt vmcnt(0)
	v_add_f64 v[112:113], v[112:113], -v[10:11]
	v_add_f64 v[114:115], v[114:115], -v[116:117]
	v_mov_b64_e32 v[10:11], v[126:127]
.LBB56_545:
	s_or_b64 exec, exec, s[0:1]
	v_lshl_add_u32 v116, v129, 4, v128
	s_barrier
	s_waitcnt vmcnt(2)
	ds_write2_b64 v116, v[4:5], v[6:7] offset1:1
	s_waitcnt lgkmcnt(0)
	s_barrier
	ds_read2_b64 v[116:119], v128 offset0:52 offset1:53
	s_cmp_lt_i32 s20, 28
	v_mov_b32_e32 v126, 26
	s_cbranch_scc1 .LBB56_548
; %bb.546:
	v_add_u32_e32 v127, 0x1b0, v128
	s_mov_b32 s16, 27
	v_mov_b32_e32 v126, 26
.LBB56_547:                             ; =>This Inner Loop Header: Depth=1
	ds_read2_b64 v[132:135], v127 offset1:1
	s_waitcnt lgkmcnt(1)
	v_xor_b32_e32 v137, 0x80000000, v117
	v_xor_b32_e32 v139, 0x80000000, v119
	v_cmp_gt_f64_e32 vcc, 0, v[118:119]
	v_cmp_gt_f64_e64 s[0:1], 0, v[116:117]
	v_mov_b32_e32 v136, v116
	v_mov_b32_e32 v138, v118
	v_cndmask_b32_e64 v137, v117, v137, s[0:1]
	v_cndmask_b32_e32 v139, v119, v139, vcc
	v_add_f64 v[136:137], v[136:137], v[138:139]
	s_waitcnt lgkmcnt(0)
	v_xor_b32_e32 v139, 0x80000000, v133
	v_xor_b32_e32 v141, 0x80000000, v135
	v_cmp_gt_f64_e32 vcc, 0, v[134:135]
	v_cmp_gt_f64_e64 s[0:1], 0, v[132:133]
	v_mov_b32_e32 v138, v132
	v_mov_b32_e32 v140, v134
	v_cndmask_b32_e64 v139, v133, v139, s[0:1]
	v_cndmask_b32_e32 v141, v135, v141, vcc
	v_add_f64 v[138:139], v[138:139], v[140:141]
	v_mov_b32_e32 v142, s16
	s_add_i32 s16, s16, 1
	v_cmp_lt_f64_e32 vcc, v[136:137], v[138:139]
	v_add_u32_e32 v127, 16, v127
	s_cmp_lg_u32 s20, s16
	v_cndmask_b32_e32 v117, v117, v133, vcc
	v_cndmask_b32_e32 v116, v116, v132, vcc
	v_cndmask_b32_e32 v119, v119, v135, vcc
	v_cndmask_b32_e32 v118, v118, v134, vcc
	v_cndmask_b32_e32 v126, v126, v142, vcc
	s_cbranch_scc1 .LBB56_547
.LBB56_548:
	s_waitcnt lgkmcnt(0)
	v_cmp_eq_f64_e32 vcc, 0, v[116:117]
	v_cmp_eq_f64_e64 s[0:1], 0, v[118:119]
	s_and_b64 s[0:1], vcc, s[0:1]
	s_and_saveexec_b64 s[16:17], s[0:1]
	s_xor_b64 s[0:1], exec, s[16:17]
; %bb.549:
	v_cmp_ne_u32_e32 vcc, 0, v130
	s_nop 1
	v_cndmask_b32_e32 v130, 27, v130, vcc
; %bb.550:
	s_andn2_saveexec_b64 s[0:1], s[0:1]
	s_cbranch_execz .LBB56_556
; %bb.551:
	v_cmp_ngt_f64_e64 s[16:17], |v[116:117]|, |v[118:119]|
	s_and_saveexec_b64 s[18:19], s[16:17]
	s_xor_b64 s[16:17], exec, s[18:19]
	s_cbranch_execz .LBB56_553
; %bb.552:
	v_div_scale_f64 v[132:133], s[18:19], v[118:119], v[118:119], v[116:117]
	v_rcp_f64_e32 v[134:135], v[132:133]
	v_div_scale_f64 v[136:137], vcc, v[116:117], v[118:119], v[116:117]
	v_fma_f64 v[138:139], -v[132:133], v[134:135], 1.0
	v_fmac_f64_e32 v[134:135], v[134:135], v[138:139]
	v_fma_f64 v[138:139], -v[132:133], v[134:135], 1.0
	v_fmac_f64_e32 v[134:135], v[134:135], v[138:139]
	v_mul_f64 v[138:139], v[136:137], v[134:135]
	v_fma_f64 v[132:133], -v[132:133], v[138:139], v[136:137]
	v_div_fmas_f64 v[132:133], v[132:133], v[134:135], v[138:139]
	v_div_fixup_f64 v[132:133], v[132:133], v[118:119], v[116:117]
	v_fmac_f64_e32 v[118:119], v[116:117], v[132:133]
	v_div_scale_f64 v[116:117], s[18:19], v[118:119], v[118:119], 1.0
	v_rcp_f64_e32 v[134:135], v[116:117]
	s_nop 0
	v_fma_f64 v[136:137], -v[116:117], v[134:135], 1.0
	v_fmac_f64_e32 v[134:135], v[134:135], v[136:137]
	v_fma_f64 v[136:137], -v[116:117], v[134:135], 1.0
	v_fmac_f64_e32 v[134:135], v[134:135], v[136:137]
	v_div_scale_f64 v[136:137], vcc, 1.0, v[118:119], 1.0
	v_mul_f64 v[138:139], v[136:137], v[134:135]
	v_fma_f64 v[116:117], -v[116:117], v[138:139], v[136:137]
	s_nop 1
	v_div_fmas_f64 v[116:117], v[116:117], v[134:135], v[138:139]
	v_div_fixup_f64 v[118:119], v[116:117], v[118:119], 1.0
	v_mul_f64 v[116:117], v[132:133], v[118:119]
	v_xor_b32_e32 v119, 0x80000000, v119
.LBB56_553:
	s_andn2_saveexec_b64 s[16:17], s[16:17]
	s_cbranch_execz .LBB56_555
; %bb.554:
	v_div_scale_f64 v[132:133], s[18:19], v[116:117], v[116:117], v[118:119]
	v_rcp_f64_e32 v[134:135], v[132:133]
	v_div_scale_f64 v[136:137], vcc, v[118:119], v[116:117], v[118:119]
	v_fma_f64 v[138:139], -v[132:133], v[134:135], 1.0
	v_fmac_f64_e32 v[134:135], v[134:135], v[138:139]
	v_fma_f64 v[138:139], -v[132:133], v[134:135], 1.0
	v_fmac_f64_e32 v[134:135], v[134:135], v[138:139]
	v_mul_f64 v[138:139], v[136:137], v[134:135]
	v_fma_f64 v[132:133], -v[132:133], v[138:139], v[136:137]
	v_div_fmas_f64 v[132:133], v[132:133], v[134:135], v[138:139]
	v_div_fixup_f64 v[132:133], v[132:133], v[116:117], v[118:119]
	v_fmac_f64_e32 v[116:117], v[118:119], v[132:133]
	v_div_scale_f64 v[118:119], s[18:19], v[116:117], v[116:117], 1.0
	v_rcp_f64_e32 v[134:135], v[118:119]
	s_nop 0
	v_fma_f64 v[136:137], -v[118:119], v[134:135], 1.0
	v_fmac_f64_e32 v[134:135], v[134:135], v[136:137]
	v_fma_f64 v[136:137], -v[118:119], v[134:135], 1.0
	v_fmac_f64_e32 v[134:135], v[134:135], v[136:137]
	v_div_scale_f64 v[136:137], vcc, 1.0, v[116:117], 1.0
	v_mul_f64 v[138:139], v[136:137], v[134:135]
	v_fma_f64 v[118:119], -v[118:119], v[138:139], v[136:137]
	s_nop 1
	v_div_fmas_f64 v[118:119], v[118:119], v[134:135], v[138:139]
	v_div_fixup_f64 v[116:117], v[118:119], v[116:117], 1.0
	v_mul_f64 v[118:119], v[132:133], -v[116:117]
.LBB56_555:
	s_or_b64 exec, exec, s[16:17]
.LBB56_556:
	s_or_b64 exec, exec, s[0:1]
	v_cmp_ne_u32_e32 vcc, v129, v126
	s_and_saveexec_b64 s[0:1], vcc
	s_xor_b64 s[0:1], exec, s[0:1]
	s_cbranch_execz .LBB56_562
; %bb.557:
	v_cmp_eq_u32_e32 vcc, 26, v129
	s_and_saveexec_b64 s[16:17], vcc
	s_cbranch_execz .LBB56_561
; %bb.558:
	v_cmp_ne_u32_e32 vcc, 26, v126
	s_xor_b64 s[18:19], s[14:15], -1
	s_and_b64 s[22:23], s[18:19], vcc
	s_and_saveexec_b64 s[18:19], s[22:23]
	s_cbranch_execz .LBB56_560
; %bb.559:
	v_ashrrev_i32_e32 v127, 31, v126
	v_lshl_add_u64 v[132:133], v[126:127], 2, v[124:125]
	global_load_dword v127, v[132:133], off
	global_load_dword v129, v[124:125], off offset:104
	s_waitcnt vmcnt(1)
	global_store_dword v[124:125], v127, off offset:104
	s_waitcnt vmcnt(1)
	global_store_dword v[132:133], v129, off
.LBB56_560:
	s_or_b64 exec, exec, s[18:19]
	v_mov_b32_e32 v129, v126
	v_mov_b32_e32 v131, v126
.LBB56_561:
	s_or_b64 exec, exec, s[16:17]
.LBB56_562:
	s_andn2_saveexec_b64 s[0:1], s[0:1]
	s_cbranch_execz .LBB56_564
; %bb.563:
	v_mov_b32_e32 v129, 26
	s_waitcnt vmcnt(1)
	ds_write2_b64 v128, v[0:1], v[2:3] offset0:54 offset1:55
	s_waitcnt vmcnt(0)
	ds_write2_b64 v128, v[112:113], v[114:115] offset0:56 offset1:57
.LBB56_564:
	s_or_b64 exec, exec, s[0:1]
	v_cmp_lt_i32_e32 vcc, 26, v129
	s_waitcnt lgkmcnt(0)
	s_barrier
	s_and_saveexec_b64 s[0:1], vcc
	s_cbranch_execz .LBB56_566
; %bb.565:
	ds_read2_b64 v[132:135], v128 offset0:54 offset1:55
	v_mul_f64 v[126:127], v[116:117], v[6:7]
	v_mul_f64 v[6:7], v[118:119], v[6:7]
	v_fmac_f64_e32 v[126:127], v[118:119], v[4:5]
	v_fma_f64 v[4:5], v[116:117], v[4:5], -v[6:7]
	ds_read2_b64 v[116:119], v128 offset0:56 offset1:57
	s_waitcnt lgkmcnt(1)
	v_mul_f64 v[6:7], v[134:135], v[126:127]
	v_fma_f64 v[6:7], v[132:133], v[4:5], -v[6:7]
	s_waitcnt vmcnt(1)
	v_add_f64 v[0:1], v[0:1], -v[6:7]
	v_mul_f64 v[132:133], v[132:133], v[126:127]
	s_waitcnt lgkmcnt(0)
	v_mul_f64 v[6:7], v[118:119], v[126:127]
	v_fma_f64 v[6:7], v[116:117], v[4:5], -v[6:7]
	v_mul_f64 v[116:117], v[116:117], v[126:127]
	v_fmac_f64_e32 v[132:133], v[134:135], v[4:5]
	v_fmac_f64_e32 v[116:117], v[118:119], v[4:5]
	v_add_f64 v[2:3], v[2:3], -v[132:133]
	s_waitcnt vmcnt(0)
	v_add_f64 v[112:113], v[112:113], -v[6:7]
	v_add_f64 v[114:115], v[114:115], -v[116:117]
	v_mov_b64_e32 v[6:7], v[126:127]
.LBB56_566:
	s_or_b64 exec, exec, s[0:1]
	v_lshl_add_u32 v116, v129, 4, v128
	s_barrier
	s_waitcnt vmcnt(1)
	ds_write2_b64 v116, v[0:1], v[2:3] offset1:1
	s_waitcnt lgkmcnt(0)
	s_barrier
	ds_read2_b64 v[116:119], v128 offset0:54 offset1:55
	s_cmp_lt_i32 s20, 29
	v_mov_b32_e32 v126, 27
	s_cbranch_scc1 .LBB56_569
; %bb.567:
	v_add_u32_e32 v127, 0x1c0, v128
	s_mov_b32 s16, 28
	v_mov_b32_e32 v126, 27
.LBB56_568:                             ; =>This Inner Loop Header: Depth=1
	ds_read2_b64 v[132:135], v127 offset1:1
	s_waitcnt lgkmcnt(1)
	v_xor_b32_e32 v137, 0x80000000, v117
	v_xor_b32_e32 v139, 0x80000000, v119
	v_cmp_gt_f64_e32 vcc, 0, v[118:119]
	v_cmp_gt_f64_e64 s[0:1], 0, v[116:117]
	v_mov_b32_e32 v136, v116
	v_mov_b32_e32 v138, v118
	v_cndmask_b32_e64 v137, v117, v137, s[0:1]
	v_cndmask_b32_e32 v139, v119, v139, vcc
	v_add_f64 v[136:137], v[136:137], v[138:139]
	s_waitcnt lgkmcnt(0)
	v_xor_b32_e32 v139, 0x80000000, v133
	v_xor_b32_e32 v141, 0x80000000, v135
	v_cmp_gt_f64_e32 vcc, 0, v[134:135]
	v_cmp_gt_f64_e64 s[0:1], 0, v[132:133]
	v_mov_b32_e32 v138, v132
	v_mov_b32_e32 v140, v134
	v_cndmask_b32_e64 v139, v133, v139, s[0:1]
	v_cndmask_b32_e32 v141, v135, v141, vcc
	v_add_f64 v[138:139], v[138:139], v[140:141]
	v_mov_b32_e32 v142, s16
	s_add_i32 s16, s16, 1
	v_cmp_lt_f64_e32 vcc, v[136:137], v[138:139]
	v_add_u32_e32 v127, 16, v127
	s_cmp_lg_u32 s20, s16
	v_cndmask_b32_e32 v117, v117, v133, vcc
	v_cndmask_b32_e32 v116, v116, v132, vcc
	;; [unrolled: 1-line block ×5, first 2 shown]
	s_cbranch_scc1 .LBB56_568
.LBB56_569:
	s_waitcnt lgkmcnt(0)
	v_cmp_eq_f64_e32 vcc, 0, v[116:117]
	v_cmp_eq_f64_e64 s[0:1], 0, v[118:119]
	s_and_b64 s[0:1], vcc, s[0:1]
	s_and_saveexec_b64 s[16:17], s[0:1]
	s_xor_b64 s[0:1], exec, s[16:17]
; %bb.570:
	v_cmp_ne_u32_e32 vcc, 0, v130
	s_nop 1
	v_cndmask_b32_e32 v130, 28, v130, vcc
; %bb.571:
	s_andn2_saveexec_b64 s[0:1], s[0:1]
	s_cbranch_execz .LBB56_577
; %bb.572:
	v_cmp_ngt_f64_e64 s[16:17], |v[116:117]|, |v[118:119]|
	s_and_saveexec_b64 s[18:19], s[16:17]
	s_xor_b64 s[16:17], exec, s[18:19]
	s_cbranch_execz .LBB56_574
; %bb.573:
	v_div_scale_f64 v[132:133], s[18:19], v[118:119], v[118:119], v[116:117]
	v_rcp_f64_e32 v[134:135], v[132:133]
	v_div_scale_f64 v[136:137], vcc, v[116:117], v[118:119], v[116:117]
	v_fma_f64 v[138:139], -v[132:133], v[134:135], 1.0
	v_fmac_f64_e32 v[134:135], v[134:135], v[138:139]
	v_fma_f64 v[138:139], -v[132:133], v[134:135], 1.0
	v_fmac_f64_e32 v[134:135], v[134:135], v[138:139]
	v_mul_f64 v[138:139], v[136:137], v[134:135]
	v_fma_f64 v[132:133], -v[132:133], v[138:139], v[136:137]
	v_div_fmas_f64 v[132:133], v[132:133], v[134:135], v[138:139]
	v_div_fixup_f64 v[132:133], v[132:133], v[118:119], v[116:117]
	v_fmac_f64_e32 v[118:119], v[116:117], v[132:133]
	v_div_scale_f64 v[116:117], s[18:19], v[118:119], v[118:119], 1.0
	v_rcp_f64_e32 v[134:135], v[116:117]
	s_nop 0
	v_fma_f64 v[136:137], -v[116:117], v[134:135], 1.0
	v_fmac_f64_e32 v[134:135], v[134:135], v[136:137]
	v_fma_f64 v[136:137], -v[116:117], v[134:135], 1.0
	v_fmac_f64_e32 v[134:135], v[134:135], v[136:137]
	v_div_scale_f64 v[136:137], vcc, 1.0, v[118:119], 1.0
	v_mul_f64 v[138:139], v[136:137], v[134:135]
	v_fma_f64 v[116:117], -v[116:117], v[138:139], v[136:137]
	s_nop 1
	v_div_fmas_f64 v[116:117], v[116:117], v[134:135], v[138:139]
	v_div_fixup_f64 v[118:119], v[116:117], v[118:119], 1.0
	v_mul_f64 v[116:117], v[132:133], v[118:119]
	v_xor_b32_e32 v119, 0x80000000, v119
.LBB56_574:
	s_andn2_saveexec_b64 s[16:17], s[16:17]
	s_cbranch_execz .LBB56_576
; %bb.575:
	v_div_scale_f64 v[132:133], s[18:19], v[116:117], v[116:117], v[118:119]
	v_rcp_f64_e32 v[134:135], v[132:133]
	v_div_scale_f64 v[136:137], vcc, v[118:119], v[116:117], v[118:119]
	v_fma_f64 v[138:139], -v[132:133], v[134:135], 1.0
	v_fmac_f64_e32 v[134:135], v[134:135], v[138:139]
	v_fma_f64 v[138:139], -v[132:133], v[134:135], 1.0
	v_fmac_f64_e32 v[134:135], v[134:135], v[138:139]
	v_mul_f64 v[138:139], v[136:137], v[134:135]
	v_fma_f64 v[132:133], -v[132:133], v[138:139], v[136:137]
	v_div_fmas_f64 v[132:133], v[132:133], v[134:135], v[138:139]
	v_div_fixup_f64 v[132:133], v[132:133], v[116:117], v[118:119]
	v_fmac_f64_e32 v[116:117], v[118:119], v[132:133]
	v_div_scale_f64 v[118:119], s[18:19], v[116:117], v[116:117], 1.0
	v_rcp_f64_e32 v[134:135], v[118:119]
	s_nop 0
	v_fma_f64 v[136:137], -v[118:119], v[134:135], 1.0
	v_fmac_f64_e32 v[134:135], v[134:135], v[136:137]
	v_fma_f64 v[136:137], -v[118:119], v[134:135], 1.0
	v_fmac_f64_e32 v[134:135], v[134:135], v[136:137]
	v_div_scale_f64 v[136:137], vcc, 1.0, v[116:117], 1.0
	v_mul_f64 v[138:139], v[136:137], v[134:135]
	v_fma_f64 v[118:119], -v[118:119], v[138:139], v[136:137]
	s_nop 1
	v_div_fmas_f64 v[118:119], v[118:119], v[134:135], v[138:139]
	v_div_fixup_f64 v[116:117], v[118:119], v[116:117], 1.0
	v_mul_f64 v[118:119], v[132:133], -v[116:117]
.LBB56_576:
	s_or_b64 exec, exec, s[16:17]
.LBB56_577:
	s_or_b64 exec, exec, s[0:1]
	v_cmp_ne_u32_e32 vcc, v129, v126
	s_and_saveexec_b64 s[0:1], vcc
	s_xor_b64 s[0:1], exec, s[0:1]
	s_cbranch_execz .LBB56_583
; %bb.578:
	v_cmp_eq_u32_e32 vcc, 27, v129
	s_and_saveexec_b64 s[16:17], vcc
	s_cbranch_execz .LBB56_582
; %bb.579:
	v_cmp_ne_u32_e32 vcc, 27, v126
	s_xor_b64 s[18:19], s[14:15], -1
	s_and_b64 s[22:23], s[18:19], vcc
	s_and_saveexec_b64 s[18:19], s[22:23]
	s_cbranch_execz .LBB56_581
; %bb.580:
	v_ashrrev_i32_e32 v127, 31, v126
	v_lshl_add_u64 v[132:133], v[126:127], 2, v[124:125]
	global_load_dword v127, v[132:133], off
	global_load_dword v129, v[124:125], off offset:108
	s_waitcnt vmcnt(1)
	global_store_dword v[124:125], v127, off offset:108
	s_waitcnt vmcnt(1)
	global_store_dword v[132:133], v129, off
.LBB56_581:
	s_or_b64 exec, exec, s[18:19]
	v_mov_b32_e32 v129, v126
	v_mov_b32_e32 v131, v126
.LBB56_582:
	s_or_b64 exec, exec, s[16:17]
.LBB56_583:
	s_andn2_saveexec_b64 s[0:1], s[0:1]
	s_cbranch_execz .LBB56_585
; %bb.584:
	v_mov_b32_e32 v129, 27
	s_waitcnt vmcnt(0)
	ds_write2_b64 v128, v[112:113], v[114:115] offset0:56 offset1:57
.LBB56_585:
	s_or_b64 exec, exec, s[0:1]
	v_cmp_lt_i32_e32 vcc, 27, v129
	s_waitcnt lgkmcnt(0)
	s_barrier
	s_and_saveexec_b64 s[0:1], vcc
	s_cbranch_execz .LBB56_587
; %bb.586:
	ds_read2_b64 v[132:135], v128 offset0:56 offset1:57
	v_mul_f64 v[126:127], v[116:117], v[2:3]
	v_mul_f64 v[2:3], v[118:119], v[2:3]
	v_fmac_f64_e32 v[126:127], v[118:119], v[0:1]
	v_fma_f64 v[0:1], v[116:117], v[0:1], -v[2:3]
	s_waitcnt lgkmcnt(0)
	v_mul_f64 v[2:3], v[134:135], v[126:127]
	v_mul_f64 v[116:117], v[132:133], v[126:127]
	v_fma_f64 v[2:3], v[132:133], v[0:1], -v[2:3]
	v_fmac_f64_e32 v[116:117], v[134:135], v[0:1]
	s_waitcnt vmcnt(0)
	v_add_f64 v[112:113], v[112:113], -v[2:3]
	v_add_f64 v[114:115], v[114:115], -v[116:117]
	v_mov_b64_e32 v[2:3], v[126:127]
.LBB56_587:
	s_or_b64 exec, exec, s[0:1]
	v_lshl_add_u32 v116, v129, 4, v128
	s_barrier
	s_waitcnt vmcnt(0)
	ds_write2_b64 v116, v[112:113], v[114:115] offset1:1
	s_waitcnt lgkmcnt(0)
	s_barrier
	ds_read2_b64 v[116:119], v128 offset0:56 offset1:57
	s_cmp_lt_i32 s20, 30
	v_mov_b32_e32 v126, 28
	s_cbranch_scc1 .LBB56_590
; %bb.588:
	v_add_u32_e32 v127, 0x1d0, v128
	s_mov_b32 s16, 29
	v_mov_b32_e32 v126, 28
.LBB56_589:                             ; =>This Inner Loop Header: Depth=1
	ds_read2_b64 v[132:135], v127 offset1:1
	s_waitcnt lgkmcnt(1)
	v_xor_b32_e32 v128, 0x80000000, v117
	v_xor_b32_e32 v139, 0x80000000, v119
	v_cmp_gt_f64_e32 vcc, 0, v[118:119]
	v_cmp_gt_f64_e64 s[0:1], 0, v[116:117]
	v_mov_b32_e32 v136, v116
	v_mov_b32_e32 v138, v118
	v_cndmask_b32_e64 v137, v117, v128, s[0:1]
	v_cndmask_b32_e32 v139, v119, v139, vcc
	s_waitcnt lgkmcnt(0)
	v_xor_b32_e32 v128, 0x80000000, v133
	v_xor_b32_e32 v141, 0x80000000, v135
	v_cmp_gt_f64_e32 vcc, 0, v[134:135]
	v_cmp_gt_f64_e64 s[0:1], 0, v[132:133]
	v_add_f64 v[136:137], v[136:137], v[138:139]
	v_mov_b32_e32 v138, v132
	v_mov_b32_e32 v140, v134
	v_cndmask_b32_e64 v139, v133, v128, s[0:1]
	v_cndmask_b32_e32 v141, v135, v141, vcc
	v_add_f64 v[138:139], v[138:139], v[140:141]
	v_mov_b32_e32 v142, s16
	s_add_i32 s16, s16, 1
	v_cmp_lt_f64_e32 vcc, v[136:137], v[138:139]
	v_add_u32_e32 v127, 16, v127
	s_cmp_lg_u32 s20, s16
	v_cndmask_b32_e32 v117, v117, v133, vcc
	v_cndmask_b32_e32 v116, v116, v132, vcc
	;; [unrolled: 1-line block ×5, first 2 shown]
	s_cbranch_scc1 .LBB56_589
.LBB56_590:
	s_waitcnt lgkmcnt(0)
	v_cmp_eq_f64_e32 vcc, 0, v[116:117]
	v_cmp_eq_f64_e64 s[0:1], 0, v[118:119]
	s_and_b64 s[0:1], vcc, s[0:1]
	s_and_saveexec_b64 s[16:17], s[0:1]
	s_xor_b64 s[0:1], exec, s[16:17]
; %bb.591:
	v_cmp_ne_u32_e32 vcc, 0, v130
	s_nop 1
	v_cndmask_b32_e32 v130, 29, v130, vcc
; %bb.592:
	s_andn2_saveexec_b64 s[0:1], s[0:1]
	s_cbranch_execz .LBB56_598
; %bb.593:
	v_cmp_ngt_f64_e64 s[16:17], |v[116:117]|, |v[118:119]|
	s_and_saveexec_b64 s[18:19], s[16:17]
	s_xor_b64 s[16:17], exec, s[18:19]
	s_cbranch_execz .LBB56_595
; %bb.594:
	v_div_scale_f64 v[132:133], s[18:19], v[118:119], v[118:119], v[116:117]
	v_rcp_f64_e32 v[134:135], v[132:133]
	v_div_scale_f64 v[136:137], vcc, v[116:117], v[118:119], v[116:117]
	v_fma_f64 v[138:139], -v[132:133], v[134:135], 1.0
	v_fmac_f64_e32 v[134:135], v[134:135], v[138:139]
	v_fma_f64 v[138:139], -v[132:133], v[134:135], 1.0
	v_fmac_f64_e32 v[134:135], v[134:135], v[138:139]
	v_mul_f64 v[138:139], v[136:137], v[134:135]
	v_fma_f64 v[132:133], -v[132:133], v[138:139], v[136:137]
	v_div_fmas_f64 v[132:133], v[132:133], v[134:135], v[138:139]
	v_div_fixup_f64 v[132:133], v[132:133], v[118:119], v[116:117]
	v_fmac_f64_e32 v[118:119], v[116:117], v[132:133]
	v_div_scale_f64 v[116:117], s[18:19], v[118:119], v[118:119], 1.0
	v_rcp_f64_e32 v[134:135], v[116:117]
	s_nop 0
	v_fma_f64 v[136:137], -v[116:117], v[134:135], 1.0
	v_fmac_f64_e32 v[134:135], v[134:135], v[136:137]
	v_fma_f64 v[136:137], -v[116:117], v[134:135], 1.0
	v_fmac_f64_e32 v[134:135], v[134:135], v[136:137]
	v_div_scale_f64 v[136:137], vcc, 1.0, v[118:119], 1.0
	v_mul_f64 v[138:139], v[136:137], v[134:135]
	v_fma_f64 v[116:117], -v[116:117], v[138:139], v[136:137]
	s_nop 1
	v_div_fmas_f64 v[116:117], v[116:117], v[134:135], v[138:139]
	v_div_fixup_f64 v[118:119], v[116:117], v[118:119], 1.0
	v_mul_f64 v[116:117], v[132:133], v[118:119]
	v_xor_b32_e32 v119, 0x80000000, v119
.LBB56_595:
	s_andn2_saveexec_b64 s[16:17], s[16:17]
	s_cbranch_execz .LBB56_597
; %bb.596:
	v_div_scale_f64 v[132:133], s[18:19], v[116:117], v[116:117], v[118:119]
	v_rcp_f64_e32 v[134:135], v[132:133]
	v_div_scale_f64 v[136:137], vcc, v[118:119], v[116:117], v[118:119]
	v_fma_f64 v[138:139], -v[132:133], v[134:135], 1.0
	v_fmac_f64_e32 v[134:135], v[134:135], v[138:139]
	v_fma_f64 v[138:139], -v[132:133], v[134:135], 1.0
	v_fmac_f64_e32 v[134:135], v[134:135], v[138:139]
	v_mul_f64 v[138:139], v[136:137], v[134:135]
	v_fma_f64 v[132:133], -v[132:133], v[138:139], v[136:137]
	v_div_fmas_f64 v[132:133], v[132:133], v[134:135], v[138:139]
	v_div_fixup_f64 v[132:133], v[132:133], v[116:117], v[118:119]
	v_fmac_f64_e32 v[116:117], v[118:119], v[132:133]
	v_div_scale_f64 v[118:119], s[18:19], v[116:117], v[116:117], 1.0
	v_rcp_f64_e32 v[134:135], v[118:119]
	s_nop 0
	v_fma_f64 v[136:137], -v[118:119], v[134:135], 1.0
	v_fmac_f64_e32 v[134:135], v[134:135], v[136:137]
	v_fma_f64 v[136:137], -v[118:119], v[134:135], 1.0
	v_fmac_f64_e32 v[134:135], v[134:135], v[136:137]
	v_div_scale_f64 v[136:137], vcc, 1.0, v[116:117], 1.0
	v_mul_f64 v[138:139], v[136:137], v[134:135]
	v_fma_f64 v[118:119], -v[118:119], v[138:139], v[136:137]
	s_nop 1
	v_div_fmas_f64 v[118:119], v[118:119], v[134:135], v[138:139]
	v_div_fixup_f64 v[116:117], v[118:119], v[116:117], 1.0
	v_mul_f64 v[118:119], v[132:133], -v[116:117]
.LBB56_597:
	s_or_b64 exec, exec, s[16:17]
.LBB56_598:
	s_or_b64 exec, exec, s[0:1]
	v_cmp_ne_u32_e32 vcc, v129, v126
	v_mov_b32_e32 v128, 28
	s_and_saveexec_b64 s[0:1], vcc
	s_cbranch_execz .LBB56_604
; %bb.599:
	v_cmp_eq_u32_e32 vcc, 28, v129
	s_and_saveexec_b64 s[16:17], vcc
	s_cbranch_execz .LBB56_603
; %bb.600:
	v_cmp_ne_u32_e32 vcc, 28, v126
	s_xor_b64 s[14:15], s[14:15], -1
	s_and_b64 s[18:19], s[14:15], vcc
	s_and_saveexec_b64 s[14:15], s[18:19]
	s_cbranch_execz .LBB56_602
; %bb.601:
	v_ashrrev_i32_e32 v127, 31, v126
	v_lshl_add_u64 v[128:129], v[126:127], 2, v[124:125]
	global_load_dword v127, v[128:129], off
	global_load_dword v131, v[124:125], off offset:112
	s_waitcnt vmcnt(1)
	global_store_dword v[124:125], v127, off offset:112
	s_waitcnt vmcnt(1)
	global_store_dword v[128:129], v131, off
.LBB56_602:
	s_or_b64 exec, exec, s[14:15]
	v_mov_b32_e32 v129, v126
	v_mov_b32_e32 v131, v126
.LBB56_603:
	s_or_b64 exec, exec, s[16:17]
	v_mov_b32_e32 v128, v129
.LBB56_604:
	s_or_b64 exec, exec, s[0:1]
	v_cmp_gt_i32_e32 vcc, 29, v128
	v_ashrrev_i32_e32 v129, 31, v128
	s_barrier
	s_barrier
	s_and_saveexec_b64 s[0:1], vcc
	s_cbranch_execz .LBB56_606
; %bb.605:
	v_mov_b32_e32 v124, s6
	v_mov_b32_e32 v125, s7
	v_mul_lo_u32 v132, s11, v122
	v_mul_lo_u32 v133, s10, v123
	v_mad_u64_u32 v[126:127], s[6:7], s10, v122, 0
	v_add3_u32 v127, v127, v133, v132
	v_lshl_add_u64 v[124:125], v[126:127], 2, v[124:125]
	v_lshl_add_u64 v[124:125], s[8:9], 2, v[124:125]
	;; [unrolled: 1-line block ×3, first 2 shown]
	v_add3_u32 v126, v131, s13, 1
	global_store_dword v[124:125], v126, off
.LBB56_606:
	s_or_b64 exec, exec, s[0:1]
	v_cmp_eq_u32_e32 vcc, 0, v128
	s_and_saveexec_b64 s[6:7], vcc
	s_cbranch_execz .LBB56_609
; %bb.607:
	v_mov_b32_e32 v124, s4
	v_mov_b32_e32 v125, s5
	v_lshl_add_u64 v[122:123], v[122:123], 2, v[124:125]
	global_load_dword v124, v[122:123], off
	v_cmp_ne_u32_e64 s[0:1], 0, v130
	s_waitcnt vmcnt(0)
	v_cmp_eq_u32_e32 vcc, 0, v124
	s_and_b64 s[0:1], vcc, s[0:1]
	s_and_b64 exec, exec, s[0:1]
	s_cbranch_execz .LBB56_609
; %bb.608:
	v_add_u32_e32 v124, s13, v130
	global_store_dword v[122:123], v124, off
.LBB56_609:
	s_or_b64 exec, exec, s[6:7]
	v_mul_f64 v[122:123], v[118:119], v[114:115]
	v_fma_f64 v[122:123], v[116:117], v[112:113], -v[122:123]
	v_mul_f64 v[116:117], v[116:117], v[114:115]
	v_fmac_f64_e32 v[116:117], v[118:119], v[112:113]
	v_cmp_lt_i32_e32 vcc, 28, v128
	s_nop 1
	v_cndmask_b32_e32 v115, v115, v117, vcc
	v_cndmask_b32_e32 v114, v114, v116, vcc
	v_lshl_add_u64 v[116:117], v[128:129], 4, v[120:121]
	global_store_dwordx4 v[116:117], v[80:83], off
	v_cndmask_b32_e32 v113, v113, v123, vcc
	v_cndmask_b32_e32 v112, v112, v122, vcc
	v_lshl_add_u64 v[80:81], s[2:3], 4, v[116:117]
	global_store_dwordx4 v[80:81], v[72:75], off
	s_nop 1
	v_add_u32_e32 v72, s12, v128
	v_ashrrev_i32_e32 v73, 31, v72
	v_lshl_add_u64 v[74:75], v[72:73], 4, v[120:121]
	v_add_u32_e32 v72, s2, v72
	v_ashrrev_i32_e32 v73, 31, v72
	global_store_dwordx4 v[74:75], v[108:111], off
	v_lshl_add_u64 v[74:75], v[72:73], 4, v[120:121]
	v_add_u32_e32 v72, s2, v72
	v_ashrrev_i32_e32 v73, 31, v72
	global_store_dwordx4 v[74:75], v[104:107], off
	;; [unrolled: 4-line block ×8, first 2 shown]
	v_lshl_add_u64 v[74:75], v[72:73], 4, v[120:121]
	global_store_dwordx4 v[74:75], v[68:71], off
	s_nop 1
	v_add_u32_e32 v68, s2, v72
	v_ashrrev_i32_e32 v69, 31, v68
	v_lshl_add_u64 v[70:71], v[68:69], 4, v[120:121]
	global_store_dwordx4 v[70:71], v[64:67], off
	s_nop 1
	v_add_u32_e32 v64, s2, v68
	v_ashrrev_i32_e32 v65, 31, v64
	;; [unrolled: 5-line block ×6, first 2 shown]
	v_lshl_add_u64 v[46:47], v[44:45], 4, v[120:121]
	v_add_u32_e32 v44, s2, v44
	v_ashrrev_i32_e32 v45, 31, v44
	global_store_dwordx4 v[46:47], v[48:51], off
	v_lshl_add_u64 v[46:47], v[44:45], 4, v[120:121]
	global_store_dwordx4 v[46:47], v[40:43], off
	s_nop 1
	v_add_u32_e32 v40, s2, v44
	v_ashrrev_i32_e32 v41, 31, v40
	v_lshl_add_u64 v[42:43], v[40:41], 4, v[120:121]
	global_store_dwordx4 v[42:43], v[36:39], off
	s_nop 1
	v_add_u32_e32 v36, s2, v40
	v_ashrrev_i32_e32 v37, 31, v36
	;; [unrolled: 5-line block ×11, first 2 shown]
	v_lshl_add_u64 v[0:1], v[0:1], 4, v[120:121]
	global_store_dwordx4 v[0:1], v[112:115], off
.LBB56_610:
	s_endpgm
	.section	.rodata,"a",@progbits
	.p2align	6, 0x0
	.amdhsa_kernel _ZN9rocsolver6v33100L18getf2_small_kernelILi29E19rocblas_complex_numIdEiiPS3_EEvT1_T3_lS5_lPS5_llPT2_S5_S5_S7_l
		.amdhsa_group_segment_fixed_size 0
		.amdhsa_private_segment_fixed_size 0
		.amdhsa_kernarg_size 352
		.amdhsa_user_sgpr_count 2
		.amdhsa_user_sgpr_dispatch_ptr 0
		.amdhsa_user_sgpr_queue_ptr 0
		.amdhsa_user_sgpr_kernarg_segment_ptr 1
		.amdhsa_user_sgpr_dispatch_id 0
		.amdhsa_user_sgpr_kernarg_preload_length 0
		.amdhsa_user_sgpr_kernarg_preload_offset 0
		.amdhsa_user_sgpr_private_segment_size 0
		.amdhsa_uses_dynamic_stack 0
		.amdhsa_enable_private_segment 0
		.amdhsa_system_sgpr_workgroup_id_x 1
		.amdhsa_system_sgpr_workgroup_id_y 1
		.amdhsa_system_sgpr_workgroup_id_z 0
		.amdhsa_system_sgpr_workgroup_info 0
		.amdhsa_system_vgpr_workitem_id 1
		.amdhsa_next_free_vgpr 150
		.amdhsa_next_free_sgpr 24
		.amdhsa_accum_offset 152
		.amdhsa_reserve_vcc 1
		.amdhsa_float_round_mode_32 0
		.amdhsa_float_round_mode_16_64 0
		.amdhsa_float_denorm_mode_32 3
		.amdhsa_float_denorm_mode_16_64 3
		.amdhsa_dx10_clamp 1
		.amdhsa_ieee_mode 1
		.amdhsa_fp16_overflow 0
		.amdhsa_tg_split 0
		.amdhsa_exception_fp_ieee_invalid_op 0
		.amdhsa_exception_fp_denorm_src 0
		.amdhsa_exception_fp_ieee_div_zero 0
		.amdhsa_exception_fp_ieee_overflow 0
		.amdhsa_exception_fp_ieee_underflow 0
		.amdhsa_exception_fp_ieee_inexact 0
		.amdhsa_exception_int_div_zero 0
	.end_amdhsa_kernel
	.section	.text._ZN9rocsolver6v33100L18getf2_small_kernelILi29E19rocblas_complex_numIdEiiPS3_EEvT1_T3_lS5_lPS5_llPT2_S5_S5_S7_l,"axG",@progbits,_ZN9rocsolver6v33100L18getf2_small_kernelILi29E19rocblas_complex_numIdEiiPS3_EEvT1_T3_lS5_lPS5_llPT2_S5_S5_S7_l,comdat
.Lfunc_end56:
	.size	_ZN9rocsolver6v33100L18getf2_small_kernelILi29E19rocblas_complex_numIdEiiPS3_EEvT1_T3_lS5_lPS5_llPT2_S5_S5_S7_l, .Lfunc_end56-_ZN9rocsolver6v33100L18getf2_small_kernelILi29E19rocblas_complex_numIdEiiPS3_EEvT1_T3_lS5_lPS5_llPT2_S5_S5_S7_l
                                        ; -- End function
	.set _ZN9rocsolver6v33100L18getf2_small_kernelILi29E19rocblas_complex_numIdEiiPS3_EEvT1_T3_lS5_lPS5_llPT2_S5_S5_S7_l.num_vgpr, 150
	.set _ZN9rocsolver6v33100L18getf2_small_kernelILi29E19rocblas_complex_numIdEiiPS3_EEvT1_T3_lS5_lPS5_llPT2_S5_S5_S7_l.num_agpr, 0
	.set _ZN9rocsolver6v33100L18getf2_small_kernelILi29E19rocblas_complex_numIdEiiPS3_EEvT1_T3_lS5_lPS5_llPT2_S5_S5_S7_l.numbered_sgpr, 24
	.set _ZN9rocsolver6v33100L18getf2_small_kernelILi29E19rocblas_complex_numIdEiiPS3_EEvT1_T3_lS5_lPS5_llPT2_S5_S5_S7_l.num_named_barrier, 0
	.set _ZN9rocsolver6v33100L18getf2_small_kernelILi29E19rocblas_complex_numIdEiiPS3_EEvT1_T3_lS5_lPS5_llPT2_S5_S5_S7_l.private_seg_size, 0
	.set _ZN9rocsolver6v33100L18getf2_small_kernelILi29E19rocblas_complex_numIdEiiPS3_EEvT1_T3_lS5_lPS5_llPT2_S5_S5_S7_l.uses_vcc, 1
	.set _ZN9rocsolver6v33100L18getf2_small_kernelILi29E19rocblas_complex_numIdEiiPS3_EEvT1_T3_lS5_lPS5_llPT2_S5_S5_S7_l.uses_flat_scratch, 0
	.set _ZN9rocsolver6v33100L18getf2_small_kernelILi29E19rocblas_complex_numIdEiiPS3_EEvT1_T3_lS5_lPS5_llPT2_S5_S5_S7_l.has_dyn_sized_stack, 0
	.set _ZN9rocsolver6v33100L18getf2_small_kernelILi29E19rocblas_complex_numIdEiiPS3_EEvT1_T3_lS5_lPS5_llPT2_S5_S5_S7_l.has_recursion, 0
	.set _ZN9rocsolver6v33100L18getf2_small_kernelILi29E19rocblas_complex_numIdEiiPS3_EEvT1_T3_lS5_lPS5_llPT2_S5_S5_S7_l.has_indirect_call, 0
	.section	.AMDGPU.csdata,"",@progbits
; Kernel info:
; codeLenInByte = 56152
; TotalNumSgprs: 30
; NumVgprs: 150
; NumAgprs: 0
; TotalNumVgprs: 150
; ScratchSize: 0
; MemoryBound: 0
; FloatMode: 240
; IeeeMode: 1
; LDSByteSize: 0 bytes/workgroup (compile time only)
; SGPRBlocks: 3
; VGPRBlocks: 18
; NumSGPRsForWavesPerEU: 30
; NumVGPRsForWavesPerEU: 150
; AccumOffset: 152
; Occupancy: 3
; WaveLimiterHint : 0
; COMPUTE_PGM_RSRC2:SCRATCH_EN: 0
; COMPUTE_PGM_RSRC2:USER_SGPR: 2
; COMPUTE_PGM_RSRC2:TRAP_HANDLER: 0
; COMPUTE_PGM_RSRC2:TGID_X_EN: 1
; COMPUTE_PGM_RSRC2:TGID_Y_EN: 1
; COMPUTE_PGM_RSRC2:TGID_Z_EN: 0
; COMPUTE_PGM_RSRC2:TIDIG_COMP_CNT: 1
; COMPUTE_PGM_RSRC3_GFX90A:ACCUM_OFFSET: 37
; COMPUTE_PGM_RSRC3_GFX90A:TG_SPLIT: 0
	.section	.text._ZN9rocsolver6v33100L23getf2_npvt_small_kernelILi29E19rocblas_complex_numIdEiiPS3_EEvT1_T3_lS5_lPT2_S5_S5_,"axG",@progbits,_ZN9rocsolver6v33100L23getf2_npvt_small_kernelILi29E19rocblas_complex_numIdEiiPS3_EEvT1_T3_lS5_lPT2_S5_S5_,comdat
	.globl	_ZN9rocsolver6v33100L23getf2_npvt_small_kernelILi29E19rocblas_complex_numIdEiiPS3_EEvT1_T3_lS5_lPT2_S5_S5_ ; -- Begin function _ZN9rocsolver6v33100L23getf2_npvt_small_kernelILi29E19rocblas_complex_numIdEiiPS3_EEvT1_T3_lS5_lPT2_S5_S5_
	.p2align	8
	.type	_ZN9rocsolver6v33100L23getf2_npvt_small_kernelILi29E19rocblas_complex_numIdEiiPS3_EEvT1_T3_lS5_lPT2_S5_S5_,@function
_ZN9rocsolver6v33100L23getf2_npvt_small_kernelILi29E19rocblas_complex_numIdEiiPS3_EEvT1_T3_lS5_lPT2_S5_S5_: ; @_ZN9rocsolver6v33100L23getf2_npvt_small_kernelILi29E19rocblas_complex_numIdEiiPS3_EEvT1_T3_lS5_lPT2_S5_S5_
; %bb.0:
	s_load_dword s2, s[0:1], 0x44
	s_load_dwordx2 s[8:9], s[0:1], 0x30
	v_bfe_u32 v116, v0, 10, 10
	s_waitcnt lgkmcnt(0)
	s_lshr_b32 s10, s2, 16
	s_mul_i32 s3, s3, s10
	v_add_u32_e32 v252, s3, v116
	v_cmp_gt_i32_e32 vcc, s8, v252
	s_and_saveexec_b64 s[2:3], vcc
	s_cbranch_execz .LBB57_264
; %bb.1:
	s_load_dwordx4 s[12:15], s[0:1], 0x8
	s_load_dword s2, s[0:1], 0x18
	s_load_dwordx4 s[4:7], s[0:1], 0x20
	v_ashrrev_i32_e32 v253, 31, v252
	v_and_b32_e32 v250, 0x3ff, v0
	s_waitcnt lgkmcnt(0)
	v_mov_b32_e32 v0, s12
	v_mov_b32_e32 v1, s13
	v_mul_lo_u32 v4, s5, v252
	v_mul_lo_u32 v5, s4, v253
	v_mad_u64_u32 v[2:3], s[0:1], s4, v252, 0
	v_add3_u32 v3, v3, v5, v4
	v_lshl_add_u64 v[0:1], v[2:3], 4, v[0:1]
	v_lshl_add_u64 v[0:1], s[14:15], 4, v[0:1]
	v_lshlrev_b32_e32 v2, 4, v250
	v_mov_b32_e32 v3, 0
	s_add_i32 s0, s2, s2
	v_lshl_add_u64 v[232:233], v[0:1], 0, v[2:3]
	v_add_u32_e32 v2, s0, v250
	v_ashrrev_i32_e32 v3, 31, v2
	v_lshl_add_u64 v[28:29], v[2:3], 4, v[0:1]
	v_add_u32_e32 v2, s2, v2
	v_ashrrev_i32_e32 v3, 31, v2
	;; [unrolled: 3-line block ×27, first 2 shown]
	s_ashr_i32 s3, s2, 31
	v_lshl_add_u64 v[128:129], v[2:3], 4, v[0:1]
	v_lshl_add_u64 v[0:1], s[2:3], 4, v[232:233]
	scratch_store_dwordx2 off, v[0:1], off offset:160 ; 8-byte Folded Spill
	scratch_store_dwordx2 off, v[28:29], off offset:176 ; 8-byte Folded Spill
	;; [unrolled: 1-line block ×3, first 2 shown]
	global_load_dwordx4 v[108:111], v[232:233], off
	global_load_dwordx4 v[104:107], v[0:1], off
	;; [unrolled: 1-line block ×22, first 2 shown]
	s_mulk_i32 s10, 0x1d0
	scratch_store_dwordx2 off, v[4:5], off  ; 8-byte Folded Spill
	scratch_store_dwordx2 off, v[6:7], off offset:8 ; 8-byte Folded Spill
	scratch_store_dwordx2 off, v[8:9], off offset:16 ; 8-byte Folded Spill
	;; [unrolled: 1-line block ×12, first 2 shown]
	global_load_dwordx4 v[24:27], v[112:113], off
	s_movk_i32 s0, 0x1d0
	scratch_store_dwordx2 off, v[114:115], off offset:104 ; 8-byte Folded Spill
	global_load_dwordx4 v[20:23], v[114:115], off
	global_load_dwordx4 v[16:19], v[118:119], off
	;; [unrolled: 1-line block ×5, first 2 shown]
	s_add_i32 s1, s10, 0
	global_load_dwordx4 v[112:115], v[128:129], off
	v_mad_u32_u24 v254, v116, s0, 0
	v_lshl_add_u32 v251, v116, 4, s1
	v_cmp_ne_u32_e64 s[2:3], 0, v250
	v_cmp_eq_u32_e64 s[0:1], 0, v250
	scratch_store_dwordx2 off, v[118:119], off offset:112 ; 8-byte Folded Spill
	scratch_store_dwordx2 off, v[120:121], off offset:120 ; 8-byte Folded Spill
	scratch_store_dwordx2 off, v[122:123], off offset:128 ; 8-byte Folded Spill
	scratch_store_dwordx2 off, v[124:125], off offset:136 ; 8-byte Folded Spill
	scratch_store_dwordx2 off, v[126:127], off offset:144 ; 8-byte Folded Spill
	scratch_store_dwordx2 off, v[128:129], off offset:152 ; 8-byte Folded Spill
	s_and_saveexec_b64 s[10:11], s[0:1]
	s_cbranch_execz .LBB57_8
; %bb.2:
	s_waitcnt vmcnt(48)
	ds_write2_b64 v251, v[108:109], v[110:111] offset1:1
	s_waitcnt vmcnt(47)
	ds_write2_b64 v254, v[104:105], v[106:107] offset0:2 offset1:3
	s_waitcnt vmcnt(46)
	ds_write2_b64 v254, v[100:101], v[102:103] offset0:4 offset1:5
	;; [unrolled: 2-line block ×26, first 2 shown]
	ds_write2_b64 v254, v[0:1], v[2:3] offset0:54 offset1:55
	s_waitcnt vmcnt(6)
	ds_write2_b64 v254, v[112:113], v[114:115] offset0:56 offset1:57
	ds_read2_b64 v[116:119], v251 offset1:1
	s_waitcnt lgkmcnt(0)
	v_cmp_neq_f64_e32 vcc, 0, v[116:117]
	v_cmp_neq_f64_e64 s[4:5], 0, v[118:119]
	s_or_b64 s[4:5], vcc, s[4:5]
	s_and_b64 exec, exec, s[4:5]
	s_cbranch_execz .LBB57_8
; %bb.3:
	v_cmp_ngt_f64_e64 s[4:5], |v[116:117]|, |v[118:119]|
                                        ; implicit-def: $vgpr120_vgpr121
	s_and_saveexec_b64 s[12:13], s[4:5]
	s_xor_b64 s[4:5], exec, s[12:13]
                                        ; implicit-def: $vgpr122_vgpr123
	s_cbranch_execz .LBB57_5
; %bb.4:
	v_div_scale_f64 v[120:121], s[12:13], v[118:119], v[118:119], v[116:117]
	v_rcp_f64_e32 v[122:123], v[120:121]
	v_div_scale_f64 v[124:125], vcc, v[116:117], v[118:119], v[116:117]
	v_fma_f64 v[126:127], -v[120:121], v[122:123], 1.0
	v_fmac_f64_e32 v[122:123], v[122:123], v[126:127]
	v_fma_f64 v[126:127], -v[120:121], v[122:123], 1.0
	v_fmac_f64_e32 v[122:123], v[122:123], v[126:127]
	v_mul_f64 v[126:127], v[124:125], v[122:123]
	v_fma_f64 v[120:121], -v[120:121], v[126:127], v[124:125]
	v_div_fmas_f64 v[120:121], v[120:121], v[122:123], v[126:127]
	v_div_fixup_f64 v[120:121], v[120:121], v[118:119], v[116:117]
	v_fmac_f64_e32 v[118:119], v[116:117], v[120:121]
	v_div_scale_f64 v[116:117], s[12:13], v[118:119], v[118:119], 1.0
	v_rcp_f64_e32 v[122:123], v[116:117]
	s_nop 0
	v_fma_f64 v[124:125], -v[116:117], v[122:123], 1.0
	v_fmac_f64_e32 v[122:123], v[122:123], v[124:125]
	v_fma_f64 v[124:125], -v[116:117], v[122:123], 1.0
	v_fmac_f64_e32 v[122:123], v[122:123], v[124:125]
	v_div_scale_f64 v[124:125], vcc, 1.0, v[118:119], 1.0
	v_mul_f64 v[126:127], v[124:125], v[122:123]
	v_fma_f64 v[116:117], -v[116:117], v[126:127], v[124:125]
	s_nop 1
	v_div_fmas_f64 v[116:117], v[116:117], v[122:123], v[126:127]
	v_div_fixup_f64 v[122:123], v[116:117], v[118:119], 1.0
	v_mul_f64 v[120:121], v[120:121], v[122:123]
	v_xor_b32_e32 v123, 0x80000000, v123
                                        ; implicit-def: $vgpr116_vgpr117
.LBB57_5:
	s_andn2_saveexec_b64 s[4:5], s[4:5]
	s_cbranch_execz .LBB57_7
; %bb.6:
	v_div_scale_f64 v[120:121], s[12:13], v[116:117], v[116:117], v[118:119]
	v_rcp_f64_e32 v[122:123], v[120:121]
	v_div_scale_f64 v[124:125], vcc, v[118:119], v[116:117], v[118:119]
	v_fma_f64 v[126:127], -v[120:121], v[122:123], 1.0
	v_fmac_f64_e32 v[122:123], v[122:123], v[126:127]
	v_fma_f64 v[126:127], -v[120:121], v[122:123], 1.0
	v_fmac_f64_e32 v[122:123], v[122:123], v[126:127]
	v_mul_f64 v[126:127], v[124:125], v[122:123]
	v_fma_f64 v[120:121], -v[120:121], v[126:127], v[124:125]
	v_div_fmas_f64 v[120:121], v[120:121], v[122:123], v[126:127]
	v_div_fixup_f64 v[122:123], v[120:121], v[116:117], v[118:119]
	v_fmac_f64_e32 v[116:117], v[118:119], v[122:123]
	v_div_scale_f64 v[118:119], s[12:13], v[116:117], v[116:117], 1.0
	v_rcp_f64_e32 v[120:121], v[118:119]
	s_nop 0
	v_fma_f64 v[124:125], -v[118:119], v[120:121], 1.0
	v_fmac_f64_e32 v[120:121], v[120:121], v[124:125]
	v_fma_f64 v[124:125], -v[118:119], v[120:121], 1.0
	v_fmac_f64_e32 v[120:121], v[120:121], v[124:125]
	v_div_scale_f64 v[124:125], vcc, 1.0, v[116:117], 1.0
	v_mul_f64 v[126:127], v[124:125], v[120:121]
	v_fma_f64 v[118:119], -v[118:119], v[126:127], v[124:125]
	s_nop 1
	v_div_fmas_f64 v[118:119], v[118:119], v[120:121], v[126:127]
	v_div_fixup_f64 v[120:121], v[118:119], v[116:117], 1.0
	v_mul_f64 v[122:123], v[122:123], -v[120:121]
.LBB57_7:
	s_or_b64 exec, exec, s[4:5]
	ds_write2_b64 v251, v[120:121], v[122:123] offset1:1
.LBB57_8:
	s_or_b64 exec, exec, s[10:11]
	s_waitcnt lgkmcnt(0)
	s_barrier
	ds_read2_b64 v[116:119], v251 offset1:1
	s_and_saveexec_b64 s[4:5], s[2:3]
	s_cbranch_execz .LBB57_10
; %bb.9:
	ds_read2_b64 v[122:125], v254 offset0:2 offset1:3
	ds_read2_b64 v[126:129], v254 offset0:4 offset1:5
	s_waitcnt vmcnt(48) lgkmcnt(2)
	v_mul_f64 v[120:121], v[118:119], v[110:111]
	v_mul_f64 v[110:111], v[116:117], v[110:111]
	v_fmac_f64_e32 v[110:111], v[118:119], v[108:109]
	v_fma_f64 v[120:121], v[116:117], v[108:109], -v[120:121]
	s_waitcnt lgkmcnt(1)
	v_mul_f64 v[108:109], v[124:125], v[110:111]
	v_fma_f64 v[108:109], v[122:123], v[120:121], -v[108:109]
	v_mul_f64 v[122:123], v[122:123], v[110:111]
	v_fmac_f64_e32 v[122:123], v[124:125], v[120:121]
	s_waitcnt vmcnt(47)
	v_add_f64 v[104:105], v[104:105], -v[108:109]
	v_add_f64 v[106:107], v[106:107], -v[122:123]
	s_waitcnt lgkmcnt(0)
	v_mul_f64 v[108:109], v[128:129], v[110:111]
	ds_read2_b64 v[122:125], v254 offset0:6 offset1:7
	v_fma_f64 v[108:109], v[126:127], v[120:121], -v[108:109]
	v_mul_f64 v[126:127], v[126:127], v[110:111]
	v_fmac_f64_e32 v[126:127], v[128:129], v[120:121]
	s_waitcnt vmcnt(46)
	v_add_f64 v[102:103], v[102:103], -v[126:127]
	ds_read2_b64 v[126:129], v254 offset0:8 offset1:9
	v_add_f64 v[100:101], v[100:101], -v[108:109]
	s_waitcnt lgkmcnt(1)
	v_mul_f64 v[108:109], v[124:125], v[110:111]
	v_fma_f64 v[108:109], v[122:123], v[120:121], -v[108:109]
	v_mul_f64 v[122:123], v[122:123], v[110:111]
	v_fmac_f64_e32 v[122:123], v[124:125], v[120:121]
	s_waitcnt vmcnt(45)
	v_add_f64 v[96:97], v[96:97], -v[108:109]
	v_add_f64 v[98:99], v[98:99], -v[122:123]
	s_waitcnt lgkmcnt(0)
	v_mul_f64 v[108:109], v[128:129], v[110:111]
	ds_read2_b64 v[122:125], v254 offset0:10 offset1:11
	v_fma_f64 v[108:109], v[126:127], v[120:121], -v[108:109]
	v_mul_f64 v[126:127], v[126:127], v[110:111]
	v_fmac_f64_e32 v[126:127], v[128:129], v[120:121]
	s_waitcnt vmcnt(44)
	v_add_f64 v[94:95], v[94:95], -v[126:127]
	ds_read2_b64 v[126:129], v254 offset0:12 offset1:13
	v_add_f64 v[92:93], v[92:93], -v[108:109]
	;; [unrolled: 18-line block ×13, first 2 shown]
	s_waitcnt lgkmcnt(1)
	v_mul_f64 v[108:109], v[124:125], v[110:111]
	v_fma_f64 v[108:109], v[122:123], v[120:121], -v[108:109]
	v_mul_f64 v[122:123], v[122:123], v[110:111]
	v_fmac_f64_e32 v[122:123], v[124:125], v[120:121]
	v_add_f64 v[0:1], v[0:1], -v[108:109]
	v_add_f64 v[2:3], v[2:3], -v[122:123]
	s_waitcnt lgkmcnt(0)
	v_mul_f64 v[108:109], v[128:129], v[110:111]
	v_mul_f64 v[122:123], v[126:127], v[110:111]
	v_fma_f64 v[108:109], v[126:127], v[120:121], -v[108:109]
	v_fmac_f64_e32 v[122:123], v[128:129], v[120:121]
	s_waitcnt vmcnt(6)
	v_add_f64 v[112:113], v[112:113], -v[108:109]
	v_add_f64 v[114:115], v[114:115], -v[122:123]
	v_mov_b64_e32 v[108:109], v[120:121]
.LBB57_10:
	s_or_b64 exec, exec, s[4:5]
	v_cmp_eq_u32_e32 vcc, 1, v250
	s_waitcnt lgkmcnt(0)
	s_barrier
	s_and_saveexec_b64 s[4:5], vcc
	s_cbranch_execz .LBB57_17
; %bb.11:
	s_waitcnt vmcnt(47)
	ds_write2_b64 v251, v[104:105], v[106:107] offset1:1
	s_waitcnt vmcnt(46)
	ds_write2_b64 v254, v[100:101], v[102:103] offset0:4 offset1:5
	s_waitcnt vmcnt(45)
	ds_write2_b64 v254, v[96:97], v[98:99] offset0:6 offset1:7
	;; [unrolled: 2-line block ×25, first 2 shown]
	ds_write2_b64 v254, v[0:1], v[2:3] offset0:54 offset1:55
	s_waitcnt vmcnt(6)
	ds_write2_b64 v254, v[112:113], v[114:115] offset0:56 offset1:57
	ds_read2_b64 v[120:123], v251 offset1:1
	s_waitcnt lgkmcnt(0)
	v_cmp_neq_f64_e32 vcc, 0, v[120:121]
	v_cmp_neq_f64_e64 s[2:3], 0, v[122:123]
	s_or_b64 s[2:3], vcc, s[2:3]
	s_and_b64 exec, exec, s[2:3]
	s_cbranch_execz .LBB57_17
; %bb.12:
	v_cmp_ngt_f64_e64 s[2:3], |v[120:121]|, |v[122:123]|
                                        ; implicit-def: $vgpr124_vgpr125
	s_and_saveexec_b64 s[10:11], s[2:3]
	s_xor_b64 s[2:3], exec, s[10:11]
                                        ; implicit-def: $vgpr126_vgpr127
	s_cbranch_execz .LBB57_14
; %bb.13:
	v_div_scale_f64 v[124:125], s[10:11], v[122:123], v[122:123], v[120:121]
	v_rcp_f64_e32 v[126:127], v[124:125]
	v_div_scale_f64 v[128:129], vcc, v[120:121], v[122:123], v[120:121]
	v_fma_f64 v[130:131], -v[124:125], v[126:127], 1.0
	v_fmac_f64_e32 v[126:127], v[126:127], v[130:131]
	v_fma_f64 v[130:131], -v[124:125], v[126:127], 1.0
	v_fmac_f64_e32 v[126:127], v[126:127], v[130:131]
	v_mul_f64 v[130:131], v[128:129], v[126:127]
	v_fma_f64 v[124:125], -v[124:125], v[130:131], v[128:129]
	v_div_fmas_f64 v[124:125], v[124:125], v[126:127], v[130:131]
	v_div_fixup_f64 v[124:125], v[124:125], v[122:123], v[120:121]
	v_fmac_f64_e32 v[122:123], v[120:121], v[124:125]
	v_div_scale_f64 v[120:121], s[10:11], v[122:123], v[122:123], 1.0
	v_rcp_f64_e32 v[126:127], v[120:121]
	s_nop 0
	v_fma_f64 v[128:129], -v[120:121], v[126:127], 1.0
	v_fmac_f64_e32 v[126:127], v[126:127], v[128:129]
	v_fma_f64 v[128:129], -v[120:121], v[126:127], 1.0
	v_fmac_f64_e32 v[126:127], v[126:127], v[128:129]
	v_div_scale_f64 v[128:129], vcc, 1.0, v[122:123], 1.0
	v_mul_f64 v[130:131], v[128:129], v[126:127]
	v_fma_f64 v[120:121], -v[120:121], v[130:131], v[128:129]
	s_nop 1
	v_div_fmas_f64 v[120:121], v[120:121], v[126:127], v[130:131]
	v_div_fixup_f64 v[126:127], v[120:121], v[122:123], 1.0
	v_mul_f64 v[124:125], v[124:125], v[126:127]
	v_xor_b32_e32 v127, 0x80000000, v127
                                        ; implicit-def: $vgpr120_vgpr121
.LBB57_14:
	s_andn2_saveexec_b64 s[2:3], s[2:3]
	s_cbranch_execz .LBB57_16
; %bb.15:
	v_div_scale_f64 v[124:125], s[10:11], v[120:121], v[120:121], v[122:123]
	v_rcp_f64_e32 v[126:127], v[124:125]
	v_div_scale_f64 v[128:129], vcc, v[122:123], v[120:121], v[122:123]
	v_fma_f64 v[130:131], -v[124:125], v[126:127], 1.0
	v_fmac_f64_e32 v[126:127], v[126:127], v[130:131]
	v_fma_f64 v[130:131], -v[124:125], v[126:127], 1.0
	v_fmac_f64_e32 v[126:127], v[126:127], v[130:131]
	v_mul_f64 v[130:131], v[128:129], v[126:127]
	v_fma_f64 v[124:125], -v[124:125], v[130:131], v[128:129]
	v_div_fmas_f64 v[124:125], v[124:125], v[126:127], v[130:131]
	v_div_fixup_f64 v[126:127], v[124:125], v[120:121], v[122:123]
	v_fmac_f64_e32 v[120:121], v[122:123], v[126:127]
	v_div_scale_f64 v[122:123], s[10:11], v[120:121], v[120:121], 1.0
	v_rcp_f64_e32 v[124:125], v[122:123]
	s_nop 0
	v_fma_f64 v[128:129], -v[122:123], v[124:125], 1.0
	v_fmac_f64_e32 v[124:125], v[124:125], v[128:129]
	v_fma_f64 v[128:129], -v[122:123], v[124:125], 1.0
	v_fmac_f64_e32 v[124:125], v[124:125], v[128:129]
	v_div_scale_f64 v[128:129], vcc, 1.0, v[120:121], 1.0
	v_mul_f64 v[130:131], v[128:129], v[124:125]
	v_fma_f64 v[122:123], -v[122:123], v[130:131], v[128:129]
	s_nop 1
	v_div_fmas_f64 v[122:123], v[122:123], v[124:125], v[130:131]
	v_div_fixup_f64 v[124:125], v[122:123], v[120:121], 1.0
	v_mul_f64 v[126:127], v[126:127], -v[124:125]
.LBB57_16:
	s_or_b64 exec, exec, s[2:3]
	ds_write2_b64 v251, v[124:125], v[126:127] offset1:1
.LBB57_17:
	s_or_b64 exec, exec, s[4:5]
	s_waitcnt lgkmcnt(0)
	s_barrier
	ds_read2_b64 v[120:123], v251 offset1:1
	v_cmp_lt_u32_e32 vcc, 1, v250
	s_and_saveexec_b64 s[2:3], vcc
	s_cbranch_execz .LBB57_19
; %bb.18:
	ds_read2_b64 v[126:129], v254 offset0:4 offset1:5
	ds_read2_b64 v[130:133], v254 offset0:6 offset1:7
	s_waitcnt vmcnt(47) lgkmcnt(2)
	v_mul_f64 v[124:125], v[122:123], v[106:107]
	v_mul_f64 v[106:107], v[120:121], v[106:107]
	v_fmac_f64_e32 v[106:107], v[122:123], v[104:105]
	v_fma_f64 v[124:125], v[120:121], v[104:105], -v[124:125]
	s_waitcnt lgkmcnt(1)
	v_mul_f64 v[104:105], v[128:129], v[106:107]
	v_fma_f64 v[104:105], v[126:127], v[124:125], -v[104:105]
	v_mul_f64 v[126:127], v[126:127], v[106:107]
	v_fmac_f64_e32 v[126:127], v[128:129], v[124:125]
	s_waitcnt vmcnt(46)
	v_add_f64 v[102:103], v[102:103], -v[126:127]
	ds_read2_b64 v[126:129], v254 offset0:8 offset1:9
	v_add_f64 v[100:101], v[100:101], -v[104:105]
	s_waitcnt lgkmcnt(1)
	v_mul_f64 v[104:105], v[132:133], v[106:107]
	v_fma_f64 v[104:105], v[130:131], v[124:125], -v[104:105]
	v_mul_f64 v[130:131], v[130:131], v[106:107]
	v_fmac_f64_e32 v[130:131], v[132:133], v[124:125]
	s_waitcnt vmcnt(45)
	v_add_f64 v[96:97], v[96:97], -v[104:105]
	v_add_f64 v[98:99], v[98:99], -v[130:131]
	ds_read2_b64 v[130:133], v254 offset0:10 offset1:11
	s_waitcnt lgkmcnt(1)
	v_mul_f64 v[104:105], v[128:129], v[106:107]
	v_fma_f64 v[104:105], v[126:127], v[124:125], -v[104:105]
	v_mul_f64 v[126:127], v[126:127], v[106:107]
	v_fmac_f64_e32 v[126:127], v[128:129], v[124:125]
	s_waitcnt vmcnt(44)
	v_add_f64 v[94:95], v[94:95], -v[126:127]
	ds_read2_b64 v[126:129], v254 offset0:12 offset1:13
	v_add_f64 v[92:93], v[92:93], -v[104:105]
	s_waitcnt lgkmcnt(1)
	v_mul_f64 v[104:105], v[132:133], v[106:107]
	v_fma_f64 v[104:105], v[130:131], v[124:125], -v[104:105]
	v_mul_f64 v[130:131], v[130:131], v[106:107]
	v_fmac_f64_e32 v[130:131], v[132:133], v[124:125]
	s_waitcnt vmcnt(43)
	v_add_f64 v[88:89], v[88:89], -v[104:105]
	v_add_f64 v[90:91], v[90:91], -v[130:131]
	ds_read2_b64 v[130:133], v254 offset0:14 offset1:15
	;; [unrolled: 18-line block ×12, first 2 shown]
	s_waitcnt lgkmcnt(1)
	v_mul_f64 v[104:105], v[128:129], v[106:107]
	v_fma_f64 v[104:105], v[126:127], v[124:125], -v[104:105]
	v_mul_f64 v[126:127], v[126:127], v[106:107]
	v_fmac_f64_e32 v[126:127], v[128:129], v[124:125]
	s_waitcnt vmcnt(7)
	v_add_f64 v[6:7], v[6:7], -v[126:127]
	ds_read2_b64 v[126:129], v254 offset0:56 offset1:57
	v_add_f64 v[4:5], v[4:5], -v[104:105]
	s_waitcnt lgkmcnt(1)
	v_mul_f64 v[104:105], v[132:133], v[106:107]
	v_fma_f64 v[104:105], v[130:131], v[124:125], -v[104:105]
	v_add_f64 v[0:1], v[0:1], -v[104:105]
	s_waitcnt lgkmcnt(0)
	v_mul_f64 v[104:105], v[128:129], v[106:107]
	v_mul_f64 v[130:131], v[130:131], v[106:107]
	v_fma_f64 v[104:105], v[126:127], v[124:125], -v[104:105]
	v_mul_f64 v[126:127], v[126:127], v[106:107]
	v_fmac_f64_e32 v[130:131], v[132:133], v[124:125]
	v_fmac_f64_e32 v[126:127], v[128:129], v[124:125]
	v_add_f64 v[2:3], v[2:3], -v[130:131]
	s_waitcnt vmcnt(6)
	v_add_f64 v[112:113], v[112:113], -v[104:105]
	v_add_f64 v[114:115], v[114:115], -v[126:127]
	v_mov_b64_e32 v[104:105], v[124:125]
.LBB57_19:
	s_or_b64 exec, exec, s[2:3]
	v_cmp_eq_u32_e32 vcc, 2, v250
	s_waitcnt lgkmcnt(0)
	s_barrier
	s_and_saveexec_b64 s[4:5], vcc
	s_cbranch_execz .LBB57_26
; %bb.20:
	s_waitcnt vmcnt(46)
	ds_write2_b64 v251, v[100:101], v[102:103] offset1:1
	s_waitcnt vmcnt(45)
	ds_write2_b64 v254, v[96:97], v[98:99] offset0:6 offset1:7
	s_waitcnt vmcnt(44)
	ds_write2_b64 v254, v[92:93], v[94:95] offset0:8 offset1:9
	;; [unrolled: 2-line block ×24, first 2 shown]
	ds_write2_b64 v254, v[0:1], v[2:3] offset0:54 offset1:55
	s_waitcnt vmcnt(6)
	ds_write2_b64 v254, v[112:113], v[114:115] offset0:56 offset1:57
	ds_read2_b64 v[124:127], v251 offset1:1
	s_waitcnt lgkmcnt(0)
	v_cmp_neq_f64_e32 vcc, 0, v[124:125]
	v_cmp_neq_f64_e64 s[2:3], 0, v[126:127]
	s_or_b64 s[2:3], vcc, s[2:3]
	s_and_b64 exec, exec, s[2:3]
	s_cbranch_execz .LBB57_26
; %bb.21:
	v_cmp_ngt_f64_e64 s[2:3], |v[124:125]|, |v[126:127]|
                                        ; implicit-def: $vgpr128_vgpr129
	s_and_saveexec_b64 s[10:11], s[2:3]
	s_xor_b64 s[2:3], exec, s[10:11]
                                        ; implicit-def: $vgpr130_vgpr131
	s_cbranch_execz .LBB57_23
; %bb.22:
	v_div_scale_f64 v[128:129], s[10:11], v[126:127], v[126:127], v[124:125]
	v_rcp_f64_e32 v[130:131], v[128:129]
	v_div_scale_f64 v[132:133], vcc, v[124:125], v[126:127], v[124:125]
	v_fma_f64 v[134:135], -v[128:129], v[130:131], 1.0
	v_fmac_f64_e32 v[130:131], v[130:131], v[134:135]
	v_fma_f64 v[134:135], -v[128:129], v[130:131], 1.0
	v_fmac_f64_e32 v[130:131], v[130:131], v[134:135]
	v_mul_f64 v[134:135], v[132:133], v[130:131]
	v_fma_f64 v[128:129], -v[128:129], v[134:135], v[132:133]
	v_div_fmas_f64 v[128:129], v[128:129], v[130:131], v[134:135]
	v_div_fixup_f64 v[128:129], v[128:129], v[126:127], v[124:125]
	v_fmac_f64_e32 v[126:127], v[124:125], v[128:129]
	v_div_scale_f64 v[124:125], s[10:11], v[126:127], v[126:127], 1.0
	v_rcp_f64_e32 v[130:131], v[124:125]
	s_nop 0
	v_fma_f64 v[132:133], -v[124:125], v[130:131], 1.0
	v_fmac_f64_e32 v[130:131], v[130:131], v[132:133]
	v_fma_f64 v[132:133], -v[124:125], v[130:131], 1.0
	v_fmac_f64_e32 v[130:131], v[130:131], v[132:133]
	v_div_scale_f64 v[132:133], vcc, 1.0, v[126:127], 1.0
	v_mul_f64 v[134:135], v[132:133], v[130:131]
	v_fma_f64 v[124:125], -v[124:125], v[134:135], v[132:133]
	s_nop 1
	v_div_fmas_f64 v[124:125], v[124:125], v[130:131], v[134:135]
	v_div_fixup_f64 v[130:131], v[124:125], v[126:127], 1.0
	v_mul_f64 v[128:129], v[128:129], v[130:131]
	v_xor_b32_e32 v131, 0x80000000, v131
                                        ; implicit-def: $vgpr124_vgpr125
.LBB57_23:
	s_andn2_saveexec_b64 s[2:3], s[2:3]
	s_cbranch_execz .LBB57_25
; %bb.24:
	v_div_scale_f64 v[128:129], s[10:11], v[124:125], v[124:125], v[126:127]
	v_rcp_f64_e32 v[130:131], v[128:129]
	v_div_scale_f64 v[132:133], vcc, v[126:127], v[124:125], v[126:127]
	v_fma_f64 v[134:135], -v[128:129], v[130:131], 1.0
	v_fmac_f64_e32 v[130:131], v[130:131], v[134:135]
	v_fma_f64 v[134:135], -v[128:129], v[130:131], 1.0
	v_fmac_f64_e32 v[130:131], v[130:131], v[134:135]
	v_mul_f64 v[134:135], v[132:133], v[130:131]
	v_fma_f64 v[128:129], -v[128:129], v[134:135], v[132:133]
	v_div_fmas_f64 v[128:129], v[128:129], v[130:131], v[134:135]
	v_div_fixup_f64 v[130:131], v[128:129], v[124:125], v[126:127]
	v_fmac_f64_e32 v[124:125], v[126:127], v[130:131]
	v_div_scale_f64 v[126:127], s[10:11], v[124:125], v[124:125], 1.0
	v_rcp_f64_e32 v[128:129], v[126:127]
	s_nop 0
	v_fma_f64 v[132:133], -v[126:127], v[128:129], 1.0
	v_fmac_f64_e32 v[128:129], v[128:129], v[132:133]
	v_fma_f64 v[132:133], -v[126:127], v[128:129], 1.0
	v_fmac_f64_e32 v[128:129], v[128:129], v[132:133]
	v_div_scale_f64 v[132:133], vcc, 1.0, v[124:125], 1.0
	v_mul_f64 v[134:135], v[132:133], v[128:129]
	v_fma_f64 v[126:127], -v[126:127], v[134:135], v[132:133]
	s_nop 1
	v_div_fmas_f64 v[126:127], v[126:127], v[128:129], v[134:135]
	v_div_fixup_f64 v[128:129], v[126:127], v[124:125], 1.0
	v_mul_f64 v[130:131], v[130:131], -v[128:129]
.LBB57_25:
	s_or_b64 exec, exec, s[2:3]
	ds_write2_b64 v251, v[128:129], v[130:131] offset1:1
.LBB57_26:
	s_or_b64 exec, exec, s[4:5]
	s_waitcnt lgkmcnt(0)
	s_barrier
	ds_read2_b64 v[124:127], v251 offset1:1
	v_cmp_lt_u32_e32 vcc, 2, v250
	s_and_saveexec_b64 s[2:3], vcc
	s_cbranch_execz .LBB57_28
; %bb.27:
	ds_read2_b64 v[130:133], v254 offset0:6 offset1:7
	ds_read2_b64 v[134:137], v254 offset0:8 offset1:9
	s_waitcnt vmcnt(46) lgkmcnt(2)
	v_mul_f64 v[128:129], v[126:127], v[102:103]
	v_mul_f64 v[102:103], v[124:125], v[102:103]
	v_fmac_f64_e32 v[102:103], v[126:127], v[100:101]
	v_fma_f64 v[128:129], v[124:125], v[100:101], -v[128:129]
	s_waitcnt lgkmcnt(1)
	v_mul_f64 v[100:101], v[132:133], v[102:103]
	v_fma_f64 v[100:101], v[130:131], v[128:129], -v[100:101]
	v_mul_f64 v[130:131], v[130:131], v[102:103]
	v_fmac_f64_e32 v[130:131], v[132:133], v[128:129]
	s_waitcnt vmcnt(45)
	v_add_f64 v[96:97], v[96:97], -v[100:101]
	v_add_f64 v[98:99], v[98:99], -v[130:131]
	s_waitcnt lgkmcnt(0)
	v_mul_f64 v[100:101], v[136:137], v[102:103]
	ds_read2_b64 v[130:133], v254 offset0:10 offset1:11
	v_fma_f64 v[100:101], v[134:135], v[128:129], -v[100:101]
	v_mul_f64 v[134:135], v[134:135], v[102:103]
	v_fmac_f64_e32 v[134:135], v[136:137], v[128:129]
	s_waitcnt vmcnt(44)
	v_add_f64 v[94:95], v[94:95], -v[134:135]
	ds_read2_b64 v[134:137], v254 offset0:12 offset1:13
	v_add_f64 v[92:93], v[92:93], -v[100:101]
	s_waitcnt lgkmcnt(1)
	v_mul_f64 v[100:101], v[132:133], v[102:103]
	v_fma_f64 v[100:101], v[130:131], v[128:129], -v[100:101]
	v_mul_f64 v[130:131], v[130:131], v[102:103]
	v_fmac_f64_e32 v[130:131], v[132:133], v[128:129]
	s_waitcnt vmcnt(43)
	v_add_f64 v[88:89], v[88:89], -v[100:101]
	v_add_f64 v[90:91], v[90:91], -v[130:131]
	s_waitcnt lgkmcnt(0)
	v_mul_f64 v[100:101], v[136:137], v[102:103]
	ds_read2_b64 v[130:133], v254 offset0:14 offset1:15
	v_fma_f64 v[100:101], v[134:135], v[128:129], -v[100:101]
	v_mul_f64 v[134:135], v[134:135], v[102:103]
	v_fmac_f64_e32 v[134:135], v[136:137], v[128:129]
	s_waitcnt vmcnt(42)
	v_add_f64 v[86:87], v[86:87], -v[134:135]
	ds_read2_b64 v[134:137], v254 offset0:16 offset1:17
	v_add_f64 v[84:85], v[84:85], -v[100:101]
	;; [unrolled: 18-line block ×12, first 2 shown]
	s_waitcnt lgkmcnt(1)
	v_mul_f64 v[100:101], v[132:133], v[102:103]
	v_fma_f64 v[100:101], v[130:131], v[128:129], -v[100:101]
	v_mul_f64 v[130:131], v[130:131], v[102:103]
	v_fmac_f64_e32 v[130:131], v[132:133], v[128:129]
	v_add_f64 v[0:1], v[0:1], -v[100:101]
	v_add_f64 v[2:3], v[2:3], -v[130:131]
	s_waitcnt lgkmcnt(0)
	v_mul_f64 v[100:101], v[136:137], v[102:103]
	v_mul_f64 v[130:131], v[134:135], v[102:103]
	v_fma_f64 v[100:101], v[134:135], v[128:129], -v[100:101]
	v_fmac_f64_e32 v[130:131], v[136:137], v[128:129]
	s_waitcnt vmcnt(6)
	v_add_f64 v[112:113], v[112:113], -v[100:101]
	v_add_f64 v[114:115], v[114:115], -v[130:131]
	v_mov_b64_e32 v[100:101], v[128:129]
.LBB57_28:
	s_or_b64 exec, exec, s[2:3]
	v_cmp_eq_u32_e32 vcc, 3, v250
	s_waitcnt lgkmcnt(0)
	s_barrier
	s_and_saveexec_b64 s[4:5], vcc
	s_cbranch_execz .LBB57_35
; %bb.29:
	s_waitcnt vmcnt(45)
	ds_write2_b64 v251, v[96:97], v[98:99] offset1:1
	s_waitcnt vmcnt(44)
	ds_write2_b64 v254, v[92:93], v[94:95] offset0:8 offset1:9
	s_waitcnt vmcnt(43)
	ds_write2_b64 v254, v[88:89], v[90:91] offset0:10 offset1:11
	s_waitcnt vmcnt(42)
	ds_write2_b64 v254, v[84:85], v[86:87] offset0:12 offset1:13
	s_waitcnt vmcnt(41)
	ds_write2_b64 v254, v[80:81], v[82:83] offset0:14 offset1:15
	s_waitcnt vmcnt(40)
	ds_write2_b64 v254, v[76:77], v[78:79] offset0:16 offset1:17
	s_waitcnt vmcnt(39)
	ds_write2_b64 v254, v[72:73], v[74:75] offset0:18 offset1:19
	s_waitcnt vmcnt(38)
	ds_write2_b64 v254, v[68:69], v[70:71] offset0:20 offset1:21
	s_waitcnt vmcnt(37)
	ds_write2_b64 v254, v[64:65], v[66:67] offset0:22 offset1:23
	s_waitcnt vmcnt(36)
	ds_write2_b64 v254, v[60:61], v[62:63] offset0:24 offset1:25
	s_waitcnt vmcnt(35)
	ds_write2_b64 v254, v[56:57], v[58:59] offset0:26 offset1:27
	s_waitcnt vmcnt(34)
	ds_write2_b64 v254, v[52:53], v[54:55] offset0:28 offset1:29
	s_waitcnt vmcnt(33)
	ds_write2_b64 v254, v[48:49], v[50:51] offset0:30 offset1:31
	s_waitcnt vmcnt(32)
	ds_write2_b64 v254, v[44:45], v[46:47] offset0:32 offset1:33
	s_waitcnt vmcnt(31)
	ds_write2_b64 v254, v[40:41], v[42:43] offset0:34 offset1:35
	s_waitcnt vmcnt(30)
	ds_write2_b64 v254, v[36:37], v[38:39] offset0:36 offset1:37
	s_waitcnt vmcnt(29)
	ds_write2_b64 v254, v[32:33], v[34:35] offset0:38 offset1:39
	s_waitcnt vmcnt(28)
	ds_write2_b64 v254, v[28:29], v[30:31] offset0:40 offset1:41
	s_waitcnt vmcnt(13)
	ds_write2_b64 v254, v[24:25], v[26:27] offset0:42 offset1:43
	s_waitcnt vmcnt(11)
	ds_write2_b64 v254, v[20:21], v[22:23] offset0:44 offset1:45
	s_waitcnt vmcnt(10)
	ds_write2_b64 v254, v[16:17], v[18:19] offset0:46 offset1:47
	s_waitcnt vmcnt(9)
	ds_write2_b64 v254, v[12:13], v[14:15] offset0:48 offset1:49
	s_waitcnt vmcnt(8)
	ds_write2_b64 v254, v[8:9], v[10:11] offset0:50 offset1:51
	s_waitcnt vmcnt(7)
	ds_write2_b64 v254, v[4:5], v[6:7] offset0:52 offset1:53
	ds_write2_b64 v254, v[0:1], v[2:3] offset0:54 offset1:55
	s_waitcnt vmcnt(6)
	ds_write2_b64 v254, v[112:113], v[114:115] offset0:56 offset1:57
	ds_read2_b64 v[128:131], v251 offset1:1
	s_waitcnt lgkmcnt(0)
	v_cmp_neq_f64_e32 vcc, 0, v[128:129]
	v_cmp_neq_f64_e64 s[2:3], 0, v[130:131]
	s_or_b64 s[2:3], vcc, s[2:3]
	s_and_b64 exec, exec, s[2:3]
	s_cbranch_execz .LBB57_35
; %bb.30:
	v_cmp_ngt_f64_e64 s[2:3], |v[128:129]|, |v[130:131]|
                                        ; implicit-def: $vgpr132_vgpr133
	s_and_saveexec_b64 s[10:11], s[2:3]
	s_xor_b64 s[2:3], exec, s[10:11]
                                        ; implicit-def: $vgpr134_vgpr135
	s_cbranch_execz .LBB57_32
; %bb.31:
	v_div_scale_f64 v[132:133], s[10:11], v[130:131], v[130:131], v[128:129]
	v_rcp_f64_e32 v[134:135], v[132:133]
	v_div_scale_f64 v[136:137], vcc, v[128:129], v[130:131], v[128:129]
	v_fma_f64 v[138:139], -v[132:133], v[134:135], 1.0
	v_fmac_f64_e32 v[134:135], v[134:135], v[138:139]
	v_fma_f64 v[138:139], -v[132:133], v[134:135], 1.0
	v_fmac_f64_e32 v[134:135], v[134:135], v[138:139]
	v_mul_f64 v[138:139], v[136:137], v[134:135]
	v_fma_f64 v[132:133], -v[132:133], v[138:139], v[136:137]
	v_div_fmas_f64 v[132:133], v[132:133], v[134:135], v[138:139]
	v_div_fixup_f64 v[132:133], v[132:133], v[130:131], v[128:129]
	v_fmac_f64_e32 v[130:131], v[128:129], v[132:133]
	v_div_scale_f64 v[128:129], s[10:11], v[130:131], v[130:131], 1.0
	v_rcp_f64_e32 v[134:135], v[128:129]
	s_nop 0
	v_fma_f64 v[136:137], -v[128:129], v[134:135], 1.0
	v_fmac_f64_e32 v[134:135], v[134:135], v[136:137]
	v_fma_f64 v[136:137], -v[128:129], v[134:135], 1.0
	v_fmac_f64_e32 v[134:135], v[134:135], v[136:137]
	v_div_scale_f64 v[136:137], vcc, 1.0, v[130:131], 1.0
	v_mul_f64 v[138:139], v[136:137], v[134:135]
	v_fma_f64 v[128:129], -v[128:129], v[138:139], v[136:137]
	s_nop 1
	v_div_fmas_f64 v[128:129], v[128:129], v[134:135], v[138:139]
	v_div_fixup_f64 v[134:135], v[128:129], v[130:131], 1.0
	v_mul_f64 v[132:133], v[132:133], v[134:135]
	v_xor_b32_e32 v135, 0x80000000, v135
                                        ; implicit-def: $vgpr128_vgpr129
.LBB57_32:
	s_andn2_saveexec_b64 s[2:3], s[2:3]
	s_cbranch_execz .LBB57_34
; %bb.33:
	v_div_scale_f64 v[132:133], s[10:11], v[128:129], v[128:129], v[130:131]
	v_rcp_f64_e32 v[134:135], v[132:133]
	v_div_scale_f64 v[136:137], vcc, v[130:131], v[128:129], v[130:131]
	v_fma_f64 v[138:139], -v[132:133], v[134:135], 1.0
	v_fmac_f64_e32 v[134:135], v[134:135], v[138:139]
	v_fma_f64 v[138:139], -v[132:133], v[134:135], 1.0
	v_fmac_f64_e32 v[134:135], v[134:135], v[138:139]
	v_mul_f64 v[138:139], v[136:137], v[134:135]
	v_fma_f64 v[132:133], -v[132:133], v[138:139], v[136:137]
	v_div_fmas_f64 v[132:133], v[132:133], v[134:135], v[138:139]
	v_div_fixup_f64 v[134:135], v[132:133], v[128:129], v[130:131]
	v_fmac_f64_e32 v[128:129], v[130:131], v[134:135]
	v_div_scale_f64 v[130:131], s[10:11], v[128:129], v[128:129], 1.0
	v_rcp_f64_e32 v[132:133], v[130:131]
	s_nop 0
	v_fma_f64 v[136:137], -v[130:131], v[132:133], 1.0
	v_fmac_f64_e32 v[132:133], v[132:133], v[136:137]
	v_fma_f64 v[136:137], -v[130:131], v[132:133], 1.0
	v_fmac_f64_e32 v[132:133], v[132:133], v[136:137]
	v_div_scale_f64 v[136:137], vcc, 1.0, v[128:129], 1.0
	v_mul_f64 v[138:139], v[136:137], v[132:133]
	v_fma_f64 v[130:131], -v[130:131], v[138:139], v[136:137]
	s_nop 1
	v_div_fmas_f64 v[130:131], v[130:131], v[132:133], v[138:139]
	v_div_fixup_f64 v[132:133], v[130:131], v[128:129], 1.0
	v_mul_f64 v[134:135], v[134:135], -v[132:133]
.LBB57_34:
	s_or_b64 exec, exec, s[2:3]
	ds_write2_b64 v251, v[132:133], v[134:135] offset1:1
.LBB57_35:
	s_or_b64 exec, exec, s[4:5]
	s_waitcnt lgkmcnt(0)
	s_barrier
	ds_read2_b64 v[128:131], v251 offset1:1
	v_cmp_lt_u32_e32 vcc, 3, v250
	s_and_saveexec_b64 s[2:3], vcc
	s_cbranch_execz .LBB57_37
; %bb.36:
	ds_read2_b64 v[134:137], v254 offset0:8 offset1:9
	ds_read2_b64 v[138:141], v254 offset0:10 offset1:11
	s_waitcnt vmcnt(45) lgkmcnt(2)
	v_mul_f64 v[132:133], v[130:131], v[98:99]
	v_mul_f64 v[98:99], v[128:129], v[98:99]
	v_fmac_f64_e32 v[98:99], v[130:131], v[96:97]
	v_fma_f64 v[132:133], v[128:129], v[96:97], -v[132:133]
	s_waitcnt lgkmcnt(1)
	v_mul_f64 v[96:97], v[136:137], v[98:99]
	v_fma_f64 v[96:97], v[134:135], v[132:133], -v[96:97]
	v_mul_f64 v[134:135], v[134:135], v[98:99]
	v_fmac_f64_e32 v[134:135], v[136:137], v[132:133]
	s_waitcnt vmcnt(44)
	v_add_f64 v[94:95], v[94:95], -v[134:135]
	ds_read2_b64 v[134:137], v254 offset0:12 offset1:13
	v_add_f64 v[92:93], v[92:93], -v[96:97]
	s_waitcnt lgkmcnt(1)
	v_mul_f64 v[96:97], v[140:141], v[98:99]
	v_fma_f64 v[96:97], v[138:139], v[132:133], -v[96:97]
	v_mul_f64 v[138:139], v[138:139], v[98:99]
	v_fmac_f64_e32 v[138:139], v[140:141], v[132:133]
	s_waitcnt vmcnt(43)
	v_add_f64 v[88:89], v[88:89], -v[96:97]
	v_add_f64 v[90:91], v[90:91], -v[138:139]
	ds_read2_b64 v[138:141], v254 offset0:14 offset1:15
	s_waitcnt lgkmcnt(1)
	v_mul_f64 v[96:97], v[136:137], v[98:99]
	v_fma_f64 v[96:97], v[134:135], v[132:133], -v[96:97]
	v_mul_f64 v[134:135], v[134:135], v[98:99]
	v_fmac_f64_e32 v[134:135], v[136:137], v[132:133]
	s_waitcnt vmcnt(42)
	v_add_f64 v[86:87], v[86:87], -v[134:135]
	ds_read2_b64 v[134:137], v254 offset0:16 offset1:17
	v_add_f64 v[84:85], v[84:85], -v[96:97]
	s_waitcnt lgkmcnt(1)
	v_mul_f64 v[96:97], v[140:141], v[98:99]
	v_fma_f64 v[96:97], v[138:139], v[132:133], -v[96:97]
	v_mul_f64 v[138:139], v[138:139], v[98:99]
	v_fmac_f64_e32 v[138:139], v[140:141], v[132:133]
	s_waitcnt vmcnt(41)
	v_add_f64 v[80:81], v[80:81], -v[96:97]
	v_add_f64 v[82:83], v[82:83], -v[138:139]
	ds_read2_b64 v[138:141], v254 offset0:18 offset1:19
	s_waitcnt lgkmcnt(1)
	v_mul_f64 v[96:97], v[136:137], v[98:99]
	v_fma_f64 v[96:97], v[134:135], v[132:133], -v[96:97]
	v_mul_f64 v[134:135], v[134:135], v[98:99]
	v_fmac_f64_e32 v[134:135], v[136:137], v[132:133]
	s_waitcnt vmcnt(40)
	v_add_f64 v[78:79], v[78:79], -v[134:135]
	ds_read2_b64 v[134:137], v254 offset0:20 offset1:21
	v_add_f64 v[76:77], v[76:77], -v[96:97]
	s_waitcnt lgkmcnt(1)
	v_mul_f64 v[96:97], v[140:141], v[98:99]
	v_fma_f64 v[96:97], v[138:139], v[132:133], -v[96:97]
	v_mul_f64 v[138:139], v[138:139], v[98:99]
	v_fmac_f64_e32 v[138:139], v[140:141], v[132:133]
	s_waitcnt vmcnt(39)
	v_add_f64 v[72:73], v[72:73], -v[96:97]
	v_add_f64 v[74:75], v[74:75], -v[138:139]
	ds_read2_b64 v[138:141], v254 offset0:22 offset1:23
	s_waitcnt lgkmcnt(1)
	v_mul_f64 v[96:97], v[136:137], v[98:99]
	v_fma_f64 v[96:97], v[134:135], v[132:133], -v[96:97]
	v_mul_f64 v[134:135], v[134:135], v[98:99]
	v_fmac_f64_e32 v[134:135], v[136:137], v[132:133]
	s_waitcnt vmcnt(38)
	v_add_f64 v[70:71], v[70:71], -v[134:135]
	ds_read2_b64 v[134:137], v254 offset0:24 offset1:25
	v_add_f64 v[68:69], v[68:69], -v[96:97]
	s_waitcnt lgkmcnt(1)
	v_mul_f64 v[96:97], v[140:141], v[98:99]
	v_fma_f64 v[96:97], v[138:139], v[132:133], -v[96:97]
	v_mul_f64 v[138:139], v[138:139], v[98:99]
	v_fmac_f64_e32 v[138:139], v[140:141], v[132:133]
	s_waitcnt vmcnt(37)
	v_add_f64 v[64:65], v[64:65], -v[96:97]
	v_add_f64 v[66:67], v[66:67], -v[138:139]
	ds_read2_b64 v[138:141], v254 offset0:26 offset1:27
	s_waitcnt lgkmcnt(1)
	v_mul_f64 v[96:97], v[136:137], v[98:99]
	v_fma_f64 v[96:97], v[134:135], v[132:133], -v[96:97]
	v_mul_f64 v[134:135], v[134:135], v[98:99]
	v_fmac_f64_e32 v[134:135], v[136:137], v[132:133]
	s_waitcnt vmcnt(36)
	v_add_f64 v[62:63], v[62:63], -v[134:135]
	ds_read2_b64 v[134:137], v254 offset0:28 offset1:29
	v_add_f64 v[60:61], v[60:61], -v[96:97]
	s_waitcnt lgkmcnt(1)
	v_mul_f64 v[96:97], v[140:141], v[98:99]
	v_fma_f64 v[96:97], v[138:139], v[132:133], -v[96:97]
	v_mul_f64 v[138:139], v[138:139], v[98:99]
	v_fmac_f64_e32 v[138:139], v[140:141], v[132:133]
	s_waitcnt vmcnt(35)
	v_add_f64 v[56:57], v[56:57], -v[96:97]
	v_add_f64 v[58:59], v[58:59], -v[138:139]
	ds_read2_b64 v[138:141], v254 offset0:30 offset1:31
	s_waitcnt lgkmcnt(1)
	v_mul_f64 v[96:97], v[136:137], v[98:99]
	v_fma_f64 v[96:97], v[134:135], v[132:133], -v[96:97]
	v_mul_f64 v[134:135], v[134:135], v[98:99]
	v_fmac_f64_e32 v[134:135], v[136:137], v[132:133]
	s_waitcnt vmcnt(34)
	v_add_f64 v[54:55], v[54:55], -v[134:135]
	ds_read2_b64 v[134:137], v254 offset0:32 offset1:33
	v_add_f64 v[52:53], v[52:53], -v[96:97]
	s_waitcnt lgkmcnt(1)
	v_mul_f64 v[96:97], v[140:141], v[98:99]
	v_fma_f64 v[96:97], v[138:139], v[132:133], -v[96:97]
	v_mul_f64 v[138:139], v[138:139], v[98:99]
	v_fmac_f64_e32 v[138:139], v[140:141], v[132:133]
	s_waitcnt vmcnt(33)
	v_add_f64 v[48:49], v[48:49], -v[96:97]
	v_add_f64 v[50:51], v[50:51], -v[138:139]
	ds_read2_b64 v[138:141], v254 offset0:34 offset1:35
	s_waitcnt lgkmcnt(1)
	v_mul_f64 v[96:97], v[136:137], v[98:99]
	v_fma_f64 v[96:97], v[134:135], v[132:133], -v[96:97]
	v_mul_f64 v[134:135], v[134:135], v[98:99]
	v_fmac_f64_e32 v[134:135], v[136:137], v[132:133]
	s_waitcnt vmcnt(32)
	v_add_f64 v[46:47], v[46:47], -v[134:135]
	ds_read2_b64 v[134:137], v254 offset0:36 offset1:37
	v_add_f64 v[44:45], v[44:45], -v[96:97]
	s_waitcnt lgkmcnt(1)
	v_mul_f64 v[96:97], v[140:141], v[98:99]
	v_fma_f64 v[96:97], v[138:139], v[132:133], -v[96:97]
	v_mul_f64 v[138:139], v[138:139], v[98:99]
	v_fmac_f64_e32 v[138:139], v[140:141], v[132:133]
	s_waitcnt vmcnt(31)
	v_add_f64 v[40:41], v[40:41], -v[96:97]
	v_add_f64 v[42:43], v[42:43], -v[138:139]
	ds_read2_b64 v[138:141], v254 offset0:38 offset1:39
	s_waitcnt lgkmcnt(1)
	v_mul_f64 v[96:97], v[136:137], v[98:99]
	v_fma_f64 v[96:97], v[134:135], v[132:133], -v[96:97]
	v_mul_f64 v[134:135], v[134:135], v[98:99]
	v_fmac_f64_e32 v[134:135], v[136:137], v[132:133]
	s_waitcnt vmcnt(30)
	v_add_f64 v[38:39], v[38:39], -v[134:135]
	ds_read2_b64 v[134:137], v254 offset0:40 offset1:41
	v_add_f64 v[36:37], v[36:37], -v[96:97]
	s_waitcnt lgkmcnt(1)
	v_mul_f64 v[96:97], v[140:141], v[98:99]
	v_fma_f64 v[96:97], v[138:139], v[132:133], -v[96:97]
	v_mul_f64 v[138:139], v[138:139], v[98:99]
	v_fmac_f64_e32 v[138:139], v[140:141], v[132:133]
	s_waitcnt vmcnt(29)
	v_add_f64 v[32:33], v[32:33], -v[96:97]
	v_add_f64 v[34:35], v[34:35], -v[138:139]
	ds_read2_b64 v[138:141], v254 offset0:42 offset1:43
	s_waitcnt lgkmcnt(1)
	v_mul_f64 v[96:97], v[136:137], v[98:99]
	v_fma_f64 v[96:97], v[134:135], v[132:133], -v[96:97]
	v_mul_f64 v[134:135], v[134:135], v[98:99]
	v_fmac_f64_e32 v[134:135], v[136:137], v[132:133]
	s_waitcnt vmcnt(28)
	v_add_f64 v[30:31], v[30:31], -v[134:135]
	ds_read2_b64 v[134:137], v254 offset0:44 offset1:45
	v_add_f64 v[28:29], v[28:29], -v[96:97]
	s_waitcnt lgkmcnt(1)
	v_mul_f64 v[96:97], v[140:141], v[98:99]
	v_fma_f64 v[96:97], v[138:139], v[132:133], -v[96:97]
	v_mul_f64 v[138:139], v[138:139], v[98:99]
	v_fmac_f64_e32 v[138:139], v[140:141], v[132:133]
	s_waitcnt vmcnt(13)
	v_add_f64 v[24:25], v[24:25], -v[96:97]
	v_add_f64 v[26:27], v[26:27], -v[138:139]
	ds_read2_b64 v[138:141], v254 offset0:46 offset1:47
	s_waitcnt lgkmcnt(1)
	v_mul_f64 v[96:97], v[136:137], v[98:99]
	v_fma_f64 v[96:97], v[134:135], v[132:133], -v[96:97]
	v_mul_f64 v[134:135], v[134:135], v[98:99]
	v_fmac_f64_e32 v[134:135], v[136:137], v[132:133]
	s_waitcnt vmcnt(11)
	v_add_f64 v[22:23], v[22:23], -v[134:135]
	ds_read2_b64 v[134:137], v254 offset0:48 offset1:49
	v_add_f64 v[20:21], v[20:21], -v[96:97]
	s_waitcnt lgkmcnt(1)
	v_mul_f64 v[96:97], v[140:141], v[98:99]
	v_fma_f64 v[96:97], v[138:139], v[132:133], -v[96:97]
	v_mul_f64 v[138:139], v[138:139], v[98:99]
	v_fmac_f64_e32 v[138:139], v[140:141], v[132:133]
	s_waitcnt vmcnt(10)
	v_add_f64 v[16:17], v[16:17], -v[96:97]
	v_add_f64 v[18:19], v[18:19], -v[138:139]
	ds_read2_b64 v[138:141], v254 offset0:50 offset1:51
	s_waitcnt lgkmcnt(1)
	v_mul_f64 v[96:97], v[136:137], v[98:99]
	v_fma_f64 v[96:97], v[134:135], v[132:133], -v[96:97]
	v_mul_f64 v[134:135], v[134:135], v[98:99]
	v_fmac_f64_e32 v[134:135], v[136:137], v[132:133]
	s_waitcnt vmcnt(9)
	v_add_f64 v[14:15], v[14:15], -v[134:135]
	ds_read2_b64 v[134:137], v254 offset0:52 offset1:53
	v_add_f64 v[12:13], v[12:13], -v[96:97]
	s_waitcnt lgkmcnt(1)
	v_mul_f64 v[96:97], v[140:141], v[98:99]
	v_fma_f64 v[96:97], v[138:139], v[132:133], -v[96:97]
	v_mul_f64 v[138:139], v[138:139], v[98:99]
	v_fmac_f64_e32 v[138:139], v[140:141], v[132:133]
	s_waitcnt vmcnt(8)
	v_add_f64 v[8:9], v[8:9], -v[96:97]
	v_add_f64 v[10:11], v[10:11], -v[138:139]
	ds_read2_b64 v[138:141], v254 offset0:54 offset1:55
	s_waitcnt lgkmcnt(1)
	v_mul_f64 v[96:97], v[136:137], v[98:99]
	v_fma_f64 v[96:97], v[134:135], v[132:133], -v[96:97]
	v_mul_f64 v[134:135], v[134:135], v[98:99]
	v_fmac_f64_e32 v[134:135], v[136:137], v[132:133]
	s_waitcnt vmcnt(7)
	v_add_f64 v[6:7], v[6:7], -v[134:135]
	ds_read2_b64 v[134:137], v254 offset0:56 offset1:57
	v_add_f64 v[4:5], v[4:5], -v[96:97]
	s_waitcnt lgkmcnt(1)
	v_mul_f64 v[96:97], v[140:141], v[98:99]
	v_fma_f64 v[96:97], v[138:139], v[132:133], -v[96:97]
	v_add_f64 v[0:1], v[0:1], -v[96:97]
	s_waitcnt lgkmcnt(0)
	v_mul_f64 v[96:97], v[136:137], v[98:99]
	v_mul_f64 v[138:139], v[138:139], v[98:99]
	v_fma_f64 v[96:97], v[134:135], v[132:133], -v[96:97]
	v_mul_f64 v[134:135], v[134:135], v[98:99]
	v_fmac_f64_e32 v[138:139], v[140:141], v[132:133]
	v_fmac_f64_e32 v[134:135], v[136:137], v[132:133]
	v_add_f64 v[2:3], v[2:3], -v[138:139]
	s_waitcnt vmcnt(6)
	v_add_f64 v[112:113], v[112:113], -v[96:97]
	v_add_f64 v[114:115], v[114:115], -v[134:135]
	v_mov_b64_e32 v[96:97], v[132:133]
.LBB57_37:
	s_or_b64 exec, exec, s[2:3]
	v_cmp_eq_u32_e32 vcc, 4, v250
	s_waitcnt lgkmcnt(0)
	s_barrier
	s_and_saveexec_b64 s[4:5], vcc
	s_cbranch_execz .LBB57_44
; %bb.38:
	s_waitcnt vmcnt(44)
	ds_write2_b64 v251, v[92:93], v[94:95] offset1:1
	s_waitcnt vmcnt(43)
	ds_write2_b64 v254, v[88:89], v[90:91] offset0:10 offset1:11
	s_waitcnt vmcnt(42)
	ds_write2_b64 v254, v[84:85], v[86:87] offset0:12 offset1:13
	;; [unrolled: 2-line block ×22, first 2 shown]
	ds_write2_b64 v254, v[0:1], v[2:3] offset0:54 offset1:55
	s_waitcnt vmcnt(6)
	ds_write2_b64 v254, v[112:113], v[114:115] offset0:56 offset1:57
	ds_read2_b64 v[132:135], v251 offset1:1
	s_waitcnt lgkmcnt(0)
	v_cmp_neq_f64_e32 vcc, 0, v[132:133]
	v_cmp_neq_f64_e64 s[2:3], 0, v[134:135]
	s_or_b64 s[2:3], vcc, s[2:3]
	s_and_b64 exec, exec, s[2:3]
	s_cbranch_execz .LBB57_44
; %bb.39:
	v_cmp_ngt_f64_e64 s[2:3], |v[132:133]|, |v[134:135]|
                                        ; implicit-def: $vgpr136_vgpr137
	s_and_saveexec_b64 s[10:11], s[2:3]
	s_xor_b64 s[2:3], exec, s[10:11]
                                        ; implicit-def: $vgpr138_vgpr139
	s_cbranch_execz .LBB57_41
; %bb.40:
	v_div_scale_f64 v[136:137], s[10:11], v[134:135], v[134:135], v[132:133]
	v_rcp_f64_e32 v[138:139], v[136:137]
	v_div_scale_f64 v[140:141], vcc, v[132:133], v[134:135], v[132:133]
	v_fma_f64 v[142:143], -v[136:137], v[138:139], 1.0
	v_fmac_f64_e32 v[138:139], v[138:139], v[142:143]
	v_fma_f64 v[142:143], -v[136:137], v[138:139], 1.0
	v_fmac_f64_e32 v[138:139], v[138:139], v[142:143]
	v_mul_f64 v[142:143], v[140:141], v[138:139]
	v_fma_f64 v[136:137], -v[136:137], v[142:143], v[140:141]
	v_div_fmas_f64 v[136:137], v[136:137], v[138:139], v[142:143]
	v_div_fixup_f64 v[136:137], v[136:137], v[134:135], v[132:133]
	v_fmac_f64_e32 v[134:135], v[132:133], v[136:137]
	v_div_scale_f64 v[132:133], s[10:11], v[134:135], v[134:135], 1.0
	v_rcp_f64_e32 v[138:139], v[132:133]
	s_nop 0
	v_fma_f64 v[140:141], -v[132:133], v[138:139], 1.0
	v_fmac_f64_e32 v[138:139], v[138:139], v[140:141]
	v_fma_f64 v[140:141], -v[132:133], v[138:139], 1.0
	v_fmac_f64_e32 v[138:139], v[138:139], v[140:141]
	v_div_scale_f64 v[140:141], vcc, 1.0, v[134:135], 1.0
	v_mul_f64 v[142:143], v[140:141], v[138:139]
	v_fma_f64 v[132:133], -v[132:133], v[142:143], v[140:141]
	s_nop 1
	v_div_fmas_f64 v[132:133], v[132:133], v[138:139], v[142:143]
	v_div_fixup_f64 v[138:139], v[132:133], v[134:135], 1.0
	v_mul_f64 v[136:137], v[136:137], v[138:139]
	v_xor_b32_e32 v139, 0x80000000, v139
                                        ; implicit-def: $vgpr132_vgpr133
.LBB57_41:
	s_andn2_saveexec_b64 s[2:3], s[2:3]
	s_cbranch_execz .LBB57_43
; %bb.42:
	v_div_scale_f64 v[136:137], s[10:11], v[132:133], v[132:133], v[134:135]
	v_rcp_f64_e32 v[138:139], v[136:137]
	v_div_scale_f64 v[140:141], vcc, v[134:135], v[132:133], v[134:135]
	v_fma_f64 v[142:143], -v[136:137], v[138:139], 1.0
	v_fmac_f64_e32 v[138:139], v[138:139], v[142:143]
	v_fma_f64 v[142:143], -v[136:137], v[138:139], 1.0
	v_fmac_f64_e32 v[138:139], v[138:139], v[142:143]
	v_mul_f64 v[142:143], v[140:141], v[138:139]
	v_fma_f64 v[136:137], -v[136:137], v[142:143], v[140:141]
	v_div_fmas_f64 v[136:137], v[136:137], v[138:139], v[142:143]
	v_div_fixup_f64 v[138:139], v[136:137], v[132:133], v[134:135]
	v_fmac_f64_e32 v[132:133], v[134:135], v[138:139]
	v_div_scale_f64 v[134:135], s[10:11], v[132:133], v[132:133], 1.0
	v_rcp_f64_e32 v[136:137], v[134:135]
	s_nop 0
	v_fma_f64 v[140:141], -v[134:135], v[136:137], 1.0
	v_fmac_f64_e32 v[136:137], v[136:137], v[140:141]
	v_fma_f64 v[140:141], -v[134:135], v[136:137], 1.0
	v_fmac_f64_e32 v[136:137], v[136:137], v[140:141]
	v_div_scale_f64 v[140:141], vcc, 1.0, v[132:133], 1.0
	v_mul_f64 v[142:143], v[140:141], v[136:137]
	v_fma_f64 v[134:135], -v[134:135], v[142:143], v[140:141]
	s_nop 1
	v_div_fmas_f64 v[134:135], v[134:135], v[136:137], v[142:143]
	v_div_fixup_f64 v[136:137], v[134:135], v[132:133], 1.0
	v_mul_f64 v[138:139], v[138:139], -v[136:137]
.LBB57_43:
	s_or_b64 exec, exec, s[2:3]
	ds_write2_b64 v251, v[136:137], v[138:139] offset1:1
.LBB57_44:
	s_or_b64 exec, exec, s[4:5]
	s_waitcnt lgkmcnt(0)
	s_barrier
	ds_read2_b64 v[132:135], v251 offset1:1
	v_cmp_lt_u32_e32 vcc, 4, v250
	s_and_saveexec_b64 s[2:3], vcc
	s_cbranch_execz .LBB57_46
; %bb.45:
	ds_read2_b64 v[138:141], v254 offset0:10 offset1:11
	ds_read2_b64 v[142:145], v254 offset0:12 offset1:13
	s_waitcnt vmcnt(44) lgkmcnt(2)
	v_mul_f64 v[136:137], v[134:135], v[94:95]
	v_mul_f64 v[94:95], v[132:133], v[94:95]
	v_fmac_f64_e32 v[94:95], v[134:135], v[92:93]
	v_fma_f64 v[136:137], v[132:133], v[92:93], -v[136:137]
	s_waitcnt lgkmcnt(1)
	v_mul_f64 v[92:93], v[140:141], v[94:95]
	v_fma_f64 v[92:93], v[138:139], v[136:137], -v[92:93]
	v_mul_f64 v[138:139], v[138:139], v[94:95]
	v_fmac_f64_e32 v[138:139], v[140:141], v[136:137]
	s_waitcnt vmcnt(43)
	v_add_f64 v[88:89], v[88:89], -v[92:93]
	v_add_f64 v[90:91], v[90:91], -v[138:139]
	s_waitcnt lgkmcnt(0)
	v_mul_f64 v[92:93], v[144:145], v[94:95]
	ds_read2_b64 v[138:141], v254 offset0:14 offset1:15
	v_fma_f64 v[92:93], v[142:143], v[136:137], -v[92:93]
	v_mul_f64 v[142:143], v[142:143], v[94:95]
	v_fmac_f64_e32 v[142:143], v[144:145], v[136:137]
	s_waitcnt vmcnt(42)
	v_add_f64 v[86:87], v[86:87], -v[142:143]
	ds_read2_b64 v[142:145], v254 offset0:16 offset1:17
	v_add_f64 v[84:85], v[84:85], -v[92:93]
	s_waitcnt lgkmcnt(1)
	v_mul_f64 v[92:93], v[140:141], v[94:95]
	v_fma_f64 v[92:93], v[138:139], v[136:137], -v[92:93]
	v_mul_f64 v[138:139], v[138:139], v[94:95]
	v_fmac_f64_e32 v[138:139], v[140:141], v[136:137]
	s_waitcnt vmcnt(41)
	v_add_f64 v[80:81], v[80:81], -v[92:93]
	v_add_f64 v[82:83], v[82:83], -v[138:139]
	s_waitcnt lgkmcnt(0)
	v_mul_f64 v[92:93], v[144:145], v[94:95]
	ds_read2_b64 v[138:141], v254 offset0:18 offset1:19
	v_fma_f64 v[92:93], v[142:143], v[136:137], -v[92:93]
	v_mul_f64 v[142:143], v[142:143], v[94:95]
	v_fmac_f64_e32 v[142:143], v[144:145], v[136:137]
	s_waitcnt vmcnt(40)
	v_add_f64 v[78:79], v[78:79], -v[142:143]
	ds_read2_b64 v[142:145], v254 offset0:20 offset1:21
	v_add_f64 v[76:77], v[76:77], -v[92:93]
	s_waitcnt lgkmcnt(1)
	v_mul_f64 v[92:93], v[140:141], v[94:95]
	v_fma_f64 v[92:93], v[138:139], v[136:137], -v[92:93]
	v_mul_f64 v[138:139], v[138:139], v[94:95]
	v_fmac_f64_e32 v[138:139], v[140:141], v[136:137]
	s_waitcnt vmcnt(39)
	v_add_f64 v[72:73], v[72:73], -v[92:93]
	v_add_f64 v[74:75], v[74:75], -v[138:139]
	s_waitcnt lgkmcnt(0)
	v_mul_f64 v[92:93], v[144:145], v[94:95]
	ds_read2_b64 v[138:141], v254 offset0:22 offset1:23
	v_fma_f64 v[92:93], v[142:143], v[136:137], -v[92:93]
	v_mul_f64 v[142:143], v[142:143], v[94:95]
	v_fmac_f64_e32 v[142:143], v[144:145], v[136:137]
	s_waitcnt vmcnt(38)
	v_add_f64 v[70:71], v[70:71], -v[142:143]
	ds_read2_b64 v[142:145], v254 offset0:24 offset1:25
	v_add_f64 v[68:69], v[68:69], -v[92:93]
	s_waitcnt lgkmcnt(1)
	v_mul_f64 v[92:93], v[140:141], v[94:95]
	v_fma_f64 v[92:93], v[138:139], v[136:137], -v[92:93]
	v_mul_f64 v[138:139], v[138:139], v[94:95]
	v_fmac_f64_e32 v[138:139], v[140:141], v[136:137]
	s_waitcnt vmcnt(37)
	v_add_f64 v[64:65], v[64:65], -v[92:93]
	v_add_f64 v[66:67], v[66:67], -v[138:139]
	s_waitcnt lgkmcnt(0)
	v_mul_f64 v[92:93], v[144:145], v[94:95]
	ds_read2_b64 v[138:141], v254 offset0:26 offset1:27
	v_fma_f64 v[92:93], v[142:143], v[136:137], -v[92:93]
	v_mul_f64 v[142:143], v[142:143], v[94:95]
	v_fmac_f64_e32 v[142:143], v[144:145], v[136:137]
	s_waitcnt vmcnt(36)
	v_add_f64 v[62:63], v[62:63], -v[142:143]
	ds_read2_b64 v[142:145], v254 offset0:28 offset1:29
	v_add_f64 v[60:61], v[60:61], -v[92:93]
	s_waitcnt lgkmcnt(1)
	v_mul_f64 v[92:93], v[140:141], v[94:95]
	v_fma_f64 v[92:93], v[138:139], v[136:137], -v[92:93]
	v_mul_f64 v[138:139], v[138:139], v[94:95]
	v_fmac_f64_e32 v[138:139], v[140:141], v[136:137]
	s_waitcnt vmcnt(35)
	v_add_f64 v[56:57], v[56:57], -v[92:93]
	v_add_f64 v[58:59], v[58:59], -v[138:139]
	s_waitcnt lgkmcnt(0)
	v_mul_f64 v[92:93], v[144:145], v[94:95]
	ds_read2_b64 v[138:141], v254 offset0:30 offset1:31
	v_fma_f64 v[92:93], v[142:143], v[136:137], -v[92:93]
	v_mul_f64 v[142:143], v[142:143], v[94:95]
	v_fmac_f64_e32 v[142:143], v[144:145], v[136:137]
	s_waitcnt vmcnt(34)
	v_add_f64 v[54:55], v[54:55], -v[142:143]
	ds_read2_b64 v[142:145], v254 offset0:32 offset1:33
	v_add_f64 v[52:53], v[52:53], -v[92:93]
	s_waitcnt lgkmcnt(1)
	v_mul_f64 v[92:93], v[140:141], v[94:95]
	v_fma_f64 v[92:93], v[138:139], v[136:137], -v[92:93]
	v_mul_f64 v[138:139], v[138:139], v[94:95]
	v_fmac_f64_e32 v[138:139], v[140:141], v[136:137]
	s_waitcnt vmcnt(33)
	v_add_f64 v[48:49], v[48:49], -v[92:93]
	v_add_f64 v[50:51], v[50:51], -v[138:139]
	s_waitcnt lgkmcnt(0)
	v_mul_f64 v[92:93], v[144:145], v[94:95]
	ds_read2_b64 v[138:141], v254 offset0:34 offset1:35
	v_fma_f64 v[92:93], v[142:143], v[136:137], -v[92:93]
	v_mul_f64 v[142:143], v[142:143], v[94:95]
	v_fmac_f64_e32 v[142:143], v[144:145], v[136:137]
	s_waitcnt vmcnt(32)
	v_add_f64 v[46:47], v[46:47], -v[142:143]
	ds_read2_b64 v[142:145], v254 offset0:36 offset1:37
	v_add_f64 v[44:45], v[44:45], -v[92:93]
	s_waitcnt lgkmcnt(1)
	v_mul_f64 v[92:93], v[140:141], v[94:95]
	v_fma_f64 v[92:93], v[138:139], v[136:137], -v[92:93]
	v_mul_f64 v[138:139], v[138:139], v[94:95]
	v_fmac_f64_e32 v[138:139], v[140:141], v[136:137]
	s_waitcnt vmcnt(31)
	v_add_f64 v[40:41], v[40:41], -v[92:93]
	v_add_f64 v[42:43], v[42:43], -v[138:139]
	s_waitcnt lgkmcnt(0)
	v_mul_f64 v[92:93], v[144:145], v[94:95]
	ds_read2_b64 v[138:141], v254 offset0:38 offset1:39
	v_fma_f64 v[92:93], v[142:143], v[136:137], -v[92:93]
	v_mul_f64 v[142:143], v[142:143], v[94:95]
	v_fmac_f64_e32 v[142:143], v[144:145], v[136:137]
	s_waitcnt vmcnt(30)
	v_add_f64 v[38:39], v[38:39], -v[142:143]
	ds_read2_b64 v[142:145], v254 offset0:40 offset1:41
	v_add_f64 v[36:37], v[36:37], -v[92:93]
	s_waitcnt lgkmcnt(1)
	v_mul_f64 v[92:93], v[140:141], v[94:95]
	v_fma_f64 v[92:93], v[138:139], v[136:137], -v[92:93]
	v_mul_f64 v[138:139], v[138:139], v[94:95]
	v_fmac_f64_e32 v[138:139], v[140:141], v[136:137]
	s_waitcnt vmcnt(29)
	v_add_f64 v[32:33], v[32:33], -v[92:93]
	v_add_f64 v[34:35], v[34:35], -v[138:139]
	s_waitcnt lgkmcnt(0)
	v_mul_f64 v[92:93], v[144:145], v[94:95]
	ds_read2_b64 v[138:141], v254 offset0:42 offset1:43
	v_fma_f64 v[92:93], v[142:143], v[136:137], -v[92:93]
	v_mul_f64 v[142:143], v[142:143], v[94:95]
	v_fmac_f64_e32 v[142:143], v[144:145], v[136:137]
	s_waitcnt vmcnt(28)
	v_add_f64 v[30:31], v[30:31], -v[142:143]
	ds_read2_b64 v[142:145], v254 offset0:44 offset1:45
	v_add_f64 v[28:29], v[28:29], -v[92:93]
	s_waitcnt lgkmcnt(1)
	v_mul_f64 v[92:93], v[140:141], v[94:95]
	v_fma_f64 v[92:93], v[138:139], v[136:137], -v[92:93]
	v_mul_f64 v[138:139], v[138:139], v[94:95]
	v_fmac_f64_e32 v[138:139], v[140:141], v[136:137]
	s_waitcnt vmcnt(13)
	v_add_f64 v[24:25], v[24:25], -v[92:93]
	v_add_f64 v[26:27], v[26:27], -v[138:139]
	s_waitcnt lgkmcnt(0)
	v_mul_f64 v[92:93], v[144:145], v[94:95]
	ds_read2_b64 v[138:141], v254 offset0:46 offset1:47
	v_fma_f64 v[92:93], v[142:143], v[136:137], -v[92:93]
	v_mul_f64 v[142:143], v[142:143], v[94:95]
	v_fmac_f64_e32 v[142:143], v[144:145], v[136:137]
	s_waitcnt vmcnt(11)
	v_add_f64 v[22:23], v[22:23], -v[142:143]
	ds_read2_b64 v[142:145], v254 offset0:48 offset1:49
	v_add_f64 v[20:21], v[20:21], -v[92:93]
	s_waitcnt lgkmcnt(1)
	v_mul_f64 v[92:93], v[140:141], v[94:95]
	v_fma_f64 v[92:93], v[138:139], v[136:137], -v[92:93]
	v_mul_f64 v[138:139], v[138:139], v[94:95]
	v_fmac_f64_e32 v[138:139], v[140:141], v[136:137]
	s_waitcnt vmcnt(10)
	v_add_f64 v[16:17], v[16:17], -v[92:93]
	v_add_f64 v[18:19], v[18:19], -v[138:139]
	s_waitcnt lgkmcnt(0)
	v_mul_f64 v[92:93], v[144:145], v[94:95]
	ds_read2_b64 v[138:141], v254 offset0:50 offset1:51
	v_fma_f64 v[92:93], v[142:143], v[136:137], -v[92:93]
	v_mul_f64 v[142:143], v[142:143], v[94:95]
	v_fmac_f64_e32 v[142:143], v[144:145], v[136:137]
	s_waitcnt vmcnt(9)
	v_add_f64 v[14:15], v[14:15], -v[142:143]
	ds_read2_b64 v[142:145], v254 offset0:52 offset1:53
	v_add_f64 v[12:13], v[12:13], -v[92:93]
	s_waitcnt lgkmcnt(1)
	v_mul_f64 v[92:93], v[140:141], v[94:95]
	v_fma_f64 v[92:93], v[138:139], v[136:137], -v[92:93]
	v_mul_f64 v[138:139], v[138:139], v[94:95]
	v_fmac_f64_e32 v[138:139], v[140:141], v[136:137]
	s_waitcnt vmcnt(8)
	v_add_f64 v[8:9], v[8:9], -v[92:93]
	v_add_f64 v[10:11], v[10:11], -v[138:139]
	s_waitcnt lgkmcnt(0)
	v_mul_f64 v[92:93], v[144:145], v[94:95]
	ds_read2_b64 v[138:141], v254 offset0:54 offset1:55
	v_fma_f64 v[92:93], v[142:143], v[136:137], -v[92:93]
	v_mul_f64 v[142:143], v[142:143], v[94:95]
	v_fmac_f64_e32 v[142:143], v[144:145], v[136:137]
	s_waitcnt vmcnt(7)
	v_add_f64 v[6:7], v[6:7], -v[142:143]
	ds_read2_b64 v[142:145], v254 offset0:56 offset1:57
	v_add_f64 v[4:5], v[4:5], -v[92:93]
	s_waitcnt lgkmcnt(1)
	v_mul_f64 v[92:93], v[140:141], v[94:95]
	v_fma_f64 v[92:93], v[138:139], v[136:137], -v[92:93]
	v_mul_f64 v[138:139], v[138:139], v[94:95]
	v_fmac_f64_e32 v[138:139], v[140:141], v[136:137]
	v_add_f64 v[0:1], v[0:1], -v[92:93]
	v_add_f64 v[2:3], v[2:3], -v[138:139]
	s_waitcnt lgkmcnt(0)
	v_mul_f64 v[92:93], v[144:145], v[94:95]
	v_mul_f64 v[138:139], v[142:143], v[94:95]
	v_fma_f64 v[92:93], v[142:143], v[136:137], -v[92:93]
	v_fmac_f64_e32 v[138:139], v[144:145], v[136:137]
	s_waitcnt vmcnt(6)
	v_add_f64 v[112:113], v[112:113], -v[92:93]
	v_add_f64 v[114:115], v[114:115], -v[138:139]
	v_mov_b64_e32 v[92:93], v[136:137]
.LBB57_46:
	s_or_b64 exec, exec, s[2:3]
	v_cmp_eq_u32_e32 vcc, 5, v250
	s_waitcnt lgkmcnt(0)
	s_barrier
	s_and_saveexec_b64 s[4:5], vcc
	s_cbranch_execz .LBB57_53
; %bb.47:
	s_waitcnt vmcnt(43)
	ds_write2_b64 v251, v[88:89], v[90:91] offset1:1
	s_waitcnt vmcnt(42)
	ds_write2_b64 v254, v[84:85], v[86:87] offset0:12 offset1:13
	s_waitcnt vmcnt(41)
	ds_write2_b64 v254, v[80:81], v[82:83] offset0:14 offset1:15
	;; [unrolled: 2-line block ×21, first 2 shown]
	ds_write2_b64 v254, v[0:1], v[2:3] offset0:54 offset1:55
	s_waitcnt vmcnt(6)
	ds_write2_b64 v254, v[112:113], v[114:115] offset0:56 offset1:57
	ds_read2_b64 v[136:139], v251 offset1:1
	s_waitcnt lgkmcnt(0)
	v_cmp_neq_f64_e32 vcc, 0, v[136:137]
	v_cmp_neq_f64_e64 s[2:3], 0, v[138:139]
	s_or_b64 s[2:3], vcc, s[2:3]
	s_and_b64 exec, exec, s[2:3]
	s_cbranch_execz .LBB57_53
; %bb.48:
	v_cmp_ngt_f64_e64 s[2:3], |v[136:137]|, |v[138:139]|
                                        ; implicit-def: $vgpr140_vgpr141
	s_and_saveexec_b64 s[10:11], s[2:3]
	s_xor_b64 s[2:3], exec, s[10:11]
                                        ; implicit-def: $vgpr142_vgpr143
	s_cbranch_execz .LBB57_50
; %bb.49:
	v_div_scale_f64 v[140:141], s[10:11], v[138:139], v[138:139], v[136:137]
	v_rcp_f64_e32 v[142:143], v[140:141]
	v_div_scale_f64 v[144:145], vcc, v[136:137], v[138:139], v[136:137]
	v_fma_f64 v[146:147], -v[140:141], v[142:143], 1.0
	v_fmac_f64_e32 v[142:143], v[142:143], v[146:147]
	v_fma_f64 v[146:147], -v[140:141], v[142:143], 1.0
	v_fmac_f64_e32 v[142:143], v[142:143], v[146:147]
	v_mul_f64 v[146:147], v[144:145], v[142:143]
	v_fma_f64 v[140:141], -v[140:141], v[146:147], v[144:145]
	v_div_fmas_f64 v[140:141], v[140:141], v[142:143], v[146:147]
	v_div_fixup_f64 v[140:141], v[140:141], v[138:139], v[136:137]
	v_fmac_f64_e32 v[138:139], v[136:137], v[140:141]
	v_div_scale_f64 v[136:137], s[10:11], v[138:139], v[138:139], 1.0
	v_rcp_f64_e32 v[142:143], v[136:137]
	s_nop 0
	v_fma_f64 v[144:145], -v[136:137], v[142:143], 1.0
	v_fmac_f64_e32 v[142:143], v[142:143], v[144:145]
	v_fma_f64 v[144:145], -v[136:137], v[142:143], 1.0
	v_fmac_f64_e32 v[142:143], v[142:143], v[144:145]
	v_div_scale_f64 v[144:145], vcc, 1.0, v[138:139], 1.0
	v_mul_f64 v[146:147], v[144:145], v[142:143]
	v_fma_f64 v[136:137], -v[136:137], v[146:147], v[144:145]
	s_nop 1
	v_div_fmas_f64 v[136:137], v[136:137], v[142:143], v[146:147]
	v_div_fixup_f64 v[142:143], v[136:137], v[138:139], 1.0
	v_mul_f64 v[140:141], v[140:141], v[142:143]
	v_xor_b32_e32 v143, 0x80000000, v143
                                        ; implicit-def: $vgpr136_vgpr137
.LBB57_50:
	s_andn2_saveexec_b64 s[2:3], s[2:3]
	s_cbranch_execz .LBB57_52
; %bb.51:
	v_div_scale_f64 v[140:141], s[10:11], v[136:137], v[136:137], v[138:139]
	v_rcp_f64_e32 v[142:143], v[140:141]
	v_div_scale_f64 v[144:145], vcc, v[138:139], v[136:137], v[138:139]
	v_fma_f64 v[146:147], -v[140:141], v[142:143], 1.0
	v_fmac_f64_e32 v[142:143], v[142:143], v[146:147]
	v_fma_f64 v[146:147], -v[140:141], v[142:143], 1.0
	v_fmac_f64_e32 v[142:143], v[142:143], v[146:147]
	v_mul_f64 v[146:147], v[144:145], v[142:143]
	v_fma_f64 v[140:141], -v[140:141], v[146:147], v[144:145]
	v_div_fmas_f64 v[140:141], v[140:141], v[142:143], v[146:147]
	v_div_fixup_f64 v[142:143], v[140:141], v[136:137], v[138:139]
	v_fmac_f64_e32 v[136:137], v[138:139], v[142:143]
	v_div_scale_f64 v[138:139], s[10:11], v[136:137], v[136:137], 1.0
	v_rcp_f64_e32 v[140:141], v[138:139]
	s_nop 0
	v_fma_f64 v[144:145], -v[138:139], v[140:141], 1.0
	v_fmac_f64_e32 v[140:141], v[140:141], v[144:145]
	v_fma_f64 v[144:145], -v[138:139], v[140:141], 1.0
	v_fmac_f64_e32 v[140:141], v[140:141], v[144:145]
	v_div_scale_f64 v[144:145], vcc, 1.0, v[136:137], 1.0
	v_mul_f64 v[146:147], v[144:145], v[140:141]
	v_fma_f64 v[138:139], -v[138:139], v[146:147], v[144:145]
	s_nop 1
	v_div_fmas_f64 v[138:139], v[138:139], v[140:141], v[146:147]
	v_div_fixup_f64 v[140:141], v[138:139], v[136:137], 1.0
	v_mul_f64 v[142:143], v[142:143], -v[140:141]
.LBB57_52:
	s_or_b64 exec, exec, s[2:3]
	ds_write2_b64 v251, v[140:141], v[142:143] offset1:1
.LBB57_53:
	s_or_b64 exec, exec, s[4:5]
	s_waitcnt lgkmcnt(0)
	s_barrier
	ds_read2_b64 v[136:139], v251 offset1:1
	v_cmp_lt_u32_e32 vcc, 5, v250
	s_and_saveexec_b64 s[2:3], vcc
	s_cbranch_execz .LBB57_55
; %bb.54:
	ds_read2_b64 v[142:145], v254 offset0:12 offset1:13
	ds_read2_b64 v[146:149], v254 offset0:14 offset1:15
	s_waitcnt vmcnt(43) lgkmcnt(2)
	v_mul_f64 v[140:141], v[138:139], v[90:91]
	v_mul_f64 v[90:91], v[136:137], v[90:91]
	v_fmac_f64_e32 v[90:91], v[138:139], v[88:89]
	v_fma_f64 v[140:141], v[136:137], v[88:89], -v[140:141]
	s_waitcnt lgkmcnt(1)
	v_mul_f64 v[88:89], v[144:145], v[90:91]
	v_fma_f64 v[88:89], v[142:143], v[140:141], -v[88:89]
	v_mul_f64 v[142:143], v[142:143], v[90:91]
	v_fmac_f64_e32 v[142:143], v[144:145], v[140:141]
	s_waitcnt vmcnt(42)
	v_add_f64 v[86:87], v[86:87], -v[142:143]
	ds_read2_b64 v[142:145], v254 offset0:16 offset1:17
	v_add_f64 v[84:85], v[84:85], -v[88:89]
	s_waitcnt lgkmcnt(1)
	v_mul_f64 v[88:89], v[148:149], v[90:91]
	v_fma_f64 v[88:89], v[146:147], v[140:141], -v[88:89]
	v_mul_f64 v[146:147], v[146:147], v[90:91]
	v_fmac_f64_e32 v[146:147], v[148:149], v[140:141]
	s_waitcnt vmcnt(41)
	v_add_f64 v[80:81], v[80:81], -v[88:89]
	v_add_f64 v[82:83], v[82:83], -v[146:147]
	ds_read2_b64 v[146:149], v254 offset0:18 offset1:19
	s_waitcnt lgkmcnt(1)
	v_mul_f64 v[88:89], v[144:145], v[90:91]
	v_fma_f64 v[88:89], v[142:143], v[140:141], -v[88:89]
	v_mul_f64 v[142:143], v[142:143], v[90:91]
	v_fmac_f64_e32 v[142:143], v[144:145], v[140:141]
	s_waitcnt vmcnt(40)
	v_add_f64 v[78:79], v[78:79], -v[142:143]
	ds_read2_b64 v[142:145], v254 offset0:20 offset1:21
	v_add_f64 v[76:77], v[76:77], -v[88:89]
	s_waitcnt lgkmcnt(1)
	v_mul_f64 v[88:89], v[148:149], v[90:91]
	v_fma_f64 v[88:89], v[146:147], v[140:141], -v[88:89]
	v_mul_f64 v[146:147], v[146:147], v[90:91]
	v_fmac_f64_e32 v[146:147], v[148:149], v[140:141]
	s_waitcnt vmcnt(39)
	v_add_f64 v[72:73], v[72:73], -v[88:89]
	v_add_f64 v[74:75], v[74:75], -v[146:147]
	ds_read2_b64 v[146:149], v254 offset0:22 offset1:23
	;; [unrolled: 18-line block ×10, first 2 shown]
	s_waitcnt lgkmcnt(1)
	v_mul_f64 v[88:89], v[144:145], v[90:91]
	v_fma_f64 v[88:89], v[142:143], v[140:141], -v[88:89]
	v_mul_f64 v[142:143], v[142:143], v[90:91]
	v_fmac_f64_e32 v[142:143], v[144:145], v[140:141]
	s_waitcnt vmcnt(7)
	v_add_f64 v[6:7], v[6:7], -v[142:143]
	ds_read2_b64 v[142:145], v254 offset0:56 offset1:57
	v_add_f64 v[4:5], v[4:5], -v[88:89]
	s_waitcnt lgkmcnt(1)
	v_mul_f64 v[88:89], v[148:149], v[90:91]
	v_fma_f64 v[88:89], v[146:147], v[140:141], -v[88:89]
	v_add_f64 v[0:1], v[0:1], -v[88:89]
	s_waitcnt lgkmcnt(0)
	v_mul_f64 v[88:89], v[144:145], v[90:91]
	v_mul_f64 v[146:147], v[146:147], v[90:91]
	v_fma_f64 v[88:89], v[142:143], v[140:141], -v[88:89]
	v_mul_f64 v[142:143], v[142:143], v[90:91]
	v_fmac_f64_e32 v[146:147], v[148:149], v[140:141]
	v_fmac_f64_e32 v[142:143], v[144:145], v[140:141]
	v_add_f64 v[2:3], v[2:3], -v[146:147]
	s_waitcnt vmcnt(6)
	v_add_f64 v[112:113], v[112:113], -v[88:89]
	v_add_f64 v[114:115], v[114:115], -v[142:143]
	v_mov_b64_e32 v[88:89], v[140:141]
.LBB57_55:
	s_or_b64 exec, exec, s[2:3]
	v_cmp_eq_u32_e32 vcc, 6, v250
	s_waitcnt lgkmcnt(0)
	s_barrier
	s_and_saveexec_b64 s[4:5], vcc
	s_cbranch_execz .LBB57_62
; %bb.56:
	s_waitcnt vmcnt(42)
	ds_write2_b64 v251, v[84:85], v[86:87] offset1:1
	s_waitcnt vmcnt(41)
	ds_write2_b64 v254, v[80:81], v[82:83] offset0:14 offset1:15
	s_waitcnt vmcnt(40)
	ds_write2_b64 v254, v[76:77], v[78:79] offset0:16 offset1:17
	;; [unrolled: 2-line block ×20, first 2 shown]
	ds_write2_b64 v254, v[0:1], v[2:3] offset0:54 offset1:55
	s_waitcnt vmcnt(6)
	ds_write2_b64 v254, v[112:113], v[114:115] offset0:56 offset1:57
	ds_read2_b64 v[140:143], v251 offset1:1
	s_waitcnt lgkmcnt(0)
	v_cmp_neq_f64_e32 vcc, 0, v[140:141]
	v_cmp_neq_f64_e64 s[2:3], 0, v[142:143]
	s_or_b64 s[2:3], vcc, s[2:3]
	s_and_b64 exec, exec, s[2:3]
	s_cbranch_execz .LBB57_62
; %bb.57:
	v_cmp_ngt_f64_e64 s[2:3], |v[140:141]|, |v[142:143]|
                                        ; implicit-def: $vgpr144_vgpr145
	s_and_saveexec_b64 s[10:11], s[2:3]
	s_xor_b64 s[2:3], exec, s[10:11]
                                        ; implicit-def: $vgpr146_vgpr147
	s_cbranch_execz .LBB57_59
; %bb.58:
	v_div_scale_f64 v[144:145], s[10:11], v[142:143], v[142:143], v[140:141]
	v_rcp_f64_e32 v[146:147], v[144:145]
	v_div_scale_f64 v[148:149], vcc, v[140:141], v[142:143], v[140:141]
	v_fma_f64 v[150:151], -v[144:145], v[146:147], 1.0
	v_fmac_f64_e32 v[146:147], v[146:147], v[150:151]
	v_fma_f64 v[150:151], -v[144:145], v[146:147], 1.0
	v_fmac_f64_e32 v[146:147], v[146:147], v[150:151]
	v_mul_f64 v[150:151], v[148:149], v[146:147]
	v_fma_f64 v[144:145], -v[144:145], v[150:151], v[148:149]
	v_div_fmas_f64 v[144:145], v[144:145], v[146:147], v[150:151]
	v_div_fixup_f64 v[144:145], v[144:145], v[142:143], v[140:141]
	v_fmac_f64_e32 v[142:143], v[140:141], v[144:145]
	v_div_scale_f64 v[140:141], s[10:11], v[142:143], v[142:143], 1.0
	v_rcp_f64_e32 v[146:147], v[140:141]
	s_nop 0
	v_fma_f64 v[148:149], -v[140:141], v[146:147], 1.0
	v_fmac_f64_e32 v[146:147], v[146:147], v[148:149]
	v_fma_f64 v[148:149], -v[140:141], v[146:147], 1.0
	v_fmac_f64_e32 v[146:147], v[146:147], v[148:149]
	v_div_scale_f64 v[148:149], vcc, 1.0, v[142:143], 1.0
	v_mul_f64 v[150:151], v[148:149], v[146:147]
	v_fma_f64 v[140:141], -v[140:141], v[150:151], v[148:149]
	s_nop 1
	v_div_fmas_f64 v[140:141], v[140:141], v[146:147], v[150:151]
	v_div_fixup_f64 v[146:147], v[140:141], v[142:143], 1.0
	v_mul_f64 v[144:145], v[144:145], v[146:147]
	v_xor_b32_e32 v147, 0x80000000, v147
                                        ; implicit-def: $vgpr140_vgpr141
.LBB57_59:
	s_andn2_saveexec_b64 s[2:3], s[2:3]
	s_cbranch_execz .LBB57_61
; %bb.60:
	v_div_scale_f64 v[144:145], s[10:11], v[140:141], v[140:141], v[142:143]
	v_rcp_f64_e32 v[146:147], v[144:145]
	v_div_scale_f64 v[148:149], vcc, v[142:143], v[140:141], v[142:143]
	v_fma_f64 v[150:151], -v[144:145], v[146:147], 1.0
	v_fmac_f64_e32 v[146:147], v[146:147], v[150:151]
	v_fma_f64 v[150:151], -v[144:145], v[146:147], 1.0
	v_fmac_f64_e32 v[146:147], v[146:147], v[150:151]
	v_mul_f64 v[150:151], v[148:149], v[146:147]
	v_fma_f64 v[144:145], -v[144:145], v[150:151], v[148:149]
	v_div_fmas_f64 v[144:145], v[144:145], v[146:147], v[150:151]
	v_div_fixup_f64 v[146:147], v[144:145], v[140:141], v[142:143]
	v_fmac_f64_e32 v[140:141], v[142:143], v[146:147]
	v_div_scale_f64 v[142:143], s[10:11], v[140:141], v[140:141], 1.0
	v_rcp_f64_e32 v[144:145], v[142:143]
	s_nop 0
	v_fma_f64 v[148:149], -v[142:143], v[144:145], 1.0
	v_fmac_f64_e32 v[144:145], v[144:145], v[148:149]
	v_fma_f64 v[148:149], -v[142:143], v[144:145], 1.0
	v_fmac_f64_e32 v[144:145], v[144:145], v[148:149]
	v_div_scale_f64 v[148:149], vcc, 1.0, v[140:141], 1.0
	v_mul_f64 v[150:151], v[148:149], v[144:145]
	v_fma_f64 v[142:143], -v[142:143], v[150:151], v[148:149]
	s_nop 1
	v_div_fmas_f64 v[142:143], v[142:143], v[144:145], v[150:151]
	v_div_fixup_f64 v[144:145], v[142:143], v[140:141], 1.0
	v_mul_f64 v[146:147], v[146:147], -v[144:145]
.LBB57_61:
	s_or_b64 exec, exec, s[2:3]
	ds_write2_b64 v251, v[144:145], v[146:147] offset1:1
.LBB57_62:
	s_or_b64 exec, exec, s[4:5]
	s_waitcnt lgkmcnt(0)
	s_barrier
	ds_read2_b64 v[140:143], v251 offset1:1
	v_cmp_lt_u32_e32 vcc, 6, v250
	s_and_saveexec_b64 s[2:3], vcc
	s_cbranch_execz .LBB57_64
; %bb.63:
	ds_read2_b64 v[146:149], v254 offset0:14 offset1:15
	ds_read2_b64 v[150:153], v254 offset0:16 offset1:17
	s_waitcnt vmcnt(42) lgkmcnt(2)
	v_mul_f64 v[144:145], v[142:143], v[86:87]
	v_mul_f64 v[86:87], v[140:141], v[86:87]
	v_fmac_f64_e32 v[86:87], v[142:143], v[84:85]
	v_fma_f64 v[144:145], v[140:141], v[84:85], -v[144:145]
	s_waitcnt lgkmcnt(1)
	v_mul_f64 v[84:85], v[148:149], v[86:87]
	v_fma_f64 v[84:85], v[146:147], v[144:145], -v[84:85]
	v_mul_f64 v[146:147], v[146:147], v[86:87]
	v_fmac_f64_e32 v[146:147], v[148:149], v[144:145]
	s_waitcnt vmcnt(41)
	v_add_f64 v[80:81], v[80:81], -v[84:85]
	v_add_f64 v[82:83], v[82:83], -v[146:147]
	s_waitcnt lgkmcnt(0)
	v_mul_f64 v[84:85], v[152:153], v[86:87]
	ds_read2_b64 v[146:149], v254 offset0:18 offset1:19
	v_fma_f64 v[84:85], v[150:151], v[144:145], -v[84:85]
	v_mul_f64 v[150:151], v[150:151], v[86:87]
	v_fmac_f64_e32 v[150:151], v[152:153], v[144:145]
	s_waitcnt vmcnt(40)
	v_add_f64 v[78:79], v[78:79], -v[150:151]
	ds_read2_b64 v[150:153], v254 offset0:20 offset1:21
	v_add_f64 v[76:77], v[76:77], -v[84:85]
	s_waitcnt lgkmcnt(1)
	v_mul_f64 v[84:85], v[148:149], v[86:87]
	v_fma_f64 v[84:85], v[146:147], v[144:145], -v[84:85]
	v_mul_f64 v[146:147], v[146:147], v[86:87]
	v_fmac_f64_e32 v[146:147], v[148:149], v[144:145]
	s_waitcnt vmcnt(39)
	v_add_f64 v[72:73], v[72:73], -v[84:85]
	v_add_f64 v[74:75], v[74:75], -v[146:147]
	s_waitcnt lgkmcnt(0)
	v_mul_f64 v[84:85], v[152:153], v[86:87]
	ds_read2_b64 v[146:149], v254 offset0:22 offset1:23
	v_fma_f64 v[84:85], v[150:151], v[144:145], -v[84:85]
	v_mul_f64 v[150:151], v[150:151], v[86:87]
	v_fmac_f64_e32 v[150:151], v[152:153], v[144:145]
	s_waitcnt vmcnt(38)
	v_add_f64 v[70:71], v[70:71], -v[150:151]
	ds_read2_b64 v[150:153], v254 offset0:24 offset1:25
	v_add_f64 v[68:69], v[68:69], -v[84:85]
	;; [unrolled: 18-line block ×10, first 2 shown]
	s_waitcnt lgkmcnt(1)
	v_mul_f64 v[84:85], v[148:149], v[86:87]
	v_fma_f64 v[84:85], v[146:147], v[144:145], -v[84:85]
	v_mul_f64 v[146:147], v[146:147], v[86:87]
	v_fmac_f64_e32 v[146:147], v[148:149], v[144:145]
	v_add_f64 v[0:1], v[0:1], -v[84:85]
	v_add_f64 v[2:3], v[2:3], -v[146:147]
	s_waitcnt lgkmcnt(0)
	v_mul_f64 v[84:85], v[152:153], v[86:87]
	v_mul_f64 v[146:147], v[150:151], v[86:87]
	v_fma_f64 v[84:85], v[150:151], v[144:145], -v[84:85]
	v_fmac_f64_e32 v[146:147], v[152:153], v[144:145]
	s_waitcnt vmcnt(6)
	v_add_f64 v[112:113], v[112:113], -v[84:85]
	v_add_f64 v[114:115], v[114:115], -v[146:147]
	v_mov_b64_e32 v[84:85], v[144:145]
.LBB57_64:
	s_or_b64 exec, exec, s[2:3]
	v_cmp_eq_u32_e32 vcc, 7, v250
	s_waitcnt lgkmcnt(0)
	s_barrier
	s_and_saveexec_b64 s[4:5], vcc
	s_cbranch_execz .LBB57_71
; %bb.65:
	s_waitcnt vmcnt(41)
	ds_write2_b64 v251, v[80:81], v[82:83] offset1:1
	s_waitcnt vmcnt(40)
	ds_write2_b64 v254, v[76:77], v[78:79] offset0:16 offset1:17
	s_waitcnt vmcnt(39)
	ds_write2_b64 v254, v[72:73], v[74:75] offset0:18 offset1:19
	;; [unrolled: 2-line block ×19, first 2 shown]
	ds_write2_b64 v254, v[0:1], v[2:3] offset0:54 offset1:55
	s_waitcnt vmcnt(6)
	ds_write2_b64 v254, v[112:113], v[114:115] offset0:56 offset1:57
	ds_read2_b64 v[144:147], v251 offset1:1
	s_waitcnt lgkmcnt(0)
	v_cmp_neq_f64_e32 vcc, 0, v[144:145]
	v_cmp_neq_f64_e64 s[2:3], 0, v[146:147]
	s_or_b64 s[2:3], vcc, s[2:3]
	s_and_b64 exec, exec, s[2:3]
	s_cbranch_execz .LBB57_71
; %bb.66:
	v_cmp_ngt_f64_e64 s[2:3], |v[144:145]|, |v[146:147]|
                                        ; implicit-def: $vgpr148_vgpr149
	s_and_saveexec_b64 s[10:11], s[2:3]
	s_xor_b64 s[2:3], exec, s[10:11]
                                        ; implicit-def: $vgpr150_vgpr151
	s_cbranch_execz .LBB57_68
; %bb.67:
	v_div_scale_f64 v[148:149], s[10:11], v[146:147], v[146:147], v[144:145]
	v_rcp_f64_e32 v[150:151], v[148:149]
	v_div_scale_f64 v[152:153], vcc, v[144:145], v[146:147], v[144:145]
	v_fma_f64 v[154:155], -v[148:149], v[150:151], 1.0
	v_fmac_f64_e32 v[150:151], v[150:151], v[154:155]
	v_fma_f64 v[154:155], -v[148:149], v[150:151], 1.0
	v_fmac_f64_e32 v[150:151], v[150:151], v[154:155]
	v_mul_f64 v[154:155], v[152:153], v[150:151]
	v_fma_f64 v[148:149], -v[148:149], v[154:155], v[152:153]
	v_div_fmas_f64 v[148:149], v[148:149], v[150:151], v[154:155]
	v_div_fixup_f64 v[148:149], v[148:149], v[146:147], v[144:145]
	v_fmac_f64_e32 v[146:147], v[144:145], v[148:149]
	v_div_scale_f64 v[144:145], s[10:11], v[146:147], v[146:147], 1.0
	v_rcp_f64_e32 v[150:151], v[144:145]
	s_nop 0
	v_fma_f64 v[152:153], -v[144:145], v[150:151], 1.0
	v_fmac_f64_e32 v[150:151], v[150:151], v[152:153]
	v_fma_f64 v[152:153], -v[144:145], v[150:151], 1.0
	v_fmac_f64_e32 v[150:151], v[150:151], v[152:153]
	v_div_scale_f64 v[152:153], vcc, 1.0, v[146:147], 1.0
	v_mul_f64 v[154:155], v[152:153], v[150:151]
	v_fma_f64 v[144:145], -v[144:145], v[154:155], v[152:153]
	s_nop 1
	v_div_fmas_f64 v[144:145], v[144:145], v[150:151], v[154:155]
	v_div_fixup_f64 v[150:151], v[144:145], v[146:147], 1.0
	v_mul_f64 v[148:149], v[148:149], v[150:151]
	v_xor_b32_e32 v151, 0x80000000, v151
                                        ; implicit-def: $vgpr144_vgpr145
.LBB57_68:
	s_andn2_saveexec_b64 s[2:3], s[2:3]
	s_cbranch_execz .LBB57_70
; %bb.69:
	v_div_scale_f64 v[148:149], s[10:11], v[144:145], v[144:145], v[146:147]
	v_rcp_f64_e32 v[150:151], v[148:149]
	v_div_scale_f64 v[152:153], vcc, v[146:147], v[144:145], v[146:147]
	v_fma_f64 v[154:155], -v[148:149], v[150:151], 1.0
	v_fmac_f64_e32 v[150:151], v[150:151], v[154:155]
	v_fma_f64 v[154:155], -v[148:149], v[150:151], 1.0
	v_fmac_f64_e32 v[150:151], v[150:151], v[154:155]
	v_mul_f64 v[154:155], v[152:153], v[150:151]
	v_fma_f64 v[148:149], -v[148:149], v[154:155], v[152:153]
	v_div_fmas_f64 v[148:149], v[148:149], v[150:151], v[154:155]
	v_div_fixup_f64 v[150:151], v[148:149], v[144:145], v[146:147]
	v_fmac_f64_e32 v[144:145], v[146:147], v[150:151]
	v_div_scale_f64 v[146:147], s[10:11], v[144:145], v[144:145], 1.0
	v_rcp_f64_e32 v[148:149], v[146:147]
	s_nop 0
	v_fma_f64 v[152:153], -v[146:147], v[148:149], 1.0
	v_fmac_f64_e32 v[148:149], v[148:149], v[152:153]
	v_fma_f64 v[152:153], -v[146:147], v[148:149], 1.0
	v_fmac_f64_e32 v[148:149], v[148:149], v[152:153]
	v_div_scale_f64 v[152:153], vcc, 1.0, v[144:145], 1.0
	v_mul_f64 v[154:155], v[152:153], v[148:149]
	v_fma_f64 v[146:147], -v[146:147], v[154:155], v[152:153]
	s_nop 1
	v_div_fmas_f64 v[146:147], v[146:147], v[148:149], v[154:155]
	v_div_fixup_f64 v[148:149], v[146:147], v[144:145], 1.0
	v_mul_f64 v[150:151], v[150:151], -v[148:149]
.LBB57_70:
	s_or_b64 exec, exec, s[2:3]
	ds_write2_b64 v251, v[148:149], v[150:151] offset1:1
.LBB57_71:
	s_or_b64 exec, exec, s[4:5]
	s_waitcnt lgkmcnt(0)
	s_barrier
	ds_read2_b64 v[144:147], v251 offset1:1
	v_cmp_lt_u32_e32 vcc, 7, v250
	s_and_saveexec_b64 s[2:3], vcc
	s_cbranch_execz .LBB57_73
; %bb.72:
	ds_read2_b64 v[150:153], v254 offset0:16 offset1:17
	ds_read2_b64 v[154:157], v254 offset0:18 offset1:19
	s_waitcnt vmcnt(41) lgkmcnt(2)
	v_mul_f64 v[148:149], v[146:147], v[82:83]
	v_mul_f64 v[82:83], v[144:145], v[82:83]
	v_fmac_f64_e32 v[82:83], v[146:147], v[80:81]
	v_fma_f64 v[148:149], v[144:145], v[80:81], -v[148:149]
	s_waitcnt lgkmcnt(1)
	v_mul_f64 v[80:81], v[152:153], v[82:83]
	v_fma_f64 v[80:81], v[150:151], v[148:149], -v[80:81]
	v_mul_f64 v[150:151], v[150:151], v[82:83]
	v_fmac_f64_e32 v[150:151], v[152:153], v[148:149]
	s_waitcnt vmcnt(40)
	v_add_f64 v[78:79], v[78:79], -v[150:151]
	ds_read2_b64 v[150:153], v254 offset0:20 offset1:21
	v_add_f64 v[76:77], v[76:77], -v[80:81]
	s_waitcnt lgkmcnt(1)
	v_mul_f64 v[80:81], v[156:157], v[82:83]
	v_fma_f64 v[80:81], v[154:155], v[148:149], -v[80:81]
	v_mul_f64 v[154:155], v[154:155], v[82:83]
	v_fmac_f64_e32 v[154:155], v[156:157], v[148:149]
	s_waitcnt vmcnt(39)
	v_add_f64 v[72:73], v[72:73], -v[80:81]
	v_add_f64 v[74:75], v[74:75], -v[154:155]
	ds_read2_b64 v[154:157], v254 offset0:22 offset1:23
	s_waitcnt lgkmcnt(1)
	v_mul_f64 v[80:81], v[152:153], v[82:83]
	v_fma_f64 v[80:81], v[150:151], v[148:149], -v[80:81]
	v_mul_f64 v[150:151], v[150:151], v[82:83]
	v_fmac_f64_e32 v[150:151], v[152:153], v[148:149]
	s_waitcnt vmcnt(38)
	v_add_f64 v[70:71], v[70:71], -v[150:151]
	ds_read2_b64 v[150:153], v254 offset0:24 offset1:25
	v_add_f64 v[68:69], v[68:69], -v[80:81]
	s_waitcnt lgkmcnt(1)
	v_mul_f64 v[80:81], v[156:157], v[82:83]
	v_fma_f64 v[80:81], v[154:155], v[148:149], -v[80:81]
	v_mul_f64 v[154:155], v[154:155], v[82:83]
	v_fmac_f64_e32 v[154:155], v[156:157], v[148:149]
	s_waitcnt vmcnt(37)
	v_add_f64 v[64:65], v[64:65], -v[80:81]
	v_add_f64 v[66:67], v[66:67], -v[154:155]
	ds_read2_b64 v[154:157], v254 offset0:26 offset1:27
	s_waitcnt lgkmcnt(1)
	v_mul_f64 v[80:81], v[152:153], v[82:83]
	v_fma_f64 v[80:81], v[150:151], v[148:149], -v[80:81]
	v_mul_f64 v[150:151], v[150:151], v[82:83]
	v_fmac_f64_e32 v[150:151], v[152:153], v[148:149]
	s_waitcnt vmcnt(36)
	v_add_f64 v[62:63], v[62:63], -v[150:151]
	ds_read2_b64 v[150:153], v254 offset0:28 offset1:29
	v_add_f64 v[60:61], v[60:61], -v[80:81]
	s_waitcnt lgkmcnt(1)
	v_mul_f64 v[80:81], v[156:157], v[82:83]
	v_fma_f64 v[80:81], v[154:155], v[148:149], -v[80:81]
	v_mul_f64 v[154:155], v[154:155], v[82:83]
	v_fmac_f64_e32 v[154:155], v[156:157], v[148:149]
	s_waitcnt vmcnt(35)
	v_add_f64 v[56:57], v[56:57], -v[80:81]
	v_add_f64 v[58:59], v[58:59], -v[154:155]
	ds_read2_b64 v[154:157], v254 offset0:30 offset1:31
	s_waitcnt lgkmcnt(1)
	v_mul_f64 v[80:81], v[152:153], v[82:83]
	v_fma_f64 v[80:81], v[150:151], v[148:149], -v[80:81]
	v_mul_f64 v[150:151], v[150:151], v[82:83]
	v_fmac_f64_e32 v[150:151], v[152:153], v[148:149]
	s_waitcnt vmcnt(34)
	v_add_f64 v[54:55], v[54:55], -v[150:151]
	ds_read2_b64 v[150:153], v254 offset0:32 offset1:33
	v_add_f64 v[52:53], v[52:53], -v[80:81]
	s_waitcnt lgkmcnt(1)
	v_mul_f64 v[80:81], v[156:157], v[82:83]
	v_fma_f64 v[80:81], v[154:155], v[148:149], -v[80:81]
	v_mul_f64 v[154:155], v[154:155], v[82:83]
	v_fmac_f64_e32 v[154:155], v[156:157], v[148:149]
	s_waitcnt vmcnt(33)
	v_add_f64 v[48:49], v[48:49], -v[80:81]
	v_add_f64 v[50:51], v[50:51], -v[154:155]
	ds_read2_b64 v[154:157], v254 offset0:34 offset1:35
	s_waitcnt lgkmcnt(1)
	v_mul_f64 v[80:81], v[152:153], v[82:83]
	v_fma_f64 v[80:81], v[150:151], v[148:149], -v[80:81]
	v_mul_f64 v[150:151], v[150:151], v[82:83]
	v_fmac_f64_e32 v[150:151], v[152:153], v[148:149]
	s_waitcnt vmcnt(32)
	v_add_f64 v[46:47], v[46:47], -v[150:151]
	ds_read2_b64 v[150:153], v254 offset0:36 offset1:37
	v_add_f64 v[44:45], v[44:45], -v[80:81]
	s_waitcnt lgkmcnt(1)
	v_mul_f64 v[80:81], v[156:157], v[82:83]
	v_fma_f64 v[80:81], v[154:155], v[148:149], -v[80:81]
	v_mul_f64 v[154:155], v[154:155], v[82:83]
	v_fmac_f64_e32 v[154:155], v[156:157], v[148:149]
	s_waitcnt vmcnt(31)
	v_add_f64 v[40:41], v[40:41], -v[80:81]
	v_add_f64 v[42:43], v[42:43], -v[154:155]
	ds_read2_b64 v[154:157], v254 offset0:38 offset1:39
	s_waitcnt lgkmcnt(1)
	v_mul_f64 v[80:81], v[152:153], v[82:83]
	v_fma_f64 v[80:81], v[150:151], v[148:149], -v[80:81]
	v_mul_f64 v[150:151], v[150:151], v[82:83]
	v_fmac_f64_e32 v[150:151], v[152:153], v[148:149]
	s_waitcnt vmcnt(30)
	v_add_f64 v[38:39], v[38:39], -v[150:151]
	ds_read2_b64 v[150:153], v254 offset0:40 offset1:41
	v_add_f64 v[36:37], v[36:37], -v[80:81]
	s_waitcnt lgkmcnt(1)
	v_mul_f64 v[80:81], v[156:157], v[82:83]
	v_fma_f64 v[80:81], v[154:155], v[148:149], -v[80:81]
	v_mul_f64 v[154:155], v[154:155], v[82:83]
	v_fmac_f64_e32 v[154:155], v[156:157], v[148:149]
	s_waitcnt vmcnt(29)
	v_add_f64 v[32:33], v[32:33], -v[80:81]
	v_add_f64 v[34:35], v[34:35], -v[154:155]
	ds_read2_b64 v[154:157], v254 offset0:42 offset1:43
	s_waitcnt lgkmcnt(1)
	v_mul_f64 v[80:81], v[152:153], v[82:83]
	v_fma_f64 v[80:81], v[150:151], v[148:149], -v[80:81]
	v_mul_f64 v[150:151], v[150:151], v[82:83]
	v_fmac_f64_e32 v[150:151], v[152:153], v[148:149]
	s_waitcnt vmcnt(28)
	v_add_f64 v[30:31], v[30:31], -v[150:151]
	ds_read2_b64 v[150:153], v254 offset0:44 offset1:45
	v_add_f64 v[28:29], v[28:29], -v[80:81]
	s_waitcnt lgkmcnt(1)
	v_mul_f64 v[80:81], v[156:157], v[82:83]
	v_fma_f64 v[80:81], v[154:155], v[148:149], -v[80:81]
	v_mul_f64 v[154:155], v[154:155], v[82:83]
	v_fmac_f64_e32 v[154:155], v[156:157], v[148:149]
	s_waitcnt vmcnt(13)
	v_add_f64 v[24:25], v[24:25], -v[80:81]
	v_add_f64 v[26:27], v[26:27], -v[154:155]
	ds_read2_b64 v[154:157], v254 offset0:46 offset1:47
	s_waitcnt lgkmcnt(1)
	v_mul_f64 v[80:81], v[152:153], v[82:83]
	v_fma_f64 v[80:81], v[150:151], v[148:149], -v[80:81]
	v_mul_f64 v[150:151], v[150:151], v[82:83]
	v_fmac_f64_e32 v[150:151], v[152:153], v[148:149]
	s_waitcnt vmcnt(11)
	v_add_f64 v[22:23], v[22:23], -v[150:151]
	ds_read2_b64 v[150:153], v254 offset0:48 offset1:49
	v_add_f64 v[20:21], v[20:21], -v[80:81]
	s_waitcnt lgkmcnt(1)
	v_mul_f64 v[80:81], v[156:157], v[82:83]
	v_fma_f64 v[80:81], v[154:155], v[148:149], -v[80:81]
	v_mul_f64 v[154:155], v[154:155], v[82:83]
	v_fmac_f64_e32 v[154:155], v[156:157], v[148:149]
	s_waitcnt vmcnt(10)
	v_add_f64 v[16:17], v[16:17], -v[80:81]
	v_add_f64 v[18:19], v[18:19], -v[154:155]
	ds_read2_b64 v[154:157], v254 offset0:50 offset1:51
	s_waitcnt lgkmcnt(1)
	v_mul_f64 v[80:81], v[152:153], v[82:83]
	v_fma_f64 v[80:81], v[150:151], v[148:149], -v[80:81]
	v_mul_f64 v[150:151], v[150:151], v[82:83]
	v_fmac_f64_e32 v[150:151], v[152:153], v[148:149]
	s_waitcnt vmcnt(9)
	v_add_f64 v[14:15], v[14:15], -v[150:151]
	ds_read2_b64 v[150:153], v254 offset0:52 offset1:53
	v_add_f64 v[12:13], v[12:13], -v[80:81]
	s_waitcnt lgkmcnt(1)
	v_mul_f64 v[80:81], v[156:157], v[82:83]
	v_fma_f64 v[80:81], v[154:155], v[148:149], -v[80:81]
	v_mul_f64 v[154:155], v[154:155], v[82:83]
	v_fmac_f64_e32 v[154:155], v[156:157], v[148:149]
	s_waitcnt vmcnt(8)
	v_add_f64 v[8:9], v[8:9], -v[80:81]
	v_add_f64 v[10:11], v[10:11], -v[154:155]
	ds_read2_b64 v[154:157], v254 offset0:54 offset1:55
	s_waitcnt lgkmcnt(1)
	v_mul_f64 v[80:81], v[152:153], v[82:83]
	v_fma_f64 v[80:81], v[150:151], v[148:149], -v[80:81]
	v_mul_f64 v[150:151], v[150:151], v[82:83]
	v_fmac_f64_e32 v[150:151], v[152:153], v[148:149]
	s_waitcnt vmcnt(7)
	v_add_f64 v[6:7], v[6:7], -v[150:151]
	ds_read2_b64 v[150:153], v254 offset0:56 offset1:57
	v_add_f64 v[4:5], v[4:5], -v[80:81]
	s_waitcnt lgkmcnt(1)
	v_mul_f64 v[80:81], v[156:157], v[82:83]
	v_fma_f64 v[80:81], v[154:155], v[148:149], -v[80:81]
	v_add_f64 v[0:1], v[0:1], -v[80:81]
	s_waitcnt lgkmcnt(0)
	v_mul_f64 v[80:81], v[152:153], v[82:83]
	v_mul_f64 v[154:155], v[154:155], v[82:83]
	v_fma_f64 v[80:81], v[150:151], v[148:149], -v[80:81]
	v_mul_f64 v[150:151], v[150:151], v[82:83]
	v_fmac_f64_e32 v[154:155], v[156:157], v[148:149]
	v_fmac_f64_e32 v[150:151], v[152:153], v[148:149]
	v_add_f64 v[2:3], v[2:3], -v[154:155]
	s_waitcnt vmcnt(6)
	v_add_f64 v[112:113], v[112:113], -v[80:81]
	v_add_f64 v[114:115], v[114:115], -v[150:151]
	v_mov_b64_e32 v[80:81], v[148:149]
.LBB57_73:
	s_or_b64 exec, exec, s[2:3]
	v_cmp_eq_u32_e32 vcc, 8, v250
	s_waitcnt lgkmcnt(0)
	s_barrier
	s_and_saveexec_b64 s[4:5], vcc
	s_cbranch_execz .LBB57_80
; %bb.74:
	s_waitcnt vmcnt(40)
	ds_write2_b64 v251, v[76:77], v[78:79] offset1:1
	s_waitcnt vmcnt(39)
	ds_write2_b64 v254, v[72:73], v[74:75] offset0:18 offset1:19
	s_waitcnt vmcnt(38)
	ds_write2_b64 v254, v[68:69], v[70:71] offset0:20 offset1:21
	;; [unrolled: 2-line block ×18, first 2 shown]
	ds_write2_b64 v254, v[0:1], v[2:3] offset0:54 offset1:55
	s_waitcnt vmcnt(6)
	ds_write2_b64 v254, v[112:113], v[114:115] offset0:56 offset1:57
	ds_read2_b64 v[148:151], v251 offset1:1
	s_waitcnt lgkmcnt(0)
	v_cmp_neq_f64_e32 vcc, 0, v[148:149]
	v_cmp_neq_f64_e64 s[2:3], 0, v[150:151]
	s_or_b64 s[2:3], vcc, s[2:3]
	s_and_b64 exec, exec, s[2:3]
	s_cbranch_execz .LBB57_80
; %bb.75:
	v_cmp_ngt_f64_e64 s[2:3], |v[148:149]|, |v[150:151]|
                                        ; implicit-def: $vgpr152_vgpr153
	s_and_saveexec_b64 s[10:11], s[2:3]
	s_xor_b64 s[2:3], exec, s[10:11]
                                        ; implicit-def: $vgpr154_vgpr155
	s_cbranch_execz .LBB57_77
; %bb.76:
	v_div_scale_f64 v[152:153], s[10:11], v[150:151], v[150:151], v[148:149]
	v_rcp_f64_e32 v[154:155], v[152:153]
	v_div_scale_f64 v[156:157], vcc, v[148:149], v[150:151], v[148:149]
	v_fma_f64 v[158:159], -v[152:153], v[154:155], 1.0
	v_fmac_f64_e32 v[154:155], v[154:155], v[158:159]
	v_fma_f64 v[158:159], -v[152:153], v[154:155], 1.0
	v_fmac_f64_e32 v[154:155], v[154:155], v[158:159]
	v_mul_f64 v[158:159], v[156:157], v[154:155]
	v_fma_f64 v[152:153], -v[152:153], v[158:159], v[156:157]
	v_div_fmas_f64 v[152:153], v[152:153], v[154:155], v[158:159]
	v_div_fixup_f64 v[152:153], v[152:153], v[150:151], v[148:149]
	v_fmac_f64_e32 v[150:151], v[148:149], v[152:153]
	v_div_scale_f64 v[148:149], s[10:11], v[150:151], v[150:151], 1.0
	v_rcp_f64_e32 v[154:155], v[148:149]
	s_nop 0
	v_fma_f64 v[156:157], -v[148:149], v[154:155], 1.0
	v_fmac_f64_e32 v[154:155], v[154:155], v[156:157]
	v_fma_f64 v[156:157], -v[148:149], v[154:155], 1.0
	v_fmac_f64_e32 v[154:155], v[154:155], v[156:157]
	v_div_scale_f64 v[156:157], vcc, 1.0, v[150:151], 1.0
	v_mul_f64 v[158:159], v[156:157], v[154:155]
	v_fma_f64 v[148:149], -v[148:149], v[158:159], v[156:157]
	s_nop 1
	v_div_fmas_f64 v[148:149], v[148:149], v[154:155], v[158:159]
	v_div_fixup_f64 v[154:155], v[148:149], v[150:151], 1.0
	v_mul_f64 v[152:153], v[152:153], v[154:155]
	v_xor_b32_e32 v155, 0x80000000, v155
                                        ; implicit-def: $vgpr148_vgpr149
.LBB57_77:
	s_andn2_saveexec_b64 s[2:3], s[2:3]
	s_cbranch_execz .LBB57_79
; %bb.78:
	v_div_scale_f64 v[152:153], s[10:11], v[148:149], v[148:149], v[150:151]
	v_rcp_f64_e32 v[154:155], v[152:153]
	v_div_scale_f64 v[156:157], vcc, v[150:151], v[148:149], v[150:151]
	v_fma_f64 v[158:159], -v[152:153], v[154:155], 1.0
	v_fmac_f64_e32 v[154:155], v[154:155], v[158:159]
	v_fma_f64 v[158:159], -v[152:153], v[154:155], 1.0
	v_fmac_f64_e32 v[154:155], v[154:155], v[158:159]
	v_mul_f64 v[158:159], v[156:157], v[154:155]
	v_fma_f64 v[152:153], -v[152:153], v[158:159], v[156:157]
	v_div_fmas_f64 v[152:153], v[152:153], v[154:155], v[158:159]
	v_div_fixup_f64 v[154:155], v[152:153], v[148:149], v[150:151]
	v_fmac_f64_e32 v[148:149], v[150:151], v[154:155]
	v_div_scale_f64 v[150:151], s[10:11], v[148:149], v[148:149], 1.0
	v_rcp_f64_e32 v[152:153], v[150:151]
	s_nop 0
	v_fma_f64 v[156:157], -v[150:151], v[152:153], 1.0
	v_fmac_f64_e32 v[152:153], v[152:153], v[156:157]
	v_fma_f64 v[156:157], -v[150:151], v[152:153], 1.0
	v_fmac_f64_e32 v[152:153], v[152:153], v[156:157]
	v_div_scale_f64 v[156:157], vcc, 1.0, v[148:149], 1.0
	v_mul_f64 v[158:159], v[156:157], v[152:153]
	v_fma_f64 v[150:151], -v[150:151], v[158:159], v[156:157]
	s_nop 1
	v_div_fmas_f64 v[150:151], v[150:151], v[152:153], v[158:159]
	v_div_fixup_f64 v[152:153], v[150:151], v[148:149], 1.0
	v_mul_f64 v[154:155], v[154:155], -v[152:153]
.LBB57_79:
	s_or_b64 exec, exec, s[2:3]
	ds_write2_b64 v251, v[152:153], v[154:155] offset1:1
.LBB57_80:
	s_or_b64 exec, exec, s[4:5]
	s_waitcnt lgkmcnt(0)
	s_barrier
	ds_read2_b64 v[148:151], v251 offset1:1
	v_cmp_lt_u32_e32 vcc, 8, v250
	s_and_saveexec_b64 s[2:3], vcc
	s_cbranch_execz .LBB57_82
; %bb.81:
	ds_read2_b64 v[154:157], v254 offset0:18 offset1:19
	ds_read2_b64 v[158:161], v254 offset0:20 offset1:21
	s_waitcnt vmcnt(40) lgkmcnt(2)
	v_mul_f64 v[152:153], v[150:151], v[78:79]
	v_mul_f64 v[78:79], v[148:149], v[78:79]
	v_fmac_f64_e32 v[78:79], v[150:151], v[76:77]
	v_fma_f64 v[152:153], v[148:149], v[76:77], -v[152:153]
	s_waitcnt lgkmcnt(1)
	v_mul_f64 v[76:77], v[156:157], v[78:79]
	v_fma_f64 v[76:77], v[154:155], v[152:153], -v[76:77]
	v_mul_f64 v[154:155], v[154:155], v[78:79]
	v_fmac_f64_e32 v[154:155], v[156:157], v[152:153]
	s_waitcnt vmcnt(39)
	v_add_f64 v[72:73], v[72:73], -v[76:77]
	v_add_f64 v[74:75], v[74:75], -v[154:155]
	s_waitcnt lgkmcnt(0)
	v_mul_f64 v[76:77], v[160:161], v[78:79]
	ds_read2_b64 v[154:157], v254 offset0:22 offset1:23
	v_fma_f64 v[76:77], v[158:159], v[152:153], -v[76:77]
	v_mul_f64 v[158:159], v[158:159], v[78:79]
	v_fmac_f64_e32 v[158:159], v[160:161], v[152:153]
	s_waitcnt vmcnt(38)
	v_add_f64 v[70:71], v[70:71], -v[158:159]
	ds_read2_b64 v[158:161], v254 offset0:24 offset1:25
	v_add_f64 v[68:69], v[68:69], -v[76:77]
	s_waitcnt lgkmcnt(1)
	v_mul_f64 v[76:77], v[156:157], v[78:79]
	v_fma_f64 v[76:77], v[154:155], v[152:153], -v[76:77]
	v_mul_f64 v[154:155], v[154:155], v[78:79]
	v_fmac_f64_e32 v[154:155], v[156:157], v[152:153]
	s_waitcnt vmcnt(37)
	v_add_f64 v[64:65], v[64:65], -v[76:77]
	v_add_f64 v[66:67], v[66:67], -v[154:155]
	s_waitcnt lgkmcnt(0)
	v_mul_f64 v[76:77], v[160:161], v[78:79]
	ds_read2_b64 v[154:157], v254 offset0:26 offset1:27
	v_fma_f64 v[76:77], v[158:159], v[152:153], -v[76:77]
	v_mul_f64 v[158:159], v[158:159], v[78:79]
	v_fmac_f64_e32 v[158:159], v[160:161], v[152:153]
	s_waitcnt vmcnt(36)
	v_add_f64 v[62:63], v[62:63], -v[158:159]
	ds_read2_b64 v[158:161], v254 offset0:28 offset1:29
	v_add_f64 v[60:61], v[60:61], -v[76:77]
	;; [unrolled: 18-line block ×9, first 2 shown]
	s_waitcnt lgkmcnt(1)
	v_mul_f64 v[76:77], v[156:157], v[78:79]
	v_fma_f64 v[76:77], v[154:155], v[152:153], -v[76:77]
	v_mul_f64 v[154:155], v[154:155], v[78:79]
	v_fmac_f64_e32 v[154:155], v[156:157], v[152:153]
	v_add_f64 v[0:1], v[0:1], -v[76:77]
	v_add_f64 v[2:3], v[2:3], -v[154:155]
	s_waitcnt lgkmcnt(0)
	v_mul_f64 v[76:77], v[160:161], v[78:79]
	v_mul_f64 v[154:155], v[158:159], v[78:79]
	v_fma_f64 v[76:77], v[158:159], v[152:153], -v[76:77]
	v_fmac_f64_e32 v[154:155], v[160:161], v[152:153]
	s_waitcnt vmcnt(6)
	v_add_f64 v[112:113], v[112:113], -v[76:77]
	v_add_f64 v[114:115], v[114:115], -v[154:155]
	v_mov_b64_e32 v[76:77], v[152:153]
.LBB57_82:
	s_or_b64 exec, exec, s[2:3]
	v_cmp_eq_u32_e32 vcc, 9, v250
	s_waitcnt lgkmcnt(0)
	s_barrier
	s_and_saveexec_b64 s[4:5], vcc
	s_cbranch_execz .LBB57_89
; %bb.83:
	s_waitcnt vmcnt(39)
	ds_write2_b64 v251, v[72:73], v[74:75] offset1:1
	s_waitcnt vmcnt(38)
	ds_write2_b64 v254, v[68:69], v[70:71] offset0:20 offset1:21
	s_waitcnt vmcnt(37)
	ds_write2_b64 v254, v[64:65], v[66:67] offset0:22 offset1:23
	;; [unrolled: 2-line block ×17, first 2 shown]
	ds_write2_b64 v254, v[0:1], v[2:3] offset0:54 offset1:55
	s_waitcnt vmcnt(6)
	ds_write2_b64 v254, v[112:113], v[114:115] offset0:56 offset1:57
	ds_read2_b64 v[152:155], v251 offset1:1
	s_waitcnt lgkmcnt(0)
	v_cmp_neq_f64_e32 vcc, 0, v[152:153]
	v_cmp_neq_f64_e64 s[2:3], 0, v[154:155]
	s_or_b64 s[2:3], vcc, s[2:3]
	s_and_b64 exec, exec, s[2:3]
	s_cbranch_execz .LBB57_89
; %bb.84:
	v_cmp_ngt_f64_e64 s[2:3], |v[152:153]|, |v[154:155]|
                                        ; implicit-def: $vgpr156_vgpr157
	s_and_saveexec_b64 s[10:11], s[2:3]
	s_xor_b64 s[2:3], exec, s[10:11]
                                        ; implicit-def: $vgpr158_vgpr159
	s_cbranch_execz .LBB57_86
; %bb.85:
	v_div_scale_f64 v[156:157], s[10:11], v[154:155], v[154:155], v[152:153]
	v_rcp_f64_e32 v[158:159], v[156:157]
	v_div_scale_f64 v[160:161], vcc, v[152:153], v[154:155], v[152:153]
	v_fma_f64 v[162:163], -v[156:157], v[158:159], 1.0
	v_fmac_f64_e32 v[158:159], v[158:159], v[162:163]
	v_fma_f64 v[162:163], -v[156:157], v[158:159], 1.0
	v_fmac_f64_e32 v[158:159], v[158:159], v[162:163]
	v_mul_f64 v[162:163], v[160:161], v[158:159]
	v_fma_f64 v[156:157], -v[156:157], v[162:163], v[160:161]
	v_div_fmas_f64 v[156:157], v[156:157], v[158:159], v[162:163]
	v_div_fixup_f64 v[156:157], v[156:157], v[154:155], v[152:153]
	v_fmac_f64_e32 v[154:155], v[152:153], v[156:157]
	v_div_scale_f64 v[152:153], s[10:11], v[154:155], v[154:155], 1.0
	v_rcp_f64_e32 v[158:159], v[152:153]
	s_nop 0
	v_fma_f64 v[160:161], -v[152:153], v[158:159], 1.0
	v_fmac_f64_e32 v[158:159], v[158:159], v[160:161]
	v_fma_f64 v[160:161], -v[152:153], v[158:159], 1.0
	v_fmac_f64_e32 v[158:159], v[158:159], v[160:161]
	v_div_scale_f64 v[160:161], vcc, 1.0, v[154:155], 1.0
	v_mul_f64 v[162:163], v[160:161], v[158:159]
	v_fma_f64 v[152:153], -v[152:153], v[162:163], v[160:161]
	s_nop 1
	v_div_fmas_f64 v[152:153], v[152:153], v[158:159], v[162:163]
	v_div_fixup_f64 v[158:159], v[152:153], v[154:155], 1.0
	v_mul_f64 v[156:157], v[156:157], v[158:159]
	v_xor_b32_e32 v159, 0x80000000, v159
                                        ; implicit-def: $vgpr152_vgpr153
.LBB57_86:
	s_andn2_saveexec_b64 s[2:3], s[2:3]
	s_cbranch_execz .LBB57_88
; %bb.87:
	v_div_scale_f64 v[156:157], s[10:11], v[152:153], v[152:153], v[154:155]
	v_rcp_f64_e32 v[158:159], v[156:157]
	v_div_scale_f64 v[160:161], vcc, v[154:155], v[152:153], v[154:155]
	v_fma_f64 v[162:163], -v[156:157], v[158:159], 1.0
	v_fmac_f64_e32 v[158:159], v[158:159], v[162:163]
	v_fma_f64 v[162:163], -v[156:157], v[158:159], 1.0
	v_fmac_f64_e32 v[158:159], v[158:159], v[162:163]
	v_mul_f64 v[162:163], v[160:161], v[158:159]
	v_fma_f64 v[156:157], -v[156:157], v[162:163], v[160:161]
	v_div_fmas_f64 v[156:157], v[156:157], v[158:159], v[162:163]
	v_div_fixup_f64 v[158:159], v[156:157], v[152:153], v[154:155]
	v_fmac_f64_e32 v[152:153], v[154:155], v[158:159]
	v_div_scale_f64 v[154:155], s[10:11], v[152:153], v[152:153], 1.0
	v_rcp_f64_e32 v[156:157], v[154:155]
	s_nop 0
	v_fma_f64 v[160:161], -v[154:155], v[156:157], 1.0
	v_fmac_f64_e32 v[156:157], v[156:157], v[160:161]
	v_fma_f64 v[160:161], -v[154:155], v[156:157], 1.0
	v_fmac_f64_e32 v[156:157], v[156:157], v[160:161]
	v_div_scale_f64 v[160:161], vcc, 1.0, v[152:153], 1.0
	v_mul_f64 v[162:163], v[160:161], v[156:157]
	v_fma_f64 v[154:155], -v[154:155], v[162:163], v[160:161]
	s_nop 1
	v_div_fmas_f64 v[154:155], v[154:155], v[156:157], v[162:163]
	v_div_fixup_f64 v[156:157], v[154:155], v[152:153], 1.0
	v_mul_f64 v[158:159], v[158:159], -v[156:157]
.LBB57_88:
	s_or_b64 exec, exec, s[2:3]
	ds_write2_b64 v251, v[156:157], v[158:159] offset1:1
.LBB57_89:
	s_or_b64 exec, exec, s[4:5]
	s_waitcnt lgkmcnt(0)
	s_barrier
	ds_read2_b64 v[152:155], v251 offset1:1
	v_cmp_lt_u32_e32 vcc, 9, v250
	s_and_saveexec_b64 s[2:3], vcc
	s_cbranch_execz .LBB57_91
; %bb.90:
	ds_read2_b64 v[158:161], v254 offset0:20 offset1:21
	ds_read2_b64 v[162:165], v254 offset0:22 offset1:23
	s_waitcnt vmcnt(39) lgkmcnt(2)
	v_mul_f64 v[156:157], v[154:155], v[74:75]
	v_mul_f64 v[74:75], v[152:153], v[74:75]
	v_fmac_f64_e32 v[74:75], v[154:155], v[72:73]
	v_fma_f64 v[156:157], v[152:153], v[72:73], -v[156:157]
	s_waitcnt lgkmcnt(1)
	v_mul_f64 v[72:73], v[160:161], v[74:75]
	v_fma_f64 v[72:73], v[158:159], v[156:157], -v[72:73]
	v_mul_f64 v[158:159], v[158:159], v[74:75]
	v_fmac_f64_e32 v[158:159], v[160:161], v[156:157]
	s_waitcnt vmcnt(38)
	v_add_f64 v[70:71], v[70:71], -v[158:159]
	ds_read2_b64 v[158:161], v254 offset0:24 offset1:25
	v_add_f64 v[68:69], v[68:69], -v[72:73]
	s_waitcnt lgkmcnt(1)
	v_mul_f64 v[72:73], v[164:165], v[74:75]
	v_fma_f64 v[72:73], v[162:163], v[156:157], -v[72:73]
	v_mul_f64 v[162:163], v[162:163], v[74:75]
	v_fmac_f64_e32 v[162:163], v[164:165], v[156:157]
	s_waitcnt vmcnt(37)
	v_add_f64 v[64:65], v[64:65], -v[72:73]
	v_add_f64 v[66:67], v[66:67], -v[162:163]
	ds_read2_b64 v[162:165], v254 offset0:26 offset1:27
	s_waitcnt lgkmcnt(1)
	v_mul_f64 v[72:73], v[160:161], v[74:75]
	v_fma_f64 v[72:73], v[158:159], v[156:157], -v[72:73]
	v_mul_f64 v[158:159], v[158:159], v[74:75]
	v_fmac_f64_e32 v[158:159], v[160:161], v[156:157]
	s_waitcnt vmcnt(36)
	v_add_f64 v[62:63], v[62:63], -v[158:159]
	ds_read2_b64 v[158:161], v254 offset0:28 offset1:29
	v_add_f64 v[60:61], v[60:61], -v[72:73]
	s_waitcnt lgkmcnt(1)
	v_mul_f64 v[72:73], v[164:165], v[74:75]
	v_fma_f64 v[72:73], v[162:163], v[156:157], -v[72:73]
	v_mul_f64 v[162:163], v[162:163], v[74:75]
	v_fmac_f64_e32 v[162:163], v[164:165], v[156:157]
	s_waitcnt vmcnt(35)
	v_add_f64 v[56:57], v[56:57], -v[72:73]
	v_add_f64 v[58:59], v[58:59], -v[162:163]
	ds_read2_b64 v[162:165], v254 offset0:30 offset1:31
	;; [unrolled: 18-line block ×8, first 2 shown]
	s_waitcnt lgkmcnt(1)
	v_mul_f64 v[72:73], v[160:161], v[74:75]
	v_fma_f64 v[72:73], v[158:159], v[156:157], -v[72:73]
	v_mul_f64 v[158:159], v[158:159], v[74:75]
	v_fmac_f64_e32 v[158:159], v[160:161], v[156:157]
	s_waitcnt vmcnt(7)
	v_add_f64 v[6:7], v[6:7], -v[158:159]
	ds_read2_b64 v[158:161], v254 offset0:56 offset1:57
	v_add_f64 v[4:5], v[4:5], -v[72:73]
	s_waitcnt lgkmcnt(1)
	v_mul_f64 v[72:73], v[164:165], v[74:75]
	v_fma_f64 v[72:73], v[162:163], v[156:157], -v[72:73]
	v_add_f64 v[0:1], v[0:1], -v[72:73]
	s_waitcnt lgkmcnt(0)
	v_mul_f64 v[72:73], v[160:161], v[74:75]
	v_mul_f64 v[162:163], v[162:163], v[74:75]
	v_fma_f64 v[72:73], v[158:159], v[156:157], -v[72:73]
	v_mul_f64 v[158:159], v[158:159], v[74:75]
	v_fmac_f64_e32 v[162:163], v[164:165], v[156:157]
	v_fmac_f64_e32 v[158:159], v[160:161], v[156:157]
	v_add_f64 v[2:3], v[2:3], -v[162:163]
	s_waitcnt vmcnt(6)
	v_add_f64 v[112:113], v[112:113], -v[72:73]
	v_add_f64 v[114:115], v[114:115], -v[158:159]
	v_mov_b64_e32 v[72:73], v[156:157]
.LBB57_91:
	s_or_b64 exec, exec, s[2:3]
	v_cmp_eq_u32_e32 vcc, 10, v250
	s_waitcnt lgkmcnt(0)
	s_barrier
	s_and_saveexec_b64 s[4:5], vcc
	s_cbranch_execz .LBB57_98
; %bb.92:
	s_waitcnt vmcnt(38)
	ds_write2_b64 v251, v[68:69], v[70:71] offset1:1
	s_waitcnt vmcnt(37)
	ds_write2_b64 v254, v[64:65], v[66:67] offset0:22 offset1:23
	s_waitcnt vmcnt(36)
	ds_write2_b64 v254, v[60:61], v[62:63] offset0:24 offset1:25
	;; [unrolled: 2-line block ×16, first 2 shown]
	ds_write2_b64 v254, v[0:1], v[2:3] offset0:54 offset1:55
	s_waitcnt vmcnt(6)
	ds_write2_b64 v254, v[112:113], v[114:115] offset0:56 offset1:57
	ds_read2_b64 v[156:159], v251 offset1:1
	s_waitcnt lgkmcnt(0)
	v_cmp_neq_f64_e32 vcc, 0, v[156:157]
	v_cmp_neq_f64_e64 s[2:3], 0, v[158:159]
	s_or_b64 s[2:3], vcc, s[2:3]
	s_and_b64 exec, exec, s[2:3]
	s_cbranch_execz .LBB57_98
; %bb.93:
	v_cmp_ngt_f64_e64 s[2:3], |v[156:157]|, |v[158:159]|
                                        ; implicit-def: $vgpr160_vgpr161
	s_and_saveexec_b64 s[10:11], s[2:3]
	s_xor_b64 s[2:3], exec, s[10:11]
                                        ; implicit-def: $vgpr162_vgpr163
	s_cbranch_execz .LBB57_95
; %bb.94:
	v_div_scale_f64 v[160:161], s[10:11], v[158:159], v[158:159], v[156:157]
	v_rcp_f64_e32 v[162:163], v[160:161]
	v_div_scale_f64 v[164:165], vcc, v[156:157], v[158:159], v[156:157]
	v_fma_f64 v[166:167], -v[160:161], v[162:163], 1.0
	v_fmac_f64_e32 v[162:163], v[162:163], v[166:167]
	v_fma_f64 v[166:167], -v[160:161], v[162:163], 1.0
	v_fmac_f64_e32 v[162:163], v[162:163], v[166:167]
	v_mul_f64 v[166:167], v[164:165], v[162:163]
	v_fma_f64 v[160:161], -v[160:161], v[166:167], v[164:165]
	v_div_fmas_f64 v[160:161], v[160:161], v[162:163], v[166:167]
	v_div_fixup_f64 v[160:161], v[160:161], v[158:159], v[156:157]
	v_fmac_f64_e32 v[158:159], v[156:157], v[160:161]
	v_div_scale_f64 v[156:157], s[10:11], v[158:159], v[158:159], 1.0
	v_rcp_f64_e32 v[162:163], v[156:157]
	s_nop 0
	v_fma_f64 v[164:165], -v[156:157], v[162:163], 1.0
	v_fmac_f64_e32 v[162:163], v[162:163], v[164:165]
	v_fma_f64 v[164:165], -v[156:157], v[162:163], 1.0
	v_fmac_f64_e32 v[162:163], v[162:163], v[164:165]
	v_div_scale_f64 v[164:165], vcc, 1.0, v[158:159], 1.0
	v_mul_f64 v[166:167], v[164:165], v[162:163]
	v_fma_f64 v[156:157], -v[156:157], v[166:167], v[164:165]
	s_nop 1
	v_div_fmas_f64 v[156:157], v[156:157], v[162:163], v[166:167]
	v_div_fixup_f64 v[162:163], v[156:157], v[158:159], 1.0
	v_mul_f64 v[160:161], v[160:161], v[162:163]
	v_xor_b32_e32 v163, 0x80000000, v163
                                        ; implicit-def: $vgpr156_vgpr157
.LBB57_95:
	s_andn2_saveexec_b64 s[2:3], s[2:3]
	s_cbranch_execz .LBB57_97
; %bb.96:
	v_div_scale_f64 v[160:161], s[10:11], v[156:157], v[156:157], v[158:159]
	v_rcp_f64_e32 v[162:163], v[160:161]
	v_div_scale_f64 v[164:165], vcc, v[158:159], v[156:157], v[158:159]
	v_fma_f64 v[166:167], -v[160:161], v[162:163], 1.0
	v_fmac_f64_e32 v[162:163], v[162:163], v[166:167]
	v_fma_f64 v[166:167], -v[160:161], v[162:163], 1.0
	v_fmac_f64_e32 v[162:163], v[162:163], v[166:167]
	v_mul_f64 v[166:167], v[164:165], v[162:163]
	v_fma_f64 v[160:161], -v[160:161], v[166:167], v[164:165]
	v_div_fmas_f64 v[160:161], v[160:161], v[162:163], v[166:167]
	v_div_fixup_f64 v[162:163], v[160:161], v[156:157], v[158:159]
	v_fmac_f64_e32 v[156:157], v[158:159], v[162:163]
	v_div_scale_f64 v[158:159], s[10:11], v[156:157], v[156:157], 1.0
	v_rcp_f64_e32 v[160:161], v[158:159]
	s_nop 0
	v_fma_f64 v[164:165], -v[158:159], v[160:161], 1.0
	v_fmac_f64_e32 v[160:161], v[160:161], v[164:165]
	v_fma_f64 v[164:165], -v[158:159], v[160:161], 1.0
	v_fmac_f64_e32 v[160:161], v[160:161], v[164:165]
	v_div_scale_f64 v[164:165], vcc, 1.0, v[156:157], 1.0
	v_mul_f64 v[166:167], v[164:165], v[160:161]
	v_fma_f64 v[158:159], -v[158:159], v[166:167], v[164:165]
	s_nop 1
	v_div_fmas_f64 v[158:159], v[158:159], v[160:161], v[166:167]
	v_div_fixup_f64 v[160:161], v[158:159], v[156:157], 1.0
	v_mul_f64 v[162:163], v[162:163], -v[160:161]
.LBB57_97:
	s_or_b64 exec, exec, s[2:3]
	ds_write2_b64 v251, v[160:161], v[162:163] offset1:1
.LBB57_98:
	s_or_b64 exec, exec, s[4:5]
	s_waitcnt lgkmcnt(0)
	s_barrier
	ds_read2_b64 v[156:159], v251 offset1:1
	v_cmp_lt_u32_e32 vcc, 10, v250
	s_and_saveexec_b64 s[2:3], vcc
	s_cbranch_execz .LBB57_100
; %bb.99:
	ds_read2_b64 v[162:165], v254 offset0:22 offset1:23
	ds_read2_b64 v[166:169], v254 offset0:24 offset1:25
	s_waitcnt vmcnt(38) lgkmcnt(2)
	v_mul_f64 v[160:161], v[158:159], v[70:71]
	v_mul_f64 v[70:71], v[156:157], v[70:71]
	v_fmac_f64_e32 v[70:71], v[158:159], v[68:69]
	v_fma_f64 v[160:161], v[156:157], v[68:69], -v[160:161]
	s_waitcnt lgkmcnt(1)
	v_mul_f64 v[68:69], v[164:165], v[70:71]
	v_fma_f64 v[68:69], v[162:163], v[160:161], -v[68:69]
	v_mul_f64 v[162:163], v[162:163], v[70:71]
	v_fmac_f64_e32 v[162:163], v[164:165], v[160:161]
	s_waitcnt vmcnt(37)
	v_add_f64 v[64:65], v[64:65], -v[68:69]
	v_add_f64 v[66:67], v[66:67], -v[162:163]
	s_waitcnt lgkmcnt(0)
	v_mul_f64 v[68:69], v[168:169], v[70:71]
	ds_read2_b64 v[162:165], v254 offset0:26 offset1:27
	v_fma_f64 v[68:69], v[166:167], v[160:161], -v[68:69]
	v_mul_f64 v[166:167], v[166:167], v[70:71]
	v_fmac_f64_e32 v[166:167], v[168:169], v[160:161]
	s_waitcnt vmcnt(36)
	v_add_f64 v[62:63], v[62:63], -v[166:167]
	ds_read2_b64 v[166:169], v254 offset0:28 offset1:29
	v_add_f64 v[60:61], v[60:61], -v[68:69]
	s_waitcnt lgkmcnt(1)
	v_mul_f64 v[68:69], v[164:165], v[70:71]
	v_fma_f64 v[68:69], v[162:163], v[160:161], -v[68:69]
	v_mul_f64 v[162:163], v[162:163], v[70:71]
	v_fmac_f64_e32 v[162:163], v[164:165], v[160:161]
	s_waitcnt vmcnt(35)
	v_add_f64 v[56:57], v[56:57], -v[68:69]
	v_add_f64 v[58:59], v[58:59], -v[162:163]
	s_waitcnt lgkmcnt(0)
	v_mul_f64 v[68:69], v[168:169], v[70:71]
	ds_read2_b64 v[162:165], v254 offset0:30 offset1:31
	v_fma_f64 v[68:69], v[166:167], v[160:161], -v[68:69]
	v_mul_f64 v[166:167], v[166:167], v[70:71]
	v_fmac_f64_e32 v[166:167], v[168:169], v[160:161]
	s_waitcnt vmcnt(34)
	v_add_f64 v[54:55], v[54:55], -v[166:167]
	ds_read2_b64 v[166:169], v254 offset0:32 offset1:33
	v_add_f64 v[52:53], v[52:53], -v[68:69]
	;; [unrolled: 18-line block ×8, first 2 shown]
	s_waitcnt lgkmcnt(1)
	v_mul_f64 v[68:69], v[164:165], v[70:71]
	v_fma_f64 v[68:69], v[162:163], v[160:161], -v[68:69]
	v_mul_f64 v[162:163], v[162:163], v[70:71]
	v_fmac_f64_e32 v[162:163], v[164:165], v[160:161]
	v_add_f64 v[0:1], v[0:1], -v[68:69]
	v_add_f64 v[2:3], v[2:3], -v[162:163]
	s_waitcnt lgkmcnt(0)
	v_mul_f64 v[68:69], v[168:169], v[70:71]
	v_mul_f64 v[162:163], v[166:167], v[70:71]
	v_fma_f64 v[68:69], v[166:167], v[160:161], -v[68:69]
	v_fmac_f64_e32 v[162:163], v[168:169], v[160:161]
	s_waitcnt vmcnt(6)
	v_add_f64 v[112:113], v[112:113], -v[68:69]
	v_add_f64 v[114:115], v[114:115], -v[162:163]
	v_mov_b64_e32 v[68:69], v[160:161]
.LBB57_100:
	s_or_b64 exec, exec, s[2:3]
	v_cmp_eq_u32_e32 vcc, 11, v250
	s_waitcnt lgkmcnt(0)
	s_barrier
	s_and_saveexec_b64 s[4:5], vcc
	s_cbranch_execz .LBB57_107
; %bb.101:
	s_waitcnt vmcnt(37)
	ds_write2_b64 v251, v[64:65], v[66:67] offset1:1
	s_waitcnt vmcnt(36)
	ds_write2_b64 v254, v[60:61], v[62:63] offset0:24 offset1:25
	s_waitcnt vmcnt(35)
	ds_write2_b64 v254, v[56:57], v[58:59] offset0:26 offset1:27
	;; [unrolled: 2-line block ×15, first 2 shown]
	ds_write2_b64 v254, v[0:1], v[2:3] offset0:54 offset1:55
	s_waitcnt vmcnt(6)
	ds_write2_b64 v254, v[112:113], v[114:115] offset0:56 offset1:57
	ds_read2_b64 v[160:163], v251 offset1:1
	s_waitcnt lgkmcnt(0)
	v_cmp_neq_f64_e32 vcc, 0, v[160:161]
	v_cmp_neq_f64_e64 s[2:3], 0, v[162:163]
	s_or_b64 s[2:3], vcc, s[2:3]
	s_and_b64 exec, exec, s[2:3]
	s_cbranch_execz .LBB57_107
; %bb.102:
	v_cmp_ngt_f64_e64 s[2:3], |v[160:161]|, |v[162:163]|
                                        ; implicit-def: $vgpr164_vgpr165
	s_and_saveexec_b64 s[10:11], s[2:3]
	s_xor_b64 s[2:3], exec, s[10:11]
                                        ; implicit-def: $vgpr166_vgpr167
	s_cbranch_execz .LBB57_104
; %bb.103:
	v_div_scale_f64 v[164:165], s[10:11], v[162:163], v[162:163], v[160:161]
	v_rcp_f64_e32 v[166:167], v[164:165]
	v_div_scale_f64 v[168:169], vcc, v[160:161], v[162:163], v[160:161]
	v_fma_f64 v[170:171], -v[164:165], v[166:167], 1.0
	v_fmac_f64_e32 v[166:167], v[166:167], v[170:171]
	v_fma_f64 v[170:171], -v[164:165], v[166:167], 1.0
	v_fmac_f64_e32 v[166:167], v[166:167], v[170:171]
	v_mul_f64 v[170:171], v[168:169], v[166:167]
	v_fma_f64 v[164:165], -v[164:165], v[170:171], v[168:169]
	v_div_fmas_f64 v[164:165], v[164:165], v[166:167], v[170:171]
	v_div_fixup_f64 v[164:165], v[164:165], v[162:163], v[160:161]
	v_fmac_f64_e32 v[162:163], v[160:161], v[164:165]
	v_div_scale_f64 v[160:161], s[10:11], v[162:163], v[162:163], 1.0
	v_rcp_f64_e32 v[166:167], v[160:161]
	s_nop 0
	v_fma_f64 v[168:169], -v[160:161], v[166:167], 1.0
	v_fmac_f64_e32 v[166:167], v[166:167], v[168:169]
	v_fma_f64 v[168:169], -v[160:161], v[166:167], 1.0
	v_fmac_f64_e32 v[166:167], v[166:167], v[168:169]
	v_div_scale_f64 v[168:169], vcc, 1.0, v[162:163], 1.0
	v_mul_f64 v[170:171], v[168:169], v[166:167]
	v_fma_f64 v[160:161], -v[160:161], v[170:171], v[168:169]
	s_nop 1
	v_div_fmas_f64 v[160:161], v[160:161], v[166:167], v[170:171]
	v_div_fixup_f64 v[166:167], v[160:161], v[162:163], 1.0
	v_mul_f64 v[164:165], v[164:165], v[166:167]
	v_xor_b32_e32 v167, 0x80000000, v167
                                        ; implicit-def: $vgpr160_vgpr161
.LBB57_104:
	s_andn2_saveexec_b64 s[2:3], s[2:3]
	s_cbranch_execz .LBB57_106
; %bb.105:
	v_div_scale_f64 v[164:165], s[10:11], v[160:161], v[160:161], v[162:163]
	v_rcp_f64_e32 v[166:167], v[164:165]
	v_div_scale_f64 v[168:169], vcc, v[162:163], v[160:161], v[162:163]
	v_fma_f64 v[170:171], -v[164:165], v[166:167], 1.0
	v_fmac_f64_e32 v[166:167], v[166:167], v[170:171]
	v_fma_f64 v[170:171], -v[164:165], v[166:167], 1.0
	v_fmac_f64_e32 v[166:167], v[166:167], v[170:171]
	v_mul_f64 v[170:171], v[168:169], v[166:167]
	v_fma_f64 v[164:165], -v[164:165], v[170:171], v[168:169]
	v_div_fmas_f64 v[164:165], v[164:165], v[166:167], v[170:171]
	v_div_fixup_f64 v[166:167], v[164:165], v[160:161], v[162:163]
	v_fmac_f64_e32 v[160:161], v[162:163], v[166:167]
	v_div_scale_f64 v[162:163], s[10:11], v[160:161], v[160:161], 1.0
	v_rcp_f64_e32 v[164:165], v[162:163]
	s_nop 0
	v_fma_f64 v[168:169], -v[162:163], v[164:165], 1.0
	v_fmac_f64_e32 v[164:165], v[164:165], v[168:169]
	v_fma_f64 v[168:169], -v[162:163], v[164:165], 1.0
	v_fmac_f64_e32 v[164:165], v[164:165], v[168:169]
	v_div_scale_f64 v[168:169], vcc, 1.0, v[160:161], 1.0
	v_mul_f64 v[170:171], v[168:169], v[164:165]
	v_fma_f64 v[162:163], -v[162:163], v[170:171], v[168:169]
	s_nop 1
	v_div_fmas_f64 v[162:163], v[162:163], v[164:165], v[170:171]
	v_div_fixup_f64 v[164:165], v[162:163], v[160:161], 1.0
	v_mul_f64 v[166:167], v[166:167], -v[164:165]
.LBB57_106:
	s_or_b64 exec, exec, s[2:3]
	ds_write2_b64 v251, v[164:165], v[166:167] offset1:1
.LBB57_107:
	s_or_b64 exec, exec, s[4:5]
	s_waitcnt lgkmcnt(0)
	s_barrier
	ds_read2_b64 v[160:163], v251 offset1:1
	v_cmp_lt_u32_e32 vcc, 11, v250
	s_and_saveexec_b64 s[2:3], vcc
	s_cbranch_execz .LBB57_109
; %bb.108:
	ds_read2_b64 v[166:169], v254 offset0:24 offset1:25
	ds_read2_b64 v[170:173], v254 offset0:26 offset1:27
	s_waitcnt vmcnt(37) lgkmcnt(2)
	v_mul_f64 v[164:165], v[162:163], v[66:67]
	v_mul_f64 v[66:67], v[160:161], v[66:67]
	v_fmac_f64_e32 v[66:67], v[162:163], v[64:65]
	v_fma_f64 v[164:165], v[160:161], v[64:65], -v[164:165]
	s_waitcnt lgkmcnt(1)
	v_mul_f64 v[64:65], v[168:169], v[66:67]
	v_fma_f64 v[64:65], v[166:167], v[164:165], -v[64:65]
	v_mul_f64 v[166:167], v[166:167], v[66:67]
	v_fmac_f64_e32 v[166:167], v[168:169], v[164:165]
	s_waitcnt vmcnt(36)
	v_add_f64 v[62:63], v[62:63], -v[166:167]
	ds_read2_b64 v[166:169], v254 offset0:28 offset1:29
	v_add_f64 v[60:61], v[60:61], -v[64:65]
	s_waitcnt lgkmcnt(1)
	v_mul_f64 v[64:65], v[172:173], v[66:67]
	v_fma_f64 v[64:65], v[170:171], v[164:165], -v[64:65]
	v_mul_f64 v[170:171], v[170:171], v[66:67]
	v_fmac_f64_e32 v[170:171], v[172:173], v[164:165]
	s_waitcnt vmcnt(35)
	v_add_f64 v[56:57], v[56:57], -v[64:65]
	v_add_f64 v[58:59], v[58:59], -v[170:171]
	ds_read2_b64 v[170:173], v254 offset0:30 offset1:31
	s_waitcnt lgkmcnt(1)
	v_mul_f64 v[64:65], v[168:169], v[66:67]
	v_fma_f64 v[64:65], v[166:167], v[164:165], -v[64:65]
	v_mul_f64 v[166:167], v[166:167], v[66:67]
	v_fmac_f64_e32 v[166:167], v[168:169], v[164:165]
	s_waitcnt vmcnt(34)
	v_add_f64 v[54:55], v[54:55], -v[166:167]
	ds_read2_b64 v[166:169], v254 offset0:32 offset1:33
	v_add_f64 v[52:53], v[52:53], -v[64:65]
	s_waitcnt lgkmcnt(1)
	v_mul_f64 v[64:65], v[172:173], v[66:67]
	v_fma_f64 v[64:65], v[170:171], v[164:165], -v[64:65]
	v_mul_f64 v[170:171], v[170:171], v[66:67]
	v_fmac_f64_e32 v[170:171], v[172:173], v[164:165]
	s_waitcnt vmcnt(33)
	v_add_f64 v[48:49], v[48:49], -v[64:65]
	v_add_f64 v[50:51], v[50:51], -v[170:171]
	ds_read2_b64 v[170:173], v254 offset0:34 offset1:35
	;; [unrolled: 18-line block ×7, first 2 shown]
	s_waitcnt lgkmcnt(1)
	v_mul_f64 v[64:65], v[168:169], v[66:67]
	v_fma_f64 v[64:65], v[166:167], v[164:165], -v[64:65]
	v_mul_f64 v[166:167], v[166:167], v[66:67]
	v_fmac_f64_e32 v[166:167], v[168:169], v[164:165]
	s_waitcnt vmcnt(7)
	v_add_f64 v[6:7], v[6:7], -v[166:167]
	ds_read2_b64 v[166:169], v254 offset0:56 offset1:57
	v_add_f64 v[4:5], v[4:5], -v[64:65]
	s_waitcnt lgkmcnt(1)
	v_mul_f64 v[64:65], v[172:173], v[66:67]
	v_fma_f64 v[64:65], v[170:171], v[164:165], -v[64:65]
	v_add_f64 v[0:1], v[0:1], -v[64:65]
	s_waitcnt lgkmcnt(0)
	v_mul_f64 v[64:65], v[168:169], v[66:67]
	v_mul_f64 v[170:171], v[170:171], v[66:67]
	v_fma_f64 v[64:65], v[166:167], v[164:165], -v[64:65]
	v_mul_f64 v[166:167], v[166:167], v[66:67]
	v_fmac_f64_e32 v[170:171], v[172:173], v[164:165]
	v_fmac_f64_e32 v[166:167], v[168:169], v[164:165]
	v_add_f64 v[2:3], v[2:3], -v[170:171]
	s_waitcnt vmcnt(6)
	v_add_f64 v[112:113], v[112:113], -v[64:65]
	v_add_f64 v[114:115], v[114:115], -v[166:167]
	v_mov_b64_e32 v[64:65], v[164:165]
.LBB57_109:
	s_or_b64 exec, exec, s[2:3]
	v_cmp_eq_u32_e32 vcc, 12, v250
	s_waitcnt lgkmcnt(0)
	s_barrier
	s_and_saveexec_b64 s[4:5], vcc
	s_cbranch_execz .LBB57_116
; %bb.110:
	s_waitcnt vmcnt(36)
	ds_write2_b64 v251, v[60:61], v[62:63] offset1:1
	s_waitcnt vmcnt(35)
	ds_write2_b64 v254, v[56:57], v[58:59] offset0:26 offset1:27
	s_waitcnt vmcnt(34)
	ds_write2_b64 v254, v[52:53], v[54:55] offset0:28 offset1:29
	;; [unrolled: 2-line block ×14, first 2 shown]
	ds_write2_b64 v254, v[0:1], v[2:3] offset0:54 offset1:55
	s_waitcnt vmcnt(6)
	ds_write2_b64 v254, v[112:113], v[114:115] offset0:56 offset1:57
	ds_read2_b64 v[164:167], v251 offset1:1
	s_waitcnt lgkmcnt(0)
	v_cmp_neq_f64_e32 vcc, 0, v[164:165]
	v_cmp_neq_f64_e64 s[2:3], 0, v[166:167]
	s_or_b64 s[2:3], vcc, s[2:3]
	s_and_b64 exec, exec, s[2:3]
	s_cbranch_execz .LBB57_116
; %bb.111:
	v_cmp_ngt_f64_e64 s[2:3], |v[164:165]|, |v[166:167]|
                                        ; implicit-def: $vgpr168_vgpr169
	s_and_saveexec_b64 s[10:11], s[2:3]
	s_xor_b64 s[2:3], exec, s[10:11]
                                        ; implicit-def: $vgpr170_vgpr171
	s_cbranch_execz .LBB57_113
; %bb.112:
	v_div_scale_f64 v[168:169], s[10:11], v[166:167], v[166:167], v[164:165]
	v_rcp_f64_e32 v[170:171], v[168:169]
	v_div_scale_f64 v[172:173], vcc, v[164:165], v[166:167], v[164:165]
	v_fma_f64 v[174:175], -v[168:169], v[170:171], 1.0
	v_fmac_f64_e32 v[170:171], v[170:171], v[174:175]
	v_fma_f64 v[174:175], -v[168:169], v[170:171], 1.0
	v_fmac_f64_e32 v[170:171], v[170:171], v[174:175]
	v_mul_f64 v[174:175], v[172:173], v[170:171]
	v_fma_f64 v[168:169], -v[168:169], v[174:175], v[172:173]
	v_div_fmas_f64 v[168:169], v[168:169], v[170:171], v[174:175]
	v_div_fixup_f64 v[168:169], v[168:169], v[166:167], v[164:165]
	v_fmac_f64_e32 v[166:167], v[164:165], v[168:169]
	v_div_scale_f64 v[164:165], s[10:11], v[166:167], v[166:167], 1.0
	v_rcp_f64_e32 v[170:171], v[164:165]
	s_nop 0
	v_fma_f64 v[172:173], -v[164:165], v[170:171], 1.0
	v_fmac_f64_e32 v[170:171], v[170:171], v[172:173]
	v_fma_f64 v[172:173], -v[164:165], v[170:171], 1.0
	v_fmac_f64_e32 v[170:171], v[170:171], v[172:173]
	v_div_scale_f64 v[172:173], vcc, 1.0, v[166:167], 1.0
	v_mul_f64 v[174:175], v[172:173], v[170:171]
	v_fma_f64 v[164:165], -v[164:165], v[174:175], v[172:173]
	s_nop 1
	v_div_fmas_f64 v[164:165], v[164:165], v[170:171], v[174:175]
	v_div_fixup_f64 v[170:171], v[164:165], v[166:167], 1.0
	v_mul_f64 v[168:169], v[168:169], v[170:171]
	v_xor_b32_e32 v171, 0x80000000, v171
                                        ; implicit-def: $vgpr164_vgpr165
.LBB57_113:
	s_andn2_saveexec_b64 s[2:3], s[2:3]
	s_cbranch_execz .LBB57_115
; %bb.114:
	v_div_scale_f64 v[168:169], s[10:11], v[164:165], v[164:165], v[166:167]
	v_rcp_f64_e32 v[170:171], v[168:169]
	v_div_scale_f64 v[172:173], vcc, v[166:167], v[164:165], v[166:167]
	v_fma_f64 v[174:175], -v[168:169], v[170:171], 1.0
	v_fmac_f64_e32 v[170:171], v[170:171], v[174:175]
	v_fma_f64 v[174:175], -v[168:169], v[170:171], 1.0
	v_fmac_f64_e32 v[170:171], v[170:171], v[174:175]
	v_mul_f64 v[174:175], v[172:173], v[170:171]
	v_fma_f64 v[168:169], -v[168:169], v[174:175], v[172:173]
	v_div_fmas_f64 v[168:169], v[168:169], v[170:171], v[174:175]
	v_div_fixup_f64 v[170:171], v[168:169], v[164:165], v[166:167]
	v_fmac_f64_e32 v[164:165], v[166:167], v[170:171]
	v_div_scale_f64 v[166:167], s[10:11], v[164:165], v[164:165], 1.0
	v_rcp_f64_e32 v[168:169], v[166:167]
	s_nop 0
	v_fma_f64 v[172:173], -v[166:167], v[168:169], 1.0
	v_fmac_f64_e32 v[168:169], v[168:169], v[172:173]
	v_fma_f64 v[172:173], -v[166:167], v[168:169], 1.0
	v_fmac_f64_e32 v[168:169], v[168:169], v[172:173]
	v_div_scale_f64 v[172:173], vcc, 1.0, v[164:165], 1.0
	v_mul_f64 v[174:175], v[172:173], v[168:169]
	v_fma_f64 v[166:167], -v[166:167], v[174:175], v[172:173]
	s_nop 1
	v_div_fmas_f64 v[166:167], v[166:167], v[168:169], v[174:175]
	v_div_fixup_f64 v[168:169], v[166:167], v[164:165], 1.0
	v_mul_f64 v[170:171], v[170:171], -v[168:169]
.LBB57_115:
	s_or_b64 exec, exec, s[2:3]
	ds_write2_b64 v251, v[168:169], v[170:171] offset1:1
.LBB57_116:
	s_or_b64 exec, exec, s[4:5]
	s_waitcnt lgkmcnt(0)
	s_barrier
	ds_read2_b64 v[164:167], v251 offset1:1
	v_cmp_lt_u32_e32 vcc, 12, v250
	s_and_saveexec_b64 s[2:3], vcc
	s_cbranch_execz .LBB57_118
; %bb.117:
	ds_read2_b64 v[170:173], v254 offset0:26 offset1:27
	ds_read2_b64 v[174:177], v254 offset0:28 offset1:29
	s_waitcnt vmcnt(36) lgkmcnt(2)
	v_mul_f64 v[168:169], v[164:165], v[62:63]
	v_fmac_f64_e32 v[168:169], v[166:167], v[60:61]
	v_mul_f64 v[62:63], v[166:167], v[62:63]
	v_fma_f64 v[60:61], v[164:165], v[60:61], -v[62:63]
	s_waitcnt lgkmcnt(1)
	v_mul_f64 v[62:63], v[172:173], v[168:169]
	v_fma_f64 v[62:63], v[170:171], v[60:61], -v[62:63]
	v_mul_f64 v[170:171], v[170:171], v[168:169]
	v_fmac_f64_e32 v[170:171], v[172:173], v[60:61]
	s_waitcnt vmcnt(35)
	v_add_f64 v[56:57], v[56:57], -v[62:63]
	v_add_f64 v[58:59], v[58:59], -v[170:171]
	s_waitcnt lgkmcnt(0)
	v_mul_f64 v[62:63], v[176:177], v[168:169]
	ds_read2_b64 v[170:173], v254 offset0:30 offset1:31
	v_fma_f64 v[62:63], v[174:175], v[60:61], -v[62:63]
	v_mul_f64 v[174:175], v[174:175], v[168:169]
	v_fmac_f64_e32 v[174:175], v[176:177], v[60:61]
	s_waitcnt vmcnt(34)
	v_add_f64 v[54:55], v[54:55], -v[174:175]
	ds_read2_b64 v[174:177], v254 offset0:32 offset1:33
	v_add_f64 v[52:53], v[52:53], -v[62:63]
	s_waitcnt lgkmcnt(1)
	v_mul_f64 v[62:63], v[172:173], v[168:169]
	v_fma_f64 v[62:63], v[170:171], v[60:61], -v[62:63]
	v_mul_f64 v[170:171], v[170:171], v[168:169]
	v_fmac_f64_e32 v[170:171], v[172:173], v[60:61]
	s_waitcnt vmcnt(33)
	v_add_f64 v[48:49], v[48:49], -v[62:63]
	v_add_f64 v[50:51], v[50:51], -v[170:171]
	s_waitcnt lgkmcnt(0)
	v_mul_f64 v[62:63], v[176:177], v[168:169]
	ds_read2_b64 v[170:173], v254 offset0:34 offset1:35
	v_fma_f64 v[62:63], v[174:175], v[60:61], -v[62:63]
	v_mul_f64 v[174:175], v[174:175], v[168:169]
	v_fmac_f64_e32 v[174:175], v[176:177], v[60:61]
	s_waitcnt vmcnt(32)
	v_add_f64 v[46:47], v[46:47], -v[174:175]
	ds_read2_b64 v[174:177], v254 offset0:36 offset1:37
	v_add_f64 v[44:45], v[44:45], -v[62:63]
	;; [unrolled: 18-line block ×7, first 2 shown]
	s_waitcnt lgkmcnt(1)
	v_mul_f64 v[62:63], v[172:173], v[168:169]
	v_fma_f64 v[62:63], v[170:171], v[60:61], -v[62:63]
	v_mul_f64 v[170:171], v[170:171], v[168:169]
	v_fmac_f64_e32 v[170:171], v[172:173], v[60:61]
	v_add_f64 v[0:1], v[0:1], -v[62:63]
	v_add_f64 v[2:3], v[2:3], -v[170:171]
	s_waitcnt lgkmcnt(0)
	v_mul_f64 v[62:63], v[176:177], v[168:169]
	v_mul_f64 v[170:171], v[174:175], v[168:169]
	v_fma_f64 v[62:63], v[174:175], v[60:61], -v[62:63]
	v_fmac_f64_e32 v[170:171], v[176:177], v[60:61]
	s_waitcnt vmcnt(6)
	v_add_f64 v[112:113], v[112:113], -v[62:63]
	v_add_f64 v[114:115], v[114:115], -v[170:171]
	v_mov_b64_e32 v[62:63], v[168:169]
.LBB57_118:
	s_or_b64 exec, exec, s[2:3]
	v_cmp_eq_u32_e32 vcc, 13, v250
	s_waitcnt lgkmcnt(0)
	s_barrier
	s_and_saveexec_b64 s[4:5], vcc
	s_cbranch_execz .LBB57_125
; %bb.119:
	s_waitcnt vmcnt(35)
	ds_write2_b64 v251, v[56:57], v[58:59] offset1:1
	s_waitcnt vmcnt(34)
	ds_write2_b64 v254, v[52:53], v[54:55] offset0:28 offset1:29
	s_waitcnt vmcnt(33)
	ds_write2_b64 v254, v[48:49], v[50:51] offset0:30 offset1:31
	s_waitcnt vmcnt(32)
	ds_write2_b64 v254, v[44:45], v[46:47] offset0:32 offset1:33
	s_waitcnt vmcnt(31)
	ds_write2_b64 v254, v[40:41], v[42:43] offset0:34 offset1:35
	s_waitcnt vmcnt(30)
	ds_write2_b64 v254, v[36:37], v[38:39] offset0:36 offset1:37
	s_waitcnt vmcnt(29)
	ds_write2_b64 v254, v[32:33], v[34:35] offset0:38 offset1:39
	s_waitcnt vmcnt(28)
	ds_write2_b64 v254, v[28:29], v[30:31] offset0:40 offset1:41
	s_waitcnt vmcnt(13)
	ds_write2_b64 v254, v[24:25], v[26:27] offset0:42 offset1:43
	s_waitcnt vmcnt(11)
	ds_write2_b64 v254, v[20:21], v[22:23] offset0:44 offset1:45
	s_waitcnt vmcnt(10)
	ds_write2_b64 v254, v[16:17], v[18:19] offset0:46 offset1:47
	s_waitcnt vmcnt(9)
	ds_write2_b64 v254, v[12:13], v[14:15] offset0:48 offset1:49
	s_waitcnt vmcnt(8)
	ds_write2_b64 v254, v[8:9], v[10:11] offset0:50 offset1:51
	s_waitcnt vmcnt(7)
	ds_write2_b64 v254, v[4:5], v[6:7] offset0:52 offset1:53
	ds_write2_b64 v254, v[0:1], v[2:3] offset0:54 offset1:55
	s_waitcnt vmcnt(6)
	ds_write2_b64 v254, v[112:113], v[114:115] offset0:56 offset1:57
	ds_read2_b64 v[168:171], v251 offset1:1
	s_waitcnt lgkmcnt(0)
	v_cmp_neq_f64_e32 vcc, 0, v[168:169]
	v_cmp_neq_f64_e64 s[2:3], 0, v[170:171]
	s_or_b64 s[2:3], vcc, s[2:3]
	s_and_b64 exec, exec, s[2:3]
	s_cbranch_execz .LBB57_125
; %bb.120:
	v_cmp_ngt_f64_e64 s[2:3], |v[168:169]|, |v[170:171]|
                                        ; implicit-def: $vgpr172_vgpr173
	s_and_saveexec_b64 s[10:11], s[2:3]
	s_xor_b64 s[2:3], exec, s[10:11]
                                        ; implicit-def: $vgpr174_vgpr175
	s_cbranch_execz .LBB57_122
; %bb.121:
	v_div_scale_f64 v[172:173], s[10:11], v[170:171], v[170:171], v[168:169]
	v_rcp_f64_e32 v[174:175], v[172:173]
	v_div_scale_f64 v[176:177], vcc, v[168:169], v[170:171], v[168:169]
	v_fma_f64 v[178:179], -v[172:173], v[174:175], 1.0
	v_fmac_f64_e32 v[174:175], v[174:175], v[178:179]
	v_fma_f64 v[178:179], -v[172:173], v[174:175], 1.0
	v_fmac_f64_e32 v[174:175], v[174:175], v[178:179]
	v_mul_f64 v[178:179], v[176:177], v[174:175]
	v_fma_f64 v[172:173], -v[172:173], v[178:179], v[176:177]
	v_div_fmas_f64 v[172:173], v[172:173], v[174:175], v[178:179]
	v_div_fixup_f64 v[172:173], v[172:173], v[170:171], v[168:169]
	v_fmac_f64_e32 v[170:171], v[168:169], v[172:173]
	v_div_scale_f64 v[168:169], s[10:11], v[170:171], v[170:171], 1.0
	v_rcp_f64_e32 v[174:175], v[168:169]
	s_nop 0
	v_fma_f64 v[176:177], -v[168:169], v[174:175], 1.0
	v_fmac_f64_e32 v[174:175], v[174:175], v[176:177]
	v_fma_f64 v[176:177], -v[168:169], v[174:175], 1.0
	v_fmac_f64_e32 v[174:175], v[174:175], v[176:177]
	v_div_scale_f64 v[176:177], vcc, 1.0, v[170:171], 1.0
	v_mul_f64 v[178:179], v[176:177], v[174:175]
	v_fma_f64 v[168:169], -v[168:169], v[178:179], v[176:177]
	s_nop 1
	v_div_fmas_f64 v[168:169], v[168:169], v[174:175], v[178:179]
	v_div_fixup_f64 v[174:175], v[168:169], v[170:171], 1.0
	v_mul_f64 v[172:173], v[172:173], v[174:175]
	v_xor_b32_e32 v175, 0x80000000, v175
                                        ; implicit-def: $vgpr168_vgpr169
.LBB57_122:
	s_andn2_saveexec_b64 s[2:3], s[2:3]
	s_cbranch_execz .LBB57_124
; %bb.123:
	v_div_scale_f64 v[172:173], s[10:11], v[168:169], v[168:169], v[170:171]
	v_rcp_f64_e32 v[174:175], v[172:173]
	v_div_scale_f64 v[176:177], vcc, v[170:171], v[168:169], v[170:171]
	v_fma_f64 v[178:179], -v[172:173], v[174:175], 1.0
	v_fmac_f64_e32 v[174:175], v[174:175], v[178:179]
	v_fma_f64 v[178:179], -v[172:173], v[174:175], 1.0
	v_fmac_f64_e32 v[174:175], v[174:175], v[178:179]
	v_mul_f64 v[178:179], v[176:177], v[174:175]
	v_fma_f64 v[172:173], -v[172:173], v[178:179], v[176:177]
	v_div_fmas_f64 v[172:173], v[172:173], v[174:175], v[178:179]
	v_div_fixup_f64 v[174:175], v[172:173], v[168:169], v[170:171]
	v_fmac_f64_e32 v[168:169], v[170:171], v[174:175]
	v_div_scale_f64 v[170:171], s[10:11], v[168:169], v[168:169], 1.0
	v_rcp_f64_e32 v[172:173], v[170:171]
	s_nop 0
	v_fma_f64 v[176:177], -v[170:171], v[172:173], 1.0
	v_fmac_f64_e32 v[172:173], v[172:173], v[176:177]
	v_fma_f64 v[176:177], -v[170:171], v[172:173], 1.0
	v_fmac_f64_e32 v[172:173], v[172:173], v[176:177]
	v_div_scale_f64 v[176:177], vcc, 1.0, v[168:169], 1.0
	v_mul_f64 v[178:179], v[176:177], v[172:173]
	v_fma_f64 v[170:171], -v[170:171], v[178:179], v[176:177]
	s_nop 1
	v_div_fmas_f64 v[170:171], v[170:171], v[172:173], v[178:179]
	v_div_fixup_f64 v[172:173], v[170:171], v[168:169], 1.0
	v_mul_f64 v[174:175], v[174:175], -v[172:173]
.LBB57_124:
	s_or_b64 exec, exec, s[2:3]
	ds_write2_b64 v251, v[172:173], v[174:175] offset1:1
.LBB57_125:
	s_or_b64 exec, exec, s[4:5]
	s_waitcnt lgkmcnt(0)
	s_barrier
	ds_read2_b64 v[168:171], v251 offset1:1
	v_cmp_lt_u32_e32 vcc, 13, v250
	s_and_saveexec_b64 s[2:3], vcc
	s_cbranch_execz .LBB57_127
; %bb.126:
	ds_read2_b64 v[174:177], v254 offset0:28 offset1:29
	ds_read2_b64 v[178:181], v254 offset0:30 offset1:31
	s_waitcnt vmcnt(35) lgkmcnt(2)
	v_mul_f64 v[172:173], v[168:169], v[58:59]
	v_fmac_f64_e32 v[172:173], v[170:171], v[56:57]
	v_mul_f64 v[58:59], v[170:171], v[58:59]
	v_fma_f64 v[56:57], v[168:169], v[56:57], -v[58:59]
	s_waitcnt lgkmcnt(1)
	v_mul_f64 v[58:59], v[176:177], v[172:173]
	v_fma_f64 v[58:59], v[174:175], v[56:57], -v[58:59]
	v_mul_f64 v[174:175], v[174:175], v[172:173]
	v_fmac_f64_e32 v[174:175], v[176:177], v[56:57]
	s_waitcnt vmcnt(34)
	v_add_f64 v[54:55], v[54:55], -v[174:175]
	ds_read2_b64 v[174:177], v254 offset0:32 offset1:33
	v_add_f64 v[52:53], v[52:53], -v[58:59]
	s_waitcnt lgkmcnt(1)
	v_mul_f64 v[58:59], v[180:181], v[172:173]
	v_fma_f64 v[58:59], v[178:179], v[56:57], -v[58:59]
	v_mul_f64 v[178:179], v[178:179], v[172:173]
	v_fmac_f64_e32 v[178:179], v[180:181], v[56:57]
	s_waitcnt vmcnt(33)
	v_add_f64 v[48:49], v[48:49], -v[58:59]
	v_add_f64 v[50:51], v[50:51], -v[178:179]
	ds_read2_b64 v[178:181], v254 offset0:34 offset1:35
	s_waitcnt lgkmcnt(1)
	v_mul_f64 v[58:59], v[176:177], v[172:173]
	v_fma_f64 v[58:59], v[174:175], v[56:57], -v[58:59]
	v_mul_f64 v[174:175], v[174:175], v[172:173]
	v_fmac_f64_e32 v[174:175], v[176:177], v[56:57]
	s_waitcnt vmcnt(32)
	v_add_f64 v[46:47], v[46:47], -v[174:175]
	ds_read2_b64 v[174:177], v254 offset0:36 offset1:37
	v_add_f64 v[44:45], v[44:45], -v[58:59]
	s_waitcnt lgkmcnt(1)
	v_mul_f64 v[58:59], v[180:181], v[172:173]
	v_fma_f64 v[58:59], v[178:179], v[56:57], -v[58:59]
	v_mul_f64 v[178:179], v[178:179], v[172:173]
	v_fmac_f64_e32 v[178:179], v[180:181], v[56:57]
	s_waitcnt vmcnt(31)
	v_add_f64 v[40:41], v[40:41], -v[58:59]
	v_add_f64 v[42:43], v[42:43], -v[178:179]
	ds_read2_b64 v[178:181], v254 offset0:38 offset1:39
	s_waitcnt lgkmcnt(1)
	v_mul_f64 v[58:59], v[176:177], v[172:173]
	v_fma_f64 v[58:59], v[174:175], v[56:57], -v[58:59]
	v_mul_f64 v[174:175], v[174:175], v[172:173]
	v_fmac_f64_e32 v[174:175], v[176:177], v[56:57]
	s_waitcnt vmcnt(30)
	v_add_f64 v[38:39], v[38:39], -v[174:175]
	ds_read2_b64 v[174:177], v254 offset0:40 offset1:41
	v_add_f64 v[36:37], v[36:37], -v[58:59]
	s_waitcnt lgkmcnt(1)
	v_mul_f64 v[58:59], v[180:181], v[172:173]
	v_fma_f64 v[58:59], v[178:179], v[56:57], -v[58:59]
	v_mul_f64 v[178:179], v[178:179], v[172:173]
	v_fmac_f64_e32 v[178:179], v[180:181], v[56:57]
	s_waitcnt vmcnt(29)
	v_add_f64 v[32:33], v[32:33], -v[58:59]
	v_add_f64 v[34:35], v[34:35], -v[178:179]
	ds_read2_b64 v[178:181], v254 offset0:42 offset1:43
	s_waitcnt lgkmcnt(1)
	v_mul_f64 v[58:59], v[176:177], v[172:173]
	v_fma_f64 v[58:59], v[174:175], v[56:57], -v[58:59]
	v_mul_f64 v[174:175], v[174:175], v[172:173]
	v_fmac_f64_e32 v[174:175], v[176:177], v[56:57]
	s_waitcnt vmcnt(28)
	v_add_f64 v[30:31], v[30:31], -v[174:175]
	ds_read2_b64 v[174:177], v254 offset0:44 offset1:45
	v_add_f64 v[28:29], v[28:29], -v[58:59]
	s_waitcnt lgkmcnt(1)
	v_mul_f64 v[58:59], v[180:181], v[172:173]
	v_fma_f64 v[58:59], v[178:179], v[56:57], -v[58:59]
	v_mul_f64 v[178:179], v[178:179], v[172:173]
	v_fmac_f64_e32 v[178:179], v[180:181], v[56:57]
	s_waitcnt vmcnt(13)
	v_add_f64 v[24:25], v[24:25], -v[58:59]
	v_add_f64 v[26:27], v[26:27], -v[178:179]
	ds_read2_b64 v[178:181], v254 offset0:46 offset1:47
	s_waitcnt lgkmcnt(1)
	v_mul_f64 v[58:59], v[176:177], v[172:173]
	v_fma_f64 v[58:59], v[174:175], v[56:57], -v[58:59]
	v_mul_f64 v[174:175], v[174:175], v[172:173]
	v_fmac_f64_e32 v[174:175], v[176:177], v[56:57]
	s_waitcnt vmcnt(11)
	v_add_f64 v[22:23], v[22:23], -v[174:175]
	ds_read2_b64 v[174:177], v254 offset0:48 offset1:49
	v_add_f64 v[20:21], v[20:21], -v[58:59]
	s_waitcnt lgkmcnt(1)
	v_mul_f64 v[58:59], v[180:181], v[172:173]
	v_fma_f64 v[58:59], v[178:179], v[56:57], -v[58:59]
	v_mul_f64 v[178:179], v[178:179], v[172:173]
	v_fmac_f64_e32 v[178:179], v[180:181], v[56:57]
	s_waitcnt vmcnt(10)
	v_add_f64 v[16:17], v[16:17], -v[58:59]
	v_add_f64 v[18:19], v[18:19], -v[178:179]
	ds_read2_b64 v[178:181], v254 offset0:50 offset1:51
	s_waitcnt lgkmcnt(1)
	v_mul_f64 v[58:59], v[176:177], v[172:173]
	v_fma_f64 v[58:59], v[174:175], v[56:57], -v[58:59]
	v_mul_f64 v[174:175], v[174:175], v[172:173]
	v_fmac_f64_e32 v[174:175], v[176:177], v[56:57]
	s_waitcnt vmcnt(9)
	v_add_f64 v[14:15], v[14:15], -v[174:175]
	ds_read2_b64 v[174:177], v254 offset0:52 offset1:53
	v_add_f64 v[12:13], v[12:13], -v[58:59]
	s_waitcnt lgkmcnt(1)
	v_mul_f64 v[58:59], v[180:181], v[172:173]
	v_fma_f64 v[58:59], v[178:179], v[56:57], -v[58:59]
	v_mul_f64 v[178:179], v[178:179], v[172:173]
	v_fmac_f64_e32 v[178:179], v[180:181], v[56:57]
	s_waitcnt vmcnt(8)
	v_add_f64 v[8:9], v[8:9], -v[58:59]
	v_add_f64 v[10:11], v[10:11], -v[178:179]
	ds_read2_b64 v[178:181], v254 offset0:54 offset1:55
	s_waitcnt lgkmcnt(1)
	v_mul_f64 v[58:59], v[176:177], v[172:173]
	v_fma_f64 v[58:59], v[174:175], v[56:57], -v[58:59]
	v_mul_f64 v[174:175], v[174:175], v[172:173]
	v_fmac_f64_e32 v[174:175], v[176:177], v[56:57]
	s_waitcnt vmcnt(7)
	v_add_f64 v[6:7], v[6:7], -v[174:175]
	ds_read2_b64 v[174:177], v254 offset0:56 offset1:57
	v_add_f64 v[4:5], v[4:5], -v[58:59]
	s_waitcnt lgkmcnt(1)
	v_mul_f64 v[58:59], v[180:181], v[172:173]
	v_fma_f64 v[58:59], v[178:179], v[56:57], -v[58:59]
	v_add_f64 v[0:1], v[0:1], -v[58:59]
	s_waitcnt lgkmcnt(0)
	v_mul_f64 v[58:59], v[176:177], v[172:173]
	v_mul_f64 v[178:179], v[178:179], v[172:173]
	v_fma_f64 v[58:59], v[174:175], v[56:57], -v[58:59]
	v_mul_f64 v[174:175], v[174:175], v[172:173]
	v_fmac_f64_e32 v[178:179], v[180:181], v[56:57]
	v_fmac_f64_e32 v[174:175], v[176:177], v[56:57]
	v_add_f64 v[2:3], v[2:3], -v[178:179]
	s_waitcnt vmcnt(6)
	v_add_f64 v[112:113], v[112:113], -v[58:59]
	v_add_f64 v[114:115], v[114:115], -v[174:175]
	v_mov_b64_e32 v[58:59], v[172:173]
.LBB57_127:
	s_or_b64 exec, exec, s[2:3]
	v_cmp_eq_u32_e32 vcc, 14, v250
	s_waitcnt lgkmcnt(0)
	s_barrier
	s_and_saveexec_b64 s[4:5], vcc
	s_cbranch_execz .LBB57_134
; %bb.128:
	s_waitcnt vmcnt(34)
	ds_write2_b64 v251, v[52:53], v[54:55] offset1:1
	s_waitcnt vmcnt(33)
	ds_write2_b64 v254, v[48:49], v[50:51] offset0:30 offset1:31
	s_waitcnt vmcnt(32)
	ds_write2_b64 v254, v[44:45], v[46:47] offset0:32 offset1:33
	;; [unrolled: 2-line block ×12, first 2 shown]
	ds_write2_b64 v254, v[0:1], v[2:3] offset0:54 offset1:55
	s_waitcnt vmcnt(6)
	ds_write2_b64 v254, v[112:113], v[114:115] offset0:56 offset1:57
	ds_read2_b64 v[172:175], v251 offset1:1
	s_waitcnt lgkmcnt(0)
	v_cmp_neq_f64_e32 vcc, 0, v[172:173]
	v_cmp_neq_f64_e64 s[2:3], 0, v[174:175]
	s_or_b64 s[2:3], vcc, s[2:3]
	s_and_b64 exec, exec, s[2:3]
	s_cbranch_execz .LBB57_134
; %bb.129:
	v_cmp_ngt_f64_e64 s[2:3], |v[172:173]|, |v[174:175]|
                                        ; implicit-def: $vgpr176_vgpr177
	s_and_saveexec_b64 s[10:11], s[2:3]
	s_xor_b64 s[2:3], exec, s[10:11]
                                        ; implicit-def: $vgpr178_vgpr179
	s_cbranch_execz .LBB57_131
; %bb.130:
	v_div_scale_f64 v[176:177], s[10:11], v[174:175], v[174:175], v[172:173]
	v_rcp_f64_e32 v[178:179], v[176:177]
	v_div_scale_f64 v[180:181], vcc, v[172:173], v[174:175], v[172:173]
	v_fma_f64 v[182:183], -v[176:177], v[178:179], 1.0
	v_fmac_f64_e32 v[178:179], v[178:179], v[182:183]
	v_fma_f64 v[182:183], -v[176:177], v[178:179], 1.0
	v_fmac_f64_e32 v[178:179], v[178:179], v[182:183]
	v_mul_f64 v[182:183], v[180:181], v[178:179]
	v_fma_f64 v[176:177], -v[176:177], v[182:183], v[180:181]
	v_div_fmas_f64 v[176:177], v[176:177], v[178:179], v[182:183]
	v_div_fixup_f64 v[176:177], v[176:177], v[174:175], v[172:173]
	v_fmac_f64_e32 v[174:175], v[172:173], v[176:177]
	v_div_scale_f64 v[172:173], s[10:11], v[174:175], v[174:175], 1.0
	v_rcp_f64_e32 v[178:179], v[172:173]
	s_nop 0
	v_fma_f64 v[180:181], -v[172:173], v[178:179], 1.0
	v_fmac_f64_e32 v[178:179], v[178:179], v[180:181]
	v_fma_f64 v[180:181], -v[172:173], v[178:179], 1.0
	v_fmac_f64_e32 v[178:179], v[178:179], v[180:181]
	v_div_scale_f64 v[180:181], vcc, 1.0, v[174:175], 1.0
	v_mul_f64 v[182:183], v[180:181], v[178:179]
	v_fma_f64 v[172:173], -v[172:173], v[182:183], v[180:181]
	s_nop 1
	v_div_fmas_f64 v[172:173], v[172:173], v[178:179], v[182:183]
	v_div_fixup_f64 v[178:179], v[172:173], v[174:175], 1.0
	v_mul_f64 v[176:177], v[176:177], v[178:179]
	v_xor_b32_e32 v179, 0x80000000, v179
                                        ; implicit-def: $vgpr172_vgpr173
.LBB57_131:
	s_andn2_saveexec_b64 s[2:3], s[2:3]
	s_cbranch_execz .LBB57_133
; %bb.132:
	v_div_scale_f64 v[176:177], s[10:11], v[172:173], v[172:173], v[174:175]
	v_rcp_f64_e32 v[178:179], v[176:177]
	v_div_scale_f64 v[180:181], vcc, v[174:175], v[172:173], v[174:175]
	v_fma_f64 v[182:183], -v[176:177], v[178:179], 1.0
	v_fmac_f64_e32 v[178:179], v[178:179], v[182:183]
	v_fma_f64 v[182:183], -v[176:177], v[178:179], 1.0
	v_fmac_f64_e32 v[178:179], v[178:179], v[182:183]
	v_mul_f64 v[182:183], v[180:181], v[178:179]
	v_fma_f64 v[176:177], -v[176:177], v[182:183], v[180:181]
	v_div_fmas_f64 v[176:177], v[176:177], v[178:179], v[182:183]
	v_div_fixup_f64 v[178:179], v[176:177], v[172:173], v[174:175]
	v_fmac_f64_e32 v[172:173], v[174:175], v[178:179]
	v_div_scale_f64 v[174:175], s[10:11], v[172:173], v[172:173], 1.0
	v_rcp_f64_e32 v[176:177], v[174:175]
	s_nop 0
	v_fma_f64 v[180:181], -v[174:175], v[176:177], 1.0
	v_fmac_f64_e32 v[176:177], v[176:177], v[180:181]
	v_fma_f64 v[180:181], -v[174:175], v[176:177], 1.0
	v_fmac_f64_e32 v[176:177], v[176:177], v[180:181]
	v_div_scale_f64 v[180:181], vcc, 1.0, v[172:173], 1.0
	v_mul_f64 v[182:183], v[180:181], v[176:177]
	v_fma_f64 v[174:175], -v[174:175], v[182:183], v[180:181]
	s_nop 1
	v_div_fmas_f64 v[174:175], v[174:175], v[176:177], v[182:183]
	v_div_fixup_f64 v[176:177], v[174:175], v[172:173], 1.0
	v_mul_f64 v[178:179], v[178:179], -v[176:177]
.LBB57_133:
	s_or_b64 exec, exec, s[2:3]
	ds_write2_b64 v251, v[176:177], v[178:179] offset1:1
.LBB57_134:
	s_or_b64 exec, exec, s[4:5]
	s_waitcnt lgkmcnt(0)
	s_barrier
	ds_read2_b64 v[172:175], v251 offset1:1
	v_cmp_lt_u32_e32 vcc, 14, v250
	s_and_saveexec_b64 s[2:3], vcc
	s_cbranch_execz .LBB57_136
; %bb.135:
	ds_read2_b64 v[178:181], v254 offset0:30 offset1:31
	ds_read2_b64 v[182:185], v254 offset0:32 offset1:33
	s_waitcnt vmcnt(34) lgkmcnt(2)
	v_mul_f64 v[176:177], v[172:173], v[54:55]
	v_fmac_f64_e32 v[176:177], v[174:175], v[52:53]
	v_mul_f64 v[54:55], v[174:175], v[54:55]
	v_fma_f64 v[52:53], v[172:173], v[52:53], -v[54:55]
	s_waitcnt lgkmcnt(1)
	v_mul_f64 v[54:55], v[180:181], v[176:177]
	v_fma_f64 v[54:55], v[178:179], v[52:53], -v[54:55]
	v_mul_f64 v[178:179], v[178:179], v[176:177]
	v_fmac_f64_e32 v[178:179], v[180:181], v[52:53]
	s_waitcnt vmcnt(33)
	v_add_f64 v[48:49], v[48:49], -v[54:55]
	v_add_f64 v[50:51], v[50:51], -v[178:179]
	s_waitcnt lgkmcnt(0)
	v_mul_f64 v[54:55], v[184:185], v[176:177]
	ds_read2_b64 v[178:181], v254 offset0:34 offset1:35
	v_fma_f64 v[54:55], v[182:183], v[52:53], -v[54:55]
	v_mul_f64 v[182:183], v[182:183], v[176:177]
	v_fmac_f64_e32 v[182:183], v[184:185], v[52:53]
	s_waitcnt vmcnt(32)
	v_add_f64 v[46:47], v[46:47], -v[182:183]
	ds_read2_b64 v[182:185], v254 offset0:36 offset1:37
	v_add_f64 v[44:45], v[44:45], -v[54:55]
	s_waitcnt lgkmcnt(1)
	v_mul_f64 v[54:55], v[180:181], v[176:177]
	v_fma_f64 v[54:55], v[178:179], v[52:53], -v[54:55]
	v_mul_f64 v[178:179], v[178:179], v[176:177]
	v_fmac_f64_e32 v[178:179], v[180:181], v[52:53]
	s_waitcnt vmcnt(31)
	v_add_f64 v[40:41], v[40:41], -v[54:55]
	v_add_f64 v[42:43], v[42:43], -v[178:179]
	s_waitcnt lgkmcnt(0)
	v_mul_f64 v[54:55], v[184:185], v[176:177]
	ds_read2_b64 v[178:181], v254 offset0:38 offset1:39
	v_fma_f64 v[54:55], v[182:183], v[52:53], -v[54:55]
	v_mul_f64 v[182:183], v[182:183], v[176:177]
	v_fmac_f64_e32 v[182:183], v[184:185], v[52:53]
	s_waitcnt vmcnt(30)
	v_add_f64 v[38:39], v[38:39], -v[182:183]
	ds_read2_b64 v[182:185], v254 offset0:40 offset1:41
	v_add_f64 v[36:37], v[36:37], -v[54:55]
	;; [unrolled: 18-line block ×6, first 2 shown]
	s_waitcnt lgkmcnt(1)
	v_mul_f64 v[54:55], v[180:181], v[176:177]
	v_fma_f64 v[54:55], v[178:179], v[52:53], -v[54:55]
	v_mul_f64 v[178:179], v[178:179], v[176:177]
	v_fmac_f64_e32 v[178:179], v[180:181], v[52:53]
	v_add_f64 v[0:1], v[0:1], -v[54:55]
	v_add_f64 v[2:3], v[2:3], -v[178:179]
	s_waitcnt lgkmcnt(0)
	v_mul_f64 v[54:55], v[184:185], v[176:177]
	v_mul_f64 v[178:179], v[182:183], v[176:177]
	v_fma_f64 v[54:55], v[182:183], v[52:53], -v[54:55]
	v_fmac_f64_e32 v[178:179], v[184:185], v[52:53]
	s_waitcnt vmcnt(6)
	v_add_f64 v[112:113], v[112:113], -v[54:55]
	v_add_f64 v[114:115], v[114:115], -v[178:179]
	v_mov_b64_e32 v[54:55], v[176:177]
.LBB57_136:
	s_or_b64 exec, exec, s[2:3]
	v_cmp_eq_u32_e32 vcc, 15, v250
	s_waitcnt lgkmcnt(0)
	s_barrier
	s_and_saveexec_b64 s[4:5], vcc
	s_cbranch_execz .LBB57_143
; %bb.137:
	s_waitcnt vmcnt(33)
	ds_write2_b64 v251, v[48:49], v[50:51] offset1:1
	s_waitcnt vmcnt(32)
	ds_write2_b64 v254, v[44:45], v[46:47] offset0:32 offset1:33
	s_waitcnt vmcnt(31)
	ds_write2_b64 v254, v[40:41], v[42:43] offset0:34 offset1:35
	;; [unrolled: 2-line block ×11, first 2 shown]
	ds_write2_b64 v254, v[0:1], v[2:3] offset0:54 offset1:55
	s_waitcnt vmcnt(6)
	ds_write2_b64 v254, v[112:113], v[114:115] offset0:56 offset1:57
	ds_read2_b64 v[176:179], v251 offset1:1
	s_waitcnt lgkmcnt(0)
	v_cmp_neq_f64_e32 vcc, 0, v[176:177]
	v_cmp_neq_f64_e64 s[2:3], 0, v[178:179]
	s_or_b64 s[2:3], vcc, s[2:3]
	s_and_b64 exec, exec, s[2:3]
	s_cbranch_execz .LBB57_143
; %bb.138:
	v_cmp_ngt_f64_e64 s[2:3], |v[176:177]|, |v[178:179]|
                                        ; implicit-def: $vgpr180_vgpr181
	s_and_saveexec_b64 s[10:11], s[2:3]
	s_xor_b64 s[2:3], exec, s[10:11]
                                        ; implicit-def: $vgpr182_vgpr183
	s_cbranch_execz .LBB57_140
; %bb.139:
	v_div_scale_f64 v[180:181], s[10:11], v[178:179], v[178:179], v[176:177]
	v_rcp_f64_e32 v[182:183], v[180:181]
	v_div_scale_f64 v[184:185], vcc, v[176:177], v[178:179], v[176:177]
	v_fma_f64 v[186:187], -v[180:181], v[182:183], 1.0
	v_fmac_f64_e32 v[182:183], v[182:183], v[186:187]
	v_fma_f64 v[186:187], -v[180:181], v[182:183], 1.0
	v_fmac_f64_e32 v[182:183], v[182:183], v[186:187]
	v_mul_f64 v[186:187], v[184:185], v[182:183]
	v_fma_f64 v[180:181], -v[180:181], v[186:187], v[184:185]
	v_div_fmas_f64 v[180:181], v[180:181], v[182:183], v[186:187]
	v_div_fixup_f64 v[180:181], v[180:181], v[178:179], v[176:177]
	v_fmac_f64_e32 v[178:179], v[176:177], v[180:181]
	v_div_scale_f64 v[176:177], s[10:11], v[178:179], v[178:179], 1.0
	v_rcp_f64_e32 v[182:183], v[176:177]
	s_nop 0
	v_fma_f64 v[184:185], -v[176:177], v[182:183], 1.0
	v_fmac_f64_e32 v[182:183], v[182:183], v[184:185]
	v_fma_f64 v[184:185], -v[176:177], v[182:183], 1.0
	v_fmac_f64_e32 v[182:183], v[182:183], v[184:185]
	v_div_scale_f64 v[184:185], vcc, 1.0, v[178:179], 1.0
	v_mul_f64 v[186:187], v[184:185], v[182:183]
	v_fma_f64 v[176:177], -v[176:177], v[186:187], v[184:185]
	s_nop 1
	v_div_fmas_f64 v[176:177], v[176:177], v[182:183], v[186:187]
	v_div_fixup_f64 v[182:183], v[176:177], v[178:179], 1.0
	v_mul_f64 v[180:181], v[180:181], v[182:183]
	v_xor_b32_e32 v183, 0x80000000, v183
                                        ; implicit-def: $vgpr176_vgpr177
.LBB57_140:
	s_andn2_saveexec_b64 s[2:3], s[2:3]
	s_cbranch_execz .LBB57_142
; %bb.141:
	v_div_scale_f64 v[180:181], s[10:11], v[176:177], v[176:177], v[178:179]
	v_rcp_f64_e32 v[182:183], v[180:181]
	v_div_scale_f64 v[184:185], vcc, v[178:179], v[176:177], v[178:179]
	v_fma_f64 v[186:187], -v[180:181], v[182:183], 1.0
	v_fmac_f64_e32 v[182:183], v[182:183], v[186:187]
	v_fma_f64 v[186:187], -v[180:181], v[182:183], 1.0
	v_fmac_f64_e32 v[182:183], v[182:183], v[186:187]
	v_mul_f64 v[186:187], v[184:185], v[182:183]
	v_fma_f64 v[180:181], -v[180:181], v[186:187], v[184:185]
	v_div_fmas_f64 v[180:181], v[180:181], v[182:183], v[186:187]
	v_div_fixup_f64 v[182:183], v[180:181], v[176:177], v[178:179]
	v_fmac_f64_e32 v[176:177], v[178:179], v[182:183]
	v_div_scale_f64 v[178:179], s[10:11], v[176:177], v[176:177], 1.0
	v_rcp_f64_e32 v[180:181], v[178:179]
	s_nop 0
	v_fma_f64 v[184:185], -v[178:179], v[180:181], 1.0
	v_fmac_f64_e32 v[180:181], v[180:181], v[184:185]
	v_fma_f64 v[184:185], -v[178:179], v[180:181], 1.0
	v_fmac_f64_e32 v[180:181], v[180:181], v[184:185]
	v_div_scale_f64 v[184:185], vcc, 1.0, v[176:177], 1.0
	v_mul_f64 v[186:187], v[184:185], v[180:181]
	v_fma_f64 v[178:179], -v[178:179], v[186:187], v[184:185]
	s_nop 1
	v_div_fmas_f64 v[178:179], v[178:179], v[180:181], v[186:187]
	v_div_fixup_f64 v[180:181], v[178:179], v[176:177], 1.0
	v_mul_f64 v[182:183], v[182:183], -v[180:181]
.LBB57_142:
	s_or_b64 exec, exec, s[2:3]
	ds_write2_b64 v251, v[180:181], v[182:183] offset1:1
.LBB57_143:
	s_or_b64 exec, exec, s[4:5]
	s_waitcnt lgkmcnt(0)
	s_barrier
	ds_read2_b64 v[176:179], v251 offset1:1
	v_cmp_lt_u32_e32 vcc, 15, v250
	s_and_saveexec_b64 s[2:3], vcc
	s_cbranch_execz .LBB57_145
; %bb.144:
	ds_read2_b64 v[180:183], v254 offset0:32 offset1:33
	ds_read2_b64 v[184:187], v254 offset0:34 offset1:35
	s_waitcnt vmcnt(33) lgkmcnt(2)
	v_mul_f64 v[188:189], v[176:177], v[50:51]
	v_fmac_f64_e32 v[188:189], v[178:179], v[48:49]
	v_mul_f64 v[50:51], v[178:179], v[50:51]
	v_fma_f64 v[48:49], v[176:177], v[48:49], -v[50:51]
	s_waitcnt lgkmcnt(1)
	v_mul_f64 v[50:51], v[182:183], v[188:189]
	v_fma_f64 v[50:51], v[180:181], v[48:49], -v[50:51]
	v_mul_f64 v[180:181], v[180:181], v[188:189]
	v_fmac_f64_e32 v[180:181], v[182:183], v[48:49]
	s_waitcnt vmcnt(32)
	v_add_f64 v[46:47], v[46:47], -v[180:181]
	ds_read2_b64 v[180:183], v254 offset0:36 offset1:37
	v_add_f64 v[44:45], v[44:45], -v[50:51]
	s_waitcnt lgkmcnt(1)
	v_mul_f64 v[50:51], v[186:187], v[188:189]
	v_fma_f64 v[50:51], v[184:185], v[48:49], -v[50:51]
	v_mul_f64 v[184:185], v[184:185], v[188:189]
	v_fmac_f64_e32 v[184:185], v[186:187], v[48:49]
	s_waitcnt vmcnt(31)
	v_add_f64 v[40:41], v[40:41], -v[50:51]
	v_add_f64 v[42:43], v[42:43], -v[184:185]
	ds_read2_b64 v[184:187], v254 offset0:38 offset1:39
	s_waitcnt lgkmcnt(1)
	v_mul_f64 v[50:51], v[182:183], v[188:189]
	v_fma_f64 v[50:51], v[180:181], v[48:49], -v[50:51]
	v_mul_f64 v[180:181], v[180:181], v[188:189]
	v_fmac_f64_e32 v[180:181], v[182:183], v[48:49]
	s_waitcnt vmcnt(30)
	v_add_f64 v[38:39], v[38:39], -v[180:181]
	ds_read2_b64 v[180:183], v254 offset0:40 offset1:41
	v_add_f64 v[36:37], v[36:37], -v[50:51]
	s_waitcnt lgkmcnt(1)
	v_mul_f64 v[50:51], v[186:187], v[188:189]
	v_fma_f64 v[50:51], v[184:185], v[48:49], -v[50:51]
	v_mul_f64 v[184:185], v[184:185], v[188:189]
	v_fmac_f64_e32 v[184:185], v[186:187], v[48:49]
	s_waitcnt vmcnt(29)
	v_add_f64 v[32:33], v[32:33], -v[50:51]
	v_add_f64 v[34:35], v[34:35], -v[184:185]
	ds_read2_b64 v[184:187], v254 offset0:42 offset1:43
	;; [unrolled: 18-line block ×5, first 2 shown]
	s_waitcnt lgkmcnt(1)
	v_mul_f64 v[50:51], v[182:183], v[188:189]
	v_fma_f64 v[50:51], v[180:181], v[48:49], -v[50:51]
	v_mul_f64 v[180:181], v[180:181], v[188:189]
	v_fmac_f64_e32 v[180:181], v[182:183], v[48:49]
	s_waitcnt vmcnt(7)
	v_add_f64 v[6:7], v[6:7], -v[180:181]
	ds_read2_b64 v[180:183], v254 offset0:56 offset1:57
	v_add_f64 v[4:5], v[4:5], -v[50:51]
	s_waitcnt lgkmcnt(1)
	v_mul_f64 v[50:51], v[186:187], v[188:189]
	v_fma_f64 v[50:51], v[184:185], v[48:49], -v[50:51]
	v_add_f64 v[0:1], v[0:1], -v[50:51]
	s_waitcnt lgkmcnt(0)
	v_mul_f64 v[50:51], v[182:183], v[188:189]
	v_mul_f64 v[184:185], v[184:185], v[188:189]
	v_fma_f64 v[50:51], v[180:181], v[48:49], -v[50:51]
	v_mul_f64 v[180:181], v[180:181], v[188:189]
	v_fmac_f64_e32 v[184:185], v[186:187], v[48:49]
	v_fmac_f64_e32 v[180:181], v[182:183], v[48:49]
	v_add_f64 v[2:3], v[2:3], -v[184:185]
	s_waitcnt vmcnt(6)
	v_add_f64 v[112:113], v[112:113], -v[50:51]
	v_add_f64 v[114:115], v[114:115], -v[180:181]
	v_mov_b64_e32 v[50:51], v[188:189]
.LBB57_145:
	s_or_b64 exec, exec, s[2:3]
	v_cmp_eq_u32_e32 vcc, 16, v250
	s_waitcnt lgkmcnt(0)
	s_barrier
	s_and_saveexec_b64 s[4:5], vcc
	s_cbranch_execz .LBB57_152
; %bb.146:
	s_waitcnt vmcnt(32)
	ds_write2_b64 v251, v[44:45], v[46:47] offset1:1
	s_waitcnt vmcnt(31)
	ds_write2_b64 v254, v[40:41], v[42:43] offset0:34 offset1:35
	s_waitcnt vmcnt(30)
	ds_write2_b64 v254, v[36:37], v[38:39] offset0:36 offset1:37
	s_waitcnt vmcnt(29)
	ds_write2_b64 v254, v[32:33], v[34:35] offset0:38 offset1:39
	s_waitcnt vmcnt(28)
	ds_write2_b64 v254, v[28:29], v[30:31] offset0:40 offset1:41
	s_waitcnt vmcnt(13)
	ds_write2_b64 v254, v[24:25], v[26:27] offset0:42 offset1:43
	s_waitcnt vmcnt(11)
	ds_write2_b64 v254, v[20:21], v[22:23] offset0:44 offset1:45
	s_waitcnt vmcnt(10)
	ds_write2_b64 v254, v[16:17], v[18:19] offset0:46 offset1:47
	s_waitcnt vmcnt(9)
	ds_write2_b64 v254, v[12:13], v[14:15] offset0:48 offset1:49
	s_waitcnt vmcnt(8)
	ds_write2_b64 v254, v[8:9], v[10:11] offset0:50 offset1:51
	s_waitcnt vmcnt(7)
	ds_write2_b64 v254, v[4:5], v[6:7] offset0:52 offset1:53
	ds_write2_b64 v254, v[0:1], v[2:3] offset0:54 offset1:55
	s_waitcnt vmcnt(6)
	ds_write2_b64 v254, v[112:113], v[114:115] offset0:56 offset1:57
	ds_read2_b64 v[180:183], v251 offset1:1
	s_waitcnt lgkmcnt(0)
	v_cmp_neq_f64_e32 vcc, 0, v[180:181]
	v_cmp_neq_f64_e64 s[2:3], 0, v[182:183]
	s_or_b64 s[2:3], vcc, s[2:3]
	s_and_b64 exec, exec, s[2:3]
	s_cbranch_execz .LBB57_152
; %bb.147:
	v_cmp_ngt_f64_e64 s[2:3], |v[180:181]|, |v[182:183]|
                                        ; implicit-def: $vgpr184_vgpr185
	s_and_saveexec_b64 s[10:11], s[2:3]
	s_xor_b64 s[2:3], exec, s[10:11]
                                        ; implicit-def: $vgpr186_vgpr187
	s_cbranch_execz .LBB57_149
; %bb.148:
	v_div_scale_f64 v[184:185], s[10:11], v[182:183], v[182:183], v[180:181]
	v_rcp_f64_e32 v[186:187], v[184:185]
	v_div_scale_f64 v[188:189], vcc, v[180:181], v[182:183], v[180:181]
	v_fma_f64 v[190:191], -v[184:185], v[186:187], 1.0
	v_fmac_f64_e32 v[186:187], v[186:187], v[190:191]
	v_fma_f64 v[190:191], -v[184:185], v[186:187], 1.0
	v_fmac_f64_e32 v[186:187], v[186:187], v[190:191]
	v_mul_f64 v[190:191], v[188:189], v[186:187]
	v_fma_f64 v[184:185], -v[184:185], v[190:191], v[188:189]
	v_div_fmas_f64 v[184:185], v[184:185], v[186:187], v[190:191]
	v_div_fixup_f64 v[184:185], v[184:185], v[182:183], v[180:181]
	v_fmac_f64_e32 v[182:183], v[180:181], v[184:185]
	v_div_scale_f64 v[180:181], s[10:11], v[182:183], v[182:183], 1.0
	v_rcp_f64_e32 v[186:187], v[180:181]
	s_nop 0
	v_fma_f64 v[188:189], -v[180:181], v[186:187], 1.0
	v_fmac_f64_e32 v[186:187], v[186:187], v[188:189]
	v_fma_f64 v[188:189], -v[180:181], v[186:187], 1.0
	v_fmac_f64_e32 v[186:187], v[186:187], v[188:189]
	v_div_scale_f64 v[188:189], vcc, 1.0, v[182:183], 1.0
	v_mul_f64 v[190:191], v[188:189], v[186:187]
	v_fma_f64 v[180:181], -v[180:181], v[190:191], v[188:189]
	s_nop 1
	v_div_fmas_f64 v[180:181], v[180:181], v[186:187], v[190:191]
	v_div_fixup_f64 v[186:187], v[180:181], v[182:183], 1.0
	v_mul_f64 v[184:185], v[184:185], v[186:187]
	v_xor_b32_e32 v187, 0x80000000, v187
                                        ; implicit-def: $vgpr180_vgpr181
.LBB57_149:
	s_andn2_saveexec_b64 s[2:3], s[2:3]
	s_cbranch_execz .LBB57_151
; %bb.150:
	v_div_scale_f64 v[184:185], s[10:11], v[180:181], v[180:181], v[182:183]
	v_rcp_f64_e32 v[186:187], v[184:185]
	v_div_scale_f64 v[188:189], vcc, v[182:183], v[180:181], v[182:183]
	v_fma_f64 v[190:191], -v[184:185], v[186:187], 1.0
	v_fmac_f64_e32 v[186:187], v[186:187], v[190:191]
	v_fma_f64 v[190:191], -v[184:185], v[186:187], 1.0
	v_fmac_f64_e32 v[186:187], v[186:187], v[190:191]
	v_mul_f64 v[190:191], v[188:189], v[186:187]
	v_fma_f64 v[184:185], -v[184:185], v[190:191], v[188:189]
	v_div_fmas_f64 v[184:185], v[184:185], v[186:187], v[190:191]
	v_div_fixup_f64 v[186:187], v[184:185], v[180:181], v[182:183]
	v_fmac_f64_e32 v[180:181], v[182:183], v[186:187]
	v_div_scale_f64 v[182:183], s[10:11], v[180:181], v[180:181], 1.0
	v_rcp_f64_e32 v[184:185], v[182:183]
	s_nop 0
	v_fma_f64 v[188:189], -v[182:183], v[184:185], 1.0
	v_fmac_f64_e32 v[184:185], v[184:185], v[188:189]
	v_fma_f64 v[188:189], -v[182:183], v[184:185], 1.0
	v_fmac_f64_e32 v[184:185], v[184:185], v[188:189]
	v_div_scale_f64 v[188:189], vcc, 1.0, v[180:181], 1.0
	v_mul_f64 v[190:191], v[188:189], v[184:185]
	v_fma_f64 v[182:183], -v[182:183], v[190:191], v[188:189]
	s_nop 1
	v_div_fmas_f64 v[182:183], v[182:183], v[184:185], v[190:191]
	v_div_fixup_f64 v[184:185], v[182:183], v[180:181], 1.0
	v_mul_f64 v[186:187], v[186:187], -v[184:185]
.LBB57_151:
	s_or_b64 exec, exec, s[2:3]
	ds_write2_b64 v251, v[184:185], v[186:187] offset1:1
.LBB57_152:
	s_or_b64 exec, exec, s[4:5]
	s_waitcnt lgkmcnt(0)
	s_barrier
	ds_read2_b64 v[180:183], v251 offset1:1
	v_cmp_lt_u32_e32 vcc, 16, v250
	s_and_saveexec_b64 s[2:3], vcc
	s_cbranch_execz .LBB57_154
; %bb.153:
	ds_read2_b64 v[186:189], v254 offset0:34 offset1:35
	s_waitcnt vmcnt(32) lgkmcnt(1)
	v_mul_f64 v[184:185], v[180:181], v[46:47]
	v_fmac_f64_e32 v[184:185], v[182:183], v[44:45]
	v_mul_f64 v[46:47], v[182:183], v[46:47]
	v_fma_f64 v[44:45], v[180:181], v[44:45], -v[46:47]
	s_waitcnt lgkmcnt(0)
	v_mul_f64 v[46:47], v[188:189], v[184:185]
	v_fma_f64 v[46:47], v[186:187], v[44:45], -v[46:47]
	v_mul_f64 v[186:187], v[186:187], v[184:185]
	v_fmac_f64_e32 v[186:187], v[188:189], v[44:45]
	s_waitcnt vmcnt(31)
	v_add_f64 v[42:43], v[42:43], -v[186:187]
	ds_read2_b64 v[186:189], v254 offset0:36 offset1:37
	v_add_f64 v[40:41], v[40:41], -v[46:47]
	s_waitcnt lgkmcnt(0)
	v_mul_f64 v[46:47], v[188:189], v[184:185]
	v_fma_f64 v[46:47], v[186:187], v[44:45], -v[46:47]
	v_mul_f64 v[186:187], v[186:187], v[184:185]
	v_fmac_f64_e32 v[186:187], v[188:189], v[44:45]
	s_waitcnt vmcnt(30)
	v_add_f64 v[38:39], v[38:39], -v[186:187]
	ds_read2_b64 v[186:189], v254 offset0:38 offset1:39
	v_add_f64 v[36:37], v[36:37], -v[46:47]
	;; [unrolled: 9-line block ×10, first 2 shown]
	s_waitcnt lgkmcnt(0)
	v_mul_f64 v[46:47], v[188:189], v[184:185]
	v_fma_f64 v[46:47], v[186:187], v[44:45], -v[46:47]
	v_mul_f64 v[186:187], v[186:187], v[184:185]
	v_fmac_f64_e32 v[186:187], v[188:189], v[44:45]
	v_add_f64 v[2:3], v[2:3], -v[186:187]
	ds_read2_b64 v[186:189], v254 offset0:56 offset1:57
	v_add_f64 v[0:1], v[0:1], -v[46:47]
	s_waitcnt lgkmcnt(0)
	v_mul_f64 v[46:47], v[188:189], v[184:185]
	v_fma_f64 v[46:47], v[186:187], v[44:45], -v[46:47]
	v_mul_f64 v[186:187], v[186:187], v[184:185]
	v_fmac_f64_e32 v[186:187], v[188:189], v[44:45]
	s_waitcnt vmcnt(6)
	v_add_f64 v[112:113], v[112:113], -v[46:47]
	v_add_f64 v[114:115], v[114:115], -v[186:187]
	v_mov_b64_e32 v[46:47], v[184:185]
.LBB57_154:
	s_or_b64 exec, exec, s[2:3]
	v_cmp_eq_u32_e32 vcc, 17, v250
	s_waitcnt lgkmcnt(0)
	s_barrier
	s_and_saveexec_b64 s[4:5], vcc
	s_cbranch_execz .LBB57_161
; %bb.155:
	s_waitcnt vmcnt(31)
	ds_write2_b64 v251, v[40:41], v[42:43] offset1:1
	s_waitcnt vmcnt(30)
	ds_write2_b64 v254, v[36:37], v[38:39] offset0:36 offset1:37
	s_waitcnt vmcnt(29)
	ds_write2_b64 v254, v[32:33], v[34:35] offset0:38 offset1:39
	;; [unrolled: 2-line block ×9, first 2 shown]
	ds_write2_b64 v254, v[0:1], v[2:3] offset0:54 offset1:55
	s_waitcnt vmcnt(6)
	ds_write2_b64 v254, v[112:113], v[114:115] offset0:56 offset1:57
	ds_read2_b64 v[184:187], v251 offset1:1
	s_waitcnt lgkmcnt(0)
	v_cmp_neq_f64_e32 vcc, 0, v[184:185]
	v_cmp_neq_f64_e64 s[2:3], 0, v[186:187]
	s_or_b64 s[2:3], vcc, s[2:3]
	s_and_b64 exec, exec, s[2:3]
	s_cbranch_execz .LBB57_161
; %bb.156:
	v_cmp_ngt_f64_e64 s[2:3], |v[184:185]|, |v[186:187]|
                                        ; implicit-def: $vgpr188_vgpr189
	s_and_saveexec_b64 s[10:11], s[2:3]
	s_xor_b64 s[2:3], exec, s[10:11]
                                        ; implicit-def: $vgpr190_vgpr191
	s_cbranch_execz .LBB57_158
; %bb.157:
	v_div_scale_f64 v[188:189], s[10:11], v[186:187], v[186:187], v[184:185]
	v_rcp_f64_e32 v[190:191], v[188:189]
	v_div_scale_f64 v[192:193], vcc, v[184:185], v[186:187], v[184:185]
	v_fma_f64 v[194:195], -v[188:189], v[190:191], 1.0
	v_fmac_f64_e32 v[190:191], v[190:191], v[194:195]
	v_fma_f64 v[194:195], -v[188:189], v[190:191], 1.0
	v_fmac_f64_e32 v[190:191], v[190:191], v[194:195]
	v_mul_f64 v[194:195], v[192:193], v[190:191]
	v_fma_f64 v[188:189], -v[188:189], v[194:195], v[192:193]
	v_div_fmas_f64 v[188:189], v[188:189], v[190:191], v[194:195]
	v_div_fixup_f64 v[188:189], v[188:189], v[186:187], v[184:185]
	v_fmac_f64_e32 v[186:187], v[184:185], v[188:189]
	v_div_scale_f64 v[184:185], s[10:11], v[186:187], v[186:187], 1.0
	v_rcp_f64_e32 v[190:191], v[184:185]
	s_nop 0
	v_fma_f64 v[192:193], -v[184:185], v[190:191], 1.0
	v_fmac_f64_e32 v[190:191], v[190:191], v[192:193]
	v_fma_f64 v[192:193], -v[184:185], v[190:191], 1.0
	v_fmac_f64_e32 v[190:191], v[190:191], v[192:193]
	v_div_scale_f64 v[192:193], vcc, 1.0, v[186:187], 1.0
	v_mul_f64 v[194:195], v[192:193], v[190:191]
	v_fma_f64 v[184:185], -v[184:185], v[194:195], v[192:193]
	s_nop 1
	v_div_fmas_f64 v[184:185], v[184:185], v[190:191], v[194:195]
	v_div_fixup_f64 v[190:191], v[184:185], v[186:187], 1.0
	v_mul_f64 v[188:189], v[188:189], v[190:191]
	v_xor_b32_e32 v191, 0x80000000, v191
                                        ; implicit-def: $vgpr184_vgpr185
.LBB57_158:
	s_andn2_saveexec_b64 s[2:3], s[2:3]
	s_cbranch_execz .LBB57_160
; %bb.159:
	v_div_scale_f64 v[188:189], s[10:11], v[184:185], v[184:185], v[186:187]
	v_rcp_f64_e32 v[190:191], v[188:189]
	v_div_scale_f64 v[192:193], vcc, v[186:187], v[184:185], v[186:187]
	v_fma_f64 v[194:195], -v[188:189], v[190:191], 1.0
	v_fmac_f64_e32 v[190:191], v[190:191], v[194:195]
	v_fma_f64 v[194:195], -v[188:189], v[190:191], 1.0
	v_fmac_f64_e32 v[190:191], v[190:191], v[194:195]
	v_mul_f64 v[194:195], v[192:193], v[190:191]
	v_fma_f64 v[188:189], -v[188:189], v[194:195], v[192:193]
	v_div_fmas_f64 v[188:189], v[188:189], v[190:191], v[194:195]
	v_div_fixup_f64 v[190:191], v[188:189], v[184:185], v[186:187]
	v_fmac_f64_e32 v[184:185], v[186:187], v[190:191]
	v_div_scale_f64 v[186:187], s[10:11], v[184:185], v[184:185], 1.0
	v_rcp_f64_e32 v[188:189], v[186:187]
	s_nop 0
	v_fma_f64 v[192:193], -v[186:187], v[188:189], 1.0
	v_fmac_f64_e32 v[188:189], v[188:189], v[192:193]
	v_fma_f64 v[192:193], -v[186:187], v[188:189], 1.0
	v_fmac_f64_e32 v[188:189], v[188:189], v[192:193]
	v_div_scale_f64 v[192:193], vcc, 1.0, v[184:185], 1.0
	v_mul_f64 v[194:195], v[192:193], v[188:189]
	v_fma_f64 v[186:187], -v[186:187], v[194:195], v[192:193]
	s_nop 1
	v_div_fmas_f64 v[186:187], v[186:187], v[188:189], v[194:195]
	v_div_fixup_f64 v[188:189], v[186:187], v[184:185], 1.0
	v_mul_f64 v[190:191], v[190:191], -v[188:189]
.LBB57_160:
	s_or_b64 exec, exec, s[2:3]
	ds_write2_b64 v251, v[188:189], v[190:191] offset1:1
.LBB57_161:
	s_or_b64 exec, exec, s[4:5]
	s_waitcnt lgkmcnt(0)
	s_barrier
	ds_read2_b64 v[184:187], v251 offset1:1
	v_cmp_lt_u32_e32 vcc, 17, v250
	s_and_saveexec_b64 s[2:3], vcc
	s_cbranch_execz .LBB57_163
; %bb.162:
	ds_read2_b64 v[190:193], v254 offset0:36 offset1:37
	s_waitcnt vmcnt(31) lgkmcnt(1)
	v_mul_f64 v[188:189], v[184:185], v[42:43]
	v_fmac_f64_e32 v[188:189], v[186:187], v[40:41]
	v_mul_f64 v[42:43], v[186:187], v[42:43]
	v_fma_f64 v[40:41], v[184:185], v[40:41], -v[42:43]
	s_waitcnt lgkmcnt(0)
	v_mul_f64 v[42:43], v[192:193], v[188:189]
	v_fma_f64 v[42:43], v[190:191], v[40:41], -v[42:43]
	v_mul_f64 v[190:191], v[190:191], v[188:189]
	v_fmac_f64_e32 v[190:191], v[192:193], v[40:41]
	s_waitcnt vmcnt(30)
	v_add_f64 v[38:39], v[38:39], -v[190:191]
	ds_read2_b64 v[190:193], v254 offset0:38 offset1:39
	v_add_f64 v[36:37], v[36:37], -v[42:43]
	s_waitcnt lgkmcnt(0)
	v_mul_f64 v[42:43], v[192:193], v[188:189]
	v_fma_f64 v[42:43], v[190:191], v[40:41], -v[42:43]
	v_mul_f64 v[190:191], v[190:191], v[188:189]
	v_fmac_f64_e32 v[190:191], v[192:193], v[40:41]
	s_waitcnt vmcnt(29)
	v_add_f64 v[34:35], v[34:35], -v[190:191]
	ds_read2_b64 v[190:193], v254 offset0:40 offset1:41
	v_add_f64 v[32:33], v[32:33], -v[42:43]
	s_waitcnt lgkmcnt(0)
	v_mul_f64 v[42:43], v[192:193], v[188:189]
	v_fma_f64 v[42:43], v[190:191], v[40:41], -v[42:43]
	v_mul_f64 v[190:191], v[190:191], v[188:189]
	v_fmac_f64_e32 v[190:191], v[192:193], v[40:41]
	s_waitcnt vmcnt(28)
	v_add_f64 v[30:31], v[30:31], -v[190:191]
	ds_read2_b64 v[190:193], v254 offset0:42 offset1:43
	v_add_f64 v[28:29], v[28:29], -v[42:43]
	s_waitcnt lgkmcnt(0)
	v_mul_f64 v[42:43], v[192:193], v[188:189]
	v_fma_f64 v[42:43], v[190:191], v[40:41], -v[42:43]
	v_mul_f64 v[190:191], v[190:191], v[188:189]
	v_fmac_f64_e32 v[190:191], v[192:193], v[40:41]
	s_waitcnt vmcnt(13)
	v_add_f64 v[26:27], v[26:27], -v[190:191]
	ds_read2_b64 v[190:193], v254 offset0:44 offset1:45
	v_add_f64 v[24:25], v[24:25], -v[42:43]
	s_waitcnt lgkmcnt(0)
	v_mul_f64 v[42:43], v[192:193], v[188:189]
	v_fma_f64 v[42:43], v[190:191], v[40:41], -v[42:43]
	v_mul_f64 v[190:191], v[190:191], v[188:189]
	v_fmac_f64_e32 v[190:191], v[192:193], v[40:41]
	s_waitcnt vmcnt(11)
	v_add_f64 v[22:23], v[22:23], -v[190:191]
	ds_read2_b64 v[190:193], v254 offset0:46 offset1:47
	v_add_f64 v[20:21], v[20:21], -v[42:43]
	s_waitcnt lgkmcnt(0)
	v_mul_f64 v[42:43], v[192:193], v[188:189]
	v_fma_f64 v[42:43], v[190:191], v[40:41], -v[42:43]
	v_mul_f64 v[190:191], v[190:191], v[188:189]
	v_fmac_f64_e32 v[190:191], v[192:193], v[40:41]
	s_waitcnt vmcnt(10)
	v_add_f64 v[18:19], v[18:19], -v[190:191]
	ds_read2_b64 v[190:193], v254 offset0:48 offset1:49
	v_add_f64 v[16:17], v[16:17], -v[42:43]
	s_waitcnt lgkmcnt(0)
	v_mul_f64 v[42:43], v[192:193], v[188:189]
	v_fma_f64 v[42:43], v[190:191], v[40:41], -v[42:43]
	v_mul_f64 v[190:191], v[190:191], v[188:189]
	v_fmac_f64_e32 v[190:191], v[192:193], v[40:41]
	s_waitcnt vmcnt(9)
	v_add_f64 v[14:15], v[14:15], -v[190:191]
	ds_read2_b64 v[190:193], v254 offset0:50 offset1:51
	v_add_f64 v[12:13], v[12:13], -v[42:43]
	s_waitcnt lgkmcnt(0)
	v_mul_f64 v[42:43], v[192:193], v[188:189]
	v_fma_f64 v[42:43], v[190:191], v[40:41], -v[42:43]
	v_mul_f64 v[190:191], v[190:191], v[188:189]
	v_fmac_f64_e32 v[190:191], v[192:193], v[40:41]
	s_waitcnt vmcnt(8)
	v_add_f64 v[10:11], v[10:11], -v[190:191]
	ds_read2_b64 v[190:193], v254 offset0:52 offset1:53
	v_add_f64 v[8:9], v[8:9], -v[42:43]
	s_waitcnt lgkmcnt(0)
	v_mul_f64 v[42:43], v[192:193], v[188:189]
	v_fma_f64 v[42:43], v[190:191], v[40:41], -v[42:43]
	v_mul_f64 v[190:191], v[190:191], v[188:189]
	v_fmac_f64_e32 v[190:191], v[192:193], v[40:41]
	s_waitcnt vmcnt(7)
	v_add_f64 v[6:7], v[6:7], -v[190:191]
	ds_read2_b64 v[190:193], v254 offset0:54 offset1:55
	v_add_f64 v[4:5], v[4:5], -v[42:43]
	s_waitcnt lgkmcnt(0)
	v_mul_f64 v[42:43], v[192:193], v[188:189]
	v_fma_f64 v[42:43], v[190:191], v[40:41], -v[42:43]
	v_mul_f64 v[190:191], v[190:191], v[188:189]
	v_fmac_f64_e32 v[190:191], v[192:193], v[40:41]
	v_add_f64 v[2:3], v[2:3], -v[190:191]
	ds_read2_b64 v[190:193], v254 offset0:56 offset1:57
	v_add_f64 v[0:1], v[0:1], -v[42:43]
	s_waitcnt lgkmcnt(0)
	v_mul_f64 v[42:43], v[192:193], v[188:189]
	v_fma_f64 v[42:43], v[190:191], v[40:41], -v[42:43]
	v_mul_f64 v[190:191], v[190:191], v[188:189]
	v_fmac_f64_e32 v[190:191], v[192:193], v[40:41]
	s_waitcnt vmcnt(6)
	v_add_f64 v[112:113], v[112:113], -v[42:43]
	v_add_f64 v[114:115], v[114:115], -v[190:191]
	v_mov_b64_e32 v[42:43], v[188:189]
.LBB57_163:
	s_or_b64 exec, exec, s[2:3]
	v_cmp_eq_u32_e32 vcc, 18, v250
	s_waitcnt lgkmcnt(0)
	s_barrier
	s_and_saveexec_b64 s[4:5], vcc
	s_cbranch_execz .LBB57_170
; %bb.164:
	s_waitcnt vmcnt(30)
	ds_write2_b64 v251, v[36:37], v[38:39] offset1:1
	s_waitcnt vmcnt(29)
	ds_write2_b64 v254, v[32:33], v[34:35] offset0:38 offset1:39
	s_waitcnt vmcnt(28)
	ds_write2_b64 v254, v[28:29], v[30:31] offset0:40 offset1:41
	;; [unrolled: 2-line block ×8, first 2 shown]
	ds_write2_b64 v254, v[0:1], v[2:3] offset0:54 offset1:55
	s_waitcnt vmcnt(6)
	ds_write2_b64 v254, v[112:113], v[114:115] offset0:56 offset1:57
	ds_read2_b64 v[188:191], v251 offset1:1
	s_waitcnt lgkmcnt(0)
	v_cmp_neq_f64_e32 vcc, 0, v[188:189]
	v_cmp_neq_f64_e64 s[2:3], 0, v[190:191]
	s_or_b64 s[2:3], vcc, s[2:3]
	s_and_b64 exec, exec, s[2:3]
	s_cbranch_execz .LBB57_170
; %bb.165:
	v_cmp_ngt_f64_e64 s[2:3], |v[188:189]|, |v[190:191]|
                                        ; implicit-def: $vgpr192_vgpr193
	s_and_saveexec_b64 s[10:11], s[2:3]
	s_xor_b64 s[2:3], exec, s[10:11]
                                        ; implicit-def: $vgpr194_vgpr195
	s_cbranch_execz .LBB57_167
; %bb.166:
	v_div_scale_f64 v[192:193], s[10:11], v[190:191], v[190:191], v[188:189]
	v_rcp_f64_e32 v[194:195], v[192:193]
	v_div_scale_f64 v[196:197], vcc, v[188:189], v[190:191], v[188:189]
	v_fma_f64 v[198:199], -v[192:193], v[194:195], 1.0
	v_fmac_f64_e32 v[194:195], v[194:195], v[198:199]
	v_fma_f64 v[198:199], -v[192:193], v[194:195], 1.0
	v_fmac_f64_e32 v[194:195], v[194:195], v[198:199]
	v_mul_f64 v[198:199], v[196:197], v[194:195]
	v_fma_f64 v[192:193], -v[192:193], v[198:199], v[196:197]
	v_div_fmas_f64 v[192:193], v[192:193], v[194:195], v[198:199]
	v_div_fixup_f64 v[192:193], v[192:193], v[190:191], v[188:189]
	v_fmac_f64_e32 v[190:191], v[188:189], v[192:193]
	v_div_scale_f64 v[188:189], s[10:11], v[190:191], v[190:191], 1.0
	v_rcp_f64_e32 v[194:195], v[188:189]
	s_nop 0
	v_fma_f64 v[196:197], -v[188:189], v[194:195], 1.0
	v_fmac_f64_e32 v[194:195], v[194:195], v[196:197]
	v_fma_f64 v[196:197], -v[188:189], v[194:195], 1.0
	v_fmac_f64_e32 v[194:195], v[194:195], v[196:197]
	v_div_scale_f64 v[196:197], vcc, 1.0, v[190:191], 1.0
	v_mul_f64 v[198:199], v[196:197], v[194:195]
	v_fma_f64 v[188:189], -v[188:189], v[198:199], v[196:197]
	s_nop 1
	v_div_fmas_f64 v[188:189], v[188:189], v[194:195], v[198:199]
	v_div_fixup_f64 v[194:195], v[188:189], v[190:191], 1.0
	v_mul_f64 v[192:193], v[192:193], v[194:195]
	v_xor_b32_e32 v195, 0x80000000, v195
                                        ; implicit-def: $vgpr188_vgpr189
.LBB57_167:
	s_andn2_saveexec_b64 s[2:3], s[2:3]
	s_cbranch_execz .LBB57_169
; %bb.168:
	v_div_scale_f64 v[192:193], s[10:11], v[188:189], v[188:189], v[190:191]
	v_rcp_f64_e32 v[194:195], v[192:193]
	v_div_scale_f64 v[196:197], vcc, v[190:191], v[188:189], v[190:191]
	v_fma_f64 v[198:199], -v[192:193], v[194:195], 1.0
	v_fmac_f64_e32 v[194:195], v[194:195], v[198:199]
	v_fma_f64 v[198:199], -v[192:193], v[194:195], 1.0
	v_fmac_f64_e32 v[194:195], v[194:195], v[198:199]
	v_mul_f64 v[198:199], v[196:197], v[194:195]
	v_fma_f64 v[192:193], -v[192:193], v[198:199], v[196:197]
	v_div_fmas_f64 v[192:193], v[192:193], v[194:195], v[198:199]
	v_div_fixup_f64 v[194:195], v[192:193], v[188:189], v[190:191]
	v_fmac_f64_e32 v[188:189], v[190:191], v[194:195]
	v_div_scale_f64 v[190:191], s[10:11], v[188:189], v[188:189], 1.0
	v_rcp_f64_e32 v[192:193], v[190:191]
	s_nop 0
	v_fma_f64 v[196:197], -v[190:191], v[192:193], 1.0
	v_fmac_f64_e32 v[192:193], v[192:193], v[196:197]
	v_fma_f64 v[196:197], -v[190:191], v[192:193], 1.0
	v_fmac_f64_e32 v[192:193], v[192:193], v[196:197]
	v_div_scale_f64 v[196:197], vcc, 1.0, v[188:189], 1.0
	v_mul_f64 v[198:199], v[196:197], v[192:193]
	v_fma_f64 v[190:191], -v[190:191], v[198:199], v[196:197]
	s_nop 1
	v_div_fmas_f64 v[190:191], v[190:191], v[192:193], v[198:199]
	v_div_fixup_f64 v[192:193], v[190:191], v[188:189], 1.0
	v_mul_f64 v[194:195], v[194:195], -v[192:193]
.LBB57_169:
	s_or_b64 exec, exec, s[2:3]
	ds_write2_b64 v251, v[192:193], v[194:195] offset1:1
.LBB57_170:
	s_or_b64 exec, exec, s[4:5]
	s_waitcnt lgkmcnt(0)
	s_barrier
	ds_read2_b64 v[188:191], v251 offset1:1
	v_cmp_lt_u32_e32 vcc, 18, v250
	s_and_saveexec_b64 s[2:3], vcc
	s_cbranch_execz .LBB57_172
; %bb.171:
	ds_read2_b64 v[194:197], v254 offset0:38 offset1:39
	s_waitcnt vmcnt(30) lgkmcnt(1)
	v_mul_f64 v[192:193], v[188:189], v[38:39]
	v_fmac_f64_e32 v[192:193], v[190:191], v[36:37]
	v_mul_f64 v[38:39], v[190:191], v[38:39]
	v_fma_f64 v[36:37], v[188:189], v[36:37], -v[38:39]
	s_waitcnt lgkmcnt(0)
	v_mul_f64 v[38:39], v[196:197], v[192:193]
	v_fma_f64 v[38:39], v[194:195], v[36:37], -v[38:39]
	v_mul_f64 v[194:195], v[194:195], v[192:193]
	v_fmac_f64_e32 v[194:195], v[196:197], v[36:37]
	s_waitcnt vmcnt(29)
	v_add_f64 v[34:35], v[34:35], -v[194:195]
	ds_read2_b64 v[194:197], v254 offset0:40 offset1:41
	v_add_f64 v[32:33], v[32:33], -v[38:39]
	s_waitcnt lgkmcnt(0)
	v_mul_f64 v[38:39], v[196:197], v[192:193]
	v_fma_f64 v[38:39], v[194:195], v[36:37], -v[38:39]
	v_mul_f64 v[194:195], v[194:195], v[192:193]
	v_fmac_f64_e32 v[194:195], v[196:197], v[36:37]
	s_waitcnt vmcnt(28)
	v_add_f64 v[30:31], v[30:31], -v[194:195]
	ds_read2_b64 v[194:197], v254 offset0:42 offset1:43
	v_add_f64 v[28:29], v[28:29], -v[38:39]
	;; [unrolled: 9-line block ×8, first 2 shown]
	s_waitcnt lgkmcnt(0)
	v_mul_f64 v[38:39], v[196:197], v[192:193]
	v_fma_f64 v[38:39], v[194:195], v[36:37], -v[38:39]
	v_mul_f64 v[194:195], v[194:195], v[192:193]
	v_fmac_f64_e32 v[194:195], v[196:197], v[36:37]
	v_add_f64 v[2:3], v[2:3], -v[194:195]
	ds_read2_b64 v[194:197], v254 offset0:56 offset1:57
	v_add_f64 v[0:1], v[0:1], -v[38:39]
	s_waitcnt lgkmcnt(0)
	v_mul_f64 v[38:39], v[196:197], v[192:193]
	v_fma_f64 v[38:39], v[194:195], v[36:37], -v[38:39]
	v_mul_f64 v[194:195], v[194:195], v[192:193]
	v_fmac_f64_e32 v[194:195], v[196:197], v[36:37]
	s_waitcnt vmcnt(6)
	v_add_f64 v[112:113], v[112:113], -v[38:39]
	v_add_f64 v[114:115], v[114:115], -v[194:195]
	v_mov_b64_e32 v[38:39], v[192:193]
.LBB57_172:
	s_or_b64 exec, exec, s[2:3]
	v_cmp_eq_u32_e32 vcc, 19, v250
	s_waitcnt lgkmcnt(0)
	s_barrier
	s_and_saveexec_b64 s[4:5], vcc
	s_cbranch_execz .LBB57_179
; %bb.173:
	s_waitcnt vmcnt(29)
	ds_write2_b64 v251, v[32:33], v[34:35] offset1:1
	s_waitcnt vmcnt(28)
	ds_write2_b64 v254, v[28:29], v[30:31] offset0:40 offset1:41
	s_waitcnt vmcnt(13)
	ds_write2_b64 v254, v[24:25], v[26:27] offset0:42 offset1:43
	;; [unrolled: 2-line block ×7, first 2 shown]
	ds_write2_b64 v254, v[0:1], v[2:3] offset0:54 offset1:55
	s_waitcnt vmcnt(6)
	ds_write2_b64 v254, v[112:113], v[114:115] offset0:56 offset1:57
	ds_read2_b64 v[192:195], v251 offset1:1
	s_waitcnt lgkmcnt(0)
	v_cmp_neq_f64_e32 vcc, 0, v[192:193]
	v_cmp_neq_f64_e64 s[2:3], 0, v[194:195]
	s_or_b64 s[2:3], vcc, s[2:3]
	s_and_b64 exec, exec, s[2:3]
	s_cbranch_execz .LBB57_179
; %bb.174:
	v_cmp_ngt_f64_e64 s[2:3], |v[192:193]|, |v[194:195]|
                                        ; implicit-def: $vgpr196_vgpr197
	s_and_saveexec_b64 s[10:11], s[2:3]
	s_xor_b64 s[2:3], exec, s[10:11]
                                        ; implicit-def: $vgpr198_vgpr199
	s_cbranch_execz .LBB57_176
; %bb.175:
	v_div_scale_f64 v[196:197], s[10:11], v[194:195], v[194:195], v[192:193]
	v_rcp_f64_e32 v[198:199], v[196:197]
	v_div_scale_f64 v[200:201], vcc, v[192:193], v[194:195], v[192:193]
	v_fma_f64 v[202:203], -v[196:197], v[198:199], 1.0
	v_fmac_f64_e32 v[198:199], v[198:199], v[202:203]
	v_fma_f64 v[202:203], -v[196:197], v[198:199], 1.0
	v_fmac_f64_e32 v[198:199], v[198:199], v[202:203]
	v_mul_f64 v[202:203], v[200:201], v[198:199]
	v_fma_f64 v[196:197], -v[196:197], v[202:203], v[200:201]
	v_div_fmas_f64 v[196:197], v[196:197], v[198:199], v[202:203]
	v_div_fixup_f64 v[196:197], v[196:197], v[194:195], v[192:193]
	v_fmac_f64_e32 v[194:195], v[192:193], v[196:197]
	v_div_scale_f64 v[192:193], s[10:11], v[194:195], v[194:195], 1.0
	v_rcp_f64_e32 v[198:199], v[192:193]
	s_nop 0
	v_fma_f64 v[200:201], -v[192:193], v[198:199], 1.0
	v_fmac_f64_e32 v[198:199], v[198:199], v[200:201]
	v_fma_f64 v[200:201], -v[192:193], v[198:199], 1.0
	v_fmac_f64_e32 v[198:199], v[198:199], v[200:201]
	v_div_scale_f64 v[200:201], vcc, 1.0, v[194:195], 1.0
	v_mul_f64 v[202:203], v[200:201], v[198:199]
	v_fma_f64 v[192:193], -v[192:193], v[202:203], v[200:201]
	s_nop 1
	v_div_fmas_f64 v[192:193], v[192:193], v[198:199], v[202:203]
	v_div_fixup_f64 v[198:199], v[192:193], v[194:195], 1.0
	v_mul_f64 v[196:197], v[196:197], v[198:199]
	v_xor_b32_e32 v199, 0x80000000, v199
                                        ; implicit-def: $vgpr192_vgpr193
.LBB57_176:
	s_andn2_saveexec_b64 s[2:3], s[2:3]
	s_cbranch_execz .LBB57_178
; %bb.177:
	v_div_scale_f64 v[196:197], s[10:11], v[192:193], v[192:193], v[194:195]
	v_rcp_f64_e32 v[198:199], v[196:197]
	v_div_scale_f64 v[200:201], vcc, v[194:195], v[192:193], v[194:195]
	v_fma_f64 v[202:203], -v[196:197], v[198:199], 1.0
	v_fmac_f64_e32 v[198:199], v[198:199], v[202:203]
	v_fma_f64 v[202:203], -v[196:197], v[198:199], 1.0
	v_fmac_f64_e32 v[198:199], v[198:199], v[202:203]
	v_mul_f64 v[202:203], v[200:201], v[198:199]
	v_fma_f64 v[196:197], -v[196:197], v[202:203], v[200:201]
	v_div_fmas_f64 v[196:197], v[196:197], v[198:199], v[202:203]
	v_div_fixup_f64 v[198:199], v[196:197], v[192:193], v[194:195]
	v_fmac_f64_e32 v[192:193], v[194:195], v[198:199]
	v_div_scale_f64 v[194:195], s[10:11], v[192:193], v[192:193], 1.0
	v_rcp_f64_e32 v[196:197], v[194:195]
	s_nop 0
	v_fma_f64 v[200:201], -v[194:195], v[196:197], 1.0
	v_fmac_f64_e32 v[196:197], v[196:197], v[200:201]
	v_fma_f64 v[200:201], -v[194:195], v[196:197], 1.0
	v_fmac_f64_e32 v[196:197], v[196:197], v[200:201]
	v_div_scale_f64 v[200:201], vcc, 1.0, v[192:193], 1.0
	v_mul_f64 v[202:203], v[200:201], v[196:197]
	v_fma_f64 v[194:195], -v[194:195], v[202:203], v[200:201]
	s_nop 1
	v_div_fmas_f64 v[194:195], v[194:195], v[196:197], v[202:203]
	v_div_fixup_f64 v[196:197], v[194:195], v[192:193], 1.0
	v_mul_f64 v[198:199], v[198:199], -v[196:197]
.LBB57_178:
	s_or_b64 exec, exec, s[2:3]
	ds_write2_b64 v251, v[196:197], v[198:199] offset1:1
.LBB57_179:
	s_or_b64 exec, exec, s[4:5]
	s_waitcnt lgkmcnt(0)
	s_barrier
	ds_read2_b64 v[192:195], v251 offset1:1
	v_cmp_lt_u32_e32 vcc, 19, v250
	s_and_saveexec_b64 s[2:3], vcc
	s_cbranch_execz .LBB57_181
; %bb.180:
	ds_read2_b64 v[198:201], v254 offset0:40 offset1:41
	s_waitcnt vmcnt(29) lgkmcnt(1)
	v_mul_f64 v[196:197], v[192:193], v[34:35]
	v_fmac_f64_e32 v[196:197], v[194:195], v[32:33]
	v_mul_f64 v[34:35], v[194:195], v[34:35]
	v_fma_f64 v[32:33], v[192:193], v[32:33], -v[34:35]
	s_waitcnt lgkmcnt(0)
	v_mul_f64 v[34:35], v[200:201], v[196:197]
	v_fma_f64 v[34:35], v[198:199], v[32:33], -v[34:35]
	v_mul_f64 v[198:199], v[198:199], v[196:197]
	v_fmac_f64_e32 v[198:199], v[200:201], v[32:33]
	s_waitcnt vmcnt(28)
	v_add_f64 v[30:31], v[30:31], -v[198:199]
	ds_read2_b64 v[198:201], v254 offset0:42 offset1:43
	v_add_f64 v[28:29], v[28:29], -v[34:35]
	s_waitcnt lgkmcnt(0)
	v_mul_f64 v[34:35], v[200:201], v[196:197]
	v_fma_f64 v[34:35], v[198:199], v[32:33], -v[34:35]
	v_mul_f64 v[198:199], v[198:199], v[196:197]
	v_fmac_f64_e32 v[198:199], v[200:201], v[32:33]
	s_waitcnt vmcnt(13)
	v_add_f64 v[26:27], v[26:27], -v[198:199]
	ds_read2_b64 v[198:201], v254 offset0:44 offset1:45
	v_add_f64 v[24:25], v[24:25], -v[34:35]
	;; [unrolled: 9-line block ×7, first 2 shown]
	s_waitcnt lgkmcnt(0)
	v_mul_f64 v[34:35], v[200:201], v[196:197]
	v_fma_f64 v[34:35], v[198:199], v[32:33], -v[34:35]
	v_mul_f64 v[198:199], v[198:199], v[196:197]
	v_fmac_f64_e32 v[198:199], v[200:201], v[32:33]
	v_add_f64 v[2:3], v[2:3], -v[198:199]
	ds_read2_b64 v[198:201], v254 offset0:56 offset1:57
	v_add_f64 v[0:1], v[0:1], -v[34:35]
	s_waitcnt lgkmcnt(0)
	v_mul_f64 v[34:35], v[200:201], v[196:197]
	v_fma_f64 v[34:35], v[198:199], v[32:33], -v[34:35]
	v_mul_f64 v[198:199], v[198:199], v[196:197]
	v_fmac_f64_e32 v[198:199], v[200:201], v[32:33]
	s_waitcnt vmcnt(6)
	v_add_f64 v[112:113], v[112:113], -v[34:35]
	v_add_f64 v[114:115], v[114:115], -v[198:199]
	v_mov_b64_e32 v[34:35], v[196:197]
.LBB57_181:
	s_or_b64 exec, exec, s[2:3]
	v_cmp_eq_u32_e32 vcc, 20, v250
	s_waitcnt lgkmcnt(0)
	s_barrier
	s_and_saveexec_b64 s[4:5], vcc
	s_cbranch_execz .LBB57_188
; %bb.182:
	s_waitcnt vmcnt(28)
	ds_write2_b64 v251, v[28:29], v[30:31] offset1:1
	s_waitcnt vmcnt(13)
	ds_write2_b64 v254, v[24:25], v[26:27] offset0:42 offset1:43
	s_waitcnt vmcnt(11)
	ds_write2_b64 v254, v[20:21], v[22:23] offset0:44 offset1:45
	;; [unrolled: 2-line block ×6, first 2 shown]
	ds_write2_b64 v254, v[0:1], v[2:3] offset0:54 offset1:55
	s_waitcnt vmcnt(6)
	ds_write2_b64 v254, v[112:113], v[114:115] offset0:56 offset1:57
	ds_read2_b64 v[196:199], v251 offset1:1
	s_waitcnt lgkmcnt(0)
	v_cmp_neq_f64_e32 vcc, 0, v[196:197]
	v_cmp_neq_f64_e64 s[2:3], 0, v[198:199]
	s_or_b64 s[2:3], vcc, s[2:3]
	s_and_b64 exec, exec, s[2:3]
	s_cbranch_execz .LBB57_188
; %bb.183:
	v_cmp_ngt_f64_e64 s[2:3], |v[196:197]|, |v[198:199]|
                                        ; implicit-def: $vgpr200_vgpr201
	s_and_saveexec_b64 s[10:11], s[2:3]
	s_xor_b64 s[2:3], exec, s[10:11]
                                        ; implicit-def: $vgpr202_vgpr203
	s_cbranch_execz .LBB57_185
; %bb.184:
	v_div_scale_f64 v[200:201], s[10:11], v[198:199], v[198:199], v[196:197]
	v_rcp_f64_e32 v[202:203], v[200:201]
	v_div_scale_f64 v[204:205], vcc, v[196:197], v[198:199], v[196:197]
	v_fma_f64 v[206:207], -v[200:201], v[202:203], 1.0
	v_fmac_f64_e32 v[202:203], v[202:203], v[206:207]
	v_fma_f64 v[206:207], -v[200:201], v[202:203], 1.0
	v_fmac_f64_e32 v[202:203], v[202:203], v[206:207]
	v_mul_f64 v[206:207], v[204:205], v[202:203]
	v_fma_f64 v[200:201], -v[200:201], v[206:207], v[204:205]
	v_div_fmas_f64 v[200:201], v[200:201], v[202:203], v[206:207]
	v_div_fixup_f64 v[200:201], v[200:201], v[198:199], v[196:197]
	v_fmac_f64_e32 v[198:199], v[196:197], v[200:201]
	v_div_scale_f64 v[196:197], s[10:11], v[198:199], v[198:199], 1.0
	v_rcp_f64_e32 v[202:203], v[196:197]
	s_nop 0
	v_fma_f64 v[204:205], -v[196:197], v[202:203], 1.0
	v_fmac_f64_e32 v[202:203], v[202:203], v[204:205]
	v_fma_f64 v[204:205], -v[196:197], v[202:203], 1.0
	v_fmac_f64_e32 v[202:203], v[202:203], v[204:205]
	v_div_scale_f64 v[204:205], vcc, 1.0, v[198:199], 1.0
	v_mul_f64 v[206:207], v[204:205], v[202:203]
	v_fma_f64 v[196:197], -v[196:197], v[206:207], v[204:205]
	s_nop 1
	v_div_fmas_f64 v[196:197], v[196:197], v[202:203], v[206:207]
	v_div_fixup_f64 v[202:203], v[196:197], v[198:199], 1.0
	v_mul_f64 v[200:201], v[200:201], v[202:203]
	v_xor_b32_e32 v203, 0x80000000, v203
                                        ; implicit-def: $vgpr196_vgpr197
.LBB57_185:
	s_andn2_saveexec_b64 s[2:3], s[2:3]
	s_cbranch_execz .LBB57_187
; %bb.186:
	v_div_scale_f64 v[200:201], s[10:11], v[196:197], v[196:197], v[198:199]
	v_rcp_f64_e32 v[202:203], v[200:201]
	v_div_scale_f64 v[204:205], vcc, v[198:199], v[196:197], v[198:199]
	v_fma_f64 v[206:207], -v[200:201], v[202:203], 1.0
	v_fmac_f64_e32 v[202:203], v[202:203], v[206:207]
	v_fma_f64 v[206:207], -v[200:201], v[202:203], 1.0
	v_fmac_f64_e32 v[202:203], v[202:203], v[206:207]
	v_mul_f64 v[206:207], v[204:205], v[202:203]
	v_fma_f64 v[200:201], -v[200:201], v[206:207], v[204:205]
	v_div_fmas_f64 v[200:201], v[200:201], v[202:203], v[206:207]
	v_div_fixup_f64 v[202:203], v[200:201], v[196:197], v[198:199]
	v_fmac_f64_e32 v[196:197], v[198:199], v[202:203]
	v_div_scale_f64 v[198:199], s[10:11], v[196:197], v[196:197], 1.0
	v_rcp_f64_e32 v[200:201], v[198:199]
	s_nop 0
	v_fma_f64 v[204:205], -v[198:199], v[200:201], 1.0
	v_fmac_f64_e32 v[200:201], v[200:201], v[204:205]
	v_fma_f64 v[204:205], -v[198:199], v[200:201], 1.0
	v_fmac_f64_e32 v[200:201], v[200:201], v[204:205]
	v_div_scale_f64 v[204:205], vcc, 1.0, v[196:197], 1.0
	v_mul_f64 v[206:207], v[204:205], v[200:201]
	v_fma_f64 v[198:199], -v[198:199], v[206:207], v[204:205]
	s_nop 1
	v_div_fmas_f64 v[198:199], v[198:199], v[200:201], v[206:207]
	v_div_fixup_f64 v[200:201], v[198:199], v[196:197], 1.0
	v_mul_f64 v[202:203], v[202:203], -v[200:201]
.LBB57_187:
	s_or_b64 exec, exec, s[2:3]
	ds_write2_b64 v251, v[200:201], v[202:203] offset1:1
.LBB57_188:
	s_or_b64 exec, exec, s[4:5]
	s_waitcnt lgkmcnt(0)
	s_barrier
	ds_read2_b64 v[196:199], v251 offset1:1
	v_cmp_lt_u32_e32 vcc, 20, v250
	s_and_saveexec_b64 s[2:3], vcc
	s_cbranch_execz .LBB57_190
; %bb.189:
	ds_read2_b64 v[202:205], v254 offset0:42 offset1:43
	s_waitcnt vmcnt(28) lgkmcnt(1)
	v_mul_f64 v[200:201], v[196:197], v[30:31]
	v_fmac_f64_e32 v[200:201], v[198:199], v[28:29]
	v_mul_f64 v[30:31], v[198:199], v[30:31]
	v_fma_f64 v[28:29], v[196:197], v[28:29], -v[30:31]
	s_waitcnt lgkmcnt(0)
	v_mul_f64 v[30:31], v[204:205], v[200:201]
	v_fma_f64 v[30:31], v[202:203], v[28:29], -v[30:31]
	v_mul_f64 v[202:203], v[202:203], v[200:201]
	v_fmac_f64_e32 v[202:203], v[204:205], v[28:29]
	s_waitcnt vmcnt(13)
	v_add_f64 v[26:27], v[26:27], -v[202:203]
	ds_read2_b64 v[202:205], v254 offset0:44 offset1:45
	v_add_f64 v[24:25], v[24:25], -v[30:31]
	s_waitcnt lgkmcnt(0)
	v_mul_f64 v[30:31], v[204:205], v[200:201]
	v_fma_f64 v[30:31], v[202:203], v[28:29], -v[30:31]
	v_mul_f64 v[202:203], v[202:203], v[200:201]
	v_fmac_f64_e32 v[202:203], v[204:205], v[28:29]
	s_waitcnt vmcnt(11)
	v_add_f64 v[22:23], v[22:23], -v[202:203]
	ds_read2_b64 v[202:205], v254 offset0:46 offset1:47
	v_add_f64 v[20:21], v[20:21], -v[30:31]
	;; [unrolled: 9-line block ×6, first 2 shown]
	s_waitcnt lgkmcnt(0)
	v_mul_f64 v[30:31], v[204:205], v[200:201]
	v_fma_f64 v[30:31], v[202:203], v[28:29], -v[30:31]
	v_mul_f64 v[202:203], v[202:203], v[200:201]
	v_fmac_f64_e32 v[202:203], v[204:205], v[28:29]
	v_add_f64 v[2:3], v[2:3], -v[202:203]
	ds_read2_b64 v[202:205], v254 offset0:56 offset1:57
	v_add_f64 v[0:1], v[0:1], -v[30:31]
	s_waitcnt lgkmcnt(0)
	v_mul_f64 v[30:31], v[204:205], v[200:201]
	v_fma_f64 v[30:31], v[202:203], v[28:29], -v[30:31]
	v_mul_f64 v[202:203], v[202:203], v[200:201]
	v_fmac_f64_e32 v[202:203], v[204:205], v[28:29]
	s_waitcnt vmcnt(6)
	v_add_f64 v[112:113], v[112:113], -v[30:31]
	v_add_f64 v[114:115], v[114:115], -v[202:203]
	v_mov_b64_e32 v[30:31], v[200:201]
.LBB57_190:
	s_or_b64 exec, exec, s[2:3]
	v_cmp_eq_u32_e32 vcc, 21, v250
	s_waitcnt lgkmcnt(0)
	s_barrier
	s_and_saveexec_b64 s[4:5], vcc
	s_cbranch_execz .LBB57_197
; %bb.191:
	s_waitcnt vmcnt(13)
	ds_write2_b64 v251, v[24:25], v[26:27] offset1:1
	s_waitcnt vmcnt(11)
	ds_write2_b64 v254, v[20:21], v[22:23] offset0:44 offset1:45
	s_waitcnt vmcnt(10)
	ds_write2_b64 v254, v[16:17], v[18:19] offset0:46 offset1:47
	;; [unrolled: 2-line block ×5, first 2 shown]
	ds_write2_b64 v254, v[0:1], v[2:3] offset0:54 offset1:55
	s_waitcnt vmcnt(6)
	ds_write2_b64 v254, v[112:113], v[114:115] offset0:56 offset1:57
	ds_read2_b64 v[200:203], v251 offset1:1
	s_waitcnt lgkmcnt(0)
	v_cmp_neq_f64_e32 vcc, 0, v[200:201]
	v_cmp_neq_f64_e64 s[2:3], 0, v[202:203]
	s_or_b64 s[2:3], vcc, s[2:3]
	s_and_b64 exec, exec, s[2:3]
	s_cbranch_execz .LBB57_197
; %bb.192:
	v_cmp_ngt_f64_e64 s[2:3], |v[200:201]|, |v[202:203]|
                                        ; implicit-def: $vgpr204_vgpr205
	s_and_saveexec_b64 s[10:11], s[2:3]
	s_xor_b64 s[2:3], exec, s[10:11]
                                        ; implicit-def: $vgpr206_vgpr207
	s_cbranch_execz .LBB57_194
; %bb.193:
	v_div_scale_f64 v[204:205], s[10:11], v[202:203], v[202:203], v[200:201]
	v_rcp_f64_e32 v[206:207], v[204:205]
	v_div_scale_f64 v[208:209], vcc, v[200:201], v[202:203], v[200:201]
	v_fma_f64 v[210:211], -v[204:205], v[206:207], 1.0
	v_fmac_f64_e32 v[206:207], v[206:207], v[210:211]
	v_fma_f64 v[210:211], -v[204:205], v[206:207], 1.0
	v_fmac_f64_e32 v[206:207], v[206:207], v[210:211]
	v_mul_f64 v[210:211], v[208:209], v[206:207]
	v_fma_f64 v[204:205], -v[204:205], v[210:211], v[208:209]
	v_div_fmas_f64 v[204:205], v[204:205], v[206:207], v[210:211]
	v_div_fixup_f64 v[204:205], v[204:205], v[202:203], v[200:201]
	v_fmac_f64_e32 v[202:203], v[200:201], v[204:205]
	v_div_scale_f64 v[200:201], s[10:11], v[202:203], v[202:203], 1.0
	v_rcp_f64_e32 v[206:207], v[200:201]
	s_nop 0
	v_fma_f64 v[208:209], -v[200:201], v[206:207], 1.0
	v_fmac_f64_e32 v[206:207], v[206:207], v[208:209]
	v_fma_f64 v[208:209], -v[200:201], v[206:207], 1.0
	v_fmac_f64_e32 v[206:207], v[206:207], v[208:209]
	v_div_scale_f64 v[208:209], vcc, 1.0, v[202:203], 1.0
	v_mul_f64 v[210:211], v[208:209], v[206:207]
	v_fma_f64 v[200:201], -v[200:201], v[210:211], v[208:209]
	s_nop 1
	v_div_fmas_f64 v[200:201], v[200:201], v[206:207], v[210:211]
	v_div_fixup_f64 v[206:207], v[200:201], v[202:203], 1.0
	v_mul_f64 v[204:205], v[204:205], v[206:207]
	v_xor_b32_e32 v207, 0x80000000, v207
                                        ; implicit-def: $vgpr200_vgpr201
.LBB57_194:
	s_andn2_saveexec_b64 s[2:3], s[2:3]
	s_cbranch_execz .LBB57_196
; %bb.195:
	v_div_scale_f64 v[204:205], s[10:11], v[200:201], v[200:201], v[202:203]
	v_rcp_f64_e32 v[206:207], v[204:205]
	v_div_scale_f64 v[208:209], vcc, v[202:203], v[200:201], v[202:203]
	v_fma_f64 v[210:211], -v[204:205], v[206:207], 1.0
	v_fmac_f64_e32 v[206:207], v[206:207], v[210:211]
	v_fma_f64 v[210:211], -v[204:205], v[206:207], 1.0
	v_fmac_f64_e32 v[206:207], v[206:207], v[210:211]
	v_mul_f64 v[210:211], v[208:209], v[206:207]
	v_fma_f64 v[204:205], -v[204:205], v[210:211], v[208:209]
	v_div_fmas_f64 v[204:205], v[204:205], v[206:207], v[210:211]
	v_div_fixup_f64 v[206:207], v[204:205], v[200:201], v[202:203]
	v_fmac_f64_e32 v[200:201], v[202:203], v[206:207]
	v_div_scale_f64 v[202:203], s[10:11], v[200:201], v[200:201], 1.0
	v_rcp_f64_e32 v[204:205], v[202:203]
	s_nop 0
	v_fma_f64 v[208:209], -v[202:203], v[204:205], 1.0
	v_fmac_f64_e32 v[204:205], v[204:205], v[208:209]
	v_fma_f64 v[208:209], -v[202:203], v[204:205], 1.0
	v_fmac_f64_e32 v[204:205], v[204:205], v[208:209]
	v_div_scale_f64 v[208:209], vcc, 1.0, v[200:201], 1.0
	v_mul_f64 v[210:211], v[208:209], v[204:205]
	v_fma_f64 v[202:203], -v[202:203], v[210:211], v[208:209]
	s_nop 1
	v_div_fmas_f64 v[202:203], v[202:203], v[204:205], v[210:211]
	v_div_fixup_f64 v[204:205], v[202:203], v[200:201], 1.0
	v_mul_f64 v[206:207], v[206:207], -v[204:205]
.LBB57_196:
	s_or_b64 exec, exec, s[2:3]
	ds_write2_b64 v251, v[204:205], v[206:207] offset1:1
.LBB57_197:
	s_or_b64 exec, exec, s[4:5]
	s_waitcnt lgkmcnt(0)
	s_barrier
	ds_read2_b64 v[200:203], v251 offset1:1
	v_cmp_lt_u32_e32 vcc, 21, v250
	s_and_saveexec_b64 s[2:3], vcc
	s_cbranch_execz .LBB57_199
; %bb.198:
	ds_read2_b64 v[206:209], v254 offset0:44 offset1:45
	s_waitcnt vmcnt(13) lgkmcnt(1)
	v_mul_f64 v[204:205], v[200:201], v[26:27]
	v_fmac_f64_e32 v[204:205], v[202:203], v[24:25]
	v_mul_f64 v[26:27], v[202:203], v[26:27]
	v_fma_f64 v[24:25], v[200:201], v[24:25], -v[26:27]
	s_waitcnt lgkmcnt(0)
	v_mul_f64 v[26:27], v[208:209], v[204:205]
	v_fma_f64 v[26:27], v[206:207], v[24:25], -v[26:27]
	v_mul_f64 v[206:207], v[206:207], v[204:205]
	v_fmac_f64_e32 v[206:207], v[208:209], v[24:25]
	s_waitcnt vmcnt(11)
	v_add_f64 v[22:23], v[22:23], -v[206:207]
	ds_read2_b64 v[206:209], v254 offset0:46 offset1:47
	v_add_f64 v[20:21], v[20:21], -v[26:27]
	s_waitcnt lgkmcnt(0)
	v_mul_f64 v[26:27], v[208:209], v[204:205]
	v_fma_f64 v[26:27], v[206:207], v[24:25], -v[26:27]
	v_mul_f64 v[206:207], v[206:207], v[204:205]
	v_fmac_f64_e32 v[206:207], v[208:209], v[24:25]
	s_waitcnt vmcnt(10)
	v_add_f64 v[18:19], v[18:19], -v[206:207]
	ds_read2_b64 v[206:209], v254 offset0:48 offset1:49
	v_add_f64 v[16:17], v[16:17], -v[26:27]
	s_waitcnt lgkmcnt(0)
	v_mul_f64 v[26:27], v[208:209], v[204:205]
	v_fma_f64 v[26:27], v[206:207], v[24:25], -v[26:27]
	v_mul_f64 v[206:207], v[206:207], v[204:205]
	v_fmac_f64_e32 v[206:207], v[208:209], v[24:25]
	s_waitcnt vmcnt(9)
	v_add_f64 v[14:15], v[14:15], -v[206:207]
	ds_read2_b64 v[206:209], v254 offset0:50 offset1:51
	v_add_f64 v[12:13], v[12:13], -v[26:27]
	s_waitcnt lgkmcnt(0)
	v_mul_f64 v[26:27], v[208:209], v[204:205]
	v_fma_f64 v[26:27], v[206:207], v[24:25], -v[26:27]
	v_mul_f64 v[206:207], v[206:207], v[204:205]
	v_fmac_f64_e32 v[206:207], v[208:209], v[24:25]
	s_waitcnt vmcnt(8)
	v_add_f64 v[10:11], v[10:11], -v[206:207]
	ds_read2_b64 v[206:209], v254 offset0:52 offset1:53
	v_add_f64 v[8:9], v[8:9], -v[26:27]
	s_waitcnt lgkmcnt(0)
	v_mul_f64 v[26:27], v[208:209], v[204:205]
	v_fma_f64 v[26:27], v[206:207], v[24:25], -v[26:27]
	v_mul_f64 v[206:207], v[206:207], v[204:205]
	v_fmac_f64_e32 v[206:207], v[208:209], v[24:25]
	s_waitcnt vmcnt(7)
	v_add_f64 v[6:7], v[6:7], -v[206:207]
	ds_read2_b64 v[206:209], v254 offset0:54 offset1:55
	v_add_f64 v[4:5], v[4:5], -v[26:27]
	s_waitcnt lgkmcnt(0)
	v_mul_f64 v[26:27], v[208:209], v[204:205]
	v_fma_f64 v[26:27], v[206:207], v[24:25], -v[26:27]
	v_mul_f64 v[206:207], v[206:207], v[204:205]
	v_fmac_f64_e32 v[206:207], v[208:209], v[24:25]
	v_add_f64 v[2:3], v[2:3], -v[206:207]
	ds_read2_b64 v[206:209], v254 offset0:56 offset1:57
	v_add_f64 v[0:1], v[0:1], -v[26:27]
	s_waitcnt lgkmcnt(0)
	v_mul_f64 v[26:27], v[208:209], v[204:205]
	v_fma_f64 v[26:27], v[206:207], v[24:25], -v[26:27]
	v_mul_f64 v[206:207], v[206:207], v[204:205]
	v_fmac_f64_e32 v[206:207], v[208:209], v[24:25]
	s_waitcnt vmcnt(6)
	v_add_f64 v[112:113], v[112:113], -v[26:27]
	v_add_f64 v[114:115], v[114:115], -v[206:207]
	v_mov_b64_e32 v[26:27], v[204:205]
.LBB57_199:
	s_or_b64 exec, exec, s[2:3]
	v_cmp_eq_u32_e32 vcc, 22, v250
	s_waitcnt lgkmcnt(0)
	s_barrier
	s_and_saveexec_b64 s[4:5], vcc
	s_cbranch_execz .LBB57_206
; %bb.200:
	s_waitcnt vmcnt(11)
	ds_write2_b64 v251, v[20:21], v[22:23] offset1:1
	s_waitcnt vmcnt(10)
	ds_write2_b64 v254, v[16:17], v[18:19] offset0:46 offset1:47
	s_waitcnt vmcnt(9)
	ds_write2_b64 v254, v[12:13], v[14:15] offset0:48 offset1:49
	s_waitcnt vmcnt(8)
	ds_write2_b64 v254, v[8:9], v[10:11] offset0:50 offset1:51
	s_waitcnt vmcnt(7)
	ds_write2_b64 v254, v[4:5], v[6:7] offset0:52 offset1:53
	ds_write2_b64 v254, v[0:1], v[2:3] offset0:54 offset1:55
	s_waitcnt vmcnt(6)
	ds_write2_b64 v254, v[112:113], v[114:115] offset0:56 offset1:57
	ds_read2_b64 v[204:207], v251 offset1:1
	s_waitcnt lgkmcnt(0)
	v_cmp_neq_f64_e32 vcc, 0, v[204:205]
	v_cmp_neq_f64_e64 s[2:3], 0, v[206:207]
	s_or_b64 s[2:3], vcc, s[2:3]
	s_and_b64 exec, exec, s[2:3]
	s_cbranch_execz .LBB57_206
; %bb.201:
	v_cmp_ngt_f64_e64 s[2:3], |v[204:205]|, |v[206:207]|
                                        ; implicit-def: $vgpr208_vgpr209
	s_and_saveexec_b64 s[10:11], s[2:3]
	s_xor_b64 s[2:3], exec, s[10:11]
                                        ; implicit-def: $vgpr210_vgpr211
	s_cbranch_execz .LBB57_203
; %bb.202:
	v_div_scale_f64 v[208:209], s[10:11], v[206:207], v[206:207], v[204:205]
	v_rcp_f64_e32 v[210:211], v[208:209]
	v_div_scale_f64 v[212:213], vcc, v[204:205], v[206:207], v[204:205]
	v_fma_f64 v[214:215], -v[208:209], v[210:211], 1.0
	v_fmac_f64_e32 v[210:211], v[210:211], v[214:215]
	v_fma_f64 v[214:215], -v[208:209], v[210:211], 1.0
	v_fmac_f64_e32 v[210:211], v[210:211], v[214:215]
	v_mul_f64 v[214:215], v[212:213], v[210:211]
	v_fma_f64 v[208:209], -v[208:209], v[214:215], v[212:213]
	v_div_fmas_f64 v[208:209], v[208:209], v[210:211], v[214:215]
	v_div_fixup_f64 v[208:209], v[208:209], v[206:207], v[204:205]
	v_fmac_f64_e32 v[206:207], v[204:205], v[208:209]
	v_div_scale_f64 v[204:205], s[10:11], v[206:207], v[206:207], 1.0
	v_rcp_f64_e32 v[210:211], v[204:205]
	s_nop 0
	v_fma_f64 v[212:213], -v[204:205], v[210:211], 1.0
	v_fmac_f64_e32 v[210:211], v[210:211], v[212:213]
	v_fma_f64 v[212:213], -v[204:205], v[210:211], 1.0
	v_fmac_f64_e32 v[210:211], v[210:211], v[212:213]
	v_div_scale_f64 v[212:213], vcc, 1.0, v[206:207], 1.0
	v_mul_f64 v[214:215], v[212:213], v[210:211]
	v_fma_f64 v[204:205], -v[204:205], v[214:215], v[212:213]
	s_nop 1
	v_div_fmas_f64 v[204:205], v[204:205], v[210:211], v[214:215]
	v_div_fixup_f64 v[210:211], v[204:205], v[206:207], 1.0
	v_mul_f64 v[208:209], v[208:209], v[210:211]
	v_xor_b32_e32 v211, 0x80000000, v211
                                        ; implicit-def: $vgpr204_vgpr205
.LBB57_203:
	s_andn2_saveexec_b64 s[2:3], s[2:3]
	s_cbranch_execz .LBB57_205
; %bb.204:
	v_div_scale_f64 v[208:209], s[10:11], v[204:205], v[204:205], v[206:207]
	v_rcp_f64_e32 v[210:211], v[208:209]
	v_div_scale_f64 v[212:213], vcc, v[206:207], v[204:205], v[206:207]
	v_fma_f64 v[214:215], -v[208:209], v[210:211], 1.0
	v_fmac_f64_e32 v[210:211], v[210:211], v[214:215]
	v_fma_f64 v[214:215], -v[208:209], v[210:211], 1.0
	v_fmac_f64_e32 v[210:211], v[210:211], v[214:215]
	v_mul_f64 v[214:215], v[212:213], v[210:211]
	v_fma_f64 v[208:209], -v[208:209], v[214:215], v[212:213]
	v_div_fmas_f64 v[208:209], v[208:209], v[210:211], v[214:215]
	v_div_fixup_f64 v[210:211], v[208:209], v[204:205], v[206:207]
	v_fmac_f64_e32 v[204:205], v[206:207], v[210:211]
	v_div_scale_f64 v[206:207], s[10:11], v[204:205], v[204:205], 1.0
	v_rcp_f64_e32 v[208:209], v[206:207]
	s_nop 0
	v_fma_f64 v[212:213], -v[206:207], v[208:209], 1.0
	v_fmac_f64_e32 v[208:209], v[208:209], v[212:213]
	v_fma_f64 v[212:213], -v[206:207], v[208:209], 1.0
	v_fmac_f64_e32 v[208:209], v[208:209], v[212:213]
	v_div_scale_f64 v[212:213], vcc, 1.0, v[204:205], 1.0
	v_mul_f64 v[214:215], v[212:213], v[208:209]
	v_fma_f64 v[206:207], -v[206:207], v[214:215], v[212:213]
	s_nop 1
	v_div_fmas_f64 v[206:207], v[206:207], v[208:209], v[214:215]
	v_div_fixup_f64 v[208:209], v[206:207], v[204:205], 1.0
	v_mul_f64 v[210:211], v[210:211], -v[208:209]
.LBB57_205:
	s_or_b64 exec, exec, s[2:3]
	ds_write2_b64 v251, v[208:209], v[210:211] offset1:1
.LBB57_206:
	s_or_b64 exec, exec, s[4:5]
	s_waitcnt lgkmcnt(0)
	s_barrier
	ds_read2_b64 v[204:207], v251 offset1:1
	v_cmp_lt_u32_e32 vcc, 22, v250
	s_and_saveexec_b64 s[2:3], vcc
	s_cbranch_execz .LBB57_208
; %bb.207:
	ds_read2_b64 v[208:211], v254 offset0:46 offset1:47
	s_waitcnt vmcnt(11) lgkmcnt(1)
	v_mul_f64 v[212:213], v[204:205], v[22:23]
	v_fmac_f64_e32 v[212:213], v[206:207], v[20:21]
	v_mul_f64 v[22:23], v[206:207], v[22:23]
	v_fma_f64 v[20:21], v[204:205], v[20:21], -v[22:23]
	s_waitcnt lgkmcnt(0)
	v_mul_f64 v[22:23], v[210:211], v[212:213]
	v_fma_f64 v[22:23], v[208:209], v[20:21], -v[22:23]
	v_mul_f64 v[208:209], v[208:209], v[212:213]
	v_fmac_f64_e32 v[208:209], v[210:211], v[20:21]
	s_waitcnt vmcnt(10)
	v_add_f64 v[18:19], v[18:19], -v[208:209]
	ds_read2_b64 v[208:211], v254 offset0:48 offset1:49
	v_add_f64 v[16:17], v[16:17], -v[22:23]
	s_waitcnt lgkmcnt(0)
	v_mul_f64 v[22:23], v[210:211], v[212:213]
	v_fma_f64 v[22:23], v[208:209], v[20:21], -v[22:23]
	v_mul_f64 v[208:209], v[208:209], v[212:213]
	v_fmac_f64_e32 v[208:209], v[210:211], v[20:21]
	s_waitcnt vmcnt(9)
	v_add_f64 v[14:15], v[14:15], -v[208:209]
	ds_read2_b64 v[208:211], v254 offset0:50 offset1:51
	v_add_f64 v[12:13], v[12:13], -v[22:23]
	;; [unrolled: 9-line block ×4, first 2 shown]
	s_waitcnt lgkmcnt(0)
	v_mul_f64 v[22:23], v[210:211], v[212:213]
	v_fma_f64 v[22:23], v[208:209], v[20:21], -v[22:23]
	v_mul_f64 v[208:209], v[208:209], v[212:213]
	v_fmac_f64_e32 v[208:209], v[210:211], v[20:21]
	v_add_f64 v[2:3], v[2:3], -v[208:209]
	ds_read2_b64 v[208:211], v254 offset0:56 offset1:57
	v_add_f64 v[0:1], v[0:1], -v[22:23]
	s_waitcnt lgkmcnt(0)
	v_mul_f64 v[22:23], v[210:211], v[212:213]
	v_fma_f64 v[22:23], v[208:209], v[20:21], -v[22:23]
	v_mul_f64 v[208:209], v[208:209], v[212:213]
	v_fmac_f64_e32 v[208:209], v[210:211], v[20:21]
	s_waitcnt vmcnt(6)
	v_add_f64 v[112:113], v[112:113], -v[22:23]
	v_add_f64 v[114:115], v[114:115], -v[208:209]
	v_mov_b64_e32 v[22:23], v[212:213]
.LBB57_208:
	s_or_b64 exec, exec, s[2:3]
	v_cmp_eq_u32_e32 vcc, 23, v250
	s_waitcnt lgkmcnt(0)
	s_barrier
	s_and_saveexec_b64 s[4:5], vcc
	s_cbranch_execz .LBB57_215
; %bb.209:
	s_waitcnt vmcnt(10)
	ds_write2_b64 v251, v[16:17], v[18:19] offset1:1
	s_waitcnt vmcnt(9)
	ds_write2_b64 v254, v[12:13], v[14:15] offset0:48 offset1:49
	s_waitcnt vmcnt(8)
	ds_write2_b64 v254, v[8:9], v[10:11] offset0:50 offset1:51
	;; [unrolled: 2-line block ×3, first 2 shown]
	ds_write2_b64 v254, v[0:1], v[2:3] offset0:54 offset1:55
	s_waitcnt vmcnt(6)
	ds_write2_b64 v254, v[112:113], v[114:115] offset0:56 offset1:57
	ds_read2_b64 v[208:211], v251 offset1:1
	s_waitcnt lgkmcnt(0)
	v_cmp_neq_f64_e32 vcc, 0, v[208:209]
	v_cmp_neq_f64_e64 s[2:3], 0, v[210:211]
	s_or_b64 s[2:3], vcc, s[2:3]
	s_and_b64 exec, exec, s[2:3]
	s_cbranch_execz .LBB57_215
; %bb.210:
	v_cmp_ngt_f64_e64 s[2:3], |v[208:209]|, |v[210:211]|
                                        ; implicit-def: $vgpr212_vgpr213
	s_and_saveexec_b64 s[10:11], s[2:3]
	s_xor_b64 s[2:3], exec, s[10:11]
                                        ; implicit-def: $vgpr214_vgpr215
	s_cbranch_execz .LBB57_212
; %bb.211:
	v_div_scale_f64 v[212:213], s[10:11], v[210:211], v[210:211], v[208:209]
	v_rcp_f64_e32 v[214:215], v[212:213]
	v_div_scale_f64 v[216:217], vcc, v[208:209], v[210:211], v[208:209]
	v_fma_f64 v[218:219], -v[212:213], v[214:215], 1.0
	v_fmac_f64_e32 v[214:215], v[214:215], v[218:219]
	v_fma_f64 v[218:219], -v[212:213], v[214:215], 1.0
	v_fmac_f64_e32 v[214:215], v[214:215], v[218:219]
	v_mul_f64 v[218:219], v[216:217], v[214:215]
	v_fma_f64 v[212:213], -v[212:213], v[218:219], v[216:217]
	v_div_fmas_f64 v[212:213], v[212:213], v[214:215], v[218:219]
	v_div_fixup_f64 v[212:213], v[212:213], v[210:211], v[208:209]
	v_fmac_f64_e32 v[210:211], v[208:209], v[212:213]
	v_div_scale_f64 v[208:209], s[10:11], v[210:211], v[210:211], 1.0
	v_rcp_f64_e32 v[214:215], v[208:209]
	s_nop 0
	v_fma_f64 v[216:217], -v[208:209], v[214:215], 1.0
	v_fmac_f64_e32 v[214:215], v[214:215], v[216:217]
	v_fma_f64 v[216:217], -v[208:209], v[214:215], 1.0
	v_fmac_f64_e32 v[214:215], v[214:215], v[216:217]
	v_div_scale_f64 v[216:217], vcc, 1.0, v[210:211], 1.0
	v_mul_f64 v[218:219], v[216:217], v[214:215]
	v_fma_f64 v[208:209], -v[208:209], v[218:219], v[216:217]
	s_nop 1
	v_div_fmas_f64 v[208:209], v[208:209], v[214:215], v[218:219]
	v_div_fixup_f64 v[214:215], v[208:209], v[210:211], 1.0
	v_mul_f64 v[212:213], v[212:213], v[214:215]
	v_xor_b32_e32 v215, 0x80000000, v215
                                        ; implicit-def: $vgpr208_vgpr209
.LBB57_212:
	s_andn2_saveexec_b64 s[2:3], s[2:3]
	s_cbranch_execz .LBB57_214
; %bb.213:
	v_div_scale_f64 v[212:213], s[10:11], v[208:209], v[208:209], v[210:211]
	v_rcp_f64_e32 v[214:215], v[212:213]
	v_div_scale_f64 v[216:217], vcc, v[210:211], v[208:209], v[210:211]
	v_fma_f64 v[218:219], -v[212:213], v[214:215], 1.0
	v_fmac_f64_e32 v[214:215], v[214:215], v[218:219]
	v_fma_f64 v[218:219], -v[212:213], v[214:215], 1.0
	v_fmac_f64_e32 v[214:215], v[214:215], v[218:219]
	v_mul_f64 v[218:219], v[216:217], v[214:215]
	v_fma_f64 v[212:213], -v[212:213], v[218:219], v[216:217]
	v_div_fmas_f64 v[212:213], v[212:213], v[214:215], v[218:219]
	v_div_fixup_f64 v[214:215], v[212:213], v[208:209], v[210:211]
	v_fmac_f64_e32 v[208:209], v[210:211], v[214:215]
	v_div_scale_f64 v[210:211], s[10:11], v[208:209], v[208:209], 1.0
	v_rcp_f64_e32 v[212:213], v[210:211]
	s_nop 0
	v_fma_f64 v[216:217], -v[210:211], v[212:213], 1.0
	v_fmac_f64_e32 v[212:213], v[212:213], v[216:217]
	v_fma_f64 v[216:217], -v[210:211], v[212:213], 1.0
	v_fmac_f64_e32 v[212:213], v[212:213], v[216:217]
	v_div_scale_f64 v[216:217], vcc, 1.0, v[208:209], 1.0
	v_mul_f64 v[218:219], v[216:217], v[212:213]
	v_fma_f64 v[210:211], -v[210:211], v[218:219], v[216:217]
	s_nop 1
	v_div_fmas_f64 v[210:211], v[210:211], v[212:213], v[218:219]
	v_div_fixup_f64 v[212:213], v[210:211], v[208:209], 1.0
	v_mul_f64 v[214:215], v[214:215], -v[212:213]
.LBB57_214:
	s_or_b64 exec, exec, s[2:3]
	ds_write2_b64 v251, v[212:213], v[214:215] offset1:1
.LBB57_215:
	s_or_b64 exec, exec, s[4:5]
	s_waitcnt lgkmcnt(0)
	s_barrier
	ds_read2_b64 v[208:211], v251 offset1:1
	v_cmp_lt_u32_e32 vcc, 23, v250
	s_and_saveexec_b64 s[2:3], vcc
	s_cbranch_execz .LBB57_217
; %bb.216:
	ds_read2_b64 v[212:215], v254 offset0:48 offset1:49
	s_waitcnt vmcnt(10) lgkmcnt(1)
	v_mul_f64 v[216:217], v[208:209], v[18:19]
	v_fmac_f64_e32 v[216:217], v[210:211], v[16:17]
	v_mul_f64 v[18:19], v[210:211], v[18:19]
	v_fma_f64 v[16:17], v[208:209], v[16:17], -v[18:19]
	s_waitcnt lgkmcnt(0)
	v_mul_f64 v[18:19], v[214:215], v[216:217]
	v_fma_f64 v[18:19], v[212:213], v[16:17], -v[18:19]
	v_mul_f64 v[212:213], v[212:213], v[216:217]
	v_fmac_f64_e32 v[212:213], v[214:215], v[16:17]
	s_waitcnt vmcnt(9)
	v_add_f64 v[14:15], v[14:15], -v[212:213]
	ds_read2_b64 v[212:215], v254 offset0:50 offset1:51
	v_add_f64 v[12:13], v[12:13], -v[18:19]
	s_waitcnt lgkmcnt(0)
	v_mul_f64 v[18:19], v[214:215], v[216:217]
	v_fma_f64 v[18:19], v[212:213], v[16:17], -v[18:19]
	v_mul_f64 v[212:213], v[212:213], v[216:217]
	v_fmac_f64_e32 v[212:213], v[214:215], v[16:17]
	s_waitcnt vmcnt(8)
	v_add_f64 v[10:11], v[10:11], -v[212:213]
	ds_read2_b64 v[212:215], v254 offset0:52 offset1:53
	v_add_f64 v[8:9], v[8:9], -v[18:19]
	;; [unrolled: 9-line block ×3, first 2 shown]
	s_waitcnt lgkmcnt(0)
	v_mul_f64 v[18:19], v[214:215], v[216:217]
	v_fma_f64 v[18:19], v[212:213], v[16:17], -v[18:19]
	v_mul_f64 v[212:213], v[212:213], v[216:217]
	v_fmac_f64_e32 v[212:213], v[214:215], v[16:17]
	v_add_f64 v[2:3], v[2:3], -v[212:213]
	ds_read2_b64 v[212:215], v254 offset0:56 offset1:57
	v_add_f64 v[0:1], v[0:1], -v[18:19]
	s_waitcnt lgkmcnt(0)
	v_mul_f64 v[18:19], v[214:215], v[216:217]
	v_fma_f64 v[18:19], v[212:213], v[16:17], -v[18:19]
	v_mul_f64 v[212:213], v[212:213], v[216:217]
	v_fmac_f64_e32 v[212:213], v[214:215], v[16:17]
	s_waitcnt vmcnt(6)
	v_add_f64 v[112:113], v[112:113], -v[18:19]
	v_add_f64 v[114:115], v[114:115], -v[212:213]
	v_mov_b64_e32 v[18:19], v[216:217]
.LBB57_217:
	s_or_b64 exec, exec, s[2:3]
	v_cmp_eq_u32_e32 vcc, 24, v250
	s_waitcnt lgkmcnt(0)
	s_barrier
	s_and_saveexec_b64 s[4:5], vcc
	s_cbranch_execz .LBB57_224
; %bb.218:
	s_waitcnt vmcnt(9)
	ds_write2_b64 v251, v[12:13], v[14:15] offset1:1
	s_waitcnt vmcnt(8)
	ds_write2_b64 v254, v[8:9], v[10:11] offset0:50 offset1:51
	s_waitcnt vmcnt(7)
	ds_write2_b64 v254, v[4:5], v[6:7] offset0:52 offset1:53
	ds_write2_b64 v254, v[0:1], v[2:3] offset0:54 offset1:55
	s_waitcnt vmcnt(6)
	ds_write2_b64 v254, v[112:113], v[114:115] offset0:56 offset1:57
	ds_read2_b64 v[212:215], v251 offset1:1
	s_waitcnt lgkmcnt(0)
	v_cmp_neq_f64_e32 vcc, 0, v[212:213]
	v_cmp_neq_f64_e64 s[2:3], 0, v[214:215]
	s_or_b64 s[2:3], vcc, s[2:3]
	s_and_b64 exec, exec, s[2:3]
	s_cbranch_execz .LBB57_224
; %bb.219:
	v_cmp_ngt_f64_e64 s[2:3], |v[212:213]|, |v[214:215]|
                                        ; implicit-def: $vgpr216_vgpr217
	s_and_saveexec_b64 s[10:11], s[2:3]
	s_xor_b64 s[2:3], exec, s[10:11]
                                        ; implicit-def: $vgpr218_vgpr219
	s_cbranch_execz .LBB57_221
; %bb.220:
	v_div_scale_f64 v[216:217], s[10:11], v[214:215], v[214:215], v[212:213]
	v_rcp_f64_e32 v[218:219], v[216:217]
	v_div_scale_f64 v[220:221], vcc, v[212:213], v[214:215], v[212:213]
	v_fma_f64 v[222:223], -v[216:217], v[218:219], 1.0
	v_fmac_f64_e32 v[218:219], v[218:219], v[222:223]
	v_fma_f64 v[222:223], -v[216:217], v[218:219], 1.0
	v_fmac_f64_e32 v[218:219], v[218:219], v[222:223]
	v_mul_f64 v[222:223], v[220:221], v[218:219]
	v_fma_f64 v[216:217], -v[216:217], v[222:223], v[220:221]
	v_div_fmas_f64 v[216:217], v[216:217], v[218:219], v[222:223]
	v_div_fixup_f64 v[216:217], v[216:217], v[214:215], v[212:213]
	v_fmac_f64_e32 v[214:215], v[212:213], v[216:217]
	v_div_scale_f64 v[212:213], s[10:11], v[214:215], v[214:215], 1.0
	v_rcp_f64_e32 v[218:219], v[212:213]
	s_nop 0
	v_fma_f64 v[220:221], -v[212:213], v[218:219], 1.0
	v_fmac_f64_e32 v[218:219], v[218:219], v[220:221]
	v_fma_f64 v[220:221], -v[212:213], v[218:219], 1.0
	v_fmac_f64_e32 v[218:219], v[218:219], v[220:221]
	v_div_scale_f64 v[220:221], vcc, 1.0, v[214:215], 1.0
	v_mul_f64 v[222:223], v[220:221], v[218:219]
	v_fma_f64 v[212:213], -v[212:213], v[222:223], v[220:221]
	s_nop 1
	v_div_fmas_f64 v[212:213], v[212:213], v[218:219], v[222:223]
	v_div_fixup_f64 v[218:219], v[212:213], v[214:215], 1.0
	v_mul_f64 v[216:217], v[216:217], v[218:219]
	v_xor_b32_e32 v219, 0x80000000, v219
                                        ; implicit-def: $vgpr212_vgpr213
.LBB57_221:
	s_andn2_saveexec_b64 s[2:3], s[2:3]
	s_cbranch_execz .LBB57_223
; %bb.222:
	v_div_scale_f64 v[216:217], s[10:11], v[212:213], v[212:213], v[214:215]
	v_rcp_f64_e32 v[218:219], v[216:217]
	v_div_scale_f64 v[220:221], vcc, v[214:215], v[212:213], v[214:215]
	v_fma_f64 v[222:223], -v[216:217], v[218:219], 1.0
	v_fmac_f64_e32 v[218:219], v[218:219], v[222:223]
	v_fma_f64 v[222:223], -v[216:217], v[218:219], 1.0
	v_fmac_f64_e32 v[218:219], v[218:219], v[222:223]
	v_mul_f64 v[222:223], v[220:221], v[218:219]
	v_fma_f64 v[216:217], -v[216:217], v[222:223], v[220:221]
	v_div_fmas_f64 v[216:217], v[216:217], v[218:219], v[222:223]
	v_div_fixup_f64 v[218:219], v[216:217], v[212:213], v[214:215]
	v_fmac_f64_e32 v[212:213], v[214:215], v[218:219]
	v_div_scale_f64 v[214:215], s[10:11], v[212:213], v[212:213], 1.0
	v_rcp_f64_e32 v[216:217], v[214:215]
	s_nop 0
	v_fma_f64 v[220:221], -v[214:215], v[216:217], 1.0
	v_fmac_f64_e32 v[216:217], v[216:217], v[220:221]
	v_fma_f64 v[220:221], -v[214:215], v[216:217], 1.0
	v_fmac_f64_e32 v[216:217], v[216:217], v[220:221]
	v_div_scale_f64 v[220:221], vcc, 1.0, v[212:213], 1.0
	v_mul_f64 v[222:223], v[220:221], v[216:217]
	v_fma_f64 v[214:215], -v[214:215], v[222:223], v[220:221]
	s_nop 1
	v_div_fmas_f64 v[214:215], v[214:215], v[216:217], v[222:223]
	v_div_fixup_f64 v[216:217], v[214:215], v[212:213], 1.0
	v_mul_f64 v[218:219], v[218:219], -v[216:217]
.LBB57_223:
	s_or_b64 exec, exec, s[2:3]
	ds_write2_b64 v251, v[216:217], v[218:219] offset1:1
.LBB57_224:
	s_or_b64 exec, exec, s[4:5]
	s_waitcnt lgkmcnt(0)
	s_barrier
	ds_read2_b64 v[212:215], v251 offset1:1
	v_cmp_lt_u32_e32 vcc, 24, v250
	s_and_saveexec_b64 s[2:3], vcc
	s_cbranch_execz .LBB57_226
; %bb.225:
	ds_read2_b64 v[216:219], v254 offset0:50 offset1:51
	s_waitcnt vmcnt(9) lgkmcnt(1)
	v_mul_f64 v[220:221], v[212:213], v[14:15]
	v_fmac_f64_e32 v[220:221], v[214:215], v[12:13]
	v_mul_f64 v[14:15], v[214:215], v[14:15]
	v_fma_f64 v[12:13], v[212:213], v[12:13], -v[14:15]
	s_waitcnt lgkmcnt(0)
	v_mul_f64 v[14:15], v[218:219], v[220:221]
	v_fma_f64 v[14:15], v[216:217], v[12:13], -v[14:15]
	v_mul_f64 v[216:217], v[216:217], v[220:221]
	v_fmac_f64_e32 v[216:217], v[218:219], v[12:13]
	s_waitcnt vmcnt(8)
	v_add_f64 v[10:11], v[10:11], -v[216:217]
	ds_read2_b64 v[216:219], v254 offset0:52 offset1:53
	v_add_f64 v[8:9], v[8:9], -v[14:15]
	s_waitcnt lgkmcnt(0)
	v_mul_f64 v[14:15], v[218:219], v[220:221]
	v_fma_f64 v[14:15], v[216:217], v[12:13], -v[14:15]
	v_mul_f64 v[216:217], v[216:217], v[220:221]
	v_fmac_f64_e32 v[216:217], v[218:219], v[12:13]
	s_waitcnt vmcnt(7)
	v_add_f64 v[6:7], v[6:7], -v[216:217]
	ds_read2_b64 v[216:219], v254 offset0:54 offset1:55
	v_add_f64 v[4:5], v[4:5], -v[14:15]
	s_waitcnt lgkmcnt(0)
	v_mul_f64 v[14:15], v[218:219], v[220:221]
	v_fma_f64 v[14:15], v[216:217], v[12:13], -v[14:15]
	v_mul_f64 v[216:217], v[216:217], v[220:221]
	v_fmac_f64_e32 v[216:217], v[218:219], v[12:13]
	v_add_f64 v[2:3], v[2:3], -v[216:217]
	ds_read2_b64 v[216:219], v254 offset0:56 offset1:57
	v_add_f64 v[0:1], v[0:1], -v[14:15]
	s_waitcnt lgkmcnt(0)
	v_mul_f64 v[14:15], v[218:219], v[220:221]
	v_fma_f64 v[14:15], v[216:217], v[12:13], -v[14:15]
	v_mul_f64 v[216:217], v[216:217], v[220:221]
	v_fmac_f64_e32 v[216:217], v[218:219], v[12:13]
	s_waitcnt vmcnt(6)
	v_add_f64 v[112:113], v[112:113], -v[14:15]
	v_add_f64 v[114:115], v[114:115], -v[216:217]
	v_mov_b64_e32 v[14:15], v[220:221]
.LBB57_226:
	s_or_b64 exec, exec, s[2:3]
	v_cmp_eq_u32_e32 vcc, 25, v250
	s_waitcnt lgkmcnt(0)
	s_barrier
	s_and_saveexec_b64 s[4:5], vcc
	s_cbranch_execz .LBB57_233
; %bb.227:
	s_waitcnt vmcnt(8)
	ds_write2_b64 v251, v[8:9], v[10:11] offset1:1
	s_waitcnt vmcnt(7)
	ds_write2_b64 v254, v[4:5], v[6:7] offset0:52 offset1:53
	ds_write2_b64 v254, v[0:1], v[2:3] offset0:54 offset1:55
	s_waitcnt vmcnt(6)
	ds_write2_b64 v254, v[112:113], v[114:115] offset0:56 offset1:57
	ds_read2_b64 v[216:219], v251 offset1:1
	s_waitcnt lgkmcnt(0)
	v_cmp_neq_f64_e32 vcc, 0, v[216:217]
	v_cmp_neq_f64_e64 s[2:3], 0, v[218:219]
	s_or_b64 s[2:3], vcc, s[2:3]
	s_and_b64 exec, exec, s[2:3]
	s_cbranch_execz .LBB57_233
; %bb.228:
	v_cmp_ngt_f64_e64 s[2:3], |v[216:217]|, |v[218:219]|
                                        ; implicit-def: $vgpr220_vgpr221
	s_and_saveexec_b64 s[10:11], s[2:3]
	s_xor_b64 s[2:3], exec, s[10:11]
                                        ; implicit-def: $vgpr222_vgpr223
	s_cbranch_execz .LBB57_230
; %bb.229:
	v_div_scale_f64 v[220:221], s[10:11], v[218:219], v[218:219], v[216:217]
	v_rcp_f64_e32 v[222:223], v[220:221]
	v_div_scale_f64 v[224:225], vcc, v[216:217], v[218:219], v[216:217]
	v_fma_f64 v[226:227], -v[220:221], v[222:223], 1.0
	v_fmac_f64_e32 v[222:223], v[222:223], v[226:227]
	v_fma_f64 v[226:227], -v[220:221], v[222:223], 1.0
	v_fmac_f64_e32 v[222:223], v[222:223], v[226:227]
	v_mul_f64 v[226:227], v[224:225], v[222:223]
	v_fma_f64 v[220:221], -v[220:221], v[226:227], v[224:225]
	v_div_fmas_f64 v[220:221], v[220:221], v[222:223], v[226:227]
	v_div_fixup_f64 v[220:221], v[220:221], v[218:219], v[216:217]
	v_fmac_f64_e32 v[218:219], v[216:217], v[220:221]
	v_div_scale_f64 v[216:217], s[10:11], v[218:219], v[218:219], 1.0
	v_rcp_f64_e32 v[222:223], v[216:217]
	s_nop 0
	v_fma_f64 v[224:225], -v[216:217], v[222:223], 1.0
	v_fmac_f64_e32 v[222:223], v[222:223], v[224:225]
	v_fma_f64 v[224:225], -v[216:217], v[222:223], 1.0
	v_fmac_f64_e32 v[222:223], v[222:223], v[224:225]
	v_div_scale_f64 v[224:225], vcc, 1.0, v[218:219], 1.0
	v_mul_f64 v[226:227], v[224:225], v[222:223]
	v_fma_f64 v[216:217], -v[216:217], v[226:227], v[224:225]
	s_nop 1
	v_div_fmas_f64 v[216:217], v[216:217], v[222:223], v[226:227]
	v_div_fixup_f64 v[222:223], v[216:217], v[218:219], 1.0
	v_mul_f64 v[220:221], v[220:221], v[222:223]
	v_xor_b32_e32 v223, 0x80000000, v223
                                        ; implicit-def: $vgpr216_vgpr217
.LBB57_230:
	s_andn2_saveexec_b64 s[2:3], s[2:3]
	s_cbranch_execz .LBB57_232
; %bb.231:
	v_div_scale_f64 v[220:221], s[10:11], v[216:217], v[216:217], v[218:219]
	v_rcp_f64_e32 v[222:223], v[220:221]
	v_div_scale_f64 v[224:225], vcc, v[218:219], v[216:217], v[218:219]
	v_fma_f64 v[226:227], -v[220:221], v[222:223], 1.0
	v_fmac_f64_e32 v[222:223], v[222:223], v[226:227]
	v_fma_f64 v[226:227], -v[220:221], v[222:223], 1.0
	v_fmac_f64_e32 v[222:223], v[222:223], v[226:227]
	v_mul_f64 v[226:227], v[224:225], v[222:223]
	v_fma_f64 v[220:221], -v[220:221], v[226:227], v[224:225]
	v_div_fmas_f64 v[220:221], v[220:221], v[222:223], v[226:227]
	v_div_fixup_f64 v[222:223], v[220:221], v[216:217], v[218:219]
	v_fmac_f64_e32 v[216:217], v[218:219], v[222:223]
	v_div_scale_f64 v[218:219], s[10:11], v[216:217], v[216:217], 1.0
	v_rcp_f64_e32 v[220:221], v[218:219]
	s_nop 0
	v_fma_f64 v[224:225], -v[218:219], v[220:221], 1.0
	v_fmac_f64_e32 v[220:221], v[220:221], v[224:225]
	v_fma_f64 v[224:225], -v[218:219], v[220:221], 1.0
	v_fmac_f64_e32 v[220:221], v[220:221], v[224:225]
	v_div_scale_f64 v[224:225], vcc, 1.0, v[216:217], 1.0
	v_mul_f64 v[226:227], v[224:225], v[220:221]
	v_fma_f64 v[218:219], -v[218:219], v[226:227], v[224:225]
	s_nop 1
	v_div_fmas_f64 v[218:219], v[218:219], v[220:221], v[226:227]
	v_div_fixup_f64 v[220:221], v[218:219], v[216:217], 1.0
	v_mul_f64 v[222:223], v[222:223], -v[220:221]
.LBB57_232:
	s_or_b64 exec, exec, s[2:3]
	ds_write2_b64 v251, v[220:221], v[222:223] offset1:1
.LBB57_233:
	s_or_b64 exec, exec, s[4:5]
	s_waitcnt lgkmcnt(0)
	s_barrier
	ds_read2_b64 v[216:219], v251 offset1:1
	v_cmp_lt_u32_e32 vcc, 25, v250
	s_and_saveexec_b64 s[2:3], vcc
	s_cbranch_execz .LBB57_235
; %bb.234:
	ds_read2_b64 v[220:223], v254 offset0:52 offset1:53
	s_waitcnt vmcnt(8) lgkmcnt(1)
	v_mul_f64 v[224:225], v[216:217], v[10:11]
	v_fmac_f64_e32 v[224:225], v[218:219], v[8:9]
	v_mul_f64 v[10:11], v[218:219], v[10:11]
	v_fma_f64 v[8:9], v[216:217], v[8:9], -v[10:11]
	s_waitcnt lgkmcnt(0)
	v_mul_f64 v[10:11], v[222:223], v[224:225]
	v_fma_f64 v[10:11], v[220:221], v[8:9], -v[10:11]
	v_mul_f64 v[220:221], v[220:221], v[224:225]
	v_fmac_f64_e32 v[220:221], v[222:223], v[8:9]
	s_waitcnt vmcnt(7)
	v_add_f64 v[6:7], v[6:7], -v[220:221]
	ds_read2_b64 v[220:223], v254 offset0:54 offset1:55
	v_add_f64 v[4:5], v[4:5], -v[10:11]
	s_waitcnt lgkmcnt(0)
	v_mul_f64 v[10:11], v[222:223], v[224:225]
	v_fma_f64 v[10:11], v[220:221], v[8:9], -v[10:11]
	v_mul_f64 v[220:221], v[220:221], v[224:225]
	v_fmac_f64_e32 v[220:221], v[222:223], v[8:9]
	v_add_f64 v[2:3], v[2:3], -v[220:221]
	ds_read2_b64 v[220:223], v254 offset0:56 offset1:57
	v_add_f64 v[0:1], v[0:1], -v[10:11]
	s_waitcnt lgkmcnt(0)
	v_mul_f64 v[10:11], v[222:223], v[224:225]
	v_fma_f64 v[10:11], v[220:221], v[8:9], -v[10:11]
	v_mul_f64 v[220:221], v[220:221], v[224:225]
	v_fmac_f64_e32 v[220:221], v[222:223], v[8:9]
	s_waitcnt vmcnt(6)
	v_add_f64 v[112:113], v[112:113], -v[10:11]
	v_add_f64 v[114:115], v[114:115], -v[220:221]
	v_mov_b64_e32 v[10:11], v[224:225]
.LBB57_235:
	s_or_b64 exec, exec, s[2:3]
	v_cmp_eq_u32_e32 vcc, 26, v250
	s_waitcnt lgkmcnt(0)
	s_barrier
	s_and_saveexec_b64 s[4:5], vcc
	s_cbranch_execz .LBB57_242
; %bb.236:
	s_waitcnt vmcnt(7)
	ds_write2_b64 v251, v[4:5], v[6:7] offset1:1
	ds_write2_b64 v254, v[0:1], v[2:3] offset0:54 offset1:55
	s_waitcnt vmcnt(6)
	ds_write2_b64 v254, v[112:113], v[114:115] offset0:56 offset1:57
	ds_read2_b64 v[220:223], v251 offset1:1
	s_waitcnt lgkmcnt(0)
	v_cmp_neq_f64_e32 vcc, 0, v[220:221]
	v_cmp_neq_f64_e64 s[2:3], 0, v[222:223]
	s_or_b64 s[2:3], vcc, s[2:3]
	s_and_b64 exec, exec, s[2:3]
	s_cbranch_execz .LBB57_242
; %bb.237:
	v_cmp_ngt_f64_e64 s[2:3], |v[220:221]|, |v[222:223]|
                                        ; implicit-def: $vgpr224_vgpr225
	s_and_saveexec_b64 s[10:11], s[2:3]
	s_xor_b64 s[2:3], exec, s[10:11]
                                        ; implicit-def: $vgpr226_vgpr227
	s_cbranch_execz .LBB57_239
; %bb.238:
	v_div_scale_f64 v[224:225], s[10:11], v[222:223], v[222:223], v[220:221]
	v_rcp_f64_e32 v[226:227], v[224:225]
	v_div_scale_f64 v[228:229], vcc, v[220:221], v[222:223], v[220:221]
	v_fma_f64 v[230:231], -v[224:225], v[226:227], 1.0
	v_fmac_f64_e32 v[226:227], v[226:227], v[230:231]
	v_fma_f64 v[230:231], -v[224:225], v[226:227], 1.0
	v_fmac_f64_e32 v[226:227], v[226:227], v[230:231]
	v_mul_f64 v[230:231], v[228:229], v[226:227]
	v_fma_f64 v[224:225], -v[224:225], v[230:231], v[228:229]
	v_div_fmas_f64 v[224:225], v[224:225], v[226:227], v[230:231]
	v_div_fixup_f64 v[224:225], v[224:225], v[222:223], v[220:221]
	v_fmac_f64_e32 v[222:223], v[220:221], v[224:225]
	v_div_scale_f64 v[220:221], s[10:11], v[222:223], v[222:223], 1.0
	v_rcp_f64_e32 v[226:227], v[220:221]
	s_nop 0
	v_fma_f64 v[228:229], -v[220:221], v[226:227], 1.0
	v_fmac_f64_e32 v[226:227], v[226:227], v[228:229]
	v_fma_f64 v[228:229], -v[220:221], v[226:227], 1.0
	v_fmac_f64_e32 v[226:227], v[226:227], v[228:229]
	v_div_scale_f64 v[228:229], vcc, 1.0, v[222:223], 1.0
	v_mul_f64 v[230:231], v[228:229], v[226:227]
	v_fma_f64 v[220:221], -v[220:221], v[230:231], v[228:229]
	s_nop 1
	v_div_fmas_f64 v[220:221], v[220:221], v[226:227], v[230:231]
	v_div_fixup_f64 v[226:227], v[220:221], v[222:223], 1.0
	v_mul_f64 v[224:225], v[224:225], v[226:227]
	v_xor_b32_e32 v227, 0x80000000, v227
                                        ; implicit-def: $vgpr220_vgpr221
.LBB57_239:
	s_andn2_saveexec_b64 s[2:3], s[2:3]
	s_cbranch_execz .LBB57_241
; %bb.240:
	v_div_scale_f64 v[224:225], s[10:11], v[220:221], v[220:221], v[222:223]
	v_rcp_f64_e32 v[226:227], v[224:225]
	v_div_scale_f64 v[228:229], vcc, v[222:223], v[220:221], v[222:223]
	v_fma_f64 v[230:231], -v[224:225], v[226:227], 1.0
	v_fmac_f64_e32 v[226:227], v[226:227], v[230:231]
	v_fma_f64 v[230:231], -v[224:225], v[226:227], 1.0
	v_fmac_f64_e32 v[226:227], v[226:227], v[230:231]
	v_mul_f64 v[230:231], v[228:229], v[226:227]
	v_fma_f64 v[224:225], -v[224:225], v[230:231], v[228:229]
	v_div_fmas_f64 v[224:225], v[224:225], v[226:227], v[230:231]
	v_div_fixup_f64 v[226:227], v[224:225], v[220:221], v[222:223]
	v_fmac_f64_e32 v[220:221], v[222:223], v[226:227]
	v_div_scale_f64 v[222:223], s[10:11], v[220:221], v[220:221], 1.0
	v_rcp_f64_e32 v[224:225], v[222:223]
	s_nop 0
	v_fma_f64 v[228:229], -v[222:223], v[224:225], 1.0
	v_fmac_f64_e32 v[224:225], v[224:225], v[228:229]
	v_fma_f64 v[228:229], -v[222:223], v[224:225], 1.0
	v_fmac_f64_e32 v[224:225], v[224:225], v[228:229]
	v_div_scale_f64 v[228:229], vcc, 1.0, v[220:221], 1.0
	v_mul_f64 v[230:231], v[228:229], v[224:225]
	v_fma_f64 v[222:223], -v[222:223], v[230:231], v[228:229]
	s_nop 1
	v_div_fmas_f64 v[222:223], v[222:223], v[224:225], v[230:231]
	v_div_fixup_f64 v[224:225], v[222:223], v[220:221], 1.0
	v_mul_f64 v[226:227], v[226:227], -v[224:225]
.LBB57_241:
	s_or_b64 exec, exec, s[2:3]
	ds_write2_b64 v251, v[224:225], v[226:227] offset1:1
.LBB57_242:
	s_or_b64 exec, exec, s[4:5]
	s_waitcnt lgkmcnt(0)
	s_barrier
	ds_read2_b64 v[220:223], v251 offset1:1
	v_cmp_lt_u32_e32 vcc, 26, v250
	s_and_saveexec_b64 s[2:3], vcc
	s_cbranch_execz .LBB57_244
; %bb.243:
	ds_read2_b64 v[224:227], v254 offset0:54 offset1:55
	s_waitcnt vmcnt(7) lgkmcnt(1)
	v_mul_f64 v[228:229], v[220:221], v[6:7]
	v_fmac_f64_e32 v[228:229], v[222:223], v[4:5]
	v_mul_f64 v[6:7], v[222:223], v[6:7]
	v_fma_f64 v[4:5], v[220:221], v[4:5], -v[6:7]
	s_waitcnt lgkmcnt(0)
	v_mul_f64 v[6:7], v[226:227], v[228:229]
	v_fma_f64 v[6:7], v[224:225], v[4:5], -v[6:7]
	v_mul_f64 v[224:225], v[224:225], v[228:229]
	v_fmac_f64_e32 v[224:225], v[226:227], v[4:5]
	v_add_f64 v[2:3], v[2:3], -v[224:225]
	ds_read2_b64 v[224:227], v254 offset0:56 offset1:57
	v_add_f64 v[0:1], v[0:1], -v[6:7]
	s_waitcnt lgkmcnt(0)
	v_mul_f64 v[6:7], v[226:227], v[228:229]
	v_fma_f64 v[6:7], v[224:225], v[4:5], -v[6:7]
	v_mul_f64 v[224:225], v[224:225], v[228:229]
	v_fmac_f64_e32 v[224:225], v[226:227], v[4:5]
	s_waitcnt vmcnt(6)
	v_add_f64 v[112:113], v[112:113], -v[6:7]
	v_add_f64 v[114:115], v[114:115], -v[224:225]
	v_mov_b64_e32 v[6:7], v[228:229]
.LBB57_244:
	s_or_b64 exec, exec, s[2:3]
	v_cmp_eq_u32_e32 vcc, 27, v250
	s_waitcnt lgkmcnt(0)
	s_barrier
	s_and_saveexec_b64 s[4:5], vcc
	s_cbranch_execz .LBB57_251
; %bb.245:
	s_waitcnt vmcnt(27)
	ds_write2_b64 v251, v[0:1], v[2:3] offset1:1
	s_waitcnt vmcnt(6)
	ds_write2_b64 v254, v[112:113], v[114:115] offset0:56 offset1:57
	ds_read2_b64 v[224:227], v251 offset1:1
	s_waitcnt lgkmcnt(0)
	v_cmp_neq_f64_e32 vcc, 0, v[224:225]
	v_cmp_neq_f64_e64 s[2:3], 0, v[226:227]
	s_or_b64 s[2:3], vcc, s[2:3]
	s_and_b64 exec, exec, s[2:3]
	s_cbranch_execz .LBB57_251
; %bb.246:
	v_cmp_ngt_f64_e64 s[2:3], |v[224:225]|, |v[226:227]|
                                        ; implicit-def: $vgpr228_vgpr229
	s_and_saveexec_b64 s[10:11], s[2:3]
	s_xor_b64 s[2:3], exec, s[10:11]
                                        ; implicit-def: $vgpr230_vgpr231
	s_cbranch_execz .LBB57_248
; %bb.247:
	v_mov_b64_e32 v[240:241], v[54:55]
	v_mov_b64_e32 v[238:239], v[52:53]
	;; [unrolled: 1-line block ×69, first 2 shown]
	v_div_scale_f64 v[228:229], s[10:11], v[226:227], v[226:227], v[224:225]
	v_mov_b64_e32 v[138:139], v[136:137]
	v_mov_b64_e32 v[136:137], v[134:135]
	v_rcp_f64_e32 v[230:231], v[228:229]
	v_mov_b64_e32 v[134:135], v[132:133]
	v_mov_b64_e32 v[132:133], v[130:131]
	;; [unrolled: 1-line block ×10, first 2 shown]
	v_fma_f64 v[236:237], -v[228:229], v[230:231], 1.0
	v_fmac_f64_e32 v[230:231], v[230:231], v[236:237]
	v_fma_f64 v[236:237], -v[228:229], v[230:231], 1.0
	v_div_scale_f64 v[234:235], vcc, v[224:225], v[226:227], v[224:225]
	v_fmac_f64_e32 v[230:231], v[230:231], v[236:237]
	v_mul_f64 v[236:237], v[234:235], v[230:231]
	v_fma_f64 v[228:229], -v[228:229], v[236:237], v[234:235]
	s_nop 0
	v_div_fmas_f64 v[228:229], v[228:229], v[230:231], v[236:237]
	v_div_fixup_f64 v[228:229], v[228:229], v[226:227], v[224:225]
	v_fmac_f64_e32 v[226:227], v[224:225], v[228:229]
	v_div_scale_f64 v[224:225], s[10:11], v[226:227], v[226:227], 1.0
	v_rcp_f64_e32 v[230:231], v[224:225]
	s_nop 0
	v_fma_f64 v[234:235], -v[224:225], v[230:231], 1.0
	v_fmac_f64_e32 v[230:231], v[230:231], v[234:235]
	v_fma_f64 v[234:235], -v[224:225], v[230:231], 1.0
	v_fmac_f64_e32 v[230:231], v[230:231], v[234:235]
	v_div_scale_f64 v[234:235], vcc, 1.0, v[226:227], 1.0
	v_mul_f64 v[236:237], v[234:235], v[230:231]
	v_fma_f64 v[224:225], -v[224:225], v[236:237], v[234:235]
	s_nop 1
	v_div_fmas_f64 v[224:225], v[224:225], v[230:231], v[236:237]
	v_mov_b64_e32 v[236:237], v[116:117]
	v_mov_b64_e32 v[116:117], v[118:119]
	;; [unrolled: 1-line block ×80, first 2 shown]
	v_div_fixup_f64 v[230:231], v[224:225], v[226:227], 1.0
	v_mov_b64_e32 v[54:55], v[240:241]
	v_mul_f64 v[228:229], v[228:229], v[230:231]
	v_xor_b32_e32 v231, 0x80000000, v231
                                        ; implicit-def: $vgpr224_vgpr225
.LBB57_248:
	s_andn2_saveexec_b64 s[2:3], s[2:3]
	s_cbranch_execz .LBB57_250
; %bb.249:
	v_mov_b64_e32 v[240:241], v[54:55]
	v_mov_b64_e32 v[238:239], v[52:53]
	;; [unrolled: 1-line block ×69, first 2 shown]
	v_div_scale_f64 v[228:229], s[10:11], v[224:225], v[224:225], v[226:227]
	v_mov_b64_e32 v[138:139], v[136:137]
	v_mov_b64_e32 v[136:137], v[134:135]
	v_rcp_f64_e32 v[230:231], v[228:229]
	v_mov_b64_e32 v[134:135], v[132:133]
	v_mov_b64_e32 v[132:133], v[130:131]
	v_mov_b64_e32 v[130:131], v[128:129]
	v_mov_b64_e32 v[128:129], v[126:127]
	v_mov_b64_e32 v[126:127], v[124:125]
	v_mov_b64_e32 v[124:125], v[122:123]
	v_mov_b64_e32 v[122:123], v[120:121]
	v_mov_b64_e32 v[120:121], v[118:119]
	v_mov_b64_e32 v[118:119], v[116:117]
	v_mov_b64_e32 v[116:117], v[236:237]
	v_fma_f64 v[236:237], -v[228:229], v[230:231], 1.0
	v_fmac_f64_e32 v[230:231], v[230:231], v[236:237]
	v_fma_f64 v[236:237], -v[228:229], v[230:231], 1.0
	v_div_scale_f64 v[234:235], vcc, v[226:227], v[224:225], v[226:227]
	v_fmac_f64_e32 v[230:231], v[230:231], v[236:237]
	v_mul_f64 v[236:237], v[234:235], v[230:231]
	v_fma_f64 v[228:229], -v[228:229], v[236:237], v[234:235]
	s_nop 0
	v_div_fmas_f64 v[228:229], v[228:229], v[230:231], v[236:237]
	v_div_fixup_f64 v[230:231], v[228:229], v[224:225], v[226:227]
	v_fmac_f64_e32 v[224:225], v[226:227], v[230:231]
	v_div_scale_f64 v[226:227], s[10:11], v[224:225], v[224:225], 1.0
	v_rcp_f64_e32 v[228:229], v[226:227]
	s_nop 0
	v_fma_f64 v[234:235], -v[226:227], v[228:229], 1.0
	v_fmac_f64_e32 v[228:229], v[228:229], v[234:235]
	v_fma_f64 v[234:235], -v[226:227], v[228:229], 1.0
	v_fmac_f64_e32 v[228:229], v[228:229], v[234:235]
	v_div_scale_f64 v[234:235], vcc, 1.0, v[224:225], 1.0
	v_mul_f64 v[236:237], v[234:235], v[228:229]
	v_fma_f64 v[226:227], -v[226:227], v[236:237], v[234:235]
	s_nop 1
	v_div_fmas_f64 v[226:227], v[226:227], v[228:229], v[236:237]
	v_mov_b64_e32 v[236:237], v[116:117]
	v_mov_b64_e32 v[116:117], v[118:119]
	;; [unrolled: 1-line block ×80, first 2 shown]
	v_div_fixup_f64 v[228:229], v[226:227], v[224:225], 1.0
	v_mov_b64_e32 v[54:55], v[240:241]
	v_mul_f64 v[230:231], v[230:231], -v[228:229]
.LBB57_250:
	s_or_b64 exec, exec, s[2:3]
	ds_write2_b64 v251, v[228:229], v[230:231] offset1:1
.LBB57_251:
	s_or_b64 exec, exec, s[4:5]
	s_waitcnt lgkmcnt(0)
	s_barrier
	ds_read2_b64 v[224:227], v251 offset1:1
	v_cmp_lt_u32_e32 vcc, 27, v250
	s_and_saveexec_b64 s[2:3], vcc
	s_cbranch_execz .LBB57_253
; %bb.252:
	ds_read2_b64 v[228:231], v254 offset0:56 offset1:57
	s_waitcnt vmcnt(27) lgkmcnt(1)
	v_mul_f64 v[234:235], v[224:225], v[2:3]
	v_mul_f64 v[2:3], v[226:227], v[2:3]
	v_fmac_f64_e32 v[234:235], v[226:227], v[0:1]
	v_fma_f64 v[0:1], v[224:225], v[0:1], -v[2:3]
	s_waitcnt lgkmcnt(0)
	v_mul_f64 v[2:3], v[230:231], v[234:235]
	v_fma_f64 v[2:3], v[228:229], v[0:1], -v[2:3]
	v_mul_f64 v[228:229], v[228:229], v[234:235]
	v_fmac_f64_e32 v[228:229], v[230:231], v[0:1]
	s_waitcnt vmcnt(6)
	v_add_f64 v[112:113], v[112:113], -v[2:3]
	v_add_f64 v[114:115], v[114:115], -v[228:229]
	v_mov_b64_e32 v[2:3], v[234:235]
.LBB57_253:
	s_or_b64 exec, exec, s[2:3]
	v_cmp_eq_u32_e32 vcc, 28, v250
	s_waitcnt lgkmcnt(0)
	s_barrier
	s_and_saveexec_b64 s[4:5], vcc
	s_cbranch_execz .LBB57_260
; %bb.254:
	s_waitcnt vmcnt(6)
	v_cmp_neq_f64_e32 vcc, 0, v[112:113]
	v_cmp_neq_f64_e64 s[2:3], 0, v[114:115]
	s_or_b64 s[2:3], vcc, s[2:3]
	ds_write2_b64 v251, v[112:113], v[114:115] offset1:1
	s_and_b64 exec, exec, s[2:3]
	s_cbranch_execz .LBB57_260
; %bb.255:
	v_cmp_ngt_f64_e64 s[2:3], |v[112:113]|, |v[114:115]|
                                        ; implicit-def: $vgpr228_vgpr229
	s_mov_b64 s[10:11], exec
	s_and_b64 s[12:13], s[10:11], s[2:3]
	s_xor_b64 s[2:3], s[12:13], s[10:11]
                                        ; implicit-def: $vgpr230_vgpr231
	scratch_store_dwordx4 off, v[52:55], off offset:184 ; 16-byte Folded Spill
	s_mov_b64 exec, s[12:13]
	s_cbranch_execz .LBB57_257
; %bb.256:
	v_mov_b64_e32 v[52:53], v[56:57]
	v_mov_b64_e32 v[54:55], v[58:59]
	;; [unrolled: 1-line block ×67, first 2 shown]
	v_div_scale_f64 v[228:229], s[10:11], v[114:115], v[114:115], v[112:113]
	v_mov_b64_e32 v[140:141], v[136:137]
	v_mov_b64_e32 v[138:139], v[134:135]
	v_rcp_f64_e32 v[230:231], v[228:229]
	v_mov_b64_e32 v[136:137], v[132:133]
	v_mov_b64_e32 v[134:135], v[130:131]
	;; [unrolled: 1-line block ×10, first 2 shown]
	v_fma_f64 v[236:237], -v[228:229], v[230:231], 1.0
	v_fmac_f64_e32 v[230:231], v[230:231], v[236:237]
	v_fma_f64 v[236:237], -v[228:229], v[230:231], 1.0
	v_div_scale_f64 v[234:235], vcc, v[112:113], v[114:115], v[112:113]
	v_fmac_f64_e32 v[230:231], v[230:231], v[236:237]
	v_mul_f64 v[236:237], v[234:235], v[230:231]
	v_fma_f64 v[228:229], -v[228:229], v[236:237], v[234:235]
	s_nop 0
	v_div_fmas_f64 v[228:229], v[228:229], v[230:231], v[236:237]
	v_div_fixup_f64 v[228:229], v[228:229], v[114:115], v[112:113]
	v_fma_f64 v[230:231], v[112:113], v[228:229], v[114:115]
	v_div_scale_f64 v[234:235], s[10:11], v[230:231], v[230:231], 1.0
	v_rcp_f64_e32 v[236:237], v[234:235]
	v_mov_b64_e32 v[116:117], v[232:233]
	v_mov_b64_e32 v[232:233], v[248:249]
	v_mov_b64_e32 v[248:249], v[246:247]
	v_fma_f64 v[254:255], -v[234:235], v[236:237], 1.0
	v_fmac_f64_e32 v[236:237], v[236:237], v[254:255]
	v_fma_f64 v[254:255], -v[234:235], v[236:237], 1.0
	v_fmac_f64_e32 v[236:237], v[236:237], v[254:255]
	v_div_scale_f64 v[254:255], vcc, 1.0, v[230:231], 1.0
	v_mul_f64 v[238:239], v[254:255], v[236:237]
	v_fma_f64 v[234:235], -v[234:235], v[238:239], v[254:255]
	v_mov_b64_e32 v[246:247], v[248:249]
	s_nop 0
	v_div_fmas_f64 v[234:235], v[234:235], v[236:237], v[238:239]
	v_mov_b64_e32 v[236:237], v[118:119]
	v_mov_b64_e32 v[248:249], v[232:233]
	;; [unrolled: 1-line block ×81, first 2 shown]
	scratch_load_dwordx4 v[52:55], off, off offset:184 ; 16-byte Folded Reload
	v_div_fixup_f64 v[230:231], v[234:235], v[230:231], 1.0
	v_mul_f64 v[228:229], v[228:229], v[230:231]
	v_xor_b32_e32 v231, 0x80000000, v231
.LBB57_257:
	s_andn2_saveexec_b64 s[2:3], s[2:3]
	s_cbranch_execz .LBB57_259
; %bb.258:
	s_waitcnt vmcnt(0)
	v_mov_b64_e32 v[52:53], v[56:57]
	v_mov_b64_e32 v[54:55], v[58:59]
	;; [unrolled: 1-line block ×67, first 2 shown]
	v_div_scale_f64 v[228:229], s[10:11], v[112:113], v[112:113], v[114:115]
	v_mov_b64_e32 v[140:141], v[136:137]
	v_mov_b64_e32 v[138:139], v[134:135]
	v_rcp_f64_e32 v[230:231], v[228:229]
	v_mov_b64_e32 v[136:137], v[132:133]
	v_mov_b64_e32 v[134:135], v[130:131]
	;; [unrolled: 1-line block ×10, first 2 shown]
	v_fma_f64 v[236:237], -v[228:229], v[230:231], 1.0
	v_fmac_f64_e32 v[230:231], v[230:231], v[236:237]
	v_fma_f64 v[236:237], -v[228:229], v[230:231], 1.0
	v_div_scale_f64 v[234:235], vcc, v[114:115], v[112:113], v[114:115]
	v_fmac_f64_e32 v[230:231], v[230:231], v[236:237]
	v_mul_f64 v[236:237], v[234:235], v[230:231]
	v_fma_f64 v[228:229], -v[228:229], v[236:237], v[234:235]
	s_nop 0
	v_div_fmas_f64 v[228:229], v[228:229], v[230:231], v[236:237]
	v_div_fixup_f64 v[230:231], v[228:229], v[112:113], v[114:115]
	v_fma_f64 v[228:229], v[114:115], v[230:231], v[112:113]
	v_div_scale_f64 v[234:235], s[10:11], v[228:229], v[228:229], 1.0
	v_rcp_f64_e32 v[236:237], v[234:235]
	v_mov_b64_e32 v[116:117], v[232:233]
	v_mov_b64_e32 v[232:233], v[248:249]
	;; [unrolled: 1-line block ×3, first 2 shown]
	v_fma_f64 v[238:239], -v[234:235], v[236:237], 1.0
	v_fmac_f64_e32 v[236:237], v[236:237], v[238:239]
	v_fma_f64 v[238:239], -v[234:235], v[236:237], 1.0
	v_fmac_f64_e32 v[236:237], v[236:237], v[238:239]
	v_div_scale_f64 v[238:239], vcc, 1.0, v[228:229], 1.0
	v_mul_f64 v[254:255], v[238:239], v[236:237]
	v_fma_f64 v[234:235], -v[234:235], v[254:255], v[238:239]
	v_mov_b64_e32 v[246:247], v[248:249]
	v_mov_b64_e32 v[248:249], v[232:233]
	;; [unrolled: 1-line block ×3, first 2 shown]
	v_div_fmas_f64 v[234:235], v[234:235], v[236:237], v[254:255]
	v_mov_b64_e32 v[236:237], v[118:119]
	v_mov_b64_e32 v[116:117], v[120:121]
	;; [unrolled: 1-line block ×79, first 2 shown]
	scratch_load_dwordx4 v[52:55], off, off offset:184 ; 16-byte Folded Reload
	v_div_fixup_f64 v[228:229], v[234:235], v[228:229], 1.0
	v_mul_f64 v[230:231], v[230:231], -v[228:229]
.LBB57_259:
	s_or_b64 exec, exec, s[2:3]
	ds_write2_b64 v251, v[228:229], v[230:231] offset1:1
.LBB57_260:
	s_or_b64 exec, exec, s[4:5]
	s_waitcnt lgkmcnt(0)
	s_barrier
	ds_read2_b64 v[228:231], v251 offset1:1
	s_waitcnt lgkmcnt(0)
	s_barrier
	s_and_saveexec_b64 s[2:3], s[0:1]
	s_cbranch_execz .LBB57_263
; %bb.261:
	v_cmp_eq_f64_e32 vcc, 0, v[116:117]
	v_cmp_eq_f64_e64 s[0:1], 0, v[118:119]
	s_and_b64 s[4:5], vcc, s[0:1]
	v_cmp_neq_f64_e32 vcc, 0, v[120:121]
	v_cmp_neq_f64_e64 s[0:1], 0, v[122:123]
	s_or_b64 s[0:1], vcc, s[0:1]
	v_cndmask_b32_e64 v116, 0, 1, s[4:5]
	s_or_b64 vcc, s[0:1], s[4:5]
	v_cndmask_b32_e32 v116, 2, v116, vcc
	v_cmp_eq_f64_e32 vcc, 0, v[124:125]
	v_cmp_eq_f64_e64 s[0:1], 0, v[126:127]
	s_and_b64 s[0:1], vcc, s[0:1]
	v_cmp_eq_u32_e32 vcc, 0, v116
	s_and_b64 s[0:1], s[0:1], vcc
	v_cndmask_b32_e64 v116, v116, 3, s[0:1]
	v_cmp_eq_f64_e32 vcc, 0, v[128:129]
	v_cmp_eq_f64_e64 s[0:1], 0, v[130:131]
	s_and_b64 s[0:1], vcc, s[0:1]
	v_cmp_eq_u32_e32 vcc, 0, v116
	s_and_b64 s[0:1], s[0:1], vcc
	v_cndmask_b32_e64 v116, v116, 4, s[0:1]
	;; [unrolled: 6-line block ×13, first 2 shown]
	v_mov_b32_e32 v116, s6
	v_mov_b32_e32 v117, s7
	v_lshl_add_u64 v[116:117], v[252:253], 2, v[116:117]
	global_load_dword v119, v[116:117], off
	v_cmp_eq_f64_e32 vcc, 0, v[176:177]
	v_cmp_eq_f64_e64 s[0:1], 0, v[178:179]
	s_and_b64 s[0:1], vcc, s[0:1]
	v_cmp_eq_u32_e32 vcc, 0, v118
	s_and_b64 s[0:1], s[0:1], vcc
	v_cndmask_b32_e64 v118, v118, 16, s[0:1]
	v_cmp_eq_f64_e32 vcc, 0, v[180:181]
	v_cmp_eq_f64_e64 s[0:1], 0, v[182:183]
	s_and_b64 s[0:1], vcc, s[0:1]
	v_cmp_eq_u32_e32 vcc, 0, v118
	s_and_b64 s[0:1], s[0:1], vcc
	v_cndmask_b32_e64 v118, v118, 17, s[0:1]
	;; [unrolled: 6-line block ×14, first 2 shown]
	s_waitcnt vmcnt(0)
	v_cmp_eq_u32_e32 vcc, 0, v119
	v_cmp_ne_u32_e64 s[0:1], 0, v118
	s_and_b64 s[0:1], vcc, s[0:1]
	s_and_b64 exec, exec, s[0:1]
	s_cbranch_execz .LBB57_263
; %bb.262:
	v_add_u32_e32 v118, s9, v118
	global_store_dword v[116:117], v118, off
.LBB57_263:
	s_or_b64 exec, exec, s[2:3]
	s_waitcnt vmcnt(48)
	global_store_dwordx4 v[232:233], v[108:111], off
	scratch_load_dwordx2 v[108:109], off, off offset:160 ; 8-byte Folded Reload
	s_waitcnt vmcnt(8)
	v_mul_f64 v[116:117], v[230:231], v[114:115]
	v_mul_f64 v[118:119], v[228:229], v[114:115]
	v_fma_f64 v[116:117], v[228:229], v[112:113], -v[116:117]
	v_fmac_f64_e32 v[118:119], v[230:231], v[112:113]
	v_cmp_lt_u32_e32 vcc, 28, v250
	s_waitcnt vmcnt(0)
	global_store_dwordx4 v[108:109], v[104:107], off
	scratch_load_dwordx2 v[104:105], off, off offset:176 ; 8-byte Folded Reload
	v_cndmask_b32_e32 v115, v115, v119, vcc
	v_cndmask_b32_e32 v114, v114, v118, vcc
	;; [unrolled: 1-line block ×4, first 2 shown]
	s_waitcnt vmcnt(0)
	global_store_dwordx4 v[104:105], v[100:103], off
	scratch_load_dwordx2 v[100:101], off, off offset:168 ; 8-byte Folded Reload
	s_waitcnt vmcnt(0)
	global_store_dwordx4 v[100:101], v[96:99], off
	global_store_dwordx4 v[242:243], v[92:95], off
	;; [unrolled: 1-line block ×6, first 2 shown]
	scratch_load_dwordx2 v[76:77], off, off ; 8-byte Folded Reload
	s_waitcnt vmcnt(0)
	global_store_dwordx4 v[76:77], v[72:75], off
	scratch_load_dwordx2 v[72:73], off, off offset:8 ; 8-byte Folded Reload
	s_waitcnt vmcnt(0)
	global_store_dwordx4 v[72:73], v[68:71], off
	scratch_load_dwordx2 v[68:69], off, off offset:16 ; 8-byte Folded Reload
	;; [unrolled: 3-line block ×19, first 2 shown]
	s_waitcnt vmcnt(0)
	global_store_dwordx4 v[0:1], v[112:115], off
.LBB57_264:
	s_endpgm
	.section	.rodata,"a",@progbits
	.p2align	6, 0x0
	.amdhsa_kernel _ZN9rocsolver6v33100L23getf2_npvt_small_kernelILi29E19rocblas_complex_numIdEiiPS3_EEvT1_T3_lS5_lPT2_S5_S5_
		.amdhsa_group_segment_fixed_size 0
		.amdhsa_private_segment_fixed_size 204
		.amdhsa_kernarg_size 312
		.amdhsa_user_sgpr_count 2
		.amdhsa_user_sgpr_dispatch_ptr 0
		.amdhsa_user_sgpr_queue_ptr 0
		.amdhsa_user_sgpr_kernarg_segment_ptr 1
		.amdhsa_user_sgpr_dispatch_id 0
		.amdhsa_user_sgpr_kernarg_preload_length 0
		.amdhsa_user_sgpr_kernarg_preload_offset 0
		.amdhsa_user_sgpr_private_segment_size 0
		.amdhsa_uses_dynamic_stack 0
		.amdhsa_enable_private_segment 1
		.amdhsa_system_sgpr_workgroup_id_x 1
		.amdhsa_system_sgpr_workgroup_id_y 1
		.amdhsa_system_sgpr_workgroup_id_z 0
		.amdhsa_system_sgpr_workgroup_info 0
		.amdhsa_system_vgpr_workitem_id 1
		.amdhsa_next_free_vgpr 256
		.amdhsa_next_free_sgpr 16
		.amdhsa_accum_offset 256
		.amdhsa_reserve_vcc 1
		.amdhsa_float_round_mode_32 0
		.amdhsa_float_round_mode_16_64 0
		.amdhsa_float_denorm_mode_32 3
		.amdhsa_float_denorm_mode_16_64 3
		.amdhsa_dx10_clamp 1
		.amdhsa_ieee_mode 1
		.amdhsa_fp16_overflow 0
		.amdhsa_tg_split 0
		.amdhsa_exception_fp_ieee_invalid_op 0
		.amdhsa_exception_fp_denorm_src 0
		.amdhsa_exception_fp_ieee_div_zero 0
		.amdhsa_exception_fp_ieee_overflow 0
		.amdhsa_exception_fp_ieee_underflow 0
		.amdhsa_exception_fp_ieee_inexact 0
		.amdhsa_exception_int_div_zero 0
	.end_amdhsa_kernel
	.section	.text._ZN9rocsolver6v33100L23getf2_npvt_small_kernelILi29E19rocblas_complex_numIdEiiPS3_EEvT1_T3_lS5_lPT2_S5_S5_,"axG",@progbits,_ZN9rocsolver6v33100L23getf2_npvt_small_kernelILi29E19rocblas_complex_numIdEiiPS3_EEvT1_T3_lS5_lPT2_S5_S5_,comdat
.Lfunc_end57:
	.size	_ZN9rocsolver6v33100L23getf2_npvt_small_kernelILi29E19rocblas_complex_numIdEiiPS3_EEvT1_T3_lS5_lPT2_S5_S5_, .Lfunc_end57-_ZN9rocsolver6v33100L23getf2_npvt_small_kernelILi29E19rocblas_complex_numIdEiiPS3_EEvT1_T3_lS5_lPT2_S5_S5_
                                        ; -- End function
	.set _ZN9rocsolver6v33100L23getf2_npvt_small_kernelILi29E19rocblas_complex_numIdEiiPS3_EEvT1_T3_lS5_lPT2_S5_S5_.num_vgpr, 256
	.set _ZN9rocsolver6v33100L23getf2_npvt_small_kernelILi29E19rocblas_complex_numIdEiiPS3_EEvT1_T3_lS5_lPT2_S5_S5_.num_agpr, 0
	.set _ZN9rocsolver6v33100L23getf2_npvt_small_kernelILi29E19rocblas_complex_numIdEiiPS3_EEvT1_T3_lS5_lPT2_S5_S5_.numbered_sgpr, 16
	.set _ZN9rocsolver6v33100L23getf2_npvt_small_kernelILi29E19rocblas_complex_numIdEiiPS3_EEvT1_T3_lS5_lPT2_S5_S5_.num_named_barrier, 0
	.set _ZN9rocsolver6v33100L23getf2_npvt_small_kernelILi29E19rocblas_complex_numIdEiiPS3_EEvT1_T3_lS5_lPT2_S5_S5_.private_seg_size, 204
	.set _ZN9rocsolver6v33100L23getf2_npvt_small_kernelILi29E19rocblas_complex_numIdEiiPS3_EEvT1_T3_lS5_lPT2_S5_S5_.uses_vcc, 1
	.set _ZN9rocsolver6v33100L23getf2_npvt_small_kernelILi29E19rocblas_complex_numIdEiiPS3_EEvT1_T3_lS5_lPT2_S5_S5_.uses_flat_scratch, 0
	.set _ZN9rocsolver6v33100L23getf2_npvt_small_kernelILi29E19rocblas_complex_numIdEiiPS3_EEvT1_T3_lS5_lPT2_S5_S5_.has_dyn_sized_stack, 0
	.set _ZN9rocsolver6v33100L23getf2_npvt_small_kernelILi29E19rocblas_complex_numIdEiiPS3_EEvT1_T3_lS5_lPT2_S5_S5_.has_recursion, 0
	.set _ZN9rocsolver6v33100L23getf2_npvt_small_kernelILi29E19rocblas_complex_numIdEiiPS3_EEvT1_T3_lS5_lPT2_S5_S5_.has_indirect_call, 0
	.section	.AMDGPU.csdata,"",@progbits
; Kernel info:
; codeLenInByte = 49656
; TotalNumSgprs: 22
; NumVgprs: 256
; NumAgprs: 0
; TotalNumVgprs: 256
; ScratchSize: 204
; MemoryBound: 1
; FloatMode: 240
; IeeeMode: 1
; LDSByteSize: 0 bytes/workgroup (compile time only)
; SGPRBlocks: 2
; VGPRBlocks: 31
; NumSGPRsForWavesPerEU: 22
; NumVGPRsForWavesPerEU: 256
; AccumOffset: 256
; Occupancy: 2
; WaveLimiterHint : 0
; COMPUTE_PGM_RSRC2:SCRATCH_EN: 1
; COMPUTE_PGM_RSRC2:USER_SGPR: 2
; COMPUTE_PGM_RSRC2:TRAP_HANDLER: 0
; COMPUTE_PGM_RSRC2:TGID_X_EN: 1
; COMPUTE_PGM_RSRC2:TGID_Y_EN: 1
; COMPUTE_PGM_RSRC2:TGID_Z_EN: 0
; COMPUTE_PGM_RSRC2:TIDIG_COMP_CNT: 1
; COMPUTE_PGM_RSRC3_GFX90A:ACCUM_OFFSET: 63
; COMPUTE_PGM_RSRC3_GFX90A:TG_SPLIT: 0
	.section	.text._ZN9rocsolver6v33100L18getf2_small_kernelILi30E19rocblas_complex_numIdEiiPS3_EEvT1_T3_lS5_lPS5_llPT2_S5_S5_S7_l,"axG",@progbits,_ZN9rocsolver6v33100L18getf2_small_kernelILi30E19rocblas_complex_numIdEiiPS3_EEvT1_T3_lS5_lPS5_llPT2_S5_S5_S7_l,comdat
	.globl	_ZN9rocsolver6v33100L18getf2_small_kernelILi30E19rocblas_complex_numIdEiiPS3_EEvT1_T3_lS5_lPS5_llPT2_S5_S5_S7_l ; -- Begin function _ZN9rocsolver6v33100L18getf2_small_kernelILi30E19rocblas_complex_numIdEiiPS3_EEvT1_T3_lS5_lPS5_llPT2_S5_S5_S7_l
	.p2align	8
	.type	_ZN9rocsolver6v33100L18getf2_small_kernelILi30E19rocblas_complex_numIdEiiPS3_EEvT1_T3_lS5_lPS5_llPT2_S5_S5_S7_l,@function
_ZN9rocsolver6v33100L18getf2_small_kernelILi30E19rocblas_complex_numIdEiiPS3_EEvT1_T3_lS5_lPS5_llPT2_S5_S5_S7_l: ; @_ZN9rocsolver6v33100L18getf2_small_kernelILi30E19rocblas_complex_numIdEiiPS3_EEvT1_T3_lS5_lPS5_llPT2_S5_S5_S7_l
; %bb.0:
	s_load_dword s2, s[0:1], 0x6c
	s_load_dwordx2 s[12:13], s[0:1], 0x48
	v_bfe_u32 v120, v0, 10, 10
	s_waitcnt lgkmcnt(0)
	s_lshr_b32 s2, s2, 16
	s_mul_i32 s3, s3, s2
	v_add_u32_e32 v126, s3, v120
	v_cmp_gt_i32_e32 vcc, s12, v126
	s_and_saveexec_b64 s[2:3], vcc
	s_cbranch_execz .LBB58_631
; %bb.1:
	s_load_dwordx4 s[4:7], s[0:1], 0x50
	v_ashrrev_i32_e32 v127, 31, v126
	v_mov_b64_e32 v[128:129], 0
	s_waitcnt lgkmcnt(0)
	s_cmp_eq_u64 s[4:5], 0
	s_cselect_b64 s[14:15], -1, 0
	s_and_b64 vcc, exec, s[14:15]
	s_cbranch_vccnz .LBB58_3
; %bb.2:
	v_mul_lo_u32 v1, s7, v126
	v_mul_lo_u32 v4, s6, v127
	v_mad_u64_u32 v[2:3], s[2:3], s6, v126, 0
	v_add3_u32 v3, v3, v4, v1
	v_lshl_add_u64 v[128:129], v[2:3], 2, s[4:5]
.LBB58_3:
	s_load_dwordx4 s[16:19], s[0:1], 0x8
	s_load_dwordx8 s[4:11], s[0:1], 0x20
	s_load_dword s2, s[0:1], 0x18
	s_load_dword s20, s[0:1], 0x0
	v_and_b32_e32 v135, 0x3ff, v0
	s_waitcnt lgkmcnt(0)
	v_mov_b32_e32 v2, s16
	v_mul_lo_u32 v1, s5, v126
	v_mul_lo_u32 v6, s4, v127
	v_mad_u64_u32 v[4:5], s[4:5], s4, v126, 0
	v_mov_b32_e32 v3, s17
	v_add3_u32 v5, v5, v6, v1
	v_lshl_add_u64 v[2:3], v[4:5], 4, v[2:3]
	s_add_i32 s12, s2, s2
	v_lshl_add_u64 v[124:125], s[18:19], 4, v[2:3]
	v_add_u32_e32 v2, s12, v135
	v_add_u32_e32 v4, s2, v2
	;; [unrolled: 1-line block ×3, first 2 shown]
	v_lshlrev_b32_e32 v130, 4, v135
	v_mov_b32_e32 v131, 0
	v_add_u32_e32 v8, s2, v6
	v_lshl_add_u64 v[0:1], v[124:125], 0, v[130:131]
	s_ashr_i32 s3, s2, 31
	v_ashrrev_i32_e32 v9, 31, v8
	v_add_u32_e32 v12, s2, v8
	v_lshl_add_u64 v[10:11], s[2:3], 4, v[0:1]
	global_load_dwordx4 v[84:87], v[0:1], off
	global_load_dwordx4 v[76:79], v[10:11], off
	v_lshl_add_u64 v[0:1], v[8:9], 4, v[124:125]
	v_ashrrev_i32_e32 v13, 31, v12
	v_add_u32_e32 v8, s2, v12
	v_lshl_add_u64 v[10:11], v[12:13], 4, v[124:125]
	v_add_u32_e32 v12, s2, v8
	v_add_u32_e32 v14, s2, v12
	;; [unrolled: 1-line block ×9, first 2 shown]
	v_ashrrev_i32_e32 v29, 31, v28
	v_add_u32_e32 v30, s2, v28
	v_lshl_add_u64 v[116:117], v[28:29], 4, v[124:125]
	v_ashrrev_i32_e32 v31, 31, v30
	v_add_u32_e32 v28, s2, v30
	v_lshl_add_u64 v[118:119], v[30:31], 4, v[124:125]
	;; [unrolled: 3-line block ×5, first 2 shown]
	v_add_u32_e32 v28, s2, v30
	v_ashrrev_i32_e32 v29, 31, v28
	v_lshl_add_u64 v[140:141], v[28:29], 4, v[124:125]
	v_add_u32_e32 v28, s2, v28
	v_ashrrev_i32_e32 v29, 31, v28
	v_lshl_add_u64 v[142:143], v[28:29], 4, v[124:125]
	;; [unrolled: 3-line block ×6, first 2 shown]
	v_add_u32_e32 v28, s2, v28
	v_ashrrev_i32_e32 v29, 31, v28
	v_ashrrev_i32_e32 v3, 31, v2
	v_ashrrev_i32_e32 v5, 31, v4
	v_ashrrev_i32_e32 v7, 31, v6
	v_ashrrev_i32_e32 v9, 31, v8
	v_ashrrev_i32_e32 v13, 31, v12
	v_ashrrev_i32_e32 v15, 31, v14
	v_ashrrev_i32_e32 v17, 31, v16
	v_ashrrev_i32_e32 v19, 31, v18
	v_ashrrev_i32_e32 v21, 31, v20
	v_ashrrev_i32_e32 v23, 31, v22
	v_ashrrev_i32_e32 v25, 31, v24
	v_ashrrev_i32_e32 v27, 31, v26
	v_lshl_add_u64 v[152:153], v[28:29], 4, v[124:125]
	v_add_u32_e32 v28, s2, v28
	v_lshl_add_u64 v[2:3], v[2:3], 4, v[124:125]
	v_lshl_add_u64 v[4:5], v[4:5], 4, v[124:125]
	;; [unrolled: 1-line block ×12, first 2 shown]
	v_ashrrev_i32_e32 v31, 31, v30
	v_ashrrev_i32_e32 v29, 31, v28
	v_lshl_add_u64 v[138:139], v[30:31], 4, v[124:125]
	v_lshl_add_u64 v[154:155], v[28:29], 4, v[124:125]
	global_load_dwordx4 v[112:115], v[2:3], off
	global_load_dwordx4 v[108:111], v[4:5], off
	;; [unrolled: 1-line block ×13, first 2 shown]
                                        ; kill: killed $vgpr18_vgpr19
                                        ; kill: killed $vgpr2_vgpr3
                                        ; kill: killed $vgpr20_vgpr21
                                        ; kill: killed $vgpr4_vgpr5
                                        ; kill: killed $vgpr22_vgpr23
                                        ; kill: killed $vgpr6_vgpr7
                                        ; kill: killed $vgpr24_vgpr25
                                        ; kill: killed $vgpr0_vgpr1
                                        ; kill: killed $vgpr10_vgpr11
                                        ; kill: killed $vgpr8_vgpr9
                                        ; kill: killed $vgpr12_vgpr13
                                        ; kill: killed $vgpr14_vgpr15
                                        ; kill: killed $vgpr16_vgpr17
	global_load_dwordx4 v[56:59], v[26:27], off
	global_load_dwordx4 v[48:51], v[116:117], off
	;; [unrolled: 1-line block ×7, first 2 shown]
                                        ; kill: killed $vgpr136_vgpr137
                                        ; kill: killed $vgpr138_vgpr139
                                        ; kill: killed $vgpr26_vgpr27
                                        ; kill: killed $vgpr116_vgpr117
                                        ; kill: killed $vgpr118_vgpr119
                                        ; kill: killed $vgpr122_vgpr123
                                        ; kill: killed $vgpr132_vgpr133
	global_load_dwordx4 v[24:27], v[140:141], off
	global_load_dwordx4 v[20:23], v[142:143], off
	;; [unrolled: 1-line block ×3, first 2 shown]
                                        ; kill: killed $vgpr140_vgpr141
                                        ; kill: killed $vgpr142_vgpr143
                                        ; kill: killed $vgpr144_vgpr145
	global_load_dwordx4 v[12:15], v[146:147], off
	global_load_dwordx4 v[8:11], v[148:149], off
                                        ; kill: killed $vgpr146_vgpr147
                                        ; kill: killed $vgpr148_vgpr149
	global_load_dwordx4 v[4:7], v[150:151], off
	global_load_dwordx4 v[0:3], v[152:153], off
	;; [unrolled: 1-line block ×3, first 2 shown]
	s_load_dwordx2 s[4:5], s[0:1], 0x40
	s_max_i32 s0, s20, 30
	v_mul_lo_u32 v133, s0, v120
	v_lshl_add_u32 v132, v133, 4, 0
	v_add_u32_e32 v120, v132, v130
	s_waitcnt vmcnt(29)
	ds_write2_b64 v120, v[84:85], v[86:87] offset1:1
	s_waitcnt lgkmcnt(0)
	s_barrier
	ds_read2_b64 v[120:123], v132 offset1:1
	s_cmp_lt_i32 s20, 2
	v_lshlrev_b32_e32 v136, 4, v133
	s_cbranch_scc1 .LBB58_6
; %bb.4:
	v_add3_u32 v130, v136, 0, 16
	s_mov_b32 s16, 1
	v_mov_b32_e32 v131, 0
.LBB58_5:                               ; =>This Inner Loop Header: Depth=1
	ds_read2_b64 v[138:141], v130 offset1:1
	s_waitcnt lgkmcnt(1)
	v_xor_b32_e32 v133, 0x80000000, v121
	v_xor_b32_e32 v134, 0x80000000, v123
	v_cmp_gt_f64_e32 vcc, 0, v[122:123]
	v_cmp_gt_f64_e64 s[0:1], 0, v[120:121]
	v_mov_b32_e32 v142, v120
	v_mov_b32_e32 v144, v122
	v_cndmask_b32_e64 v143, v121, v133, s[0:1]
	v_cndmask_b32_e32 v145, v123, v134, vcc
	s_waitcnt lgkmcnt(0)
	v_xor_b32_e32 v133, 0x80000000, v139
	v_xor_b32_e32 v134, 0x80000000, v141
	v_cmp_gt_f64_e32 vcc, 0, v[140:141]
	v_cmp_gt_f64_e64 s[0:1], 0, v[138:139]
	v_add_f64 v[142:143], v[142:143], v[144:145]
	v_mov_b32_e32 v144, v138
	v_mov_b32_e32 v146, v140
	v_cndmask_b32_e64 v145, v139, v133, s[0:1]
	v_cndmask_b32_e32 v147, v141, v134, vcc
	v_add_f64 v[144:145], v[144:145], v[146:147]
	v_mov_b32_e32 v137, s16
	s_add_i32 s16, s16, 1
	v_cmp_lt_f64_e32 vcc, v[142:143], v[144:145]
	v_add_u32_e32 v130, 16, v130
	s_cmp_eq_u32 s20, s16
	v_cndmask_b32_e32 v121, v121, v139, vcc
	v_cndmask_b32_e32 v120, v120, v138, vcc
	;; [unrolled: 1-line block ×5, first 2 shown]
	s_cbranch_scc0 .LBB58_5
.LBB58_6:
	s_waitcnt lgkmcnt(0)
	v_cmp_neq_f64_e32 vcc, 0, v[120:121]
	v_cmp_neq_f64_e64 s[0:1], 0, v[122:123]
	s_or_b64 s[16:17], vcc, s[0:1]
	v_mov_b32_e32 v134, 1
	v_mov_b32_e32 v137, 1
	s_and_saveexec_b64 s[0:1], s[16:17]
	s_cbranch_execz .LBB58_12
; %bb.7:
	v_cmp_ngt_f64_e64 s[16:17], |v[120:121]|, |v[122:123]|
	s_and_saveexec_b64 s[18:19], s[16:17]
	s_xor_b64 s[16:17], exec, s[18:19]
	s_cbranch_execz .LBB58_9
; %bb.8:
	v_div_scale_f64 v[138:139], s[18:19], v[122:123], v[122:123], v[120:121]
	v_rcp_f64_e32 v[140:141], v[138:139]
	v_div_scale_f64 v[142:143], vcc, v[120:121], v[122:123], v[120:121]
	v_fma_f64 v[144:145], -v[138:139], v[140:141], 1.0
	v_fmac_f64_e32 v[140:141], v[140:141], v[144:145]
	v_fma_f64 v[144:145], -v[138:139], v[140:141], 1.0
	v_fmac_f64_e32 v[140:141], v[140:141], v[144:145]
	v_mul_f64 v[144:145], v[142:143], v[140:141]
	v_fma_f64 v[138:139], -v[138:139], v[144:145], v[142:143]
	v_div_fmas_f64 v[138:139], v[138:139], v[140:141], v[144:145]
	v_div_fixup_f64 v[138:139], v[138:139], v[122:123], v[120:121]
	v_fmac_f64_e32 v[122:123], v[120:121], v[138:139]
	v_div_scale_f64 v[120:121], s[18:19], v[122:123], v[122:123], 1.0
	v_rcp_f64_e32 v[140:141], v[120:121]
	s_nop 0
	v_fma_f64 v[142:143], -v[120:121], v[140:141], 1.0
	v_fmac_f64_e32 v[140:141], v[140:141], v[142:143]
	v_fma_f64 v[142:143], -v[120:121], v[140:141], 1.0
	v_fmac_f64_e32 v[140:141], v[140:141], v[142:143]
	v_div_scale_f64 v[142:143], vcc, 1.0, v[122:123], 1.0
	v_mul_f64 v[144:145], v[142:143], v[140:141]
	v_fma_f64 v[120:121], -v[120:121], v[144:145], v[142:143]
	s_nop 1
	v_div_fmas_f64 v[120:121], v[120:121], v[140:141], v[144:145]
	v_div_fixup_f64 v[122:123], v[120:121], v[122:123], 1.0
	v_mul_f64 v[120:121], v[138:139], v[122:123]
	v_xor_b32_e32 v123, 0x80000000, v123
.LBB58_9:
	s_andn2_saveexec_b64 s[16:17], s[16:17]
	s_cbranch_execz .LBB58_11
; %bb.10:
	v_div_scale_f64 v[138:139], s[18:19], v[120:121], v[120:121], v[122:123]
	v_rcp_f64_e32 v[140:141], v[138:139]
	v_div_scale_f64 v[142:143], vcc, v[122:123], v[120:121], v[122:123]
	v_fma_f64 v[144:145], -v[138:139], v[140:141], 1.0
	v_fmac_f64_e32 v[140:141], v[140:141], v[144:145]
	v_fma_f64 v[144:145], -v[138:139], v[140:141], 1.0
	v_fmac_f64_e32 v[140:141], v[140:141], v[144:145]
	v_mul_f64 v[144:145], v[142:143], v[140:141]
	v_fma_f64 v[138:139], -v[138:139], v[144:145], v[142:143]
	v_div_fmas_f64 v[138:139], v[138:139], v[140:141], v[144:145]
	v_div_fixup_f64 v[138:139], v[138:139], v[120:121], v[122:123]
	v_fmac_f64_e32 v[120:121], v[122:123], v[138:139]
	v_div_scale_f64 v[122:123], s[18:19], v[120:121], v[120:121], 1.0
	v_rcp_f64_e32 v[140:141], v[122:123]
	s_nop 0
	v_fma_f64 v[142:143], -v[122:123], v[140:141], 1.0
	v_fmac_f64_e32 v[140:141], v[140:141], v[142:143]
	v_fma_f64 v[142:143], -v[122:123], v[140:141], 1.0
	v_fmac_f64_e32 v[140:141], v[140:141], v[142:143]
	v_div_scale_f64 v[142:143], vcc, 1.0, v[120:121], 1.0
	v_mul_f64 v[144:145], v[142:143], v[140:141]
	v_fma_f64 v[122:123], -v[122:123], v[144:145], v[142:143]
	s_nop 1
	v_div_fmas_f64 v[122:123], v[122:123], v[140:141], v[144:145]
	v_div_fixup_f64 v[120:121], v[122:123], v[120:121], 1.0
	v_mul_f64 v[122:123], v[138:139], -v[120:121]
.LBB58_11:
	s_or_b64 exec, exec, s[16:17]
	v_mov_b32_e32 v137, 0
	v_mov_b32_e32 v134, 2
.LBB58_12:
	s_or_b64 exec, exec, s[0:1]
	v_cmp_ne_u32_e32 vcc, v135, v131
	s_and_saveexec_b64 s[0:1], vcc
	s_xor_b64 s[0:1], exec, s[0:1]
	s_cbranch_execz .LBB58_18
; %bb.13:
	v_cmp_eq_u32_e32 vcc, 0, v135
	s_and_saveexec_b64 s[16:17], vcc
	s_cbranch_execz .LBB58_17
; %bb.14:
	v_cmp_ne_u32_e32 vcc, 0, v131
	s_xor_b64 s[18:19], s[14:15], -1
	s_and_b64 s[22:23], s[18:19], vcc
	s_and_saveexec_b64 s[18:19], s[22:23]
	s_cbranch_execz .LBB58_16
; %bb.15:
	v_ashrrev_i32_e32 v139, 31, v131
	v_mov_b32_e32 v138, v131
	v_lshl_add_u64 v[138:139], v[138:139], 2, v[128:129]
	global_load_dword v130, v[138:139], off
	global_load_dword v133, v[128:129], off
	s_waitcnt vmcnt(1)
	global_store_dword v[128:129], v130, off
	s_waitcnt vmcnt(1)
	global_store_dword v[138:139], v133, off
.LBB58_16:
	s_or_b64 exec, exec, s[18:19]
	v_mov_b32_e32 v135, v131
.LBB58_17:
	s_or_b64 exec, exec, s[16:17]
.LBB58_18:
	s_or_saveexec_b64 s[0:1], s[0:1]
	v_mov_b32_e32 v133, v135
	s_xor_b64 exec, exec, s[0:1]
	s_cbranch_execz .LBB58_20
; %bb.19:
	v_mov_b32_e32 v133, 0
	s_waitcnt vmcnt(28)
	ds_write2_b64 v132, v[76:77], v[78:79] offset0:2 offset1:3
	s_waitcnt vmcnt(27)
	ds_write2_b64 v132, v[112:113], v[114:115] offset0:4 offset1:5
	s_waitcnt vmcnt(26)
	ds_write2_b64 v132, v[108:109], v[110:111] offset0:6 offset1:7
	s_waitcnt vmcnt(25)
	ds_write2_b64 v132, v[104:105], v[106:107] offset0:8 offset1:9
	s_waitcnt vmcnt(24)
	ds_write2_b64 v132, v[100:101], v[102:103] offset0:10 offset1:11
	s_waitcnt vmcnt(23)
	ds_write2_b64 v132, v[96:97], v[98:99] offset0:12 offset1:13
	s_waitcnt vmcnt(22)
	ds_write2_b64 v132, v[92:93], v[94:95] offset0:14 offset1:15
	s_waitcnt vmcnt(21)
	ds_write2_b64 v132, v[88:89], v[90:91] offset0:16 offset1:17
	s_waitcnt vmcnt(20)
	ds_write2_b64 v132, v[80:81], v[82:83] offset0:18 offset1:19
	s_waitcnt vmcnt(19)
	ds_write2_b64 v132, v[72:73], v[74:75] offset0:20 offset1:21
	s_waitcnt vmcnt(18)
	ds_write2_b64 v132, v[68:69], v[70:71] offset0:22 offset1:23
	s_waitcnt vmcnt(17)
	ds_write2_b64 v132, v[64:65], v[66:67] offset0:24 offset1:25
	s_waitcnt vmcnt(16)
	ds_write2_b64 v132, v[60:61], v[62:63] offset0:26 offset1:27
	s_waitcnt vmcnt(15)
	ds_write2_b64 v132, v[52:53], v[54:55] offset0:28 offset1:29
	s_waitcnt vmcnt(14)
	ds_write2_b64 v132, v[56:57], v[58:59] offset0:30 offset1:31
	s_waitcnt vmcnt(13)
	ds_write2_b64 v132, v[48:49], v[50:51] offset0:32 offset1:33
	s_waitcnt vmcnt(12)
	ds_write2_b64 v132, v[44:45], v[46:47] offset0:34 offset1:35
	s_waitcnt vmcnt(11)
	ds_write2_b64 v132, v[40:41], v[42:43] offset0:36 offset1:37
	s_waitcnt vmcnt(10)
	ds_write2_b64 v132, v[36:37], v[38:39] offset0:38 offset1:39
	s_waitcnt vmcnt(9)
	ds_write2_b64 v132, v[32:33], v[34:35] offset0:40 offset1:41
	s_waitcnt vmcnt(8)
	ds_write2_b64 v132, v[28:29], v[30:31] offset0:42 offset1:43
	s_waitcnt vmcnt(7)
	ds_write2_b64 v132, v[24:25], v[26:27] offset0:44 offset1:45
	s_waitcnt vmcnt(6)
	ds_write2_b64 v132, v[20:21], v[22:23] offset0:46 offset1:47
	s_waitcnt vmcnt(5)
	ds_write2_b64 v132, v[16:17], v[18:19] offset0:48 offset1:49
	s_waitcnt vmcnt(4)
	ds_write2_b64 v132, v[12:13], v[14:15] offset0:50 offset1:51
	s_waitcnt vmcnt(3)
	ds_write2_b64 v132, v[8:9], v[10:11] offset0:52 offset1:53
	s_waitcnt vmcnt(2)
	ds_write2_b64 v132, v[4:5], v[6:7] offset0:54 offset1:55
	s_waitcnt vmcnt(1)
	ds_write2_b64 v132, v[0:1], v[2:3] offset0:56 offset1:57
	s_waitcnt vmcnt(0)
	ds_write2_b64 v132, v[116:117], v[118:119] offset0:58 offset1:59
.LBB58_20:
	s_or_b64 exec, exec, s[0:1]
	v_cmp_lt_i32_e32 vcc, 0, v133
	s_waitcnt lgkmcnt(0)
	s_barrier
	s_and_saveexec_b64 s[0:1], vcc
	s_cbranch_execz .LBB58_22
; %bb.21:
	ds_read2_b64 v[138:141], v132 offset0:2 offset1:3
	v_mul_f64 v[130:131], v[122:123], v[86:87]
	v_mul_f64 v[86:87], v[120:121], v[86:87]
	v_fmac_f64_e32 v[86:87], v[122:123], v[84:85]
	v_fma_f64 v[130:131], v[120:121], v[84:85], -v[130:131]
	ds_read2_b64 v[120:123], v132 offset0:4 offset1:5
	s_waitcnt lgkmcnt(1)
	v_mul_f64 v[84:85], v[140:141], v[86:87]
	v_fma_f64 v[84:85], v[138:139], v[130:131], -v[84:85]
	v_mul_f64 v[138:139], v[138:139], v[86:87]
	v_fmac_f64_e32 v[138:139], v[140:141], v[130:131]
	s_waitcnt vmcnt(28)
	v_add_f64 v[78:79], v[78:79], -v[138:139]
	ds_read2_b64 v[138:141], v132 offset0:6 offset1:7
	v_add_f64 v[76:77], v[76:77], -v[84:85]
	s_waitcnt lgkmcnt(1)
	v_mul_f64 v[84:85], v[122:123], v[86:87]
	v_fma_f64 v[84:85], v[120:121], v[130:131], -v[84:85]
	v_mul_f64 v[120:121], v[120:121], v[86:87]
	v_fmac_f64_e32 v[120:121], v[122:123], v[130:131]
	s_waitcnt vmcnt(27)
	v_add_f64 v[112:113], v[112:113], -v[84:85]
	v_add_f64 v[114:115], v[114:115], -v[120:121]
	ds_read2_b64 v[120:123], v132 offset0:8 offset1:9
	s_waitcnt lgkmcnt(1)
	v_mul_f64 v[84:85], v[140:141], v[86:87]
	v_fma_f64 v[84:85], v[138:139], v[130:131], -v[84:85]
	v_mul_f64 v[138:139], v[138:139], v[86:87]
	v_fmac_f64_e32 v[138:139], v[140:141], v[130:131]
	s_waitcnt vmcnt(26)
	v_add_f64 v[110:111], v[110:111], -v[138:139]
	ds_read2_b64 v[138:141], v132 offset0:10 offset1:11
	v_add_f64 v[108:109], v[108:109], -v[84:85]
	s_waitcnt lgkmcnt(1)
	v_mul_f64 v[84:85], v[122:123], v[86:87]
	v_fma_f64 v[84:85], v[120:121], v[130:131], -v[84:85]
	v_mul_f64 v[120:121], v[120:121], v[86:87]
	v_fmac_f64_e32 v[120:121], v[122:123], v[130:131]
	s_waitcnt vmcnt(25)
	v_add_f64 v[104:105], v[104:105], -v[84:85]
	v_add_f64 v[106:107], v[106:107], -v[120:121]
	;; [unrolled: 18-line block ×14, first 2 shown]
	s_waitcnt lgkmcnt(0)
	v_mul_f64 v[84:85], v[140:141], v[86:87]
	v_mul_f64 v[120:121], v[138:139], v[86:87]
	v_fma_f64 v[84:85], v[138:139], v[130:131], -v[84:85]
	v_fmac_f64_e32 v[120:121], v[140:141], v[130:131]
	s_waitcnt vmcnt(0)
	v_add_f64 v[116:117], v[116:117], -v[84:85]
	v_add_f64 v[118:119], v[118:119], -v[120:121]
	v_mov_b64_e32 v[84:85], v[130:131]
.LBB58_22:
	s_or_b64 exec, exec, s[0:1]
	v_lshl_add_u32 v120, v133, 4, v132
	s_barrier
	s_waitcnt vmcnt(28)
	ds_write2_b64 v120, v[76:77], v[78:79] offset1:1
	s_waitcnt lgkmcnt(0)
	s_barrier
	ds_read2_b64 v[120:123], v132 offset0:2 offset1:3
	s_cmp_lt_i32 s20, 3
	v_mov_b32_e32 v130, 1
	s_cbranch_scc1 .LBB58_25
; %bb.23:
	v_add3_u32 v131, v136, 0, 32
	s_mov_b32 s16, 2
	v_mov_b32_e32 v130, 1
.LBB58_24:                              ; =>This Inner Loop Header: Depth=1
	ds_read2_b64 v[138:141], v131 offset1:1
	s_waitcnt lgkmcnt(1)
	v_xor_b32_e32 v143, 0x80000000, v121
	v_xor_b32_e32 v145, 0x80000000, v123
	v_cmp_gt_f64_e32 vcc, 0, v[122:123]
	v_cmp_gt_f64_e64 s[0:1], 0, v[120:121]
	v_mov_b32_e32 v142, v120
	v_mov_b32_e32 v144, v122
	v_cndmask_b32_e64 v143, v121, v143, s[0:1]
	v_cndmask_b32_e32 v145, v123, v145, vcc
	v_add_f64 v[142:143], v[142:143], v[144:145]
	s_waitcnt lgkmcnt(0)
	v_xor_b32_e32 v145, 0x80000000, v139
	v_xor_b32_e32 v147, 0x80000000, v141
	v_cmp_gt_f64_e32 vcc, 0, v[140:141]
	v_cmp_gt_f64_e64 s[0:1], 0, v[138:139]
	v_mov_b32_e32 v144, v138
	v_mov_b32_e32 v146, v140
	v_cndmask_b32_e64 v145, v139, v145, s[0:1]
	v_cndmask_b32_e32 v147, v141, v147, vcc
	v_add_f64 v[144:145], v[144:145], v[146:147]
	v_mov_b32_e32 v148, s16
	s_add_i32 s16, s16, 1
	v_cmp_lt_f64_e32 vcc, v[142:143], v[144:145]
	v_add_u32_e32 v131, 16, v131
	s_cmp_lg_u32 s20, s16
	v_cndmask_b32_e32 v121, v121, v139, vcc
	v_cndmask_b32_e32 v120, v120, v138, vcc
	;; [unrolled: 1-line block ×5, first 2 shown]
	s_cbranch_scc1 .LBB58_24
.LBB58_25:
	s_waitcnt lgkmcnt(0)
	v_cmp_neq_f64_e32 vcc, 0, v[120:121]
	v_cmp_neq_f64_e64 s[0:1], 0, v[122:123]
	s_or_b64 s[16:17], vcc, s[0:1]
	s_and_saveexec_b64 s[0:1], s[16:17]
	s_cbranch_execz .LBB58_31
; %bb.26:
	v_cmp_ngt_f64_e64 s[16:17], |v[120:121]|, |v[122:123]|
	s_and_saveexec_b64 s[18:19], s[16:17]
	s_xor_b64 s[16:17], exec, s[18:19]
	s_cbranch_execz .LBB58_28
; %bb.27:
	v_div_scale_f64 v[138:139], s[18:19], v[122:123], v[122:123], v[120:121]
	v_rcp_f64_e32 v[140:141], v[138:139]
	v_div_scale_f64 v[142:143], vcc, v[120:121], v[122:123], v[120:121]
	v_fma_f64 v[144:145], -v[138:139], v[140:141], 1.0
	v_fmac_f64_e32 v[140:141], v[140:141], v[144:145]
	v_fma_f64 v[144:145], -v[138:139], v[140:141], 1.0
	v_fmac_f64_e32 v[140:141], v[140:141], v[144:145]
	v_mul_f64 v[144:145], v[142:143], v[140:141]
	v_fma_f64 v[138:139], -v[138:139], v[144:145], v[142:143]
	v_div_fmas_f64 v[138:139], v[138:139], v[140:141], v[144:145]
	v_div_fixup_f64 v[138:139], v[138:139], v[122:123], v[120:121]
	v_fmac_f64_e32 v[122:123], v[120:121], v[138:139]
	v_div_scale_f64 v[120:121], s[18:19], v[122:123], v[122:123], 1.0
	v_rcp_f64_e32 v[140:141], v[120:121]
	s_nop 0
	v_fma_f64 v[142:143], -v[120:121], v[140:141], 1.0
	v_fmac_f64_e32 v[140:141], v[140:141], v[142:143]
	v_fma_f64 v[142:143], -v[120:121], v[140:141], 1.0
	v_fmac_f64_e32 v[140:141], v[140:141], v[142:143]
	v_div_scale_f64 v[142:143], vcc, 1.0, v[122:123], 1.0
	v_mul_f64 v[144:145], v[142:143], v[140:141]
	v_fma_f64 v[120:121], -v[120:121], v[144:145], v[142:143]
	s_nop 1
	v_div_fmas_f64 v[120:121], v[120:121], v[140:141], v[144:145]
	v_div_fixup_f64 v[122:123], v[120:121], v[122:123], 1.0
	v_mul_f64 v[120:121], v[138:139], v[122:123]
	v_xor_b32_e32 v123, 0x80000000, v123
.LBB58_28:
	s_andn2_saveexec_b64 s[16:17], s[16:17]
	s_cbranch_execz .LBB58_30
; %bb.29:
	v_div_scale_f64 v[138:139], s[18:19], v[120:121], v[120:121], v[122:123]
	v_rcp_f64_e32 v[140:141], v[138:139]
	v_div_scale_f64 v[142:143], vcc, v[122:123], v[120:121], v[122:123]
	v_fma_f64 v[144:145], -v[138:139], v[140:141], 1.0
	v_fmac_f64_e32 v[140:141], v[140:141], v[144:145]
	v_fma_f64 v[144:145], -v[138:139], v[140:141], 1.0
	v_fmac_f64_e32 v[140:141], v[140:141], v[144:145]
	v_mul_f64 v[144:145], v[142:143], v[140:141]
	v_fma_f64 v[138:139], -v[138:139], v[144:145], v[142:143]
	v_div_fmas_f64 v[138:139], v[138:139], v[140:141], v[144:145]
	v_div_fixup_f64 v[138:139], v[138:139], v[120:121], v[122:123]
	v_fmac_f64_e32 v[120:121], v[122:123], v[138:139]
	v_div_scale_f64 v[122:123], s[18:19], v[120:121], v[120:121], 1.0
	v_rcp_f64_e32 v[140:141], v[122:123]
	s_nop 0
	v_fma_f64 v[142:143], -v[122:123], v[140:141], 1.0
	v_fmac_f64_e32 v[140:141], v[140:141], v[142:143]
	v_fma_f64 v[142:143], -v[122:123], v[140:141], 1.0
	v_fmac_f64_e32 v[140:141], v[140:141], v[142:143]
	v_div_scale_f64 v[142:143], vcc, 1.0, v[120:121], 1.0
	v_mul_f64 v[144:145], v[142:143], v[140:141]
	v_fma_f64 v[122:123], -v[122:123], v[144:145], v[142:143]
	s_nop 1
	v_div_fmas_f64 v[122:123], v[122:123], v[140:141], v[144:145]
	v_div_fixup_f64 v[120:121], v[122:123], v[120:121], 1.0
	v_mul_f64 v[122:123], v[138:139], -v[120:121]
.LBB58_30:
	s_or_b64 exec, exec, s[16:17]
	v_mov_b32_e32 v134, v137
.LBB58_31:
	s_or_b64 exec, exec, s[0:1]
	v_cmp_ne_u32_e32 vcc, v133, v130
	s_and_saveexec_b64 s[0:1], vcc
	s_xor_b64 s[0:1], exec, s[0:1]
	s_cbranch_execz .LBB58_37
; %bb.32:
	v_cmp_eq_u32_e32 vcc, 1, v133
	s_and_saveexec_b64 s[16:17], vcc
	s_cbranch_execz .LBB58_36
; %bb.33:
	v_cmp_ne_u32_e32 vcc, 1, v130
	s_xor_b64 s[18:19], s[14:15], -1
	s_and_b64 s[22:23], s[18:19], vcc
	s_and_saveexec_b64 s[18:19], s[22:23]
	s_cbranch_execz .LBB58_35
; %bb.34:
	v_ashrrev_i32_e32 v131, 31, v130
	v_lshl_add_u64 v[138:139], v[130:131], 2, v[128:129]
	global_load_dword v131, v[138:139], off
	global_load_dword v133, v[128:129], off offset:4
	s_waitcnt vmcnt(1)
	global_store_dword v[128:129], v131, off offset:4
	s_waitcnt vmcnt(1)
	global_store_dword v[138:139], v133, off
.LBB58_35:
	s_or_b64 exec, exec, s[18:19]
	v_mov_b32_e32 v133, v130
	v_mov_b32_e32 v135, v130
.LBB58_36:
	s_or_b64 exec, exec, s[16:17]
.LBB58_37:
	s_andn2_saveexec_b64 s[0:1], s[0:1]
	s_cbranch_execz .LBB58_39
; %bb.38:
	v_mov_b32_e32 v133, 1
	s_waitcnt vmcnt(27)
	ds_write2_b64 v132, v[112:113], v[114:115] offset0:4 offset1:5
	s_waitcnt vmcnt(26)
	ds_write2_b64 v132, v[108:109], v[110:111] offset0:6 offset1:7
	;; [unrolled: 2-line block ×28, first 2 shown]
.LBB58_39:
	s_or_b64 exec, exec, s[0:1]
	v_cmp_lt_i32_e32 vcc, 1, v133
	s_waitcnt lgkmcnt(0)
	s_barrier
	s_and_saveexec_b64 s[0:1], vcc
	s_cbranch_execz .LBB58_41
; %bb.40:
	ds_read2_b64 v[138:141], v132 offset0:4 offset1:5
	v_mul_f64 v[130:131], v[122:123], v[78:79]
	v_mul_f64 v[78:79], v[120:121], v[78:79]
	v_fma_f64 v[130:131], v[120:121], v[76:77], -v[130:131]
	v_fmac_f64_e32 v[78:79], v[122:123], v[76:77]
	ds_read2_b64 v[120:123], v132 offset0:6 offset1:7
	s_waitcnt lgkmcnt(1)
	v_mul_f64 v[76:77], v[140:141], v[78:79]
	v_fma_f64 v[76:77], v[138:139], v[130:131], -v[76:77]
	v_mul_f64 v[138:139], v[138:139], v[78:79]
	v_fmac_f64_e32 v[138:139], v[140:141], v[130:131]
	s_waitcnt vmcnt(27)
	v_add_f64 v[112:113], v[112:113], -v[76:77]
	s_waitcnt lgkmcnt(0)
	v_mul_f64 v[76:77], v[122:123], v[78:79]
	v_add_f64 v[114:115], v[114:115], -v[138:139]
	v_fma_f64 v[76:77], v[120:121], v[130:131], -v[76:77]
	v_mul_f64 v[120:121], v[120:121], v[78:79]
	ds_read2_b64 v[138:141], v132 offset0:8 offset1:9
	v_fmac_f64_e32 v[120:121], v[122:123], v[130:131]
	s_waitcnt vmcnt(26)
	v_add_f64 v[110:111], v[110:111], -v[120:121]
	ds_read2_b64 v[120:123], v132 offset0:10 offset1:11
	v_add_f64 v[108:109], v[108:109], -v[76:77]
	s_waitcnt lgkmcnt(1)
	v_mul_f64 v[76:77], v[140:141], v[78:79]
	v_fma_f64 v[76:77], v[138:139], v[130:131], -v[76:77]
	v_mul_f64 v[138:139], v[138:139], v[78:79]
	v_fmac_f64_e32 v[138:139], v[140:141], v[130:131]
	s_waitcnt vmcnt(25)
	v_add_f64 v[104:105], v[104:105], -v[76:77]
	s_waitcnt lgkmcnt(0)
	v_mul_f64 v[76:77], v[122:123], v[78:79]
	v_add_f64 v[106:107], v[106:107], -v[138:139]
	v_fma_f64 v[76:77], v[120:121], v[130:131], -v[76:77]
	v_mul_f64 v[120:121], v[120:121], v[78:79]
	ds_read2_b64 v[138:141], v132 offset0:12 offset1:13
	v_fmac_f64_e32 v[120:121], v[122:123], v[130:131]
	s_waitcnt vmcnt(24)
	v_add_f64 v[102:103], v[102:103], -v[120:121]
	ds_read2_b64 v[120:123], v132 offset0:14 offset1:15
	v_add_f64 v[100:101], v[100:101], -v[76:77]
	;; [unrolled: 18-line block ×13, first 2 shown]
	s_waitcnt lgkmcnt(1)
	v_mul_f64 v[76:77], v[140:141], v[78:79]
	v_fma_f64 v[76:77], v[138:139], v[130:131], -v[76:77]
	s_waitcnt vmcnt(1)
	v_add_f64 v[0:1], v[0:1], -v[76:77]
	s_waitcnt lgkmcnt(0)
	v_mul_f64 v[76:77], v[122:123], v[78:79]
	v_mul_f64 v[138:139], v[138:139], v[78:79]
	v_fma_f64 v[76:77], v[120:121], v[130:131], -v[76:77]
	v_mul_f64 v[120:121], v[120:121], v[78:79]
	v_fmac_f64_e32 v[138:139], v[140:141], v[130:131]
	v_fmac_f64_e32 v[120:121], v[122:123], v[130:131]
	v_add_f64 v[2:3], v[2:3], -v[138:139]
	s_waitcnt vmcnt(0)
	v_add_f64 v[116:117], v[116:117], -v[76:77]
	v_add_f64 v[118:119], v[118:119], -v[120:121]
	v_mov_b64_e32 v[76:77], v[130:131]
.LBB58_41:
	s_or_b64 exec, exec, s[0:1]
	v_lshl_add_u32 v120, v133, 4, v132
	s_barrier
	s_waitcnt vmcnt(27)
	ds_write2_b64 v120, v[112:113], v[114:115] offset1:1
	s_waitcnt lgkmcnt(0)
	s_barrier
	ds_read2_b64 v[120:123], v132 offset0:4 offset1:5
	s_cmp_lt_i32 s20, 4
	v_mov_b32_e32 v130, 2
	s_cbranch_scc1 .LBB58_44
; %bb.42:
	v_add3_u32 v131, v136, 0, 48
	s_mov_b32 s16, 3
	v_mov_b32_e32 v130, 2
.LBB58_43:                              ; =>This Inner Loop Header: Depth=1
	ds_read2_b64 v[138:141], v131 offset1:1
	s_waitcnt lgkmcnt(1)
	v_xor_b32_e32 v137, 0x80000000, v121
	v_xor_b32_e32 v145, 0x80000000, v123
	v_cmp_gt_f64_e32 vcc, 0, v[122:123]
	v_cmp_gt_f64_e64 s[0:1], 0, v[120:121]
	v_mov_b32_e32 v142, v120
	v_mov_b32_e32 v144, v122
	v_cndmask_b32_e64 v143, v121, v137, s[0:1]
	v_cndmask_b32_e32 v145, v123, v145, vcc
	s_waitcnt lgkmcnt(0)
	v_xor_b32_e32 v137, 0x80000000, v139
	v_xor_b32_e32 v147, 0x80000000, v141
	v_cmp_gt_f64_e32 vcc, 0, v[140:141]
	v_cmp_gt_f64_e64 s[0:1], 0, v[138:139]
	v_add_f64 v[142:143], v[142:143], v[144:145]
	v_mov_b32_e32 v144, v138
	v_mov_b32_e32 v146, v140
	v_cndmask_b32_e64 v145, v139, v137, s[0:1]
	v_cndmask_b32_e32 v147, v141, v147, vcc
	v_add_f64 v[144:145], v[144:145], v[146:147]
	v_mov_b32_e32 v148, s16
	s_add_i32 s16, s16, 1
	v_cmp_lt_f64_e32 vcc, v[142:143], v[144:145]
	v_add_u32_e32 v131, 16, v131
	s_cmp_lg_u32 s20, s16
	v_cndmask_b32_e32 v121, v121, v139, vcc
	v_cndmask_b32_e32 v120, v120, v138, vcc
	;; [unrolled: 1-line block ×5, first 2 shown]
	s_cbranch_scc1 .LBB58_43
.LBB58_44:
	s_waitcnt lgkmcnt(0)
	v_cmp_eq_f64_e32 vcc, 0, v[120:121]
	v_cmp_eq_f64_e64 s[0:1], 0, v[122:123]
	s_and_b64 s[0:1], vcc, s[0:1]
	s_and_saveexec_b64 s[16:17], s[0:1]
	s_xor_b64 s[0:1], exec, s[16:17]
; %bb.45:
	v_cmp_ne_u32_e32 vcc, 0, v134
	s_nop 1
	v_cndmask_b32_e32 v134, 3, v134, vcc
; %bb.46:
	s_andn2_saveexec_b64 s[0:1], s[0:1]
	s_cbranch_execz .LBB58_52
; %bb.47:
	v_cmp_ngt_f64_e64 s[16:17], |v[120:121]|, |v[122:123]|
	s_and_saveexec_b64 s[18:19], s[16:17]
	s_xor_b64 s[16:17], exec, s[18:19]
	s_cbranch_execz .LBB58_49
; %bb.48:
	v_div_scale_f64 v[138:139], s[18:19], v[122:123], v[122:123], v[120:121]
	v_rcp_f64_e32 v[140:141], v[138:139]
	v_div_scale_f64 v[142:143], vcc, v[120:121], v[122:123], v[120:121]
	v_fma_f64 v[144:145], -v[138:139], v[140:141], 1.0
	v_fmac_f64_e32 v[140:141], v[140:141], v[144:145]
	v_fma_f64 v[144:145], -v[138:139], v[140:141], 1.0
	v_fmac_f64_e32 v[140:141], v[140:141], v[144:145]
	v_mul_f64 v[144:145], v[142:143], v[140:141]
	v_fma_f64 v[138:139], -v[138:139], v[144:145], v[142:143]
	v_div_fmas_f64 v[138:139], v[138:139], v[140:141], v[144:145]
	v_div_fixup_f64 v[138:139], v[138:139], v[122:123], v[120:121]
	v_fmac_f64_e32 v[122:123], v[120:121], v[138:139]
	v_div_scale_f64 v[120:121], s[18:19], v[122:123], v[122:123], 1.0
	v_rcp_f64_e32 v[140:141], v[120:121]
	s_nop 0
	v_fma_f64 v[142:143], -v[120:121], v[140:141], 1.0
	v_fmac_f64_e32 v[140:141], v[140:141], v[142:143]
	v_fma_f64 v[142:143], -v[120:121], v[140:141], 1.0
	v_fmac_f64_e32 v[140:141], v[140:141], v[142:143]
	v_div_scale_f64 v[142:143], vcc, 1.0, v[122:123], 1.0
	v_mul_f64 v[144:145], v[142:143], v[140:141]
	v_fma_f64 v[120:121], -v[120:121], v[144:145], v[142:143]
	s_nop 1
	v_div_fmas_f64 v[120:121], v[120:121], v[140:141], v[144:145]
	v_div_fixup_f64 v[122:123], v[120:121], v[122:123], 1.0
	v_mul_f64 v[120:121], v[138:139], v[122:123]
	v_xor_b32_e32 v123, 0x80000000, v123
.LBB58_49:
	s_andn2_saveexec_b64 s[16:17], s[16:17]
	s_cbranch_execz .LBB58_51
; %bb.50:
	v_div_scale_f64 v[138:139], s[18:19], v[120:121], v[120:121], v[122:123]
	v_rcp_f64_e32 v[140:141], v[138:139]
	v_div_scale_f64 v[142:143], vcc, v[122:123], v[120:121], v[122:123]
	v_fma_f64 v[144:145], -v[138:139], v[140:141], 1.0
	v_fmac_f64_e32 v[140:141], v[140:141], v[144:145]
	v_fma_f64 v[144:145], -v[138:139], v[140:141], 1.0
	v_fmac_f64_e32 v[140:141], v[140:141], v[144:145]
	v_mul_f64 v[144:145], v[142:143], v[140:141]
	v_fma_f64 v[138:139], -v[138:139], v[144:145], v[142:143]
	v_div_fmas_f64 v[138:139], v[138:139], v[140:141], v[144:145]
	v_div_fixup_f64 v[138:139], v[138:139], v[120:121], v[122:123]
	v_fmac_f64_e32 v[120:121], v[122:123], v[138:139]
	v_div_scale_f64 v[122:123], s[18:19], v[120:121], v[120:121], 1.0
	v_rcp_f64_e32 v[140:141], v[122:123]
	s_nop 0
	v_fma_f64 v[142:143], -v[122:123], v[140:141], 1.0
	v_fmac_f64_e32 v[140:141], v[140:141], v[142:143]
	v_fma_f64 v[142:143], -v[122:123], v[140:141], 1.0
	v_fmac_f64_e32 v[140:141], v[140:141], v[142:143]
	v_div_scale_f64 v[142:143], vcc, 1.0, v[120:121], 1.0
	v_mul_f64 v[144:145], v[142:143], v[140:141]
	v_fma_f64 v[122:123], -v[122:123], v[144:145], v[142:143]
	s_nop 1
	v_div_fmas_f64 v[122:123], v[122:123], v[140:141], v[144:145]
	v_div_fixup_f64 v[120:121], v[122:123], v[120:121], 1.0
	v_mul_f64 v[122:123], v[138:139], -v[120:121]
.LBB58_51:
	s_or_b64 exec, exec, s[16:17]
.LBB58_52:
	s_or_b64 exec, exec, s[0:1]
	v_cmp_ne_u32_e32 vcc, v133, v130
	s_and_saveexec_b64 s[0:1], vcc
	s_xor_b64 s[0:1], exec, s[0:1]
	s_cbranch_execz .LBB58_58
; %bb.53:
	v_cmp_eq_u32_e32 vcc, 2, v133
	s_and_saveexec_b64 s[16:17], vcc
	s_cbranch_execz .LBB58_57
; %bb.54:
	v_cmp_ne_u32_e32 vcc, 2, v130
	s_xor_b64 s[18:19], s[14:15], -1
	s_and_b64 s[22:23], s[18:19], vcc
	s_and_saveexec_b64 s[18:19], s[22:23]
	s_cbranch_execz .LBB58_56
; %bb.55:
	v_ashrrev_i32_e32 v131, 31, v130
	v_lshl_add_u64 v[138:139], v[130:131], 2, v[128:129]
	global_load_dword v131, v[138:139], off
	global_load_dword v133, v[128:129], off offset:8
	s_waitcnt vmcnt(1)
	global_store_dword v[128:129], v131, off offset:8
	s_waitcnt vmcnt(1)
	global_store_dword v[138:139], v133, off
.LBB58_56:
	s_or_b64 exec, exec, s[18:19]
	v_mov_b32_e32 v133, v130
	v_mov_b32_e32 v135, v130
.LBB58_57:
	s_or_b64 exec, exec, s[16:17]
.LBB58_58:
	s_andn2_saveexec_b64 s[0:1], s[0:1]
	s_cbranch_execz .LBB58_60
; %bb.59:
	v_mov_b32_e32 v133, 2
	s_waitcnt vmcnt(26)
	ds_write2_b64 v132, v[108:109], v[110:111] offset0:6 offset1:7
	s_waitcnt vmcnt(25)
	ds_write2_b64 v132, v[104:105], v[106:107] offset0:8 offset1:9
	s_waitcnt vmcnt(24)
	ds_write2_b64 v132, v[100:101], v[102:103] offset0:10 offset1:11
	s_waitcnt vmcnt(23)
	ds_write2_b64 v132, v[96:97], v[98:99] offset0:12 offset1:13
	s_waitcnt vmcnt(22)
	ds_write2_b64 v132, v[92:93], v[94:95] offset0:14 offset1:15
	s_waitcnt vmcnt(21)
	ds_write2_b64 v132, v[88:89], v[90:91] offset0:16 offset1:17
	s_waitcnt vmcnt(20)
	ds_write2_b64 v132, v[80:81], v[82:83] offset0:18 offset1:19
	s_waitcnt vmcnt(19)
	ds_write2_b64 v132, v[72:73], v[74:75] offset0:20 offset1:21
	s_waitcnt vmcnt(18)
	ds_write2_b64 v132, v[68:69], v[70:71] offset0:22 offset1:23
	s_waitcnt vmcnt(17)
	ds_write2_b64 v132, v[64:65], v[66:67] offset0:24 offset1:25
	s_waitcnt vmcnt(16)
	ds_write2_b64 v132, v[60:61], v[62:63] offset0:26 offset1:27
	s_waitcnt vmcnt(15)
	ds_write2_b64 v132, v[52:53], v[54:55] offset0:28 offset1:29
	s_waitcnt vmcnt(14)
	ds_write2_b64 v132, v[56:57], v[58:59] offset0:30 offset1:31
	s_waitcnt vmcnt(13)
	ds_write2_b64 v132, v[48:49], v[50:51] offset0:32 offset1:33
	s_waitcnt vmcnt(12)
	ds_write2_b64 v132, v[44:45], v[46:47] offset0:34 offset1:35
	s_waitcnt vmcnt(11)
	ds_write2_b64 v132, v[40:41], v[42:43] offset0:36 offset1:37
	s_waitcnt vmcnt(10)
	ds_write2_b64 v132, v[36:37], v[38:39] offset0:38 offset1:39
	s_waitcnt vmcnt(9)
	ds_write2_b64 v132, v[32:33], v[34:35] offset0:40 offset1:41
	s_waitcnt vmcnt(8)
	ds_write2_b64 v132, v[28:29], v[30:31] offset0:42 offset1:43
	s_waitcnt vmcnt(7)
	ds_write2_b64 v132, v[24:25], v[26:27] offset0:44 offset1:45
	s_waitcnt vmcnt(6)
	ds_write2_b64 v132, v[20:21], v[22:23] offset0:46 offset1:47
	s_waitcnt vmcnt(5)
	ds_write2_b64 v132, v[16:17], v[18:19] offset0:48 offset1:49
	s_waitcnt vmcnt(4)
	ds_write2_b64 v132, v[12:13], v[14:15] offset0:50 offset1:51
	s_waitcnt vmcnt(3)
	ds_write2_b64 v132, v[8:9], v[10:11] offset0:52 offset1:53
	s_waitcnt vmcnt(2)
	ds_write2_b64 v132, v[4:5], v[6:7] offset0:54 offset1:55
	s_waitcnt vmcnt(1)
	ds_write2_b64 v132, v[0:1], v[2:3] offset0:56 offset1:57
	s_waitcnt vmcnt(0)
	ds_write2_b64 v132, v[116:117], v[118:119] offset0:58 offset1:59
.LBB58_60:
	s_or_b64 exec, exec, s[0:1]
	v_cmp_lt_i32_e32 vcc, 2, v133
	s_waitcnt lgkmcnt(0)
	s_barrier
	s_and_saveexec_b64 s[0:1], vcc
	s_cbranch_execz .LBB58_62
; %bb.61:
	ds_read2_b64 v[138:141], v132 offset0:6 offset1:7
	v_mul_f64 v[130:131], v[122:123], v[114:115]
	v_mul_f64 v[114:115], v[120:121], v[114:115]
	v_fmac_f64_e32 v[114:115], v[122:123], v[112:113]
	v_fma_f64 v[130:131], v[120:121], v[112:113], -v[130:131]
	ds_read2_b64 v[120:123], v132 offset0:8 offset1:9
	s_waitcnt lgkmcnt(1)
	v_mul_f64 v[112:113], v[140:141], v[114:115]
	v_fma_f64 v[112:113], v[138:139], v[130:131], -v[112:113]
	v_mul_f64 v[138:139], v[138:139], v[114:115]
	v_fmac_f64_e32 v[138:139], v[140:141], v[130:131]
	s_waitcnt vmcnt(26)
	v_add_f64 v[110:111], v[110:111], -v[138:139]
	ds_read2_b64 v[138:141], v132 offset0:10 offset1:11
	v_add_f64 v[108:109], v[108:109], -v[112:113]
	s_waitcnt lgkmcnt(1)
	v_mul_f64 v[112:113], v[122:123], v[114:115]
	v_fma_f64 v[112:113], v[120:121], v[130:131], -v[112:113]
	v_mul_f64 v[120:121], v[120:121], v[114:115]
	v_fmac_f64_e32 v[120:121], v[122:123], v[130:131]
	s_waitcnt vmcnt(25)
	v_add_f64 v[104:105], v[104:105], -v[112:113]
	v_add_f64 v[106:107], v[106:107], -v[120:121]
	ds_read2_b64 v[120:123], v132 offset0:12 offset1:13
	s_waitcnt lgkmcnt(1)
	v_mul_f64 v[112:113], v[140:141], v[114:115]
	v_fma_f64 v[112:113], v[138:139], v[130:131], -v[112:113]
	v_mul_f64 v[138:139], v[138:139], v[114:115]
	v_fmac_f64_e32 v[138:139], v[140:141], v[130:131]
	s_waitcnt vmcnt(24)
	v_add_f64 v[102:103], v[102:103], -v[138:139]
	ds_read2_b64 v[138:141], v132 offset0:14 offset1:15
	v_add_f64 v[100:101], v[100:101], -v[112:113]
	s_waitcnt lgkmcnt(1)
	v_mul_f64 v[112:113], v[122:123], v[114:115]
	v_fma_f64 v[112:113], v[120:121], v[130:131], -v[112:113]
	v_mul_f64 v[120:121], v[120:121], v[114:115]
	v_fmac_f64_e32 v[120:121], v[122:123], v[130:131]
	s_waitcnt vmcnt(23)
	v_add_f64 v[96:97], v[96:97], -v[112:113]
	v_add_f64 v[98:99], v[98:99], -v[120:121]
	;; [unrolled: 18-line block ×13, first 2 shown]
	s_waitcnt lgkmcnt(0)
	v_mul_f64 v[112:113], v[140:141], v[114:115]
	v_mul_f64 v[120:121], v[138:139], v[114:115]
	v_fma_f64 v[112:113], v[138:139], v[130:131], -v[112:113]
	v_fmac_f64_e32 v[120:121], v[140:141], v[130:131]
	s_waitcnt vmcnt(0)
	v_add_f64 v[116:117], v[116:117], -v[112:113]
	v_add_f64 v[118:119], v[118:119], -v[120:121]
	v_mov_b64_e32 v[112:113], v[130:131]
.LBB58_62:
	s_or_b64 exec, exec, s[0:1]
	v_lshl_add_u32 v120, v133, 4, v132
	s_barrier
	s_waitcnt vmcnt(26)
	ds_write2_b64 v120, v[108:109], v[110:111] offset1:1
	s_waitcnt lgkmcnt(0)
	s_barrier
	ds_read2_b64 v[120:123], v132 offset0:6 offset1:7
	s_mov_b32 s16, 4
	s_cmp_lt_i32 s20, 5
	v_mov_b32_e32 v130, 3
	s_cbranch_scc1 .LBB58_65
; %bb.63:
	v_add3_u32 v131, v136, 0, 64
	v_mov_b32_e32 v130, 3
.LBB58_64:                              ; =>This Inner Loop Header: Depth=1
	ds_read2_b64 v[136:139], v131 offset1:1
	s_waitcnt lgkmcnt(1)
	v_xor_b32_e32 v141, 0x80000000, v121
	v_xor_b32_e32 v143, 0x80000000, v123
	v_cmp_gt_f64_e32 vcc, 0, v[122:123]
	v_cmp_gt_f64_e64 s[0:1], 0, v[120:121]
	v_mov_b32_e32 v140, v120
	v_mov_b32_e32 v142, v122
	v_cndmask_b32_e64 v141, v121, v141, s[0:1]
	v_cndmask_b32_e32 v143, v123, v143, vcc
	v_add_f64 v[140:141], v[140:141], v[142:143]
	s_waitcnt lgkmcnt(0)
	v_xor_b32_e32 v143, 0x80000000, v137
	v_xor_b32_e32 v145, 0x80000000, v139
	v_cmp_gt_f64_e32 vcc, 0, v[138:139]
	v_cmp_gt_f64_e64 s[0:1], 0, v[136:137]
	v_mov_b32_e32 v142, v136
	v_mov_b32_e32 v144, v138
	v_cndmask_b32_e64 v143, v137, v143, s[0:1]
	v_cndmask_b32_e32 v145, v139, v145, vcc
	v_add_f64 v[142:143], v[142:143], v[144:145]
	v_mov_b32_e32 v146, s16
	s_add_i32 s16, s16, 1
	v_cmp_lt_f64_e32 vcc, v[140:141], v[142:143]
	v_add_u32_e32 v131, 16, v131
	s_cmp_lg_u32 s20, s16
	v_cndmask_b32_e32 v121, v121, v137, vcc
	v_cndmask_b32_e32 v120, v120, v136, vcc
	;; [unrolled: 1-line block ×5, first 2 shown]
	s_cbranch_scc1 .LBB58_64
.LBB58_65:
	s_waitcnt lgkmcnt(0)
	v_cmp_eq_f64_e32 vcc, 0, v[120:121]
	v_cmp_eq_f64_e64 s[0:1], 0, v[122:123]
	s_and_b64 s[0:1], vcc, s[0:1]
	s_and_saveexec_b64 s[16:17], s[0:1]
	s_xor_b64 s[0:1], exec, s[16:17]
; %bb.66:
	v_cmp_ne_u32_e32 vcc, 0, v134
	s_nop 1
	v_cndmask_b32_e32 v134, 4, v134, vcc
; %bb.67:
	s_andn2_saveexec_b64 s[0:1], s[0:1]
	s_cbranch_execz .LBB58_73
; %bb.68:
	v_cmp_ngt_f64_e64 s[16:17], |v[120:121]|, |v[122:123]|
	s_and_saveexec_b64 s[18:19], s[16:17]
	s_xor_b64 s[16:17], exec, s[18:19]
	s_cbranch_execz .LBB58_70
; %bb.69:
	v_div_scale_f64 v[136:137], s[18:19], v[122:123], v[122:123], v[120:121]
	v_rcp_f64_e32 v[138:139], v[136:137]
	v_div_scale_f64 v[140:141], vcc, v[120:121], v[122:123], v[120:121]
	v_fma_f64 v[142:143], -v[136:137], v[138:139], 1.0
	v_fmac_f64_e32 v[138:139], v[138:139], v[142:143]
	v_fma_f64 v[142:143], -v[136:137], v[138:139], 1.0
	v_fmac_f64_e32 v[138:139], v[138:139], v[142:143]
	v_mul_f64 v[142:143], v[140:141], v[138:139]
	v_fma_f64 v[136:137], -v[136:137], v[142:143], v[140:141]
	v_div_fmas_f64 v[136:137], v[136:137], v[138:139], v[142:143]
	v_div_fixup_f64 v[136:137], v[136:137], v[122:123], v[120:121]
	v_fmac_f64_e32 v[122:123], v[120:121], v[136:137]
	v_div_scale_f64 v[120:121], s[18:19], v[122:123], v[122:123], 1.0
	v_rcp_f64_e32 v[138:139], v[120:121]
	s_nop 0
	v_fma_f64 v[140:141], -v[120:121], v[138:139], 1.0
	v_fmac_f64_e32 v[138:139], v[138:139], v[140:141]
	v_fma_f64 v[140:141], -v[120:121], v[138:139], 1.0
	v_fmac_f64_e32 v[138:139], v[138:139], v[140:141]
	v_div_scale_f64 v[140:141], vcc, 1.0, v[122:123], 1.0
	v_mul_f64 v[142:143], v[140:141], v[138:139]
	v_fma_f64 v[120:121], -v[120:121], v[142:143], v[140:141]
	s_nop 1
	v_div_fmas_f64 v[120:121], v[120:121], v[138:139], v[142:143]
	v_div_fixup_f64 v[122:123], v[120:121], v[122:123], 1.0
	v_mul_f64 v[120:121], v[136:137], v[122:123]
	v_xor_b32_e32 v123, 0x80000000, v123
.LBB58_70:
	s_andn2_saveexec_b64 s[16:17], s[16:17]
	s_cbranch_execz .LBB58_72
; %bb.71:
	v_div_scale_f64 v[136:137], s[18:19], v[120:121], v[120:121], v[122:123]
	v_rcp_f64_e32 v[138:139], v[136:137]
	v_div_scale_f64 v[140:141], vcc, v[122:123], v[120:121], v[122:123]
	v_fma_f64 v[142:143], -v[136:137], v[138:139], 1.0
	v_fmac_f64_e32 v[138:139], v[138:139], v[142:143]
	v_fma_f64 v[142:143], -v[136:137], v[138:139], 1.0
	v_fmac_f64_e32 v[138:139], v[138:139], v[142:143]
	v_mul_f64 v[142:143], v[140:141], v[138:139]
	v_fma_f64 v[136:137], -v[136:137], v[142:143], v[140:141]
	v_div_fmas_f64 v[136:137], v[136:137], v[138:139], v[142:143]
	v_div_fixup_f64 v[136:137], v[136:137], v[120:121], v[122:123]
	v_fmac_f64_e32 v[120:121], v[122:123], v[136:137]
	v_div_scale_f64 v[122:123], s[18:19], v[120:121], v[120:121], 1.0
	v_rcp_f64_e32 v[138:139], v[122:123]
	s_nop 0
	v_fma_f64 v[140:141], -v[122:123], v[138:139], 1.0
	v_fmac_f64_e32 v[138:139], v[138:139], v[140:141]
	v_fma_f64 v[140:141], -v[122:123], v[138:139], 1.0
	v_fmac_f64_e32 v[138:139], v[138:139], v[140:141]
	v_div_scale_f64 v[140:141], vcc, 1.0, v[120:121], 1.0
	v_mul_f64 v[142:143], v[140:141], v[138:139]
	v_fma_f64 v[122:123], -v[122:123], v[142:143], v[140:141]
	s_nop 1
	v_div_fmas_f64 v[122:123], v[122:123], v[138:139], v[142:143]
	v_div_fixup_f64 v[120:121], v[122:123], v[120:121], 1.0
	v_mul_f64 v[122:123], v[136:137], -v[120:121]
.LBB58_72:
	s_or_b64 exec, exec, s[16:17]
.LBB58_73:
	s_or_b64 exec, exec, s[0:1]
	v_cmp_ne_u32_e32 vcc, v133, v130
	s_and_saveexec_b64 s[0:1], vcc
	s_xor_b64 s[0:1], exec, s[0:1]
	s_cbranch_execz .LBB58_79
; %bb.74:
	v_cmp_eq_u32_e32 vcc, 3, v133
	s_and_saveexec_b64 s[16:17], vcc
	s_cbranch_execz .LBB58_78
; %bb.75:
	v_cmp_ne_u32_e32 vcc, 3, v130
	s_xor_b64 s[18:19], s[14:15], -1
	s_and_b64 s[22:23], s[18:19], vcc
	s_and_saveexec_b64 s[18:19], s[22:23]
	s_cbranch_execz .LBB58_77
; %bb.76:
	v_ashrrev_i32_e32 v131, 31, v130
	v_lshl_add_u64 v[136:137], v[130:131], 2, v[128:129]
	global_load_dword v131, v[136:137], off
	global_load_dword v133, v[128:129], off offset:12
	s_waitcnt vmcnt(1)
	global_store_dword v[128:129], v131, off offset:12
	s_waitcnt vmcnt(1)
	global_store_dword v[136:137], v133, off
.LBB58_77:
	s_or_b64 exec, exec, s[18:19]
	v_mov_b32_e32 v133, v130
	v_mov_b32_e32 v135, v130
.LBB58_78:
	s_or_b64 exec, exec, s[16:17]
.LBB58_79:
	s_andn2_saveexec_b64 s[0:1], s[0:1]
	s_cbranch_execz .LBB58_81
; %bb.80:
	v_mov_b32_e32 v133, 3
	s_waitcnt vmcnt(25)
	ds_write2_b64 v132, v[104:105], v[106:107] offset0:8 offset1:9
	s_waitcnt vmcnt(24)
	ds_write2_b64 v132, v[100:101], v[102:103] offset0:10 offset1:11
	;; [unrolled: 2-line block ×26, first 2 shown]
.LBB58_81:
	s_or_b64 exec, exec, s[0:1]
	v_cmp_lt_i32_e32 vcc, 3, v133
	s_waitcnt lgkmcnt(0)
	s_barrier
	s_and_saveexec_b64 s[0:1], vcc
	s_cbranch_execz .LBB58_83
; %bb.82:
	ds_read2_b64 v[136:139], v132 offset0:8 offset1:9
	v_mul_f64 v[130:131], v[122:123], v[110:111]
	v_mul_f64 v[110:111], v[120:121], v[110:111]
	v_fma_f64 v[130:131], v[120:121], v[108:109], -v[130:131]
	v_fmac_f64_e32 v[110:111], v[122:123], v[108:109]
	ds_read2_b64 v[120:123], v132 offset0:10 offset1:11
	s_waitcnt lgkmcnt(1)
	v_mul_f64 v[108:109], v[138:139], v[110:111]
	v_fma_f64 v[108:109], v[136:137], v[130:131], -v[108:109]
	v_mul_f64 v[136:137], v[136:137], v[110:111]
	v_fmac_f64_e32 v[136:137], v[138:139], v[130:131]
	s_waitcnt vmcnt(25)
	v_add_f64 v[104:105], v[104:105], -v[108:109]
	s_waitcnt lgkmcnt(0)
	v_mul_f64 v[108:109], v[122:123], v[110:111]
	v_add_f64 v[106:107], v[106:107], -v[136:137]
	v_fma_f64 v[108:109], v[120:121], v[130:131], -v[108:109]
	v_mul_f64 v[120:121], v[120:121], v[110:111]
	ds_read2_b64 v[136:139], v132 offset0:12 offset1:13
	v_fmac_f64_e32 v[120:121], v[122:123], v[130:131]
	s_waitcnt vmcnt(24)
	v_add_f64 v[102:103], v[102:103], -v[120:121]
	ds_read2_b64 v[120:123], v132 offset0:14 offset1:15
	v_add_f64 v[100:101], v[100:101], -v[108:109]
	s_waitcnt lgkmcnt(1)
	v_mul_f64 v[108:109], v[138:139], v[110:111]
	v_fma_f64 v[108:109], v[136:137], v[130:131], -v[108:109]
	v_mul_f64 v[136:137], v[136:137], v[110:111]
	v_fmac_f64_e32 v[136:137], v[138:139], v[130:131]
	s_waitcnt vmcnt(23)
	v_add_f64 v[96:97], v[96:97], -v[108:109]
	s_waitcnt lgkmcnt(0)
	v_mul_f64 v[108:109], v[122:123], v[110:111]
	v_add_f64 v[98:99], v[98:99], -v[136:137]
	v_fma_f64 v[108:109], v[120:121], v[130:131], -v[108:109]
	v_mul_f64 v[120:121], v[120:121], v[110:111]
	ds_read2_b64 v[136:139], v132 offset0:16 offset1:17
	v_fmac_f64_e32 v[120:121], v[122:123], v[130:131]
	s_waitcnt vmcnt(22)
	v_add_f64 v[94:95], v[94:95], -v[120:121]
	ds_read2_b64 v[120:123], v132 offset0:18 offset1:19
	v_add_f64 v[92:93], v[92:93], -v[108:109]
	;; [unrolled: 18-line block ×12, first 2 shown]
	s_waitcnt lgkmcnt(1)
	v_mul_f64 v[108:109], v[138:139], v[110:111]
	v_fma_f64 v[108:109], v[136:137], v[130:131], -v[108:109]
	s_waitcnt vmcnt(1)
	v_add_f64 v[0:1], v[0:1], -v[108:109]
	s_waitcnt lgkmcnt(0)
	v_mul_f64 v[108:109], v[122:123], v[110:111]
	v_mul_f64 v[136:137], v[136:137], v[110:111]
	v_fma_f64 v[108:109], v[120:121], v[130:131], -v[108:109]
	v_mul_f64 v[120:121], v[120:121], v[110:111]
	v_fmac_f64_e32 v[136:137], v[138:139], v[130:131]
	v_fmac_f64_e32 v[120:121], v[122:123], v[130:131]
	v_add_f64 v[2:3], v[2:3], -v[136:137]
	s_waitcnt vmcnt(0)
	v_add_f64 v[116:117], v[116:117], -v[108:109]
	v_add_f64 v[118:119], v[118:119], -v[120:121]
	v_mov_b64_e32 v[108:109], v[130:131]
.LBB58_83:
	s_or_b64 exec, exec, s[0:1]
	v_lshl_add_u32 v120, v133, 4, v132
	s_barrier
	s_waitcnt vmcnt(25)
	ds_write2_b64 v120, v[104:105], v[106:107] offset1:1
	s_waitcnt lgkmcnt(0)
	s_barrier
	ds_read2_b64 v[120:123], v132 offset0:8 offset1:9
	s_cmp_lt_i32 s20, 6
	v_mov_b32_e32 v130, 4
	s_cbranch_scc1 .LBB58_86
; %bb.84:
	v_mov_b32_e32 v130, 4
	v_add_u32_e32 v131, 0x50, v132
	s_mov_b32 s16, 5
.LBB58_85:                              ; =>This Inner Loop Header: Depth=1
	ds_read2_b64 v[136:139], v131 offset1:1
	s_waitcnt lgkmcnt(1)
	v_xor_b32_e32 v141, 0x80000000, v121
	v_xor_b32_e32 v143, 0x80000000, v123
	v_cmp_gt_f64_e32 vcc, 0, v[122:123]
	v_cmp_gt_f64_e64 s[0:1], 0, v[120:121]
	v_mov_b32_e32 v140, v120
	v_mov_b32_e32 v142, v122
	v_cndmask_b32_e64 v141, v121, v141, s[0:1]
	v_cndmask_b32_e32 v143, v123, v143, vcc
	v_add_f64 v[140:141], v[140:141], v[142:143]
	s_waitcnt lgkmcnt(0)
	v_xor_b32_e32 v143, 0x80000000, v137
	v_xor_b32_e32 v145, 0x80000000, v139
	v_cmp_gt_f64_e32 vcc, 0, v[138:139]
	v_cmp_gt_f64_e64 s[0:1], 0, v[136:137]
	v_mov_b32_e32 v142, v136
	v_mov_b32_e32 v144, v138
	v_cndmask_b32_e64 v143, v137, v143, s[0:1]
	v_cndmask_b32_e32 v145, v139, v145, vcc
	v_add_f64 v[142:143], v[142:143], v[144:145]
	v_mov_b32_e32 v146, s16
	s_add_i32 s16, s16, 1
	v_cmp_lt_f64_e32 vcc, v[140:141], v[142:143]
	v_add_u32_e32 v131, 16, v131
	s_cmp_lg_u32 s20, s16
	v_cndmask_b32_e32 v121, v121, v137, vcc
	v_cndmask_b32_e32 v120, v120, v136, vcc
	;; [unrolled: 1-line block ×5, first 2 shown]
	s_cbranch_scc1 .LBB58_85
.LBB58_86:
	s_waitcnt lgkmcnt(0)
	v_cmp_eq_f64_e32 vcc, 0, v[120:121]
	v_cmp_eq_f64_e64 s[0:1], 0, v[122:123]
	s_and_b64 s[0:1], vcc, s[0:1]
	s_and_saveexec_b64 s[16:17], s[0:1]
	s_xor_b64 s[0:1], exec, s[16:17]
; %bb.87:
	v_cmp_ne_u32_e32 vcc, 0, v134
	s_nop 1
	v_cndmask_b32_e32 v134, 5, v134, vcc
; %bb.88:
	s_andn2_saveexec_b64 s[0:1], s[0:1]
	s_cbranch_execz .LBB58_94
; %bb.89:
	v_cmp_ngt_f64_e64 s[16:17], |v[120:121]|, |v[122:123]|
	s_and_saveexec_b64 s[18:19], s[16:17]
	s_xor_b64 s[16:17], exec, s[18:19]
	s_cbranch_execz .LBB58_91
; %bb.90:
	v_div_scale_f64 v[136:137], s[18:19], v[122:123], v[122:123], v[120:121]
	v_rcp_f64_e32 v[138:139], v[136:137]
	v_div_scale_f64 v[140:141], vcc, v[120:121], v[122:123], v[120:121]
	v_fma_f64 v[142:143], -v[136:137], v[138:139], 1.0
	v_fmac_f64_e32 v[138:139], v[138:139], v[142:143]
	v_fma_f64 v[142:143], -v[136:137], v[138:139], 1.0
	v_fmac_f64_e32 v[138:139], v[138:139], v[142:143]
	v_mul_f64 v[142:143], v[140:141], v[138:139]
	v_fma_f64 v[136:137], -v[136:137], v[142:143], v[140:141]
	v_div_fmas_f64 v[136:137], v[136:137], v[138:139], v[142:143]
	v_div_fixup_f64 v[136:137], v[136:137], v[122:123], v[120:121]
	v_fmac_f64_e32 v[122:123], v[120:121], v[136:137]
	v_div_scale_f64 v[120:121], s[18:19], v[122:123], v[122:123], 1.0
	v_rcp_f64_e32 v[138:139], v[120:121]
	s_nop 0
	v_fma_f64 v[140:141], -v[120:121], v[138:139], 1.0
	v_fmac_f64_e32 v[138:139], v[138:139], v[140:141]
	v_fma_f64 v[140:141], -v[120:121], v[138:139], 1.0
	v_fmac_f64_e32 v[138:139], v[138:139], v[140:141]
	v_div_scale_f64 v[140:141], vcc, 1.0, v[122:123], 1.0
	v_mul_f64 v[142:143], v[140:141], v[138:139]
	v_fma_f64 v[120:121], -v[120:121], v[142:143], v[140:141]
	s_nop 1
	v_div_fmas_f64 v[120:121], v[120:121], v[138:139], v[142:143]
	v_div_fixup_f64 v[122:123], v[120:121], v[122:123], 1.0
	v_mul_f64 v[120:121], v[136:137], v[122:123]
	v_xor_b32_e32 v123, 0x80000000, v123
.LBB58_91:
	s_andn2_saveexec_b64 s[16:17], s[16:17]
	s_cbranch_execz .LBB58_93
; %bb.92:
	v_div_scale_f64 v[136:137], s[18:19], v[120:121], v[120:121], v[122:123]
	v_rcp_f64_e32 v[138:139], v[136:137]
	v_div_scale_f64 v[140:141], vcc, v[122:123], v[120:121], v[122:123]
	v_fma_f64 v[142:143], -v[136:137], v[138:139], 1.0
	v_fmac_f64_e32 v[138:139], v[138:139], v[142:143]
	v_fma_f64 v[142:143], -v[136:137], v[138:139], 1.0
	v_fmac_f64_e32 v[138:139], v[138:139], v[142:143]
	v_mul_f64 v[142:143], v[140:141], v[138:139]
	v_fma_f64 v[136:137], -v[136:137], v[142:143], v[140:141]
	v_div_fmas_f64 v[136:137], v[136:137], v[138:139], v[142:143]
	v_div_fixup_f64 v[136:137], v[136:137], v[120:121], v[122:123]
	v_fmac_f64_e32 v[120:121], v[122:123], v[136:137]
	v_div_scale_f64 v[122:123], s[18:19], v[120:121], v[120:121], 1.0
	v_rcp_f64_e32 v[138:139], v[122:123]
	s_nop 0
	v_fma_f64 v[140:141], -v[122:123], v[138:139], 1.0
	v_fmac_f64_e32 v[138:139], v[138:139], v[140:141]
	v_fma_f64 v[140:141], -v[122:123], v[138:139], 1.0
	v_fmac_f64_e32 v[138:139], v[138:139], v[140:141]
	v_div_scale_f64 v[140:141], vcc, 1.0, v[120:121], 1.0
	v_mul_f64 v[142:143], v[140:141], v[138:139]
	v_fma_f64 v[122:123], -v[122:123], v[142:143], v[140:141]
	s_nop 1
	v_div_fmas_f64 v[122:123], v[122:123], v[138:139], v[142:143]
	v_div_fixup_f64 v[120:121], v[122:123], v[120:121], 1.0
	v_mul_f64 v[122:123], v[136:137], -v[120:121]
.LBB58_93:
	s_or_b64 exec, exec, s[16:17]
.LBB58_94:
	s_or_b64 exec, exec, s[0:1]
	v_cmp_ne_u32_e32 vcc, v133, v130
	s_and_saveexec_b64 s[0:1], vcc
	s_xor_b64 s[0:1], exec, s[0:1]
	s_cbranch_execz .LBB58_100
; %bb.95:
	v_cmp_eq_u32_e32 vcc, 4, v133
	s_and_saveexec_b64 s[16:17], vcc
	s_cbranch_execz .LBB58_99
; %bb.96:
	v_cmp_ne_u32_e32 vcc, 4, v130
	s_xor_b64 s[18:19], s[14:15], -1
	s_and_b64 s[22:23], s[18:19], vcc
	s_and_saveexec_b64 s[18:19], s[22:23]
	s_cbranch_execz .LBB58_98
; %bb.97:
	v_ashrrev_i32_e32 v131, 31, v130
	v_lshl_add_u64 v[136:137], v[130:131], 2, v[128:129]
	global_load_dword v131, v[136:137], off
	global_load_dword v133, v[128:129], off offset:16
	s_waitcnt vmcnt(1)
	global_store_dword v[128:129], v131, off offset:16
	s_waitcnt vmcnt(1)
	global_store_dword v[136:137], v133, off
.LBB58_98:
	s_or_b64 exec, exec, s[18:19]
	v_mov_b32_e32 v133, v130
	v_mov_b32_e32 v135, v130
.LBB58_99:
	s_or_b64 exec, exec, s[16:17]
.LBB58_100:
	s_andn2_saveexec_b64 s[0:1], s[0:1]
	s_cbranch_execz .LBB58_102
; %bb.101:
	v_mov_b32_e32 v133, 4
	s_waitcnt vmcnt(24)
	ds_write2_b64 v132, v[100:101], v[102:103] offset0:10 offset1:11
	s_waitcnt vmcnt(23)
	ds_write2_b64 v132, v[96:97], v[98:99] offset0:12 offset1:13
	;; [unrolled: 2-line block ×25, first 2 shown]
.LBB58_102:
	s_or_b64 exec, exec, s[0:1]
	v_cmp_lt_i32_e32 vcc, 4, v133
	s_waitcnt lgkmcnt(0)
	s_barrier
	s_and_saveexec_b64 s[0:1], vcc
	s_cbranch_execz .LBB58_104
; %bb.103:
	ds_read2_b64 v[136:139], v132 offset0:10 offset1:11
	v_mul_f64 v[130:131], v[122:123], v[106:107]
	v_mul_f64 v[106:107], v[120:121], v[106:107]
	v_fmac_f64_e32 v[106:107], v[122:123], v[104:105]
	v_fma_f64 v[130:131], v[120:121], v[104:105], -v[130:131]
	ds_read2_b64 v[120:123], v132 offset0:12 offset1:13
	s_waitcnt lgkmcnt(1)
	v_mul_f64 v[104:105], v[138:139], v[106:107]
	v_fma_f64 v[104:105], v[136:137], v[130:131], -v[104:105]
	v_mul_f64 v[136:137], v[136:137], v[106:107]
	v_fmac_f64_e32 v[136:137], v[138:139], v[130:131]
	s_waitcnt vmcnt(24)
	v_add_f64 v[102:103], v[102:103], -v[136:137]
	ds_read2_b64 v[136:139], v132 offset0:14 offset1:15
	v_add_f64 v[100:101], v[100:101], -v[104:105]
	s_waitcnt lgkmcnt(1)
	v_mul_f64 v[104:105], v[122:123], v[106:107]
	v_fma_f64 v[104:105], v[120:121], v[130:131], -v[104:105]
	v_mul_f64 v[120:121], v[120:121], v[106:107]
	v_fmac_f64_e32 v[120:121], v[122:123], v[130:131]
	s_waitcnt vmcnt(23)
	v_add_f64 v[96:97], v[96:97], -v[104:105]
	v_add_f64 v[98:99], v[98:99], -v[120:121]
	ds_read2_b64 v[120:123], v132 offset0:16 offset1:17
	s_waitcnt lgkmcnt(1)
	v_mul_f64 v[104:105], v[138:139], v[106:107]
	v_fma_f64 v[104:105], v[136:137], v[130:131], -v[104:105]
	v_mul_f64 v[136:137], v[136:137], v[106:107]
	v_fmac_f64_e32 v[136:137], v[138:139], v[130:131]
	s_waitcnt vmcnt(22)
	v_add_f64 v[94:95], v[94:95], -v[136:137]
	ds_read2_b64 v[136:139], v132 offset0:18 offset1:19
	v_add_f64 v[92:93], v[92:93], -v[104:105]
	s_waitcnt lgkmcnt(1)
	v_mul_f64 v[104:105], v[122:123], v[106:107]
	v_fma_f64 v[104:105], v[120:121], v[130:131], -v[104:105]
	v_mul_f64 v[120:121], v[120:121], v[106:107]
	v_fmac_f64_e32 v[120:121], v[122:123], v[130:131]
	s_waitcnt vmcnt(21)
	v_add_f64 v[88:89], v[88:89], -v[104:105]
	v_add_f64 v[90:91], v[90:91], -v[120:121]
	;; [unrolled: 18-line block ×12, first 2 shown]
	s_waitcnt lgkmcnt(0)
	v_mul_f64 v[104:105], v[138:139], v[106:107]
	v_mul_f64 v[120:121], v[136:137], v[106:107]
	v_fma_f64 v[104:105], v[136:137], v[130:131], -v[104:105]
	v_fmac_f64_e32 v[120:121], v[138:139], v[130:131]
	s_waitcnt vmcnt(0)
	v_add_f64 v[116:117], v[116:117], -v[104:105]
	v_add_f64 v[118:119], v[118:119], -v[120:121]
	v_mov_b64_e32 v[104:105], v[130:131]
.LBB58_104:
	s_or_b64 exec, exec, s[0:1]
	v_lshl_add_u32 v120, v133, 4, v132
	s_barrier
	s_waitcnt vmcnt(24)
	ds_write2_b64 v120, v[100:101], v[102:103] offset1:1
	s_waitcnt lgkmcnt(0)
	s_barrier
	ds_read2_b64 v[120:123], v132 offset0:10 offset1:11
	s_cmp_lt_i32 s20, 7
	v_mov_b32_e32 v130, 5
	s_cbranch_scc1 .LBB58_107
; %bb.105:
	v_add_u32_e32 v131, 0x60, v132
	s_mov_b32 s16, 6
	v_mov_b32_e32 v130, 5
.LBB58_106:                             ; =>This Inner Loop Header: Depth=1
	ds_read2_b64 v[136:139], v131 offset1:1
	s_waitcnt lgkmcnt(1)
	v_xor_b32_e32 v141, 0x80000000, v121
	v_xor_b32_e32 v143, 0x80000000, v123
	v_cmp_gt_f64_e32 vcc, 0, v[122:123]
	v_cmp_gt_f64_e64 s[0:1], 0, v[120:121]
	v_mov_b32_e32 v140, v120
	v_mov_b32_e32 v142, v122
	v_cndmask_b32_e64 v141, v121, v141, s[0:1]
	v_cndmask_b32_e32 v143, v123, v143, vcc
	v_add_f64 v[140:141], v[140:141], v[142:143]
	s_waitcnt lgkmcnt(0)
	v_xor_b32_e32 v143, 0x80000000, v137
	v_xor_b32_e32 v145, 0x80000000, v139
	v_cmp_gt_f64_e32 vcc, 0, v[138:139]
	v_cmp_gt_f64_e64 s[0:1], 0, v[136:137]
	v_mov_b32_e32 v142, v136
	v_mov_b32_e32 v144, v138
	v_cndmask_b32_e64 v143, v137, v143, s[0:1]
	v_cndmask_b32_e32 v145, v139, v145, vcc
	v_add_f64 v[142:143], v[142:143], v[144:145]
	v_mov_b32_e32 v146, s16
	s_add_i32 s16, s16, 1
	v_cmp_lt_f64_e32 vcc, v[140:141], v[142:143]
	v_add_u32_e32 v131, 16, v131
	s_cmp_lg_u32 s20, s16
	v_cndmask_b32_e32 v121, v121, v137, vcc
	v_cndmask_b32_e32 v120, v120, v136, vcc
	;; [unrolled: 1-line block ×5, first 2 shown]
	s_cbranch_scc1 .LBB58_106
.LBB58_107:
	s_waitcnt lgkmcnt(0)
	v_cmp_eq_f64_e32 vcc, 0, v[120:121]
	v_cmp_eq_f64_e64 s[0:1], 0, v[122:123]
	s_and_b64 s[0:1], vcc, s[0:1]
	s_and_saveexec_b64 s[16:17], s[0:1]
	s_xor_b64 s[0:1], exec, s[16:17]
; %bb.108:
	v_cmp_ne_u32_e32 vcc, 0, v134
	s_nop 1
	v_cndmask_b32_e32 v134, 6, v134, vcc
; %bb.109:
	s_andn2_saveexec_b64 s[0:1], s[0:1]
	s_cbranch_execz .LBB58_115
; %bb.110:
	v_cmp_ngt_f64_e64 s[16:17], |v[120:121]|, |v[122:123]|
	s_and_saveexec_b64 s[18:19], s[16:17]
	s_xor_b64 s[16:17], exec, s[18:19]
	s_cbranch_execz .LBB58_112
; %bb.111:
	v_div_scale_f64 v[136:137], s[18:19], v[122:123], v[122:123], v[120:121]
	v_rcp_f64_e32 v[138:139], v[136:137]
	v_div_scale_f64 v[140:141], vcc, v[120:121], v[122:123], v[120:121]
	v_fma_f64 v[142:143], -v[136:137], v[138:139], 1.0
	v_fmac_f64_e32 v[138:139], v[138:139], v[142:143]
	v_fma_f64 v[142:143], -v[136:137], v[138:139], 1.0
	v_fmac_f64_e32 v[138:139], v[138:139], v[142:143]
	v_mul_f64 v[142:143], v[140:141], v[138:139]
	v_fma_f64 v[136:137], -v[136:137], v[142:143], v[140:141]
	v_div_fmas_f64 v[136:137], v[136:137], v[138:139], v[142:143]
	v_div_fixup_f64 v[136:137], v[136:137], v[122:123], v[120:121]
	v_fmac_f64_e32 v[122:123], v[120:121], v[136:137]
	v_div_scale_f64 v[120:121], s[18:19], v[122:123], v[122:123], 1.0
	v_rcp_f64_e32 v[138:139], v[120:121]
	s_nop 0
	v_fma_f64 v[140:141], -v[120:121], v[138:139], 1.0
	v_fmac_f64_e32 v[138:139], v[138:139], v[140:141]
	v_fma_f64 v[140:141], -v[120:121], v[138:139], 1.0
	v_fmac_f64_e32 v[138:139], v[138:139], v[140:141]
	v_div_scale_f64 v[140:141], vcc, 1.0, v[122:123], 1.0
	v_mul_f64 v[142:143], v[140:141], v[138:139]
	v_fma_f64 v[120:121], -v[120:121], v[142:143], v[140:141]
	s_nop 1
	v_div_fmas_f64 v[120:121], v[120:121], v[138:139], v[142:143]
	v_div_fixup_f64 v[122:123], v[120:121], v[122:123], 1.0
	v_mul_f64 v[120:121], v[136:137], v[122:123]
	v_xor_b32_e32 v123, 0x80000000, v123
.LBB58_112:
	s_andn2_saveexec_b64 s[16:17], s[16:17]
	s_cbranch_execz .LBB58_114
; %bb.113:
	v_div_scale_f64 v[136:137], s[18:19], v[120:121], v[120:121], v[122:123]
	v_rcp_f64_e32 v[138:139], v[136:137]
	v_div_scale_f64 v[140:141], vcc, v[122:123], v[120:121], v[122:123]
	v_fma_f64 v[142:143], -v[136:137], v[138:139], 1.0
	v_fmac_f64_e32 v[138:139], v[138:139], v[142:143]
	v_fma_f64 v[142:143], -v[136:137], v[138:139], 1.0
	v_fmac_f64_e32 v[138:139], v[138:139], v[142:143]
	v_mul_f64 v[142:143], v[140:141], v[138:139]
	v_fma_f64 v[136:137], -v[136:137], v[142:143], v[140:141]
	v_div_fmas_f64 v[136:137], v[136:137], v[138:139], v[142:143]
	v_div_fixup_f64 v[136:137], v[136:137], v[120:121], v[122:123]
	v_fmac_f64_e32 v[120:121], v[122:123], v[136:137]
	v_div_scale_f64 v[122:123], s[18:19], v[120:121], v[120:121], 1.0
	v_rcp_f64_e32 v[138:139], v[122:123]
	s_nop 0
	v_fma_f64 v[140:141], -v[122:123], v[138:139], 1.0
	v_fmac_f64_e32 v[138:139], v[138:139], v[140:141]
	v_fma_f64 v[140:141], -v[122:123], v[138:139], 1.0
	v_fmac_f64_e32 v[138:139], v[138:139], v[140:141]
	v_div_scale_f64 v[140:141], vcc, 1.0, v[120:121], 1.0
	v_mul_f64 v[142:143], v[140:141], v[138:139]
	v_fma_f64 v[122:123], -v[122:123], v[142:143], v[140:141]
	s_nop 1
	v_div_fmas_f64 v[122:123], v[122:123], v[138:139], v[142:143]
	v_div_fixup_f64 v[120:121], v[122:123], v[120:121], 1.0
	v_mul_f64 v[122:123], v[136:137], -v[120:121]
.LBB58_114:
	s_or_b64 exec, exec, s[16:17]
.LBB58_115:
	s_or_b64 exec, exec, s[0:1]
	v_cmp_ne_u32_e32 vcc, v133, v130
	s_and_saveexec_b64 s[0:1], vcc
	s_xor_b64 s[0:1], exec, s[0:1]
	s_cbranch_execz .LBB58_121
; %bb.116:
	v_cmp_eq_u32_e32 vcc, 5, v133
	s_and_saveexec_b64 s[16:17], vcc
	s_cbranch_execz .LBB58_120
; %bb.117:
	v_cmp_ne_u32_e32 vcc, 5, v130
	s_xor_b64 s[18:19], s[14:15], -1
	s_and_b64 s[22:23], s[18:19], vcc
	s_and_saveexec_b64 s[18:19], s[22:23]
	s_cbranch_execz .LBB58_119
; %bb.118:
	v_ashrrev_i32_e32 v131, 31, v130
	v_lshl_add_u64 v[136:137], v[130:131], 2, v[128:129]
	global_load_dword v131, v[136:137], off
	global_load_dword v133, v[128:129], off offset:20
	s_waitcnt vmcnt(1)
	global_store_dword v[128:129], v131, off offset:20
	s_waitcnt vmcnt(1)
	global_store_dword v[136:137], v133, off
.LBB58_119:
	s_or_b64 exec, exec, s[18:19]
	v_mov_b32_e32 v133, v130
	v_mov_b32_e32 v135, v130
.LBB58_120:
	s_or_b64 exec, exec, s[16:17]
.LBB58_121:
	s_andn2_saveexec_b64 s[0:1], s[0:1]
	s_cbranch_execz .LBB58_123
; %bb.122:
	v_mov_b32_e32 v133, 5
	s_waitcnt vmcnt(23)
	ds_write2_b64 v132, v[96:97], v[98:99] offset0:12 offset1:13
	s_waitcnt vmcnt(22)
	ds_write2_b64 v132, v[92:93], v[94:95] offset0:14 offset1:15
	;; [unrolled: 2-line block ×24, first 2 shown]
.LBB58_123:
	s_or_b64 exec, exec, s[0:1]
	v_cmp_lt_i32_e32 vcc, 5, v133
	s_waitcnt lgkmcnt(0)
	s_barrier
	s_and_saveexec_b64 s[0:1], vcc
	s_cbranch_execz .LBB58_125
; %bb.124:
	ds_read2_b64 v[136:139], v132 offset0:12 offset1:13
	v_mul_f64 v[130:131], v[122:123], v[102:103]
	v_mul_f64 v[102:103], v[120:121], v[102:103]
	v_fma_f64 v[130:131], v[120:121], v[100:101], -v[130:131]
	v_fmac_f64_e32 v[102:103], v[122:123], v[100:101]
	ds_read2_b64 v[120:123], v132 offset0:14 offset1:15
	s_waitcnt lgkmcnt(1)
	v_mul_f64 v[100:101], v[138:139], v[102:103]
	v_fma_f64 v[100:101], v[136:137], v[130:131], -v[100:101]
	v_mul_f64 v[136:137], v[136:137], v[102:103]
	v_fmac_f64_e32 v[136:137], v[138:139], v[130:131]
	s_waitcnt vmcnt(23)
	v_add_f64 v[96:97], v[96:97], -v[100:101]
	s_waitcnt lgkmcnt(0)
	v_mul_f64 v[100:101], v[122:123], v[102:103]
	v_add_f64 v[98:99], v[98:99], -v[136:137]
	v_fma_f64 v[100:101], v[120:121], v[130:131], -v[100:101]
	v_mul_f64 v[120:121], v[120:121], v[102:103]
	ds_read2_b64 v[136:139], v132 offset0:16 offset1:17
	v_fmac_f64_e32 v[120:121], v[122:123], v[130:131]
	s_waitcnt vmcnt(22)
	v_add_f64 v[94:95], v[94:95], -v[120:121]
	ds_read2_b64 v[120:123], v132 offset0:18 offset1:19
	v_add_f64 v[92:93], v[92:93], -v[100:101]
	s_waitcnt lgkmcnt(1)
	v_mul_f64 v[100:101], v[138:139], v[102:103]
	v_fma_f64 v[100:101], v[136:137], v[130:131], -v[100:101]
	v_mul_f64 v[136:137], v[136:137], v[102:103]
	v_fmac_f64_e32 v[136:137], v[138:139], v[130:131]
	s_waitcnt vmcnt(21)
	v_add_f64 v[88:89], v[88:89], -v[100:101]
	s_waitcnt lgkmcnt(0)
	v_mul_f64 v[100:101], v[122:123], v[102:103]
	v_add_f64 v[90:91], v[90:91], -v[136:137]
	v_fma_f64 v[100:101], v[120:121], v[130:131], -v[100:101]
	v_mul_f64 v[120:121], v[120:121], v[102:103]
	ds_read2_b64 v[136:139], v132 offset0:20 offset1:21
	v_fmac_f64_e32 v[120:121], v[122:123], v[130:131]
	s_waitcnt vmcnt(20)
	v_add_f64 v[82:83], v[82:83], -v[120:121]
	ds_read2_b64 v[120:123], v132 offset0:22 offset1:23
	v_add_f64 v[80:81], v[80:81], -v[100:101]
	s_waitcnt lgkmcnt(1)
	v_mul_f64 v[100:101], v[138:139], v[102:103]
	v_fma_f64 v[100:101], v[136:137], v[130:131], -v[100:101]
	v_mul_f64 v[136:137], v[136:137], v[102:103]
	v_fmac_f64_e32 v[136:137], v[138:139], v[130:131]
	s_waitcnt vmcnt(19)
	v_add_f64 v[72:73], v[72:73], -v[100:101]
	s_waitcnt lgkmcnt(0)
	v_mul_f64 v[100:101], v[122:123], v[102:103]
	v_add_f64 v[74:75], v[74:75], -v[136:137]
	v_fma_f64 v[100:101], v[120:121], v[130:131], -v[100:101]
	v_mul_f64 v[120:121], v[120:121], v[102:103]
	ds_read2_b64 v[136:139], v132 offset0:24 offset1:25
	v_fmac_f64_e32 v[120:121], v[122:123], v[130:131]
	s_waitcnt vmcnt(18)
	v_add_f64 v[70:71], v[70:71], -v[120:121]
	ds_read2_b64 v[120:123], v132 offset0:26 offset1:27
	v_add_f64 v[68:69], v[68:69], -v[100:101]
	s_waitcnt lgkmcnt(1)
	v_mul_f64 v[100:101], v[138:139], v[102:103]
	v_fma_f64 v[100:101], v[136:137], v[130:131], -v[100:101]
	v_mul_f64 v[136:137], v[136:137], v[102:103]
	v_fmac_f64_e32 v[136:137], v[138:139], v[130:131]
	s_waitcnt vmcnt(17)
	v_add_f64 v[64:65], v[64:65], -v[100:101]
	s_waitcnt lgkmcnt(0)
	v_mul_f64 v[100:101], v[122:123], v[102:103]
	v_add_f64 v[66:67], v[66:67], -v[136:137]
	v_fma_f64 v[100:101], v[120:121], v[130:131], -v[100:101]
	v_mul_f64 v[120:121], v[120:121], v[102:103]
	ds_read2_b64 v[136:139], v132 offset0:28 offset1:29
	v_fmac_f64_e32 v[120:121], v[122:123], v[130:131]
	s_waitcnt vmcnt(16)
	v_add_f64 v[62:63], v[62:63], -v[120:121]
	ds_read2_b64 v[120:123], v132 offset0:30 offset1:31
	v_add_f64 v[60:61], v[60:61], -v[100:101]
	s_waitcnt lgkmcnt(1)
	v_mul_f64 v[100:101], v[138:139], v[102:103]
	v_fma_f64 v[100:101], v[136:137], v[130:131], -v[100:101]
	v_mul_f64 v[136:137], v[136:137], v[102:103]
	v_fmac_f64_e32 v[136:137], v[138:139], v[130:131]
	s_waitcnt vmcnt(15)
	v_add_f64 v[52:53], v[52:53], -v[100:101]
	s_waitcnt lgkmcnt(0)
	v_mul_f64 v[100:101], v[122:123], v[102:103]
	v_add_f64 v[54:55], v[54:55], -v[136:137]
	v_fma_f64 v[100:101], v[120:121], v[130:131], -v[100:101]
	v_mul_f64 v[120:121], v[120:121], v[102:103]
	ds_read2_b64 v[136:139], v132 offset0:32 offset1:33
	v_fmac_f64_e32 v[120:121], v[122:123], v[130:131]
	s_waitcnt vmcnt(14)
	v_add_f64 v[58:59], v[58:59], -v[120:121]
	ds_read2_b64 v[120:123], v132 offset0:34 offset1:35
	v_add_f64 v[56:57], v[56:57], -v[100:101]
	s_waitcnt lgkmcnt(1)
	v_mul_f64 v[100:101], v[138:139], v[102:103]
	v_fma_f64 v[100:101], v[136:137], v[130:131], -v[100:101]
	v_mul_f64 v[136:137], v[136:137], v[102:103]
	v_fmac_f64_e32 v[136:137], v[138:139], v[130:131]
	s_waitcnt vmcnt(13)
	v_add_f64 v[48:49], v[48:49], -v[100:101]
	s_waitcnt lgkmcnt(0)
	v_mul_f64 v[100:101], v[122:123], v[102:103]
	v_add_f64 v[50:51], v[50:51], -v[136:137]
	v_fma_f64 v[100:101], v[120:121], v[130:131], -v[100:101]
	v_mul_f64 v[120:121], v[120:121], v[102:103]
	ds_read2_b64 v[136:139], v132 offset0:36 offset1:37
	v_fmac_f64_e32 v[120:121], v[122:123], v[130:131]
	s_waitcnt vmcnt(12)
	v_add_f64 v[46:47], v[46:47], -v[120:121]
	ds_read2_b64 v[120:123], v132 offset0:38 offset1:39
	v_add_f64 v[44:45], v[44:45], -v[100:101]
	s_waitcnt lgkmcnt(1)
	v_mul_f64 v[100:101], v[138:139], v[102:103]
	v_fma_f64 v[100:101], v[136:137], v[130:131], -v[100:101]
	v_mul_f64 v[136:137], v[136:137], v[102:103]
	v_fmac_f64_e32 v[136:137], v[138:139], v[130:131]
	s_waitcnt vmcnt(11)
	v_add_f64 v[40:41], v[40:41], -v[100:101]
	s_waitcnt lgkmcnt(0)
	v_mul_f64 v[100:101], v[122:123], v[102:103]
	v_add_f64 v[42:43], v[42:43], -v[136:137]
	v_fma_f64 v[100:101], v[120:121], v[130:131], -v[100:101]
	v_mul_f64 v[120:121], v[120:121], v[102:103]
	ds_read2_b64 v[136:139], v132 offset0:40 offset1:41
	v_fmac_f64_e32 v[120:121], v[122:123], v[130:131]
	s_waitcnt vmcnt(10)
	v_add_f64 v[38:39], v[38:39], -v[120:121]
	ds_read2_b64 v[120:123], v132 offset0:42 offset1:43
	v_add_f64 v[36:37], v[36:37], -v[100:101]
	s_waitcnt lgkmcnt(1)
	v_mul_f64 v[100:101], v[138:139], v[102:103]
	v_fma_f64 v[100:101], v[136:137], v[130:131], -v[100:101]
	v_mul_f64 v[136:137], v[136:137], v[102:103]
	v_fmac_f64_e32 v[136:137], v[138:139], v[130:131]
	s_waitcnt vmcnt(9)
	v_add_f64 v[32:33], v[32:33], -v[100:101]
	s_waitcnt lgkmcnt(0)
	v_mul_f64 v[100:101], v[122:123], v[102:103]
	v_add_f64 v[34:35], v[34:35], -v[136:137]
	v_fma_f64 v[100:101], v[120:121], v[130:131], -v[100:101]
	v_mul_f64 v[120:121], v[120:121], v[102:103]
	ds_read2_b64 v[136:139], v132 offset0:44 offset1:45
	v_fmac_f64_e32 v[120:121], v[122:123], v[130:131]
	s_waitcnt vmcnt(8)
	v_add_f64 v[30:31], v[30:31], -v[120:121]
	ds_read2_b64 v[120:123], v132 offset0:46 offset1:47
	v_add_f64 v[28:29], v[28:29], -v[100:101]
	s_waitcnt lgkmcnt(1)
	v_mul_f64 v[100:101], v[138:139], v[102:103]
	v_fma_f64 v[100:101], v[136:137], v[130:131], -v[100:101]
	v_mul_f64 v[136:137], v[136:137], v[102:103]
	v_fmac_f64_e32 v[136:137], v[138:139], v[130:131]
	s_waitcnt vmcnt(7)
	v_add_f64 v[24:25], v[24:25], -v[100:101]
	s_waitcnt lgkmcnt(0)
	v_mul_f64 v[100:101], v[122:123], v[102:103]
	v_add_f64 v[26:27], v[26:27], -v[136:137]
	v_fma_f64 v[100:101], v[120:121], v[130:131], -v[100:101]
	v_mul_f64 v[120:121], v[120:121], v[102:103]
	ds_read2_b64 v[136:139], v132 offset0:48 offset1:49
	v_fmac_f64_e32 v[120:121], v[122:123], v[130:131]
	s_waitcnt vmcnt(6)
	v_add_f64 v[22:23], v[22:23], -v[120:121]
	ds_read2_b64 v[120:123], v132 offset0:50 offset1:51
	v_add_f64 v[20:21], v[20:21], -v[100:101]
	s_waitcnt lgkmcnt(1)
	v_mul_f64 v[100:101], v[138:139], v[102:103]
	v_fma_f64 v[100:101], v[136:137], v[130:131], -v[100:101]
	v_mul_f64 v[136:137], v[136:137], v[102:103]
	v_fmac_f64_e32 v[136:137], v[138:139], v[130:131]
	s_waitcnt vmcnt(5)
	v_add_f64 v[16:17], v[16:17], -v[100:101]
	s_waitcnt lgkmcnt(0)
	v_mul_f64 v[100:101], v[122:123], v[102:103]
	v_add_f64 v[18:19], v[18:19], -v[136:137]
	v_fma_f64 v[100:101], v[120:121], v[130:131], -v[100:101]
	v_mul_f64 v[120:121], v[120:121], v[102:103]
	ds_read2_b64 v[136:139], v132 offset0:52 offset1:53
	v_fmac_f64_e32 v[120:121], v[122:123], v[130:131]
	s_waitcnt vmcnt(4)
	v_add_f64 v[14:15], v[14:15], -v[120:121]
	ds_read2_b64 v[120:123], v132 offset0:54 offset1:55
	v_add_f64 v[12:13], v[12:13], -v[100:101]
	s_waitcnt lgkmcnt(1)
	v_mul_f64 v[100:101], v[138:139], v[102:103]
	v_fma_f64 v[100:101], v[136:137], v[130:131], -v[100:101]
	v_mul_f64 v[136:137], v[136:137], v[102:103]
	v_fmac_f64_e32 v[136:137], v[138:139], v[130:131]
	s_waitcnt vmcnt(3)
	v_add_f64 v[8:9], v[8:9], -v[100:101]
	s_waitcnt lgkmcnt(0)
	v_mul_f64 v[100:101], v[122:123], v[102:103]
	v_add_f64 v[10:11], v[10:11], -v[136:137]
	v_fma_f64 v[100:101], v[120:121], v[130:131], -v[100:101]
	v_mul_f64 v[120:121], v[120:121], v[102:103]
	ds_read2_b64 v[136:139], v132 offset0:56 offset1:57
	v_fmac_f64_e32 v[120:121], v[122:123], v[130:131]
	s_waitcnt vmcnt(2)
	v_add_f64 v[6:7], v[6:7], -v[120:121]
	ds_read2_b64 v[120:123], v132 offset0:58 offset1:59
	v_add_f64 v[4:5], v[4:5], -v[100:101]
	s_waitcnt lgkmcnt(1)
	v_mul_f64 v[100:101], v[138:139], v[102:103]
	v_fma_f64 v[100:101], v[136:137], v[130:131], -v[100:101]
	s_waitcnt vmcnt(1)
	v_add_f64 v[0:1], v[0:1], -v[100:101]
	s_waitcnt lgkmcnt(0)
	v_mul_f64 v[100:101], v[122:123], v[102:103]
	v_mul_f64 v[136:137], v[136:137], v[102:103]
	v_fma_f64 v[100:101], v[120:121], v[130:131], -v[100:101]
	v_mul_f64 v[120:121], v[120:121], v[102:103]
	v_fmac_f64_e32 v[136:137], v[138:139], v[130:131]
	v_fmac_f64_e32 v[120:121], v[122:123], v[130:131]
	v_add_f64 v[2:3], v[2:3], -v[136:137]
	s_waitcnt vmcnt(0)
	v_add_f64 v[116:117], v[116:117], -v[100:101]
	v_add_f64 v[118:119], v[118:119], -v[120:121]
	v_mov_b64_e32 v[100:101], v[130:131]
.LBB58_125:
	s_or_b64 exec, exec, s[0:1]
	v_lshl_add_u32 v120, v133, 4, v132
	s_barrier
	s_waitcnt vmcnt(23)
	ds_write2_b64 v120, v[96:97], v[98:99] offset1:1
	s_waitcnt lgkmcnt(0)
	s_barrier
	ds_read2_b64 v[120:123], v132 offset0:12 offset1:13
	s_cmp_lt_i32 s20, 8
	v_mov_b32_e32 v130, 6
	s_cbranch_scc1 .LBB58_128
; %bb.126:
	v_add_u32_e32 v131, 0x70, v132
	s_mov_b32 s16, 7
	v_mov_b32_e32 v130, 6
.LBB58_127:                             ; =>This Inner Loop Header: Depth=1
	ds_read2_b64 v[136:139], v131 offset1:1
	s_waitcnt lgkmcnt(1)
	v_xor_b32_e32 v141, 0x80000000, v121
	v_xor_b32_e32 v143, 0x80000000, v123
	v_cmp_gt_f64_e32 vcc, 0, v[122:123]
	v_cmp_gt_f64_e64 s[0:1], 0, v[120:121]
	v_mov_b32_e32 v140, v120
	v_mov_b32_e32 v142, v122
	v_cndmask_b32_e64 v141, v121, v141, s[0:1]
	v_cndmask_b32_e32 v143, v123, v143, vcc
	v_add_f64 v[140:141], v[140:141], v[142:143]
	s_waitcnt lgkmcnt(0)
	v_xor_b32_e32 v143, 0x80000000, v137
	v_xor_b32_e32 v145, 0x80000000, v139
	v_cmp_gt_f64_e32 vcc, 0, v[138:139]
	v_cmp_gt_f64_e64 s[0:1], 0, v[136:137]
	v_mov_b32_e32 v142, v136
	v_mov_b32_e32 v144, v138
	v_cndmask_b32_e64 v143, v137, v143, s[0:1]
	v_cndmask_b32_e32 v145, v139, v145, vcc
	v_add_f64 v[142:143], v[142:143], v[144:145]
	v_mov_b32_e32 v146, s16
	s_add_i32 s16, s16, 1
	v_cmp_lt_f64_e32 vcc, v[140:141], v[142:143]
	v_add_u32_e32 v131, 16, v131
	s_cmp_lg_u32 s20, s16
	v_cndmask_b32_e32 v121, v121, v137, vcc
	v_cndmask_b32_e32 v120, v120, v136, vcc
	;; [unrolled: 1-line block ×5, first 2 shown]
	s_cbranch_scc1 .LBB58_127
.LBB58_128:
	s_waitcnt lgkmcnt(0)
	v_cmp_eq_f64_e32 vcc, 0, v[120:121]
	v_cmp_eq_f64_e64 s[0:1], 0, v[122:123]
	s_and_b64 s[0:1], vcc, s[0:1]
	s_and_saveexec_b64 s[16:17], s[0:1]
	s_xor_b64 s[0:1], exec, s[16:17]
; %bb.129:
	v_cmp_ne_u32_e32 vcc, 0, v134
	s_nop 1
	v_cndmask_b32_e32 v134, 7, v134, vcc
; %bb.130:
	s_andn2_saveexec_b64 s[0:1], s[0:1]
	s_cbranch_execz .LBB58_136
; %bb.131:
	v_cmp_ngt_f64_e64 s[16:17], |v[120:121]|, |v[122:123]|
	s_and_saveexec_b64 s[18:19], s[16:17]
	s_xor_b64 s[16:17], exec, s[18:19]
	s_cbranch_execz .LBB58_133
; %bb.132:
	v_div_scale_f64 v[136:137], s[18:19], v[122:123], v[122:123], v[120:121]
	v_rcp_f64_e32 v[138:139], v[136:137]
	v_div_scale_f64 v[140:141], vcc, v[120:121], v[122:123], v[120:121]
	v_fma_f64 v[142:143], -v[136:137], v[138:139], 1.0
	v_fmac_f64_e32 v[138:139], v[138:139], v[142:143]
	v_fma_f64 v[142:143], -v[136:137], v[138:139], 1.0
	v_fmac_f64_e32 v[138:139], v[138:139], v[142:143]
	v_mul_f64 v[142:143], v[140:141], v[138:139]
	v_fma_f64 v[136:137], -v[136:137], v[142:143], v[140:141]
	v_div_fmas_f64 v[136:137], v[136:137], v[138:139], v[142:143]
	v_div_fixup_f64 v[136:137], v[136:137], v[122:123], v[120:121]
	v_fmac_f64_e32 v[122:123], v[120:121], v[136:137]
	v_div_scale_f64 v[120:121], s[18:19], v[122:123], v[122:123], 1.0
	v_rcp_f64_e32 v[138:139], v[120:121]
	s_nop 0
	v_fma_f64 v[140:141], -v[120:121], v[138:139], 1.0
	v_fmac_f64_e32 v[138:139], v[138:139], v[140:141]
	v_fma_f64 v[140:141], -v[120:121], v[138:139], 1.0
	v_fmac_f64_e32 v[138:139], v[138:139], v[140:141]
	v_div_scale_f64 v[140:141], vcc, 1.0, v[122:123], 1.0
	v_mul_f64 v[142:143], v[140:141], v[138:139]
	v_fma_f64 v[120:121], -v[120:121], v[142:143], v[140:141]
	s_nop 1
	v_div_fmas_f64 v[120:121], v[120:121], v[138:139], v[142:143]
	v_div_fixup_f64 v[122:123], v[120:121], v[122:123], 1.0
	v_mul_f64 v[120:121], v[136:137], v[122:123]
	v_xor_b32_e32 v123, 0x80000000, v123
.LBB58_133:
	s_andn2_saveexec_b64 s[16:17], s[16:17]
	s_cbranch_execz .LBB58_135
; %bb.134:
	v_div_scale_f64 v[136:137], s[18:19], v[120:121], v[120:121], v[122:123]
	v_rcp_f64_e32 v[138:139], v[136:137]
	v_div_scale_f64 v[140:141], vcc, v[122:123], v[120:121], v[122:123]
	v_fma_f64 v[142:143], -v[136:137], v[138:139], 1.0
	v_fmac_f64_e32 v[138:139], v[138:139], v[142:143]
	v_fma_f64 v[142:143], -v[136:137], v[138:139], 1.0
	v_fmac_f64_e32 v[138:139], v[138:139], v[142:143]
	v_mul_f64 v[142:143], v[140:141], v[138:139]
	v_fma_f64 v[136:137], -v[136:137], v[142:143], v[140:141]
	v_div_fmas_f64 v[136:137], v[136:137], v[138:139], v[142:143]
	v_div_fixup_f64 v[136:137], v[136:137], v[120:121], v[122:123]
	v_fmac_f64_e32 v[120:121], v[122:123], v[136:137]
	v_div_scale_f64 v[122:123], s[18:19], v[120:121], v[120:121], 1.0
	v_rcp_f64_e32 v[138:139], v[122:123]
	s_nop 0
	v_fma_f64 v[140:141], -v[122:123], v[138:139], 1.0
	v_fmac_f64_e32 v[138:139], v[138:139], v[140:141]
	v_fma_f64 v[140:141], -v[122:123], v[138:139], 1.0
	v_fmac_f64_e32 v[138:139], v[138:139], v[140:141]
	v_div_scale_f64 v[140:141], vcc, 1.0, v[120:121], 1.0
	v_mul_f64 v[142:143], v[140:141], v[138:139]
	v_fma_f64 v[122:123], -v[122:123], v[142:143], v[140:141]
	s_nop 1
	v_div_fmas_f64 v[122:123], v[122:123], v[138:139], v[142:143]
	v_div_fixup_f64 v[120:121], v[122:123], v[120:121], 1.0
	v_mul_f64 v[122:123], v[136:137], -v[120:121]
.LBB58_135:
	s_or_b64 exec, exec, s[16:17]
.LBB58_136:
	s_or_b64 exec, exec, s[0:1]
	v_cmp_ne_u32_e32 vcc, v133, v130
	s_and_saveexec_b64 s[0:1], vcc
	s_xor_b64 s[0:1], exec, s[0:1]
	s_cbranch_execz .LBB58_142
; %bb.137:
	v_cmp_eq_u32_e32 vcc, 6, v133
	s_and_saveexec_b64 s[16:17], vcc
	s_cbranch_execz .LBB58_141
; %bb.138:
	v_cmp_ne_u32_e32 vcc, 6, v130
	s_xor_b64 s[18:19], s[14:15], -1
	s_and_b64 s[22:23], s[18:19], vcc
	s_and_saveexec_b64 s[18:19], s[22:23]
	s_cbranch_execz .LBB58_140
; %bb.139:
	v_ashrrev_i32_e32 v131, 31, v130
	v_lshl_add_u64 v[136:137], v[130:131], 2, v[128:129]
	global_load_dword v131, v[136:137], off
	global_load_dword v133, v[128:129], off offset:24
	s_waitcnt vmcnt(1)
	global_store_dword v[128:129], v131, off offset:24
	s_waitcnt vmcnt(1)
	global_store_dword v[136:137], v133, off
.LBB58_140:
	s_or_b64 exec, exec, s[18:19]
	v_mov_b32_e32 v133, v130
	v_mov_b32_e32 v135, v130
.LBB58_141:
	s_or_b64 exec, exec, s[16:17]
.LBB58_142:
	s_andn2_saveexec_b64 s[0:1], s[0:1]
	s_cbranch_execz .LBB58_144
; %bb.143:
	v_mov_b32_e32 v133, 6
	s_waitcnt vmcnt(22)
	ds_write2_b64 v132, v[92:93], v[94:95] offset0:14 offset1:15
	s_waitcnt vmcnt(21)
	ds_write2_b64 v132, v[88:89], v[90:91] offset0:16 offset1:17
	;; [unrolled: 2-line block ×23, first 2 shown]
.LBB58_144:
	s_or_b64 exec, exec, s[0:1]
	v_cmp_lt_i32_e32 vcc, 6, v133
	s_waitcnt lgkmcnt(0)
	s_barrier
	s_and_saveexec_b64 s[0:1], vcc
	s_cbranch_execz .LBB58_146
; %bb.145:
	ds_read2_b64 v[136:139], v132 offset0:14 offset1:15
	v_mul_f64 v[130:131], v[122:123], v[98:99]
	v_mul_f64 v[98:99], v[120:121], v[98:99]
	v_fmac_f64_e32 v[98:99], v[122:123], v[96:97]
	v_fma_f64 v[130:131], v[120:121], v[96:97], -v[130:131]
	ds_read2_b64 v[120:123], v132 offset0:16 offset1:17
	s_waitcnt lgkmcnt(1)
	v_mul_f64 v[96:97], v[138:139], v[98:99]
	v_fma_f64 v[96:97], v[136:137], v[130:131], -v[96:97]
	v_mul_f64 v[136:137], v[136:137], v[98:99]
	v_fmac_f64_e32 v[136:137], v[138:139], v[130:131]
	s_waitcnt vmcnt(22)
	v_add_f64 v[94:95], v[94:95], -v[136:137]
	ds_read2_b64 v[136:139], v132 offset0:18 offset1:19
	v_add_f64 v[92:93], v[92:93], -v[96:97]
	s_waitcnt lgkmcnt(1)
	v_mul_f64 v[96:97], v[122:123], v[98:99]
	v_fma_f64 v[96:97], v[120:121], v[130:131], -v[96:97]
	v_mul_f64 v[120:121], v[120:121], v[98:99]
	v_fmac_f64_e32 v[120:121], v[122:123], v[130:131]
	s_waitcnt vmcnt(21)
	v_add_f64 v[88:89], v[88:89], -v[96:97]
	v_add_f64 v[90:91], v[90:91], -v[120:121]
	ds_read2_b64 v[120:123], v132 offset0:20 offset1:21
	s_waitcnt lgkmcnt(1)
	v_mul_f64 v[96:97], v[138:139], v[98:99]
	v_fma_f64 v[96:97], v[136:137], v[130:131], -v[96:97]
	v_mul_f64 v[136:137], v[136:137], v[98:99]
	v_fmac_f64_e32 v[136:137], v[138:139], v[130:131]
	s_waitcnt vmcnt(20)
	v_add_f64 v[82:83], v[82:83], -v[136:137]
	ds_read2_b64 v[136:139], v132 offset0:22 offset1:23
	v_add_f64 v[80:81], v[80:81], -v[96:97]
	s_waitcnt lgkmcnt(1)
	v_mul_f64 v[96:97], v[122:123], v[98:99]
	v_fma_f64 v[96:97], v[120:121], v[130:131], -v[96:97]
	v_mul_f64 v[120:121], v[120:121], v[98:99]
	v_fmac_f64_e32 v[120:121], v[122:123], v[130:131]
	s_waitcnt vmcnt(19)
	v_add_f64 v[72:73], v[72:73], -v[96:97]
	v_add_f64 v[74:75], v[74:75], -v[120:121]
	;; [unrolled: 18-line block ×11, first 2 shown]
	s_waitcnt lgkmcnt(0)
	v_mul_f64 v[96:97], v[138:139], v[98:99]
	v_mul_f64 v[120:121], v[136:137], v[98:99]
	v_fma_f64 v[96:97], v[136:137], v[130:131], -v[96:97]
	v_fmac_f64_e32 v[120:121], v[138:139], v[130:131]
	s_waitcnt vmcnt(0)
	v_add_f64 v[116:117], v[116:117], -v[96:97]
	v_add_f64 v[118:119], v[118:119], -v[120:121]
	v_mov_b64_e32 v[96:97], v[130:131]
.LBB58_146:
	s_or_b64 exec, exec, s[0:1]
	v_lshl_add_u32 v120, v133, 4, v132
	s_barrier
	s_waitcnt vmcnt(22)
	ds_write2_b64 v120, v[92:93], v[94:95] offset1:1
	s_waitcnt lgkmcnt(0)
	s_barrier
	ds_read2_b64 v[120:123], v132 offset0:14 offset1:15
	s_cmp_lt_i32 s20, 9
	v_mov_b32_e32 v130, 7
	s_cbranch_scc1 .LBB58_149
; %bb.147:
	v_add_u32_e32 v131, 0x80, v132
	s_mov_b32 s16, 8
	v_mov_b32_e32 v130, 7
.LBB58_148:                             ; =>This Inner Loop Header: Depth=1
	ds_read2_b64 v[136:139], v131 offset1:1
	s_waitcnt lgkmcnt(1)
	v_xor_b32_e32 v141, 0x80000000, v121
	v_xor_b32_e32 v143, 0x80000000, v123
	v_cmp_gt_f64_e32 vcc, 0, v[122:123]
	v_cmp_gt_f64_e64 s[0:1], 0, v[120:121]
	v_mov_b32_e32 v140, v120
	v_mov_b32_e32 v142, v122
	v_cndmask_b32_e64 v141, v121, v141, s[0:1]
	v_cndmask_b32_e32 v143, v123, v143, vcc
	v_add_f64 v[140:141], v[140:141], v[142:143]
	s_waitcnt lgkmcnt(0)
	v_xor_b32_e32 v143, 0x80000000, v137
	v_xor_b32_e32 v145, 0x80000000, v139
	v_cmp_gt_f64_e32 vcc, 0, v[138:139]
	v_cmp_gt_f64_e64 s[0:1], 0, v[136:137]
	v_mov_b32_e32 v142, v136
	v_mov_b32_e32 v144, v138
	v_cndmask_b32_e64 v143, v137, v143, s[0:1]
	v_cndmask_b32_e32 v145, v139, v145, vcc
	v_add_f64 v[142:143], v[142:143], v[144:145]
	v_mov_b32_e32 v146, s16
	s_add_i32 s16, s16, 1
	v_cmp_lt_f64_e32 vcc, v[140:141], v[142:143]
	v_add_u32_e32 v131, 16, v131
	s_cmp_lg_u32 s20, s16
	v_cndmask_b32_e32 v121, v121, v137, vcc
	v_cndmask_b32_e32 v120, v120, v136, vcc
	;; [unrolled: 1-line block ×5, first 2 shown]
	s_cbranch_scc1 .LBB58_148
.LBB58_149:
	s_waitcnt lgkmcnt(0)
	v_cmp_eq_f64_e32 vcc, 0, v[120:121]
	v_cmp_eq_f64_e64 s[0:1], 0, v[122:123]
	s_and_b64 s[0:1], vcc, s[0:1]
	s_and_saveexec_b64 s[16:17], s[0:1]
	s_xor_b64 s[0:1], exec, s[16:17]
; %bb.150:
	v_cmp_ne_u32_e32 vcc, 0, v134
	s_nop 1
	v_cndmask_b32_e32 v134, 8, v134, vcc
; %bb.151:
	s_andn2_saveexec_b64 s[0:1], s[0:1]
	s_cbranch_execz .LBB58_157
; %bb.152:
	v_cmp_ngt_f64_e64 s[16:17], |v[120:121]|, |v[122:123]|
	s_and_saveexec_b64 s[18:19], s[16:17]
	s_xor_b64 s[16:17], exec, s[18:19]
	s_cbranch_execz .LBB58_154
; %bb.153:
	v_div_scale_f64 v[136:137], s[18:19], v[122:123], v[122:123], v[120:121]
	v_rcp_f64_e32 v[138:139], v[136:137]
	v_div_scale_f64 v[140:141], vcc, v[120:121], v[122:123], v[120:121]
	v_fma_f64 v[142:143], -v[136:137], v[138:139], 1.0
	v_fmac_f64_e32 v[138:139], v[138:139], v[142:143]
	v_fma_f64 v[142:143], -v[136:137], v[138:139], 1.0
	v_fmac_f64_e32 v[138:139], v[138:139], v[142:143]
	v_mul_f64 v[142:143], v[140:141], v[138:139]
	v_fma_f64 v[136:137], -v[136:137], v[142:143], v[140:141]
	v_div_fmas_f64 v[136:137], v[136:137], v[138:139], v[142:143]
	v_div_fixup_f64 v[136:137], v[136:137], v[122:123], v[120:121]
	v_fmac_f64_e32 v[122:123], v[120:121], v[136:137]
	v_div_scale_f64 v[120:121], s[18:19], v[122:123], v[122:123], 1.0
	v_rcp_f64_e32 v[138:139], v[120:121]
	s_nop 0
	v_fma_f64 v[140:141], -v[120:121], v[138:139], 1.0
	v_fmac_f64_e32 v[138:139], v[138:139], v[140:141]
	v_fma_f64 v[140:141], -v[120:121], v[138:139], 1.0
	v_fmac_f64_e32 v[138:139], v[138:139], v[140:141]
	v_div_scale_f64 v[140:141], vcc, 1.0, v[122:123], 1.0
	v_mul_f64 v[142:143], v[140:141], v[138:139]
	v_fma_f64 v[120:121], -v[120:121], v[142:143], v[140:141]
	s_nop 1
	v_div_fmas_f64 v[120:121], v[120:121], v[138:139], v[142:143]
	v_div_fixup_f64 v[122:123], v[120:121], v[122:123], 1.0
	v_mul_f64 v[120:121], v[136:137], v[122:123]
	v_xor_b32_e32 v123, 0x80000000, v123
.LBB58_154:
	s_andn2_saveexec_b64 s[16:17], s[16:17]
	s_cbranch_execz .LBB58_156
; %bb.155:
	v_div_scale_f64 v[136:137], s[18:19], v[120:121], v[120:121], v[122:123]
	v_rcp_f64_e32 v[138:139], v[136:137]
	v_div_scale_f64 v[140:141], vcc, v[122:123], v[120:121], v[122:123]
	v_fma_f64 v[142:143], -v[136:137], v[138:139], 1.0
	v_fmac_f64_e32 v[138:139], v[138:139], v[142:143]
	v_fma_f64 v[142:143], -v[136:137], v[138:139], 1.0
	v_fmac_f64_e32 v[138:139], v[138:139], v[142:143]
	v_mul_f64 v[142:143], v[140:141], v[138:139]
	v_fma_f64 v[136:137], -v[136:137], v[142:143], v[140:141]
	v_div_fmas_f64 v[136:137], v[136:137], v[138:139], v[142:143]
	v_div_fixup_f64 v[136:137], v[136:137], v[120:121], v[122:123]
	v_fmac_f64_e32 v[120:121], v[122:123], v[136:137]
	v_div_scale_f64 v[122:123], s[18:19], v[120:121], v[120:121], 1.0
	v_rcp_f64_e32 v[138:139], v[122:123]
	s_nop 0
	v_fma_f64 v[140:141], -v[122:123], v[138:139], 1.0
	v_fmac_f64_e32 v[138:139], v[138:139], v[140:141]
	v_fma_f64 v[140:141], -v[122:123], v[138:139], 1.0
	v_fmac_f64_e32 v[138:139], v[138:139], v[140:141]
	v_div_scale_f64 v[140:141], vcc, 1.0, v[120:121], 1.0
	v_mul_f64 v[142:143], v[140:141], v[138:139]
	v_fma_f64 v[122:123], -v[122:123], v[142:143], v[140:141]
	s_nop 1
	v_div_fmas_f64 v[122:123], v[122:123], v[138:139], v[142:143]
	v_div_fixup_f64 v[120:121], v[122:123], v[120:121], 1.0
	v_mul_f64 v[122:123], v[136:137], -v[120:121]
.LBB58_156:
	s_or_b64 exec, exec, s[16:17]
.LBB58_157:
	s_or_b64 exec, exec, s[0:1]
	v_cmp_ne_u32_e32 vcc, v133, v130
	s_and_saveexec_b64 s[0:1], vcc
	s_xor_b64 s[0:1], exec, s[0:1]
	s_cbranch_execz .LBB58_163
; %bb.158:
	v_cmp_eq_u32_e32 vcc, 7, v133
	s_and_saveexec_b64 s[16:17], vcc
	s_cbranch_execz .LBB58_162
; %bb.159:
	v_cmp_ne_u32_e32 vcc, 7, v130
	s_xor_b64 s[18:19], s[14:15], -1
	s_and_b64 s[22:23], s[18:19], vcc
	s_and_saveexec_b64 s[18:19], s[22:23]
	s_cbranch_execz .LBB58_161
; %bb.160:
	v_ashrrev_i32_e32 v131, 31, v130
	v_lshl_add_u64 v[136:137], v[130:131], 2, v[128:129]
	global_load_dword v131, v[136:137], off
	global_load_dword v133, v[128:129], off offset:28
	s_waitcnt vmcnt(1)
	global_store_dword v[128:129], v131, off offset:28
	s_waitcnt vmcnt(1)
	global_store_dword v[136:137], v133, off
.LBB58_161:
	s_or_b64 exec, exec, s[18:19]
	v_mov_b32_e32 v133, v130
	v_mov_b32_e32 v135, v130
.LBB58_162:
	s_or_b64 exec, exec, s[16:17]
.LBB58_163:
	s_andn2_saveexec_b64 s[0:1], s[0:1]
	s_cbranch_execz .LBB58_165
; %bb.164:
	v_mov_b32_e32 v133, 7
	s_waitcnt vmcnt(21)
	ds_write2_b64 v132, v[88:89], v[90:91] offset0:16 offset1:17
	s_waitcnt vmcnt(20)
	ds_write2_b64 v132, v[80:81], v[82:83] offset0:18 offset1:19
	;; [unrolled: 2-line block ×22, first 2 shown]
.LBB58_165:
	s_or_b64 exec, exec, s[0:1]
	v_cmp_lt_i32_e32 vcc, 7, v133
	s_waitcnt lgkmcnt(0)
	s_barrier
	s_and_saveexec_b64 s[0:1], vcc
	s_cbranch_execz .LBB58_167
; %bb.166:
	ds_read2_b64 v[136:139], v132 offset0:16 offset1:17
	v_mul_f64 v[130:131], v[122:123], v[94:95]
	v_mul_f64 v[94:95], v[120:121], v[94:95]
	v_fma_f64 v[130:131], v[120:121], v[92:93], -v[130:131]
	v_fmac_f64_e32 v[94:95], v[122:123], v[92:93]
	ds_read2_b64 v[120:123], v132 offset0:18 offset1:19
	s_waitcnt lgkmcnt(1)
	v_mul_f64 v[92:93], v[138:139], v[94:95]
	v_fma_f64 v[92:93], v[136:137], v[130:131], -v[92:93]
	v_mul_f64 v[136:137], v[136:137], v[94:95]
	v_fmac_f64_e32 v[136:137], v[138:139], v[130:131]
	s_waitcnt vmcnt(21)
	v_add_f64 v[88:89], v[88:89], -v[92:93]
	s_waitcnt lgkmcnt(0)
	v_mul_f64 v[92:93], v[122:123], v[94:95]
	v_add_f64 v[90:91], v[90:91], -v[136:137]
	v_fma_f64 v[92:93], v[120:121], v[130:131], -v[92:93]
	v_mul_f64 v[120:121], v[120:121], v[94:95]
	ds_read2_b64 v[136:139], v132 offset0:20 offset1:21
	v_fmac_f64_e32 v[120:121], v[122:123], v[130:131]
	s_waitcnt vmcnt(20)
	v_add_f64 v[82:83], v[82:83], -v[120:121]
	ds_read2_b64 v[120:123], v132 offset0:22 offset1:23
	v_add_f64 v[80:81], v[80:81], -v[92:93]
	s_waitcnt lgkmcnt(1)
	v_mul_f64 v[92:93], v[138:139], v[94:95]
	v_fma_f64 v[92:93], v[136:137], v[130:131], -v[92:93]
	v_mul_f64 v[136:137], v[136:137], v[94:95]
	v_fmac_f64_e32 v[136:137], v[138:139], v[130:131]
	s_waitcnt vmcnt(19)
	v_add_f64 v[72:73], v[72:73], -v[92:93]
	s_waitcnt lgkmcnt(0)
	v_mul_f64 v[92:93], v[122:123], v[94:95]
	v_add_f64 v[74:75], v[74:75], -v[136:137]
	v_fma_f64 v[92:93], v[120:121], v[130:131], -v[92:93]
	v_mul_f64 v[120:121], v[120:121], v[94:95]
	ds_read2_b64 v[136:139], v132 offset0:24 offset1:25
	v_fmac_f64_e32 v[120:121], v[122:123], v[130:131]
	s_waitcnt vmcnt(18)
	v_add_f64 v[70:71], v[70:71], -v[120:121]
	ds_read2_b64 v[120:123], v132 offset0:26 offset1:27
	v_add_f64 v[68:69], v[68:69], -v[92:93]
	;; [unrolled: 18-line block ×10, first 2 shown]
	s_waitcnt lgkmcnt(1)
	v_mul_f64 v[92:93], v[138:139], v[94:95]
	v_fma_f64 v[92:93], v[136:137], v[130:131], -v[92:93]
	s_waitcnt vmcnt(1)
	v_add_f64 v[0:1], v[0:1], -v[92:93]
	s_waitcnt lgkmcnt(0)
	v_mul_f64 v[92:93], v[122:123], v[94:95]
	v_mul_f64 v[136:137], v[136:137], v[94:95]
	v_fma_f64 v[92:93], v[120:121], v[130:131], -v[92:93]
	v_mul_f64 v[120:121], v[120:121], v[94:95]
	v_fmac_f64_e32 v[136:137], v[138:139], v[130:131]
	v_fmac_f64_e32 v[120:121], v[122:123], v[130:131]
	v_add_f64 v[2:3], v[2:3], -v[136:137]
	s_waitcnt vmcnt(0)
	v_add_f64 v[116:117], v[116:117], -v[92:93]
	v_add_f64 v[118:119], v[118:119], -v[120:121]
	v_mov_b64_e32 v[92:93], v[130:131]
.LBB58_167:
	s_or_b64 exec, exec, s[0:1]
	v_lshl_add_u32 v120, v133, 4, v132
	s_barrier
	s_waitcnt vmcnt(21)
	ds_write2_b64 v120, v[88:89], v[90:91] offset1:1
	s_waitcnt lgkmcnt(0)
	s_barrier
	ds_read2_b64 v[120:123], v132 offset0:16 offset1:17
	s_cmp_lt_i32 s20, 10
	v_mov_b32_e32 v130, 8
	s_cbranch_scc1 .LBB58_170
; %bb.168:
	v_add_u32_e32 v131, 0x90, v132
	s_mov_b32 s16, 9
	v_mov_b32_e32 v130, 8
.LBB58_169:                             ; =>This Inner Loop Header: Depth=1
	ds_read2_b64 v[136:139], v131 offset1:1
	s_waitcnt lgkmcnt(1)
	v_xor_b32_e32 v141, 0x80000000, v121
	v_xor_b32_e32 v143, 0x80000000, v123
	v_cmp_gt_f64_e32 vcc, 0, v[122:123]
	v_cmp_gt_f64_e64 s[0:1], 0, v[120:121]
	v_mov_b32_e32 v140, v120
	v_mov_b32_e32 v142, v122
	v_cndmask_b32_e64 v141, v121, v141, s[0:1]
	v_cndmask_b32_e32 v143, v123, v143, vcc
	v_add_f64 v[140:141], v[140:141], v[142:143]
	s_waitcnt lgkmcnt(0)
	v_xor_b32_e32 v143, 0x80000000, v137
	v_xor_b32_e32 v145, 0x80000000, v139
	v_cmp_gt_f64_e32 vcc, 0, v[138:139]
	v_cmp_gt_f64_e64 s[0:1], 0, v[136:137]
	v_mov_b32_e32 v142, v136
	v_mov_b32_e32 v144, v138
	v_cndmask_b32_e64 v143, v137, v143, s[0:1]
	v_cndmask_b32_e32 v145, v139, v145, vcc
	v_add_f64 v[142:143], v[142:143], v[144:145]
	v_mov_b32_e32 v146, s16
	s_add_i32 s16, s16, 1
	v_cmp_lt_f64_e32 vcc, v[140:141], v[142:143]
	v_add_u32_e32 v131, 16, v131
	s_cmp_lg_u32 s20, s16
	v_cndmask_b32_e32 v121, v121, v137, vcc
	v_cndmask_b32_e32 v120, v120, v136, vcc
	;; [unrolled: 1-line block ×5, first 2 shown]
	s_cbranch_scc1 .LBB58_169
.LBB58_170:
	s_waitcnt lgkmcnt(0)
	v_cmp_eq_f64_e32 vcc, 0, v[120:121]
	v_cmp_eq_f64_e64 s[0:1], 0, v[122:123]
	s_and_b64 s[0:1], vcc, s[0:1]
	s_and_saveexec_b64 s[16:17], s[0:1]
	s_xor_b64 s[0:1], exec, s[16:17]
; %bb.171:
	v_cmp_ne_u32_e32 vcc, 0, v134
	s_nop 1
	v_cndmask_b32_e32 v134, 9, v134, vcc
; %bb.172:
	s_andn2_saveexec_b64 s[0:1], s[0:1]
	s_cbranch_execz .LBB58_178
; %bb.173:
	v_cmp_ngt_f64_e64 s[16:17], |v[120:121]|, |v[122:123]|
	s_and_saveexec_b64 s[18:19], s[16:17]
	s_xor_b64 s[16:17], exec, s[18:19]
	s_cbranch_execz .LBB58_175
; %bb.174:
	v_div_scale_f64 v[136:137], s[18:19], v[122:123], v[122:123], v[120:121]
	v_rcp_f64_e32 v[138:139], v[136:137]
	v_div_scale_f64 v[140:141], vcc, v[120:121], v[122:123], v[120:121]
	v_fma_f64 v[142:143], -v[136:137], v[138:139], 1.0
	v_fmac_f64_e32 v[138:139], v[138:139], v[142:143]
	v_fma_f64 v[142:143], -v[136:137], v[138:139], 1.0
	v_fmac_f64_e32 v[138:139], v[138:139], v[142:143]
	v_mul_f64 v[142:143], v[140:141], v[138:139]
	v_fma_f64 v[136:137], -v[136:137], v[142:143], v[140:141]
	v_div_fmas_f64 v[136:137], v[136:137], v[138:139], v[142:143]
	v_div_fixup_f64 v[136:137], v[136:137], v[122:123], v[120:121]
	v_fmac_f64_e32 v[122:123], v[120:121], v[136:137]
	v_div_scale_f64 v[120:121], s[18:19], v[122:123], v[122:123], 1.0
	v_rcp_f64_e32 v[138:139], v[120:121]
	s_nop 0
	v_fma_f64 v[140:141], -v[120:121], v[138:139], 1.0
	v_fmac_f64_e32 v[138:139], v[138:139], v[140:141]
	v_fma_f64 v[140:141], -v[120:121], v[138:139], 1.0
	v_fmac_f64_e32 v[138:139], v[138:139], v[140:141]
	v_div_scale_f64 v[140:141], vcc, 1.0, v[122:123], 1.0
	v_mul_f64 v[142:143], v[140:141], v[138:139]
	v_fma_f64 v[120:121], -v[120:121], v[142:143], v[140:141]
	s_nop 1
	v_div_fmas_f64 v[120:121], v[120:121], v[138:139], v[142:143]
	v_div_fixup_f64 v[122:123], v[120:121], v[122:123], 1.0
	v_mul_f64 v[120:121], v[136:137], v[122:123]
	v_xor_b32_e32 v123, 0x80000000, v123
.LBB58_175:
	s_andn2_saveexec_b64 s[16:17], s[16:17]
	s_cbranch_execz .LBB58_177
; %bb.176:
	v_div_scale_f64 v[136:137], s[18:19], v[120:121], v[120:121], v[122:123]
	v_rcp_f64_e32 v[138:139], v[136:137]
	v_div_scale_f64 v[140:141], vcc, v[122:123], v[120:121], v[122:123]
	v_fma_f64 v[142:143], -v[136:137], v[138:139], 1.0
	v_fmac_f64_e32 v[138:139], v[138:139], v[142:143]
	v_fma_f64 v[142:143], -v[136:137], v[138:139], 1.0
	v_fmac_f64_e32 v[138:139], v[138:139], v[142:143]
	v_mul_f64 v[142:143], v[140:141], v[138:139]
	v_fma_f64 v[136:137], -v[136:137], v[142:143], v[140:141]
	v_div_fmas_f64 v[136:137], v[136:137], v[138:139], v[142:143]
	v_div_fixup_f64 v[136:137], v[136:137], v[120:121], v[122:123]
	v_fmac_f64_e32 v[120:121], v[122:123], v[136:137]
	v_div_scale_f64 v[122:123], s[18:19], v[120:121], v[120:121], 1.0
	v_rcp_f64_e32 v[138:139], v[122:123]
	s_nop 0
	v_fma_f64 v[140:141], -v[122:123], v[138:139], 1.0
	v_fmac_f64_e32 v[138:139], v[138:139], v[140:141]
	v_fma_f64 v[140:141], -v[122:123], v[138:139], 1.0
	v_fmac_f64_e32 v[138:139], v[138:139], v[140:141]
	v_div_scale_f64 v[140:141], vcc, 1.0, v[120:121], 1.0
	v_mul_f64 v[142:143], v[140:141], v[138:139]
	v_fma_f64 v[122:123], -v[122:123], v[142:143], v[140:141]
	s_nop 1
	v_div_fmas_f64 v[122:123], v[122:123], v[138:139], v[142:143]
	v_div_fixup_f64 v[120:121], v[122:123], v[120:121], 1.0
	v_mul_f64 v[122:123], v[136:137], -v[120:121]
.LBB58_177:
	s_or_b64 exec, exec, s[16:17]
.LBB58_178:
	s_or_b64 exec, exec, s[0:1]
	v_cmp_ne_u32_e32 vcc, v133, v130
	s_and_saveexec_b64 s[0:1], vcc
	s_xor_b64 s[0:1], exec, s[0:1]
	s_cbranch_execz .LBB58_184
; %bb.179:
	v_cmp_eq_u32_e32 vcc, 8, v133
	s_and_saveexec_b64 s[16:17], vcc
	s_cbranch_execz .LBB58_183
; %bb.180:
	v_cmp_ne_u32_e32 vcc, 8, v130
	s_xor_b64 s[18:19], s[14:15], -1
	s_and_b64 s[22:23], s[18:19], vcc
	s_and_saveexec_b64 s[18:19], s[22:23]
	s_cbranch_execz .LBB58_182
; %bb.181:
	v_ashrrev_i32_e32 v131, 31, v130
	v_lshl_add_u64 v[136:137], v[130:131], 2, v[128:129]
	global_load_dword v131, v[136:137], off
	global_load_dword v133, v[128:129], off offset:32
	s_waitcnt vmcnt(1)
	global_store_dword v[128:129], v131, off offset:32
	s_waitcnt vmcnt(1)
	global_store_dword v[136:137], v133, off
.LBB58_182:
	s_or_b64 exec, exec, s[18:19]
	v_mov_b32_e32 v133, v130
	v_mov_b32_e32 v135, v130
.LBB58_183:
	s_or_b64 exec, exec, s[16:17]
.LBB58_184:
	s_andn2_saveexec_b64 s[0:1], s[0:1]
	s_cbranch_execz .LBB58_186
; %bb.185:
	v_mov_b32_e32 v133, 8
	s_waitcnt vmcnt(20)
	ds_write2_b64 v132, v[80:81], v[82:83] offset0:18 offset1:19
	s_waitcnt vmcnt(19)
	ds_write2_b64 v132, v[72:73], v[74:75] offset0:20 offset1:21
	;; [unrolled: 2-line block ×21, first 2 shown]
.LBB58_186:
	s_or_b64 exec, exec, s[0:1]
	v_cmp_lt_i32_e32 vcc, 8, v133
	s_waitcnt lgkmcnt(0)
	s_barrier
	s_and_saveexec_b64 s[0:1], vcc
	s_cbranch_execz .LBB58_188
; %bb.187:
	ds_read2_b64 v[136:139], v132 offset0:18 offset1:19
	v_mul_f64 v[130:131], v[122:123], v[90:91]
	v_mul_f64 v[90:91], v[120:121], v[90:91]
	v_fmac_f64_e32 v[90:91], v[122:123], v[88:89]
	v_fma_f64 v[130:131], v[120:121], v[88:89], -v[130:131]
	ds_read2_b64 v[120:123], v132 offset0:20 offset1:21
	s_waitcnt lgkmcnt(1)
	v_mul_f64 v[88:89], v[138:139], v[90:91]
	v_fma_f64 v[88:89], v[136:137], v[130:131], -v[88:89]
	v_mul_f64 v[136:137], v[136:137], v[90:91]
	v_fmac_f64_e32 v[136:137], v[138:139], v[130:131]
	s_waitcnt vmcnt(20)
	v_add_f64 v[82:83], v[82:83], -v[136:137]
	ds_read2_b64 v[136:139], v132 offset0:22 offset1:23
	v_add_f64 v[80:81], v[80:81], -v[88:89]
	s_waitcnt lgkmcnt(1)
	v_mul_f64 v[88:89], v[122:123], v[90:91]
	v_fma_f64 v[88:89], v[120:121], v[130:131], -v[88:89]
	v_mul_f64 v[120:121], v[120:121], v[90:91]
	v_fmac_f64_e32 v[120:121], v[122:123], v[130:131]
	s_waitcnt vmcnt(19)
	v_add_f64 v[72:73], v[72:73], -v[88:89]
	v_add_f64 v[74:75], v[74:75], -v[120:121]
	ds_read2_b64 v[120:123], v132 offset0:24 offset1:25
	s_waitcnt lgkmcnt(1)
	v_mul_f64 v[88:89], v[138:139], v[90:91]
	v_fma_f64 v[88:89], v[136:137], v[130:131], -v[88:89]
	v_mul_f64 v[136:137], v[136:137], v[90:91]
	v_fmac_f64_e32 v[136:137], v[138:139], v[130:131]
	s_waitcnt vmcnt(18)
	v_add_f64 v[70:71], v[70:71], -v[136:137]
	ds_read2_b64 v[136:139], v132 offset0:26 offset1:27
	v_add_f64 v[68:69], v[68:69], -v[88:89]
	s_waitcnt lgkmcnt(1)
	v_mul_f64 v[88:89], v[122:123], v[90:91]
	v_fma_f64 v[88:89], v[120:121], v[130:131], -v[88:89]
	v_mul_f64 v[120:121], v[120:121], v[90:91]
	v_fmac_f64_e32 v[120:121], v[122:123], v[130:131]
	s_waitcnt vmcnt(17)
	v_add_f64 v[64:65], v[64:65], -v[88:89]
	v_add_f64 v[66:67], v[66:67], -v[120:121]
	;; [unrolled: 18-line block ×10, first 2 shown]
	s_waitcnt lgkmcnt(0)
	v_mul_f64 v[88:89], v[138:139], v[90:91]
	v_mul_f64 v[120:121], v[136:137], v[90:91]
	v_fma_f64 v[88:89], v[136:137], v[130:131], -v[88:89]
	v_fmac_f64_e32 v[120:121], v[138:139], v[130:131]
	s_waitcnt vmcnt(0)
	v_add_f64 v[116:117], v[116:117], -v[88:89]
	v_add_f64 v[118:119], v[118:119], -v[120:121]
	v_mov_b64_e32 v[88:89], v[130:131]
.LBB58_188:
	s_or_b64 exec, exec, s[0:1]
	v_lshl_add_u32 v120, v133, 4, v132
	s_barrier
	s_waitcnt vmcnt(20)
	ds_write2_b64 v120, v[80:81], v[82:83] offset1:1
	s_waitcnt lgkmcnt(0)
	s_barrier
	ds_read2_b64 v[120:123], v132 offset0:18 offset1:19
	s_cmp_lt_i32 s20, 11
	v_mov_b32_e32 v130, 9
	s_cbranch_scc1 .LBB58_191
; %bb.189:
	v_add_u32_e32 v131, 0xa0, v132
	s_mov_b32 s16, 10
	v_mov_b32_e32 v130, 9
.LBB58_190:                             ; =>This Inner Loop Header: Depth=1
	ds_read2_b64 v[136:139], v131 offset1:1
	s_waitcnt lgkmcnt(1)
	v_xor_b32_e32 v141, 0x80000000, v121
	v_xor_b32_e32 v143, 0x80000000, v123
	v_cmp_gt_f64_e32 vcc, 0, v[122:123]
	v_cmp_gt_f64_e64 s[0:1], 0, v[120:121]
	v_mov_b32_e32 v140, v120
	v_mov_b32_e32 v142, v122
	v_cndmask_b32_e64 v141, v121, v141, s[0:1]
	v_cndmask_b32_e32 v143, v123, v143, vcc
	v_add_f64 v[140:141], v[140:141], v[142:143]
	s_waitcnt lgkmcnt(0)
	v_xor_b32_e32 v143, 0x80000000, v137
	v_xor_b32_e32 v145, 0x80000000, v139
	v_cmp_gt_f64_e32 vcc, 0, v[138:139]
	v_cmp_gt_f64_e64 s[0:1], 0, v[136:137]
	v_mov_b32_e32 v142, v136
	v_mov_b32_e32 v144, v138
	v_cndmask_b32_e64 v143, v137, v143, s[0:1]
	v_cndmask_b32_e32 v145, v139, v145, vcc
	v_add_f64 v[142:143], v[142:143], v[144:145]
	v_mov_b32_e32 v146, s16
	s_add_i32 s16, s16, 1
	v_cmp_lt_f64_e32 vcc, v[140:141], v[142:143]
	v_add_u32_e32 v131, 16, v131
	s_cmp_lg_u32 s20, s16
	v_cndmask_b32_e32 v121, v121, v137, vcc
	v_cndmask_b32_e32 v120, v120, v136, vcc
	;; [unrolled: 1-line block ×5, first 2 shown]
	s_cbranch_scc1 .LBB58_190
.LBB58_191:
	s_waitcnt lgkmcnt(0)
	v_cmp_eq_f64_e32 vcc, 0, v[120:121]
	v_cmp_eq_f64_e64 s[0:1], 0, v[122:123]
	s_and_b64 s[0:1], vcc, s[0:1]
	s_and_saveexec_b64 s[16:17], s[0:1]
	s_xor_b64 s[0:1], exec, s[16:17]
; %bb.192:
	v_cmp_ne_u32_e32 vcc, 0, v134
	s_nop 1
	v_cndmask_b32_e32 v134, 10, v134, vcc
; %bb.193:
	s_andn2_saveexec_b64 s[0:1], s[0:1]
	s_cbranch_execz .LBB58_199
; %bb.194:
	v_cmp_ngt_f64_e64 s[16:17], |v[120:121]|, |v[122:123]|
	s_and_saveexec_b64 s[18:19], s[16:17]
	s_xor_b64 s[16:17], exec, s[18:19]
	s_cbranch_execz .LBB58_196
; %bb.195:
	v_div_scale_f64 v[136:137], s[18:19], v[122:123], v[122:123], v[120:121]
	v_rcp_f64_e32 v[138:139], v[136:137]
	v_div_scale_f64 v[140:141], vcc, v[120:121], v[122:123], v[120:121]
	v_fma_f64 v[142:143], -v[136:137], v[138:139], 1.0
	v_fmac_f64_e32 v[138:139], v[138:139], v[142:143]
	v_fma_f64 v[142:143], -v[136:137], v[138:139], 1.0
	v_fmac_f64_e32 v[138:139], v[138:139], v[142:143]
	v_mul_f64 v[142:143], v[140:141], v[138:139]
	v_fma_f64 v[136:137], -v[136:137], v[142:143], v[140:141]
	v_div_fmas_f64 v[136:137], v[136:137], v[138:139], v[142:143]
	v_div_fixup_f64 v[136:137], v[136:137], v[122:123], v[120:121]
	v_fmac_f64_e32 v[122:123], v[120:121], v[136:137]
	v_div_scale_f64 v[120:121], s[18:19], v[122:123], v[122:123], 1.0
	v_rcp_f64_e32 v[138:139], v[120:121]
	s_nop 0
	v_fma_f64 v[140:141], -v[120:121], v[138:139], 1.0
	v_fmac_f64_e32 v[138:139], v[138:139], v[140:141]
	v_fma_f64 v[140:141], -v[120:121], v[138:139], 1.0
	v_fmac_f64_e32 v[138:139], v[138:139], v[140:141]
	v_div_scale_f64 v[140:141], vcc, 1.0, v[122:123], 1.0
	v_mul_f64 v[142:143], v[140:141], v[138:139]
	v_fma_f64 v[120:121], -v[120:121], v[142:143], v[140:141]
	s_nop 1
	v_div_fmas_f64 v[120:121], v[120:121], v[138:139], v[142:143]
	v_div_fixup_f64 v[122:123], v[120:121], v[122:123], 1.0
	v_mul_f64 v[120:121], v[136:137], v[122:123]
	v_xor_b32_e32 v123, 0x80000000, v123
.LBB58_196:
	s_andn2_saveexec_b64 s[16:17], s[16:17]
	s_cbranch_execz .LBB58_198
; %bb.197:
	v_div_scale_f64 v[136:137], s[18:19], v[120:121], v[120:121], v[122:123]
	v_rcp_f64_e32 v[138:139], v[136:137]
	v_div_scale_f64 v[140:141], vcc, v[122:123], v[120:121], v[122:123]
	v_fma_f64 v[142:143], -v[136:137], v[138:139], 1.0
	v_fmac_f64_e32 v[138:139], v[138:139], v[142:143]
	v_fma_f64 v[142:143], -v[136:137], v[138:139], 1.0
	v_fmac_f64_e32 v[138:139], v[138:139], v[142:143]
	v_mul_f64 v[142:143], v[140:141], v[138:139]
	v_fma_f64 v[136:137], -v[136:137], v[142:143], v[140:141]
	v_div_fmas_f64 v[136:137], v[136:137], v[138:139], v[142:143]
	v_div_fixup_f64 v[136:137], v[136:137], v[120:121], v[122:123]
	v_fmac_f64_e32 v[120:121], v[122:123], v[136:137]
	v_div_scale_f64 v[122:123], s[18:19], v[120:121], v[120:121], 1.0
	v_rcp_f64_e32 v[138:139], v[122:123]
	s_nop 0
	v_fma_f64 v[140:141], -v[122:123], v[138:139], 1.0
	v_fmac_f64_e32 v[138:139], v[138:139], v[140:141]
	v_fma_f64 v[140:141], -v[122:123], v[138:139], 1.0
	v_fmac_f64_e32 v[138:139], v[138:139], v[140:141]
	v_div_scale_f64 v[140:141], vcc, 1.0, v[120:121], 1.0
	v_mul_f64 v[142:143], v[140:141], v[138:139]
	v_fma_f64 v[122:123], -v[122:123], v[142:143], v[140:141]
	s_nop 1
	v_div_fmas_f64 v[122:123], v[122:123], v[138:139], v[142:143]
	v_div_fixup_f64 v[120:121], v[122:123], v[120:121], 1.0
	v_mul_f64 v[122:123], v[136:137], -v[120:121]
.LBB58_198:
	s_or_b64 exec, exec, s[16:17]
.LBB58_199:
	s_or_b64 exec, exec, s[0:1]
	v_cmp_ne_u32_e32 vcc, v133, v130
	s_and_saveexec_b64 s[0:1], vcc
	s_xor_b64 s[0:1], exec, s[0:1]
	s_cbranch_execz .LBB58_205
; %bb.200:
	v_cmp_eq_u32_e32 vcc, 9, v133
	s_and_saveexec_b64 s[16:17], vcc
	s_cbranch_execz .LBB58_204
; %bb.201:
	v_cmp_ne_u32_e32 vcc, 9, v130
	s_xor_b64 s[18:19], s[14:15], -1
	s_and_b64 s[22:23], s[18:19], vcc
	s_and_saveexec_b64 s[18:19], s[22:23]
	s_cbranch_execz .LBB58_203
; %bb.202:
	v_ashrrev_i32_e32 v131, 31, v130
	v_lshl_add_u64 v[136:137], v[130:131], 2, v[128:129]
	global_load_dword v131, v[136:137], off
	global_load_dword v133, v[128:129], off offset:36
	s_waitcnt vmcnt(1)
	global_store_dword v[128:129], v131, off offset:36
	s_waitcnt vmcnt(1)
	global_store_dword v[136:137], v133, off
.LBB58_203:
	s_or_b64 exec, exec, s[18:19]
	v_mov_b32_e32 v133, v130
	v_mov_b32_e32 v135, v130
.LBB58_204:
	s_or_b64 exec, exec, s[16:17]
.LBB58_205:
	s_andn2_saveexec_b64 s[0:1], s[0:1]
	s_cbranch_execz .LBB58_207
; %bb.206:
	v_mov_b32_e32 v133, 9
	s_waitcnt vmcnt(19)
	ds_write2_b64 v132, v[72:73], v[74:75] offset0:20 offset1:21
	s_waitcnt vmcnt(18)
	ds_write2_b64 v132, v[68:69], v[70:71] offset0:22 offset1:23
	;; [unrolled: 2-line block ×20, first 2 shown]
.LBB58_207:
	s_or_b64 exec, exec, s[0:1]
	v_cmp_lt_i32_e32 vcc, 9, v133
	s_waitcnt lgkmcnt(0)
	s_barrier
	s_and_saveexec_b64 s[0:1], vcc
	s_cbranch_execz .LBB58_209
; %bb.208:
	ds_read2_b64 v[136:139], v132 offset0:20 offset1:21
	v_mul_f64 v[130:131], v[122:123], v[82:83]
	v_mul_f64 v[82:83], v[120:121], v[82:83]
	v_fma_f64 v[130:131], v[120:121], v[80:81], -v[130:131]
	v_fmac_f64_e32 v[82:83], v[122:123], v[80:81]
	ds_read2_b64 v[120:123], v132 offset0:22 offset1:23
	s_waitcnt lgkmcnt(1)
	v_mul_f64 v[80:81], v[138:139], v[82:83]
	v_fma_f64 v[80:81], v[136:137], v[130:131], -v[80:81]
	v_mul_f64 v[136:137], v[136:137], v[82:83]
	v_fmac_f64_e32 v[136:137], v[138:139], v[130:131]
	s_waitcnt vmcnt(19)
	v_add_f64 v[72:73], v[72:73], -v[80:81]
	s_waitcnt lgkmcnt(0)
	v_mul_f64 v[80:81], v[122:123], v[82:83]
	v_add_f64 v[74:75], v[74:75], -v[136:137]
	v_fma_f64 v[80:81], v[120:121], v[130:131], -v[80:81]
	v_mul_f64 v[120:121], v[120:121], v[82:83]
	ds_read2_b64 v[136:139], v132 offset0:24 offset1:25
	v_fmac_f64_e32 v[120:121], v[122:123], v[130:131]
	s_waitcnt vmcnt(18)
	v_add_f64 v[70:71], v[70:71], -v[120:121]
	ds_read2_b64 v[120:123], v132 offset0:26 offset1:27
	v_add_f64 v[68:69], v[68:69], -v[80:81]
	s_waitcnt lgkmcnt(1)
	v_mul_f64 v[80:81], v[138:139], v[82:83]
	v_fma_f64 v[80:81], v[136:137], v[130:131], -v[80:81]
	v_mul_f64 v[136:137], v[136:137], v[82:83]
	v_fmac_f64_e32 v[136:137], v[138:139], v[130:131]
	s_waitcnt vmcnt(17)
	v_add_f64 v[64:65], v[64:65], -v[80:81]
	s_waitcnt lgkmcnt(0)
	v_mul_f64 v[80:81], v[122:123], v[82:83]
	v_add_f64 v[66:67], v[66:67], -v[136:137]
	v_fma_f64 v[80:81], v[120:121], v[130:131], -v[80:81]
	v_mul_f64 v[120:121], v[120:121], v[82:83]
	ds_read2_b64 v[136:139], v132 offset0:28 offset1:29
	v_fmac_f64_e32 v[120:121], v[122:123], v[130:131]
	s_waitcnt vmcnt(16)
	v_add_f64 v[62:63], v[62:63], -v[120:121]
	ds_read2_b64 v[120:123], v132 offset0:30 offset1:31
	v_add_f64 v[60:61], v[60:61], -v[80:81]
	;; [unrolled: 18-line block ×9, first 2 shown]
	s_waitcnt lgkmcnt(1)
	v_mul_f64 v[80:81], v[138:139], v[82:83]
	v_fma_f64 v[80:81], v[136:137], v[130:131], -v[80:81]
	s_waitcnt vmcnt(1)
	v_add_f64 v[0:1], v[0:1], -v[80:81]
	s_waitcnt lgkmcnt(0)
	v_mul_f64 v[80:81], v[122:123], v[82:83]
	v_mul_f64 v[136:137], v[136:137], v[82:83]
	v_fma_f64 v[80:81], v[120:121], v[130:131], -v[80:81]
	v_mul_f64 v[120:121], v[120:121], v[82:83]
	v_fmac_f64_e32 v[136:137], v[138:139], v[130:131]
	v_fmac_f64_e32 v[120:121], v[122:123], v[130:131]
	v_add_f64 v[2:3], v[2:3], -v[136:137]
	s_waitcnt vmcnt(0)
	v_add_f64 v[116:117], v[116:117], -v[80:81]
	v_add_f64 v[118:119], v[118:119], -v[120:121]
	v_mov_b64_e32 v[80:81], v[130:131]
.LBB58_209:
	s_or_b64 exec, exec, s[0:1]
	v_lshl_add_u32 v120, v133, 4, v132
	s_barrier
	s_waitcnt vmcnt(19)
	ds_write2_b64 v120, v[72:73], v[74:75] offset1:1
	s_waitcnt lgkmcnt(0)
	s_barrier
	ds_read2_b64 v[120:123], v132 offset0:20 offset1:21
	s_cmp_lt_i32 s20, 12
	v_mov_b32_e32 v130, 10
	s_cbranch_scc1 .LBB58_212
; %bb.210:
	v_add_u32_e32 v131, 0xb0, v132
	s_mov_b32 s16, 11
	v_mov_b32_e32 v130, 10
.LBB58_211:                             ; =>This Inner Loop Header: Depth=1
	ds_read2_b64 v[136:139], v131 offset1:1
	s_waitcnt lgkmcnt(1)
	v_xor_b32_e32 v141, 0x80000000, v121
	v_xor_b32_e32 v143, 0x80000000, v123
	v_cmp_gt_f64_e32 vcc, 0, v[122:123]
	v_cmp_gt_f64_e64 s[0:1], 0, v[120:121]
	v_mov_b32_e32 v140, v120
	v_mov_b32_e32 v142, v122
	v_cndmask_b32_e64 v141, v121, v141, s[0:1]
	v_cndmask_b32_e32 v143, v123, v143, vcc
	v_add_f64 v[140:141], v[140:141], v[142:143]
	s_waitcnt lgkmcnt(0)
	v_xor_b32_e32 v143, 0x80000000, v137
	v_xor_b32_e32 v145, 0x80000000, v139
	v_cmp_gt_f64_e32 vcc, 0, v[138:139]
	v_cmp_gt_f64_e64 s[0:1], 0, v[136:137]
	v_mov_b32_e32 v142, v136
	v_mov_b32_e32 v144, v138
	v_cndmask_b32_e64 v143, v137, v143, s[0:1]
	v_cndmask_b32_e32 v145, v139, v145, vcc
	v_add_f64 v[142:143], v[142:143], v[144:145]
	v_mov_b32_e32 v146, s16
	s_add_i32 s16, s16, 1
	v_cmp_lt_f64_e32 vcc, v[140:141], v[142:143]
	v_add_u32_e32 v131, 16, v131
	s_cmp_lg_u32 s20, s16
	v_cndmask_b32_e32 v121, v121, v137, vcc
	v_cndmask_b32_e32 v120, v120, v136, vcc
	;; [unrolled: 1-line block ×5, first 2 shown]
	s_cbranch_scc1 .LBB58_211
.LBB58_212:
	s_waitcnt lgkmcnt(0)
	v_cmp_eq_f64_e32 vcc, 0, v[120:121]
	v_cmp_eq_f64_e64 s[0:1], 0, v[122:123]
	s_and_b64 s[0:1], vcc, s[0:1]
	s_and_saveexec_b64 s[16:17], s[0:1]
	s_xor_b64 s[0:1], exec, s[16:17]
; %bb.213:
	v_cmp_ne_u32_e32 vcc, 0, v134
	s_nop 1
	v_cndmask_b32_e32 v134, 11, v134, vcc
; %bb.214:
	s_andn2_saveexec_b64 s[0:1], s[0:1]
	s_cbranch_execz .LBB58_220
; %bb.215:
	v_cmp_ngt_f64_e64 s[16:17], |v[120:121]|, |v[122:123]|
	s_and_saveexec_b64 s[18:19], s[16:17]
	s_xor_b64 s[16:17], exec, s[18:19]
	s_cbranch_execz .LBB58_217
; %bb.216:
	v_div_scale_f64 v[136:137], s[18:19], v[122:123], v[122:123], v[120:121]
	v_rcp_f64_e32 v[138:139], v[136:137]
	v_div_scale_f64 v[140:141], vcc, v[120:121], v[122:123], v[120:121]
	v_fma_f64 v[142:143], -v[136:137], v[138:139], 1.0
	v_fmac_f64_e32 v[138:139], v[138:139], v[142:143]
	v_fma_f64 v[142:143], -v[136:137], v[138:139], 1.0
	v_fmac_f64_e32 v[138:139], v[138:139], v[142:143]
	v_mul_f64 v[142:143], v[140:141], v[138:139]
	v_fma_f64 v[136:137], -v[136:137], v[142:143], v[140:141]
	v_div_fmas_f64 v[136:137], v[136:137], v[138:139], v[142:143]
	v_div_fixup_f64 v[136:137], v[136:137], v[122:123], v[120:121]
	v_fmac_f64_e32 v[122:123], v[120:121], v[136:137]
	v_div_scale_f64 v[120:121], s[18:19], v[122:123], v[122:123], 1.0
	v_rcp_f64_e32 v[138:139], v[120:121]
	s_nop 0
	v_fma_f64 v[140:141], -v[120:121], v[138:139], 1.0
	v_fmac_f64_e32 v[138:139], v[138:139], v[140:141]
	v_fma_f64 v[140:141], -v[120:121], v[138:139], 1.0
	v_fmac_f64_e32 v[138:139], v[138:139], v[140:141]
	v_div_scale_f64 v[140:141], vcc, 1.0, v[122:123], 1.0
	v_mul_f64 v[142:143], v[140:141], v[138:139]
	v_fma_f64 v[120:121], -v[120:121], v[142:143], v[140:141]
	s_nop 1
	v_div_fmas_f64 v[120:121], v[120:121], v[138:139], v[142:143]
	v_div_fixup_f64 v[122:123], v[120:121], v[122:123], 1.0
	v_mul_f64 v[120:121], v[136:137], v[122:123]
	v_xor_b32_e32 v123, 0x80000000, v123
.LBB58_217:
	s_andn2_saveexec_b64 s[16:17], s[16:17]
	s_cbranch_execz .LBB58_219
; %bb.218:
	v_div_scale_f64 v[136:137], s[18:19], v[120:121], v[120:121], v[122:123]
	v_rcp_f64_e32 v[138:139], v[136:137]
	v_div_scale_f64 v[140:141], vcc, v[122:123], v[120:121], v[122:123]
	v_fma_f64 v[142:143], -v[136:137], v[138:139], 1.0
	v_fmac_f64_e32 v[138:139], v[138:139], v[142:143]
	v_fma_f64 v[142:143], -v[136:137], v[138:139], 1.0
	v_fmac_f64_e32 v[138:139], v[138:139], v[142:143]
	v_mul_f64 v[142:143], v[140:141], v[138:139]
	v_fma_f64 v[136:137], -v[136:137], v[142:143], v[140:141]
	v_div_fmas_f64 v[136:137], v[136:137], v[138:139], v[142:143]
	v_div_fixup_f64 v[136:137], v[136:137], v[120:121], v[122:123]
	v_fmac_f64_e32 v[120:121], v[122:123], v[136:137]
	v_div_scale_f64 v[122:123], s[18:19], v[120:121], v[120:121], 1.0
	v_rcp_f64_e32 v[138:139], v[122:123]
	s_nop 0
	v_fma_f64 v[140:141], -v[122:123], v[138:139], 1.0
	v_fmac_f64_e32 v[138:139], v[138:139], v[140:141]
	v_fma_f64 v[140:141], -v[122:123], v[138:139], 1.0
	v_fmac_f64_e32 v[138:139], v[138:139], v[140:141]
	v_div_scale_f64 v[140:141], vcc, 1.0, v[120:121], 1.0
	v_mul_f64 v[142:143], v[140:141], v[138:139]
	v_fma_f64 v[122:123], -v[122:123], v[142:143], v[140:141]
	s_nop 1
	v_div_fmas_f64 v[122:123], v[122:123], v[138:139], v[142:143]
	v_div_fixup_f64 v[120:121], v[122:123], v[120:121], 1.0
	v_mul_f64 v[122:123], v[136:137], -v[120:121]
.LBB58_219:
	s_or_b64 exec, exec, s[16:17]
.LBB58_220:
	s_or_b64 exec, exec, s[0:1]
	v_cmp_ne_u32_e32 vcc, v133, v130
	s_and_saveexec_b64 s[0:1], vcc
	s_xor_b64 s[0:1], exec, s[0:1]
	s_cbranch_execz .LBB58_226
; %bb.221:
	v_cmp_eq_u32_e32 vcc, 10, v133
	s_and_saveexec_b64 s[16:17], vcc
	s_cbranch_execz .LBB58_225
; %bb.222:
	v_cmp_ne_u32_e32 vcc, 10, v130
	s_xor_b64 s[18:19], s[14:15], -1
	s_and_b64 s[22:23], s[18:19], vcc
	s_and_saveexec_b64 s[18:19], s[22:23]
	s_cbranch_execz .LBB58_224
; %bb.223:
	v_ashrrev_i32_e32 v131, 31, v130
	v_lshl_add_u64 v[136:137], v[130:131], 2, v[128:129]
	global_load_dword v131, v[136:137], off
	global_load_dword v133, v[128:129], off offset:40
	s_waitcnt vmcnt(1)
	global_store_dword v[128:129], v131, off offset:40
	s_waitcnt vmcnt(1)
	global_store_dword v[136:137], v133, off
.LBB58_224:
	s_or_b64 exec, exec, s[18:19]
	v_mov_b32_e32 v133, v130
	v_mov_b32_e32 v135, v130
.LBB58_225:
	s_or_b64 exec, exec, s[16:17]
.LBB58_226:
	s_andn2_saveexec_b64 s[0:1], s[0:1]
	s_cbranch_execz .LBB58_228
; %bb.227:
	v_mov_b32_e32 v133, 10
	s_waitcnt vmcnt(18)
	ds_write2_b64 v132, v[68:69], v[70:71] offset0:22 offset1:23
	s_waitcnt vmcnt(17)
	ds_write2_b64 v132, v[64:65], v[66:67] offset0:24 offset1:25
	;; [unrolled: 2-line block ×19, first 2 shown]
.LBB58_228:
	s_or_b64 exec, exec, s[0:1]
	v_cmp_lt_i32_e32 vcc, 10, v133
	s_waitcnt lgkmcnt(0)
	s_barrier
	s_and_saveexec_b64 s[0:1], vcc
	s_cbranch_execz .LBB58_230
; %bb.229:
	ds_read2_b64 v[136:139], v132 offset0:22 offset1:23
	v_mul_f64 v[130:131], v[122:123], v[74:75]
	v_mul_f64 v[74:75], v[120:121], v[74:75]
	v_fmac_f64_e32 v[74:75], v[122:123], v[72:73]
	v_fma_f64 v[130:131], v[120:121], v[72:73], -v[130:131]
	ds_read2_b64 v[120:123], v132 offset0:24 offset1:25
	s_waitcnt lgkmcnt(1)
	v_mul_f64 v[72:73], v[138:139], v[74:75]
	v_fma_f64 v[72:73], v[136:137], v[130:131], -v[72:73]
	v_mul_f64 v[136:137], v[136:137], v[74:75]
	v_fmac_f64_e32 v[136:137], v[138:139], v[130:131]
	s_waitcnt vmcnt(18)
	v_add_f64 v[70:71], v[70:71], -v[136:137]
	ds_read2_b64 v[136:139], v132 offset0:26 offset1:27
	v_add_f64 v[68:69], v[68:69], -v[72:73]
	s_waitcnt lgkmcnt(1)
	v_mul_f64 v[72:73], v[122:123], v[74:75]
	v_fma_f64 v[72:73], v[120:121], v[130:131], -v[72:73]
	v_mul_f64 v[120:121], v[120:121], v[74:75]
	v_fmac_f64_e32 v[120:121], v[122:123], v[130:131]
	s_waitcnt vmcnt(17)
	v_add_f64 v[64:65], v[64:65], -v[72:73]
	v_add_f64 v[66:67], v[66:67], -v[120:121]
	ds_read2_b64 v[120:123], v132 offset0:28 offset1:29
	s_waitcnt lgkmcnt(1)
	v_mul_f64 v[72:73], v[138:139], v[74:75]
	v_fma_f64 v[72:73], v[136:137], v[130:131], -v[72:73]
	v_mul_f64 v[136:137], v[136:137], v[74:75]
	v_fmac_f64_e32 v[136:137], v[138:139], v[130:131]
	s_waitcnt vmcnt(16)
	v_add_f64 v[62:63], v[62:63], -v[136:137]
	ds_read2_b64 v[136:139], v132 offset0:30 offset1:31
	v_add_f64 v[60:61], v[60:61], -v[72:73]
	s_waitcnt lgkmcnt(1)
	v_mul_f64 v[72:73], v[122:123], v[74:75]
	v_fma_f64 v[72:73], v[120:121], v[130:131], -v[72:73]
	v_mul_f64 v[120:121], v[120:121], v[74:75]
	v_fmac_f64_e32 v[120:121], v[122:123], v[130:131]
	s_waitcnt vmcnt(15)
	v_add_f64 v[52:53], v[52:53], -v[72:73]
	v_add_f64 v[54:55], v[54:55], -v[120:121]
	;; [unrolled: 18-line block ×9, first 2 shown]
	s_waitcnt lgkmcnt(0)
	v_mul_f64 v[72:73], v[138:139], v[74:75]
	v_mul_f64 v[120:121], v[136:137], v[74:75]
	v_fma_f64 v[72:73], v[136:137], v[130:131], -v[72:73]
	v_fmac_f64_e32 v[120:121], v[138:139], v[130:131]
	s_waitcnt vmcnt(0)
	v_add_f64 v[116:117], v[116:117], -v[72:73]
	v_add_f64 v[118:119], v[118:119], -v[120:121]
	v_mov_b64_e32 v[72:73], v[130:131]
.LBB58_230:
	s_or_b64 exec, exec, s[0:1]
	v_lshl_add_u32 v120, v133, 4, v132
	s_barrier
	s_waitcnt vmcnt(18)
	ds_write2_b64 v120, v[68:69], v[70:71] offset1:1
	s_waitcnt lgkmcnt(0)
	s_barrier
	ds_read2_b64 v[120:123], v132 offset0:22 offset1:23
	s_cmp_lt_i32 s20, 13
	v_mov_b32_e32 v130, 11
	s_cbranch_scc1 .LBB58_233
; %bb.231:
	v_add_u32_e32 v131, 0xc0, v132
	s_mov_b32 s16, 12
	v_mov_b32_e32 v130, 11
.LBB58_232:                             ; =>This Inner Loop Header: Depth=1
	ds_read2_b64 v[136:139], v131 offset1:1
	s_waitcnt lgkmcnt(1)
	v_xor_b32_e32 v141, 0x80000000, v121
	v_xor_b32_e32 v143, 0x80000000, v123
	v_cmp_gt_f64_e32 vcc, 0, v[122:123]
	v_cmp_gt_f64_e64 s[0:1], 0, v[120:121]
	v_mov_b32_e32 v140, v120
	v_mov_b32_e32 v142, v122
	v_cndmask_b32_e64 v141, v121, v141, s[0:1]
	v_cndmask_b32_e32 v143, v123, v143, vcc
	v_add_f64 v[140:141], v[140:141], v[142:143]
	s_waitcnt lgkmcnt(0)
	v_xor_b32_e32 v143, 0x80000000, v137
	v_xor_b32_e32 v145, 0x80000000, v139
	v_cmp_gt_f64_e32 vcc, 0, v[138:139]
	v_cmp_gt_f64_e64 s[0:1], 0, v[136:137]
	v_mov_b32_e32 v142, v136
	v_mov_b32_e32 v144, v138
	v_cndmask_b32_e64 v143, v137, v143, s[0:1]
	v_cndmask_b32_e32 v145, v139, v145, vcc
	v_add_f64 v[142:143], v[142:143], v[144:145]
	v_mov_b32_e32 v146, s16
	s_add_i32 s16, s16, 1
	v_cmp_lt_f64_e32 vcc, v[140:141], v[142:143]
	v_add_u32_e32 v131, 16, v131
	s_cmp_lg_u32 s20, s16
	v_cndmask_b32_e32 v121, v121, v137, vcc
	v_cndmask_b32_e32 v120, v120, v136, vcc
	;; [unrolled: 1-line block ×5, first 2 shown]
	s_cbranch_scc1 .LBB58_232
.LBB58_233:
	s_waitcnt lgkmcnt(0)
	v_cmp_eq_f64_e32 vcc, 0, v[120:121]
	v_cmp_eq_f64_e64 s[0:1], 0, v[122:123]
	s_and_b64 s[0:1], vcc, s[0:1]
	s_and_saveexec_b64 s[16:17], s[0:1]
	s_xor_b64 s[0:1], exec, s[16:17]
; %bb.234:
	v_cmp_ne_u32_e32 vcc, 0, v134
	s_nop 1
	v_cndmask_b32_e32 v134, 12, v134, vcc
; %bb.235:
	s_andn2_saveexec_b64 s[0:1], s[0:1]
	s_cbranch_execz .LBB58_241
; %bb.236:
	v_cmp_ngt_f64_e64 s[16:17], |v[120:121]|, |v[122:123]|
	s_and_saveexec_b64 s[18:19], s[16:17]
	s_xor_b64 s[16:17], exec, s[18:19]
	s_cbranch_execz .LBB58_238
; %bb.237:
	v_div_scale_f64 v[136:137], s[18:19], v[122:123], v[122:123], v[120:121]
	v_rcp_f64_e32 v[138:139], v[136:137]
	v_div_scale_f64 v[140:141], vcc, v[120:121], v[122:123], v[120:121]
	v_fma_f64 v[142:143], -v[136:137], v[138:139], 1.0
	v_fmac_f64_e32 v[138:139], v[138:139], v[142:143]
	v_fma_f64 v[142:143], -v[136:137], v[138:139], 1.0
	v_fmac_f64_e32 v[138:139], v[138:139], v[142:143]
	v_mul_f64 v[142:143], v[140:141], v[138:139]
	v_fma_f64 v[136:137], -v[136:137], v[142:143], v[140:141]
	v_div_fmas_f64 v[136:137], v[136:137], v[138:139], v[142:143]
	v_div_fixup_f64 v[136:137], v[136:137], v[122:123], v[120:121]
	v_fmac_f64_e32 v[122:123], v[120:121], v[136:137]
	v_div_scale_f64 v[120:121], s[18:19], v[122:123], v[122:123], 1.0
	v_rcp_f64_e32 v[138:139], v[120:121]
	s_nop 0
	v_fma_f64 v[140:141], -v[120:121], v[138:139], 1.0
	v_fmac_f64_e32 v[138:139], v[138:139], v[140:141]
	v_fma_f64 v[140:141], -v[120:121], v[138:139], 1.0
	v_fmac_f64_e32 v[138:139], v[138:139], v[140:141]
	v_div_scale_f64 v[140:141], vcc, 1.0, v[122:123], 1.0
	v_mul_f64 v[142:143], v[140:141], v[138:139]
	v_fma_f64 v[120:121], -v[120:121], v[142:143], v[140:141]
	s_nop 1
	v_div_fmas_f64 v[120:121], v[120:121], v[138:139], v[142:143]
	v_div_fixup_f64 v[122:123], v[120:121], v[122:123], 1.0
	v_mul_f64 v[120:121], v[136:137], v[122:123]
	v_xor_b32_e32 v123, 0x80000000, v123
.LBB58_238:
	s_andn2_saveexec_b64 s[16:17], s[16:17]
	s_cbranch_execz .LBB58_240
; %bb.239:
	v_div_scale_f64 v[136:137], s[18:19], v[120:121], v[120:121], v[122:123]
	v_rcp_f64_e32 v[138:139], v[136:137]
	v_div_scale_f64 v[140:141], vcc, v[122:123], v[120:121], v[122:123]
	v_fma_f64 v[142:143], -v[136:137], v[138:139], 1.0
	v_fmac_f64_e32 v[138:139], v[138:139], v[142:143]
	v_fma_f64 v[142:143], -v[136:137], v[138:139], 1.0
	v_fmac_f64_e32 v[138:139], v[138:139], v[142:143]
	v_mul_f64 v[142:143], v[140:141], v[138:139]
	v_fma_f64 v[136:137], -v[136:137], v[142:143], v[140:141]
	v_div_fmas_f64 v[136:137], v[136:137], v[138:139], v[142:143]
	v_div_fixup_f64 v[136:137], v[136:137], v[120:121], v[122:123]
	v_fmac_f64_e32 v[120:121], v[122:123], v[136:137]
	v_div_scale_f64 v[122:123], s[18:19], v[120:121], v[120:121], 1.0
	v_rcp_f64_e32 v[138:139], v[122:123]
	s_nop 0
	v_fma_f64 v[140:141], -v[122:123], v[138:139], 1.0
	v_fmac_f64_e32 v[138:139], v[138:139], v[140:141]
	v_fma_f64 v[140:141], -v[122:123], v[138:139], 1.0
	v_fmac_f64_e32 v[138:139], v[138:139], v[140:141]
	v_div_scale_f64 v[140:141], vcc, 1.0, v[120:121], 1.0
	v_mul_f64 v[142:143], v[140:141], v[138:139]
	v_fma_f64 v[122:123], -v[122:123], v[142:143], v[140:141]
	s_nop 1
	v_div_fmas_f64 v[122:123], v[122:123], v[138:139], v[142:143]
	v_div_fixup_f64 v[120:121], v[122:123], v[120:121], 1.0
	v_mul_f64 v[122:123], v[136:137], -v[120:121]
.LBB58_240:
	s_or_b64 exec, exec, s[16:17]
.LBB58_241:
	s_or_b64 exec, exec, s[0:1]
	v_cmp_ne_u32_e32 vcc, v133, v130
	s_and_saveexec_b64 s[0:1], vcc
	s_xor_b64 s[0:1], exec, s[0:1]
	s_cbranch_execz .LBB58_247
; %bb.242:
	v_cmp_eq_u32_e32 vcc, 11, v133
	s_and_saveexec_b64 s[16:17], vcc
	s_cbranch_execz .LBB58_246
; %bb.243:
	v_cmp_ne_u32_e32 vcc, 11, v130
	s_xor_b64 s[18:19], s[14:15], -1
	s_and_b64 s[22:23], s[18:19], vcc
	s_and_saveexec_b64 s[18:19], s[22:23]
	s_cbranch_execz .LBB58_245
; %bb.244:
	v_ashrrev_i32_e32 v131, 31, v130
	v_lshl_add_u64 v[136:137], v[130:131], 2, v[128:129]
	global_load_dword v131, v[136:137], off
	global_load_dword v133, v[128:129], off offset:44
	s_waitcnt vmcnt(1)
	global_store_dword v[128:129], v131, off offset:44
	s_waitcnt vmcnt(1)
	global_store_dword v[136:137], v133, off
.LBB58_245:
	s_or_b64 exec, exec, s[18:19]
	v_mov_b32_e32 v133, v130
	v_mov_b32_e32 v135, v130
.LBB58_246:
	s_or_b64 exec, exec, s[16:17]
.LBB58_247:
	s_andn2_saveexec_b64 s[0:1], s[0:1]
	s_cbranch_execz .LBB58_249
; %bb.248:
	v_mov_b32_e32 v133, 11
	s_waitcnt vmcnt(17)
	ds_write2_b64 v132, v[64:65], v[66:67] offset0:24 offset1:25
	s_waitcnt vmcnt(16)
	ds_write2_b64 v132, v[60:61], v[62:63] offset0:26 offset1:27
	;; [unrolled: 2-line block ×18, first 2 shown]
.LBB58_249:
	s_or_b64 exec, exec, s[0:1]
	v_cmp_lt_i32_e32 vcc, 11, v133
	s_waitcnt lgkmcnt(0)
	s_barrier
	s_and_saveexec_b64 s[0:1], vcc
	s_cbranch_execz .LBB58_251
; %bb.250:
	ds_read2_b64 v[136:139], v132 offset0:24 offset1:25
	v_mul_f64 v[130:131], v[122:123], v[70:71]
	v_mul_f64 v[70:71], v[120:121], v[70:71]
	v_fma_f64 v[130:131], v[120:121], v[68:69], -v[130:131]
	v_fmac_f64_e32 v[70:71], v[122:123], v[68:69]
	ds_read2_b64 v[120:123], v132 offset0:26 offset1:27
	s_waitcnt lgkmcnt(1)
	v_mul_f64 v[68:69], v[138:139], v[70:71]
	v_fma_f64 v[68:69], v[136:137], v[130:131], -v[68:69]
	v_mul_f64 v[136:137], v[136:137], v[70:71]
	v_fmac_f64_e32 v[136:137], v[138:139], v[130:131]
	s_waitcnt vmcnt(17)
	v_add_f64 v[64:65], v[64:65], -v[68:69]
	s_waitcnt lgkmcnt(0)
	v_mul_f64 v[68:69], v[122:123], v[70:71]
	v_add_f64 v[66:67], v[66:67], -v[136:137]
	v_fma_f64 v[68:69], v[120:121], v[130:131], -v[68:69]
	v_mul_f64 v[120:121], v[120:121], v[70:71]
	ds_read2_b64 v[136:139], v132 offset0:28 offset1:29
	v_fmac_f64_e32 v[120:121], v[122:123], v[130:131]
	s_waitcnt vmcnt(16)
	v_add_f64 v[62:63], v[62:63], -v[120:121]
	ds_read2_b64 v[120:123], v132 offset0:30 offset1:31
	v_add_f64 v[60:61], v[60:61], -v[68:69]
	s_waitcnt lgkmcnt(1)
	v_mul_f64 v[68:69], v[138:139], v[70:71]
	v_fma_f64 v[68:69], v[136:137], v[130:131], -v[68:69]
	v_mul_f64 v[136:137], v[136:137], v[70:71]
	v_fmac_f64_e32 v[136:137], v[138:139], v[130:131]
	s_waitcnt vmcnt(15)
	v_add_f64 v[52:53], v[52:53], -v[68:69]
	s_waitcnt lgkmcnt(0)
	v_mul_f64 v[68:69], v[122:123], v[70:71]
	v_add_f64 v[54:55], v[54:55], -v[136:137]
	v_fma_f64 v[68:69], v[120:121], v[130:131], -v[68:69]
	v_mul_f64 v[120:121], v[120:121], v[70:71]
	ds_read2_b64 v[136:139], v132 offset0:32 offset1:33
	v_fmac_f64_e32 v[120:121], v[122:123], v[130:131]
	s_waitcnt vmcnt(14)
	v_add_f64 v[58:59], v[58:59], -v[120:121]
	ds_read2_b64 v[120:123], v132 offset0:34 offset1:35
	v_add_f64 v[56:57], v[56:57], -v[68:69]
	;; [unrolled: 18-line block ×8, first 2 shown]
	s_waitcnt lgkmcnt(1)
	v_mul_f64 v[68:69], v[138:139], v[70:71]
	v_fma_f64 v[68:69], v[136:137], v[130:131], -v[68:69]
	s_waitcnt vmcnt(1)
	v_add_f64 v[0:1], v[0:1], -v[68:69]
	s_waitcnt lgkmcnt(0)
	v_mul_f64 v[68:69], v[122:123], v[70:71]
	v_mul_f64 v[136:137], v[136:137], v[70:71]
	v_fma_f64 v[68:69], v[120:121], v[130:131], -v[68:69]
	v_mul_f64 v[120:121], v[120:121], v[70:71]
	v_fmac_f64_e32 v[136:137], v[138:139], v[130:131]
	v_fmac_f64_e32 v[120:121], v[122:123], v[130:131]
	v_add_f64 v[2:3], v[2:3], -v[136:137]
	s_waitcnt vmcnt(0)
	v_add_f64 v[116:117], v[116:117], -v[68:69]
	v_add_f64 v[118:119], v[118:119], -v[120:121]
	v_mov_b64_e32 v[68:69], v[130:131]
.LBB58_251:
	s_or_b64 exec, exec, s[0:1]
	v_lshl_add_u32 v120, v133, 4, v132
	s_barrier
	s_waitcnt vmcnt(17)
	ds_write2_b64 v120, v[64:65], v[66:67] offset1:1
	s_waitcnt lgkmcnt(0)
	s_barrier
	ds_read2_b64 v[120:123], v132 offset0:24 offset1:25
	s_cmp_lt_i32 s20, 14
	v_mov_b32_e32 v130, 12
	s_cbranch_scc1 .LBB58_254
; %bb.252:
	v_add_u32_e32 v131, 0xd0, v132
	s_mov_b32 s16, 13
	v_mov_b32_e32 v130, 12
.LBB58_253:                             ; =>This Inner Loop Header: Depth=1
	ds_read2_b64 v[136:139], v131 offset1:1
	s_waitcnt lgkmcnt(1)
	v_xor_b32_e32 v141, 0x80000000, v121
	v_xor_b32_e32 v143, 0x80000000, v123
	v_cmp_gt_f64_e32 vcc, 0, v[122:123]
	v_cmp_gt_f64_e64 s[0:1], 0, v[120:121]
	v_mov_b32_e32 v140, v120
	v_mov_b32_e32 v142, v122
	v_cndmask_b32_e64 v141, v121, v141, s[0:1]
	v_cndmask_b32_e32 v143, v123, v143, vcc
	v_add_f64 v[140:141], v[140:141], v[142:143]
	s_waitcnt lgkmcnt(0)
	v_xor_b32_e32 v143, 0x80000000, v137
	v_xor_b32_e32 v145, 0x80000000, v139
	v_cmp_gt_f64_e32 vcc, 0, v[138:139]
	v_cmp_gt_f64_e64 s[0:1], 0, v[136:137]
	v_mov_b32_e32 v142, v136
	v_mov_b32_e32 v144, v138
	v_cndmask_b32_e64 v143, v137, v143, s[0:1]
	v_cndmask_b32_e32 v145, v139, v145, vcc
	v_add_f64 v[142:143], v[142:143], v[144:145]
	v_mov_b32_e32 v146, s16
	s_add_i32 s16, s16, 1
	v_cmp_lt_f64_e32 vcc, v[140:141], v[142:143]
	v_add_u32_e32 v131, 16, v131
	s_cmp_lg_u32 s20, s16
	v_cndmask_b32_e32 v121, v121, v137, vcc
	v_cndmask_b32_e32 v120, v120, v136, vcc
	v_cndmask_b32_e32 v123, v123, v139, vcc
	v_cndmask_b32_e32 v122, v122, v138, vcc
	v_cndmask_b32_e32 v130, v130, v146, vcc
	s_cbranch_scc1 .LBB58_253
.LBB58_254:
	s_waitcnt lgkmcnt(0)
	v_cmp_eq_f64_e32 vcc, 0, v[120:121]
	v_cmp_eq_f64_e64 s[0:1], 0, v[122:123]
	s_and_b64 s[0:1], vcc, s[0:1]
	s_and_saveexec_b64 s[16:17], s[0:1]
	s_xor_b64 s[0:1], exec, s[16:17]
; %bb.255:
	v_cmp_ne_u32_e32 vcc, 0, v134
	s_nop 1
	v_cndmask_b32_e32 v134, 13, v134, vcc
; %bb.256:
	s_andn2_saveexec_b64 s[0:1], s[0:1]
	s_cbranch_execz .LBB58_262
; %bb.257:
	v_cmp_ngt_f64_e64 s[16:17], |v[120:121]|, |v[122:123]|
	s_and_saveexec_b64 s[18:19], s[16:17]
	s_xor_b64 s[16:17], exec, s[18:19]
	s_cbranch_execz .LBB58_259
; %bb.258:
	v_div_scale_f64 v[136:137], s[18:19], v[122:123], v[122:123], v[120:121]
	v_rcp_f64_e32 v[138:139], v[136:137]
	v_div_scale_f64 v[140:141], vcc, v[120:121], v[122:123], v[120:121]
	v_fma_f64 v[142:143], -v[136:137], v[138:139], 1.0
	v_fmac_f64_e32 v[138:139], v[138:139], v[142:143]
	v_fma_f64 v[142:143], -v[136:137], v[138:139], 1.0
	v_fmac_f64_e32 v[138:139], v[138:139], v[142:143]
	v_mul_f64 v[142:143], v[140:141], v[138:139]
	v_fma_f64 v[136:137], -v[136:137], v[142:143], v[140:141]
	v_div_fmas_f64 v[136:137], v[136:137], v[138:139], v[142:143]
	v_div_fixup_f64 v[136:137], v[136:137], v[122:123], v[120:121]
	v_fmac_f64_e32 v[122:123], v[120:121], v[136:137]
	v_div_scale_f64 v[120:121], s[18:19], v[122:123], v[122:123], 1.0
	v_rcp_f64_e32 v[138:139], v[120:121]
	s_nop 0
	v_fma_f64 v[140:141], -v[120:121], v[138:139], 1.0
	v_fmac_f64_e32 v[138:139], v[138:139], v[140:141]
	v_fma_f64 v[140:141], -v[120:121], v[138:139], 1.0
	v_fmac_f64_e32 v[138:139], v[138:139], v[140:141]
	v_div_scale_f64 v[140:141], vcc, 1.0, v[122:123], 1.0
	v_mul_f64 v[142:143], v[140:141], v[138:139]
	v_fma_f64 v[120:121], -v[120:121], v[142:143], v[140:141]
	s_nop 1
	v_div_fmas_f64 v[120:121], v[120:121], v[138:139], v[142:143]
	v_div_fixup_f64 v[122:123], v[120:121], v[122:123], 1.0
	v_mul_f64 v[120:121], v[136:137], v[122:123]
	v_xor_b32_e32 v123, 0x80000000, v123
.LBB58_259:
	s_andn2_saveexec_b64 s[16:17], s[16:17]
	s_cbranch_execz .LBB58_261
; %bb.260:
	v_div_scale_f64 v[136:137], s[18:19], v[120:121], v[120:121], v[122:123]
	v_rcp_f64_e32 v[138:139], v[136:137]
	v_div_scale_f64 v[140:141], vcc, v[122:123], v[120:121], v[122:123]
	v_fma_f64 v[142:143], -v[136:137], v[138:139], 1.0
	v_fmac_f64_e32 v[138:139], v[138:139], v[142:143]
	v_fma_f64 v[142:143], -v[136:137], v[138:139], 1.0
	v_fmac_f64_e32 v[138:139], v[138:139], v[142:143]
	v_mul_f64 v[142:143], v[140:141], v[138:139]
	v_fma_f64 v[136:137], -v[136:137], v[142:143], v[140:141]
	v_div_fmas_f64 v[136:137], v[136:137], v[138:139], v[142:143]
	v_div_fixup_f64 v[136:137], v[136:137], v[120:121], v[122:123]
	v_fmac_f64_e32 v[120:121], v[122:123], v[136:137]
	v_div_scale_f64 v[122:123], s[18:19], v[120:121], v[120:121], 1.0
	v_rcp_f64_e32 v[138:139], v[122:123]
	s_nop 0
	v_fma_f64 v[140:141], -v[122:123], v[138:139], 1.0
	v_fmac_f64_e32 v[138:139], v[138:139], v[140:141]
	v_fma_f64 v[140:141], -v[122:123], v[138:139], 1.0
	v_fmac_f64_e32 v[138:139], v[138:139], v[140:141]
	v_div_scale_f64 v[140:141], vcc, 1.0, v[120:121], 1.0
	v_mul_f64 v[142:143], v[140:141], v[138:139]
	v_fma_f64 v[122:123], -v[122:123], v[142:143], v[140:141]
	s_nop 1
	v_div_fmas_f64 v[122:123], v[122:123], v[138:139], v[142:143]
	v_div_fixup_f64 v[120:121], v[122:123], v[120:121], 1.0
	v_mul_f64 v[122:123], v[136:137], -v[120:121]
.LBB58_261:
	s_or_b64 exec, exec, s[16:17]
.LBB58_262:
	s_or_b64 exec, exec, s[0:1]
	v_cmp_ne_u32_e32 vcc, v133, v130
	s_and_saveexec_b64 s[0:1], vcc
	s_xor_b64 s[0:1], exec, s[0:1]
	s_cbranch_execz .LBB58_268
; %bb.263:
	v_cmp_eq_u32_e32 vcc, 12, v133
	s_and_saveexec_b64 s[16:17], vcc
	s_cbranch_execz .LBB58_267
; %bb.264:
	v_cmp_ne_u32_e32 vcc, 12, v130
	s_xor_b64 s[18:19], s[14:15], -1
	s_and_b64 s[22:23], s[18:19], vcc
	s_and_saveexec_b64 s[18:19], s[22:23]
	s_cbranch_execz .LBB58_266
; %bb.265:
	v_ashrrev_i32_e32 v131, 31, v130
	v_lshl_add_u64 v[136:137], v[130:131], 2, v[128:129]
	global_load_dword v131, v[136:137], off
	global_load_dword v133, v[128:129], off offset:48
	s_waitcnt vmcnt(1)
	global_store_dword v[128:129], v131, off offset:48
	s_waitcnt vmcnt(1)
	global_store_dword v[136:137], v133, off
.LBB58_266:
	s_or_b64 exec, exec, s[18:19]
	v_mov_b32_e32 v133, v130
	v_mov_b32_e32 v135, v130
.LBB58_267:
	s_or_b64 exec, exec, s[16:17]
.LBB58_268:
	s_andn2_saveexec_b64 s[0:1], s[0:1]
	s_cbranch_execz .LBB58_270
; %bb.269:
	v_mov_b32_e32 v133, 12
	s_waitcnt vmcnt(16)
	ds_write2_b64 v132, v[60:61], v[62:63] offset0:26 offset1:27
	s_waitcnt vmcnt(15)
	ds_write2_b64 v132, v[52:53], v[54:55] offset0:28 offset1:29
	;; [unrolled: 2-line block ×17, first 2 shown]
.LBB58_270:
	s_or_b64 exec, exec, s[0:1]
	v_cmp_lt_i32_e32 vcc, 12, v133
	s_waitcnt lgkmcnt(0)
	s_barrier
	s_and_saveexec_b64 s[0:1], vcc
	s_cbranch_execz .LBB58_272
; %bb.271:
	ds_read2_b64 v[136:139], v132 offset0:26 offset1:27
	v_mul_f64 v[130:131], v[122:123], v[66:67]
	v_mul_f64 v[66:67], v[120:121], v[66:67]
	v_fmac_f64_e32 v[66:67], v[122:123], v[64:65]
	v_fma_f64 v[130:131], v[120:121], v[64:65], -v[130:131]
	ds_read2_b64 v[120:123], v132 offset0:28 offset1:29
	s_waitcnt lgkmcnt(1)
	v_mul_f64 v[64:65], v[138:139], v[66:67]
	v_fma_f64 v[64:65], v[136:137], v[130:131], -v[64:65]
	v_mul_f64 v[136:137], v[136:137], v[66:67]
	v_fmac_f64_e32 v[136:137], v[138:139], v[130:131]
	s_waitcnt vmcnt(16)
	v_add_f64 v[62:63], v[62:63], -v[136:137]
	ds_read2_b64 v[136:139], v132 offset0:30 offset1:31
	v_add_f64 v[60:61], v[60:61], -v[64:65]
	s_waitcnt lgkmcnt(1)
	v_mul_f64 v[64:65], v[122:123], v[66:67]
	v_fma_f64 v[64:65], v[120:121], v[130:131], -v[64:65]
	v_mul_f64 v[120:121], v[120:121], v[66:67]
	v_fmac_f64_e32 v[120:121], v[122:123], v[130:131]
	s_waitcnt vmcnt(15)
	v_add_f64 v[52:53], v[52:53], -v[64:65]
	v_add_f64 v[54:55], v[54:55], -v[120:121]
	ds_read2_b64 v[120:123], v132 offset0:32 offset1:33
	s_waitcnt lgkmcnt(1)
	v_mul_f64 v[64:65], v[138:139], v[66:67]
	v_fma_f64 v[64:65], v[136:137], v[130:131], -v[64:65]
	v_mul_f64 v[136:137], v[136:137], v[66:67]
	v_fmac_f64_e32 v[136:137], v[138:139], v[130:131]
	s_waitcnt vmcnt(14)
	v_add_f64 v[58:59], v[58:59], -v[136:137]
	ds_read2_b64 v[136:139], v132 offset0:34 offset1:35
	v_add_f64 v[56:57], v[56:57], -v[64:65]
	s_waitcnt lgkmcnt(1)
	v_mul_f64 v[64:65], v[122:123], v[66:67]
	v_fma_f64 v[64:65], v[120:121], v[130:131], -v[64:65]
	v_mul_f64 v[120:121], v[120:121], v[66:67]
	v_fmac_f64_e32 v[120:121], v[122:123], v[130:131]
	s_waitcnt vmcnt(13)
	v_add_f64 v[48:49], v[48:49], -v[64:65]
	v_add_f64 v[50:51], v[50:51], -v[120:121]
	;; [unrolled: 18-line block ×8, first 2 shown]
	s_waitcnt lgkmcnt(0)
	v_mul_f64 v[64:65], v[138:139], v[66:67]
	v_mul_f64 v[120:121], v[136:137], v[66:67]
	v_fma_f64 v[64:65], v[136:137], v[130:131], -v[64:65]
	v_fmac_f64_e32 v[120:121], v[138:139], v[130:131]
	s_waitcnt vmcnt(0)
	v_add_f64 v[116:117], v[116:117], -v[64:65]
	v_add_f64 v[118:119], v[118:119], -v[120:121]
	v_mov_b64_e32 v[64:65], v[130:131]
.LBB58_272:
	s_or_b64 exec, exec, s[0:1]
	v_lshl_add_u32 v120, v133, 4, v132
	s_barrier
	s_waitcnt vmcnt(16)
	ds_write2_b64 v120, v[60:61], v[62:63] offset1:1
	s_waitcnt lgkmcnt(0)
	s_barrier
	ds_read2_b64 v[120:123], v132 offset0:26 offset1:27
	s_cmp_lt_i32 s20, 15
	v_mov_b32_e32 v130, 13
	s_cbranch_scc1 .LBB58_275
; %bb.273:
	v_add_u32_e32 v131, 0xe0, v132
	s_mov_b32 s16, 14
	v_mov_b32_e32 v130, 13
.LBB58_274:                             ; =>This Inner Loop Header: Depth=1
	ds_read2_b64 v[136:139], v131 offset1:1
	s_waitcnt lgkmcnt(1)
	v_xor_b32_e32 v141, 0x80000000, v121
	v_xor_b32_e32 v143, 0x80000000, v123
	v_cmp_gt_f64_e32 vcc, 0, v[122:123]
	v_cmp_gt_f64_e64 s[0:1], 0, v[120:121]
	v_mov_b32_e32 v140, v120
	v_mov_b32_e32 v142, v122
	v_cndmask_b32_e64 v141, v121, v141, s[0:1]
	v_cndmask_b32_e32 v143, v123, v143, vcc
	v_add_f64 v[140:141], v[140:141], v[142:143]
	s_waitcnt lgkmcnt(0)
	v_xor_b32_e32 v143, 0x80000000, v137
	v_xor_b32_e32 v145, 0x80000000, v139
	v_cmp_gt_f64_e32 vcc, 0, v[138:139]
	v_cmp_gt_f64_e64 s[0:1], 0, v[136:137]
	v_mov_b32_e32 v142, v136
	v_mov_b32_e32 v144, v138
	v_cndmask_b32_e64 v143, v137, v143, s[0:1]
	v_cndmask_b32_e32 v145, v139, v145, vcc
	v_add_f64 v[142:143], v[142:143], v[144:145]
	v_mov_b32_e32 v146, s16
	s_add_i32 s16, s16, 1
	v_cmp_lt_f64_e32 vcc, v[140:141], v[142:143]
	v_add_u32_e32 v131, 16, v131
	s_cmp_lg_u32 s20, s16
	v_cndmask_b32_e32 v121, v121, v137, vcc
	v_cndmask_b32_e32 v120, v120, v136, vcc
	v_cndmask_b32_e32 v123, v123, v139, vcc
	v_cndmask_b32_e32 v122, v122, v138, vcc
	v_cndmask_b32_e32 v130, v130, v146, vcc
	s_cbranch_scc1 .LBB58_274
.LBB58_275:
	s_waitcnt lgkmcnt(0)
	v_cmp_eq_f64_e32 vcc, 0, v[120:121]
	v_cmp_eq_f64_e64 s[0:1], 0, v[122:123]
	s_and_b64 s[0:1], vcc, s[0:1]
	s_and_saveexec_b64 s[16:17], s[0:1]
	s_xor_b64 s[0:1], exec, s[16:17]
; %bb.276:
	v_cmp_ne_u32_e32 vcc, 0, v134
	s_nop 1
	v_cndmask_b32_e32 v134, 14, v134, vcc
; %bb.277:
	s_andn2_saveexec_b64 s[0:1], s[0:1]
	s_cbranch_execz .LBB58_283
; %bb.278:
	v_cmp_ngt_f64_e64 s[16:17], |v[120:121]|, |v[122:123]|
	s_and_saveexec_b64 s[18:19], s[16:17]
	s_xor_b64 s[16:17], exec, s[18:19]
	s_cbranch_execz .LBB58_280
; %bb.279:
	v_div_scale_f64 v[136:137], s[18:19], v[122:123], v[122:123], v[120:121]
	v_rcp_f64_e32 v[138:139], v[136:137]
	v_div_scale_f64 v[140:141], vcc, v[120:121], v[122:123], v[120:121]
	v_fma_f64 v[142:143], -v[136:137], v[138:139], 1.0
	v_fmac_f64_e32 v[138:139], v[138:139], v[142:143]
	v_fma_f64 v[142:143], -v[136:137], v[138:139], 1.0
	v_fmac_f64_e32 v[138:139], v[138:139], v[142:143]
	v_mul_f64 v[142:143], v[140:141], v[138:139]
	v_fma_f64 v[136:137], -v[136:137], v[142:143], v[140:141]
	v_div_fmas_f64 v[136:137], v[136:137], v[138:139], v[142:143]
	v_div_fixup_f64 v[136:137], v[136:137], v[122:123], v[120:121]
	v_fmac_f64_e32 v[122:123], v[120:121], v[136:137]
	v_div_scale_f64 v[120:121], s[18:19], v[122:123], v[122:123], 1.0
	v_rcp_f64_e32 v[138:139], v[120:121]
	s_nop 0
	v_fma_f64 v[140:141], -v[120:121], v[138:139], 1.0
	v_fmac_f64_e32 v[138:139], v[138:139], v[140:141]
	v_fma_f64 v[140:141], -v[120:121], v[138:139], 1.0
	v_fmac_f64_e32 v[138:139], v[138:139], v[140:141]
	v_div_scale_f64 v[140:141], vcc, 1.0, v[122:123], 1.0
	v_mul_f64 v[142:143], v[140:141], v[138:139]
	v_fma_f64 v[120:121], -v[120:121], v[142:143], v[140:141]
	s_nop 1
	v_div_fmas_f64 v[120:121], v[120:121], v[138:139], v[142:143]
	v_div_fixup_f64 v[122:123], v[120:121], v[122:123], 1.0
	v_mul_f64 v[120:121], v[136:137], v[122:123]
	v_xor_b32_e32 v123, 0x80000000, v123
.LBB58_280:
	s_andn2_saveexec_b64 s[16:17], s[16:17]
	s_cbranch_execz .LBB58_282
; %bb.281:
	v_div_scale_f64 v[136:137], s[18:19], v[120:121], v[120:121], v[122:123]
	v_rcp_f64_e32 v[138:139], v[136:137]
	v_div_scale_f64 v[140:141], vcc, v[122:123], v[120:121], v[122:123]
	v_fma_f64 v[142:143], -v[136:137], v[138:139], 1.0
	v_fmac_f64_e32 v[138:139], v[138:139], v[142:143]
	v_fma_f64 v[142:143], -v[136:137], v[138:139], 1.0
	v_fmac_f64_e32 v[138:139], v[138:139], v[142:143]
	v_mul_f64 v[142:143], v[140:141], v[138:139]
	v_fma_f64 v[136:137], -v[136:137], v[142:143], v[140:141]
	v_div_fmas_f64 v[136:137], v[136:137], v[138:139], v[142:143]
	v_div_fixup_f64 v[136:137], v[136:137], v[120:121], v[122:123]
	v_fmac_f64_e32 v[120:121], v[122:123], v[136:137]
	v_div_scale_f64 v[122:123], s[18:19], v[120:121], v[120:121], 1.0
	v_rcp_f64_e32 v[138:139], v[122:123]
	s_nop 0
	v_fma_f64 v[140:141], -v[122:123], v[138:139], 1.0
	v_fmac_f64_e32 v[138:139], v[138:139], v[140:141]
	v_fma_f64 v[140:141], -v[122:123], v[138:139], 1.0
	v_fmac_f64_e32 v[138:139], v[138:139], v[140:141]
	v_div_scale_f64 v[140:141], vcc, 1.0, v[120:121], 1.0
	v_mul_f64 v[142:143], v[140:141], v[138:139]
	v_fma_f64 v[122:123], -v[122:123], v[142:143], v[140:141]
	s_nop 1
	v_div_fmas_f64 v[122:123], v[122:123], v[138:139], v[142:143]
	v_div_fixup_f64 v[120:121], v[122:123], v[120:121], 1.0
	v_mul_f64 v[122:123], v[136:137], -v[120:121]
.LBB58_282:
	s_or_b64 exec, exec, s[16:17]
.LBB58_283:
	s_or_b64 exec, exec, s[0:1]
	v_cmp_ne_u32_e32 vcc, v133, v130
	s_and_saveexec_b64 s[0:1], vcc
	s_xor_b64 s[0:1], exec, s[0:1]
	s_cbranch_execz .LBB58_289
; %bb.284:
	v_cmp_eq_u32_e32 vcc, 13, v133
	s_and_saveexec_b64 s[16:17], vcc
	s_cbranch_execz .LBB58_288
; %bb.285:
	v_cmp_ne_u32_e32 vcc, 13, v130
	s_xor_b64 s[18:19], s[14:15], -1
	s_and_b64 s[22:23], s[18:19], vcc
	s_and_saveexec_b64 s[18:19], s[22:23]
	s_cbranch_execz .LBB58_287
; %bb.286:
	v_ashrrev_i32_e32 v131, 31, v130
	v_lshl_add_u64 v[136:137], v[130:131], 2, v[128:129]
	global_load_dword v131, v[136:137], off
	global_load_dword v133, v[128:129], off offset:52
	s_waitcnt vmcnt(1)
	global_store_dword v[128:129], v131, off offset:52
	s_waitcnt vmcnt(1)
	global_store_dword v[136:137], v133, off
.LBB58_287:
	s_or_b64 exec, exec, s[18:19]
	v_mov_b32_e32 v133, v130
	v_mov_b32_e32 v135, v130
.LBB58_288:
	s_or_b64 exec, exec, s[16:17]
.LBB58_289:
	s_andn2_saveexec_b64 s[0:1], s[0:1]
	s_cbranch_execz .LBB58_291
; %bb.290:
	v_mov_b32_e32 v133, 13
	s_waitcnt vmcnt(15)
	ds_write2_b64 v132, v[52:53], v[54:55] offset0:28 offset1:29
	s_waitcnt vmcnt(14)
	ds_write2_b64 v132, v[56:57], v[58:59] offset0:30 offset1:31
	;; [unrolled: 2-line block ×16, first 2 shown]
.LBB58_291:
	s_or_b64 exec, exec, s[0:1]
	v_cmp_lt_i32_e32 vcc, 13, v133
	s_waitcnt lgkmcnt(0)
	s_barrier
	s_and_saveexec_b64 s[0:1], vcc
	s_cbranch_execz .LBB58_293
; %bb.292:
	ds_read2_b64 v[136:139], v132 offset0:28 offset1:29
	v_mul_f64 v[130:131], v[120:121], v[62:63]
	v_mul_f64 v[62:63], v[122:123], v[62:63]
	v_fmac_f64_e32 v[130:131], v[122:123], v[60:61]
	v_fma_f64 v[60:61], v[120:121], v[60:61], -v[62:63]
	ds_read2_b64 v[120:123], v132 offset0:30 offset1:31
	s_waitcnt lgkmcnt(1)
	v_mul_f64 v[62:63], v[138:139], v[130:131]
	v_fma_f64 v[62:63], v[136:137], v[60:61], -v[62:63]
	v_mul_f64 v[136:137], v[136:137], v[130:131]
	v_fmac_f64_e32 v[136:137], v[138:139], v[60:61]
	s_waitcnt vmcnt(15)
	v_add_f64 v[52:53], v[52:53], -v[62:63]
	s_waitcnt lgkmcnt(0)
	v_mul_f64 v[62:63], v[122:123], v[130:131]
	v_add_f64 v[54:55], v[54:55], -v[136:137]
	v_fma_f64 v[62:63], v[120:121], v[60:61], -v[62:63]
	v_mul_f64 v[120:121], v[120:121], v[130:131]
	ds_read2_b64 v[136:139], v132 offset0:32 offset1:33
	v_fmac_f64_e32 v[120:121], v[122:123], v[60:61]
	s_waitcnt vmcnt(14)
	v_add_f64 v[58:59], v[58:59], -v[120:121]
	ds_read2_b64 v[120:123], v132 offset0:34 offset1:35
	v_add_f64 v[56:57], v[56:57], -v[62:63]
	s_waitcnt lgkmcnt(1)
	v_mul_f64 v[62:63], v[138:139], v[130:131]
	v_fma_f64 v[62:63], v[136:137], v[60:61], -v[62:63]
	v_mul_f64 v[136:137], v[136:137], v[130:131]
	v_fmac_f64_e32 v[136:137], v[138:139], v[60:61]
	s_waitcnt vmcnt(13)
	v_add_f64 v[48:49], v[48:49], -v[62:63]
	s_waitcnt lgkmcnt(0)
	v_mul_f64 v[62:63], v[122:123], v[130:131]
	v_add_f64 v[50:51], v[50:51], -v[136:137]
	v_fma_f64 v[62:63], v[120:121], v[60:61], -v[62:63]
	v_mul_f64 v[120:121], v[120:121], v[130:131]
	ds_read2_b64 v[136:139], v132 offset0:36 offset1:37
	v_fmac_f64_e32 v[120:121], v[122:123], v[60:61]
	s_waitcnt vmcnt(12)
	v_add_f64 v[46:47], v[46:47], -v[120:121]
	ds_read2_b64 v[120:123], v132 offset0:38 offset1:39
	v_add_f64 v[44:45], v[44:45], -v[62:63]
	;; [unrolled: 18-line block ×7, first 2 shown]
	s_waitcnt lgkmcnt(1)
	v_mul_f64 v[62:63], v[138:139], v[130:131]
	v_fma_f64 v[62:63], v[136:137], v[60:61], -v[62:63]
	s_waitcnt vmcnt(1)
	v_add_f64 v[0:1], v[0:1], -v[62:63]
	s_waitcnt lgkmcnt(0)
	v_mul_f64 v[62:63], v[122:123], v[130:131]
	v_mul_f64 v[136:137], v[136:137], v[130:131]
	v_fma_f64 v[62:63], v[120:121], v[60:61], -v[62:63]
	v_mul_f64 v[120:121], v[120:121], v[130:131]
	v_fmac_f64_e32 v[136:137], v[138:139], v[60:61]
	v_fmac_f64_e32 v[120:121], v[122:123], v[60:61]
	v_add_f64 v[2:3], v[2:3], -v[136:137]
	s_waitcnt vmcnt(0)
	v_add_f64 v[116:117], v[116:117], -v[62:63]
	v_add_f64 v[118:119], v[118:119], -v[120:121]
	v_mov_b64_e32 v[62:63], v[130:131]
.LBB58_293:
	s_or_b64 exec, exec, s[0:1]
	v_lshl_add_u32 v120, v133, 4, v132
	s_barrier
	s_waitcnt vmcnt(15)
	ds_write2_b64 v120, v[52:53], v[54:55] offset1:1
	s_waitcnt lgkmcnt(0)
	s_barrier
	ds_read2_b64 v[120:123], v132 offset0:28 offset1:29
	s_cmp_lt_i32 s20, 16
	v_mov_b32_e32 v130, 14
	s_cbranch_scc1 .LBB58_296
; %bb.294:
	v_add_u32_e32 v131, 0xf0, v132
	s_mov_b32 s16, 15
	v_mov_b32_e32 v130, 14
.LBB58_295:                             ; =>This Inner Loop Header: Depth=1
	ds_read2_b64 v[136:139], v131 offset1:1
	s_waitcnt lgkmcnt(1)
	v_xor_b32_e32 v141, 0x80000000, v121
	v_xor_b32_e32 v143, 0x80000000, v123
	v_cmp_gt_f64_e32 vcc, 0, v[122:123]
	v_cmp_gt_f64_e64 s[0:1], 0, v[120:121]
	v_mov_b32_e32 v140, v120
	v_mov_b32_e32 v142, v122
	v_cndmask_b32_e64 v141, v121, v141, s[0:1]
	v_cndmask_b32_e32 v143, v123, v143, vcc
	v_add_f64 v[140:141], v[140:141], v[142:143]
	s_waitcnt lgkmcnt(0)
	v_xor_b32_e32 v143, 0x80000000, v137
	v_xor_b32_e32 v145, 0x80000000, v139
	v_cmp_gt_f64_e32 vcc, 0, v[138:139]
	v_cmp_gt_f64_e64 s[0:1], 0, v[136:137]
	v_mov_b32_e32 v142, v136
	v_mov_b32_e32 v144, v138
	v_cndmask_b32_e64 v143, v137, v143, s[0:1]
	v_cndmask_b32_e32 v145, v139, v145, vcc
	v_add_f64 v[142:143], v[142:143], v[144:145]
	v_mov_b32_e32 v146, s16
	s_add_i32 s16, s16, 1
	v_cmp_lt_f64_e32 vcc, v[140:141], v[142:143]
	v_add_u32_e32 v131, 16, v131
	s_cmp_lg_u32 s20, s16
	v_cndmask_b32_e32 v121, v121, v137, vcc
	v_cndmask_b32_e32 v120, v120, v136, vcc
	;; [unrolled: 1-line block ×5, first 2 shown]
	s_cbranch_scc1 .LBB58_295
.LBB58_296:
	s_waitcnt lgkmcnt(0)
	v_cmp_eq_f64_e32 vcc, 0, v[120:121]
	v_cmp_eq_f64_e64 s[0:1], 0, v[122:123]
	s_and_b64 s[0:1], vcc, s[0:1]
	s_and_saveexec_b64 s[16:17], s[0:1]
	s_xor_b64 s[0:1], exec, s[16:17]
; %bb.297:
	v_cmp_ne_u32_e32 vcc, 0, v134
	s_nop 1
	v_cndmask_b32_e32 v134, 15, v134, vcc
; %bb.298:
	s_andn2_saveexec_b64 s[0:1], s[0:1]
	s_cbranch_execz .LBB58_304
; %bb.299:
	v_cmp_ngt_f64_e64 s[16:17], |v[120:121]|, |v[122:123]|
	s_and_saveexec_b64 s[18:19], s[16:17]
	s_xor_b64 s[16:17], exec, s[18:19]
	s_cbranch_execz .LBB58_301
; %bb.300:
	v_div_scale_f64 v[136:137], s[18:19], v[122:123], v[122:123], v[120:121]
	v_rcp_f64_e32 v[138:139], v[136:137]
	v_div_scale_f64 v[140:141], vcc, v[120:121], v[122:123], v[120:121]
	v_fma_f64 v[142:143], -v[136:137], v[138:139], 1.0
	v_fmac_f64_e32 v[138:139], v[138:139], v[142:143]
	v_fma_f64 v[142:143], -v[136:137], v[138:139], 1.0
	v_fmac_f64_e32 v[138:139], v[138:139], v[142:143]
	v_mul_f64 v[142:143], v[140:141], v[138:139]
	v_fma_f64 v[136:137], -v[136:137], v[142:143], v[140:141]
	v_div_fmas_f64 v[136:137], v[136:137], v[138:139], v[142:143]
	v_div_fixup_f64 v[136:137], v[136:137], v[122:123], v[120:121]
	v_fmac_f64_e32 v[122:123], v[120:121], v[136:137]
	v_div_scale_f64 v[120:121], s[18:19], v[122:123], v[122:123], 1.0
	v_rcp_f64_e32 v[138:139], v[120:121]
	s_nop 0
	v_fma_f64 v[140:141], -v[120:121], v[138:139], 1.0
	v_fmac_f64_e32 v[138:139], v[138:139], v[140:141]
	v_fma_f64 v[140:141], -v[120:121], v[138:139], 1.0
	v_fmac_f64_e32 v[138:139], v[138:139], v[140:141]
	v_div_scale_f64 v[140:141], vcc, 1.0, v[122:123], 1.0
	v_mul_f64 v[142:143], v[140:141], v[138:139]
	v_fma_f64 v[120:121], -v[120:121], v[142:143], v[140:141]
	s_nop 1
	v_div_fmas_f64 v[120:121], v[120:121], v[138:139], v[142:143]
	v_div_fixup_f64 v[122:123], v[120:121], v[122:123], 1.0
	v_mul_f64 v[120:121], v[136:137], v[122:123]
	v_xor_b32_e32 v123, 0x80000000, v123
.LBB58_301:
	s_andn2_saveexec_b64 s[16:17], s[16:17]
	s_cbranch_execz .LBB58_303
; %bb.302:
	v_div_scale_f64 v[136:137], s[18:19], v[120:121], v[120:121], v[122:123]
	v_rcp_f64_e32 v[138:139], v[136:137]
	v_div_scale_f64 v[140:141], vcc, v[122:123], v[120:121], v[122:123]
	v_fma_f64 v[142:143], -v[136:137], v[138:139], 1.0
	v_fmac_f64_e32 v[138:139], v[138:139], v[142:143]
	v_fma_f64 v[142:143], -v[136:137], v[138:139], 1.0
	v_fmac_f64_e32 v[138:139], v[138:139], v[142:143]
	v_mul_f64 v[142:143], v[140:141], v[138:139]
	v_fma_f64 v[136:137], -v[136:137], v[142:143], v[140:141]
	v_div_fmas_f64 v[136:137], v[136:137], v[138:139], v[142:143]
	v_div_fixup_f64 v[136:137], v[136:137], v[120:121], v[122:123]
	v_fmac_f64_e32 v[120:121], v[122:123], v[136:137]
	v_div_scale_f64 v[122:123], s[18:19], v[120:121], v[120:121], 1.0
	v_rcp_f64_e32 v[138:139], v[122:123]
	s_nop 0
	v_fma_f64 v[140:141], -v[122:123], v[138:139], 1.0
	v_fmac_f64_e32 v[138:139], v[138:139], v[140:141]
	v_fma_f64 v[140:141], -v[122:123], v[138:139], 1.0
	v_fmac_f64_e32 v[138:139], v[138:139], v[140:141]
	v_div_scale_f64 v[140:141], vcc, 1.0, v[120:121], 1.0
	v_mul_f64 v[142:143], v[140:141], v[138:139]
	v_fma_f64 v[122:123], -v[122:123], v[142:143], v[140:141]
	s_nop 1
	v_div_fmas_f64 v[122:123], v[122:123], v[138:139], v[142:143]
	v_div_fixup_f64 v[120:121], v[122:123], v[120:121], 1.0
	v_mul_f64 v[122:123], v[136:137], -v[120:121]
.LBB58_303:
	s_or_b64 exec, exec, s[16:17]
.LBB58_304:
	s_or_b64 exec, exec, s[0:1]
	v_cmp_ne_u32_e32 vcc, v133, v130
	s_and_saveexec_b64 s[0:1], vcc
	s_xor_b64 s[0:1], exec, s[0:1]
	s_cbranch_execz .LBB58_310
; %bb.305:
	v_cmp_eq_u32_e32 vcc, 14, v133
	s_and_saveexec_b64 s[16:17], vcc
	s_cbranch_execz .LBB58_309
; %bb.306:
	v_cmp_ne_u32_e32 vcc, 14, v130
	s_xor_b64 s[18:19], s[14:15], -1
	s_and_b64 s[22:23], s[18:19], vcc
	s_and_saveexec_b64 s[18:19], s[22:23]
	s_cbranch_execz .LBB58_308
; %bb.307:
	v_ashrrev_i32_e32 v131, 31, v130
	v_lshl_add_u64 v[136:137], v[130:131], 2, v[128:129]
	global_load_dword v131, v[136:137], off
	global_load_dword v133, v[128:129], off offset:56
	s_waitcnt vmcnt(1)
	global_store_dword v[128:129], v131, off offset:56
	s_waitcnt vmcnt(1)
	global_store_dword v[136:137], v133, off
.LBB58_308:
	s_or_b64 exec, exec, s[18:19]
	v_mov_b32_e32 v133, v130
	v_mov_b32_e32 v135, v130
.LBB58_309:
	s_or_b64 exec, exec, s[16:17]
.LBB58_310:
	s_andn2_saveexec_b64 s[0:1], s[0:1]
	s_cbranch_execz .LBB58_312
; %bb.311:
	v_mov_b32_e32 v133, 14
	s_waitcnt vmcnt(14)
	ds_write2_b64 v132, v[56:57], v[58:59] offset0:30 offset1:31
	s_waitcnt vmcnt(13)
	ds_write2_b64 v132, v[48:49], v[50:51] offset0:32 offset1:33
	;; [unrolled: 2-line block ×15, first 2 shown]
.LBB58_312:
	s_or_b64 exec, exec, s[0:1]
	v_cmp_lt_i32_e32 vcc, 14, v133
	s_waitcnt lgkmcnt(0)
	s_barrier
	s_and_saveexec_b64 s[0:1], vcc
	s_cbranch_execz .LBB58_314
; %bb.313:
	ds_read2_b64 v[136:139], v132 offset0:30 offset1:31
	v_mul_f64 v[130:131], v[120:121], v[54:55]
	v_fmac_f64_e32 v[130:131], v[122:123], v[52:53]
	v_mul_f64 v[54:55], v[122:123], v[54:55]
	v_fma_f64 v[52:53], v[120:121], v[52:53], -v[54:55]
	ds_read2_b64 v[120:123], v132 offset0:32 offset1:33
	s_waitcnt lgkmcnt(1)
	v_mul_f64 v[54:55], v[138:139], v[130:131]
	v_fma_f64 v[54:55], v[136:137], v[52:53], -v[54:55]
	v_mul_f64 v[136:137], v[136:137], v[130:131]
	v_fmac_f64_e32 v[136:137], v[138:139], v[52:53]
	s_waitcnt vmcnt(14)
	v_add_f64 v[58:59], v[58:59], -v[136:137]
	ds_read2_b64 v[136:139], v132 offset0:34 offset1:35
	v_add_f64 v[56:57], v[56:57], -v[54:55]
	s_waitcnt lgkmcnt(1)
	v_mul_f64 v[54:55], v[122:123], v[130:131]
	v_fma_f64 v[54:55], v[120:121], v[52:53], -v[54:55]
	v_mul_f64 v[120:121], v[120:121], v[130:131]
	v_fmac_f64_e32 v[120:121], v[122:123], v[52:53]
	s_waitcnt vmcnt(13)
	v_add_f64 v[48:49], v[48:49], -v[54:55]
	v_add_f64 v[50:51], v[50:51], -v[120:121]
	ds_read2_b64 v[120:123], v132 offset0:36 offset1:37
	s_waitcnt lgkmcnt(1)
	v_mul_f64 v[54:55], v[138:139], v[130:131]
	v_fma_f64 v[54:55], v[136:137], v[52:53], -v[54:55]
	v_mul_f64 v[136:137], v[136:137], v[130:131]
	v_fmac_f64_e32 v[136:137], v[138:139], v[52:53]
	s_waitcnt vmcnt(12)
	v_add_f64 v[46:47], v[46:47], -v[136:137]
	ds_read2_b64 v[136:139], v132 offset0:38 offset1:39
	v_add_f64 v[44:45], v[44:45], -v[54:55]
	s_waitcnt lgkmcnt(1)
	v_mul_f64 v[54:55], v[122:123], v[130:131]
	v_fma_f64 v[54:55], v[120:121], v[52:53], -v[54:55]
	v_mul_f64 v[120:121], v[120:121], v[130:131]
	v_fmac_f64_e32 v[120:121], v[122:123], v[52:53]
	s_waitcnt vmcnt(11)
	v_add_f64 v[40:41], v[40:41], -v[54:55]
	v_add_f64 v[42:43], v[42:43], -v[120:121]
	ds_read2_b64 v[120:123], v132 offset0:40 offset1:41
	s_waitcnt lgkmcnt(1)
	v_mul_f64 v[54:55], v[138:139], v[130:131]
	v_fma_f64 v[54:55], v[136:137], v[52:53], -v[54:55]
	v_mul_f64 v[136:137], v[136:137], v[130:131]
	v_fmac_f64_e32 v[136:137], v[138:139], v[52:53]
	s_waitcnt vmcnt(10)
	v_add_f64 v[38:39], v[38:39], -v[136:137]
	ds_read2_b64 v[136:139], v132 offset0:42 offset1:43
	v_add_f64 v[36:37], v[36:37], -v[54:55]
	s_waitcnt lgkmcnt(1)
	v_mul_f64 v[54:55], v[122:123], v[130:131]
	v_fma_f64 v[54:55], v[120:121], v[52:53], -v[54:55]
	v_mul_f64 v[120:121], v[120:121], v[130:131]
	v_fmac_f64_e32 v[120:121], v[122:123], v[52:53]
	s_waitcnt vmcnt(9)
	v_add_f64 v[32:33], v[32:33], -v[54:55]
	v_add_f64 v[34:35], v[34:35], -v[120:121]
	ds_read2_b64 v[120:123], v132 offset0:44 offset1:45
	s_waitcnt lgkmcnt(1)
	v_mul_f64 v[54:55], v[138:139], v[130:131]
	v_fma_f64 v[54:55], v[136:137], v[52:53], -v[54:55]
	v_mul_f64 v[136:137], v[136:137], v[130:131]
	v_fmac_f64_e32 v[136:137], v[138:139], v[52:53]
	s_waitcnt vmcnt(8)
	v_add_f64 v[30:31], v[30:31], -v[136:137]
	ds_read2_b64 v[136:139], v132 offset0:46 offset1:47
	v_add_f64 v[28:29], v[28:29], -v[54:55]
	s_waitcnt lgkmcnt(1)
	v_mul_f64 v[54:55], v[122:123], v[130:131]
	v_fma_f64 v[54:55], v[120:121], v[52:53], -v[54:55]
	v_mul_f64 v[120:121], v[120:121], v[130:131]
	v_fmac_f64_e32 v[120:121], v[122:123], v[52:53]
	s_waitcnt vmcnt(7)
	v_add_f64 v[24:25], v[24:25], -v[54:55]
	v_add_f64 v[26:27], v[26:27], -v[120:121]
	ds_read2_b64 v[120:123], v132 offset0:48 offset1:49
	s_waitcnt lgkmcnt(1)
	v_mul_f64 v[54:55], v[138:139], v[130:131]
	v_fma_f64 v[54:55], v[136:137], v[52:53], -v[54:55]
	v_mul_f64 v[136:137], v[136:137], v[130:131]
	v_fmac_f64_e32 v[136:137], v[138:139], v[52:53]
	s_waitcnt vmcnt(6)
	v_add_f64 v[22:23], v[22:23], -v[136:137]
	ds_read2_b64 v[136:139], v132 offset0:50 offset1:51
	v_add_f64 v[20:21], v[20:21], -v[54:55]
	s_waitcnt lgkmcnt(1)
	v_mul_f64 v[54:55], v[122:123], v[130:131]
	v_fma_f64 v[54:55], v[120:121], v[52:53], -v[54:55]
	v_mul_f64 v[120:121], v[120:121], v[130:131]
	v_fmac_f64_e32 v[120:121], v[122:123], v[52:53]
	s_waitcnt vmcnt(5)
	v_add_f64 v[16:17], v[16:17], -v[54:55]
	v_add_f64 v[18:19], v[18:19], -v[120:121]
	ds_read2_b64 v[120:123], v132 offset0:52 offset1:53
	s_waitcnt lgkmcnt(1)
	v_mul_f64 v[54:55], v[138:139], v[130:131]
	v_fma_f64 v[54:55], v[136:137], v[52:53], -v[54:55]
	v_mul_f64 v[136:137], v[136:137], v[130:131]
	v_fmac_f64_e32 v[136:137], v[138:139], v[52:53]
	s_waitcnt vmcnt(4)
	v_add_f64 v[14:15], v[14:15], -v[136:137]
	ds_read2_b64 v[136:139], v132 offset0:54 offset1:55
	v_add_f64 v[12:13], v[12:13], -v[54:55]
	s_waitcnt lgkmcnt(1)
	v_mul_f64 v[54:55], v[122:123], v[130:131]
	v_fma_f64 v[54:55], v[120:121], v[52:53], -v[54:55]
	v_mul_f64 v[120:121], v[120:121], v[130:131]
	v_fmac_f64_e32 v[120:121], v[122:123], v[52:53]
	s_waitcnt vmcnt(3)
	v_add_f64 v[8:9], v[8:9], -v[54:55]
	v_add_f64 v[10:11], v[10:11], -v[120:121]
	ds_read2_b64 v[120:123], v132 offset0:56 offset1:57
	s_waitcnt lgkmcnt(1)
	v_mul_f64 v[54:55], v[138:139], v[130:131]
	v_fma_f64 v[54:55], v[136:137], v[52:53], -v[54:55]
	v_mul_f64 v[136:137], v[136:137], v[130:131]
	v_fmac_f64_e32 v[136:137], v[138:139], v[52:53]
	s_waitcnt vmcnt(2)
	v_add_f64 v[6:7], v[6:7], -v[136:137]
	ds_read2_b64 v[136:139], v132 offset0:58 offset1:59
	v_add_f64 v[4:5], v[4:5], -v[54:55]
	s_waitcnt lgkmcnt(1)
	v_mul_f64 v[54:55], v[122:123], v[130:131]
	v_fma_f64 v[54:55], v[120:121], v[52:53], -v[54:55]
	v_mul_f64 v[120:121], v[120:121], v[130:131]
	v_fmac_f64_e32 v[120:121], v[122:123], v[52:53]
	s_waitcnt vmcnt(1)
	v_add_f64 v[0:1], v[0:1], -v[54:55]
	v_add_f64 v[2:3], v[2:3], -v[120:121]
	s_waitcnt lgkmcnt(0)
	v_mul_f64 v[54:55], v[138:139], v[130:131]
	v_mul_f64 v[120:121], v[136:137], v[130:131]
	v_fma_f64 v[54:55], v[136:137], v[52:53], -v[54:55]
	v_fmac_f64_e32 v[120:121], v[138:139], v[52:53]
	s_waitcnt vmcnt(0)
	v_add_f64 v[116:117], v[116:117], -v[54:55]
	v_add_f64 v[118:119], v[118:119], -v[120:121]
	v_mov_b64_e32 v[54:55], v[130:131]
.LBB58_314:
	s_or_b64 exec, exec, s[0:1]
	v_lshl_add_u32 v120, v133, 4, v132
	s_barrier
	s_waitcnt vmcnt(14)
	ds_write2_b64 v120, v[56:57], v[58:59] offset1:1
	s_waitcnt lgkmcnt(0)
	s_barrier
	ds_read2_b64 v[120:123], v132 offset0:30 offset1:31
	s_cmp_lt_i32 s20, 17
	v_mov_b32_e32 v130, 15
	s_cbranch_scc1 .LBB58_317
; %bb.315:
	v_add_u32_e32 v131, 0x100, v132
	s_mov_b32 s16, 16
	v_mov_b32_e32 v130, 15
.LBB58_316:                             ; =>This Inner Loop Header: Depth=1
	ds_read2_b64 v[136:139], v131 offset1:1
	s_waitcnt lgkmcnt(1)
	v_xor_b32_e32 v141, 0x80000000, v121
	v_xor_b32_e32 v143, 0x80000000, v123
	v_cmp_gt_f64_e32 vcc, 0, v[122:123]
	v_cmp_gt_f64_e64 s[0:1], 0, v[120:121]
	v_mov_b32_e32 v140, v120
	v_mov_b32_e32 v142, v122
	v_cndmask_b32_e64 v141, v121, v141, s[0:1]
	v_cndmask_b32_e32 v143, v123, v143, vcc
	v_add_f64 v[140:141], v[140:141], v[142:143]
	s_waitcnt lgkmcnt(0)
	v_xor_b32_e32 v143, 0x80000000, v137
	v_xor_b32_e32 v145, 0x80000000, v139
	v_cmp_gt_f64_e32 vcc, 0, v[138:139]
	v_cmp_gt_f64_e64 s[0:1], 0, v[136:137]
	v_mov_b32_e32 v142, v136
	v_mov_b32_e32 v144, v138
	v_cndmask_b32_e64 v143, v137, v143, s[0:1]
	v_cndmask_b32_e32 v145, v139, v145, vcc
	v_add_f64 v[142:143], v[142:143], v[144:145]
	v_mov_b32_e32 v146, s16
	s_add_i32 s16, s16, 1
	v_cmp_lt_f64_e32 vcc, v[140:141], v[142:143]
	v_add_u32_e32 v131, 16, v131
	s_cmp_lg_u32 s20, s16
	v_cndmask_b32_e32 v121, v121, v137, vcc
	v_cndmask_b32_e32 v120, v120, v136, vcc
	;; [unrolled: 1-line block ×5, first 2 shown]
	s_cbranch_scc1 .LBB58_316
.LBB58_317:
	s_waitcnt lgkmcnt(0)
	v_cmp_eq_f64_e32 vcc, 0, v[120:121]
	v_cmp_eq_f64_e64 s[0:1], 0, v[122:123]
	s_and_b64 s[0:1], vcc, s[0:1]
	s_and_saveexec_b64 s[16:17], s[0:1]
	s_xor_b64 s[0:1], exec, s[16:17]
; %bb.318:
	v_cmp_ne_u32_e32 vcc, 0, v134
	s_nop 1
	v_cndmask_b32_e32 v134, 16, v134, vcc
; %bb.319:
	s_andn2_saveexec_b64 s[0:1], s[0:1]
	s_cbranch_execz .LBB58_325
; %bb.320:
	v_cmp_ngt_f64_e64 s[16:17], |v[120:121]|, |v[122:123]|
	s_and_saveexec_b64 s[18:19], s[16:17]
	s_xor_b64 s[16:17], exec, s[18:19]
	s_cbranch_execz .LBB58_322
; %bb.321:
	v_div_scale_f64 v[136:137], s[18:19], v[122:123], v[122:123], v[120:121]
	v_rcp_f64_e32 v[138:139], v[136:137]
	v_div_scale_f64 v[140:141], vcc, v[120:121], v[122:123], v[120:121]
	v_fma_f64 v[142:143], -v[136:137], v[138:139], 1.0
	v_fmac_f64_e32 v[138:139], v[138:139], v[142:143]
	v_fma_f64 v[142:143], -v[136:137], v[138:139], 1.0
	v_fmac_f64_e32 v[138:139], v[138:139], v[142:143]
	v_mul_f64 v[142:143], v[140:141], v[138:139]
	v_fma_f64 v[136:137], -v[136:137], v[142:143], v[140:141]
	v_div_fmas_f64 v[136:137], v[136:137], v[138:139], v[142:143]
	v_div_fixup_f64 v[136:137], v[136:137], v[122:123], v[120:121]
	v_fmac_f64_e32 v[122:123], v[120:121], v[136:137]
	v_div_scale_f64 v[120:121], s[18:19], v[122:123], v[122:123], 1.0
	v_rcp_f64_e32 v[138:139], v[120:121]
	s_nop 0
	v_fma_f64 v[140:141], -v[120:121], v[138:139], 1.0
	v_fmac_f64_e32 v[138:139], v[138:139], v[140:141]
	v_fma_f64 v[140:141], -v[120:121], v[138:139], 1.0
	v_fmac_f64_e32 v[138:139], v[138:139], v[140:141]
	v_div_scale_f64 v[140:141], vcc, 1.0, v[122:123], 1.0
	v_mul_f64 v[142:143], v[140:141], v[138:139]
	v_fma_f64 v[120:121], -v[120:121], v[142:143], v[140:141]
	s_nop 1
	v_div_fmas_f64 v[120:121], v[120:121], v[138:139], v[142:143]
	v_div_fixup_f64 v[122:123], v[120:121], v[122:123], 1.0
	v_mul_f64 v[120:121], v[136:137], v[122:123]
	v_xor_b32_e32 v123, 0x80000000, v123
.LBB58_322:
	s_andn2_saveexec_b64 s[16:17], s[16:17]
	s_cbranch_execz .LBB58_324
; %bb.323:
	v_div_scale_f64 v[136:137], s[18:19], v[120:121], v[120:121], v[122:123]
	v_rcp_f64_e32 v[138:139], v[136:137]
	v_div_scale_f64 v[140:141], vcc, v[122:123], v[120:121], v[122:123]
	v_fma_f64 v[142:143], -v[136:137], v[138:139], 1.0
	v_fmac_f64_e32 v[138:139], v[138:139], v[142:143]
	v_fma_f64 v[142:143], -v[136:137], v[138:139], 1.0
	v_fmac_f64_e32 v[138:139], v[138:139], v[142:143]
	v_mul_f64 v[142:143], v[140:141], v[138:139]
	v_fma_f64 v[136:137], -v[136:137], v[142:143], v[140:141]
	v_div_fmas_f64 v[136:137], v[136:137], v[138:139], v[142:143]
	v_div_fixup_f64 v[136:137], v[136:137], v[120:121], v[122:123]
	v_fmac_f64_e32 v[120:121], v[122:123], v[136:137]
	v_div_scale_f64 v[122:123], s[18:19], v[120:121], v[120:121], 1.0
	v_rcp_f64_e32 v[138:139], v[122:123]
	s_nop 0
	v_fma_f64 v[140:141], -v[122:123], v[138:139], 1.0
	v_fmac_f64_e32 v[138:139], v[138:139], v[140:141]
	v_fma_f64 v[140:141], -v[122:123], v[138:139], 1.0
	v_fmac_f64_e32 v[138:139], v[138:139], v[140:141]
	v_div_scale_f64 v[140:141], vcc, 1.0, v[120:121], 1.0
	v_mul_f64 v[142:143], v[140:141], v[138:139]
	v_fma_f64 v[122:123], -v[122:123], v[142:143], v[140:141]
	s_nop 1
	v_div_fmas_f64 v[122:123], v[122:123], v[138:139], v[142:143]
	v_div_fixup_f64 v[120:121], v[122:123], v[120:121], 1.0
	v_mul_f64 v[122:123], v[136:137], -v[120:121]
.LBB58_324:
	s_or_b64 exec, exec, s[16:17]
.LBB58_325:
	s_or_b64 exec, exec, s[0:1]
	v_cmp_ne_u32_e32 vcc, v133, v130
	s_and_saveexec_b64 s[0:1], vcc
	s_xor_b64 s[0:1], exec, s[0:1]
	s_cbranch_execz .LBB58_331
; %bb.326:
	v_cmp_eq_u32_e32 vcc, 15, v133
	s_and_saveexec_b64 s[16:17], vcc
	s_cbranch_execz .LBB58_330
; %bb.327:
	v_cmp_ne_u32_e32 vcc, 15, v130
	s_xor_b64 s[18:19], s[14:15], -1
	s_and_b64 s[22:23], s[18:19], vcc
	s_and_saveexec_b64 s[18:19], s[22:23]
	s_cbranch_execz .LBB58_329
; %bb.328:
	v_ashrrev_i32_e32 v131, 31, v130
	v_lshl_add_u64 v[136:137], v[130:131], 2, v[128:129]
	global_load_dword v131, v[136:137], off
	global_load_dword v133, v[128:129], off offset:60
	s_waitcnt vmcnt(1)
	global_store_dword v[128:129], v131, off offset:60
	s_waitcnt vmcnt(1)
	global_store_dword v[136:137], v133, off
.LBB58_329:
	s_or_b64 exec, exec, s[18:19]
	v_mov_b32_e32 v133, v130
	v_mov_b32_e32 v135, v130
.LBB58_330:
	s_or_b64 exec, exec, s[16:17]
.LBB58_331:
	s_andn2_saveexec_b64 s[0:1], s[0:1]
	s_cbranch_execz .LBB58_333
; %bb.332:
	v_mov_b32_e32 v133, 15
	s_waitcnt vmcnt(13)
	ds_write2_b64 v132, v[48:49], v[50:51] offset0:32 offset1:33
	s_waitcnt vmcnt(12)
	ds_write2_b64 v132, v[44:45], v[46:47] offset0:34 offset1:35
	;; [unrolled: 2-line block ×14, first 2 shown]
.LBB58_333:
	s_or_b64 exec, exec, s[0:1]
	v_cmp_lt_i32_e32 vcc, 15, v133
	s_waitcnt lgkmcnt(0)
	s_barrier
	s_and_saveexec_b64 s[0:1], vcc
	s_cbranch_execz .LBB58_335
; %bb.334:
	ds_read2_b64 v[136:139], v132 offset0:32 offset1:33
	v_mul_f64 v[130:131], v[120:121], v[58:59]
	v_mul_f64 v[58:59], v[122:123], v[58:59]
	v_fmac_f64_e32 v[130:131], v[122:123], v[56:57]
	v_fma_f64 v[56:57], v[120:121], v[56:57], -v[58:59]
	ds_read2_b64 v[120:123], v132 offset0:34 offset1:35
	s_waitcnt lgkmcnt(1)
	v_mul_f64 v[58:59], v[138:139], v[130:131]
	v_fma_f64 v[58:59], v[136:137], v[56:57], -v[58:59]
	v_mul_f64 v[136:137], v[136:137], v[130:131]
	v_fmac_f64_e32 v[136:137], v[138:139], v[56:57]
	s_waitcnt vmcnt(13)
	v_add_f64 v[48:49], v[48:49], -v[58:59]
	s_waitcnt lgkmcnt(0)
	v_mul_f64 v[58:59], v[122:123], v[130:131]
	v_add_f64 v[50:51], v[50:51], -v[136:137]
	v_fma_f64 v[58:59], v[120:121], v[56:57], -v[58:59]
	v_mul_f64 v[120:121], v[120:121], v[130:131]
	ds_read2_b64 v[136:139], v132 offset0:36 offset1:37
	v_fmac_f64_e32 v[120:121], v[122:123], v[56:57]
	s_waitcnt vmcnt(12)
	v_add_f64 v[46:47], v[46:47], -v[120:121]
	ds_read2_b64 v[120:123], v132 offset0:38 offset1:39
	v_add_f64 v[44:45], v[44:45], -v[58:59]
	s_waitcnt lgkmcnt(1)
	v_mul_f64 v[58:59], v[138:139], v[130:131]
	v_fma_f64 v[58:59], v[136:137], v[56:57], -v[58:59]
	v_mul_f64 v[136:137], v[136:137], v[130:131]
	v_fmac_f64_e32 v[136:137], v[138:139], v[56:57]
	s_waitcnt vmcnt(11)
	v_add_f64 v[40:41], v[40:41], -v[58:59]
	s_waitcnt lgkmcnt(0)
	v_mul_f64 v[58:59], v[122:123], v[130:131]
	v_add_f64 v[42:43], v[42:43], -v[136:137]
	v_fma_f64 v[58:59], v[120:121], v[56:57], -v[58:59]
	v_mul_f64 v[120:121], v[120:121], v[130:131]
	ds_read2_b64 v[136:139], v132 offset0:40 offset1:41
	v_fmac_f64_e32 v[120:121], v[122:123], v[56:57]
	s_waitcnt vmcnt(10)
	v_add_f64 v[38:39], v[38:39], -v[120:121]
	ds_read2_b64 v[120:123], v132 offset0:42 offset1:43
	v_add_f64 v[36:37], v[36:37], -v[58:59]
	;; [unrolled: 18-line block ×6, first 2 shown]
	s_waitcnt lgkmcnt(1)
	v_mul_f64 v[58:59], v[138:139], v[130:131]
	v_fma_f64 v[58:59], v[136:137], v[56:57], -v[58:59]
	s_waitcnt vmcnt(1)
	v_add_f64 v[0:1], v[0:1], -v[58:59]
	s_waitcnt lgkmcnt(0)
	v_mul_f64 v[58:59], v[122:123], v[130:131]
	v_mul_f64 v[136:137], v[136:137], v[130:131]
	v_fma_f64 v[58:59], v[120:121], v[56:57], -v[58:59]
	v_mul_f64 v[120:121], v[120:121], v[130:131]
	v_fmac_f64_e32 v[136:137], v[138:139], v[56:57]
	v_fmac_f64_e32 v[120:121], v[122:123], v[56:57]
	v_add_f64 v[2:3], v[2:3], -v[136:137]
	s_waitcnt vmcnt(0)
	v_add_f64 v[116:117], v[116:117], -v[58:59]
	v_add_f64 v[118:119], v[118:119], -v[120:121]
	v_mov_b64_e32 v[58:59], v[130:131]
.LBB58_335:
	s_or_b64 exec, exec, s[0:1]
	v_lshl_add_u32 v120, v133, 4, v132
	s_barrier
	s_waitcnt vmcnt(13)
	ds_write2_b64 v120, v[48:49], v[50:51] offset1:1
	s_waitcnt lgkmcnt(0)
	s_barrier
	ds_read2_b64 v[120:123], v132 offset0:32 offset1:33
	s_cmp_lt_i32 s20, 18
	v_mov_b32_e32 v130, 16
	s_cbranch_scc1 .LBB58_338
; %bb.336:
	v_add_u32_e32 v131, 0x110, v132
	s_mov_b32 s16, 17
	v_mov_b32_e32 v130, 16
.LBB58_337:                             ; =>This Inner Loop Header: Depth=1
	ds_read2_b64 v[136:139], v131 offset1:1
	s_waitcnt lgkmcnt(1)
	v_xor_b32_e32 v141, 0x80000000, v121
	v_xor_b32_e32 v143, 0x80000000, v123
	v_cmp_gt_f64_e32 vcc, 0, v[122:123]
	v_cmp_gt_f64_e64 s[0:1], 0, v[120:121]
	v_mov_b32_e32 v140, v120
	v_mov_b32_e32 v142, v122
	v_cndmask_b32_e64 v141, v121, v141, s[0:1]
	v_cndmask_b32_e32 v143, v123, v143, vcc
	v_add_f64 v[140:141], v[140:141], v[142:143]
	s_waitcnt lgkmcnt(0)
	v_xor_b32_e32 v143, 0x80000000, v137
	v_xor_b32_e32 v145, 0x80000000, v139
	v_cmp_gt_f64_e32 vcc, 0, v[138:139]
	v_cmp_gt_f64_e64 s[0:1], 0, v[136:137]
	v_mov_b32_e32 v142, v136
	v_mov_b32_e32 v144, v138
	v_cndmask_b32_e64 v143, v137, v143, s[0:1]
	v_cndmask_b32_e32 v145, v139, v145, vcc
	v_add_f64 v[142:143], v[142:143], v[144:145]
	v_mov_b32_e32 v146, s16
	s_add_i32 s16, s16, 1
	v_cmp_lt_f64_e32 vcc, v[140:141], v[142:143]
	v_add_u32_e32 v131, 16, v131
	s_cmp_lg_u32 s20, s16
	v_cndmask_b32_e32 v121, v121, v137, vcc
	v_cndmask_b32_e32 v120, v120, v136, vcc
	;; [unrolled: 1-line block ×5, first 2 shown]
	s_cbranch_scc1 .LBB58_337
.LBB58_338:
	s_waitcnt lgkmcnt(0)
	v_cmp_eq_f64_e32 vcc, 0, v[120:121]
	v_cmp_eq_f64_e64 s[0:1], 0, v[122:123]
	s_and_b64 s[0:1], vcc, s[0:1]
	s_and_saveexec_b64 s[16:17], s[0:1]
	s_xor_b64 s[0:1], exec, s[16:17]
; %bb.339:
	v_cmp_ne_u32_e32 vcc, 0, v134
	s_nop 1
	v_cndmask_b32_e32 v134, 17, v134, vcc
; %bb.340:
	s_andn2_saveexec_b64 s[0:1], s[0:1]
	s_cbranch_execz .LBB58_346
; %bb.341:
	v_cmp_ngt_f64_e64 s[16:17], |v[120:121]|, |v[122:123]|
	s_and_saveexec_b64 s[18:19], s[16:17]
	s_xor_b64 s[16:17], exec, s[18:19]
	s_cbranch_execz .LBB58_343
; %bb.342:
	v_div_scale_f64 v[136:137], s[18:19], v[122:123], v[122:123], v[120:121]
	v_rcp_f64_e32 v[138:139], v[136:137]
	v_div_scale_f64 v[140:141], vcc, v[120:121], v[122:123], v[120:121]
	v_fma_f64 v[142:143], -v[136:137], v[138:139], 1.0
	v_fmac_f64_e32 v[138:139], v[138:139], v[142:143]
	v_fma_f64 v[142:143], -v[136:137], v[138:139], 1.0
	v_fmac_f64_e32 v[138:139], v[138:139], v[142:143]
	v_mul_f64 v[142:143], v[140:141], v[138:139]
	v_fma_f64 v[136:137], -v[136:137], v[142:143], v[140:141]
	v_div_fmas_f64 v[136:137], v[136:137], v[138:139], v[142:143]
	v_div_fixup_f64 v[136:137], v[136:137], v[122:123], v[120:121]
	v_fmac_f64_e32 v[122:123], v[120:121], v[136:137]
	v_div_scale_f64 v[120:121], s[18:19], v[122:123], v[122:123], 1.0
	v_rcp_f64_e32 v[138:139], v[120:121]
	s_nop 0
	v_fma_f64 v[140:141], -v[120:121], v[138:139], 1.0
	v_fmac_f64_e32 v[138:139], v[138:139], v[140:141]
	v_fma_f64 v[140:141], -v[120:121], v[138:139], 1.0
	v_fmac_f64_e32 v[138:139], v[138:139], v[140:141]
	v_div_scale_f64 v[140:141], vcc, 1.0, v[122:123], 1.0
	v_mul_f64 v[142:143], v[140:141], v[138:139]
	v_fma_f64 v[120:121], -v[120:121], v[142:143], v[140:141]
	s_nop 1
	v_div_fmas_f64 v[120:121], v[120:121], v[138:139], v[142:143]
	v_div_fixup_f64 v[122:123], v[120:121], v[122:123], 1.0
	v_mul_f64 v[120:121], v[136:137], v[122:123]
	v_xor_b32_e32 v123, 0x80000000, v123
.LBB58_343:
	s_andn2_saveexec_b64 s[16:17], s[16:17]
	s_cbranch_execz .LBB58_345
; %bb.344:
	v_div_scale_f64 v[136:137], s[18:19], v[120:121], v[120:121], v[122:123]
	v_rcp_f64_e32 v[138:139], v[136:137]
	v_div_scale_f64 v[140:141], vcc, v[122:123], v[120:121], v[122:123]
	v_fma_f64 v[142:143], -v[136:137], v[138:139], 1.0
	v_fmac_f64_e32 v[138:139], v[138:139], v[142:143]
	v_fma_f64 v[142:143], -v[136:137], v[138:139], 1.0
	v_fmac_f64_e32 v[138:139], v[138:139], v[142:143]
	v_mul_f64 v[142:143], v[140:141], v[138:139]
	v_fma_f64 v[136:137], -v[136:137], v[142:143], v[140:141]
	v_div_fmas_f64 v[136:137], v[136:137], v[138:139], v[142:143]
	v_div_fixup_f64 v[136:137], v[136:137], v[120:121], v[122:123]
	v_fmac_f64_e32 v[120:121], v[122:123], v[136:137]
	v_div_scale_f64 v[122:123], s[18:19], v[120:121], v[120:121], 1.0
	v_rcp_f64_e32 v[138:139], v[122:123]
	s_nop 0
	v_fma_f64 v[140:141], -v[122:123], v[138:139], 1.0
	v_fmac_f64_e32 v[138:139], v[138:139], v[140:141]
	v_fma_f64 v[140:141], -v[122:123], v[138:139], 1.0
	v_fmac_f64_e32 v[138:139], v[138:139], v[140:141]
	v_div_scale_f64 v[140:141], vcc, 1.0, v[120:121], 1.0
	v_mul_f64 v[142:143], v[140:141], v[138:139]
	v_fma_f64 v[122:123], -v[122:123], v[142:143], v[140:141]
	s_nop 1
	v_div_fmas_f64 v[122:123], v[122:123], v[138:139], v[142:143]
	v_div_fixup_f64 v[120:121], v[122:123], v[120:121], 1.0
	v_mul_f64 v[122:123], v[136:137], -v[120:121]
.LBB58_345:
	s_or_b64 exec, exec, s[16:17]
.LBB58_346:
	s_or_b64 exec, exec, s[0:1]
	v_cmp_ne_u32_e32 vcc, v133, v130
	s_and_saveexec_b64 s[0:1], vcc
	s_xor_b64 s[0:1], exec, s[0:1]
	s_cbranch_execz .LBB58_352
; %bb.347:
	v_cmp_eq_u32_e32 vcc, 16, v133
	s_and_saveexec_b64 s[16:17], vcc
	s_cbranch_execz .LBB58_351
; %bb.348:
	v_cmp_ne_u32_e32 vcc, 16, v130
	s_xor_b64 s[18:19], s[14:15], -1
	s_and_b64 s[22:23], s[18:19], vcc
	s_and_saveexec_b64 s[18:19], s[22:23]
	s_cbranch_execz .LBB58_350
; %bb.349:
	v_ashrrev_i32_e32 v131, 31, v130
	v_lshl_add_u64 v[136:137], v[130:131], 2, v[128:129]
	global_load_dword v131, v[136:137], off
	global_load_dword v133, v[128:129], off offset:64
	s_waitcnt vmcnt(1)
	global_store_dword v[128:129], v131, off offset:64
	s_waitcnt vmcnt(1)
	global_store_dword v[136:137], v133, off
.LBB58_350:
	s_or_b64 exec, exec, s[18:19]
	v_mov_b32_e32 v133, v130
	v_mov_b32_e32 v135, v130
.LBB58_351:
	s_or_b64 exec, exec, s[16:17]
.LBB58_352:
	s_andn2_saveexec_b64 s[0:1], s[0:1]
	s_cbranch_execz .LBB58_354
; %bb.353:
	v_mov_b32_e32 v133, 16
	s_waitcnt vmcnt(12)
	ds_write2_b64 v132, v[44:45], v[46:47] offset0:34 offset1:35
	s_waitcnt vmcnt(11)
	ds_write2_b64 v132, v[40:41], v[42:43] offset0:36 offset1:37
	;; [unrolled: 2-line block ×13, first 2 shown]
.LBB58_354:
	s_or_b64 exec, exec, s[0:1]
	v_cmp_lt_i32_e32 vcc, 16, v133
	s_waitcnt lgkmcnt(0)
	s_barrier
	s_and_saveexec_b64 s[0:1], vcc
	s_cbranch_execz .LBB58_356
; %bb.355:
	ds_read2_b64 v[136:139], v132 offset0:34 offset1:35
	v_mul_f64 v[130:131], v[120:121], v[50:51]
	v_fmac_f64_e32 v[130:131], v[122:123], v[48:49]
	v_mul_f64 v[50:51], v[122:123], v[50:51]
	v_fma_f64 v[48:49], v[120:121], v[48:49], -v[50:51]
	ds_read2_b64 v[120:123], v132 offset0:36 offset1:37
	s_waitcnt lgkmcnt(1)
	v_mul_f64 v[50:51], v[138:139], v[130:131]
	v_fma_f64 v[50:51], v[136:137], v[48:49], -v[50:51]
	v_mul_f64 v[136:137], v[136:137], v[130:131]
	v_fmac_f64_e32 v[136:137], v[138:139], v[48:49]
	s_waitcnt vmcnt(12)
	v_add_f64 v[46:47], v[46:47], -v[136:137]
	ds_read2_b64 v[136:139], v132 offset0:38 offset1:39
	v_add_f64 v[44:45], v[44:45], -v[50:51]
	s_waitcnt lgkmcnt(1)
	v_mul_f64 v[50:51], v[122:123], v[130:131]
	v_fma_f64 v[50:51], v[120:121], v[48:49], -v[50:51]
	v_mul_f64 v[120:121], v[120:121], v[130:131]
	v_fmac_f64_e32 v[120:121], v[122:123], v[48:49]
	s_waitcnt vmcnt(11)
	v_add_f64 v[40:41], v[40:41], -v[50:51]
	v_add_f64 v[42:43], v[42:43], -v[120:121]
	ds_read2_b64 v[120:123], v132 offset0:40 offset1:41
	s_waitcnt lgkmcnt(1)
	v_mul_f64 v[50:51], v[138:139], v[130:131]
	v_fma_f64 v[50:51], v[136:137], v[48:49], -v[50:51]
	v_mul_f64 v[136:137], v[136:137], v[130:131]
	v_fmac_f64_e32 v[136:137], v[138:139], v[48:49]
	s_waitcnt vmcnt(10)
	v_add_f64 v[38:39], v[38:39], -v[136:137]
	ds_read2_b64 v[136:139], v132 offset0:42 offset1:43
	v_add_f64 v[36:37], v[36:37], -v[50:51]
	s_waitcnt lgkmcnt(1)
	v_mul_f64 v[50:51], v[122:123], v[130:131]
	v_fma_f64 v[50:51], v[120:121], v[48:49], -v[50:51]
	v_mul_f64 v[120:121], v[120:121], v[130:131]
	v_fmac_f64_e32 v[120:121], v[122:123], v[48:49]
	s_waitcnt vmcnt(9)
	v_add_f64 v[32:33], v[32:33], -v[50:51]
	v_add_f64 v[34:35], v[34:35], -v[120:121]
	ds_read2_b64 v[120:123], v132 offset0:44 offset1:45
	s_waitcnt lgkmcnt(1)
	v_mul_f64 v[50:51], v[138:139], v[130:131]
	v_fma_f64 v[50:51], v[136:137], v[48:49], -v[50:51]
	v_mul_f64 v[136:137], v[136:137], v[130:131]
	v_fmac_f64_e32 v[136:137], v[138:139], v[48:49]
	s_waitcnt vmcnt(8)
	v_add_f64 v[30:31], v[30:31], -v[136:137]
	ds_read2_b64 v[136:139], v132 offset0:46 offset1:47
	v_add_f64 v[28:29], v[28:29], -v[50:51]
	s_waitcnt lgkmcnt(1)
	v_mul_f64 v[50:51], v[122:123], v[130:131]
	v_fma_f64 v[50:51], v[120:121], v[48:49], -v[50:51]
	v_mul_f64 v[120:121], v[120:121], v[130:131]
	v_fmac_f64_e32 v[120:121], v[122:123], v[48:49]
	s_waitcnt vmcnt(7)
	v_add_f64 v[24:25], v[24:25], -v[50:51]
	v_add_f64 v[26:27], v[26:27], -v[120:121]
	ds_read2_b64 v[120:123], v132 offset0:48 offset1:49
	s_waitcnt lgkmcnt(1)
	v_mul_f64 v[50:51], v[138:139], v[130:131]
	v_fma_f64 v[50:51], v[136:137], v[48:49], -v[50:51]
	v_mul_f64 v[136:137], v[136:137], v[130:131]
	v_fmac_f64_e32 v[136:137], v[138:139], v[48:49]
	s_waitcnt vmcnt(6)
	v_add_f64 v[22:23], v[22:23], -v[136:137]
	ds_read2_b64 v[136:139], v132 offset0:50 offset1:51
	v_add_f64 v[20:21], v[20:21], -v[50:51]
	s_waitcnt lgkmcnt(1)
	v_mul_f64 v[50:51], v[122:123], v[130:131]
	v_fma_f64 v[50:51], v[120:121], v[48:49], -v[50:51]
	v_mul_f64 v[120:121], v[120:121], v[130:131]
	v_fmac_f64_e32 v[120:121], v[122:123], v[48:49]
	s_waitcnt vmcnt(5)
	v_add_f64 v[16:17], v[16:17], -v[50:51]
	v_add_f64 v[18:19], v[18:19], -v[120:121]
	ds_read2_b64 v[120:123], v132 offset0:52 offset1:53
	s_waitcnt lgkmcnt(1)
	v_mul_f64 v[50:51], v[138:139], v[130:131]
	v_fma_f64 v[50:51], v[136:137], v[48:49], -v[50:51]
	v_mul_f64 v[136:137], v[136:137], v[130:131]
	v_fmac_f64_e32 v[136:137], v[138:139], v[48:49]
	s_waitcnt vmcnt(4)
	v_add_f64 v[14:15], v[14:15], -v[136:137]
	ds_read2_b64 v[136:139], v132 offset0:54 offset1:55
	v_add_f64 v[12:13], v[12:13], -v[50:51]
	s_waitcnt lgkmcnt(1)
	v_mul_f64 v[50:51], v[122:123], v[130:131]
	v_fma_f64 v[50:51], v[120:121], v[48:49], -v[50:51]
	v_mul_f64 v[120:121], v[120:121], v[130:131]
	v_fmac_f64_e32 v[120:121], v[122:123], v[48:49]
	s_waitcnt vmcnt(3)
	v_add_f64 v[8:9], v[8:9], -v[50:51]
	v_add_f64 v[10:11], v[10:11], -v[120:121]
	ds_read2_b64 v[120:123], v132 offset0:56 offset1:57
	s_waitcnt lgkmcnt(1)
	v_mul_f64 v[50:51], v[138:139], v[130:131]
	v_fma_f64 v[50:51], v[136:137], v[48:49], -v[50:51]
	v_mul_f64 v[136:137], v[136:137], v[130:131]
	v_fmac_f64_e32 v[136:137], v[138:139], v[48:49]
	s_waitcnt vmcnt(2)
	v_add_f64 v[6:7], v[6:7], -v[136:137]
	ds_read2_b64 v[136:139], v132 offset0:58 offset1:59
	v_add_f64 v[4:5], v[4:5], -v[50:51]
	s_waitcnt lgkmcnt(1)
	v_mul_f64 v[50:51], v[122:123], v[130:131]
	v_fma_f64 v[50:51], v[120:121], v[48:49], -v[50:51]
	v_mul_f64 v[120:121], v[120:121], v[130:131]
	v_fmac_f64_e32 v[120:121], v[122:123], v[48:49]
	s_waitcnt vmcnt(1)
	v_add_f64 v[0:1], v[0:1], -v[50:51]
	v_add_f64 v[2:3], v[2:3], -v[120:121]
	s_waitcnt lgkmcnt(0)
	v_mul_f64 v[50:51], v[138:139], v[130:131]
	v_mul_f64 v[120:121], v[136:137], v[130:131]
	v_fma_f64 v[50:51], v[136:137], v[48:49], -v[50:51]
	v_fmac_f64_e32 v[120:121], v[138:139], v[48:49]
	s_waitcnt vmcnt(0)
	v_add_f64 v[116:117], v[116:117], -v[50:51]
	v_add_f64 v[118:119], v[118:119], -v[120:121]
	v_mov_b64_e32 v[50:51], v[130:131]
.LBB58_356:
	s_or_b64 exec, exec, s[0:1]
	v_lshl_add_u32 v120, v133, 4, v132
	s_barrier
	s_waitcnt vmcnt(12)
	ds_write2_b64 v120, v[44:45], v[46:47] offset1:1
	s_waitcnt lgkmcnt(0)
	s_barrier
	ds_read2_b64 v[120:123], v132 offset0:34 offset1:35
	s_cmp_lt_i32 s20, 19
	v_mov_b32_e32 v130, 17
	s_cbranch_scc1 .LBB58_359
; %bb.357:
	v_add_u32_e32 v131, 0x120, v132
	s_mov_b32 s16, 18
	v_mov_b32_e32 v130, 17
.LBB58_358:                             ; =>This Inner Loop Header: Depth=1
	ds_read2_b64 v[136:139], v131 offset1:1
	s_waitcnt lgkmcnt(1)
	v_xor_b32_e32 v141, 0x80000000, v121
	v_xor_b32_e32 v143, 0x80000000, v123
	v_cmp_gt_f64_e32 vcc, 0, v[122:123]
	v_cmp_gt_f64_e64 s[0:1], 0, v[120:121]
	v_mov_b32_e32 v140, v120
	v_mov_b32_e32 v142, v122
	v_cndmask_b32_e64 v141, v121, v141, s[0:1]
	v_cndmask_b32_e32 v143, v123, v143, vcc
	v_add_f64 v[140:141], v[140:141], v[142:143]
	s_waitcnt lgkmcnt(0)
	v_xor_b32_e32 v143, 0x80000000, v137
	v_xor_b32_e32 v145, 0x80000000, v139
	v_cmp_gt_f64_e32 vcc, 0, v[138:139]
	v_cmp_gt_f64_e64 s[0:1], 0, v[136:137]
	v_mov_b32_e32 v142, v136
	v_mov_b32_e32 v144, v138
	v_cndmask_b32_e64 v143, v137, v143, s[0:1]
	v_cndmask_b32_e32 v145, v139, v145, vcc
	v_add_f64 v[142:143], v[142:143], v[144:145]
	v_mov_b32_e32 v146, s16
	s_add_i32 s16, s16, 1
	v_cmp_lt_f64_e32 vcc, v[140:141], v[142:143]
	v_add_u32_e32 v131, 16, v131
	s_cmp_lg_u32 s20, s16
	v_cndmask_b32_e32 v121, v121, v137, vcc
	v_cndmask_b32_e32 v120, v120, v136, vcc
	;; [unrolled: 1-line block ×5, first 2 shown]
	s_cbranch_scc1 .LBB58_358
.LBB58_359:
	s_waitcnt lgkmcnt(0)
	v_cmp_eq_f64_e32 vcc, 0, v[120:121]
	v_cmp_eq_f64_e64 s[0:1], 0, v[122:123]
	s_and_b64 s[0:1], vcc, s[0:1]
	s_and_saveexec_b64 s[16:17], s[0:1]
	s_xor_b64 s[0:1], exec, s[16:17]
; %bb.360:
	v_cmp_ne_u32_e32 vcc, 0, v134
	s_nop 1
	v_cndmask_b32_e32 v134, 18, v134, vcc
; %bb.361:
	s_andn2_saveexec_b64 s[0:1], s[0:1]
	s_cbranch_execz .LBB58_367
; %bb.362:
	v_cmp_ngt_f64_e64 s[16:17], |v[120:121]|, |v[122:123]|
	s_and_saveexec_b64 s[18:19], s[16:17]
	s_xor_b64 s[16:17], exec, s[18:19]
	s_cbranch_execz .LBB58_364
; %bb.363:
	v_div_scale_f64 v[136:137], s[18:19], v[122:123], v[122:123], v[120:121]
	v_rcp_f64_e32 v[138:139], v[136:137]
	v_div_scale_f64 v[140:141], vcc, v[120:121], v[122:123], v[120:121]
	v_fma_f64 v[142:143], -v[136:137], v[138:139], 1.0
	v_fmac_f64_e32 v[138:139], v[138:139], v[142:143]
	v_fma_f64 v[142:143], -v[136:137], v[138:139], 1.0
	v_fmac_f64_e32 v[138:139], v[138:139], v[142:143]
	v_mul_f64 v[142:143], v[140:141], v[138:139]
	v_fma_f64 v[136:137], -v[136:137], v[142:143], v[140:141]
	v_div_fmas_f64 v[136:137], v[136:137], v[138:139], v[142:143]
	v_div_fixup_f64 v[136:137], v[136:137], v[122:123], v[120:121]
	v_fmac_f64_e32 v[122:123], v[120:121], v[136:137]
	v_div_scale_f64 v[120:121], s[18:19], v[122:123], v[122:123], 1.0
	v_rcp_f64_e32 v[138:139], v[120:121]
	s_nop 0
	v_fma_f64 v[140:141], -v[120:121], v[138:139], 1.0
	v_fmac_f64_e32 v[138:139], v[138:139], v[140:141]
	v_fma_f64 v[140:141], -v[120:121], v[138:139], 1.0
	v_fmac_f64_e32 v[138:139], v[138:139], v[140:141]
	v_div_scale_f64 v[140:141], vcc, 1.0, v[122:123], 1.0
	v_mul_f64 v[142:143], v[140:141], v[138:139]
	v_fma_f64 v[120:121], -v[120:121], v[142:143], v[140:141]
	s_nop 1
	v_div_fmas_f64 v[120:121], v[120:121], v[138:139], v[142:143]
	v_div_fixup_f64 v[122:123], v[120:121], v[122:123], 1.0
	v_mul_f64 v[120:121], v[136:137], v[122:123]
	v_xor_b32_e32 v123, 0x80000000, v123
.LBB58_364:
	s_andn2_saveexec_b64 s[16:17], s[16:17]
	s_cbranch_execz .LBB58_366
; %bb.365:
	v_div_scale_f64 v[136:137], s[18:19], v[120:121], v[120:121], v[122:123]
	v_rcp_f64_e32 v[138:139], v[136:137]
	v_div_scale_f64 v[140:141], vcc, v[122:123], v[120:121], v[122:123]
	v_fma_f64 v[142:143], -v[136:137], v[138:139], 1.0
	v_fmac_f64_e32 v[138:139], v[138:139], v[142:143]
	v_fma_f64 v[142:143], -v[136:137], v[138:139], 1.0
	v_fmac_f64_e32 v[138:139], v[138:139], v[142:143]
	v_mul_f64 v[142:143], v[140:141], v[138:139]
	v_fma_f64 v[136:137], -v[136:137], v[142:143], v[140:141]
	v_div_fmas_f64 v[136:137], v[136:137], v[138:139], v[142:143]
	v_div_fixup_f64 v[136:137], v[136:137], v[120:121], v[122:123]
	v_fmac_f64_e32 v[120:121], v[122:123], v[136:137]
	v_div_scale_f64 v[122:123], s[18:19], v[120:121], v[120:121], 1.0
	v_rcp_f64_e32 v[138:139], v[122:123]
	s_nop 0
	v_fma_f64 v[140:141], -v[122:123], v[138:139], 1.0
	v_fmac_f64_e32 v[138:139], v[138:139], v[140:141]
	v_fma_f64 v[140:141], -v[122:123], v[138:139], 1.0
	v_fmac_f64_e32 v[138:139], v[138:139], v[140:141]
	v_div_scale_f64 v[140:141], vcc, 1.0, v[120:121], 1.0
	v_mul_f64 v[142:143], v[140:141], v[138:139]
	v_fma_f64 v[122:123], -v[122:123], v[142:143], v[140:141]
	s_nop 1
	v_div_fmas_f64 v[122:123], v[122:123], v[138:139], v[142:143]
	v_div_fixup_f64 v[120:121], v[122:123], v[120:121], 1.0
	v_mul_f64 v[122:123], v[136:137], -v[120:121]
.LBB58_366:
	s_or_b64 exec, exec, s[16:17]
.LBB58_367:
	s_or_b64 exec, exec, s[0:1]
	v_cmp_ne_u32_e32 vcc, v133, v130
	s_and_saveexec_b64 s[0:1], vcc
	s_xor_b64 s[0:1], exec, s[0:1]
	s_cbranch_execz .LBB58_373
; %bb.368:
	v_cmp_eq_u32_e32 vcc, 17, v133
	s_and_saveexec_b64 s[16:17], vcc
	s_cbranch_execz .LBB58_372
; %bb.369:
	v_cmp_ne_u32_e32 vcc, 17, v130
	s_xor_b64 s[18:19], s[14:15], -1
	s_and_b64 s[22:23], s[18:19], vcc
	s_and_saveexec_b64 s[18:19], s[22:23]
	s_cbranch_execz .LBB58_371
; %bb.370:
	v_ashrrev_i32_e32 v131, 31, v130
	v_lshl_add_u64 v[136:137], v[130:131], 2, v[128:129]
	global_load_dword v131, v[136:137], off
	global_load_dword v133, v[128:129], off offset:68
	s_waitcnt vmcnt(1)
	global_store_dword v[128:129], v131, off offset:68
	s_waitcnt vmcnt(1)
	global_store_dword v[136:137], v133, off
.LBB58_371:
	s_or_b64 exec, exec, s[18:19]
	v_mov_b32_e32 v133, v130
	v_mov_b32_e32 v135, v130
.LBB58_372:
	s_or_b64 exec, exec, s[16:17]
.LBB58_373:
	s_andn2_saveexec_b64 s[0:1], s[0:1]
	s_cbranch_execz .LBB58_375
; %bb.374:
	v_mov_b32_e32 v133, 17
	s_waitcnt vmcnt(11)
	ds_write2_b64 v132, v[40:41], v[42:43] offset0:36 offset1:37
	s_waitcnt vmcnt(10)
	ds_write2_b64 v132, v[36:37], v[38:39] offset0:38 offset1:39
	;; [unrolled: 2-line block ×12, first 2 shown]
.LBB58_375:
	s_or_b64 exec, exec, s[0:1]
	v_cmp_lt_i32_e32 vcc, 17, v133
	s_waitcnt lgkmcnt(0)
	s_barrier
	s_and_saveexec_b64 s[0:1], vcc
	s_cbranch_execz .LBB58_377
; %bb.376:
	ds_read2_b64 v[136:139], v132 offset0:36 offset1:37
	v_mul_f64 v[130:131], v[120:121], v[46:47]
	v_mul_f64 v[46:47], v[122:123], v[46:47]
	v_fmac_f64_e32 v[130:131], v[122:123], v[44:45]
	v_fma_f64 v[44:45], v[120:121], v[44:45], -v[46:47]
	ds_read2_b64 v[120:123], v132 offset0:38 offset1:39
	s_waitcnt lgkmcnt(1)
	v_mul_f64 v[46:47], v[138:139], v[130:131]
	v_fma_f64 v[46:47], v[136:137], v[44:45], -v[46:47]
	v_mul_f64 v[136:137], v[136:137], v[130:131]
	v_fmac_f64_e32 v[136:137], v[138:139], v[44:45]
	s_waitcnt vmcnt(11)
	v_add_f64 v[40:41], v[40:41], -v[46:47]
	s_waitcnt lgkmcnt(0)
	v_mul_f64 v[46:47], v[122:123], v[130:131]
	v_add_f64 v[42:43], v[42:43], -v[136:137]
	v_fma_f64 v[46:47], v[120:121], v[44:45], -v[46:47]
	v_mul_f64 v[120:121], v[120:121], v[130:131]
	ds_read2_b64 v[136:139], v132 offset0:40 offset1:41
	v_fmac_f64_e32 v[120:121], v[122:123], v[44:45]
	s_waitcnt vmcnt(10)
	v_add_f64 v[38:39], v[38:39], -v[120:121]
	ds_read2_b64 v[120:123], v132 offset0:42 offset1:43
	v_add_f64 v[36:37], v[36:37], -v[46:47]
	s_waitcnt lgkmcnt(1)
	v_mul_f64 v[46:47], v[138:139], v[130:131]
	v_fma_f64 v[46:47], v[136:137], v[44:45], -v[46:47]
	v_mul_f64 v[136:137], v[136:137], v[130:131]
	v_fmac_f64_e32 v[136:137], v[138:139], v[44:45]
	s_waitcnt vmcnt(9)
	v_add_f64 v[32:33], v[32:33], -v[46:47]
	s_waitcnt lgkmcnt(0)
	v_mul_f64 v[46:47], v[122:123], v[130:131]
	v_add_f64 v[34:35], v[34:35], -v[136:137]
	v_fma_f64 v[46:47], v[120:121], v[44:45], -v[46:47]
	v_mul_f64 v[120:121], v[120:121], v[130:131]
	ds_read2_b64 v[136:139], v132 offset0:44 offset1:45
	v_fmac_f64_e32 v[120:121], v[122:123], v[44:45]
	s_waitcnt vmcnt(8)
	v_add_f64 v[30:31], v[30:31], -v[120:121]
	ds_read2_b64 v[120:123], v132 offset0:46 offset1:47
	v_add_f64 v[28:29], v[28:29], -v[46:47]
	;; [unrolled: 18-line block ×5, first 2 shown]
	s_waitcnt lgkmcnt(1)
	v_mul_f64 v[46:47], v[138:139], v[130:131]
	v_fma_f64 v[46:47], v[136:137], v[44:45], -v[46:47]
	s_waitcnt vmcnt(1)
	v_add_f64 v[0:1], v[0:1], -v[46:47]
	s_waitcnt lgkmcnt(0)
	v_mul_f64 v[46:47], v[122:123], v[130:131]
	v_mul_f64 v[136:137], v[136:137], v[130:131]
	v_fma_f64 v[46:47], v[120:121], v[44:45], -v[46:47]
	v_mul_f64 v[120:121], v[120:121], v[130:131]
	v_fmac_f64_e32 v[136:137], v[138:139], v[44:45]
	v_fmac_f64_e32 v[120:121], v[122:123], v[44:45]
	v_add_f64 v[2:3], v[2:3], -v[136:137]
	s_waitcnt vmcnt(0)
	v_add_f64 v[116:117], v[116:117], -v[46:47]
	v_add_f64 v[118:119], v[118:119], -v[120:121]
	v_mov_b64_e32 v[46:47], v[130:131]
.LBB58_377:
	s_or_b64 exec, exec, s[0:1]
	v_lshl_add_u32 v120, v133, 4, v132
	s_barrier
	s_waitcnt vmcnt(11)
	ds_write2_b64 v120, v[40:41], v[42:43] offset1:1
	s_waitcnt lgkmcnt(0)
	s_barrier
	ds_read2_b64 v[120:123], v132 offset0:36 offset1:37
	s_cmp_lt_i32 s20, 20
	v_mov_b32_e32 v130, 18
	s_cbranch_scc1 .LBB58_380
; %bb.378:
	v_add_u32_e32 v131, 0x130, v132
	s_mov_b32 s16, 19
	v_mov_b32_e32 v130, 18
.LBB58_379:                             ; =>This Inner Loop Header: Depth=1
	ds_read2_b64 v[136:139], v131 offset1:1
	s_waitcnt lgkmcnt(1)
	v_xor_b32_e32 v141, 0x80000000, v121
	v_xor_b32_e32 v143, 0x80000000, v123
	v_cmp_gt_f64_e32 vcc, 0, v[122:123]
	v_cmp_gt_f64_e64 s[0:1], 0, v[120:121]
	v_mov_b32_e32 v140, v120
	v_mov_b32_e32 v142, v122
	v_cndmask_b32_e64 v141, v121, v141, s[0:1]
	v_cndmask_b32_e32 v143, v123, v143, vcc
	v_add_f64 v[140:141], v[140:141], v[142:143]
	s_waitcnt lgkmcnt(0)
	v_xor_b32_e32 v143, 0x80000000, v137
	v_xor_b32_e32 v145, 0x80000000, v139
	v_cmp_gt_f64_e32 vcc, 0, v[138:139]
	v_cmp_gt_f64_e64 s[0:1], 0, v[136:137]
	v_mov_b32_e32 v142, v136
	v_mov_b32_e32 v144, v138
	v_cndmask_b32_e64 v143, v137, v143, s[0:1]
	v_cndmask_b32_e32 v145, v139, v145, vcc
	v_add_f64 v[142:143], v[142:143], v[144:145]
	v_mov_b32_e32 v146, s16
	s_add_i32 s16, s16, 1
	v_cmp_lt_f64_e32 vcc, v[140:141], v[142:143]
	v_add_u32_e32 v131, 16, v131
	s_cmp_lg_u32 s20, s16
	v_cndmask_b32_e32 v121, v121, v137, vcc
	v_cndmask_b32_e32 v120, v120, v136, vcc
	;; [unrolled: 1-line block ×5, first 2 shown]
	s_cbranch_scc1 .LBB58_379
.LBB58_380:
	s_waitcnt lgkmcnt(0)
	v_cmp_eq_f64_e32 vcc, 0, v[120:121]
	v_cmp_eq_f64_e64 s[0:1], 0, v[122:123]
	s_and_b64 s[0:1], vcc, s[0:1]
	s_and_saveexec_b64 s[16:17], s[0:1]
	s_xor_b64 s[0:1], exec, s[16:17]
; %bb.381:
	v_cmp_ne_u32_e32 vcc, 0, v134
	s_nop 1
	v_cndmask_b32_e32 v134, 19, v134, vcc
; %bb.382:
	s_andn2_saveexec_b64 s[0:1], s[0:1]
	s_cbranch_execz .LBB58_388
; %bb.383:
	v_cmp_ngt_f64_e64 s[16:17], |v[120:121]|, |v[122:123]|
	s_and_saveexec_b64 s[18:19], s[16:17]
	s_xor_b64 s[16:17], exec, s[18:19]
	s_cbranch_execz .LBB58_385
; %bb.384:
	v_div_scale_f64 v[136:137], s[18:19], v[122:123], v[122:123], v[120:121]
	v_rcp_f64_e32 v[138:139], v[136:137]
	v_div_scale_f64 v[140:141], vcc, v[120:121], v[122:123], v[120:121]
	v_fma_f64 v[142:143], -v[136:137], v[138:139], 1.0
	v_fmac_f64_e32 v[138:139], v[138:139], v[142:143]
	v_fma_f64 v[142:143], -v[136:137], v[138:139], 1.0
	v_fmac_f64_e32 v[138:139], v[138:139], v[142:143]
	v_mul_f64 v[142:143], v[140:141], v[138:139]
	v_fma_f64 v[136:137], -v[136:137], v[142:143], v[140:141]
	v_div_fmas_f64 v[136:137], v[136:137], v[138:139], v[142:143]
	v_div_fixup_f64 v[136:137], v[136:137], v[122:123], v[120:121]
	v_fmac_f64_e32 v[122:123], v[120:121], v[136:137]
	v_div_scale_f64 v[120:121], s[18:19], v[122:123], v[122:123], 1.0
	v_rcp_f64_e32 v[138:139], v[120:121]
	s_nop 0
	v_fma_f64 v[140:141], -v[120:121], v[138:139], 1.0
	v_fmac_f64_e32 v[138:139], v[138:139], v[140:141]
	v_fma_f64 v[140:141], -v[120:121], v[138:139], 1.0
	v_fmac_f64_e32 v[138:139], v[138:139], v[140:141]
	v_div_scale_f64 v[140:141], vcc, 1.0, v[122:123], 1.0
	v_mul_f64 v[142:143], v[140:141], v[138:139]
	v_fma_f64 v[120:121], -v[120:121], v[142:143], v[140:141]
	s_nop 1
	v_div_fmas_f64 v[120:121], v[120:121], v[138:139], v[142:143]
	v_div_fixup_f64 v[122:123], v[120:121], v[122:123], 1.0
	v_mul_f64 v[120:121], v[136:137], v[122:123]
	v_xor_b32_e32 v123, 0x80000000, v123
.LBB58_385:
	s_andn2_saveexec_b64 s[16:17], s[16:17]
	s_cbranch_execz .LBB58_387
; %bb.386:
	v_div_scale_f64 v[136:137], s[18:19], v[120:121], v[120:121], v[122:123]
	v_rcp_f64_e32 v[138:139], v[136:137]
	v_div_scale_f64 v[140:141], vcc, v[122:123], v[120:121], v[122:123]
	v_fma_f64 v[142:143], -v[136:137], v[138:139], 1.0
	v_fmac_f64_e32 v[138:139], v[138:139], v[142:143]
	v_fma_f64 v[142:143], -v[136:137], v[138:139], 1.0
	v_fmac_f64_e32 v[138:139], v[138:139], v[142:143]
	v_mul_f64 v[142:143], v[140:141], v[138:139]
	v_fma_f64 v[136:137], -v[136:137], v[142:143], v[140:141]
	v_div_fmas_f64 v[136:137], v[136:137], v[138:139], v[142:143]
	v_div_fixup_f64 v[136:137], v[136:137], v[120:121], v[122:123]
	v_fmac_f64_e32 v[120:121], v[122:123], v[136:137]
	v_div_scale_f64 v[122:123], s[18:19], v[120:121], v[120:121], 1.0
	v_rcp_f64_e32 v[138:139], v[122:123]
	s_nop 0
	v_fma_f64 v[140:141], -v[122:123], v[138:139], 1.0
	v_fmac_f64_e32 v[138:139], v[138:139], v[140:141]
	v_fma_f64 v[140:141], -v[122:123], v[138:139], 1.0
	v_fmac_f64_e32 v[138:139], v[138:139], v[140:141]
	v_div_scale_f64 v[140:141], vcc, 1.0, v[120:121], 1.0
	v_mul_f64 v[142:143], v[140:141], v[138:139]
	v_fma_f64 v[122:123], -v[122:123], v[142:143], v[140:141]
	s_nop 1
	v_div_fmas_f64 v[122:123], v[122:123], v[138:139], v[142:143]
	v_div_fixup_f64 v[120:121], v[122:123], v[120:121], 1.0
	v_mul_f64 v[122:123], v[136:137], -v[120:121]
.LBB58_387:
	s_or_b64 exec, exec, s[16:17]
.LBB58_388:
	s_or_b64 exec, exec, s[0:1]
	v_cmp_ne_u32_e32 vcc, v133, v130
	s_and_saveexec_b64 s[0:1], vcc
	s_xor_b64 s[0:1], exec, s[0:1]
	s_cbranch_execz .LBB58_394
; %bb.389:
	v_cmp_eq_u32_e32 vcc, 18, v133
	s_and_saveexec_b64 s[16:17], vcc
	s_cbranch_execz .LBB58_393
; %bb.390:
	v_cmp_ne_u32_e32 vcc, 18, v130
	s_xor_b64 s[18:19], s[14:15], -1
	s_and_b64 s[22:23], s[18:19], vcc
	s_and_saveexec_b64 s[18:19], s[22:23]
	s_cbranch_execz .LBB58_392
; %bb.391:
	v_ashrrev_i32_e32 v131, 31, v130
	v_lshl_add_u64 v[136:137], v[130:131], 2, v[128:129]
	global_load_dword v131, v[136:137], off
	global_load_dword v133, v[128:129], off offset:72
	s_waitcnt vmcnt(1)
	global_store_dword v[128:129], v131, off offset:72
	s_waitcnt vmcnt(1)
	global_store_dword v[136:137], v133, off
.LBB58_392:
	s_or_b64 exec, exec, s[18:19]
	v_mov_b32_e32 v133, v130
	v_mov_b32_e32 v135, v130
.LBB58_393:
	s_or_b64 exec, exec, s[16:17]
.LBB58_394:
	s_andn2_saveexec_b64 s[0:1], s[0:1]
	s_cbranch_execz .LBB58_396
; %bb.395:
	v_mov_b32_e32 v133, 18
	s_waitcnt vmcnt(10)
	ds_write2_b64 v132, v[36:37], v[38:39] offset0:38 offset1:39
	s_waitcnt vmcnt(9)
	ds_write2_b64 v132, v[32:33], v[34:35] offset0:40 offset1:41
	;; [unrolled: 2-line block ×11, first 2 shown]
.LBB58_396:
	s_or_b64 exec, exec, s[0:1]
	v_cmp_lt_i32_e32 vcc, 18, v133
	s_waitcnt lgkmcnt(0)
	s_barrier
	s_and_saveexec_b64 s[0:1], vcc
	s_cbranch_execz .LBB58_398
; %bb.397:
	ds_read2_b64 v[136:139], v132 offset0:38 offset1:39
	v_mul_f64 v[130:131], v[120:121], v[42:43]
	v_fmac_f64_e32 v[130:131], v[122:123], v[40:41]
	v_mul_f64 v[42:43], v[122:123], v[42:43]
	v_fma_f64 v[40:41], v[120:121], v[40:41], -v[42:43]
	ds_read2_b64 v[120:123], v132 offset0:40 offset1:41
	s_waitcnt lgkmcnt(1)
	v_mul_f64 v[42:43], v[138:139], v[130:131]
	v_fma_f64 v[42:43], v[136:137], v[40:41], -v[42:43]
	v_mul_f64 v[136:137], v[136:137], v[130:131]
	v_fmac_f64_e32 v[136:137], v[138:139], v[40:41]
	s_waitcnt vmcnt(10)
	v_add_f64 v[38:39], v[38:39], -v[136:137]
	ds_read2_b64 v[136:139], v132 offset0:42 offset1:43
	v_add_f64 v[36:37], v[36:37], -v[42:43]
	s_waitcnt lgkmcnt(1)
	v_mul_f64 v[42:43], v[122:123], v[130:131]
	v_fma_f64 v[42:43], v[120:121], v[40:41], -v[42:43]
	v_mul_f64 v[120:121], v[120:121], v[130:131]
	v_fmac_f64_e32 v[120:121], v[122:123], v[40:41]
	s_waitcnt vmcnt(9)
	v_add_f64 v[32:33], v[32:33], -v[42:43]
	v_add_f64 v[34:35], v[34:35], -v[120:121]
	ds_read2_b64 v[120:123], v132 offset0:44 offset1:45
	s_waitcnt lgkmcnt(1)
	v_mul_f64 v[42:43], v[138:139], v[130:131]
	v_fma_f64 v[42:43], v[136:137], v[40:41], -v[42:43]
	v_mul_f64 v[136:137], v[136:137], v[130:131]
	v_fmac_f64_e32 v[136:137], v[138:139], v[40:41]
	s_waitcnt vmcnt(8)
	v_add_f64 v[30:31], v[30:31], -v[136:137]
	ds_read2_b64 v[136:139], v132 offset0:46 offset1:47
	v_add_f64 v[28:29], v[28:29], -v[42:43]
	s_waitcnt lgkmcnt(1)
	v_mul_f64 v[42:43], v[122:123], v[130:131]
	v_fma_f64 v[42:43], v[120:121], v[40:41], -v[42:43]
	v_mul_f64 v[120:121], v[120:121], v[130:131]
	v_fmac_f64_e32 v[120:121], v[122:123], v[40:41]
	s_waitcnt vmcnt(7)
	v_add_f64 v[24:25], v[24:25], -v[42:43]
	v_add_f64 v[26:27], v[26:27], -v[120:121]
	;; [unrolled: 18-line block ×5, first 2 shown]
	s_waitcnt lgkmcnt(0)
	v_mul_f64 v[42:43], v[138:139], v[130:131]
	v_mul_f64 v[120:121], v[136:137], v[130:131]
	v_fma_f64 v[42:43], v[136:137], v[40:41], -v[42:43]
	v_fmac_f64_e32 v[120:121], v[138:139], v[40:41]
	s_waitcnt vmcnt(0)
	v_add_f64 v[116:117], v[116:117], -v[42:43]
	v_add_f64 v[118:119], v[118:119], -v[120:121]
	v_mov_b64_e32 v[42:43], v[130:131]
.LBB58_398:
	s_or_b64 exec, exec, s[0:1]
	v_lshl_add_u32 v120, v133, 4, v132
	s_barrier
	s_waitcnt vmcnt(10)
	ds_write2_b64 v120, v[36:37], v[38:39] offset1:1
	s_waitcnt lgkmcnt(0)
	s_barrier
	ds_read2_b64 v[120:123], v132 offset0:38 offset1:39
	s_cmp_lt_i32 s20, 21
	v_mov_b32_e32 v130, 19
	s_cbranch_scc1 .LBB58_401
; %bb.399:
	v_add_u32_e32 v131, 0x140, v132
	s_mov_b32 s16, 20
	v_mov_b32_e32 v130, 19
.LBB58_400:                             ; =>This Inner Loop Header: Depth=1
	ds_read2_b64 v[136:139], v131 offset1:1
	s_waitcnt lgkmcnt(1)
	v_xor_b32_e32 v141, 0x80000000, v121
	v_xor_b32_e32 v143, 0x80000000, v123
	v_cmp_gt_f64_e32 vcc, 0, v[122:123]
	v_cmp_gt_f64_e64 s[0:1], 0, v[120:121]
	v_mov_b32_e32 v140, v120
	v_mov_b32_e32 v142, v122
	v_cndmask_b32_e64 v141, v121, v141, s[0:1]
	v_cndmask_b32_e32 v143, v123, v143, vcc
	v_add_f64 v[140:141], v[140:141], v[142:143]
	s_waitcnt lgkmcnt(0)
	v_xor_b32_e32 v143, 0x80000000, v137
	v_xor_b32_e32 v145, 0x80000000, v139
	v_cmp_gt_f64_e32 vcc, 0, v[138:139]
	v_cmp_gt_f64_e64 s[0:1], 0, v[136:137]
	v_mov_b32_e32 v142, v136
	v_mov_b32_e32 v144, v138
	v_cndmask_b32_e64 v143, v137, v143, s[0:1]
	v_cndmask_b32_e32 v145, v139, v145, vcc
	v_add_f64 v[142:143], v[142:143], v[144:145]
	v_mov_b32_e32 v146, s16
	s_add_i32 s16, s16, 1
	v_cmp_lt_f64_e32 vcc, v[140:141], v[142:143]
	v_add_u32_e32 v131, 16, v131
	s_cmp_lg_u32 s20, s16
	v_cndmask_b32_e32 v121, v121, v137, vcc
	v_cndmask_b32_e32 v120, v120, v136, vcc
	;; [unrolled: 1-line block ×5, first 2 shown]
	s_cbranch_scc1 .LBB58_400
.LBB58_401:
	s_waitcnt lgkmcnt(0)
	v_cmp_eq_f64_e32 vcc, 0, v[120:121]
	v_cmp_eq_f64_e64 s[0:1], 0, v[122:123]
	s_and_b64 s[0:1], vcc, s[0:1]
	s_and_saveexec_b64 s[16:17], s[0:1]
	s_xor_b64 s[0:1], exec, s[16:17]
; %bb.402:
	v_cmp_ne_u32_e32 vcc, 0, v134
	s_nop 1
	v_cndmask_b32_e32 v134, 20, v134, vcc
; %bb.403:
	s_andn2_saveexec_b64 s[0:1], s[0:1]
	s_cbranch_execz .LBB58_409
; %bb.404:
	v_cmp_ngt_f64_e64 s[16:17], |v[120:121]|, |v[122:123]|
	s_and_saveexec_b64 s[18:19], s[16:17]
	s_xor_b64 s[16:17], exec, s[18:19]
	s_cbranch_execz .LBB58_406
; %bb.405:
	v_div_scale_f64 v[136:137], s[18:19], v[122:123], v[122:123], v[120:121]
	v_rcp_f64_e32 v[138:139], v[136:137]
	v_div_scale_f64 v[140:141], vcc, v[120:121], v[122:123], v[120:121]
	v_fma_f64 v[142:143], -v[136:137], v[138:139], 1.0
	v_fmac_f64_e32 v[138:139], v[138:139], v[142:143]
	v_fma_f64 v[142:143], -v[136:137], v[138:139], 1.0
	v_fmac_f64_e32 v[138:139], v[138:139], v[142:143]
	v_mul_f64 v[142:143], v[140:141], v[138:139]
	v_fma_f64 v[136:137], -v[136:137], v[142:143], v[140:141]
	v_div_fmas_f64 v[136:137], v[136:137], v[138:139], v[142:143]
	v_div_fixup_f64 v[136:137], v[136:137], v[122:123], v[120:121]
	v_fmac_f64_e32 v[122:123], v[120:121], v[136:137]
	v_div_scale_f64 v[120:121], s[18:19], v[122:123], v[122:123], 1.0
	v_rcp_f64_e32 v[138:139], v[120:121]
	s_nop 0
	v_fma_f64 v[140:141], -v[120:121], v[138:139], 1.0
	v_fmac_f64_e32 v[138:139], v[138:139], v[140:141]
	v_fma_f64 v[140:141], -v[120:121], v[138:139], 1.0
	v_fmac_f64_e32 v[138:139], v[138:139], v[140:141]
	v_div_scale_f64 v[140:141], vcc, 1.0, v[122:123], 1.0
	v_mul_f64 v[142:143], v[140:141], v[138:139]
	v_fma_f64 v[120:121], -v[120:121], v[142:143], v[140:141]
	s_nop 1
	v_div_fmas_f64 v[120:121], v[120:121], v[138:139], v[142:143]
	v_div_fixup_f64 v[122:123], v[120:121], v[122:123], 1.0
	v_mul_f64 v[120:121], v[136:137], v[122:123]
	v_xor_b32_e32 v123, 0x80000000, v123
.LBB58_406:
	s_andn2_saveexec_b64 s[16:17], s[16:17]
	s_cbranch_execz .LBB58_408
; %bb.407:
	v_div_scale_f64 v[136:137], s[18:19], v[120:121], v[120:121], v[122:123]
	v_rcp_f64_e32 v[138:139], v[136:137]
	v_div_scale_f64 v[140:141], vcc, v[122:123], v[120:121], v[122:123]
	v_fma_f64 v[142:143], -v[136:137], v[138:139], 1.0
	v_fmac_f64_e32 v[138:139], v[138:139], v[142:143]
	v_fma_f64 v[142:143], -v[136:137], v[138:139], 1.0
	v_fmac_f64_e32 v[138:139], v[138:139], v[142:143]
	v_mul_f64 v[142:143], v[140:141], v[138:139]
	v_fma_f64 v[136:137], -v[136:137], v[142:143], v[140:141]
	v_div_fmas_f64 v[136:137], v[136:137], v[138:139], v[142:143]
	v_div_fixup_f64 v[136:137], v[136:137], v[120:121], v[122:123]
	v_fmac_f64_e32 v[120:121], v[122:123], v[136:137]
	v_div_scale_f64 v[122:123], s[18:19], v[120:121], v[120:121], 1.0
	v_rcp_f64_e32 v[138:139], v[122:123]
	s_nop 0
	v_fma_f64 v[140:141], -v[122:123], v[138:139], 1.0
	v_fmac_f64_e32 v[138:139], v[138:139], v[140:141]
	v_fma_f64 v[140:141], -v[122:123], v[138:139], 1.0
	v_fmac_f64_e32 v[138:139], v[138:139], v[140:141]
	v_div_scale_f64 v[140:141], vcc, 1.0, v[120:121], 1.0
	v_mul_f64 v[142:143], v[140:141], v[138:139]
	v_fma_f64 v[122:123], -v[122:123], v[142:143], v[140:141]
	s_nop 1
	v_div_fmas_f64 v[122:123], v[122:123], v[138:139], v[142:143]
	v_div_fixup_f64 v[120:121], v[122:123], v[120:121], 1.0
	v_mul_f64 v[122:123], v[136:137], -v[120:121]
.LBB58_408:
	s_or_b64 exec, exec, s[16:17]
.LBB58_409:
	s_or_b64 exec, exec, s[0:1]
	v_cmp_ne_u32_e32 vcc, v133, v130
	s_and_saveexec_b64 s[0:1], vcc
	s_xor_b64 s[0:1], exec, s[0:1]
	s_cbranch_execz .LBB58_415
; %bb.410:
	v_cmp_eq_u32_e32 vcc, 19, v133
	s_and_saveexec_b64 s[16:17], vcc
	s_cbranch_execz .LBB58_414
; %bb.411:
	v_cmp_ne_u32_e32 vcc, 19, v130
	s_xor_b64 s[18:19], s[14:15], -1
	s_and_b64 s[22:23], s[18:19], vcc
	s_and_saveexec_b64 s[18:19], s[22:23]
	s_cbranch_execz .LBB58_413
; %bb.412:
	v_ashrrev_i32_e32 v131, 31, v130
	v_lshl_add_u64 v[136:137], v[130:131], 2, v[128:129]
	global_load_dword v131, v[136:137], off
	global_load_dword v133, v[128:129], off offset:76
	s_waitcnt vmcnt(1)
	global_store_dword v[128:129], v131, off offset:76
	s_waitcnt vmcnt(1)
	global_store_dword v[136:137], v133, off
.LBB58_413:
	s_or_b64 exec, exec, s[18:19]
	v_mov_b32_e32 v133, v130
	v_mov_b32_e32 v135, v130
.LBB58_414:
	s_or_b64 exec, exec, s[16:17]
.LBB58_415:
	s_andn2_saveexec_b64 s[0:1], s[0:1]
	s_cbranch_execz .LBB58_417
; %bb.416:
	v_mov_b32_e32 v133, 19
	s_waitcnt vmcnt(9)
	ds_write2_b64 v132, v[32:33], v[34:35] offset0:40 offset1:41
	s_waitcnt vmcnt(8)
	ds_write2_b64 v132, v[28:29], v[30:31] offset0:42 offset1:43
	;; [unrolled: 2-line block ×10, first 2 shown]
.LBB58_417:
	s_or_b64 exec, exec, s[0:1]
	v_cmp_lt_i32_e32 vcc, 19, v133
	s_waitcnt lgkmcnt(0)
	s_barrier
	s_and_saveexec_b64 s[0:1], vcc
	s_cbranch_execz .LBB58_419
; %bb.418:
	ds_read2_b64 v[136:139], v132 offset0:40 offset1:41
	v_mul_f64 v[130:131], v[120:121], v[38:39]
	v_mul_f64 v[38:39], v[122:123], v[38:39]
	v_fmac_f64_e32 v[130:131], v[122:123], v[36:37]
	v_fma_f64 v[36:37], v[120:121], v[36:37], -v[38:39]
	ds_read2_b64 v[120:123], v132 offset0:42 offset1:43
	s_waitcnt lgkmcnt(1)
	v_mul_f64 v[38:39], v[138:139], v[130:131]
	v_fma_f64 v[38:39], v[136:137], v[36:37], -v[38:39]
	v_mul_f64 v[136:137], v[136:137], v[130:131]
	v_fmac_f64_e32 v[136:137], v[138:139], v[36:37]
	s_waitcnt vmcnt(9)
	v_add_f64 v[32:33], v[32:33], -v[38:39]
	s_waitcnt lgkmcnt(0)
	v_mul_f64 v[38:39], v[122:123], v[130:131]
	v_add_f64 v[34:35], v[34:35], -v[136:137]
	v_fma_f64 v[38:39], v[120:121], v[36:37], -v[38:39]
	v_mul_f64 v[120:121], v[120:121], v[130:131]
	ds_read2_b64 v[136:139], v132 offset0:44 offset1:45
	v_fmac_f64_e32 v[120:121], v[122:123], v[36:37]
	s_waitcnt vmcnt(8)
	v_add_f64 v[30:31], v[30:31], -v[120:121]
	ds_read2_b64 v[120:123], v132 offset0:46 offset1:47
	v_add_f64 v[28:29], v[28:29], -v[38:39]
	s_waitcnt lgkmcnt(1)
	v_mul_f64 v[38:39], v[138:139], v[130:131]
	v_fma_f64 v[38:39], v[136:137], v[36:37], -v[38:39]
	v_mul_f64 v[136:137], v[136:137], v[130:131]
	v_fmac_f64_e32 v[136:137], v[138:139], v[36:37]
	s_waitcnt vmcnt(7)
	v_add_f64 v[24:25], v[24:25], -v[38:39]
	s_waitcnt lgkmcnt(0)
	v_mul_f64 v[38:39], v[122:123], v[130:131]
	v_add_f64 v[26:27], v[26:27], -v[136:137]
	v_fma_f64 v[38:39], v[120:121], v[36:37], -v[38:39]
	v_mul_f64 v[120:121], v[120:121], v[130:131]
	ds_read2_b64 v[136:139], v132 offset0:48 offset1:49
	v_fmac_f64_e32 v[120:121], v[122:123], v[36:37]
	s_waitcnt vmcnt(6)
	v_add_f64 v[22:23], v[22:23], -v[120:121]
	ds_read2_b64 v[120:123], v132 offset0:50 offset1:51
	v_add_f64 v[20:21], v[20:21], -v[38:39]
	;; [unrolled: 18-line block ×4, first 2 shown]
	s_waitcnt lgkmcnt(1)
	v_mul_f64 v[38:39], v[138:139], v[130:131]
	v_fma_f64 v[38:39], v[136:137], v[36:37], -v[38:39]
	s_waitcnt vmcnt(1)
	v_add_f64 v[0:1], v[0:1], -v[38:39]
	s_waitcnt lgkmcnt(0)
	v_mul_f64 v[38:39], v[122:123], v[130:131]
	v_mul_f64 v[136:137], v[136:137], v[130:131]
	v_fma_f64 v[38:39], v[120:121], v[36:37], -v[38:39]
	v_mul_f64 v[120:121], v[120:121], v[130:131]
	v_fmac_f64_e32 v[136:137], v[138:139], v[36:37]
	v_fmac_f64_e32 v[120:121], v[122:123], v[36:37]
	v_add_f64 v[2:3], v[2:3], -v[136:137]
	s_waitcnt vmcnt(0)
	v_add_f64 v[116:117], v[116:117], -v[38:39]
	v_add_f64 v[118:119], v[118:119], -v[120:121]
	v_mov_b64_e32 v[38:39], v[130:131]
.LBB58_419:
	s_or_b64 exec, exec, s[0:1]
	v_lshl_add_u32 v120, v133, 4, v132
	s_barrier
	s_waitcnt vmcnt(9)
	ds_write2_b64 v120, v[32:33], v[34:35] offset1:1
	s_waitcnt lgkmcnt(0)
	s_barrier
	ds_read2_b64 v[120:123], v132 offset0:40 offset1:41
	s_cmp_lt_i32 s20, 22
	v_mov_b32_e32 v130, 20
	s_cbranch_scc1 .LBB58_422
; %bb.420:
	v_add_u32_e32 v131, 0x150, v132
	s_mov_b32 s16, 21
	v_mov_b32_e32 v130, 20
.LBB58_421:                             ; =>This Inner Loop Header: Depth=1
	ds_read2_b64 v[136:139], v131 offset1:1
	s_waitcnt lgkmcnt(1)
	v_xor_b32_e32 v141, 0x80000000, v121
	v_xor_b32_e32 v143, 0x80000000, v123
	v_cmp_gt_f64_e32 vcc, 0, v[122:123]
	v_cmp_gt_f64_e64 s[0:1], 0, v[120:121]
	v_mov_b32_e32 v140, v120
	v_mov_b32_e32 v142, v122
	v_cndmask_b32_e64 v141, v121, v141, s[0:1]
	v_cndmask_b32_e32 v143, v123, v143, vcc
	v_add_f64 v[140:141], v[140:141], v[142:143]
	s_waitcnt lgkmcnt(0)
	v_xor_b32_e32 v143, 0x80000000, v137
	v_xor_b32_e32 v145, 0x80000000, v139
	v_cmp_gt_f64_e32 vcc, 0, v[138:139]
	v_cmp_gt_f64_e64 s[0:1], 0, v[136:137]
	v_mov_b32_e32 v142, v136
	v_mov_b32_e32 v144, v138
	v_cndmask_b32_e64 v143, v137, v143, s[0:1]
	v_cndmask_b32_e32 v145, v139, v145, vcc
	v_add_f64 v[142:143], v[142:143], v[144:145]
	v_mov_b32_e32 v146, s16
	s_add_i32 s16, s16, 1
	v_cmp_lt_f64_e32 vcc, v[140:141], v[142:143]
	v_add_u32_e32 v131, 16, v131
	s_cmp_lg_u32 s20, s16
	v_cndmask_b32_e32 v121, v121, v137, vcc
	v_cndmask_b32_e32 v120, v120, v136, vcc
	v_cndmask_b32_e32 v123, v123, v139, vcc
	v_cndmask_b32_e32 v122, v122, v138, vcc
	v_cndmask_b32_e32 v130, v130, v146, vcc
	s_cbranch_scc1 .LBB58_421
.LBB58_422:
	s_waitcnt lgkmcnt(0)
	v_cmp_eq_f64_e32 vcc, 0, v[120:121]
	v_cmp_eq_f64_e64 s[0:1], 0, v[122:123]
	s_and_b64 s[0:1], vcc, s[0:1]
	s_and_saveexec_b64 s[16:17], s[0:1]
	s_xor_b64 s[0:1], exec, s[16:17]
; %bb.423:
	v_cmp_ne_u32_e32 vcc, 0, v134
	s_nop 1
	v_cndmask_b32_e32 v134, 21, v134, vcc
; %bb.424:
	s_andn2_saveexec_b64 s[0:1], s[0:1]
	s_cbranch_execz .LBB58_430
; %bb.425:
	v_cmp_ngt_f64_e64 s[16:17], |v[120:121]|, |v[122:123]|
	s_and_saveexec_b64 s[18:19], s[16:17]
	s_xor_b64 s[16:17], exec, s[18:19]
	s_cbranch_execz .LBB58_427
; %bb.426:
	v_div_scale_f64 v[136:137], s[18:19], v[122:123], v[122:123], v[120:121]
	v_rcp_f64_e32 v[138:139], v[136:137]
	v_div_scale_f64 v[140:141], vcc, v[120:121], v[122:123], v[120:121]
	v_fma_f64 v[142:143], -v[136:137], v[138:139], 1.0
	v_fmac_f64_e32 v[138:139], v[138:139], v[142:143]
	v_fma_f64 v[142:143], -v[136:137], v[138:139], 1.0
	v_fmac_f64_e32 v[138:139], v[138:139], v[142:143]
	v_mul_f64 v[142:143], v[140:141], v[138:139]
	v_fma_f64 v[136:137], -v[136:137], v[142:143], v[140:141]
	v_div_fmas_f64 v[136:137], v[136:137], v[138:139], v[142:143]
	v_div_fixup_f64 v[136:137], v[136:137], v[122:123], v[120:121]
	v_fmac_f64_e32 v[122:123], v[120:121], v[136:137]
	v_div_scale_f64 v[120:121], s[18:19], v[122:123], v[122:123], 1.0
	v_rcp_f64_e32 v[138:139], v[120:121]
	s_nop 0
	v_fma_f64 v[140:141], -v[120:121], v[138:139], 1.0
	v_fmac_f64_e32 v[138:139], v[138:139], v[140:141]
	v_fma_f64 v[140:141], -v[120:121], v[138:139], 1.0
	v_fmac_f64_e32 v[138:139], v[138:139], v[140:141]
	v_div_scale_f64 v[140:141], vcc, 1.0, v[122:123], 1.0
	v_mul_f64 v[142:143], v[140:141], v[138:139]
	v_fma_f64 v[120:121], -v[120:121], v[142:143], v[140:141]
	s_nop 1
	v_div_fmas_f64 v[120:121], v[120:121], v[138:139], v[142:143]
	v_div_fixup_f64 v[122:123], v[120:121], v[122:123], 1.0
	v_mul_f64 v[120:121], v[136:137], v[122:123]
	v_xor_b32_e32 v123, 0x80000000, v123
.LBB58_427:
	s_andn2_saveexec_b64 s[16:17], s[16:17]
	s_cbranch_execz .LBB58_429
; %bb.428:
	v_div_scale_f64 v[136:137], s[18:19], v[120:121], v[120:121], v[122:123]
	v_rcp_f64_e32 v[138:139], v[136:137]
	v_div_scale_f64 v[140:141], vcc, v[122:123], v[120:121], v[122:123]
	v_fma_f64 v[142:143], -v[136:137], v[138:139], 1.0
	v_fmac_f64_e32 v[138:139], v[138:139], v[142:143]
	v_fma_f64 v[142:143], -v[136:137], v[138:139], 1.0
	v_fmac_f64_e32 v[138:139], v[138:139], v[142:143]
	v_mul_f64 v[142:143], v[140:141], v[138:139]
	v_fma_f64 v[136:137], -v[136:137], v[142:143], v[140:141]
	v_div_fmas_f64 v[136:137], v[136:137], v[138:139], v[142:143]
	v_div_fixup_f64 v[136:137], v[136:137], v[120:121], v[122:123]
	v_fmac_f64_e32 v[120:121], v[122:123], v[136:137]
	v_div_scale_f64 v[122:123], s[18:19], v[120:121], v[120:121], 1.0
	v_rcp_f64_e32 v[138:139], v[122:123]
	s_nop 0
	v_fma_f64 v[140:141], -v[122:123], v[138:139], 1.0
	v_fmac_f64_e32 v[138:139], v[138:139], v[140:141]
	v_fma_f64 v[140:141], -v[122:123], v[138:139], 1.0
	v_fmac_f64_e32 v[138:139], v[138:139], v[140:141]
	v_div_scale_f64 v[140:141], vcc, 1.0, v[120:121], 1.0
	v_mul_f64 v[142:143], v[140:141], v[138:139]
	v_fma_f64 v[122:123], -v[122:123], v[142:143], v[140:141]
	s_nop 1
	v_div_fmas_f64 v[122:123], v[122:123], v[138:139], v[142:143]
	v_div_fixup_f64 v[120:121], v[122:123], v[120:121], 1.0
	v_mul_f64 v[122:123], v[136:137], -v[120:121]
.LBB58_429:
	s_or_b64 exec, exec, s[16:17]
.LBB58_430:
	s_or_b64 exec, exec, s[0:1]
	v_cmp_ne_u32_e32 vcc, v133, v130
	s_and_saveexec_b64 s[0:1], vcc
	s_xor_b64 s[0:1], exec, s[0:1]
	s_cbranch_execz .LBB58_436
; %bb.431:
	v_cmp_eq_u32_e32 vcc, 20, v133
	s_and_saveexec_b64 s[16:17], vcc
	s_cbranch_execz .LBB58_435
; %bb.432:
	v_cmp_ne_u32_e32 vcc, 20, v130
	s_xor_b64 s[18:19], s[14:15], -1
	s_and_b64 s[22:23], s[18:19], vcc
	s_and_saveexec_b64 s[18:19], s[22:23]
	s_cbranch_execz .LBB58_434
; %bb.433:
	v_ashrrev_i32_e32 v131, 31, v130
	v_lshl_add_u64 v[136:137], v[130:131], 2, v[128:129]
	global_load_dword v131, v[136:137], off
	global_load_dword v133, v[128:129], off offset:80
	s_waitcnt vmcnt(1)
	global_store_dword v[128:129], v131, off offset:80
	s_waitcnt vmcnt(1)
	global_store_dword v[136:137], v133, off
.LBB58_434:
	s_or_b64 exec, exec, s[18:19]
	v_mov_b32_e32 v133, v130
	v_mov_b32_e32 v135, v130
.LBB58_435:
	s_or_b64 exec, exec, s[16:17]
.LBB58_436:
	s_andn2_saveexec_b64 s[0:1], s[0:1]
	s_cbranch_execz .LBB58_438
; %bb.437:
	v_mov_b32_e32 v133, 20
	s_waitcnt vmcnt(8)
	ds_write2_b64 v132, v[28:29], v[30:31] offset0:42 offset1:43
	s_waitcnt vmcnt(7)
	ds_write2_b64 v132, v[24:25], v[26:27] offset0:44 offset1:45
	s_waitcnt vmcnt(6)
	ds_write2_b64 v132, v[20:21], v[22:23] offset0:46 offset1:47
	s_waitcnt vmcnt(5)
	ds_write2_b64 v132, v[16:17], v[18:19] offset0:48 offset1:49
	s_waitcnt vmcnt(4)
	ds_write2_b64 v132, v[12:13], v[14:15] offset0:50 offset1:51
	s_waitcnt vmcnt(3)
	ds_write2_b64 v132, v[8:9], v[10:11] offset0:52 offset1:53
	s_waitcnt vmcnt(2)
	ds_write2_b64 v132, v[4:5], v[6:7] offset0:54 offset1:55
	s_waitcnt vmcnt(1)
	ds_write2_b64 v132, v[0:1], v[2:3] offset0:56 offset1:57
	s_waitcnt vmcnt(0)
	ds_write2_b64 v132, v[116:117], v[118:119] offset0:58 offset1:59
.LBB58_438:
	s_or_b64 exec, exec, s[0:1]
	v_cmp_lt_i32_e32 vcc, 20, v133
	s_waitcnt lgkmcnt(0)
	s_barrier
	s_and_saveexec_b64 s[0:1], vcc
	s_cbranch_execz .LBB58_440
; %bb.439:
	ds_read2_b64 v[136:139], v132 offset0:42 offset1:43
	v_mul_f64 v[130:131], v[120:121], v[34:35]
	v_fmac_f64_e32 v[130:131], v[122:123], v[32:33]
	v_mul_f64 v[34:35], v[122:123], v[34:35]
	v_fma_f64 v[32:33], v[120:121], v[32:33], -v[34:35]
	ds_read2_b64 v[120:123], v132 offset0:44 offset1:45
	s_waitcnt lgkmcnt(1)
	v_mul_f64 v[34:35], v[138:139], v[130:131]
	v_fma_f64 v[34:35], v[136:137], v[32:33], -v[34:35]
	v_mul_f64 v[136:137], v[136:137], v[130:131]
	v_fmac_f64_e32 v[136:137], v[138:139], v[32:33]
	s_waitcnt vmcnt(8)
	v_add_f64 v[30:31], v[30:31], -v[136:137]
	ds_read2_b64 v[136:139], v132 offset0:46 offset1:47
	v_add_f64 v[28:29], v[28:29], -v[34:35]
	s_waitcnt lgkmcnt(1)
	v_mul_f64 v[34:35], v[122:123], v[130:131]
	v_fma_f64 v[34:35], v[120:121], v[32:33], -v[34:35]
	v_mul_f64 v[120:121], v[120:121], v[130:131]
	v_fmac_f64_e32 v[120:121], v[122:123], v[32:33]
	s_waitcnt vmcnt(7)
	v_add_f64 v[24:25], v[24:25], -v[34:35]
	v_add_f64 v[26:27], v[26:27], -v[120:121]
	ds_read2_b64 v[120:123], v132 offset0:48 offset1:49
	s_waitcnt lgkmcnt(1)
	v_mul_f64 v[34:35], v[138:139], v[130:131]
	v_fma_f64 v[34:35], v[136:137], v[32:33], -v[34:35]
	v_mul_f64 v[136:137], v[136:137], v[130:131]
	v_fmac_f64_e32 v[136:137], v[138:139], v[32:33]
	s_waitcnt vmcnt(6)
	v_add_f64 v[22:23], v[22:23], -v[136:137]
	ds_read2_b64 v[136:139], v132 offset0:50 offset1:51
	v_add_f64 v[20:21], v[20:21], -v[34:35]
	s_waitcnt lgkmcnt(1)
	v_mul_f64 v[34:35], v[122:123], v[130:131]
	v_fma_f64 v[34:35], v[120:121], v[32:33], -v[34:35]
	v_mul_f64 v[120:121], v[120:121], v[130:131]
	v_fmac_f64_e32 v[120:121], v[122:123], v[32:33]
	s_waitcnt vmcnt(5)
	v_add_f64 v[16:17], v[16:17], -v[34:35]
	v_add_f64 v[18:19], v[18:19], -v[120:121]
	;; [unrolled: 18-line block ×4, first 2 shown]
	s_waitcnt lgkmcnt(0)
	v_mul_f64 v[34:35], v[138:139], v[130:131]
	v_mul_f64 v[120:121], v[136:137], v[130:131]
	v_fma_f64 v[34:35], v[136:137], v[32:33], -v[34:35]
	v_fmac_f64_e32 v[120:121], v[138:139], v[32:33]
	s_waitcnt vmcnt(0)
	v_add_f64 v[116:117], v[116:117], -v[34:35]
	v_add_f64 v[118:119], v[118:119], -v[120:121]
	v_mov_b64_e32 v[34:35], v[130:131]
.LBB58_440:
	s_or_b64 exec, exec, s[0:1]
	v_lshl_add_u32 v120, v133, 4, v132
	s_barrier
	s_waitcnt vmcnt(8)
	ds_write2_b64 v120, v[28:29], v[30:31] offset1:1
	s_waitcnt lgkmcnt(0)
	s_barrier
	ds_read2_b64 v[120:123], v132 offset0:42 offset1:43
	s_cmp_lt_i32 s20, 23
	v_mov_b32_e32 v130, 21
	s_cbranch_scc1 .LBB58_443
; %bb.441:
	v_add_u32_e32 v131, 0x160, v132
	s_mov_b32 s16, 22
	v_mov_b32_e32 v130, 21
.LBB58_442:                             ; =>This Inner Loop Header: Depth=1
	ds_read2_b64 v[136:139], v131 offset1:1
	s_waitcnt lgkmcnt(1)
	v_xor_b32_e32 v141, 0x80000000, v121
	v_xor_b32_e32 v143, 0x80000000, v123
	v_cmp_gt_f64_e32 vcc, 0, v[122:123]
	v_cmp_gt_f64_e64 s[0:1], 0, v[120:121]
	v_mov_b32_e32 v140, v120
	v_mov_b32_e32 v142, v122
	v_cndmask_b32_e64 v141, v121, v141, s[0:1]
	v_cndmask_b32_e32 v143, v123, v143, vcc
	v_add_f64 v[140:141], v[140:141], v[142:143]
	s_waitcnt lgkmcnt(0)
	v_xor_b32_e32 v143, 0x80000000, v137
	v_xor_b32_e32 v145, 0x80000000, v139
	v_cmp_gt_f64_e32 vcc, 0, v[138:139]
	v_cmp_gt_f64_e64 s[0:1], 0, v[136:137]
	v_mov_b32_e32 v142, v136
	v_mov_b32_e32 v144, v138
	v_cndmask_b32_e64 v143, v137, v143, s[0:1]
	v_cndmask_b32_e32 v145, v139, v145, vcc
	v_add_f64 v[142:143], v[142:143], v[144:145]
	v_mov_b32_e32 v146, s16
	s_add_i32 s16, s16, 1
	v_cmp_lt_f64_e32 vcc, v[140:141], v[142:143]
	v_add_u32_e32 v131, 16, v131
	s_cmp_lg_u32 s20, s16
	v_cndmask_b32_e32 v121, v121, v137, vcc
	v_cndmask_b32_e32 v120, v120, v136, vcc
	;; [unrolled: 1-line block ×5, first 2 shown]
	s_cbranch_scc1 .LBB58_442
.LBB58_443:
	s_waitcnt lgkmcnt(0)
	v_cmp_eq_f64_e32 vcc, 0, v[120:121]
	v_cmp_eq_f64_e64 s[0:1], 0, v[122:123]
	s_and_b64 s[0:1], vcc, s[0:1]
	s_and_saveexec_b64 s[16:17], s[0:1]
	s_xor_b64 s[0:1], exec, s[16:17]
; %bb.444:
	v_cmp_ne_u32_e32 vcc, 0, v134
	s_nop 1
	v_cndmask_b32_e32 v134, 22, v134, vcc
; %bb.445:
	s_andn2_saveexec_b64 s[0:1], s[0:1]
	s_cbranch_execz .LBB58_451
; %bb.446:
	v_cmp_ngt_f64_e64 s[16:17], |v[120:121]|, |v[122:123]|
	s_and_saveexec_b64 s[18:19], s[16:17]
	s_xor_b64 s[16:17], exec, s[18:19]
	s_cbranch_execz .LBB58_448
; %bb.447:
	v_div_scale_f64 v[136:137], s[18:19], v[122:123], v[122:123], v[120:121]
	v_rcp_f64_e32 v[138:139], v[136:137]
	v_div_scale_f64 v[140:141], vcc, v[120:121], v[122:123], v[120:121]
	v_fma_f64 v[142:143], -v[136:137], v[138:139], 1.0
	v_fmac_f64_e32 v[138:139], v[138:139], v[142:143]
	v_fma_f64 v[142:143], -v[136:137], v[138:139], 1.0
	v_fmac_f64_e32 v[138:139], v[138:139], v[142:143]
	v_mul_f64 v[142:143], v[140:141], v[138:139]
	v_fma_f64 v[136:137], -v[136:137], v[142:143], v[140:141]
	v_div_fmas_f64 v[136:137], v[136:137], v[138:139], v[142:143]
	v_div_fixup_f64 v[136:137], v[136:137], v[122:123], v[120:121]
	v_fmac_f64_e32 v[122:123], v[120:121], v[136:137]
	v_div_scale_f64 v[120:121], s[18:19], v[122:123], v[122:123], 1.0
	v_rcp_f64_e32 v[138:139], v[120:121]
	s_nop 0
	v_fma_f64 v[140:141], -v[120:121], v[138:139], 1.0
	v_fmac_f64_e32 v[138:139], v[138:139], v[140:141]
	v_fma_f64 v[140:141], -v[120:121], v[138:139], 1.0
	v_fmac_f64_e32 v[138:139], v[138:139], v[140:141]
	v_div_scale_f64 v[140:141], vcc, 1.0, v[122:123], 1.0
	v_mul_f64 v[142:143], v[140:141], v[138:139]
	v_fma_f64 v[120:121], -v[120:121], v[142:143], v[140:141]
	s_nop 1
	v_div_fmas_f64 v[120:121], v[120:121], v[138:139], v[142:143]
	v_div_fixup_f64 v[122:123], v[120:121], v[122:123], 1.0
	v_mul_f64 v[120:121], v[136:137], v[122:123]
	v_xor_b32_e32 v123, 0x80000000, v123
.LBB58_448:
	s_andn2_saveexec_b64 s[16:17], s[16:17]
	s_cbranch_execz .LBB58_450
; %bb.449:
	v_div_scale_f64 v[136:137], s[18:19], v[120:121], v[120:121], v[122:123]
	v_rcp_f64_e32 v[138:139], v[136:137]
	v_div_scale_f64 v[140:141], vcc, v[122:123], v[120:121], v[122:123]
	v_fma_f64 v[142:143], -v[136:137], v[138:139], 1.0
	v_fmac_f64_e32 v[138:139], v[138:139], v[142:143]
	v_fma_f64 v[142:143], -v[136:137], v[138:139], 1.0
	v_fmac_f64_e32 v[138:139], v[138:139], v[142:143]
	v_mul_f64 v[142:143], v[140:141], v[138:139]
	v_fma_f64 v[136:137], -v[136:137], v[142:143], v[140:141]
	v_div_fmas_f64 v[136:137], v[136:137], v[138:139], v[142:143]
	v_div_fixup_f64 v[136:137], v[136:137], v[120:121], v[122:123]
	v_fmac_f64_e32 v[120:121], v[122:123], v[136:137]
	v_div_scale_f64 v[122:123], s[18:19], v[120:121], v[120:121], 1.0
	v_rcp_f64_e32 v[138:139], v[122:123]
	s_nop 0
	v_fma_f64 v[140:141], -v[122:123], v[138:139], 1.0
	v_fmac_f64_e32 v[138:139], v[138:139], v[140:141]
	v_fma_f64 v[140:141], -v[122:123], v[138:139], 1.0
	v_fmac_f64_e32 v[138:139], v[138:139], v[140:141]
	v_div_scale_f64 v[140:141], vcc, 1.0, v[120:121], 1.0
	v_mul_f64 v[142:143], v[140:141], v[138:139]
	v_fma_f64 v[122:123], -v[122:123], v[142:143], v[140:141]
	s_nop 1
	v_div_fmas_f64 v[122:123], v[122:123], v[138:139], v[142:143]
	v_div_fixup_f64 v[120:121], v[122:123], v[120:121], 1.0
	v_mul_f64 v[122:123], v[136:137], -v[120:121]
.LBB58_450:
	s_or_b64 exec, exec, s[16:17]
.LBB58_451:
	s_or_b64 exec, exec, s[0:1]
	v_cmp_ne_u32_e32 vcc, v133, v130
	s_and_saveexec_b64 s[0:1], vcc
	s_xor_b64 s[0:1], exec, s[0:1]
	s_cbranch_execz .LBB58_457
; %bb.452:
	v_cmp_eq_u32_e32 vcc, 21, v133
	s_and_saveexec_b64 s[16:17], vcc
	s_cbranch_execz .LBB58_456
; %bb.453:
	v_cmp_ne_u32_e32 vcc, 21, v130
	s_xor_b64 s[18:19], s[14:15], -1
	s_and_b64 s[22:23], s[18:19], vcc
	s_and_saveexec_b64 s[18:19], s[22:23]
	s_cbranch_execz .LBB58_455
; %bb.454:
	v_ashrrev_i32_e32 v131, 31, v130
	v_lshl_add_u64 v[136:137], v[130:131], 2, v[128:129]
	global_load_dword v131, v[136:137], off
	global_load_dword v133, v[128:129], off offset:84
	s_waitcnt vmcnt(1)
	global_store_dword v[128:129], v131, off offset:84
	s_waitcnt vmcnt(1)
	global_store_dword v[136:137], v133, off
.LBB58_455:
	s_or_b64 exec, exec, s[18:19]
	v_mov_b32_e32 v133, v130
	v_mov_b32_e32 v135, v130
.LBB58_456:
	s_or_b64 exec, exec, s[16:17]
.LBB58_457:
	s_andn2_saveexec_b64 s[0:1], s[0:1]
	s_cbranch_execz .LBB58_459
; %bb.458:
	v_mov_b32_e32 v133, 21
	s_waitcnt vmcnt(7)
	ds_write2_b64 v132, v[24:25], v[26:27] offset0:44 offset1:45
	s_waitcnt vmcnt(6)
	ds_write2_b64 v132, v[20:21], v[22:23] offset0:46 offset1:47
	;; [unrolled: 2-line block ×8, first 2 shown]
.LBB58_459:
	s_or_b64 exec, exec, s[0:1]
	v_cmp_lt_i32_e32 vcc, 21, v133
	s_waitcnt lgkmcnt(0)
	s_barrier
	s_and_saveexec_b64 s[0:1], vcc
	s_cbranch_execz .LBB58_461
; %bb.460:
	ds_read2_b64 v[136:139], v132 offset0:44 offset1:45
	v_mul_f64 v[130:131], v[120:121], v[30:31]
	v_mul_f64 v[30:31], v[122:123], v[30:31]
	v_fmac_f64_e32 v[130:131], v[122:123], v[28:29]
	v_fma_f64 v[28:29], v[120:121], v[28:29], -v[30:31]
	ds_read2_b64 v[120:123], v132 offset0:46 offset1:47
	s_waitcnt lgkmcnt(1)
	v_mul_f64 v[30:31], v[138:139], v[130:131]
	v_fma_f64 v[30:31], v[136:137], v[28:29], -v[30:31]
	v_mul_f64 v[136:137], v[136:137], v[130:131]
	v_fmac_f64_e32 v[136:137], v[138:139], v[28:29]
	s_waitcnt vmcnt(7)
	v_add_f64 v[24:25], v[24:25], -v[30:31]
	s_waitcnt lgkmcnt(0)
	v_mul_f64 v[30:31], v[122:123], v[130:131]
	v_add_f64 v[26:27], v[26:27], -v[136:137]
	v_fma_f64 v[30:31], v[120:121], v[28:29], -v[30:31]
	v_mul_f64 v[120:121], v[120:121], v[130:131]
	ds_read2_b64 v[136:139], v132 offset0:48 offset1:49
	v_fmac_f64_e32 v[120:121], v[122:123], v[28:29]
	s_waitcnt vmcnt(6)
	v_add_f64 v[22:23], v[22:23], -v[120:121]
	ds_read2_b64 v[120:123], v132 offset0:50 offset1:51
	v_add_f64 v[20:21], v[20:21], -v[30:31]
	s_waitcnt lgkmcnt(1)
	v_mul_f64 v[30:31], v[138:139], v[130:131]
	v_fma_f64 v[30:31], v[136:137], v[28:29], -v[30:31]
	v_mul_f64 v[136:137], v[136:137], v[130:131]
	v_fmac_f64_e32 v[136:137], v[138:139], v[28:29]
	s_waitcnt vmcnt(5)
	v_add_f64 v[16:17], v[16:17], -v[30:31]
	s_waitcnt lgkmcnt(0)
	v_mul_f64 v[30:31], v[122:123], v[130:131]
	v_add_f64 v[18:19], v[18:19], -v[136:137]
	v_fma_f64 v[30:31], v[120:121], v[28:29], -v[30:31]
	v_mul_f64 v[120:121], v[120:121], v[130:131]
	ds_read2_b64 v[136:139], v132 offset0:52 offset1:53
	v_fmac_f64_e32 v[120:121], v[122:123], v[28:29]
	s_waitcnt vmcnt(4)
	v_add_f64 v[14:15], v[14:15], -v[120:121]
	ds_read2_b64 v[120:123], v132 offset0:54 offset1:55
	v_add_f64 v[12:13], v[12:13], -v[30:31]
	;; [unrolled: 18-line block ×3, first 2 shown]
	s_waitcnt lgkmcnt(1)
	v_mul_f64 v[30:31], v[138:139], v[130:131]
	v_fma_f64 v[30:31], v[136:137], v[28:29], -v[30:31]
	s_waitcnt vmcnt(1)
	v_add_f64 v[0:1], v[0:1], -v[30:31]
	s_waitcnt lgkmcnt(0)
	v_mul_f64 v[30:31], v[122:123], v[130:131]
	v_mul_f64 v[136:137], v[136:137], v[130:131]
	v_fma_f64 v[30:31], v[120:121], v[28:29], -v[30:31]
	v_mul_f64 v[120:121], v[120:121], v[130:131]
	v_fmac_f64_e32 v[136:137], v[138:139], v[28:29]
	v_fmac_f64_e32 v[120:121], v[122:123], v[28:29]
	v_add_f64 v[2:3], v[2:3], -v[136:137]
	s_waitcnt vmcnt(0)
	v_add_f64 v[116:117], v[116:117], -v[30:31]
	v_add_f64 v[118:119], v[118:119], -v[120:121]
	v_mov_b64_e32 v[30:31], v[130:131]
.LBB58_461:
	s_or_b64 exec, exec, s[0:1]
	v_lshl_add_u32 v120, v133, 4, v132
	s_barrier
	s_waitcnt vmcnt(7)
	ds_write2_b64 v120, v[24:25], v[26:27] offset1:1
	s_waitcnt lgkmcnt(0)
	s_barrier
	ds_read2_b64 v[120:123], v132 offset0:44 offset1:45
	s_cmp_lt_i32 s20, 24
	v_mov_b32_e32 v130, 22
	s_cbranch_scc1 .LBB58_464
; %bb.462:
	v_add_u32_e32 v131, 0x170, v132
	s_mov_b32 s16, 23
	v_mov_b32_e32 v130, 22
.LBB58_463:                             ; =>This Inner Loop Header: Depth=1
	ds_read2_b64 v[136:139], v131 offset1:1
	s_waitcnt lgkmcnt(1)
	v_xor_b32_e32 v141, 0x80000000, v121
	v_xor_b32_e32 v143, 0x80000000, v123
	v_cmp_gt_f64_e32 vcc, 0, v[122:123]
	v_cmp_gt_f64_e64 s[0:1], 0, v[120:121]
	v_mov_b32_e32 v140, v120
	v_mov_b32_e32 v142, v122
	v_cndmask_b32_e64 v141, v121, v141, s[0:1]
	v_cndmask_b32_e32 v143, v123, v143, vcc
	v_add_f64 v[140:141], v[140:141], v[142:143]
	s_waitcnt lgkmcnt(0)
	v_xor_b32_e32 v143, 0x80000000, v137
	v_xor_b32_e32 v145, 0x80000000, v139
	v_cmp_gt_f64_e32 vcc, 0, v[138:139]
	v_cmp_gt_f64_e64 s[0:1], 0, v[136:137]
	v_mov_b32_e32 v142, v136
	v_mov_b32_e32 v144, v138
	v_cndmask_b32_e64 v143, v137, v143, s[0:1]
	v_cndmask_b32_e32 v145, v139, v145, vcc
	v_add_f64 v[142:143], v[142:143], v[144:145]
	v_mov_b32_e32 v146, s16
	s_add_i32 s16, s16, 1
	v_cmp_lt_f64_e32 vcc, v[140:141], v[142:143]
	v_add_u32_e32 v131, 16, v131
	s_cmp_lg_u32 s20, s16
	v_cndmask_b32_e32 v121, v121, v137, vcc
	v_cndmask_b32_e32 v120, v120, v136, vcc
	;; [unrolled: 1-line block ×5, first 2 shown]
	s_cbranch_scc1 .LBB58_463
.LBB58_464:
	s_waitcnt lgkmcnt(0)
	v_cmp_eq_f64_e32 vcc, 0, v[120:121]
	v_cmp_eq_f64_e64 s[0:1], 0, v[122:123]
	s_and_b64 s[0:1], vcc, s[0:1]
	s_and_saveexec_b64 s[16:17], s[0:1]
	s_xor_b64 s[0:1], exec, s[16:17]
; %bb.465:
	v_cmp_ne_u32_e32 vcc, 0, v134
	s_nop 1
	v_cndmask_b32_e32 v134, 23, v134, vcc
; %bb.466:
	s_andn2_saveexec_b64 s[0:1], s[0:1]
	s_cbranch_execz .LBB58_472
; %bb.467:
	v_cmp_ngt_f64_e64 s[16:17], |v[120:121]|, |v[122:123]|
	s_and_saveexec_b64 s[18:19], s[16:17]
	s_xor_b64 s[16:17], exec, s[18:19]
	s_cbranch_execz .LBB58_469
; %bb.468:
	v_div_scale_f64 v[136:137], s[18:19], v[122:123], v[122:123], v[120:121]
	v_rcp_f64_e32 v[138:139], v[136:137]
	v_div_scale_f64 v[140:141], vcc, v[120:121], v[122:123], v[120:121]
	v_fma_f64 v[142:143], -v[136:137], v[138:139], 1.0
	v_fmac_f64_e32 v[138:139], v[138:139], v[142:143]
	v_fma_f64 v[142:143], -v[136:137], v[138:139], 1.0
	v_fmac_f64_e32 v[138:139], v[138:139], v[142:143]
	v_mul_f64 v[142:143], v[140:141], v[138:139]
	v_fma_f64 v[136:137], -v[136:137], v[142:143], v[140:141]
	v_div_fmas_f64 v[136:137], v[136:137], v[138:139], v[142:143]
	v_div_fixup_f64 v[136:137], v[136:137], v[122:123], v[120:121]
	v_fmac_f64_e32 v[122:123], v[120:121], v[136:137]
	v_div_scale_f64 v[120:121], s[18:19], v[122:123], v[122:123], 1.0
	v_rcp_f64_e32 v[138:139], v[120:121]
	s_nop 0
	v_fma_f64 v[140:141], -v[120:121], v[138:139], 1.0
	v_fmac_f64_e32 v[138:139], v[138:139], v[140:141]
	v_fma_f64 v[140:141], -v[120:121], v[138:139], 1.0
	v_fmac_f64_e32 v[138:139], v[138:139], v[140:141]
	v_div_scale_f64 v[140:141], vcc, 1.0, v[122:123], 1.0
	v_mul_f64 v[142:143], v[140:141], v[138:139]
	v_fma_f64 v[120:121], -v[120:121], v[142:143], v[140:141]
	s_nop 1
	v_div_fmas_f64 v[120:121], v[120:121], v[138:139], v[142:143]
	v_div_fixup_f64 v[122:123], v[120:121], v[122:123], 1.0
	v_mul_f64 v[120:121], v[136:137], v[122:123]
	v_xor_b32_e32 v123, 0x80000000, v123
.LBB58_469:
	s_andn2_saveexec_b64 s[16:17], s[16:17]
	s_cbranch_execz .LBB58_471
; %bb.470:
	v_div_scale_f64 v[136:137], s[18:19], v[120:121], v[120:121], v[122:123]
	v_rcp_f64_e32 v[138:139], v[136:137]
	v_div_scale_f64 v[140:141], vcc, v[122:123], v[120:121], v[122:123]
	v_fma_f64 v[142:143], -v[136:137], v[138:139], 1.0
	v_fmac_f64_e32 v[138:139], v[138:139], v[142:143]
	v_fma_f64 v[142:143], -v[136:137], v[138:139], 1.0
	v_fmac_f64_e32 v[138:139], v[138:139], v[142:143]
	v_mul_f64 v[142:143], v[140:141], v[138:139]
	v_fma_f64 v[136:137], -v[136:137], v[142:143], v[140:141]
	v_div_fmas_f64 v[136:137], v[136:137], v[138:139], v[142:143]
	v_div_fixup_f64 v[136:137], v[136:137], v[120:121], v[122:123]
	v_fmac_f64_e32 v[120:121], v[122:123], v[136:137]
	v_div_scale_f64 v[122:123], s[18:19], v[120:121], v[120:121], 1.0
	v_rcp_f64_e32 v[138:139], v[122:123]
	s_nop 0
	v_fma_f64 v[140:141], -v[122:123], v[138:139], 1.0
	v_fmac_f64_e32 v[138:139], v[138:139], v[140:141]
	v_fma_f64 v[140:141], -v[122:123], v[138:139], 1.0
	v_fmac_f64_e32 v[138:139], v[138:139], v[140:141]
	v_div_scale_f64 v[140:141], vcc, 1.0, v[120:121], 1.0
	v_mul_f64 v[142:143], v[140:141], v[138:139]
	v_fma_f64 v[122:123], -v[122:123], v[142:143], v[140:141]
	s_nop 1
	v_div_fmas_f64 v[122:123], v[122:123], v[138:139], v[142:143]
	v_div_fixup_f64 v[120:121], v[122:123], v[120:121], 1.0
	v_mul_f64 v[122:123], v[136:137], -v[120:121]
.LBB58_471:
	s_or_b64 exec, exec, s[16:17]
.LBB58_472:
	s_or_b64 exec, exec, s[0:1]
	v_cmp_ne_u32_e32 vcc, v133, v130
	s_and_saveexec_b64 s[0:1], vcc
	s_xor_b64 s[0:1], exec, s[0:1]
	s_cbranch_execz .LBB58_478
; %bb.473:
	v_cmp_eq_u32_e32 vcc, 22, v133
	s_and_saveexec_b64 s[16:17], vcc
	s_cbranch_execz .LBB58_477
; %bb.474:
	v_cmp_ne_u32_e32 vcc, 22, v130
	s_xor_b64 s[18:19], s[14:15], -1
	s_and_b64 s[22:23], s[18:19], vcc
	s_and_saveexec_b64 s[18:19], s[22:23]
	s_cbranch_execz .LBB58_476
; %bb.475:
	v_ashrrev_i32_e32 v131, 31, v130
	v_lshl_add_u64 v[136:137], v[130:131], 2, v[128:129]
	global_load_dword v131, v[136:137], off
	global_load_dword v133, v[128:129], off offset:88
	s_waitcnt vmcnt(1)
	global_store_dword v[128:129], v131, off offset:88
	s_waitcnt vmcnt(1)
	global_store_dword v[136:137], v133, off
.LBB58_476:
	s_or_b64 exec, exec, s[18:19]
	v_mov_b32_e32 v133, v130
	v_mov_b32_e32 v135, v130
.LBB58_477:
	s_or_b64 exec, exec, s[16:17]
.LBB58_478:
	s_andn2_saveexec_b64 s[0:1], s[0:1]
	s_cbranch_execz .LBB58_480
; %bb.479:
	v_mov_b32_e32 v133, 22
	s_waitcnt vmcnt(6)
	ds_write2_b64 v132, v[20:21], v[22:23] offset0:46 offset1:47
	s_waitcnt vmcnt(5)
	ds_write2_b64 v132, v[16:17], v[18:19] offset0:48 offset1:49
	;; [unrolled: 2-line block ×7, first 2 shown]
.LBB58_480:
	s_or_b64 exec, exec, s[0:1]
	v_cmp_lt_i32_e32 vcc, 22, v133
	s_waitcnt lgkmcnt(0)
	s_barrier
	s_and_saveexec_b64 s[0:1], vcc
	s_cbranch_execz .LBB58_482
; %bb.481:
	ds_read2_b64 v[136:139], v132 offset0:46 offset1:47
	v_mul_f64 v[130:131], v[120:121], v[26:27]
	v_fmac_f64_e32 v[130:131], v[122:123], v[24:25]
	v_mul_f64 v[26:27], v[122:123], v[26:27]
	v_fma_f64 v[24:25], v[120:121], v[24:25], -v[26:27]
	ds_read2_b64 v[120:123], v132 offset0:48 offset1:49
	s_waitcnt lgkmcnt(1)
	v_mul_f64 v[26:27], v[138:139], v[130:131]
	v_fma_f64 v[26:27], v[136:137], v[24:25], -v[26:27]
	v_mul_f64 v[136:137], v[136:137], v[130:131]
	v_fmac_f64_e32 v[136:137], v[138:139], v[24:25]
	s_waitcnt vmcnt(6)
	v_add_f64 v[22:23], v[22:23], -v[136:137]
	ds_read2_b64 v[136:139], v132 offset0:50 offset1:51
	v_add_f64 v[20:21], v[20:21], -v[26:27]
	s_waitcnt lgkmcnt(1)
	v_mul_f64 v[26:27], v[122:123], v[130:131]
	v_fma_f64 v[26:27], v[120:121], v[24:25], -v[26:27]
	v_mul_f64 v[120:121], v[120:121], v[130:131]
	v_fmac_f64_e32 v[120:121], v[122:123], v[24:25]
	s_waitcnt vmcnt(5)
	v_add_f64 v[16:17], v[16:17], -v[26:27]
	v_add_f64 v[18:19], v[18:19], -v[120:121]
	ds_read2_b64 v[120:123], v132 offset0:52 offset1:53
	s_waitcnt lgkmcnt(1)
	v_mul_f64 v[26:27], v[138:139], v[130:131]
	v_fma_f64 v[26:27], v[136:137], v[24:25], -v[26:27]
	v_mul_f64 v[136:137], v[136:137], v[130:131]
	v_fmac_f64_e32 v[136:137], v[138:139], v[24:25]
	s_waitcnt vmcnt(4)
	v_add_f64 v[14:15], v[14:15], -v[136:137]
	ds_read2_b64 v[136:139], v132 offset0:54 offset1:55
	v_add_f64 v[12:13], v[12:13], -v[26:27]
	s_waitcnt lgkmcnt(1)
	v_mul_f64 v[26:27], v[122:123], v[130:131]
	v_fma_f64 v[26:27], v[120:121], v[24:25], -v[26:27]
	v_mul_f64 v[120:121], v[120:121], v[130:131]
	v_fmac_f64_e32 v[120:121], v[122:123], v[24:25]
	s_waitcnt vmcnt(3)
	v_add_f64 v[8:9], v[8:9], -v[26:27]
	v_add_f64 v[10:11], v[10:11], -v[120:121]
	ds_read2_b64 v[120:123], v132 offset0:56 offset1:57
	s_waitcnt lgkmcnt(1)
	v_mul_f64 v[26:27], v[138:139], v[130:131]
	v_fma_f64 v[26:27], v[136:137], v[24:25], -v[26:27]
	v_mul_f64 v[136:137], v[136:137], v[130:131]
	v_fmac_f64_e32 v[136:137], v[138:139], v[24:25]
	s_waitcnt vmcnt(2)
	v_add_f64 v[6:7], v[6:7], -v[136:137]
	ds_read2_b64 v[136:139], v132 offset0:58 offset1:59
	v_add_f64 v[4:5], v[4:5], -v[26:27]
	s_waitcnt lgkmcnt(1)
	v_mul_f64 v[26:27], v[122:123], v[130:131]
	v_fma_f64 v[26:27], v[120:121], v[24:25], -v[26:27]
	v_mul_f64 v[120:121], v[120:121], v[130:131]
	v_fmac_f64_e32 v[120:121], v[122:123], v[24:25]
	s_waitcnt vmcnt(1)
	v_add_f64 v[0:1], v[0:1], -v[26:27]
	v_add_f64 v[2:3], v[2:3], -v[120:121]
	s_waitcnt lgkmcnt(0)
	v_mul_f64 v[26:27], v[138:139], v[130:131]
	v_mul_f64 v[120:121], v[136:137], v[130:131]
	v_fma_f64 v[26:27], v[136:137], v[24:25], -v[26:27]
	v_fmac_f64_e32 v[120:121], v[138:139], v[24:25]
	s_waitcnt vmcnt(0)
	v_add_f64 v[116:117], v[116:117], -v[26:27]
	v_add_f64 v[118:119], v[118:119], -v[120:121]
	v_mov_b64_e32 v[26:27], v[130:131]
.LBB58_482:
	s_or_b64 exec, exec, s[0:1]
	v_lshl_add_u32 v120, v133, 4, v132
	s_barrier
	s_waitcnt vmcnt(6)
	ds_write2_b64 v120, v[20:21], v[22:23] offset1:1
	s_waitcnt lgkmcnt(0)
	s_barrier
	ds_read2_b64 v[120:123], v132 offset0:46 offset1:47
	s_cmp_lt_i32 s20, 25
	v_mov_b32_e32 v130, 23
	s_cbranch_scc1 .LBB58_485
; %bb.483:
	v_add_u32_e32 v131, 0x180, v132
	s_mov_b32 s16, 24
	v_mov_b32_e32 v130, 23
.LBB58_484:                             ; =>This Inner Loop Header: Depth=1
	ds_read2_b64 v[136:139], v131 offset1:1
	s_waitcnt lgkmcnt(1)
	v_xor_b32_e32 v141, 0x80000000, v121
	v_xor_b32_e32 v143, 0x80000000, v123
	v_cmp_gt_f64_e32 vcc, 0, v[122:123]
	v_cmp_gt_f64_e64 s[0:1], 0, v[120:121]
	v_mov_b32_e32 v140, v120
	v_mov_b32_e32 v142, v122
	v_cndmask_b32_e64 v141, v121, v141, s[0:1]
	v_cndmask_b32_e32 v143, v123, v143, vcc
	v_add_f64 v[140:141], v[140:141], v[142:143]
	s_waitcnt lgkmcnt(0)
	v_xor_b32_e32 v143, 0x80000000, v137
	v_xor_b32_e32 v145, 0x80000000, v139
	v_cmp_gt_f64_e32 vcc, 0, v[138:139]
	v_cmp_gt_f64_e64 s[0:1], 0, v[136:137]
	v_mov_b32_e32 v142, v136
	v_mov_b32_e32 v144, v138
	v_cndmask_b32_e64 v143, v137, v143, s[0:1]
	v_cndmask_b32_e32 v145, v139, v145, vcc
	v_add_f64 v[142:143], v[142:143], v[144:145]
	v_mov_b32_e32 v146, s16
	s_add_i32 s16, s16, 1
	v_cmp_lt_f64_e32 vcc, v[140:141], v[142:143]
	v_add_u32_e32 v131, 16, v131
	s_cmp_lg_u32 s20, s16
	v_cndmask_b32_e32 v121, v121, v137, vcc
	v_cndmask_b32_e32 v120, v120, v136, vcc
	;; [unrolled: 1-line block ×5, first 2 shown]
	s_cbranch_scc1 .LBB58_484
.LBB58_485:
	s_waitcnt lgkmcnt(0)
	v_cmp_eq_f64_e32 vcc, 0, v[120:121]
	v_cmp_eq_f64_e64 s[0:1], 0, v[122:123]
	s_and_b64 s[0:1], vcc, s[0:1]
	s_and_saveexec_b64 s[16:17], s[0:1]
	s_xor_b64 s[0:1], exec, s[16:17]
; %bb.486:
	v_cmp_ne_u32_e32 vcc, 0, v134
	s_nop 1
	v_cndmask_b32_e32 v134, 24, v134, vcc
; %bb.487:
	s_andn2_saveexec_b64 s[0:1], s[0:1]
	s_cbranch_execz .LBB58_493
; %bb.488:
	v_cmp_ngt_f64_e64 s[16:17], |v[120:121]|, |v[122:123]|
	s_and_saveexec_b64 s[18:19], s[16:17]
	s_xor_b64 s[16:17], exec, s[18:19]
	s_cbranch_execz .LBB58_490
; %bb.489:
	v_div_scale_f64 v[136:137], s[18:19], v[122:123], v[122:123], v[120:121]
	v_rcp_f64_e32 v[138:139], v[136:137]
	v_div_scale_f64 v[140:141], vcc, v[120:121], v[122:123], v[120:121]
	v_fma_f64 v[142:143], -v[136:137], v[138:139], 1.0
	v_fmac_f64_e32 v[138:139], v[138:139], v[142:143]
	v_fma_f64 v[142:143], -v[136:137], v[138:139], 1.0
	v_fmac_f64_e32 v[138:139], v[138:139], v[142:143]
	v_mul_f64 v[142:143], v[140:141], v[138:139]
	v_fma_f64 v[136:137], -v[136:137], v[142:143], v[140:141]
	v_div_fmas_f64 v[136:137], v[136:137], v[138:139], v[142:143]
	v_div_fixup_f64 v[136:137], v[136:137], v[122:123], v[120:121]
	v_fmac_f64_e32 v[122:123], v[120:121], v[136:137]
	v_div_scale_f64 v[120:121], s[18:19], v[122:123], v[122:123], 1.0
	v_rcp_f64_e32 v[138:139], v[120:121]
	s_nop 0
	v_fma_f64 v[140:141], -v[120:121], v[138:139], 1.0
	v_fmac_f64_e32 v[138:139], v[138:139], v[140:141]
	v_fma_f64 v[140:141], -v[120:121], v[138:139], 1.0
	v_fmac_f64_e32 v[138:139], v[138:139], v[140:141]
	v_div_scale_f64 v[140:141], vcc, 1.0, v[122:123], 1.0
	v_mul_f64 v[142:143], v[140:141], v[138:139]
	v_fma_f64 v[120:121], -v[120:121], v[142:143], v[140:141]
	s_nop 1
	v_div_fmas_f64 v[120:121], v[120:121], v[138:139], v[142:143]
	v_div_fixup_f64 v[122:123], v[120:121], v[122:123], 1.0
	v_mul_f64 v[120:121], v[136:137], v[122:123]
	v_xor_b32_e32 v123, 0x80000000, v123
.LBB58_490:
	s_andn2_saveexec_b64 s[16:17], s[16:17]
	s_cbranch_execz .LBB58_492
; %bb.491:
	v_div_scale_f64 v[136:137], s[18:19], v[120:121], v[120:121], v[122:123]
	v_rcp_f64_e32 v[138:139], v[136:137]
	v_div_scale_f64 v[140:141], vcc, v[122:123], v[120:121], v[122:123]
	v_fma_f64 v[142:143], -v[136:137], v[138:139], 1.0
	v_fmac_f64_e32 v[138:139], v[138:139], v[142:143]
	v_fma_f64 v[142:143], -v[136:137], v[138:139], 1.0
	v_fmac_f64_e32 v[138:139], v[138:139], v[142:143]
	v_mul_f64 v[142:143], v[140:141], v[138:139]
	v_fma_f64 v[136:137], -v[136:137], v[142:143], v[140:141]
	v_div_fmas_f64 v[136:137], v[136:137], v[138:139], v[142:143]
	v_div_fixup_f64 v[136:137], v[136:137], v[120:121], v[122:123]
	v_fmac_f64_e32 v[120:121], v[122:123], v[136:137]
	v_div_scale_f64 v[122:123], s[18:19], v[120:121], v[120:121], 1.0
	v_rcp_f64_e32 v[138:139], v[122:123]
	s_nop 0
	v_fma_f64 v[140:141], -v[122:123], v[138:139], 1.0
	v_fmac_f64_e32 v[138:139], v[138:139], v[140:141]
	v_fma_f64 v[140:141], -v[122:123], v[138:139], 1.0
	v_fmac_f64_e32 v[138:139], v[138:139], v[140:141]
	v_div_scale_f64 v[140:141], vcc, 1.0, v[120:121], 1.0
	v_mul_f64 v[142:143], v[140:141], v[138:139]
	v_fma_f64 v[122:123], -v[122:123], v[142:143], v[140:141]
	s_nop 1
	v_div_fmas_f64 v[122:123], v[122:123], v[138:139], v[142:143]
	v_div_fixup_f64 v[120:121], v[122:123], v[120:121], 1.0
	v_mul_f64 v[122:123], v[136:137], -v[120:121]
.LBB58_492:
	s_or_b64 exec, exec, s[16:17]
.LBB58_493:
	s_or_b64 exec, exec, s[0:1]
	v_cmp_ne_u32_e32 vcc, v133, v130
	s_and_saveexec_b64 s[0:1], vcc
	s_xor_b64 s[0:1], exec, s[0:1]
	s_cbranch_execz .LBB58_499
; %bb.494:
	v_cmp_eq_u32_e32 vcc, 23, v133
	s_and_saveexec_b64 s[16:17], vcc
	s_cbranch_execz .LBB58_498
; %bb.495:
	v_cmp_ne_u32_e32 vcc, 23, v130
	s_xor_b64 s[18:19], s[14:15], -1
	s_and_b64 s[22:23], s[18:19], vcc
	s_and_saveexec_b64 s[18:19], s[22:23]
	s_cbranch_execz .LBB58_497
; %bb.496:
	v_ashrrev_i32_e32 v131, 31, v130
	v_lshl_add_u64 v[136:137], v[130:131], 2, v[128:129]
	global_load_dword v131, v[136:137], off
	global_load_dword v133, v[128:129], off offset:92
	s_waitcnt vmcnt(1)
	global_store_dword v[128:129], v131, off offset:92
	s_waitcnt vmcnt(1)
	global_store_dword v[136:137], v133, off
.LBB58_497:
	s_or_b64 exec, exec, s[18:19]
	v_mov_b32_e32 v133, v130
	v_mov_b32_e32 v135, v130
.LBB58_498:
	s_or_b64 exec, exec, s[16:17]
.LBB58_499:
	s_andn2_saveexec_b64 s[0:1], s[0:1]
	s_cbranch_execz .LBB58_501
; %bb.500:
	v_mov_b32_e32 v133, 23
	s_waitcnt vmcnt(5)
	ds_write2_b64 v132, v[16:17], v[18:19] offset0:48 offset1:49
	s_waitcnt vmcnt(4)
	ds_write2_b64 v132, v[12:13], v[14:15] offset0:50 offset1:51
	;; [unrolled: 2-line block ×6, first 2 shown]
.LBB58_501:
	s_or_b64 exec, exec, s[0:1]
	v_cmp_lt_i32_e32 vcc, 23, v133
	s_waitcnt lgkmcnt(0)
	s_barrier
	s_and_saveexec_b64 s[0:1], vcc
	s_cbranch_execz .LBB58_503
; %bb.502:
	ds_read2_b64 v[136:139], v132 offset0:48 offset1:49
	v_mul_f64 v[130:131], v[120:121], v[22:23]
	v_mul_f64 v[22:23], v[122:123], v[22:23]
	v_fmac_f64_e32 v[130:131], v[122:123], v[20:21]
	v_fma_f64 v[20:21], v[120:121], v[20:21], -v[22:23]
	ds_read2_b64 v[120:123], v132 offset0:50 offset1:51
	s_waitcnt lgkmcnt(1)
	v_mul_f64 v[22:23], v[138:139], v[130:131]
	v_fma_f64 v[22:23], v[136:137], v[20:21], -v[22:23]
	v_mul_f64 v[136:137], v[136:137], v[130:131]
	v_fmac_f64_e32 v[136:137], v[138:139], v[20:21]
	s_waitcnt vmcnt(5)
	v_add_f64 v[16:17], v[16:17], -v[22:23]
	s_waitcnt lgkmcnt(0)
	v_mul_f64 v[22:23], v[122:123], v[130:131]
	v_add_f64 v[18:19], v[18:19], -v[136:137]
	v_fma_f64 v[22:23], v[120:121], v[20:21], -v[22:23]
	v_mul_f64 v[120:121], v[120:121], v[130:131]
	ds_read2_b64 v[136:139], v132 offset0:52 offset1:53
	v_fmac_f64_e32 v[120:121], v[122:123], v[20:21]
	s_waitcnt vmcnt(4)
	v_add_f64 v[14:15], v[14:15], -v[120:121]
	ds_read2_b64 v[120:123], v132 offset0:54 offset1:55
	v_add_f64 v[12:13], v[12:13], -v[22:23]
	s_waitcnt lgkmcnt(1)
	v_mul_f64 v[22:23], v[138:139], v[130:131]
	v_fma_f64 v[22:23], v[136:137], v[20:21], -v[22:23]
	v_mul_f64 v[136:137], v[136:137], v[130:131]
	v_fmac_f64_e32 v[136:137], v[138:139], v[20:21]
	s_waitcnt vmcnt(3)
	v_add_f64 v[8:9], v[8:9], -v[22:23]
	s_waitcnt lgkmcnt(0)
	v_mul_f64 v[22:23], v[122:123], v[130:131]
	v_add_f64 v[10:11], v[10:11], -v[136:137]
	v_fma_f64 v[22:23], v[120:121], v[20:21], -v[22:23]
	v_mul_f64 v[120:121], v[120:121], v[130:131]
	ds_read2_b64 v[136:139], v132 offset0:56 offset1:57
	v_fmac_f64_e32 v[120:121], v[122:123], v[20:21]
	s_waitcnt vmcnt(2)
	v_add_f64 v[6:7], v[6:7], -v[120:121]
	ds_read2_b64 v[120:123], v132 offset0:58 offset1:59
	v_add_f64 v[4:5], v[4:5], -v[22:23]
	s_waitcnt lgkmcnt(1)
	v_mul_f64 v[22:23], v[138:139], v[130:131]
	v_fma_f64 v[22:23], v[136:137], v[20:21], -v[22:23]
	s_waitcnt vmcnt(1)
	v_add_f64 v[0:1], v[0:1], -v[22:23]
	s_waitcnt lgkmcnt(0)
	v_mul_f64 v[22:23], v[122:123], v[130:131]
	v_mul_f64 v[136:137], v[136:137], v[130:131]
	v_fma_f64 v[22:23], v[120:121], v[20:21], -v[22:23]
	v_mul_f64 v[120:121], v[120:121], v[130:131]
	v_fmac_f64_e32 v[136:137], v[138:139], v[20:21]
	v_fmac_f64_e32 v[120:121], v[122:123], v[20:21]
	v_add_f64 v[2:3], v[2:3], -v[136:137]
	s_waitcnt vmcnt(0)
	v_add_f64 v[116:117], v[116:117], -v[22:23]
	v_add_f64 v[118:119], v[118:119], -v[120:121]
	v_mov_b64_e32 v[22:23], v[130:131]
.LBB58_503:
	s_or_b64 exec, exec, s[0:1]
	v_lshl_add_u32 v120, v133, 4, v132
	s_barrier
	s_waitcnt vmcnt(5)
	ds_write2_b64 v120, v[16:17], v[18:19] offset1:1
	s_waitcnt lgkmcnt(0)
	s_barrier
	ds_read2_b64 v[120:123], v132 offset0:48 offset1:49
	s_cmp_lt_i32 s20, 26
	v_mov_b32_e32 v130, 24
	s_cbranch_scc1 .LBB58_506
; %bb.504:
	v_add_u32_e32 v131, 0x190, v132
	s_mov_b32 s16, 25
	v_mov_b32_e32 v130, 24
.LBB58_505:                             ; =>This Inner Loop Header: Depth=1
	ds_read2_b64 v[136:139], v131 offset1:1
	s_waitcnt lgkmcnt(1)
	v_xor_b32_e32 v141, 0x80000000, v121
	v_xor_b32_e32 v143, 0x80000000, v123
	v_cmp_gt_f64_e32 vcc, 0, v[122:123]
	v_cmp_gt_f64_e64 s[0:1], 0, v[120:121]
	v_mov_b32_e32 v140, v120
	v_mov_b32_e32 v142, v122
	v_cndmask_b32_e64 v141, v121, v141, s[0:1]
	v_cndmask_b32_e32 v143, v123, v143, vcc
	v_add_f64 v[140:141], v[140:141], v[142:143]
	s_waitcnt lgkmcnt(0)
	v_xor_b32_e32 v143, 0x80000000, v137
	v_xor_b32_e32 v145, 0x80000000, v139
	v_cmp_gt_f64_e32 vcc, 0, v[138:139]
	v_cmp_gt_f64_e64 s[0:1], 0, v[136:137]
	v_mov_b32_e32 v142, v136
	v_mov_b32_e32 v144, v138
	v_cndmask_b32_e64 v143, v137, v143, s[0:1]
	v_cndmask_b32_e32 v145, v139, v145, vcc
	v_add_f64 v[142:143], v[142:143], v[144:145]
	v_mov_b32_e32 v146, s16
	s_add_i32 s16, s16, 1
	v_cmp_lt_f64_e32 vcc, v[140:141], v[142:143]
	v_add_u32_e32 v131, 16, v131
	s_cmp_lg_u32 s20, s16
	v_cndmask_b32_e32 v121, v121, v137, vcc
	v_cndmask_b32_e32 v120, v120, v136, vcc
	;; [unrolled: 1-line block ×5, first 2 shown]
	s_cbranch_scc1 .LBB58_505
.LBB58_506:
	s_waitcnt lgkmcnt(0)
	v_cmp_eq_f64_e32 vcc, 0, v[120:121]
	v_cmp_eq_f64_e64 s[0:1], 0, v[122:123]
	s_and_b64 s[0:1], vcc, s[0:1]
	s_and_saveexec_b64 s[16:17], s[0:1]
	s_xor_b64 s[0:1], exec, s[16:17]
; %bb.507:
	v_cmp_ne_u32_e32 vcc, 0, v134
	s_nop 1
	v_cndmask_b32_e32 v134, 25, v134, vcc
; %bb.508:
	s_andn2_saveexec_b64 s[0:1], s[0:1]
	s_cbranch_execz .LBB58_514
; %bb.509:
	v_cmp_ngt_f64_e64 s[16:17], |v[120:121]|, |v[122:123]|
	s_and_saveexec_b64 s[18:19], s[16:17]
	s_xor_b64 s[16:17], exec, s[18:19]
	s_cbranch_execz .LBB58_511
; %bb.510:
	v_div_scale_f64 v[136:137], s[18:19], v[122:123], v[122:123], v[120:121]
	v_rcp_f64_e32 v[138:139], v[136:137]
	v_div_scale_f64 v[140:141], vcc, v[120:121], v[122:123], v[120:121]
	v_fma_f64 v[142:143], -v[136:137], v[138:139], 1.0
	v_fmac_f64_e32 v[138:139], v[138:139], v[142:143]
	v_fma_f64 v[142:143], -v[136:137], v[138:139], 1.0
	v_fmac_f64_e32 v[138:139], v[138:139], v[142:143]
	v_mul_f64 v[142:143], v[140:141], v[138:139]
	v_fma_f64 v[136:137], -v[136:137], v[142:143], v[140:141]
	v_div_fmas_f64 v[136:137], v[136:137], v[138:139], v[142:143]
	v_div_fixup_f64 v[136:137], v[136:137], v[122:123], v[120:121]
	v_fmac_f64_e32 v[122:123], v[120:121], v[136:137]
	v_div_scale_f64 v[120:121], s[18:19], v[122:123], v[122:123], 1.0
	v_rcp_f64_e32 v[138:139], v[120:121]
	s_nop 0
	v_fma_f64 v[140:141], -v[120:121], v[138:139], 1.0
	v_fmac_f64_e32 v[138:139], v[138:139], v[140:141]
	v_fma_f64 v[140:141], -v[120:121], v[138:139], 1.0
	v_fmac_f64_e32 v[138:139], v[138:139], v[140:141]
	v_div_scale_f64 v[140:141], vcc, 1.0, v[122:123], 1.0
	v_mul_f64 v[142:143], v[140:141], v[138:139]
	v_fma_f64 v[120:121], -v[120:121], v[142:143], v[140:141]
	s_nop 1
	v_div_fmas_f64 v[120:121], v[120:121], v[138:139], v[142:143]
	v_div_fixup_f64 v[122:123], v[120:121], v[122:123], 1.0
	v_mul_f64 v[120:121], v[136:137], v[122:123]
	v_xor_b32_e32 v123, 0x80000000, v123
.LBB58_511:
	s_andn2_saveexec_b64 s[16:17], s[16:17]
	s_cbranch_execz .LBB58_513
; %bb.512:
	v_div_scale_f64 v[136:137], s[18:19], v[120:121], v[120:121], v[122:123]
	v_rcp_f64_e32 v[138:139], v[136:137]
	v_div_scale_f64 v[140:141], vcc, v[122:123], v[120:121], v[122:123]
	v_fma_f64 v[142:143], -v[136:137], v[138:139], 1.0
	v_fmac_f64_e32 v[138:139], v[138:139], v[142:143]
	v_fma_f64 v[142:143], -v[136:137], v[138:139], 1.0
	v_fmac_f64_e32 v[138:139], v[138:139], v[142:143]
	v_mul_f64 v[142:143], v[140:141], v[138:139]
	v_fma_f64 v[136:137], -v[136:137], v[142:143], v[140:141]
	v_div_fmas_f64 v[136:137], v[136:137], v[138:139], v[142:143]
	v_div_fixup_f64 v[136:137], v[136:137], v[120:121], v[122:123]
	v_fmac_f64_e32 v[120:121], v[122:123], v[136:137]
	v_div_scale_f64 v[122:123], s[18:19], v[120:121], v[120:121], 1.0
	v_rcp_f64_e32 v[138:139], v[122:123]
	s_nop 0
	v_fma_f64 v[140:141], -v[122:123], v[138:139], 1.0
	v_fmac_f64_e32 v[138:139], v[138:139], v[140:141]
	v_fma_f64 v[140:141], -v[122:123], v[138:139], 1.0
	v_fmac_f64_e32 v[138:139], v[138:139], v[140:141]
	v_div_scale_f64 v[140:141], vcc, 1.0, v[120:121], 1.0
	v_mul_f64 v[142:143], v[140:141], v[138:139]
	v_fma_f64 v[122:123], -v[122:123], v[142:143], v[140:141]
	s_nop 1
	v_div_fmas_f64 v[122:123], v[122:123], v[138:139], v[142:143]
	v_div_fixup_f64 v[120:121], v[122:123], v[120:121], 1.0
	v_mul_f64 v[122:123], v[136:137], -v[120:121]
.LBB58_513:
	s_or_b64 exec, exec, s[16:17]
.LBB58_514:
	s_or_b64 exec, exec, s[0:1]
	v_cmp_ne_u32_e32 vcc, v133, v130
	s_and_saveexec_b64 s[0:1], vcc
	s_xor_b64 s[0:1], exec, s[0:1]
	s_cbranch_execz .LBB58_520
; %bb.515:
	v_cmp_eq_u32_e32 vcc, 24, v133
	s_and_saveexec_b64 s[16:17], vcc
	s_cbranch_execz .LBB58_519
; %bb.516:
	v_cmp_ne_u32_e32 vcc, 24, v130
	s_xor_b64 s[18:19], s[14:15], -1
	s_and_b64 s[22:23], s[18:19], vcc
	s_and_saveexec_b64 s[18:19], s[22:23]
	s_cbranch_execz .LBB58_518
; %bb.517:
	v_ashrrev_i32_e32 v131, 31, v130
	v_lshl_add_u64 v[136:137], v[130:131], 2, v[128:129]
	global_load_dword v131, v[136:137], off
	global_load_dword v133, v[128:129], off offset:96
	s_waitcnt vmcnt(1)
	global_store_dword v[128:129], v131, off offset:96
	s_waitcnt vmcnt(1)
	global_store_dword v[136:137], v133, off
.LBB58_518:
	s_or_b64 exec, exec, s[18:19]
	v_mov_b32_e32 v133, v130
	v_mov_b32_e32 v135, v130
.LBB58_519:
	s_or_b64 exec, exec, s[16:17]
.LBB58_520:
	s_andn2_saveexec_b64 s[0:1], s[0:1]
	s_cbranch_execz .LBB58_522
; %bb.521:
	v_mov_b32_e32 v133, 24
	s_waitcnt vmcnt(4)
	ds_write2_b64 v132, v[12:13], v[14:15] offset0:50 offset1:51
	s_waitcnt vmcnt(3)
	ds_write2_b64 v132, v[8:9], v[10:11] offset0:52 offset1:53
	;; [unrolled: 2-line block ×5, first 2 shown]
.LBB58_522:
	s_or_b64 exec, exec, s[0:1]
	v_cmp_lt_i32_e32 vcc, 24, v133
	s_waitcnt lgkmcnt(0)
	s_barrier
	s_and_saveexec_b64 s[0:1], vcc
	s_cbranch_execz .LBB58_524
; %bb.523:
	ds_read2_b64 v[136:139], v132 offset0:50 offset1:51
	v_mul_f64 v[130:131], v[120:121], v[18:19]
	v_fmac_f64_e32 v[130:131], v[122:123], v[16:17]
	v_mul_f64 v[18:19], v[122:123], v[18:19]
	v_fma_f64 v[16:17], v[120:121], v[16:17], -v[18:19]
	ds_read2_b64 v[120:123], v132 offset0:52 offset1:53
	s_waitcnt lgkmcnt(1)
	v_mul_f64 v[18:19], v[138:139], v[130:131]
	v_fma_f64 v[18:19], v[136:137], v[16:17], -v[18:19]
	v_mul_f64 v[136:137], v[136:137], v[130:131]
	v_fmac_f64_e32 v[136:137], v[138:139], v[16:17]
	s_waitcnt vmcnt(4)
	v_add_f64 v[14:15], v[14:15], -v[136:137]
	ds_read2_b64 v[136:139], v132 offset0:54 offset1:55
	v_add_f64 v[12:13], v[12:13], -v[18:19]
	s_waitcnt lgkmcnt(1)
	v_mul_f64 v[18:19], v[122:123], v[130:131]
	v_fma_f64 v[18:19], v[120:121], v[16:17], -v[18:19]
	v_mul_f64 v[120:121], v[120:121], v[130:131]
	v_fmac_f64_e32 v[120:121], v[122:123], v[16:17]
	s_waitcnt vmcnt(3)
	v_add_f64 v[8:9], v[8:9], -v[18:19]
	v_add_f64 v[10:11], v[10:11], -v[120:121]
	ds_read2_b64 v[120:123], v132 offset0:56 offset1:57
	s_waitcnt lgkmcnt(1)
	v_mul_f64 v[18:19], v[138:139], v[130:131]
	v_fma_f64 v[18:19], v[136:137], v[16:17], -v[18:19]
	v_mul_f64 v[136:137], v[136:137], v[130:131]
	v_fmac_f64_e32 v[136:137], v[138:139], v[16:17]
	s_waitcnt vmcnt(2)
	v_add_f64 v[6:7], v[6:7], -v[136:137]
	ds_read2_b64 v[136:139], v132 offset0:58 offset1:59
	v_add_f64 v[4:5], v[4:5], -v[18:19]
	s_waitcnt lgkmcnt(1)
	v_mul_f64 v[18:19], v[122:123], v[130:131]
	v_fma_f64 v[18:19], v[120:121], v[16:17], -v[18:19]
	v_mul_f64 v[120:121], v[120:121], v[130:131]
	v_fmac_f64_e32 v[120:121], v[122:123], v[16:17]
	s_waitcnt vmcnt(1)
	v_add_f64 v[0:1], v[0:1], -v[18:19]
	v_add_f64 v[2:3], v[2:3], -v[120:121]
	s_waitcnt lgkmcnt(0)
	v_mul_f64 v[18:19], v[138:139], v[130:131]
	v_mul_f64 v[120:121], v[136:137], v[130:131]
	v_fma_f64 v[18:19], v[136:137], v[16:17], -v[18:19]
	v_fmac_f64_e32 v[120:121], v[138:139], v[16:17]
	s_waitcnt vmcnt(0)
	v_add_f64 v[116:117], v[116:117], -v[18:19]
	v_add_f64 v[118:119], v[118:119], -v[120:121]
	v_mov_b64_e32 v[18:19], v[130:131]
.LBB58_524:
	s_or_b64 exec, exec, s[0:1]
	v_lshl_add_u32 v120, v133, 4, v132
	s_barrier
	s_waitcnt vmcnt(4)
	ds_write2_b64 v120, v[12:13], v[14:15] offset1:1
	s_waitcnt lgkmcnt(0)
	s_barrier
	ds_read2_b64 v[120:123], v132 offset0:50 offset1:51
	s_cmp_lt_i32 s20, 27
	v_mov_b32_e32 v130, 25
	s_cbranch_scc1 .LBB58_527
; %bb.525:
	v_add_u32_e32 v131, 0x1a0, v132
	s_mov_b32 s16, 26
	v_mov_b32_e32 v130, 25
.LBB58_526:                             ; =>This Inner Loop Header: Depth=1
	ds_read2_b64 v[136:139], v131 offset1:1
	s_waitcnt lgkmcnt(1)
	v_xor_b32_e32 v141, 0x80000000, v121
	v_xor_b32_e32 v143, 0x80000000, v123
	v_cmp_gt_f64_e32 vcc, 0, v[122:123]
	v_cmp_gt_f64_e64 s[0:1], 0, v[120:121]
	v_mov_b32_e32 v140, v120
	v_mov_b32_e32 v142, v122
	v_cndmask_b32_e64 v141, v121, v141, s[0:1]
	v_cndmask_b32_e32 v143, v123, v143, vcc
	v_add_f64 v[140:141], v[140:141], v[142:143]
	s_waitcnt lgkmcnt(0)
	v_xor_b32_e32 v143, 0x80000000, v137
	v_xor_b32_e32 v145, 0x80000000, v139
	v_cmp_gt_f64_e32 vcc, 0, v[138:139]
	v_cmp_gt_f64_e64 s[0:1], 0, v[136:137]
	v_mov_b32_e32 v142, v136
	v_mov_b32_e32 v144, v138
	v_cndmask_b32_e64 v143, v137, v143, s[0:1]
	v_cndmask_b32_e32 v145, v139, v145, vcc
	v_add_f64 v[142:143], v[142:143], v[144:145]
	v_mov_b32_e32 v146, s16
	s_add_i32 s16, s16, 1
	v_cmp_lt_f64_e32 vcc, v[140:141], v[142:143]
	v_add_u32_e32 v131, 16, v131
	s_cmp_lg_u32 s20, s16
	v_cndmask_b32_e32 v121, v121, v137, vcc
	v_cndmask_b32_e32 v120, v120, v136, vcc
	;; [unrolled: 1-line block ×5, first 2 shown]
	s_cbranch_scc1 .LBB58_526
.LBB58_527:
	s_waitcnt lgkmcnt(0)
	v_cmp_eq_f64_e32 vcc, 0, v[120:121]
	v_cmp_eq_f64_e64 s[0:1], 0, v[122:123]
	s_and_b64 s[0:1], vcc, s[0:1]
	s_and_saveexec_b64 s[16:17], s[0:1]
	s_xor_b64 s[0:1], exec, s[16:17]
; %bb.528:
	v_cmp_ne_u32_e32 vcc, 0, v134
	s_nop 1
	v_cndmask_b32_e32 v134, 26, v134, vcc
; %bb.529:
	s_andn2_saveexec_b64 s[0:1], s[0:1]
	s_cbranch_execz .LBB58_535
; %bb.530:
	v_cmp_ngt_f64_e64 s[16:17], |v[120:121]|, |v[122:123]|
	s_and_saveexec_b64 s[18:19], s[16:17]
	s_xor_b64 s[16:17], exec, s[18:19]
	s_cbranch_execz .LBB58_532
; %bb.531:
	v_div_scale_f64 v[136:137], s[18:19], v[122:123], v[122:123], v[120:121]
	v_rcp_f64_e32 v[138:139], v[136:137]
	v_div_scale_f64 v[140:141], vcc, v[120:121], v[122:123], v[120:121]
	v_fma_f64 v[142:143], -v[136:137], v[138:139], 1.0
	v_fmac_f64_e32 v[138:139], v[138:139], v[142:143]
	v_fma_f64 v[142:143], -v[136:137], v[138:139], 1.0
	v_fmac_f64_e32 v[138:139], v[138:139], v[142:143]
	v_mul_f64 v[142:143], v[140:141], v[138:139]
	v_fma_f64 v[136:137], -v[136:137], v[142:143], v[140:141]
	v_div_fmas_f64 v[136:137], v[136:137], v[138:139], v[142:143]
	v_div_fixup_f64 v[136:137], v[136:137], v[122:123], v[120:121]
	v_fmac_f64_e32 v[122:123], v[120:121], v[136:137]
	v_div_scale_f64 v[120:121], s[18:19], v[122:123], v[122:123], 1.0
	v_rcp_f64_e32 v[138:139], v[120:121]
	s_nop 0
	v_fma_f64 v[140:141], -v[120:121], v[138:139], 1.0
	v_fmac_f64_e32 v[138:139], v[138:139], v[140:141]
	v_fma_f64 v[140:141], -v[120:121], v[138:139], 1.0
	v_fmac_f64_e32 v[138:139], v[138:139], v[140:141]
	v_div_scale_f64 v[140:141], vcc, 1.0, v[122:123], 1.0
	v_mul_f64 v[142:143], v[140:141], v[138:139]
	v_fma_f64 v[120:121], -v[120:121], v[142:143], v[140:141]
	s_nop 1
	v_div_fmas_f64 v[120:121], v[120:121], v[138:139], v[142:143]
	v_div_fixup_f64 v[122:123], v[120:121], v[122:123], 1.0
	v_mul_f64 v[120:121], v[136:137], v[122:123]
	v_xor_b32_e32 v123, 0x80000000, v123
.LBB58_532:
	s_andn2_saveexec_b64 s[16:17], s[16:17]
	s_cbranch_execz .LBB58_534
; %bb.533:
	v_div_scale_f64 v[136:137], s[18:19], v[120:121], v[120:121], v[122:123]
	v_rcp_f64_e32 v[138:139], v[136:137]
	v_div_scale_f64 v[140:141], vcc, v[122:123], v[120:121], v[122:123]
	v_fma_f64 v[142:143], -v[136:137], v[138:139], 1.0
	v_fmac_f64_e32 v[138:139], v[138:139], v[142:143]
	v_fma_f64 v[142:143], -v[136:137], v[138:139], 1.0
	v_fmac_f64_e32 v[138:139], v[138:139], v[142:143]
	v_mul_f64 v[142:143], v[140:141], v[138:139]
	v_fma_f64 v[136:137], -v[136:137], v[142:143], v[140:141]
	v_div_fmas_f64 v[136:137], v[136:137], v[138:139], v[142:143]
	v_div_fixup_f64 v[136:137], v[136:137], v[120:121], v[122:123]
	v_fmac_f64_e32 v[120:121], v[122:123], v[136:137]
	v_div_scale_f64 v[122:123], s[18:19], v[120:121], v[120:121], 1.0
	v_rcp_f64_e32 v[138:139], v[122:123]
	s_nop 0
	v_fma_f64 v[140:141], -v[122:123], v[138:139], 1.0
	v_fmac_f64_e32 v[138:139], v[138:139], v[140:141]
	v_fma_f64 v[140:141], -v[122:123], v[138:139], 1.0
	v_fmac_f64_e32 v[138:139], v[138:139], v[140:141]
	v_div_scale_f64 v[140:141], vcc, 1.0, v[120:121], 1.0
	v_mul_f64 v[142:143], v[140:141], v[138:139]
	v_fma_f64 v[122:123], -v[122:123], v[142:143], v[140:141]
	s_nop 1
	v_div_fmas_f64 v[122:123], v[122:123], v[138:139], v[142:143]
	v_div_fixup_f64 v[120:121], v[122:123], v[120:121], 1.0
	v_mul_f64 v[122:123], v[136:137], -v[120:121]
.LBB58_534:
	s_or_b64 exec, exec, s[16:17]
.LBB58_535:
	s_or_b64 exec, exec, s[0:1]
	v_cmp_ne_u32_e32 vcc, v133, v130
	s_and_saveexec_b64 s[0:1], vcc
	s_xor_b64 s[0:1], exec, s[0:1]
	s_cbranch_execz .LBB58_541
; %bb.536:
	v_cmp_eq_u32_e32 vcc, 25, v133
	s_and_saveexec_b64 s[16:17], vcc
	s_cbranch_execz .LBB58_540
; %bb.537:
	v_cmp_ne_u32_e32 vcc, 25, v130
	s_xor_b64 s[18:19], s[14:15], -1
	s_and_b64 s[22:23], s[18:19], vcc
	s_and_saveexec_b64 s[18:19], s[22:23]
	s_cbranch_execz .LBB58_539
; %bb.538:
	v_ashrrev_i32_e32 v131, 31, v130
	v_lshl_add_u64 v[136:137], v[130:131], 2, v[128:129]
	global_load_dword v131, v[136:137], off
	global_load_dword v133, v[128:129], off offset:100
	s_waitcnt vmcnt(1)
	global_store_dword v[128:129], v131, off offset:100
	s_waitcnt vmcnt(1)
	global_store_dword v[136:137], v133, off
.LBB58_539:
	s_or_b64 exec, exec, s[18:19]
	v_mov_b32_e32 v133, v130
	v_mov_b32_e32 v135, v130
.LBB58_540:
	s_or_b64 exec, exec, s[16:17]
.LBB58_541:
	s_andn2_saveexec_b64 s[0:1], s[0:1]
	s_cbranch_execz .LBB58_543
; %bb.542:
	v_mov_b32_e32 v133, 25
	s_waitcnt vmcnt(3)
	ds_write2_b64 v132, v[8:9], v[10:11] offset0:52 offset1:53
	s_waitcnt vmcnt(2)
	ds_write2_b64 v132, v[4:5], v[6:7] offset0:54 offset1:55
	;; [unrolled: 2-line block ×4, first 2 shown]
.LBB58_543:
	s_or_b64 exec, exec, s[0:1]
	v_cmp_lt_i32_e32 vcc, 25, v133
	s_waitcnt lgkmcnt(0)
	s_barrier
	s_and_saveexec_b64 s[0:1], vcc
	s_cbranch_execz .LBB58_545
; %bb.544:
	ds_read2_b64 v[136:139], v132 offset0:52 offset1:53
	v_mul_f64 v[130:131], v[120:121], v[14:15]
	v_mul_f64 v[14:15], v[122:123], v[14:15]
	v_fmac_f64_e32 v[130:131], v[122:123], v[12:13]
	v_fma_f64 v[12:13], v[120:121], v[12:13], -v[14:15]
	ds_read2_b64 v[120:123], v132 offset0:54 offset1:55
	s_waitcnt lgkmcnt(1)
	v_mul_f64 v[14:15], v[138:139], v[130:131]
	v_fma_f64 v[14:15], v[136:137], v[12:13], -v[14:15]
	v_mul_f64 v[136:137], v[136:137], v[130:131]
	v_fmac_f64_e32 v[136:137], v[138:139], v[12:13]
	s_waitcnt vmcnt(3)
	v_add_f64 v[8:9], v[8:9], -v[14:15]
	s_waitcnt lgkmcnt(0)
	v_mul_f64 v[14:15], v[122:123], v[130:131]
	v_add_f64 v[10:11], v[10:11], -v[136:137]
	v_fma_f64 v[14:15], v[120:121], v[12:13], -v[14:15]
	v_mul_f64 v[120:121], v[120:121], v[130:131]
	ds_read2_b64 v[136:139], v132 offset0:56 offset1:57
	v_fmac_f64_e32 v[120:121], v[122:123], v[12:13]
	s_waitcnt vmcnt(2)
	v_add_f64 v[6:7], v[6:7], -v[120:121]
	ds_read2_b64 v[120:123], v132 offset0:58 offset1:59
	v_add_f64 v[4:5], v[4:5], -v[14:15]
	s_waitcnt lgkmcnt(1)
	v_mul_f64 v[14:15], v[138:139], v[130:131]
	v_fma_f64 v[14:15], v[136:137], v[12:13], -v[14:15]
	s_waitcnt vmcnt(1)
	v_add_f64 v[0:1], v[0:1], -v[14:15]
	s_waitcnt lgkmcnt(0)
	v_mul_f64 v[14:15], v[122:123], v[130:131]
	v_mul_f64 v[136:137], v[136:137], v[130:131]
	v_fma_f64 v[14:15], v[120:121], v[12:13], -v[14:15]
	v_mul_f64 v[120:121], v[120:121], v[130:131]
	v_fmac_f64_e32 v[136:137], v[138:139], v[12:13]
	v_fmac_f64_e32 v[120:121], v[122:123], v[12:13]
	v_add_f64 v[2:3], v[2:3], -v[136:137]
	s_waitcnt vmcnt(0)
	v_add_f64 v[116:117], v[116:117], -v[14:15]
	v_add_f64 v[118:119], v[118:119], -v[120:121]
	v_mov_b64_e32 v[14:15], v[130:131]
.LBB58_545:
	s_or_b64 exec, exec, s[0:1]
	v_lshl_add_u32 v120, v133, 4, v132
	s_barrier
	s_waitcnt vmcnt(3)
	ds_write2_b64 v120, v[8:9], v[10:11] offset1:1
	s_waitcnt lgkmcnt(0)
	s_barrier
	ds_read2_b64 v[120:123], v132 offset0:52 offset1:53
	s_cmp_lt_i32 s20, 28
	v_mov_b32_e32 v130, 26
	s_cbranch_scc1 .LBB58_548
; %bb.546:
	v_add_u32_e32 v131, 0x1b0, v132
	s_mov_b32 s16, 27
	v_mov_b32_e32 v130, 26
.LBB58_547:                             ; =>This Inner Loop Header: Depth=1
	ds_read2_b64 v[136:139], v131 offset1:1
	s_waitcnt lgkmcnt(1)
	v_xor_b32_e32 v141, 0x80000000, v121
	v_xor_b32_e32 v143, 0x80000000, v123
	v_cmp_gt_f64_e32 vcc, 0, v[122:123]
	v_cmp_gt_f64_e64 s[0:1], 0, v[120:121]
	v_mov_b32_e32 v140, v120
	v_mov_b32_e32 v142, v122
	v_cndmask_b32_e64 v141, v121, v141, s[0:1]
	v_cndmask_b32_e32 v143, v123, v143, vcc
	v_add_f64 v[140:141], v[140:141], v[142:143]
	s_waitcnt lgkmcnt(0)
	v_xor_b32_e32 v143, 0x80000000, v137
	v_xor_b32_e32 v145, 0x80000000, v139
	v_cmp_gt_f64_e32 vcc, 0, v[138:139]
	v_cmp_gt_f64_e64 s[0:1], 0, v[136:137]
	v_mov_b32_e32 v142, v136
	v_mov_b32_e32 v144, v138
	v_cndmask_b32_e64 v143, v137, v143, s[0:1]
	v_cndmask_b32_e32 v145, v139, v145, vcc
	v_add_f64 v[142:143], v[142:143], v[144:145]
	v_mov_b32_e32 v146, s16
	s_add_i32 s16, s16, 1
	v_cmp_lt_f64_e32 vcc, v[140:141], v[142:143]
	v_add_u32_e32 v131, 16, v131
	s_cmp_lg_u32 s20, s16
	v_cndmask_b32_e32 v121, v121, v137, vcc
	v_cndmask_b32_e32 v120, v120, v136, vcc
	;; [unrolled: 1-line block ×5, first 2 shown]
	s_cbranch_scc1 .LBB58_547
.LBB58_548:
	s_waitcnt lgkmcnt(0)
	v_cmp_eq_f64_e32 vcc, 0, v[120:121]
	v_cmp_eq_f64_e64 s[0:1], 0, v[122:123]
	s_and_b64 s[0:1], vcc, s[0:1]
	s_and_saveexec_b64 s[16:17], s[0:1]
	s_xor_b64 s[0:1], exec, s[16:17]
; %bb.549:
	v_cmp_ne_u32_e32 vcc, 0, v134
	s_nop 1
	v_cndmask_b32_e32 v134, 27, v134, vcc
; %bb.550:
	s_andn2_saveexec_b64 s[0:1], s[0:1]
	s_cbranch_execz .LBB58_556
; %bb.551:
	v_cmp_ngt_f64_e64 s[16:17], |v[120:121]|, |v[122:123]|
	s_and_saveexec_b64 s[18:19], s[16:17]
	s_xor_b64 s[16:17], exec, s[18:19]
	s_cbranch_execz .LBB58_553
; %bb.552:
	v_div_scale_f64 v[136:137], s[18:19], v[122:123], v[122:123], v[120:121]
	v_rcp_f64_e32 v[138:139], v[136:137]
	v_div_scale_f64 v[140:141], vcc, v[120:121], v[122:123], v[120:121]
	v_fma_f64 v[142:143], -v[136:137], v[138:139], 1.0
	v_fmac_f64_e32 v[138:139], v[138:139], v[142:143]
	v_fma_f64 v[142:143], -v[136:137], v[138:139], 1.0
	v_fmac_f64_e32 v[138:139], v[138:139], v[142:143]
	v_mul_f64 v[142:143], v[140:141], v[138:139]
	v_fma_f64 v[136:137], -v[136:137], v[142:143], v[140:141]
	v_div_fmas_f64 v[136:137], v[136:137], v[138:139], v[142:143]
	v_div_fixup_f64 v[136:137], v[136:137], v[122:123], v[120:121]
	v_fmac_f64_e32 v[122:123], v[120:121], v[136:137]
	v_div_scale_f64 v[120:121], s[18:19], v[122:123], v[122:123], 1.0
	v_rcp_f64_e32 v[138:139], v[120:121]
	s_nop 0
	v_fma_f64 v[140:141], -v[120:121], v[138:139], 1.0
	v_fmac_f64_e32 v[138:139], v[138:139], v[140:141]
	v_fma_f64 v[140:141], -v[120:121], v[138:139], 1.0
	v_fmac_f64_e32 v[138:139], v[138:139], v[140:141]
	v_div_scale_f64 v[140:141], vcc, 1.0, v[122:123], 1.0
	v_mul_f64 v[142:143], v[140:141], v[138:139]
	v_fma_f64 v[120:121], -v[120:121], v[142:143], v[140:141]
	s_nop 1
	v_div_fmas_f64 v[120:121], v[120:121], v[138:139], v[142:143]
	v_div_fixup_f64 v[122:123], v[120:121], v[122:123], 1.0
	v_mul_f64 v[120:121], v[136:137], v[122:123]
	v_xor_b32_e32 v123, 0x80000000, v123
.LBB58_553:
	s_andn2_saveexec_b64 s[16:17], s[16:17]
	s_cbranch_execz .LBB58_555
; %bb.554:
	v_div_scale_f64 v[136:137], s[18:19], v[120:121], v[120:121], v[122:123]
	v_rcp_f64_e32 v[138:139], v[136:137]
	v_div_scale_f64 v[140:141], vcc, v[122:123], v[120:121], v[122:123]
	v_fma_f64 v[142:143], -v[136:137], v[138:139], 1.0
	v_fmac_f64_e32 v[138:139], v[138:139], v[142:143]
	v_fma_f64 v[142:143], -v[136:137], v[138:139], 1.0
	v_fmac_f64_e32 v[138:139], v[138:139], v[142:143]
	v_mul_f64 v[142:143], v[140:141], v[138:139]
	v_fma_f64 v[136:137], -v[136:137], v[142:143], v[140:141]
	v_div_fmas_f64 v[136:137], v[136:137], v[138:139], v[142:143]
	v_div_fixup_f64 v[136:137], v[136:137], v[120:121], v[122:123]
	v_fmac_f64_e32 v[120:121], v[122:123], v[136:137]
	v_div_scale_f64 v[122:123], s[18:19], v[120:121], v[120:121], 1.0
	v_rcp_f64_e32 v[138:139], v[122:123]
	s_nop 0
	v_fma_f64 v[140:141], -v[122:123], v[138:139], 1.0
	v_fmac_f64_e32 v[138:139], v[138:139], v[140:141]
	v_fma_f64 v[140:141], -v[122:123], v[138:139], 1.0
	v_fmac_f64_e32 v[138:139], v[138:139], v[140:141]
	v_div_scale_f64 v[140:141], vcc, 1.0, v[120:121], 1.0
	v_mul_f64 v[142:143], v[140:141], v[138:139]
	v_fma_f64 v[122:123], -v[122:123], v[142:143], v[140:141]
	s_nop 1
	v_div_fmas_f64 v[122:123], v[122:123], v[138:139], v[142:143]
	v_div_fixup_f64 v[120:121], v[122:123], v[120:121], 1.0
	v_mul_f64 v[122:123], v[136:137], -v[120:121]
.LBB58_555:
	s_or_b64 exec, exec, s[16:17]
.LBB58_556:
	s_or_b64 exec, exec, s[0:1]
	v_cmp_ne_u32_e32 vcc, v133, v130
	s_and_saveexec_b64 s[0:1], vcc
	s_xor_b64 s[0:1], exec, s[0:1]
	s_cbranch_execz .LBB58_562
; %bb.557:
	v_cmp_eq_u32_e32 vcc, 26, v133
	s_and_saveexec_b64 s[16:17], vcc
	s_cbranch_execz .LBB58_561
; %bb.558:
	v_cmp_ne_u32_e32 vcc, 26, v130
	s_xor_b64 s[18:19], s[14:15], -1
	s_and_b64 s[22:23], s[18:19], vcc
	s_and_saveexec_b64 s[18:19], s[22:23]
	s_cbranch_execz .LBB58_560
; %bb.559:
	v_ashrrev_i32_e32 v131, 31, v130
	v_lshl_add_u64 v[136:137], v[130:131], 2, v[128:129]
	global_load_dword v131, v[136:137], off
	global_load_dword v133, v[128:129], off offset:104
	s_waitcnt vmcnt(1)
	global_store_dword v[128:129], v131, off offset:104
	s_waitcnt vmcnt(1)
	global_store_dword v[136:137], v133, off
.LBB58_560:
	s_or_b64 exec, exec, s[18:19]
	v_mov_b32_e32 v133, v130
	v_mov_b32_e32 v135, v130
.LBB58_561:
	s_or_b64 exec, exec, s[16:17]
.LBB58_562:
	s_andn2_saveexec_b64 s[0:1], s[0:1]
	s_cbranch_execz .LBB58_564
; %bb.563:
	v_mov_b32_e32 v133, 26
	s_waitcnt vmcnt(2)
	ds_write2_b64 v132, v[4:5], v[6:7] offset0:54 offset1:55
	s_waitcnt vmcnt(1)
	ds_write2_b64 v132, v[0:1], v[2:3] offset0:56 offset1:57
	;; [unrolled: 2-line block ×3, first 2 shown]
.LBB58_564:
	s_or_b64 exec, exec, s[0:1]
	v_cmp_lt_i32_e32 vcc, 26, v133
	s_waitcnt lgkmcnt(0)
	s_barrier
	s_and_saveexec_b64 s[0:1], vcc
	s_cbranch_execz .LBB58_566
; %bb.565:
	ds_read2_b64 v[136:139], v132 offset0:54 offset1:55
	v_mul_f64 v[130:131], v[120:121], v[10:11]
	v_fmac_f64_e32 v[130:131], v[122:123], v[8:9]
	v_mul_f64 v[10:11], v[122:123], v[10:11]
	v_fma_f64 v[8:9], v[120:121], v[8:9], -v[10:11]
	ds_read2_b64 v[120:123], v132 offset0:56 offset1:57
	s_waitcnt lgkmcnt(1)
	v_mul_f64 v[10:11], v[138:139], v[130:131]
	v_fma_f64 v[10:11], v[136:137], v[8:9], -v[10:11]
	v_mul_f64 v[136:137], v[136:137], v[130:131]
	v_fmac_f64_e32 v[136:137], v[138:139], v[8:9]
	s_waitcnt vmcnt(2)
	v_add_f64 v[6:7], v[6:7], -v[136:137]
	ds_read2_b64 v[136:139], v132 offset0:58 offset1:59
	v_add_f64 v[4:5], v[4:5], -v[10:11]
	s_waitcnt lgkmcnt(1)
	v_mul_f64 v[10:11], v[122:123], v[130:131]
	v_fma_f64 v[10:11], v[120:121], v[8:9], -v[10:11]
	v_mul_f64 v[120:121], v[120:121], v[130:131]
	v_fmac_f64_e32 v[120:121], v[122:123], v[8:9]
	s_waitcnt vmcnt(1)
	v_add_f64 v[0:1], v[0:1], -v[10:11]
	v_add_f64 v[2:3], v[2:3], -v[120:121]
	s_waitcnt lgkmcnt(0)
	v_mul_f64 v[10:11], v[138:139], v[130:131]
	v_mul_f64 v[120:121], v[136:137], v[130:131]
	v_fma_f64 v[10:11], v[136:137], v[8:9], -v[10:11]
	v_fmac_f64_e32 v[120:121], v[138:139], v[8:9]
	s_waitcnt vmcnt(0)
	v_add_f64 v[116:117], v[116:117], -v[10:11]
	v_add_f64 v[118:119], v[118:119], -v[120:121]
	v_mov_b64_e32 v[10:11], v[130:131]
.LBB58_566:
	s_or_b64 exec, exec, s[0:1]
	v_lshl_add_u32 v120, v133, 4, v132
	s_barrier
	s_waitcnt vmcnt(2)
	ds_write2_b64 v120, v[4:5], v[6:7] offset1:1
	s_waitcnt lgkmcnt(0)
	s_barrier
	ds_read2_b64 v[120:123], v132 offset0:54 offset1:55
	s_cmp_lt_i32 s20, 29
	v_mov_b32_e32 v130, 27
	s_cbranch_scc1 .LBB58_569
; %bb.567:
	v_add_u32_e32 v131, 0x1c0, v132
	s_mov_b32 s16, 28
	v_mov_b32_e32 v130, 27
.LBB58_568:                             ; =>This Inner Loop Header: Depth=1
	ds_read2_b64 v[136:139], v131 offset1:1
	s_waitcnt lgkmcnt(1)
	v_xor_b32_e32 v141, 0x80000000, v121
	v_xor_b32_e32 v143, 0x80000000, v123
	v_cmp_gt_f64_e32 vcc, 0, v[122:123]
	v_cmp_gt_f64_e64 s[0:1], 0, v[120:121]
	v_mov_b32_e32 v140, v120
	v_mov_b32_e32 v142, v122
	v_cndmask_b32_e64 v141, v121, v141, s[0:1]
	v_cndmask_b32_e32 v143, v123, v143, vcc
	v_add_f64 v[140:141], v[140:141], v[142:143]
	s_waitcnt lgkmcnt(0)
	v_xor_b32_e32 v143, 0x80000000, v137
	v_xor_b32_e32 v145, 0x80000000, v139
	v_cmp_gt_f64_e32 vcc, 0, v[138:139]
	v_cmp_gt_f64_e64 s[0:1], 0, v[136:137]
	v_mov_b32_e32 v142, v136
	v_mov_b32_e32 v144, v138
	v_cndmask_b32_e64 v143, v137, v143, s[0:1]
	v_cndmask_b32_e32 v145, v139, v145, vcc
	v_add_f64 v[142:143], v[142:143], v[144:145]
	v_mov_b32_e32 v146, s16
	s_add_i32 s16, s16, 1
	v_cmp_lt_f64_e32 vcc, v[140:141], v[142:143]
	v_add_u32_e32 v131, 16, v131
	s_cmp_lg_u32 s20, s16
	v_cndmask_b32_e32 v121, v121, v137, vcc
	v_cndmask_b32_e32 v120, v120, v136, vcc
	;; [unrolled: 1-line block ×5, first 2 shown]
	s_cbranch_scc1 .LBB58_568
.LBB58_569:
	s_waitcnt lgkmcnt(0)
	v_cmp_eq_f64_e32 vcc, 0, v[120:121]
	v_cmp_eq_f64_e64 s[0:1], 0, v[122:123]
	s_and_b64 s[0:1], vcc, s[0:1]
	s_and_saveexec_b64 s[16:17], s[0:1]
	s_xor_b64 s[0:1], exec, s[16:17]
; %bb.570:
	v_cmp_ne_u32_e32 vcc, 0, v134
	s_nop 1
	v_cndmask_b32_e32 v134, 28, v134, vcc
; %bb.571:
	s_andn2_saveexec_b64 s[0:1], s[0:1]
	s_cbranch_execz .LBB58_577
; %bb.572:
	v_cmp_ngt_f64_e64 s[16:17], |v[120:121]|, |v[122:123]|
	s_and_saveexec_b64 s[18:19], s[16:17]
	s_xor_b64 s[16:17], exec, s[18:19]
	s_cbranch_execz .LBB58_574
; %bb.573:
	v_div_scale_f64 v[136:137], s[18:19], v[122:123], v[122:123], v[120:121]
	v_rcp_f64_e32 v[138:139], v[136:137]
	v_div_scale_f64 v[140:141], vcc, v[120:121], v[122:123], v[120:121]
	v_fma_f64 v[142:143], -v[136:137], v[138:139], 1.0
	v_fmac_f64_e32 v[138:139], v[138:139], v[142:143]
	v_fma_f64 v[142:143], -v[136:137], v[138:139], 1.0
	v_fmac_f64_e32 v[138:139], v[138:139], v[142:143]
	v_mul_f64 v[142:143], v[140:141], v[138:139]
	v_fma_f64 v[136:137], -v[136:137], v[142:143], v[140:141]
	v_div_fmas_f64 v[136:137], v[136:137], v[138:139], v[142:143]
	v_div_fixup_f64 v[136:137], v[136:137], v[122:123], v[120:121]
	v_fmac_f64_e32 v[122:123], v[120:121], v[136:137]
	v_div_scale_f64 v[120:121], s[18:19], v[122:123], v[122:123], 1.0
	v_rcp_f64_e32 v[138:139], v[120:121]
	s_nop 0
	v_fma_f64 v[140:141], -v[120:121], v[138:139], 1.0
	v_fmac_f64_e32 v[138:139], v[138:139], v[140:141]
	v_fma_f64 v[140:141], -v[120:121], v[138:139], 1.0
	v_fmac_f64_e32 v[138:139], v[138:139], v[140:141]
	v_div_scale_f64 v[140:141], vcc, 1.0, v[122:123], 1.0
	v_mul_f64 v[142:143], v[140:141], v[138:139]
	v_fma_f64 v[120:121], -v[120:121], v[142:143], v[140:141]
	s_nop 1
	v_div_fmas_f64 v[120:121], v[120:121], v[138:139], v[142:143]
	v_div_fixup_f64 v[122:123], v[120:121], v[122:123], 1.0
	v_mul_f64 v[120:121], v[136:137], v[122:123]
	v_xor_b32_e32 v123, 0x80000000, v123
.LBB58_574:
	s_andn2_saveexec_b64 s[16:17], s[16:17]
	s_cbranch_execz .LBB58_576
; %bb.575:
	v_div_scale_f64 v[136:137], s[18:19], v[120:121], v[120:121], v[122:123]
	v_rcp_f64_e32 v[138:139], v[136:137]
	v_div_scale_f64 v[140:141], vcc, v[122:123], v[120:121], v[122:123]
	v_fma_f64 v[142:143], -v[136:137], v[138:139], 1.0
	v_fmac_f64_e32 v[138:139], v[138:139], v[142:143]
	v_fma_f64 v[142:143], -v[136:137], v[138:139], 1.0
	v_fmac_f64_e32 v[138:139], v[138:139], v[142:143]
	v_mul_f64 v[142:143], v[140:141], v[138:139]
	v_fma_f64 v[136:137], -v[136:137], v[142:143], v[140:141]
	v_div_fmas_f64 v[136:137], v[136:137], v[138:139], v[142:143]
	v_div_fixup_f64 v[136:137], v[136:137], v[120:121], v[122:123]
	v_fmac_f64_e32 v[120:121], v[122:123], v[136:137]
	v_div_scale_f64 v[122:123], s[18:19], v[120:121], v[120:121], 1.0
	v_rcp_f64_e32 v[138:139], v[122:123]
	s_nop 0
	v_fma_f64 v[140:141], -v[122:123], v[138:139], 1.0
	v_fmac_f64_e32 v[138:139], v[138:139], v[140:141]
	v_fma_f64 v[140:141], -v[122:123], v[138:139], 1.0
	v_fmac_f64_e32 v[138:139], v[138:139], v[140:141]
	v_div_scale_f64 v[140:141], vcc, 1.0, v[120:121], 1.0
	v_mul_f64 v[142:143], v[140:141], v[138:139]
	v_fma_f64 v[122:123], -v[122:123], v[142:143], v[140:141]
	s_nop 1
	v_div_fmas_f64 v[122:123], v[122:123], v[138:139], v[142:143]
	v_div_fixup_f64 v[120:121], v[122:123], v[120:121], 1.0
	v_mul_f64 v[122:123], v[136:137], -v[120:121]
.LBB58_576:
	s_or_b64 exec, exec, s[16:17]
.LBB58_577:
	s_or_b64 exec, exec, s[0:1]
	v_cmp_ne_u32_e32 vcc, v133, v130
	s_and_saveexec_b64 s[0:1], vcc
	s_xor_b64 s[0:1], exec, s[0:1]
	s_cbranch_execz .LBB58_583
; %bb.578:
	v_cmp_eq_u32_e32 vcc, 27, v133
	s_and_saveexec_b64 s[16:17], vcc
	s_cbranch_execz .LBB58_582
; %bb.579:
	v_cmp_ne_u32_e32 vcc, 27, v130
	s_xor_b64 s[18:19], s[14:15], -1
	s_and_b64 s[22:23], s[18:19], vcc
	s_and_saveexec_b64 s[18:19], s[22:23]
	s_cbranch_execz .LBB58_581
; %bb.580:
	v_ashrrev_i32_e32 v131, 31, v130
	v_lshl_add_u64 v[136:137], v[130:131], 2, v[128:129]
	global_load_dword v131, v[136:137], off
	global_load_dword v133, v[128:129], off offset:108
	s_waitcnt vmcnt(1)
	global_store_dword v[128:129], v131, off offset:108
	s_waitcnt vmcnt(1)
	global_store_dword v[136:137], v133, off
.LBB58_581:
	s_or_b64 exec, exec, s[18:19]
	v_mov_b32_e32 v133, v130
	v_mov_b32_e32 v135, v130
.LBB58_582:
	s_or_b64 exec, exec, s[16:17]
.LBB58_583:
	s_andn2_saveexec_b64 s[0:1], s[0:1]
	s_cbranch_execz .LBB58_585
; %bb.584:
	v_mov_b32_e32 v133, 27
	s_waitcnt vmcnt(1)
	ds_write2_b64 v132, v[0:1], v[2:3] offset0:56 offset1:57
	s_waitcnt vmcnt(0)
	ds_write2_b64 v132, v[116:117], v[118:119] offset0:58 offset1:59
.LBB58_585:
	s_or_b64 exec, exec, s[0:1]
	v_cmp_lt_i32_e32 vcc, 27, v133
	s_waitcnt lgkmcnt(0)
	s_barrier
	s_and_saveexec_b64 s[0:1], vcc
	s_cbranch_execz .LBB58_587
; %bb.586:
	ds_read2_b64 v[136:139], v132 offset0:56 offset1:57
	v_mul_f64 v[130:131], v[120:121], v[6:7]
	v_mul_f64 v[6:7], v[122:123], v[6:7]
	v_fmac_f64_e32 v[130:131], v[122:123], v[4:5]
	v_fma_f64 v[4:5], v[120:121], v[4:5], -v[6:7]
	ds_read2_b64 v[120:123], v132 offset0:58 offset1:59
	s_waitcnt lgkmcnt(1)
	v_mul_f64 v[6:7], v[138:139], v[130:131]
	v_fma_f64 v[6:7], v[136:137], v[4:5], -v[6:7]
	s_waitcnt vmcnt(1)
	v_add_f64 v[0:1], v[0:1], -v[6:7]
	v_mul_f64 v[136:137], v[136:137], v[130:131]
	s_waitcnt lgkmcnt(0)
	v_mul_f64 v[6:7], v[122:123], v[130:131]
	v_fma_f64 v[6:7], v[120:121], v[4:5], -v[6:7]
	v_mul_f64 v[120:121], v[120:121], v[130:131]
	v_fmac_f64_e32 v[136:137], v[138:139], v[4:5]
	v_fmac_f64_e32 v[120:121], v[122:123], v[4:5]
	v_add_f64 v[2:3], v[2:3], -v[136:137]
	s_waitcnt vmcnt(0)
	v_add_f64 v[116:117], v[116:117], -v[6:7]
	v_add_f64 v[118:119], v[118:119], -v[120:121]
	v_mov_b64_e32 v[6:7], v[130:131]
.LBB58_587:
	s_or_b64 exec, exec, s[0:1]
	v_lshl_add_u32 v120, v133, 4, v132
	s_barrier
	s_waitcnt vmcnt(1)
	ds_write2_b64 v120, v[0:1], v[2:3] offset1:1
	s_waitcnt lgkmcnt(0)
	s_barrier
	ds_read2_b64 v[120:123], v132 offset0:56 offset1:57
	s_cmp_lt_i32 s20, 30
	v_mov_b32_e32 v130, 28
	s_cbranch_scc1 .LBB58_590
; %bb.588:
	v_add_u32_e32 v131, 0x1d0, v132
	s_mov_b32 s16, 29
	v_mov_b32_e32 v130, 28
.LBB58_589:                             ; =>This Inner Loop Header: Depth=1
	ds_read2_b64 v[136:139], v131 offset1:1
	s_waitcnt lgkmcnt(1)
	v_xor_b32_e32 v141, 0x80000000, v121
	v_xor_b32_e32 v143, 0x80000000, v123
	v_cmp_gt_f64_e32 vcc, 0, v[122:123]
	v_cmp_gt_f64_e64 s[0:1], 0, v[120:121]
	v_mov_b32_e32 v140, v120
	v_mov_b32_e32 v142, v122
	v_cndmask_b32_e64 v141, v121, v141, s[0:1]
	v_cndmask_b32_e32 v143, v123, v143, vcc
	v_add_f64 v[140:141], v[140:141], v[142:143]
	s_waitcnt lgkmcnt(0)
	v_xor_b32_e32 v143, 0x80000000, v137
	v_xor_b32_e32 v145, 0x80000000, v139
	v_cmp_gt_f64_e32 vcc, 0, v[138:139]
	v_cmp_gt_f64_e64 s[0:1], 0, v[136:137]
	v_mov_b32_e32 v142, v136
	v_mov_b32_e32 v144, v138
	v_cndmask_b32_e64 v143, v137, v143, s[0:1]
	v_cndmask_b32_e32 v145, v139, v145, vcc
	v_add_f64 v[142:143], v[142:143], v[144:145]
	v_mov_b32_e32 v146, s16
	s_add_i32 s16, s16, 1
	v_cmp_lt_f64_e32 vcc, v[140:141], v[142:143]
	v_add_u32_e32 v131, 16, v131
	s_cmp_lg_u32 s20, s16
	v_cndmask_b32_e32 v121, v121, v137, vcc
	v_cndmask_b32_e32 v120, v120, v136, vcc
	;; [unrolled: 1-line block ×5, first 2 shown]
	s_cbranch_scc1 .LBB58_589
.LBB58_590:
	s_waitcnt lgkmcnt(0)
	v_cmp_eq_f64_e32 vcc, 0, v[120:121]
	v_cmp_eq_f64_e64 s[0:1], 0, v[122:123]
	s_and_b64 s[0:1], vcc, s[0:1]
	s_and_saveexec_b64 s[16:17], s[0:1]
	s_xor_b64 s[0:1], exec, s[16:17]
; %bb.591:
	v_cmp_ne_u32_e32 vcc, 0, v134
	s_nop 1
	v_cndmask_b32_e32 v134, 29, v134, vcc
; %bb.592:
	s_andn2_saveexec_b64 s[0:1], s[0:1]
	s_cbranch_execz .LBB58_598
; %bb.593:
	v_cmp_ngt_f64_e64 s[16:17], |v[120:121]|, |v[122:123]|
	s_and_saveexec_b64 s[18:19], s[16:17]
	s_xor_b64 s[16:17], exec, s[18:19]
	s_cbranch_execz .LBB58_595
; %bb.594:
	v_div_scale_f64 v[136:137], s[18:19], v[122:123], v[122:123], v[120:121]
	v_rcp_f64_e32 v[138:139], v[136:137]
	v_div_scale_f64 v[140:141], vcc, v[120:121], v[122:123], v[120:121]
	v_fma_f64 v[142:143], -v[136:137], v[138:139], 1.0
	v_fmac_f64_e32 v[138:139], v[138:139], v[142:143]
	v_fma_f64 v[142:143], -v[136:137], v[138:139], 1.0
	v_fmac_f64_e32 v[138:139], v[138:139], v[142:143]
	v_mul_f64 v[142:143], v[140:141], v[138:139]
	v_fma_f64 v[136:137], -v[136:137], v[142:143], v[140:141]
	v_div_fmas_f64 v[136:137], v[136:137], v[138:139], v[142:143]
	v_div_fixup_f64 v[136:137], v[136:137], v[122:123], v[120:121]
	v_fmac_f64_e32 v[122:123], v[120:121], v[136:137]
	v_div_scale_f64 v[120:121], s[18:19], v[122:123], v[122:123], 1.0
	v_rcp_f64_e32 v[138:139], v[120:121]
	s_nop 0
	v_fma_f64 v[140:141], -v[120:121], v[138:139], 1.0
	v_fmac_f64_e32 v[138:139], v[138:139], v[140:141]
	v_fma_f64 v[140:141], -v[120:121], v[138:139], 1.0
	v_fmac_f64_e32 v[138:139], v[138:139], v[140:141]
	v_div_scale_f64 v[140:141], vcc, 1.0, v[122:123], 1.0
	v_mul_f64 v[142:143], v[140:141], v[138:139]
	v_fma_f64 v[120:121], -v[120:121], v[142:143], v[140:141]
	s_nop 1
	v_div_fmas_f64 v[120:121], v[120:121], v[138:139], v[142:143]
	v_div_fixup_f64 v[122:123], v[120:121], v[122:123], 1.0
	v_mul_f64 v[120:121], v[136:137], v[122:123]
	v_xor_b32_e32 v123, 0x80000000, v123
.LBB58_595:
	s_andn2_saveexec_b64 s[16:17], s[16:17]
	s_cbranch_execz .LBB58_597
; %bb.596:
	v_div_scale_f64 v[136:137], s[18:19], v[120:121], v[120:121], v[122:123]
	v_rcp_f64_e32 v[138:139], v[136:137]
	v_div_scale_f64 v[140:141], vcc, v[122:123], v[120:121], v[122:123]
	v_fma_f64 v[142:143], -v[136:137], v[138:139], 1.0
	v_fmac_f64_e32 v[138:139], v[138:139], v[142:143]
	v_fma_f64 v[142:143], -v[136:137], v[138:139], 1.0
	v_fmac_f64_e32 v[138:139], v[138:139], v[142:143]
	v_mul_f64 v[142:143], v[140:141], v[138:139]
	v_fma_f64 v[136:137], -v[136:137], v[142:143], v[140:141]
	v_div_fmas_f64 v[136:137], v[136:137], v[138:139], v[142:143]
	v_div_fixup_f64 v[136:137], v[136:137], v[120:121], v[122:123]
	v_fmac_f64_e32 v[120:121], v[122:123], v[136:137]
	v_div_scale_f64 v[122:123], s[18:19], v[120:121], v[120:121], 1.0
	v_rcp_f64_e32 v[138:139], v[122:123]
	s_nop 0
	v_fma_f64 v[140:141], -v[122:123], v[138:139], 1.0
	v_fmac_f64_e32 v[138:139], v[138:139], v[140:141]
	v_fma_f64 v[140:141], -v[122:123], v[138:139], 1.0
	v_fmac_f64_e32 v[138:139], v[138:139], v[140:141]
	v_div_scale_f64 v[140:141], vcc, 1.0, v[120:121], 1.0
	v_mul_f64 v[142:143], v[140:141], v[138:139]
	v_fma_f64 v[122:123], -v[122:123], v[142:143], v[140:141]
	s_nop 1
	v_div_fmas_f64 v[122:123], v[122:123], v[138:139], v[142:143]
	v_div_fixup_f64 v[120:121], v[122:123], v[120:121], 1.0
	v_mul_f64 v[122:123], v[136:137], -v[120:121]
.LBB58_597:
	s_or_b64 exec, exec, s[16:17]
.LBB58_598:
	s_or_b64 exec, exec, s[0:1]
	v_cmp_ne_u32_e32 vcc, v133, v130
	s_and_saveexec_b64 s[0:1], vcc
	s_xor_b64 s[0:1], exec, s[0:1]
	s_cbranch_execz .LBB58_604
; %bb.599:
	v_cmp_eq_u32_e32 vcc, 28, v133
	s_and_saveexec_b64 s[16:17], vcc
	s_cbranch_execz .LBB58_603
; %bb.600:
	v_cmp_ne_u32_e32 vcc, 28, v130
	s_xor_b64 s[18:19], s[14:15], -1
	s_and_b64 s[22:23], s[18:19], vcc
	s_and_saveexec_b64 s[18:19], s[22:23]
	s_cbranch_execz .LBB58_602
; %bb.601:
	v_ashrrev_i32_e32 v131, 31, v130
	v_lshl_add_u64 v[136:137], v[130:131], 2, v[128:129]
	global_load_dword v131, v[136:137], off
	global_load_dword v133, v[128:129], off offset:112
	s_waitcnt vmcnt(1)
	global_store_dword v[128:129], v131, off offset:112
	s_waitcnt vmcnt(1)
	global_store_dword v[136:137], v133, off
.LBB58_602:
	s_or_b64 exec, exec, s[18:19]
	v_mov_b32_e32 v133, v130
	v_mov_b32_e32 v135, v130
.LBB58_603:
	s_or_b64 exec, exec, s[16:17]
.LBB58_604:
	s_andn2_saveexec_b64 s[0:1], s[0:1]
	s_cbranch_execz .LBB58_606
; %bb.605:
	v_mov_b32_e32 v133, 28
	s_waitcnt vmcnt(0)
	ds_write2_b64 v132, v[116:117], v[118:119] offset0:58 offset1:59
.LBB58_606:
	s_or_b64 exec, exec, s[0:1]
	v_cmp_lt_i32_e32 vcc, 28, v133
	s_waitcnt lgkmcnt(0)
	s_barrier
	s_and_saveexec_b64 s[0:1], vcc
	s_cbranch_execz .LBB58_608
; %bb.607:
	ds_read2_b64 v[136:139], v132 offset0:58 offset1:59
	v_mul_f64 v[130:131], v[120:121], v[2:3]
	v_mul_f64 v[2:3], v[122:123], v[2:3]
	v_fmac_f64_e32 v[130:131], v[122:123], v[0:1]
	v_fma_f64 v[0:1], v[120:121], v[0:1], -v[2:3]
	s_waitcnt lgkmcnt(0)
	v_mul_f64 v[2:3], v[138:139], v[130:131]
	v_mul_f64 v[120:121], v[136:137], v[130:131]
	v_fma_f64 v[2:3], v[136:137], v[0:1], -v[2:3]
	v_fmac_f64_e32 v[120:121], v[138:139], v[0:1]
	s_waitcnt vmcnt(0)
	v_add_f64 v[116:117], v[116:117], -v[2:3]
	v_add_f64 v[118:119], v[118:119], -v[120:121]
	v_mov_b64_e32 v[2:3], v[130:131]
.LBB58_608:
	s_or_b64 exec, exec, s[0:1]
	v_lshl_add_u32 v120, v133, 4, v132
	s_barrier
	s_waitcnt vmcnt(0)
	ds_write2_b64 v120, v[116:117], v[118:119] offset1:1
	s_waitcnt lgkmcnt(0)
	s_barrier
	ds_read2_b64 v[120:123], v132 offset0:58 offset1:59
	s_cmp_lt_i32 s20, 31
	v_mov_b32_e32 v130, 29
	s_cbranch_scc1 .LBB58_611
; %bb.609:
	v_add_u32_e32 v131, 0x1e0, v132
	s_mov_b32 s16, 30
	v_mov_b32_e32 v130, 29
.LBB58_610:                             ; =>This Inner Loop Header: Depth=1
	ds_read2_b64 v[136:139], v131 offset1:1
	s_waitcnt lgkmcnt(1)
	v_xor_b32_e32 v132, 0x80000000, v121
	v_xor_b32_e32 v143, 0x80000000, v123
	v_cmp_gt_f64_e32 vcc, 0, v[122:123]
	v_cmp_gt_f64_e64 s[0:1], 0, v[120:121]
	v_mov_b32_e32 v140, v120
	v_mov_b32_e32 v142, v122
	v_cndmask_b32_e64 v141, v121, v132, s[0:1]
	v_cndmask_b32_e32 v143, v123, v143, vcc
	s_waitcnt lgkmcnt(0)
	v_xor_b32_e32 v132, 0x80000000, v137
	v_xor_b32_e32 v145, 0x80000000, v139
	v_cmp_gt_f64_e32 vcc, 0, v[138:139]
	v_cmp_gt_f64_e64 s[0:1], 0, v[136:137]
	v_add_f64 v[140:141], v[140:141], v[142:143]
	v_mov_b32_e32 v142, v136
	v_mov_b32_e32 v144, v138
	v_cndmask_b32_e64 v143, v137, v132, s[0:1]
	v_cndmask_b32_e32 v145, v139, v145, vcc
	v_add_f64 v[142:143], v[142:143], v[144:145]
	v_mov_b32_e32 v146, s16
	s_add_i32 s16, s16, 1
	v_cmp_lt_f64_e32 vcc, v[140:141], v[142:143]
	v_add_u32_e32 v131, 16, v131
	s_cmp_lg_u32 s20, s16
	v_cndmask_b32_e32 v121, v121, v137, vcc
	v_cndmask_b32_e32 v120, v120, v136, vcc
	;; [unrolled: 1-line block ×5, first 2 shown]
	s_cbranch_scc1 .LBB58_610
.LBB58_611:
	s_waitcnt lgkmcnt(0)
	v_cmp_eq_f64_e32 vcc, 0, v[120:121]
	v_cmp_eq_f64_e64 s[0:1], 0, v[122:123]
	s_and_b64 s[0:1], vcc, s[0:1]
	s_and_saveexec_b64 s[16:17], s[0:1]
	s_xor_b64 s[0:1], exec, s[16:17]
; %bb.612:
	v_cmp_ne_u32_e32 vcc, 0, v134
	s_nop 1
	v_cndmask_b32_e32 v134, 30, v134, vcc
; %bb.613:
	s_andn2_saveexec_b64 s[0:1], s[0:1]
	s_cbranch_execz .LBB58_619
; %bb.614:
	v_cmp_ngt_f64_e64 s[16:17], |v[120:121]|, |v[122:123]|
	s_and_saveexec_b64 s[18:19], s[16:17]
	s_xor_b64 s[16:17], exec, s[18:19]
	s_cbranch_execz .LBB58_616
; %bb.615:
	v_div_scale_f64 v[136:137], s[18:19], v[122:123], v[122:123], v[120:121]
	v_rcp_f64_e32 v[138:139], v[136:137]
	v_div_scale_f64 v[140:141], vcc, v[120:121], v[122:123], v[120:121]
	v_fma_f64 v[142:143], -v[136:137], v[138:139], 1.0
	v_fmac_f64_e32 v[138:139], v[138:139], v[142:143]
	v_fma_f64 v[142:143], -v[136:137], v[138:139], 1.0
	v_fmac_f64_e32 v[138:139], v[138:139], v[142:143]
	v_mul_f64 v[142:143], v[140:141], v[138:139]
	v_fma_f64 v[136:137], -v[136:137], v[142:143], v[140:141]
	v_div_fmas_f64 v[136:137], v[136:137], v[138:139], v[142:143]
	v_div_fixup_f64 v[136:137], v[136:137], v[122:123], v[120:121]
	v_fmac_f64_e32 v[122:123], v[120:121], v[136:137]
	v_div_scale_f64 v[120:121], s[18:19], v[122:123], v[122:123], 1.0
	v_rcp_f64_e32 v[138:139], v[120:121]
	s_nop 0
	v_fma_f64 v[140:141], -v[120:121], v[138:139], 1.0
	v_fmac_f64_e32 v[138:139], v[138:139], v[140:141]
	v_fma_f64 v[140:141], -v[120:121], v[138:139], 1.0
	v_fmac_f64_e32 v[138:139], v[138:139], v[140:141]
	v_div_scale_f64 v[140:141], vcc, 1.0, v[122:123], 1.0
	v_mul_f64 v[142:143], v[140:141], v[138:139]
	v_fma_f64 v[120:121], -v[120:121], v[142:143], v[140:141]
	s_nop 1
	v_div_fmas_f64 v[120:121], v[120:121], v[138:139], v[142:143]
	v_div_fixup_f64 v[122:123], v[120:121], v[122:123], 1.0
	v_mul_f64 v[120:121], v[136:137], v[122:123]
	v_xor_b32_e32 v123, 0x80000000, v123
.LBB58_616:
	s_andn2_saveexec_b64 s[16:17], s[16:17]
	s_cbranch_execz .LBB58_618
; %bb.617:
	v_div_scale_f64 v[136:137], s[18:19], v[120:121], v[120:121], v[122:123]
	v_rcp_f64_e32 v[138:139], v[136:137]
	v_div_scale_f64 v[140:141], vcc, v[122:123], v[120:121], v[122:123]
	v_fma_f64 v[142:143], -v[136:137], v[138:139], 1.0
	v_fmac_f64_e32 v[138:139], v[138:139], v[142:143]
	v_fma_f64 v[142:143], -v[136:137], v[138:139], 1.0
	v_fmac_f64_e32 v[138:139], v[138:139], v[142:143]
	v_mul_f64 v[142:143], v[140:141], v[138:139]
	v_fma_f64 v[136:137], -v[136:137], v[142:143], v[140:141]
	v_div_fmas_f64 v[136:137], v[136:137], v[138:139], v[142:143]
	v_div_fixup_f64 v[136:137], v[136:137], v[120:121], v[122:123]
	v_fmac_f64_e32 v[120:121], v[122:123], v[136:137]
	v_div_scale_f64 v[122:123], s[18:19], v[120:121], v[120:121], 1.0
	v_rcp_f64_e32 v[138:139], v[122:123]
	s_nop 0
	v_fma_f64 v[140:141], -v[122:123], v[138:139], 1.0
	v_fmac_f64_e32 v[138:139], v[138:139], v[140:141]
	v_fma_f64 v[140:141], -v[122:123], v[138:139], 1.0
	v_fmac_f64_e32 v[138:139], v[138:139], v[140:141]
	v_div_scale_f64 v[140:141], vcc, 1.0, v[120:121], 1.0
	v_mul_f64 v[142:143], v[140:141], v[138:139]
	v_fma_f64 v[122:123], -v[122:123], v[142:143], v[140:141]
	s_nop 1
	v_div_fmas_f64 v[122:123], v[122:123], v[138:139], v[142:143]
	v_div_fixup_f64 v[120:121], v[122:123], v[120:121], 1.0
	v_mul_f64 v[122:123], v[136:137], -v[120:121]
.LBB58_618:
	s_or_b64 exec, exec, s[16:17]
.LBB58_619:
	s_or_b64 exec, exec, s[0:1]
	v_cmp_ne_u32_e32 vcc, v133, v130
	v_mov_b32_e32 v132, 29
	s_and_saveexec_b64 s[0:1], vcc
	s_cbranch_execz .LBB58_625
; %bb.620:
	v_cmp_eq_u32_e32 vcc, 29, v133
	s_and_saveexec_b64 s[16:17], vcc
	s_cbranch_execz .LBB58_624
; %bb.621:
	v_cmp_ne_u32_e32 vcc, 29, v130
	s_xor_b64 s[14:15], s[14:15], -1
	s_and_b64 s[18:19], s[14:15], vcc
	s_and_saveexec_b64 s[14:15], s[18:19]
	s_cbranch_execz .LBB58_623
; %bb.622:
	v_ashrrev_i32_e32 v131, 31, v130
	v_lshl_add_u64 v[132:133], v[130:131], 2, v[128:129]
	global_load_dword v131, v[132:133], off
	global_load_dword v135, v[128:129], off offset:116
	s_waitcnt vmcnt(1)
	global_store_dword v[128:129], v131, off offset:116
	s_waitcnt vmcnt(1)
	global_store_dword v[132:133], v135, off
.LBB58_623:
	s_or_b64 exec, exec, s[14:15]
	v_mov_b32_e32 v133, v130
	v_mov_b32_e32 v135, v130
.LBB58_624:
	s_or_b64 exec, exec, s[16:17]
	v_mov_b32_e32 v132, v133
.LBB58_625:
	s_or_b64 exec, exec, s[0:1]
	v_cmp_gt_i32_e32 vcc, 30, v132
	v_ashrrev_i32_e32 v133, 31, v132
	s_barrier
	s_barrier
	s_and_saveexec_b64 s[0:1], vcc
	s_cbranch_execz .LBB58_627
; %bb.626:
	v_mov_b32_e32 v128, s6
	v_mov_b32_e32 v129, s7
	v_mul_lo_u32 v136, s11, v126
	v_mul_lo_u32 v137, s10, v127
	v_mad_u64_u32 v[130:131], s[6:7], s10, v126, 0
	v_add3_u32 v131, v131, v137, v136
	v_lshl_add_u64 v[128:129], v[130:131], 2, v[128:129]
	v_lshl_add_u64 v[128:129], s[8:9], 2, v[128:129]
	;; [unrolled: 1-line block ×3, first 2 shown]
	v_add3_u32 v130, v135, s13, 1
	global_store_dword v[128:129], v130, off
.LBB58_627:
	s_or_b64 exec, exec, s[0:1]
	v_cmp_eq_u32_e32 vcc, 0, v132
	s_and_saveexec_b64 s[6:7], vcc
	s_cbranch_execz .LBB58_630
; %bb.628:
	v_mov_b32_e32 v128, s4
	v_mov_b32_e32 v129, s5
	v_lshl_add_u64 v[126:127], v[126:127], 2, v[128:129]
	global_load_dword v128, v[126:127], off
	v_cmp_ne_u32_e64 s[0:1], 0, v134
	s_waitcnt vmcnt(0)
	v_cmp_eq_u32_e32 vcc, 0, v128
	s_and_b64 s[0:1], vcc, s[0:1]
	s_and_b64 exec, exec, s[0:1]
	s_cbranch_execz .LBB58_630
; %bb.629:
	v_add_u32_e32 v128, s13, v134
	global_store_dword v[126:127], v128, off
.LBB58_630:
	s_or_b64 exec, exec, s[6:7]
	v_mul_f64 v[126:127], v[122:123], v[118:119]
	v_fma_f64 v[126:127], v[120:121], v[116:117], -v[126:127]
	v_mul_f64 v[120:121], v[120:121], v[118:119]
	v_fmac_f64_e32 v[120:121], v[122:123], v[116:117]
	v_cmp_lt_i32_e32 vcc, 29, v132
	s_nop 1
	v_cndmask_b32_e32 v119, v119, v121, vcc
	v_cndmask_b32_e32 v118, v118, v120, vcc
	v_lshl_add_u64 v[120:121], v[132:133], 4, v[124:125]
	global_store_dwordx4 v[120:121], v[84:87], off
	v_cndmask_b32_e32 v117, v117, v127, vcc
	v_cndmask_b32_e32 v116, v116, v126, vcc
	v_lshl_add_u64 v[84:85], s[2:3], 4, v[120:121]
	global_store_dwordx4 v[84:85], v[76:79], off
	s_nop 1
	v_add_u32_e32 v76, s12, v132
	v_ashrrev_i32_e32 v77, 31, v76
	v_lshl_add_u64 v[78:79], v[76:77], 4, v[124:125]
	v_add_u32_e32 v76, s2, v76
	v_ashrrev_i32_e32 v77, 31, v76
	global_store_dwordx4 v[78:79], v[112:115], off
	v_lshl_add_u64 v[78:79], v[76:77], 4, v[124:125]
	v_add_u32_e32 v76, s2, v76
	v_ashrrev_i32_e32 v77, 31, v76
	global_store_dwordx4 v[78:79], v[108:111], off
	;; [unrolled: 4-line block ×8, first 2 shown]
	v_lshl_add_u64 v[78:79], v[76:77], 4, v[124:125]
	global_store_dwordx4 v[78:79], v[72:75], off
	s_nop 1
	v_add_u32_e32 v72, s2, v76
	v_ashrrev_i32_e32 v73, 31, v72
	v_lshl_add_u64 v[74:75], v[72:73], 4, v[124:125]
	global_store_dwordx4 v[74:75], v[68:71], off
	s_nop 1
	v_add_u32_e32 v68, s2, v72
	v_ashrrev_i32_e32 v69, 31, v68
	;; [unrolled: 5-line block ×5, first 2 shown]
	v_lshl_add_u64 v[54:55], v[52:53], 4, v[124:125]
	v_add_u32_e32 v52, s2, v52
	v_ashrrev_i32_e32 v53, 31, v52
	global_store_dwordx4 v[54:55], v[56:59], off
	v_lshl_add_u64 v[54:55], v[52:53], 4, v[124:125]
	global_store_dwordx4 v[54:55], v[48:51], off
	s_nop 1
	v_add_u32_e32 v48, s2, v52
	v_ashrrev_i32_e32 v49, 31, v48
	v_lshl_add_u64 v[50:51], v[48:49], 4, v[124:125]
	global_store_dwordx4 v[50:51], v[44:47], off
	s_nop 1
	v_add_u32_e32 v44, s2, v48
	v_ashrrev_i32_e32 v45, 31, v44
	;; [unrolled: 5-line block ×13, first 2 shown]
	v_lshl_add_u64 v[0:1], v[0:1], 4, v[124:125]
	global_store_dwordx4 v[0:1], v[116:119], off
.LBB58_631:
	s_endpgm
	.section	.rodata,"a",@progbits
	.p2align	6, 0x0
	.amdhsa_kernel _ZN9rocsolver6v33100L18getf2_small_kernelILi30E19rocblas_complex_numIdEiiPS3_EEvT1_T3_lS5_lPS5_llPT2_S5_S5_S7_l
		.amdhsa_group_segment_fixed_size 0
		.amdhsa_private_segment_fixed_size 0
		.amdhsa_kernarg_size 352
		.amdhsa_user_sgpr_count 2
		.amdhsa_user_sgpr_dispatch_ptr 0
		.amdhsa_user_sgpr_queue_ptr 0
		.amdhsa_user_sgpr_kernarg_segment_ptr 1
		.amdhsa_user_sgpr_dispatch_id 0
		.amdhsa_user_sgpr_kernarg_preload_length 0
		.amdhsa_user_sgpr_kernarg_preload_offset 0
		.amdhsa_user_sgpr_private_segment_size 0
		.amdhsa_uses_dynamic_stack 0
		.amdhsa_enable_private_segment 0
		.amdhsa_system_sgpr_workgroup_id_x 1
		.amdhsa_system_sgpr_workgroup_id_y 1
		.amdhsa_system_sgpr_workgroup_id_z 0
		.amdhsa_system_sgpr_workgroup_info 0
		.amdhsa_system_vgpr_workitem_id 1
		.amdhsa_next_free_vgpr 156
		.amdhsa_next_free_sgpr 24
		.amdhsa_accum_offset 156
		.amdhsa_reserve_vcc 1
		.amdhsa_float_round_mode_32 0
		.amdhsa_float_round_mode_16_64 0
		.amdhsa_float_denorm_mode_32 3
		.amdhsa_float_denorm_mode_16_64 3
		.amdhsa_dx10_clamp 1
		.amdhsa_ieee_mode 1
		.amdhsa_fp16_overflow 0
		.amdhsa_tg_split 0
		.amdhsa_exception_fp_ieee_invalid_op 0
		.amdhsa_exception_fp_denorm_src 0
		.amdhsa_exception_fp_ieee_div_zero 0
		.amdhsa_exception_fp_ieee_overflow 0
		.amdhsa_exception_fp_ieee_underflow 0
		.amdhsa_exception_fp_ieee_inexact 0
		.amdhsa_exception_int_div_zero 0
	.end_amdhsa_kernel
	.section	.text._ZN9rocsolver6v33100L18getf2_small_kernelILi30E19rocblas_complex_numIdEiiPS3_EEvT1_T3_lS5_lPS5_llPT2_S5_S5_S7_l,"axG",@progbits,_ZN9rocsolver6v33100L18getf2_small_kernelILi30E19rocblas_complex_numIdEiiPS3_EEvT1_T3_lS5_lPS5_llPT2_S5_S5_S7_l,comdat
.Lfunc_end58:
	.size	_ZN9rocsolver6v33100L18getf2_small_kernelILi30E19rocblas_complex_numIdEiiPS3_EEvT1_T3_lS5_lPS5_llPT2_S5_S5_S7_l, .Lfunc_end58-_ZN9rocsolver6v33100L18getf2_small_kernelILi30E19rocblas_complex_numIdEiiPS3_EEvT1_T3_lS5_lPS5_llPT2_S5_S5_S7_l
                                        ; -- End function
	.set _ZN9rocsolver6v33100L18getf2_small_kernelILi30E19rocblas_complex_numIdEiiPS3_EEvT1_T3_lS5_lPS5_llPT2_S5_S5_S7_l.num_vgpr, 156
	.set _ZN9rocsolver6v33100L18getf2_small_kernelILi30E19rocblas_complex_numIdEiiPS3_EEvT1_T3_lS5_lPS5_llPT2_S5_S5_S7_l.num_agpr, 0
	.set _ZN9rocsolver6v33100L18getf2_small_kernelILi30E19rocblas_complex_numIdEiiPS3_EEvT1_T3_lS5_lPS5_llPT2_S5_S5_S7_l.numbered_sgpr, 24
	.set _ZN9rocsolver6v33100L18getf2_small_kernelILi30E19rocblas_complex_numIdEiiPS3_EEvT1_T3_lS5_lPS5_llPT2_S5_S5_S7_l.num_named_barrier, 0
	.set _ZN9rocsolver6v33100L18getf2_small_kernelILi30E19rocblas_complex_numIdEiiPS3_EEvT1_T3_lS5_lPS5_llPT2_S5_S5_S7_l.private_seg_size, 0
	.set _ZN9rocsolver6v33100L18getf2_small_kernelILi30E19rocblas_complex_numIdEiiPS3_EEvT1_T3_lS5_lPS5_llPT2_S5_S5_S7_l.uses_vcc, 1
	.set _ZN9rocsolver6v33100L18getf2_small_kernelILi30E19rocblas_complex_numIdEiiPS3_EEvT1_T3_lS5_lPS5_llPT2_S5_S5_S7_l.uses_flat_scratch, 0
	.set _ZN9rocsolver6v33100L18getf2_small_kernelILi30E19rocblas_complex_numIdEiiPS3_EEvT1_T3_lS5_lPS5_llPT2_S5_S5_S7_l.has_dyn_sized_stack, 0
	.set _ZN9rocsolver6v33100L18getf2_small_kernelILi30E19rocblas_complex_numIdEiiPS3_EEvT1_T3_lS5_lPS5_llPT2_S5_S5_S7_l.has_recursion, 0
	.set _ZN9rocsolver6v33100L18getf2_small_kernelILi30E19rocblas_complex_numIdEiiPS3_EEvT1_T3_lS5_lPS5_llPT2_S5_S5_S7_l.has_indirect_call, 0
	.section	.AMDGPU.csdata,"",@progbits
; Kernel info:
; codeLenInByte = 59156
; TotalNumSgprs: 30
; NumVgprs: 156
; NumAgprs: 0
; TotalNumVgprs: 156
; ScratchSize: 0
; MemoryBound: 0
; FloatMode: 240
; IeeeMode: 1
; LDSByteSize: 0 bytes/workgroup (compile time only)
; SGPRBlocks: 3
; VGPRBlocks: 19
; NumSGPRsForWavesPerEU: 30
; NumVGPRsForWavesPerEU: 156
; AccumOffset: 156
; Occupancy: 3
; WaveLimiterHint : 0
; COMPUTE_PGM_RSRC2:SCRATCH_EN: 0
; COMPUTE_PGM_RSRC2:USER_SGPR: 2
; COMPUTE_PGM_RSRC2:TRAP_HANDLER: 0
; COMPUTE_PGM_RSRC2:TGID_X_EN: 1
; COMPUTE_PGM_RSRC2:TGID_Y_EN: 1
; COMPUTE_PGM_RSRC2:TGID_Z_EN: 0
; COMPUTE_PGM_RSRC2:TIDIG_COMP_CNT: 1
; COMPUTE_PGM_RSRC3_GFX90A:ACCUM_OFFSET: 38
; COMPUTE_PGM_RSRC3_GFX90A:TG_SPLIT: 0
	.section	.text._ZN9rocsolver6v33100L23getf2_npvt_small_kernelILi30E19rocblas_complex_numIdEiiPS3_EEvT1_T3_lS5_lPT2_S5_S5_,"axG",@progbits,_ZN9rocsolver6v33100L23getf2_npvt_small_kernelILi30E19rocblas_complex_numIdEiiPS3_EEvT1_T3_lS5_lPT2_S5_S5_,comdat
	.globl	_ZN9rocsolver6v33100L23getf2_npvt_small_kernelILi30E19rocblas_complex_numIdEiiPS3_EEvT1_T3_lS5_lPT2_S5_S5_ ; -- Begin function _ZN9rocsolver6v33100L23getf2_npvt_small_kernelILi30E19rocblas_complex_numIdEiiPS3_EEvT1_T3_lS5_lPT2_S5_S5_
	.p2align	8
	.type	_ZN9rocsolver6v33100L23getf2_npvt_small_kernelILi30E19rocblas_complex_numIdEiiPS3_EEvT1_T3_lS5_lPT2_S5_S5_,@function
_ZN9rocsolver6v33100L23getf2_npvt_small_kernelILi30E19rocblas_complex_numIdEiiPS3_EEvT1_T3_lS5_lPT2_S5_S5_: ; @_ZN9rocsolver6v33100L23getf2_npvt_small_kernelILi30E19rocblas_complex_numIdEiiPS3_EEvT1_T3_lS5_lPT2_S5_S5_
; %bb.0:
	s_load_dword s2, s[0:1], 0x44
	s_load_dwordx2 s[8:9], s[0:1], 0x30
	v_bfe_u32 v120, v0, 10, 10
	s_waitcnt lgkmcnt(0)
	s_lshr_b32 s10, s2, 16
	s_mul_i32 s3, s3, s10
	v_add_u32_e32 v4, s3, v120
	v_mov_b32_e32 v2, v4
	v_cmp_gt_i32_e32 vcc, s8, v4
	s_and_saveexec_b64 s[2:3], vcc
	s_cbranch_execz .LBB59_273
; %bb.1:
	s_load_dwordx4 s[12:15], s[0:1], 0x8
	s_load_dword s2, s[0:1], 0x18
	s_load_dwordx4 s[4:7], s[0:1], 0x20
	v_ashrrev_i32_e32 v3, 31, v2
	scratch_store_dwordx2 off, v[2:3], off offset:240 ; 8-byte Folded Spill
	v_and_b32_e32 v240, 0x3ff, v0
	s_waitcnt lgkmcnt(0)
	v_mov_b32_e32 v0, s12
	v_mul_lo_u32 v4, s5, v2
	v_mul_lo_u32 v5, s4, v3
	v_mad_u64_u32 v[2:3], s[0:1], s4, v2, 0
	v_mov_b32_e32 v1, s13
	v_add3_u32 v3, v3, v5, v4
	v_lshl_add_u64 v[0:1], v[2:3], 4, v[0:1]
	v_lshl_add_u64 v[0:1], s[14:15], 4, v[0:1]
	v_lshlrev_b32_e32 v2, 4, v240
	v_mov_b32_e32 v3, 0
	v_lshl_add_u64 v[252:253], v[0:1], 0, v[2:3]
	global_load_dwordx4 v[40:43], v[252:253], off
	s_add_i32 s0, s2, s2
	v_add_u32_e32 v2, s0, v240
	v_ashrrev_i32_e32 v3, 31, v2
	v_lshl_add_u64 v[36:37], v[2:3], 4, v[0:1]
	v_add_u32_e32 v2, s2, v2
	v_ashrrev_i32_e32 v3, 31, v2
	v_lshl_add_u64 v[38:39], v[2:3], 4, v[0:1]
	;; [unrolled: 3-line block ×27, first 2 shown]
	v_add_u32_e32 v2, s2, v2
	v_ashrrev_i32_e32 v3, 31, v2
	s_ashr_i32 s3, s2, 31
	v_lshl_add_u64 v[134:135], v[2:3], 4, v[0:1]
	v_lshl_add_u64 v[0:1], s[2:3], 4, v[252:253]
	s_waitcnt vmcnt(0)
	scratch_store_dwordx4 off, v[40:43], off ; 16-byte Folded Spill
	scratch_store_dwordx2 off, v[0:1], off offset:216 ; 8-byte Folded Spill
	scratch_store_dwordx2 off, v[36:37], off offset:232 ; 8-byte Folded Spill
	;; [unrolled: 1-line block ×3, first 2 shown]
	global_load_dwordx4 v[108:111], v[0:1], off
	global_load_dwordx4 v[104:107], v[36:37], off
	;; [unrolled: 1-line block ×20, first 2 shown]
	s_mulk_i32 s10, 0x1e0
	scratch_store_dwordx2 off, v[4:5], off offset:16 ; 8-byte Folded Spill
	scratch_store_dwordx2 off, v[6:7], off offset:24 ; 8-byte Folded Spill
	;; [unrolled: 1-line block ×17, first 2 shown]
	global_load_dwordx4 v[28:31], v[116:117], off
	s_movk_i32 s0, 0x1e0
	global_load_dwordx4 v[32:35], v[34:35], off
	s_add_i32 s1, s10, 0
	scratch_store_dwordx2 off, v[118:119], off offset:152 ; 8-byte Folded Spill
	global_load_dwordx4 v[24:27], v[118:119], off
	global_load_dwordx4 v[20:23], v[122:123], off
	;; [unrolled: 1-line block ×7, first 2 shown]
	v_mad_u32_u24 v254, v120, s0, 0
	v_lshl_add_u32 v241, v120, 4, s1
	v_cmp_ne_u32_e64 s[2:3], 0, v240
	v_cmp_eq_u32_e64 s[0:1], 0, v240
	scratch_store_dwordx2 off, v[122:123], off offset:160 ; 8-byte Folded Spill
	scratch_store_dwordx2 off, v[124:125], off offset:168 ; 8-byte Folded Spill
	;; [unrolled: 1-line block ×7, first 2 shown]
	s_and_saveexec_b64 s[10:11], s[0:1]
	s_cbranch_execz .LBB59_8
; %bb.2:
	scratch_load_dwordx4 v[112:115], off, off ; 16-byte Folded Reload
	s_waitcnt vmcnt(0)
	ds_write2_b64 v241, v[112:113], v[114:115] offset1:1
	ds_write2_b64 v254, v[108:109], v[110:111] offset0:2 offset1:3
	ds_write2_b64 v254, v[104:105], v[106:107] offset0:4 offset1:5
	;; [unrolled: 1-line block ×29, first 2 shown]
	ds_read2_b64 v[120:123], v241 offset1:1
	s_waitcnt lgkmcnt(0)
	v_cmp_neq_f64_e32 vcc, 0, v[120:121]
	v_cmp_neq_f64_e64 s[4:5], 0, v[122:123]
	s_or_b64 s[4:5], vcc, s[4:5]
	s_and_b64 exec, exec, s[4:5]
	s_cbranch_execz .LBB59_8
; %bb.3:
	v_cmp_ngt_f64_e64 s[4:5], |v[120:121]|, |v[122:123]|
                                        ; implicit-def: $vgpr124_vgpr125
	s_and_saveexec_b64 s[12:13], s[4:5]
	s_xor_b64 s[4:5], exec, s[12:13]
                                        ; implicit-def: $vgpr126_vgpr127
	s_cbranch_execz .LBB59_5
; %bb.4:
	v_div_scale_f64 v[124:125], s[12:13], v[122:123], v[122:123], v[120:121]
	v_rcp_f64_e32 v[126:127], v[124:125]
	v_div_scale_f64 v[128:129], vcc, v[120:121], v[122:123], v[120:121]
	v_fma_f64 v[130:131], -v[124:125], v[126:127], 1.0
	v_fmac_f64_e32 v[126:127], v[126:127], v[130:131]
	v_fma_f64 v[130:131], -v[124:125], v[126:127], 1.0
	v_fmac_f64_e32 v[126:127], v[126:127], v[130:131]
	v_mul_f64 v[130:131], v[128:129], v[126:127]
	v_fma_f64 v[124:125], -v[124:125], v[130:131], v[128:129]
	v_div_fmas_f64 v[124:125], v[124:125], v[126:127], v[130:131]
	v_div_fixup_f64 v[124:125], v[124:125], v[122:123], v[120:121]
	v_fmac_f64_e32 v[122:123], v[120:121], v[124:125]
	v_div_scale_f64 v[120:121], s[12:13], v[122:123], v[122:123], 1.0
	v_rcp_f64_e32 v[126:127], v[120:121]
	s_nop 0
	v_fma_f64 v[128:129], -v[120:121], v[126:127], 1.0
	v_fmac_f64_e32 v[126:127], v[126:127], v[128:129]
	v_fma_f64 v[128:129], -v[120:121], v[126:127], 1.0
	v_fmac_f64_e32 v[126:127], v[126:127], v[128:129]
	v_div_scale_f64 v[128:129], vcc, 1.0, v[122:123], 1.0
	v_mul_f64 v[130:131], v[128:129], v[126:127]
	v_fma_f64 v[120:121], -v[120:121], v[130:131], v[128:129]
	s_nop 1
	v_div_fmas_f64 v[120:121], v[120:121], v[126:127], v[130:131]
	v_div_fixup_f64 v[126:127], v[120:121], v[122:123], 1.0
	v_mul_f64 v[124:125], v[124:125], v[126:127]
	v_xor_b32_e32 v127, 0x80000000, v127
                                        ; implicit-def: $vgpr120_vgpr121
.LBB59_5:
	s_andn2_saveexec_b64 s[4:5], s[4:5]
	s_cbranch_execz .LBB59_7
; %bb.6:
	v_div_scale_f64 v[124:125], s[12:13], v[120:121], v[120:121], v[122:123]
	v_rcp_f64_e32 v[126:127], v[124:125]
	v_div_scale_f64 v[128:129], vcc, v[122:123], v[120:121], v[122:123]
	v_fma_f64 v[130:131], -v[124:125], v[126:127], 1.0
	v_fmac_f64_e32 v[126:127], v[126:127], v[130:131]
	v_fma_f64 v[130:131], -v[124:125], v[126:127], 1.0
	v_fmac_f64_e32 v[126:127], v[126:127], v[130:131]
	v_mul_f64 v[130:131], v[128:129], v[126:127]
	v_fma_f64 v[124:125], -v[124:125], v[130:131], v[128:129]
	v_div_fmas_f64 v[124:125], v[124:125], v[126:127], v[130:131]
	v_div_fixup_f64 v[126:127], v[124:125], v[120:121], v[122:123]
	v_fmac_f64_e32 v[120:121], v[122:123], v[126:127]
	v_div_scale_f64 v[122:123], s[12:13], v[120:121], v[120:121], 1.0
	v_rcp_f64_e32 v[124:125], v[122:123]
	s_nop 0
	v_fma_f64 v[128:129], -v[122:123], v[124:125], 1.0
	v_fmac_f64_e32 v[124:125], v[124:125], v[128:129]
	v_fma_f64 v[128:129], -v[122:123], v[124:125], 1.0
	v_fmac_f64_e32 v[124:125], v[124:125], v[128:129]
	v_div_scale_f64 v[128:129], vcc, 1.0, v[120:121], 1.0
	v_mul_f64 v[130:131], v[128:129], v[124:125]
	v_fma_f64 v[122:123], -v[122:123], v[130:131], v[128:129]
	s_nop 1
	v_div_fmas_f64 v[122:123], v[122:123], v[124:125], v[130:131]
	v_div_fixup_f64 v[124:125], v[122:123], v[120:121], 1.0
	v_mul_f64 v[126:127], v[126:127], -v[124:125]
.LBB59_7:
	s_or_b64 exec, exec, s[4:5]
	ds_write2_b64 v241, v[124:125], v[126:127] offset1:1
.LBB59_8:
	s_or_b64 exec, exec, s[10:11]
	s_waitcnt lgkmcnt(0)
	s_barrier
	ds_read2_b64 v[248:251], v241 offset1:1
	s_and_saveexec_b64 s[4:5], s[2:3]
	s_cbranch_execz .LBB59_10
; %bb.9:
	scratch_load_dwordx4 v[112:115], off, off ; 16-byte Folded Reload
	ds_read2_b64 v[126:129], v254 offset0:2 offset1:3
	ds_read2_b64 v[130:133], v254 offset0:4 offset1:5
	s_waitcnt vmcnt(0) lgkmcnt(2)
	v_mul_f64 v[124:125], v[250:251], v[114:115]
	v_mul_f64 v[114:115], v[248:249], v[114:115]
	v_fmac_f64_e32 v[114:115], v[250:251], v[112:113]
	v_fma_f64 v[124:125], v[248:249], v[112:113], -v[124:125]
	s_waitcnt lgkmcnt(1)
	v_mul_f64 v[112:113], v[128:129], v[114:115]
	v_fma_f64 v[112:113], v[126:127], v[124:125], -v[112:113]
	v_mul_f64 v[126:127], v[126:127], v[114:115]
	v_fmac_f64_e32 v[126:127], v[128:129], v[124:125]
	v_add_f64 v[110:111], v[110:111], -v[126:127]
	ds_read2_b64 v[126:129], v254 offset0:6 offset1:7
	v_add_f64 v[108:109], v[108:109], -v[112:113]
	s_waitcnt lgkmcnt(1)
	v_mul_f64 v[112:113], v[132:133], v[114:115]
	v_fma_f64 v[112:113], v[130:131], v[124:125], -v[112:113]
	v_mul_f64 v[130:131], v[130:131], v[114:115]
	v_fmac_f64_e32 v[130:131], v[132:133], v[124:125]
	v_add_f64 v[104:105], v[104:105], -v[112:113]
	v_add_f64 v[106:107], v[106:107], -v[130:131]
	ds_read2_b64 v[130:133], v254 offset0:8 offset1:9
	s_waitcnt lgkmcnt(1)
	v_mul_f64 v[112:113], v[128:129], v[114:115]
	v_fma_f64 v[112:113], v[126:127], v[124:125], -v[112:113]
	v_mul_f64 v[126:127], v[126:127], v[114:115]
	v_fmac_f64_e32 v[126:127], v[128:129], v[124:125]
	v_add_f64 v[102:103], v[102:103], -v[126:127]
	ds_read2_b64 v[126:129], v254 offset0:10 offset1:11
	v_add_f64 v[100:101], v[100:101], -v[112:113]
	s_waitcnt lgkmcnt(1)
	v_mul_f64 v[112:113], v[132:133], v[114:115]
	v_fma_f64 v[112:113], v[130:131], v[124:125], -v[112:113]
	v_mul_f64 v[130:131], v[130:131], v[114:115]
	v_fmac_f64_e32 v[130:131], v[132:133], v[124:125]
	v_add_f64 v[96:97], v[96:97], -v[112:113]
	v_add_f64 v[98:99], v[98:99], -v[130:131]
	ds_read2_b64 v[130:133], v254 offset0:12 offset1:13
	;; [unrolled: 16-line block ×13, first 2 shown]
	s_waitcnt lgkmcnt(1)
	v_mul_f64 v[112:113], v[128:129], v[114:115]
	v_fma_f64 v[112:113], v[126:127], v[124:125], -v[112:113]
	v_mul_f64 v[126:127], v[126:127], v[114:115]
	v_fmac_f64_e32 v[126:127], v[128:129], v[124:125]
	v_add_f64 v[6:7], v[6:7], -v[126:127]
	ds_read2_b64 v[126:129], v254 offset0:58 offset1:59
	v_add_f64 v[4:5], v[4:5], -v[112:113]
	s_waitcnt lgkmcnt(1)
	v_mul_f64 v[112:113], v[132:133], v[114:115]
	v_fma_f64 v[112:113], v[130:131], v[124:125], -v[112:113]
	v_add_f64 v[0:1], v[0:1], -v[112:113]
	s_waitcnt lgkmcnt(0)
	v_mul_f64 v[112:113], v[128:129], v[114:115]
	v_mul_f64 v[130:131], v[130:131], v[114:115]
	v_fma_f64 v[112:113], v[126:127], v[124:125], -v[112:113]
	v_mul_f64 v[126:127], v[126:127], v[114:115]
	v_fmac_f64_e32 v[130:131], v[132:133], v[124:125]
	v_fmac_f64_e32 v[126:127], v[128:129], v[124:125]
	v_add_f64 v[2:3], v[2:3], -v[130:131]
	v_add_f64 v[116:117], v[116:117], -v[112:113]
	;; [unrolled: 1-line block ×3, first 2 shown]
	v_mov_b64_e32 v[112:113], v[124:125]
	scratch_store_dwordx4 off, v[112:115], off ; 16-byte Folded Spill
.LBB59_10:
	s_or_b64 exec, exec, s[4:5]
	v_cmp_eq_u32_e32 vcc, 1, v240
	s_waitcnt lgkmcnt(0)
	s_barrier
	s_and_saveexec_b64 s[4:5], vcc
	s_cbranch_execz .LBB59_17
; %bb.11:
	s_waitcnt vmcnt(53)
	ds_write2_b64 v241, v[108:109], v[110:111] offset1:1
	s_waitcnt vmcnt(52)
	ds_write2_b64 v254, v[104:105], v[106:107] offset0:4 offset1:5
	s_waitcnt vmcnt(51)
	ds_write2_b64 v254, v[100:101], v[102:103] offset0:6 offset1:7
	;; [unrolled: 2-line block ×19, first 2 shown]
	ds_write2_b64 v254, v[28:29], v[30:31] offset0:42 offset1:43
	s_waitcnt vmcnt(13)
	ds_write2_b64 v254, v[24:25], v[26:27] offset0:44 offset1:45
	s_waitcnt vmcnt(12)
	;; [unrolled: 2-line block ×6, first 2 shown]
	ds_write2_b64 v254, v[4:5], v[6:7] offset0:54 offset1:55
	ds_write2_b64 v254, v[0:1], v[2:3] offset0:56 offset1:57
	s_waitcnt vmcnt(7)
	ds_write2_b64 v254, v[116:117], v[118:119] offset0:58 offset1:59
	ds_read2_b64 v[124:127], v241 offset1:1
	s_waitcnt lgkmcnt(0)
	v_cmp_neq_f64_e32 vcc, 0, v[124:125]
	v_cmp_neq_f64_e64 s[2:3], 0, v[126:127]
	s_or_b64 s[2:3], vcc, s[2:3]
	s_and_b64 exec, exec, s[2:3]
	s_cbranch_execz .LBB59_17
; %bb.12:
	v_cmp_ngt_f64_e64 s[2:3], |v[124:125]|, |v[126:127]|
                                        ; implicit-def: $vgpr128_vgpr129
	s_and_saveexec_b64 s[10:11], s[2:3]
	s_xor_b64 s[2:3], exec, s[10:11]
                                        ; implicit-def: $vgpr130_vgpr131
	s_cbranch_execz .LBB59_14
; %bb.13:
	v_div_scale_f64 v[128:129], s[10:11], v[126:127], v[126:127], v[124:125]
	v_rcp_f64_e32 v[130:131], v[128:129]
	v_div_scale_f64 v[132:133], vcc, v[124:125], v[126:127], v[124:125]
	v_fma_f64 v[134:135], -v[128:129], v[130:131], 1.0
	v_fmac_f64_e32 v[130:131], v[130:131], v[134:135]
	v_fma_f64 v[134:135], -v[128:129], v[130:131], 1.0
	v_fmac_f64_e32 v[130:131], v[130:131], v[134:135]
	v_mul_f64 v[134:135], v[132:133], v[130:131]
	v_fma_f64 v[128:129], -v[128:129], v[134:135], v[132:133]
	v_div_fmas_f64 v[128:129], v[128:129], v[130:131], v[134:135]
	v_div_fixup_f64 v[128:129], v[128:129], v[126:127], v[124:125]
	v_fmac_f64_e32 v[126:127], v[124:125], v[128:129]
	v_div_scale_f64 v[124:125], s[10:11], v[126:127], v[126:127], 1.0
	v_rcp_f64_e32 v[130:131], v[124:125]
	s_nop 0
	v_fma_f64 v[132:133], -v[124:125], v[130:131], 1.0
	v_fmac_f64_e32 v[130:131], v[130:131], v[132:133]
	v_fma_f64 v[132:133], -v[124:125], v[130:131], 1.0
	v_fmac_f64_e32 v[130:131], v[130:131], v[132:133]
	v_div_scale_f64 v[132:133], vcc, 1.0, v[126:127], 1.0
	v_mul_f64 v[134:135], v[132:133], v[130:131]
	v_fma_f64 v[124:125], -v[124:125], v[134:135], v[132:133]
	s_nop 1
	v_div_fmas_f64 v[124:125], v[124:125], v[130:131], v[134:135]
	v_div_fixup_f64 v[130:131], v[124:125], v[126:127], 1.0
	v_mul_f64 v[128:129], v[128:129], v[130:131]
	v_xor_b32_e32 v131, 0x80000000, v131
                                        ; implicit-def: $vgpr124_vgpr125
.LBB59_14:
	s_andn2_saveexec_b64 s[2:3], s[2:3]
	s_cbranch_execz .LBB59_16
; %bb.15:
	v_div_scale_f64 v[128:129], s[10:11], v[124:125], v[124:125], v[126:127]
	v_rcp_f64_e32 v[130:131], v[128:129]
	v_div_scale_f64 v[132:133], vcc, v[126:127], v[124:125], v[126:127]
	v_fma_f64 v[134:135], -v[128:129], v[130:131], 1.0
	v_fmac_f64_e32 v[130:131], v[130:131], v[134:135]
	v_fma_f64 v[134:135], -v[128:129], v[130:131], 1.0
	v_fmac_f64_e32 v[130:131], v[130:131], v[134:135]
	v_mul_f64 v[134:135], v[132:133], v[130:131]
	v_fma_f64 v[128:129], -v[128:129], v[134:135], v[132:133]
	v_div_fmas_f64 v[128:129], v[128:129], v[130:131], v[134:135]
	v_div_fixup_f64 v[130:131], v[128:129], v[124:125], v[126:127]
	v_fmac_f64_e32 v[124:125], v[126:127], v[130:131]
	v_div_scale_f64 v[126:127], s[10:11], v[124:125], v[124:125], 1.0
	v_rcp_f64_e32 v[128:129], v[126:127]
	s_nop 0
	v_fma_f64 v[132:133], -v[126:127], v[128:129], 1.0
	v_fmac_f64_e32 v[128:129], v[128:129], v[132:133]
	v_fma_f64 v[132:133], -v[126:127], v[128:129], 1.0
	v_fmac_f64_e32 v[128:129], v[128:129], v[132:133]
	v_div_scale_f64 v[132:133], vcc, 1.0, v[124:125], 1.0
	v_mul_f64 v[134:135], v[132:133], v[128:129]
	v_fma_f64 v[126:127], -v[126:127], v[134:135], v[132:133]
	s_nop 1
	v_div_fmas_f64 v[126:127], v[126:127], v[128:129], v[134:135]
	v_div_fixup_f64 v[128:129], v[126:127], v[124:125], 1.0
	v_mul_f64 v[130:131], v[130:131], -v[128:129]
.LBB59_16:
	s_or_b64 exec, exec, s[2:3]
	ds_write2_b64 v241, v[128:129], v[130:131] offset1:1
.LBB59_17:
	s_or_b64 exec, exec, s[4:5]
	s_waitcnt lgkmcnt(0)
	s_barrier
	ds_read2_b64 v[124:127], v241 offset1:1
	v_cmp_lt_u32_e32 vcc, 1, v240
	s_and_saveexec_b64 s[2:3], vcc
	s_cbranch_execz .LBB59_19
; %bb.18:
	ds_read2_b64 v[130:133], v254 offset0:4 offset1:5
	ds_read2_b64 v[134:137], v254 offset0:6 offset1:7
	s_waitcnt vmcnt(53) lgkmcnt(2)
	v_mul_f64 v[128:129], v[126:127], v[110:111]
	v_mul_f64 v[110:111], v[124:125], v[110:111]
	v_fmac_f64_e32 v[110:111], v[126:127], v[108:109]
	v_fma_f64 v[128:129], v[124:125], v[108:109], -v[128:129]
	s_waitcnt lgkmcnt(1)
	v_mul_f64 v[108:109], v[132:133], v[110:111]
	v_fma_f64 v[108:109], v[130:131], v[128:129], -v[108:109]
	v_mul_f64 v[130:131], v[130:131], v[110:111]
	v_fmac_f64_e32 v[130:131], v[132:133], v[128:129]
	s_waitcnt vmcnt(52)
	v_add_f64 v[104:105], v[104:105], -v[108:109]
	v_add_f64 v[106:107], v[106:107], -v[130:131]
	s_waitcnt lgkmcnt(0)
	v_mul_f64 v[108:109], v[136:137], v[110:111]
	ds_read2_b64 v[130:133], v254 offset0:8 offset1:9
	v_fma_f64 v[108:109], v[134:135], v[128:129], -v[108:109]
	v_mul_f64 v[134:135], v[134:135], v[110:111]
	v_fmac_f64_e32 v[134:135], v[136:137], v[128:129]
	s_waitcnt vmcnt(51)
	v_add_f64 v[102:103], v[102:103], -v[134:135]
	ds_read2_b64 v[134:137], v254 offset0:10 offset1:11
	v_add_f64 v[100:101], v[100:101], -v[108:109]
	s_waitcnt lgkmcnt(1)
	v_mul_f64 v[108:109], v[132:133], v[110:111]
	v_fma_f64 v[108:109], v[130:131], v[128:129], -v[108:109]
	v_mul_f64 v[130:131], v[130:131], v[110:111]
	v_fmac_f64_e32 v[130:131], v[132:133], v[128:129]
	s_waitcnt vmcnt(50)
	v_add_f64 v[96:97], v[96:97], -v[108:109]
	v_add_f64 v[98:99], v[98:99], -v[130:131]
	s_waitcnt lgkmcnt(0)
	v_mul_f64 v[108:109], v[136:137], v[110:111]
	ds_read2_b64 v[130:133], v254 offset0:12 offset1:13
	v_fma_f64 v[108:109], v[134:135], v[128:129], -v[108:109]
	v_mul_f64 v[134:135], v[134:135], v[110:111]
	v_fmac_f64_e32 v[134:135], v[136:137], v[128:129]
	s_waitcnt vmcnt(49)
	v_add_f64 v[94:95], v[94:95], -v[134:135]
	ds_read2_b64 v[134:137], v254 offset0:14 offset1:15
	v_add_f64 v[92:93], v[92:93], -v[108:109]
	;; [unrolled: 18-line block ×9, first 2 shown]
	s_waitcnt lgkmcnt(1)
	v_mul_f64 v[108:109], v[132:133], v[110:111]
	v_fma_f64 v[108:109], v[130:131], v[128:129], -v[108:109]
	v_mul_f64 v[130:131], v[130:131], v[110:111]
	v_fmac_f64_e32 v[130:131], v[132:133], v[128:129]
	s_waitcnt vmcnt(15)
	v_add_f64 v[32:33], v[32:33], -v[108:109]
	v_add_f64 v[34:35], v[34:35], -v[130:131]
	s_waitcnt lgkmcnt(0)
	v_mul_f64 v[108:109], v[136:137], v[110:111]
	ds_read2_b64 v[130:133], v254 offset0:44 offset1:45
	v_fma_f64 v[108:109], v[134:135], v[128:129], -v[108:109]
	v_mul_f64 v[134:135], v[134:135], v[110:111]
	v_fmac_f64_e32 v[134:135], v[136:137], v[128:129]
	v_add_f64 v[30:31], v[30:31], -v[134:135]
	ds_read2_b64 v[134:137], v254 offset0:46 offset1:47
	v_add_f64 v[28:29], v[28:29], -v[108:109]
	s_waitcnt lgkmcnt(1)
	v_mul_f64 v[108:109], v[132:133], v[110:111]
	v_fma_f64 v[108:109], v[130:131], v[128:129], -v[108:109]
	v_mul_f64 v[130:131], v[130:131], v[110:111]
	v_fmac_f64_e32 v[130:131], v[132:133], v[128:129]
	s_waitcnt vmcnt(13)
	v_add_f64 v[24:25], v[24:25], -v[108:109]
	v_add_f64 v[26:27], v[26:27], -v[130:131]
	s_waitcnt lgkmcnt(0)
	v_mul_f64 v[108:109], v[136:137], v[110:111]
	ds_read2_b64 v[130:133], v254 offset0:48 offset1:49
	v_fma_f64 v[108:109], v[134:135], v[128:129], -v[108:109]
	v_mul_f64 v[134:135], v[134:135], v[110:111]
	v_fmac_f64_e32 v[134:135], v[136:137], v[128:129]
	s_waitcnt vmcnt(12)
	v_add_f64 v[22:23], v[22:23], -v[134:135]
	ds_read2_b64 v[134:137], v254 offset0:50 offset1:51
	v_add_f64 v[20:21], v[20:21], -v[108:109]
	s_waitcnt lgkmcnt(1)
	v_mul_f64 v[108:109], v[132:133], v[110:111]
	v_fma_f64 v[108:109], v[130:131], v[128:129], -v[108:109]
	v_mul_f64 v[130:131], v[130:131], v[110:111]
	v_fmac_f64_e32 v[130:131], v[132:133], v[128:129]
	s_waitcnt vmcnt(11)
	v_add_f64 v[16:17], v[16:17], -v[108:109]
	v_add_f64 v[18:19], v[18:19], -v[130:131]
	s_waitcnt lgkmcnt(0)
	v_mul_f64 v[108:109], v[136:137], v[110:111]
	ds_read2_b64 v[130:133], v254 offset0:52 offset1:53
	v_fma_f64 v[108:109], v[134:135], v[128:129], -v[108:109]
	v_mul_f64 v[134:135], v[134:135], v[110:111]
	v_fmac_f64_e32 v[134:135], v[136:137], v[128:129]
	s_waitcnt vmcnt(10)
	;; [unrolled: 18-line block ×3, first 2 shown]
	v_add_f64 v[6:7], v[6:7], -v[134:135]
	ds_read2_b64 v[134:137], v254 offset0:58 offset1:59
	v_add_f64 v[4:5], v[4:5], -v[108:109]
	s_waitcnt lgkmcnt(1)
	v_mul_f64 v[108:109], v[132:133], v[110:111]
	v_fma_f64 v[108:109], v[130:131], v[128:129], -v[108:109]
	v_mul_f64 v[130:131], v[130:131], v[110:111]
	v_fmac_f64_e32 v[130:131], v[132:133], v[128:129]
	v_add_f64 v[0:1], v[0:1], -v[108:109]
	v_add_f64 v[2:3], v[2:3], -v[130:131]
	s_waitcnt lgkmcnt(0)
	v_mul_f64 v[108:109], v[136:137], v[110:111]
	v_mul_f64 v[130:131], v[134:135], v[110:111]
	v_fma_f64 v[108:109], v[134:135], v[128:129], -v[108:109]
	v_fmac_f64_e32 v[130:131], v[136:137], v[128:129]
	s_waitcnt vmcnt(7)
	v_add_f64 v[116:117], v[116:117], -v[108:109]
	v_add_f64 v[118:119], v[118:119], -v[130:131]
	v_mov_b64_e32 v[108:109], v[128:129]
.LBB59_19:
	s_or_b64 exec, exec, s[2:3]
	v_cmp_eq_u32_e32 vcc, 2, v240
	s_waitcnt lgkmcnt(0)
	s_barrier
	s_and_saveexec_b64 s[4:5], vcc
	s_cbranch_execz .LBB59_26
; %bb.20:
	s_waitcnt vmcnt(52)
	ds_write2_b64 v241, v[104:105], v[106:107] offset1:1
	s_waitcnt vmcnt(51)
	ds_write2_b64 v254, v[100:101], v[102:103] offset0:6 offset1:7
	s_waitcnt vmcnt(50)
	ds_write2_b64 v254, v[96:97], v[98:99] offset0:8 offset1:9
	;; [unrolled: 2-line block ×18, first 2 shown]
	ds_write2_b64 v254, v[28:29], v[30:31] offset0:42 offset1:43
	s_waitcnt vmcnt(13)
	ds_write2_b64 v254, v[24:25], v[26:27] offset0:44 offset1:45
	s_waitcnt vmcnt(12)
	;; [unrolled: 2-line block ×6, first 2 shown]
	ds_write2_b64 v254, v[4:5], v[6:7] offset0:54 offset1:55
	ds_write2_b64 v254, v[0:1], v[2:3] offset0:56 offset1:57
	s_waitcnt vmcnt(7)
	ds_write2_b64 v254, v[116:117], v[118:119] offset0:58 offset1:59
	ds_read2_b64 v[128:131], v241 offset1:1
	s_waitcnt lgkmcnt(0)
	v_cmp_neq_f64_e32 vcc, 0, v[128:129]
	v_cmp_neq_f64_e64 s[2:3], 0, v[130:131]
	s_or_b64 s[2:3], vcc, s[2:3]
	s_and_b64 exec, exec, s[2:3]
	s_cbranch_execz .LBB59_26
; %bb.21:
	v_cmp_ngt_f64_e64 s[2:3], |v[128:129]|, |v[130:131]|
                                        ; implicit-def: $vgpr132_vgpr133
	s_and_saveexec_b64 s[10:11], s[2:3]
	s_xor_b64 s[2:3], exec, s[10:11]
                                        ; implicit-def: $vgpr134_vgpr135
	s_cbranch_execz .LBB59_23
; %bb.22:
	v_div_scale_f64 v[132:133], s[10:11], v[130:131], v[130:131], v[128:129]
	v_rcp_f64_e32 v[134:135], v[132:133]
	v_div_scale_f64 v[136:137], vcc, v[128:129], v[130:131], v[128:129]
	v_fma_f64 v[138:139], -v[132:133], v[134:135], 1.0
	v_fmac_f64_e32 v[134:135], v[134:135], v[138:139]
	v_fma_f64 v[138:139], -v[132:133], v[134:135], 1.0
	v_fmac_f64_e32 v[134:135], v[134:135], v[138:139]
	v_mul_f64 v[138:139], v[136:137], v[134:135]
	v_fma_f64 v[132:133], -v[132:133], v[138:139], v[136:137]
	v_div_fmas_f64 v[132:133], v[132:133], v[134:135], v[138:139]
	v_div_fixup_f64 v[132:133], v[132:133], v[130:131], v[128:129]
	v_fmac_f64_e32 v[130:131], v[128:129], v[132:133]
	v_div_scale_f64 v[128:129], s[10:11], v[130:131], v[130:131], 1.0
	v_rcp_f64_e32 v[134:135], v[128:129]
	s_nop 0
	v_fma_f64 v[136:137], -v[128:129], v[134:135], 1.0
	v_fmac_f64_e32 v[134:135], v[134:135], v[136:137]
	v_fma_f64 v[136:137], -v[128:129], v[134:135], 1.0
	v_fmac_f64_e32 v[134:135], v[134:135], v[136:137]
	v_div_scale_f64 v[136:137], vcc, 1.0, v[130:131], 1.0
	v_mul_f64 v[138:139], v[136:137], v[134:135]
	v_fma_f64 v[128:129], -v[128:129], v[138:139], v[136:137]
	s_nop 1
	v_div_fmas_f64 v[128:129], v[128:129], v[134:135], v[138:139]
	v_div_fixup_f64 v[134:135], v[128:129], v[130:131], 1.0
	v_mul_f64 v[132:133], v[132:133], v[134:135]
	v_xor_b32_e32 v135, 0x80000000, v135
                                        ; implicit-def: $vgpr128_vgpr129
.LBB59_23:
	s_andn2_saveexec_b64 s[2:3], s[2:3]
	s_cbranch_execz .LBB59_25
; %bb.24:
	v_div_scale_f64 v[132:133], s[10:11], v[128:129], v[128:129], v[130:131]
	v_rcp_f64_e32 v[134:135], v[132:133]
	v_div_scale_f64 v[136:137], vcc, v[130:131], v[128:129], v[130:131]
	v_fma_f64 v[138:139], -v[132:133], v[134:135], 1.0
	v_fmac_f64_e32 v[134:135], v[134:135], v[138:139]
	v_fma_f64 v[138:139], -v[132:133], v[134:135], 1.0
	v_fmac_f64_e32 v[134:135], v[134:135], v[138:139]
	v_mul_f64 v[138:139], v[136:137], v[134:135]
	v_fma_f64 v[132:133], -v[132:133], v[138:139], v[136:137]
	v_div_fmas_f64 v[132:133], v[132:133], v[134:135], v[138:139]
	v_div_fixup_f64 v[134:135], v[132:133], v[128:129], v[130:131]
	v_fmac_f64_e32 v[128:129], v[130:131], v[134:135]
	v_div_scale_f64 v[130:131], s[10:11], v[128:129], v[128:129], 1.0
	v_rcp_f64_e32 v[132:133], v[130:131]
	s_nop 0
	v_fma_f64 v[136:137], -v[130:131], v[132:133], 1.0
	v_fmac_f64_e32 v[132:133], v[132:133], v[136:137]
	v_fma_f64 v[136:137], -v[130:131], v[132:133], 1.0
	v_fmac_f64_e32 v[132:133], v[132:133], v[136:137]
	v_div_scale_f64 v[136:137], vcc, 1.0, v[128:129], 1.0
	v_mul_f64 v[138:139], v[136:137], v[132:133]
	v_fma_f64 v[130:131], -v[130:131], v[138:139], v[136:137]
	s_nop 1
	v_div_fmas_f64 v[130:131], v[130:131], v[132:133], v[138:139]
	v_div_fixup_f64 v[132:133], v[130:131], v[128:129], 1.0
	v_mul_f64 v[134:135], v[134:135], -v[132:133]
.LBB59_25:
	s_or_b64 exec, exec, s[2:3]
	ds_write2_b64 v241, v[132:133], v[134:135] offset1:1
.LBB59_26:
	s_or_b64 exec, exec, s[4:5]
	s_waitcnt lgkmcnt(0)
	s_barrier
	ds_read2_b64 v[128:131], v241 offset1:1
	v_cmp_lt_u32_e32 vcc, 2, v240
	s_and_saveexec_b64 s[2:3], vcc
	s_cbranch_execz .LBB59_28
; %bb.27:
	ds_read2_b64 v[134:137], v254 offset0:6 offset1:7
	ds_read2_b64 v[138:141], v254 offset0:8 offset1:9
	s_waitcnt vmcnt(52) lgkmcnt(2)
	v_mul_f64 v[132:133], v[130:131], v[106:107]
	v_mul_f64 v[106:107], v[128:129], v[106:107]
	v_fmac_f64_e32 v[106:107], v[130:131], v[104:105]
	v_fma_f64 v[132:133], v[128:129], v[104:105], -v[132:133]
	s_waitcnt lgkmcnt(1)
	v_mul_f64 v[104:105], v[136:137], v[106:107]
	v_fma_f64 v[104:105], v[134:135], v[132:133], -v[104:105]
	v_mul_f64 v[134:135], v[134:135], v[106:107]
	v_fmac_f64_e32 v[134:135], v[136:137], v[132:133]
	s_waitcnt vmcnt(51)
	v_add_f64 v[102:103], v[102:103], -v[134:135]
	ds_read2_b64 v[134:137], v254 offset0:10 offset1:11
	v_add_f64 v[100:101], v[100:101], -v[104:105]
	s_waitcnt lgkmcnt(1)
	v_mul_f64 v[104:105], v[140:141], v[106:107]
	v_fma_f64 v[104:105], v[138:139], v[132:133], -v[104:105]
	v_mul_f64 v[138:139], v[138:139], v[106:107]
	v_fmac_f64_e32 v[138:139], v[140:141], v[132:133]
	s_waitcnt vmcnt(50)
	v_add_f64 v[96:97], v[96:97], -v[104:105]
	v_add_f64 v[98:99], v[98:99], -v[138:139]
	ds_read2_b64 v[138:141], v254 offset0:12 offset1:13
	s_waitcnt lgkmcnt(1)
	v_mul_f64 v[104:105], v[136:137], v[106:107]
	v_fma_f64 v[104:105], v[134:135], v[132:133], -v[104:105]
	v_mul_f64 v[134:135], v[134:135], v[106:107]
	v_fmac_f64_e32 v[134:135], v[136:137], v[132:133]
	s_waitcnt vmcnt(49)
	v_add_f64 v[94:95], v[94:95], -v[134:135]
	ds_read2_b64 v[134:137], v254 offset0:14 offset1:15
	v_add_f64 v[92:93], v[92:93], -v[104:105]
	s_waitcnt lgkmcnt(1)
	v_mul_f64 v[104:105], v[140:141], v[106:107]
	v_fma_f64 v[104:105], v[138:139], v[132:133], -v[104:105]
	v_mul_f64 v[138:139], v[138:139], v[106:107]
	v_fmac_f64_e32 v[138:139], v[140:141], v[132:133]
	s_waitcnt vmcnt(48)
	v_add_f64 v[88:89], v[88:89], -v[104:105]
	v_add_f64 v[90:91], v[90:91], -v[138:139]
	ds_read2_b64 v[138:141], v254 offset0:16 offset1:17
	;; [unrolled: 18-line block ×9, first 2 shown]
	s_waitcnt lgkmcnt(1)
	v_mul_f64 v[104:105], v[136:137], v[106:107]
	v_fma_f64 v[104:105], v[134:135], v[132:133], -v[104:105]
	v_mul_f64 v[134:135], v[134:135], v[106:107]
	v_fmac_f64_e32 v[134:135], v[136:137], v[132:133]
	v_add_f64 v[30:31], v[30:31], -v[134:135]
	ds_read2_b64 v[134:137], v254 offset0:46 offset1:47
	v_add_f64 v[28:29], v[28:29], -v[104:105]
	s_waitcnt lgkmcnt(1)
	v_mul_f64 v[104:105], v[140:141], v[106:107]
	v_fma_f64 v[104:105], v[138:139], v[132:133], -v[104:105]
	v_mul_f64 v[138:139], v[138:139], v[106:107]
	v_fmac_f64_e32 v[138:139], v[140:141], v[132:133]
	s_waitcnt vmcnt(13)
	v_add_f64 v[24:25], v[24:25], -v[104:105]
	v_add_f64 v[26:27], v[26:27], -v[138:139]
	ds_read2_b64 v[138:141], v254 offset0:48 offset1:49
	s_waitcnt lgkmcnt(1)
	v_mul_f64 v[104:105], v[136:137], v[106:107]
	v_fma_f64 v[104:105], v[134:135], v[132:133], -v[104:105]
	v_mul_f64 v[134:135], v[134:135], v[106:107]
	v_fmac_f64_e32 v[134:135], v[136:137], v[132:133]
	s_waitcnt vmcnt(12)
	v_add_f64 v[22:23], v[22:23], -v[134:135]
	ds_read2_b64 v[134:137], v254 offset0:50 offset1:51
	v_add_f64 v[20:21], v[20:21], -v[104:105]
	s_waitcnt lgkmcnt(1)
	v_mul_f64 v[104:105], v[140:141], v[106:107]
	v_fma_f64 v[104:105], v[138:139], v[132:133], -v[104:105]
	v_mul_f64 v[138:139], v[138:139], v[106:107]
	v_fmac_f64_e32 v[138:139], v[140:141], v[132:133]
	s_waitcnt vmcnt(11)
	v_add_f64 v[16:17], v[16:17], -v[104:105]
	v_add_f64 v[18:19], v[18:19], -v[138:139]
	ds_read2_b64 v[138:141], v254 offset0:52 offset1:53
	s_waitcnt lgkmcnt(1)
	v_mul_f64 v[104:105], v[136:137], v[106:107]
	v_fma_f64 v[104:105], v[134:135], v[132:133], -v[104:105]
	v_mul_f64 v[134:135], v[134:135], v[106:107]
	v_fmac_f64_e32 v[134:135], v[136:137], v[132:133]
	s_waitcnt vmcnt(10)
	;; [unrolled: 18-line block ×3, first 2 shown]
	v_add_f64 v[6:7], v[6:7], -v[134:135]
	ds_read2_b64 v[134:137], v254 offset0:58 offset1:59
	v_add_f64 v[4:5], v[4:5], -v[104:105]
	s_waitcnt lgkmcnt(1)
	v_mul_f64 v[104:105], v[140:141], v[106:107]
	v_fma_f64 v[104:105], v[138:139], v[132:133], -v[104:105]
	v_add_f64 v[0:1], v[0:1], -v[104:105]
	s_waitcnt lgkmcnt(0)
	v_mul_f64 v[104:105], v[136:137], v[106:107]
	v_mul_f64 v[138:139], v[138:139], v[106:107]
	v_fma_f64 v[104:105], v[134:135], v[132:133], -v[104:105]
	v_mul_f64 v[134:135], v[134:135], v[106:107]
	v_fmac_f64_e32 v[138:139], v[140:141], v[132:133]
	v_fmac_f64_e32 v[134:135], v[136:137], v[132:133]
	v_add_f64 v[2:3], v[2:3], -v[138:139]
	s_waitcnt vmcnt(7)
	v_add_f64 v[116:117], v[116:117], -v[104:105]
	v_add_f64 v[118:119], v[118:119], -v[134:135]
	v_mov_b64_e32 v[104:105], v[132:133]
.LBB59_28:
	s_or_b64 exec, exec, s[2:3]
	v_cmp_eq_u32_e32 vcc, 3, v240
	s_waitcnt lgkmcnt(0)
	s_barrier
	s_and_saveexec_b64 s[4:5], vcc
	s_cbranch_execz .LBB59_35
; %bb.29:
	s_waitcnt vmcnt(51)
	ds_write2_b64 v241, v[100:101], v[102:103] offset1:1
	s_waitcnt vmcnt(50)
	ds_write2_b64 v254, v[96:97], v[98:99] offset0:8 offset1:9
	s_waitcnt vmcnt(49)
	ds_write2_b64 v254, v[92:93], v[94:95] offset0:10 offset1:11
	;; [unrolled: 2-line block ×17, first 2 shown]
	ds_write2_b64 v254, v[28:29], v[30:31] offset0:42 offset1:43
	s_waitcnt vmcnt(13)
	ds_write2_b64 v254, v[24:25], v[26:27] offset0:44 offset1:45
	s_waitcnt vmcnt(12)
	;; [unrolled: 2-line block ×6, first 2 shown]
	ds_write2_b64 v254, v[4:5], v[6:7] offset0:54 offset1:55
	ds_write2_b64 v254, v[0:1], v[2:3] offset0:56 offset1:57
	s_waitcnt vmcnt(7)
	ds_write2_b64 v254, v[116:117], v[118:119] offset0:58 offset1:59
	ds_read2_b64 v[132:135], v241 offset1:1
	s_waitcnt lgkmcnt(0)
	v_cmp_neq_f64_e32 vcc, 0, v[132:133]
	v_cmp_neq_f64_e64 s[2:3], 0, v[134:135]
	s_or_b64 s[2:3], vcc, s[2:3]
	s_and_b64 exec, exec, s[2:3]
	s_cbranch_execz .LBB59_35
; %bb.30:
	v_cmp_ngt_f64_e64 s[2:3], |v[132:133]|, |v[134:135]|
                                        ; implicit-def: $vgpr136_vgpr137
	s_and_saveexec_b64 s[10:11], s[2:3]
	s_xor_b64 s[2:3], exec, s[10:11]
                                        ; implicit-def: $vgpr138_vgpr139
	s_cbranch_execz .LBB59_32
; %bb.31:
	v_div_scale_f64 v[136:137], s[10:11], v[134:135], v[134:135], v[132:133]
	v_rcp_f64_e32 v[138:139], v[136:137]
	v_div_scale_f64 v[140:141], vcc, v[132:133], v[134:135], v[132:133]
	v_fma_f64 v[142:143], -v[136:137], v[138:139], 1.0
	v_fmac_f64_e32 v[138:139], v[138:139], v[142:143]
	v_fma_f64 v[142:143], -v[136:137], v[138:139], 1.0
	v_fmac_f64_e32 v[138:139], v[138:139], v[142:143]
	v_mul_f64 v[142:143], v[140:141], v[138:139]
	v_fma_f64 v[136:137], -v[136:137], v[142:143], v[140:141]
	v_div_fmas_f64 v[136:137], v[136:137], v[138:139], v[142:143]
	v_div_fixup_f64 v[136:137], v[136:137], v[134:135], v[132:133]
	v_fmac_f64_e32 v[134:135], v[132:133], v[136:137]
	v_div_scale_f64 v[132:133], s[10:11], v[134:135], v[134:135], 1.0
	v_rcp_f64_e32 v[138:139], v[132:133]
	s_nop 0
	v_fma_f64 v[140:141], -v[132:133], v[138:139], 1.0
	v_fmac_f64_e32 v[138:139], v[138:139], v[140:141]
	v_fma_f64 v[140:141], -v[132:133], v[138:139], 1.0
	v_fmac_f64_e32 v[138:139], v[138:139], v[140:141]
	v_div_scale_f64 v[140:141], vcc, 1.0, v[134:135], 1.0
	v_mul_f64 v[142:143], v[140:141], v[138:139]
	v_fma_f64 v[132:133], -v[132:133], v[142:143], v[140:141]
	s_nop 1
	v_div_fmas_f64 v[132:133], v[132:133], v[138:139], v[142:143]
	v_div_fixup_f64 v[138:139], v[132:133], v[134:135], 1.0
	v_mul_f64 v[136:137], v[136:137], v[138:139]
	v_xor_b32_e32 v139, 0x80000000, v139
                                        ; implicit-def: $vgpr132_vgpr133
.LBB59_32:
	s_andn2_saveexec_b64 s[2:3], s[2:3]
	s_cbranch_execz .LBB59_34
; %bb.33:
	v_div_scale_f64 v[136:137], s[10:11], v[132:133], v[132:133], v[134:135]
	v_rcp_f64_e32 v[138:139], v[136:137]
	v_div_scale_f64 v[140:141], vcc, v[134:135], v[132:133], v[134:135]
	v_fma_f64 v[142:143], -v[136:137], v[138:139], 1.0
	v_fmac_f64_e32 v[138:139], v[138:139], v[142:143]
	v_fma_f64 v[142:143], -v[136:137], v[138:139], 1.0
	v_fmac_f64_e32 v[138:139], v[138:139], v[142:143]
	v_mul_f64 v[142:143], v[140:141], v[138:139]
	v_fma_f64 v[136:137], -v[136:137], v[142:143], v[140:141]
	v_div_fmas_f64 v[136:137], v[136:137], v[138:139], v[142:143]
	v_div_fixup_f64 v[138:139], v[136:137], v[132:133], v[134:135]
	v_fmac_f64_e32 v[132:133], v[134:135], v[138:139]
	v_div_scale_f64 v[134:135], s[10:11], v[132:133], v[132:133], 1.0
	v_rcp_f64_e32 v[136:137], v[134:135]
	s_nop 0
	v_fma_f64 v[140:141], -v[134:135], v[136:137], 1.0
	v_fmac_f64_e32 v[136:137], v[136:137], v[140:141]
	v_fma_f64 v[140:141], -v[134:135], v[136:137], 1.0
	v_fmac_f64_e32 v[136:137], v[136:137], v[140:141]
	v_div_scale_f64 v[140:141], vcc, 1.0, v[132:133], 1.0
	v_mul_f64 v[142:143], v[140:141], v[136:137]
	v_fma_f64 v[134:135], -v[134:135], v[142:143], v[140:141]
	s_nop 1
	v_div_fmas_f64 v[134:135], v[134:135], v[136:137], v[142:143]
	v_div_fixup_f64 v[136:137], v[134:135], v[132:133], 1.0
	v_mul_f64 v[138:139], v[138:139], -v[136:137]
.LBB59_34:
	s_or_b64 exec, exec, s[2:3]
	ds_write2_b64 v241, v[136:137], v[138:139] offset1:1
.LBB59_35:
	s_or_b64 exec, exec, s[4:5]
	s_waitcnt lgkmcnt(0)
	s_barrier
	ds_read2_b64 v[132:135], v241 offset1:1
	v_cmp_lt_u32_e32 vcc, 3, v240
	s_and_saveexec_b64 s[2:3], vcc
	s_cbranch_execz .LBB59_37
; %bb.36:
	ds_read2_b64 v[138:141], v254 offset0:8 offset1:9
	ds_read2_b64 v[142:145], v254 offset0:10 offset1:11
	s_waitcnt vmcnt(51) lgkmcnt(2)
	v_mul_f64 v[136:137], v[134:135], v[102:103]
	v_mul_f64 v[102:103], v[132:133], v[102:103]
	v_fmac_f64_e32 v[102:103], v[134:135], v[100:101]
	v_fma_f64 v[136:137], v[132:133], v[100:101], -v[136:137]
	s_waitcnt lgkmcnt(1)
	v_mul_f64 v[100:101], v[140:141], v[102:103]
	v_fma_f64 v[100:101], v[138:139], v[136:137], -v[100:101]
	v_mul_f64 v[138:139], v[138:139], v[102:103]
	v_fmac_f64_e32 v[138:139], v[140:141], v[136:137]
	s_waitcnt vmcnt(50)
	v_add_f64 v[96:97], v[96:97], -v[100:101]
	v_add_f64 v[98:99], v[98:99], -v[138:139]
	s_waitcnt lgkmcnt(0)
	v_mul_f64 v[100:101], v[144:145], v[102:103]
	ds_read2_b64 v[138:141], v254 offset0:12 offset1:13
	v_fma_f64 v[100:101], v[142:143], v[136:137], -v[100:101]
	v_mul_f64 v[142:143], v[142:143], v[102:103]
	v_fmac_f64_e32 v[142:143], v[144:145], v[136:137]
	s_waitcnt vmcnt(49)
	v_add_f64 v[94:95], v[94:95], -v[142:143]
	ds_read2_b64 v[142:145], v254 offset0:14 offset1:15
	v_add_f64 v[92:93], v[92:93], -v[100:101]
	s_waitcnt lgkmcnt(1)
	v_mul_f64 v[100:101], v[140:141], v[102:103]
	v_fma_f64 v[100:101], v[138:139], v[136:137], -v[100:101]
	v_mul_f64 v[138:139], v[138:139], v[102:103]
	v_fmac_f64_e32 v[138:139], v[140:141], v[136:137]
	s_waitcnt vmcnt(48)
	v_add_f64 v[88:89], v[88:89], -v[100:101]
	v_add_f64 v[90:91], v[90:91], -v[138:139]
	s_waitcnt lgkmcnt(0)
	v_mul_f64 v[100:101], v[144:145], v[102:103]
	ds_read2_b64 v[138:141], v254 offset0:16 offset1:17
	v_fma_f64 v[100:101], v[142:143], v[136:137], -v[100:101]
	v_mul_f64 v[142:143], v[142:143], v[102:103]
	v_fmac_f64_e32 v[142:143], v[144:145], v[136:137]
	s_waitcnt vmcnt(47)
	v_add_f64 v[86:87], v[86:87], -v[142:143]
	ds_read2_b64 v[142:145], v254 offset0:18 offset1:19
	v_add_f64 v[84:85], v[84:85], -v[100:101]
	;; [unrolled: 18-line block ×8, first 2 shown]
	s_waitcnt lgkmcnt(1)
	v_mul_f64 v[100:101], v[140:141], v[102:103]
	v_fma_f64 v[100:101], v[138:139], v[136:137], -v[100:101]
	v_mul_f64 v[138:139], v[138:139], v[102:103]
	v_fmac_f64_e32 v[138:139], v[140:141], v[136:137]
	s_waitcnt vmcnt(15)
	v_add_f64 v[32:33], v[32:33], -v[100:101]
	v_add_f64 v[34:35], v[34:35], -v[138:139]
	s_waitcnt lgkmcnt(0)
	v_mul_f64 v[100:101], v[144:145], v[102:103]
	ds_read2_b64 v[138:141], v254 offset0:44 offset1:45
	v_fma_f64 v[100:101], v[142:143], v[136:137], -v[100:101]
	v_mul_f64 v[142:143], v[142:143], v[102:103]
	v_fmac_f64_e32 v[142:143], v[144:145], v[136:137]
	v_add_f64 v[30:31], v[30:31], -v[142:143]
	ds_read2_b64 v[142:145], v254 offset0:46 offset1:47
	v_add_f64 v[28:29], v[28:29], -v[100:101]
	s_waitcnt lgkmcnt(1)
	v_mul_f64 v[100:101], v[140:141], v[102:103]
	v_fma_f64 v[100:101], v[138:139], v[136:137], -v[100:101]
	v_mul_f64 v[138:139], v[138:139], v[102:103]
	v_fmac_f64_e32 v[138:139], v[140:141], v[136:137]
	s_waitcnt vmcnt(13)
	v_add_f64 v[24:25], v[24:25], -v[100:101]
	v_add_f64 v[26:27], v[26:27], -v[138:139]
	s_waitcnt lgkmcnt(0)
	v_mul_f64 v[100:101], v[144:145], v[102:103]
	ds_read2_b64 v[138:141], v254 offset0:48 offset1:49
	v_fma_f64 v[100:101], v[142:143], v[136:137], -v[100:101]
	v_mul_f64 v[142:143], v[142:143], v[102:103]
	v_fmac_f64_e32 v[142:143], v[144:145], v[136:137]
	s_waitcnt vmcnt(12)
	v_add_f64 v[22:23], v[22:23], -v[142:143]
	ds_read2_b64 v[142:145], v254 offset0:50 offset1:51
	v_add_f64 v[20:21], v[20:21], -v[100:101]
	s_waitcnt lgkmcnt(1)
	v_mul_f64 v[100:101], v[140:141], v[102:103]
	v_fma_f64 v[100:101], v[138:139], v[136:137], -v[100:101]
	v_mul_f64 v[138:139], v[138:139], v[102:103]
	v_fmac_f64_e32 v[138:139], v[140:141], v[136:137]
	s_waitcnt vmcnt(11)
	v_add_f64 v[16:17], v[16:17], -v[100:101]
	v_add_f64 v[18:19], v[18:19], -v[138:139]
	s_waitcnt lgkmcnt(0)
	v_mul_f64 v[100:101], v[144:145], v[102:103]
	ds_read2_b64 v[138:141], v254 offset0:52 offset1:53
	v_fma_f64 v[100:101], v[142:143], v[136:137], -v[100:101]
	v_mul_f64 v[142:143], v[142:143], v[102:103]
	v_fmac_f64_e32 v[142:143], v[144:145], v[136:137]
	s_waitcnt vmcnt(10)
	;; [unrolled: 18-line block ×3, first 2 shown]
	v_add_f64 v[6:7], v[6:7], -v[142:143]
	ds_read2_b64 v[142:145], v254 offset0:58 offset1:59
	v_add_f64 v[4:5], v[4:5], -v[100:101]
	s_waitcnt lgkmcnt(1)
	v_mul_f64 v[100:101], v[140:141], v[102:103]
	v_fma_f64 v[100:101], v[138:139], v[136:137], -v[100:101]
	v_mul_f64 v[138:139], v[138:139], v[102:103]
	v_fmac_f64_e32 v[138:139], v[140:141], v[136:137]
	v_add_f64 v[0:1], v[0:1], -v[100:101]
	v_add_f64 v[2:3], v[2:3], -v[138:139]
	s_waitcnt lgkmcnt(0)
	v_mul_f64 v[100:101], v[144:145], v[102:103]
	v_mul_f64 v[138:139], v[142:143], v[102:103]
	v_fma_f64 v[100:101], v[142:143], v[136:137], -v[100:101]
	v_fmac_f64_e32 v[138:139], v[144:145], v[136:137]
	s_waitcnt vmcnt(7)
	v_add_f64 v[116:117], v[116:117], -v[100:101]
	v_add_f64 v[118:119], v[118:119], -v[138:139]
	v_mov_b64_e32 v[100:101], v[136:137]
.LBB59_37:
	s_or_b64 exec, exec, s[2:3]
	v_cmp_eq_u32_e32 vcc, 4, v240
	s_waitcnt lgkmcnt(0)
	s_barrier
	s_and_saveexec_b64 s[4:5], vcc
	s_cbranch_execz .LBB59_44
; %bb.38:
	s_waitcnt vmcnt(50)
	ds_write2_b64 v241, v[96:97], v[98:99] offset1:1
	s_waitcnt vmcnt(49)
	ds_write2_b64 v254, v[92:93], v[94:95] offset0:10 offset1:11
	s_waitcnt vmcnt(48)
	ds_write2_b64 v254, v[88:89], v[90:91] offset0:12 offset1:13
	s_waitcnt vmcnt(47)
	ds_write2_b64 v254, v[84:85], v[86:87] offset0:14 offset1:15
	s_waitcnt vmcnt(46)
	ds_write2_b64 v254, v[80:81], v[82:83] offset0:16 offset1:17
	s_waitcnt vmcnt(45)
	ds_write2_b64 v254, v[76:77], v[78:79] offset0:18 offset1:19
	s_waitcnt vmcnt(44)
	ds_write2_b64 v254, v[72:73], v[74:75] offset0:20 offset1:21
	s_waitcnt vmcnt(43)
	ds_write2_b64 v254, v[68:69], v[70:71] offset0:22 offset1:23
	s_waitcnt vmcnt(42)
	ds_write2_b64 v254, v[64:65], v[66:67] offset0:24 offset1:25
	s_waitcnt vmcnt(41)
	ds_write2_b64 v254, v[60:61], v[62:63] offset0:26 offset1:27
	s_waitcnt vmcnt(40)
	ds_write2_b64 v254, v[56:57], v[58:59] offset0:28 offset1:29
	s_waitcnt vmcnt(39)
	ds_write2_b64 v254, v[52:53], v[54:55] offset0:30 offset1:31
	s_waitcnt vmcnt(38)
	ds_write2_b64 v254, v[48:49], v[50:51] offset0:32 offset1:33
	s_waitcnt vmcnt(37)
	ds_write2_b64 v254, v[44:45], v[46:47] offset0:34 offset1:35
	s_waitcnt vmcnt(36)
	ds_write2_b64 v254, v[40:41], v[42:43] offset0:36 offset1:37
	s_waitcnt vmcnt(35)
	ds_write2_b64 v254, v[36:37], v[38:39] offset0:38 offset1:39
	s_waitcnt vmcnt(15)
	ds_write2_b64 v254, v[32:33], v[34:35] offset0:40 offset1:41
	ds_write2_b64 v254, v[28:29], v[30:31] offset0:42 offset1:43
	s_waitcnt vmcnt(13)
	ds_write2_b64 v254, v[24:25], v[26:27] offset0:44 offset1:45
	s_waitcnt vmcnt(12)
	;; [unrolled: 2-line block ×6, first 2 shown]
	ds_write2_b64 v254, v[4:5], v[6:7] offset0:54 offset1:55
	ds_write2_b64 v254, v[0:1], v[2:3] offset0:56 offset1:57
	s_waitcnt vmcnt(7)
	ds_write2_b64 v254, v[116:117], v[118:119] offset0:58 offset1:59
	ds_read2_b64 v[136:139], v241 offset1:1
	s_waitcnt lgkmcnt(0)
	v_cmp_neq_f64_e32 vcc, 0, v[136:137]
	v_cmp_neq_f64_e64 s[2:3], 0, v[138:139]
	s_or_b64 s[2:3], vcc, s[2:3]
	s_and_b64 exec, exec, s[2:3]
	s_cbranch_execz .LBB59_44
; %bb.39:
	v_cmp_ngt_f64_e64 s[2:3], |v[136:137]|, |v[138:139]|
                                        ; implicit-def: $vgpr140_vgpr141
	s_and_saveexec_b64 s[10:11], s[2:3]
	s_xor_b64 s[2:3], exec, s[10:11]
                                        ; implicit-def: $vgpr142_vgpr143
	s_cbranch_execz .LBB59_41
; %bb.40:
	v_div_scale_f64 v[140:141], s[10:11], v[138:139], v[138:139], v[136:137]
	v_rcp_f64_e32 v[142:143], v[140:141]
	v_div_scale_f64 v[144:145], vcc, v[136:137], v[138:139], v[136:137]
	v_fma_f64 v[146:147], -v[140:141], v[142:143], 1.0
	v_fmac_f64_e32 v[142:143], v[142:143], v[146:147]
	v_fma_f64 v[146:147], -v[140:141], v[142:143], 1.0
	v_fmac_f64_e32 v[142:143], v[142:143], v[146:147]
	v_mul_f64 v[146:147], v[144:145], v[142:143]
	v_fma_f64 v[140:141], -v[140:141], v[146:147], v[144:145]
	v_div_fmas_f64 v[140:141], v[140:141], v[142:143], v[146:147]
	v_div_fixup_f64 v[140:141], v[140:141], v[138:139], v[136:137]
	v_fmac_f64_e32 v[138:139], v[136:137], v[140:141]
	v_div_scale_f64 v[136:137], s[10:11], v[138:139], v[138:139], 1.0
	v_rcp_f64_e32 v[142:143], v[136:137]
	s_nop 0
	v_fma_f64 v[144:145], -v[136:137], v[142:143], 1.0
	v_fmac_f64_e32 v[142:143], v[142:143], v[144:145]
	v_fma_f64 v[144:145], -v[136:137], v[142:143], 1.0
	v_fmac_f64_e32 v[142:143], v[142:143], v[144:145]
	v_div_scale_f64 v[144:145], vcc, 1.0, v[138:139], 1.0
	v_mul_f64 v[146:147], v[144:145], v[142:143]
	v_fma_f64 v[136:137], -v[136:137], v[146:147], v[144:145]
	s_nop 1
	v_div_fmas_f64 v[136:137], v[136:137], v[142:143], v[146:147]
	v_div_fixup_f64 v[142:143], v[136:137], v[138:139], 1.0
	v_mul_f64 v[140:141], v[140:141], v[142:143]
	v_xor_b32_e32 v143, 0x80000000, v143
                                        ; implicit-def: $vgpr136_vgpr137
.LBB59_41:
	s_andn2_saveexec_b64 s[2:3], s[2:3]
	s_cbranch_execz .LBB59_43
; %bb.42:
	v_div_scale_f64 v[140:141], s[10:11], v[136:137], v[136:137], v[138:139]
	v_rcp_f64_e32 v[142:143], v[140:141]
	v_div_scale_f64 v[144:145], vcc, v[138:139], v[136:137], v[138:139]
	v_fma_f64 v[146:147], -v[140:141], v[142:143], 1.0
	v_fmac_f64_e32 v[142:143], v[142:143], v[146:147]
	v_fma_f64 v[146:147], -v[140:141], v[142:143], 1.0
	v_fmac_f64_e32 v[142:143], v[142:143], v[146:147]
	v_mul_f64 v[146:147], v[144:145], v[142:143]
	v_fma_f64 v[140:141], -v[140:141], v[146:147], v[144:145]
	v_div_fmas_f64 v[140:141], v[140:141], v[142:143], v[146:147]
	v_div_fixup_f64 v[142:143], v[140:141], v[136:137], v[138:139]
	v_fmac_f64_e32 v[136:137], v[138:139], v[142:143]
	v_div_scale_f64 v[138:139], s[10:11], v[136:137], v[136:137], 1.0
	v_rcp_f64_e32 v[140:141], v[138:139]
	s_nop 0
	v_fma_f64 v[144:145], -v[138:139], v[140:141], 1.0
	v_fmac_f64_e32 v[140:141], v[140:141], v[144:145]
	v_fma_f64 v[144:145], -v[138:139], v[140:141], 1.0
	v_fmac_f64_e32 v[140:141], v[140:141], v[144:145]
	v_div_scale_f64 v[144:145], vcc, 1.0, v[136:137], 1.0
	v_mul_f64 v[146:147], v[144:145], v[140:141]
	v_fma_f64 v[138:139], -v[138:139], v[146:147], v[144:145]
	s_nop 1
	v_div_fmas_f64 v[138:139], v[138:139], v[140:141], v[146:147]
	v_div_fixup_f64 v[140:141], v[138:139], v[136:137], 1.0
	v_mul_f64 v[142:143], v[142:143], -v[140:141]
.LBB59_43:
	s_or_b64 exec, exec, s[2:3]
	ds_write2_b64 v241, v[140:141], v[142:143] offset1:1
.LBB59_44:
	s_or_b64 exec, exec, s[4:5]
	s_waitcnt lgkmcnt(0)
	s_barrier
	ds_read2_b64 v[136:139], v241 offset1:1
	v_cmp_lt_u32_e32 vcc, 4, v240
	s_and_saveexec_b64 s[2:3], vcc
	s_cbranch_execz .LBB59_46
; %bb.45:
	ds_read2_b64 v[142:145], v254 offset0:10 offset1:11
	ds_read2_b64 v[146:149], v254 offset0:12 offset1:13
	s_waitcnt vmcnt(50) lgkmcnt(2)
	v_mul_f64 v[140:141], v[138:139], v[98:99]
	v_mul_f64 v[98:99], v[136:137], v[98:99]
	v_fmac_f64_e32 v[98:99], v[138:139], v[96:97]
	v_fma_f64 v[140:141], v[136:137], v[96:97], -v[140:141]
	s_waitcnt lgkmcnt(1)
	v_mul_f64 v[96:97], v[144:145], v[98:99]
	v_fma_f64 v[96:97], v[142:143], v[140:141], -v[96:97]
	v_mul_f64 v[142:143], v[142:143], v[98:99]
	v_fmac_f64_e32 v[142:143], v[144:145], v[140:141]
	s_waitcnt vmcnt(49)
	v_add_f64 v[94:95], v[94:95], -v[142:143]
	ds_read2_b64 v[142:145], v254 offset0:14 offset1:15
	v_add_f64 v[92:93], v[92:93], -v[96:97]
	s_waitcnt lgkmcnt(1)
	v_mul_f64 v[96:97], v[148:149], v[98:99]
	v_fma_f64 v[96:97], v[146:147], v[140:141], -v[96:97]
	v_mul_f64 v[146:147], v[146:147], v[98:99]
	v_fmac_f64_e32 v[146:147], v[148:149], v[140:141]
	s_waitcnt vmcnt(48)
	v_add_f64 v[88:89], v[88:89], -v[96:97]
	v_add_f64 v[90:91], v[90:91], -v[146:147]
	ds_read2_b64 v[146:149], v254 offset0:16 offset1:17
	s_waitcnt lgkmcnt(1)
	v_mul_f64 v[96:97], v[144:145], v[98:99]
	v_fma_f64 v[96:97], v[142:143], v[140:141], -v[96:97]
	v_mul_f64 v[142:143], v[142:143], v[98:99]
	v_fmac_f64_e32 v[142:143], v[144:145], v[140:141]
	s_waitcnt vmcnt(47)
	v_add_f64 v[86:87], v[86:87], -v[142:143]
	ds_read2_b64 v[142:145], v254 offset0:18 offset1:19
	v_add_f64 v[84:85], v[84:85], -v[96:97]
	s_waitcnt lgkmcnt(1)
	v_mul_f64 v[96:97], v[148:149], v[98:99]
	v_fma_f64 v[96:97], v[146:147], v[140:141], -v[96:97]
	v_mul_f64 v[146:147], v[146:147], v[98:99]
	v_fmac_f64_e32 v[146:147], v[148:149], v[140:141]
	s_waitcnt vmcnt(46)
	v_add_f64 v[80:81], v[80:81], -v[96:97]
	v_add_f64 v[82:83], v[82:83], -v[146:147]
	ds_read2_b64 v[146:149], v254 offset0:20 offset1:21
	s_waitcnt lgkmcnt(1)
	v_mul_f64 v[96:97], v[144:145], v[98:99]
	v_fma_f64 v[96:97], v[142:143], v[140:141], -v[96:97]
	v_mul_f64 v[142:143], v[142:143], v[98:99]
	v_fmac_f64_e32 v[142:143], v[144:145], v[140:141]
	s_waitcnt vmcnt(45)
	v_add_f64 v[78:79], v[78:79], -v[142:143]
	ds_read2_b64 v[142:145], v254 offset0:22 offset1:23
	v_add_f64 v[76:77], v[76:77], -v[96:97]
	s_waitcnt lgkmcnt(1)
	v_mul_f64 v[96:97], v[148:149], v[98:99]
	v_fma_f64 v[96:97], v[146:147], v[140:141], -v[96:97]
	v_mul_f64 v[146:147], v[146:147], v[98:99]
	v_fmac_f64_e32 v[146:147], v[148:149], v[140:141]
	s_waitcnt vmcnt(44)
	v_add_f64 v[72:73], v[72:73], -v[96:97]
	v_add_f64 v[74:75], v[74:75], -v[146:147]
	ds_read2_b64 v[146:149], v254 offset0:24 offset1:25
	s_waitcnt lgkmcnt(1)
	v_mul_f64 v[96:97], v[144:145], v[98:99]
	v_fma_f64 v[96:97], v[142:143], v[140:141], -v[96:97]
	v_mul_f64 v[142:143], v[142:143], v[98:99]
	v_fmac_f64_e32 v[142:143], v[144:145], v[140:141]
	s_waitcnt vmcnt(43)
	v_add_f64 v[70:71], v[70:71], -v[142:143]
	ds_read2_b64 v[142:145], v254 offset0:26 offset1:27
	v_add_f64 v[68:69], v[68:69], -v[96:97]
	s_waitcnt lgkmcnt(1)
	v_mul_f64 v[96:97], v[148:149], v[98:99]
	v_fma_f64 v[96:97], v[146:147], v[140:141], -v[96:97]
	v_mul_f64 v[146:147], v[146:147], v[98:99]
	v_fmac_f64_e32 v[146:147], v[148:149], v[140:141]
	s_waitcnt vmcnt(42)
	v_add_f64 v[64:65], v[64:65], -v[96:97]
	v_add_f64 v[66:67], v[66:67], -v[146:147]
	ds_read2_b64 v[146:149], v254 offset0:28 offset1:29
	s_waitcnt lgkmcnt(1)
	v_mul_f64 v[96:97], v[144:145], v[98:99]
	v_fma_f64 v[96:97], v[142:143], v[140:141], -v[96:97]
	v_mul_f64 v[142:143], v[142:143], v[98:99]
	v_fmac_f64_e32 v[142:143], v[144:145], v[140:141]
	s_waitcnt vmcnt(41)
	v_add_f64 v[62:63], v[62:63], -v[142:143]
	ds_read2_b64 v[142:145], v254 offset0:30 offset1:31
	v_add_f64 v[60:61], v[60:61], -v[96:97]
	s_waitcnt lgkmcnt(1)
	v_mul_f64 v[96:97], v[148:149], v[98:99]
	v_fma_f64 v[96:97], v[146:147], v[140:141], -v[96:97]
	v_mul_f64 v[146:147], v[146:147], v[98:99]
	v_fmac_f64_e32 v[146:147], v[148:149], v[140:141]
	s_waitcnt vmcnt(40)
	v_add_f64 v[56:57], v[56:57], -v[96:97]
	v_add_f64 v[58:59], v[58:59], -v[146:147]
	ds_read2_b64 v[146:149], v254 offset0:32 offset1:33
	s_waitcnt lgkmcnt(1)
	v_mul_f64 v[96:97], v[144:145], v[98:99]
	v_fma_f64 v[96:97], v[142:143], v[140:141], -v[96:97]
	v_mul_f64 v[142:143], v[142:143], v[98:99]
	v_fmac_f64_e32 v[142:143], v[144:145], v[140:141]
	s_waitcnt vmcnt(39)
	v_add_f64 v[54:55], v[54:55], -v[142:143]
	ds_read2_b64 v[142:145], v254 offset0:34 offset1:35
	v_add_f64 v[52:53], v[52:53], -v[96:97]
	s_waitcnt lgkmcnt(1)
	v_mul_f64 v[96:97], v[148:149], v[98:99]
	v_fma_f64 v[96:97], v[146:147], v[140:141], -v[96:97]
	v_mul_f64 v[146:147], v[146:147], v[98:99]
	v_fmac_f64_e32 v[146:147], v[148:149], v[140:141]
	s_waitcnt vmcnt(38)
	v_add_f64 v[48:49], v[48:49], -v[96:97]
	v_add_f64 v[50:51], v[50:51], -v[146:147]
	ds_read2_b64 v[146:149], v254 offset0:36 offset1:37
	s_waitcnt lgkmcnt(1)
	v_mul_f64 v[96:97], v[144:145], v[98:99]
	v_fma_f64 v[96:97], v[142:143], v[140:141], -v[96:97]
	v_mul_f64 v[142:143], v[142:143], v[98:99]
	v_fmac_f64_e32 v[142:143], v[144:145], v[140:141]
	s_waitcnt vmcnt(37)
	v_add_f64 v[46:47], v[46:47], -v[142:143]
	ds_read2_b64 v[142:145], v254 offset0:38 offset1:39
	v_add_f64 v[44:45], v[44:45], -v[96:97]
	s_waitcnt lgkmcnt(1)
	v_mul_f64 v[96:97], v[148:149], v[98:99]
	v_fma_f64 v[96:97], v[146:147], v[140:141], -v[96:97]
	v_mul_f64 v[146:147], v[146:147], v[98:99]
	v_fmac_f64_e32 v[146:147], v[148:149], v[140:141]
	s_waitcnt vmcnt(36)
	v_add_f64 v[40:41], v[40:41], -v[96:97]
	v_add_f64 v[42:43], v[42:43], -v[146:147]
	ds_read2_b64 v[146:149], v254 offset0:40 offset1:41
	s_waitcnt lgkmcnt(1)
	v_mul_f64 v[96:97], v[144:145], v[98:99]
	v_fma_f64 v[96:97], v[142:143], v[140:141], -v[96:97]
	v_mul_f64 v[142:143], v[142:143], v[98:99]
	v_fmac_f64_e32 v[142:143], v[144:145], v[140:141]
	s_waitcnt vmcnt(35)
	v_add_f64 v[38:39], v[38:39], -v[142:143]
	ds_read2_b64 v[142:145], v254 offset0:42 offset1:43
	v_add_f64 v[36:37], v[36:37], -v[96:97]
	s_waitcnt lgkmcnt(1)
	v_mul_f64 v[96:97], v[148:149], v[98:99]
	v_fma_f64 v[96:97], v[146:147], v[140:141], -v[96:97]
	v_mul_f64 v[146:147], v[146:147], v[98:99]
	v_fmac_f64_e32 v[146:147], v[148:149], v[140:141]
	s_waitcnt vmcnt(15)
	v_add_f64 v[32:33], v[32:33], -v[96:97]
	v_add_f64 v[34:35], v[34:35], -v[146:147]
	ds_read2_b64 v[146:149], v254 offset0:44 offset1:45
	s_waitcnt lgkmcnt(1)
	v_mul_f64 v[96:97], v[144:145], v[98:99]
	v_fma_f64 v[96:97], v[142:143], v[140:141], -v[96:97]
	v_mul_f64 v[142:143], v[142:143], v[98:99]
	v_fmac_f64_e32 v[142:143], v[144:145], v[140:141]
	v_add_f64 v[30:31], v[30:31], -v[142:143]
	ds_read2_b64 v[142:145], v254 offset0:46 offset1:47
	v_add_f64 v[28:29], v[28:29], -v[96:97]
	s_waitcnt lgkmcnt(1)
	v_mul_f64 v[96:97], v[148:149], v[98:99]
	v_fma_f64 v[96:97], v[146:147], v[140:141], -v[96:97]
	v_mul_f64 v[146:147], v[146:147], v[98:99]
	v_fmac_f64_e32 v[146:147], v[148:149], v[140:141]
	s_waitcnt vmcnt(13)
	v_add_f64 v[24:25], v[24:25], -v[96:97]
	v_add_f64 v[26:27], v[26:27], -v[146:147]
	ds_read2_b64 v[146:149], v254 offset0:48 offset1:49
	s_waitcnt lgkmcnt(1)
	v_mul_f64 v[96:97], v[144:145], v[98:99]
	v_fma_f64 v[96:97], v[142:143], v[140:141], -v[96:97]
	v_mul_f64 v[142:143], v[142:143], v[98:99]
	v_fmac_f64_e32 v[142:143], v[144:145], v[140:141]
	s_waitcnt vmcnt(12)
	v_add_f64 v[22:23], v[22:23], -v[142:143]
	ds_read2_b64 v[142:145], v254 offset0:50 offset1:51
	v_add_f64 v[20:21], v[20:21], -v[96:97]
	s_waitcnt lgkmcnt(1)
	v_mul_f64 v[96:97], v[148:149], v[98:99]
	v_fma_f64 v[96:97], v[146:147], v[140:141], -v[96:97]
	v_mul_f64 v[146:147], v[146:147], v[98:99]
	v_fmac_f64_e32 v[146:147], v[148:149], v[140:141]
	s_waitcnt vmcnt(11)
	v_add_f64 v[16:17], v[16:17], -v[96:97]
	v_add_f64 v[18:19], v[18:19], -v[146:147]
	ds_read2_b64 v[146:149], v254 offset0:52 offset1:53
	s_waitcnt lgkmcnt(1)
	v_mul_f64 v[96:97], v[144:145], v[98:99]
	v_fma_f64 v[96:97], v[142:143], v[140:141], -v[96:97]
	v_mul_f64 v[142:143], v[142:143], v[98:99]
	v_fmac_f64_e32 v[142:143], v[144:145], v[140:141]
	s_waitcnt vmcnt(10)
	;; [unrolled: 18-line block ×3, first 2 shown]
	v_add_f64 v[6:7], v[6:7], -v[142:143]
	ds_read2_b64 v[142:145], v254 offset0:58 offset1:59
	v_add_f64 v[4:5], v[4:5], -v[96:97]
	s_waitcnt lgkmcnt(1)
	v_mul_f64 v[96:97], v[148:149], v[98:99]
	v_fma_f64 v[96:97], v[146:147], v[140:141], -v[96:97]
	v_add_f64 v[0:1], v[0:1], -v[96:97]
	s_waitcnt lgkmcnt(0)
	v_mul_f64 v[96:97], v[144:145], v[98:99]
	v_mul_f64 v[146:147], v[146:147], v[98:99]
	v_fma_f64 v[96:97], v[142:143], v[140:141], -v[96:97]
	v_mul_f64 v[142:143], v[142:143], v[98:99]
	v_fmac_f64_e32 v[146:147], v[148:149], v[140:141]
	v_fmac_f64_e32 v[142:143], v[144:145], v[140:141]
	v_add_f64 v[2:3], v[2:3], -v[146:147]
	s_waitcnt vmcnt(7)
	v_add_f64 v[116:117], v[116:117], -v[96:97]
	v_add_f64 v[118:119], v[118:119], -v[142:143]
	v_mov_b64_e32 v[96:97], v[140:141]
.LBB59_46:
	s_or_b64 exec, exec, s[2:3]
	v_cmp_eq_u32_e32 vcc, 5, v240
	s_waitcnt lgkmcnt(0)
	s_barrier
	s_and_saveexec_b64 s[4:5], vcc
	s_cbranch_execz .LBB59_53
; %bb.47:
	s_waitcnt vmcnt(49)
	ds_write2_b64 v241, v[92:93], v[94:95] offset1:1
	s_waitcnt vmcnt(48)
	ds_write2_b64 v254, v[88:89], v[90:91] offset0:12 offset1:13
	s_waitcnt vmcnt(47)
	ds_write2_b64 v254, v[84:85], v[86:87] offset0:14 offset1:15
	;; [unrolled: 2-line block ×15, first 2 shown]
	ds_write2_b64 v254, v[28:29], v[30:31] offset0:42 offset1:43
	s_waitcnt vmcnt(13)
	ds_write2_b64 v254, v[24:25], v[26:27] offset0:44 offset1:45
	s_waitcnt vmcnt(12)
	;; [unrolled: 2-line block ×6, first 2 shown]
	ds_write2_b64 v254, v[4:5], v[6:7] offset0:54 offset1:55
	ds_write2_b64 v254, v[0:1], v[2:3] offset0:56 offset1:57
	s_waitcnt vmcnt(7)
	ds_write2_b64 v254, v[116:117], v[118:119] offset0:58 offset1:59
	ds_read2_b64 v[140:143], v241 offset1:1
	s_waitcnt lgkmcnt(0)
	v_cmp_neq_f64_e32 vcc, 0, v[140:141]
	v_cmp_neq_f64_e64 s[2:3], 0, v[142:143]
	s_or_b64 s[2:3], vcc, s[2:3]
	s_and_b64 exec, exec, s[2:3]
	s_cbranch_execz .LBB59_53
; %bb.48:
	v_cmp_ngt_f64_e64 s[2:3], |v[140:141]|, |v[142:143]|
                                        ; implicit-def: $vgpr144_vgpr145
	s_and_saveexec_b64 s[10:11], s[2:3]
	s_xor_b64 s[2:3], exec, s[10:11]
                                        ; implicit-def: $vgpr146_vgpr147
	s_cbranch_execz .LBB59_50
; %bb.49:
	v_div_scale_f64 v[144:145], s[10:11], v[142:143], v[142:143], v[140:141]
	v_rcp_f64_e32 v[146:147], v[144:145]
	v_div_scale_f64 v[148:149], vcc, v[140:141], v[142:143], v[140:141]
	v_fma_f64 v[150:151], -v[144:145], v[146:147], 1.0
	v_fmac_f64_e32 v[146:147], v[146:147], v[150:151]
	v_fma_f64 v[150:151], -v[144:145], v[146:147], 1.0
	v_fmac_f64_e32 v[146:147], v[146:147], v[150:151]
	v_mul_f64 v[150:151], v[148:149], v[146:147]
	v_fma_f64 v[144:145], -v[144:145], v[150:151], v[148:149]
	v_div_fmas_f64 v[144:145], v[144:145], v[146:147], v[150:151]
	v_div_fixup_f64 v[144:145], v[144:145], v[142:143], v[140:141]
	v_fmac_f64_e32 v[142:143], v[140:141], v[144:145]
	v_div_scale_f64 v[140:141], s[10:11], v[142:143], v[142:143], 1.0
	v_rcp_f64_e32 v[146:147], v[140:141]
	s_nop 0
	v_fma_f64 v[148:149], -v[140:141], v[146:147], 1.0
	v_fmac_f64_e32 v[146:147], v[146:147], v[148:149]
	v_fma_f64 v[148:149], -v[140:141], v[146:147], 1.0
	v_fmac_f64_e32 v[146:147], v[146:147], v[148:149]
	v_div_scale_f64 v[148:149], vcc, 1.0, v[142:143], 1.0
	v_mul_f64 v[150:151], v[148:149], v[146:147]
	v_fma_f64 v[140:141], -v[140:141], v[150:151], v[148:149]
	s_nop 1
	v_div_fmas_f64 v[140:141], v[140:141], v[146:147], v[150:151]
	v_div_fixup_f64 v[146:147], v[140:141], v[142:143], 1.0
	v_mul_f64 v[144:145], v[144:145], v[146:147]
	v_xor_b32_e32 v147, 0x80000000, v147
                                        ; implicit-def: $vgpr140_vgpr141
.LBB59_50:
	s_andn2_saveexec_b64 s[2:3], s[2:3]
	s_cbranch_execz .LBB59_52
; %bb.51:
	v_div_scale_f64 v[144:145], s[10:11], v[140:141], v[140:141], v[142:143]
	v_rcp_f64_e32 v[146:147], v[144:145]
	v_div_scale_f64 v[148:149], vcc, v[142:143], v[140:141], v[142:143]
	v_fma_f64 v[150:151], -v[144:145], v[146:147], 1.0
	v_fmac_f64_e32 v[146:147], v[146:147], v[150:151]
	v_fma_f64 v[150:151], -v[144:145], v[146:147], 1.0
	v_fmac_f64_e32 v[146:147], v[146:147], v[150:151]
	v_mul_f64 v[150:151], v[148:149], v[146:147]
	v_fma_f64 v[144:145], -v[144:145], v[150:151], v[148:149]
	v_div_fmas_f64 v[144:145], v[144:145], v[146:147], v[150:151]
	v_div_fixup_f64 v[146:147], v[144:145], v[140:141], v[142:143]
	v_fmac_f64_e32 v[140:141], v[142:143], v[146:147]
	v_div_scale_f64 v[142:143], s[10:11], v[140:141], v[140:141], 1.0
	v_rcp_f64_e32 v[144:145], v[142:143]
	s_nop 0
	v_fma_f64 v[148:149], -v[142:143], v[144:145], 1.0
	v_fmac_f64_e32 v[144:145], v[144:145], v[148:149]
	v_fma_f64 v[148:149], -v[142:143], v[144:145], 1.0
	v_fmac_f64_e32 v[144:145], v[144:145], v[148:149]
	v_div_scale_f64 v[148:149], vcc, 1.0, v[140:141], 1.0
	v_mul_f64 v[150:151], v[148:149], v[144:145]
	v_fma_f64 v[142:143], -v[142:143], v[150:151], v[148:149]
	s_nop 1
	v_div_fmas_f64 v[142:143], v[142:143], v[144:145], v[150:151]
	v_div_fixup_f64 v[144:145], v[142:143], v[140:141], 1.0
	v_mul_f64 v[146:147], v[146:147], -v[144:145]
.LBB59_52:
	s_or_b64 exec, exec, s[2:3]
	ds_write2_b64 v241, v[144:145], v[146:147] offset1:1
.LBB59_53:
	s_or_b64 exec, exec, s[4:5]
	s_waitcnt lgkmcnt(0)
	s_barrier
	ds_read2_b64 v[140:143], v241 offset1:1
	v_cmp_lt_u32_e32 vcc, 5, v240
	s_and_saveexec_b64 s[2:3], vcc
	s_cbranch_execz .LBB59_55
; %bb.54:
	ds_read2_b64 v[146:149], v254 offset0:12 offset1:13
	ds_read2_b64 v[150:153], v254 offset0:14 offset1:15
	s_waitcnt vmcnt(49) lgkmcnt(2)
	v_mul_f64 v[144:145], v[142:143], v[94:95]
	v_mul_f64 v[94:95], v[140:141], v[94:95]
	v_fmac_f64_e32 v[94:95], v[142:143], v[92:93]
	v_fma_f64 v[144:145], v[140:141], v[92:93], -v[144:145]
	s_waitcnt lgkmcnt(1)
	v_mul_f64 v[92:93], v[148:149], v[94:95]
	v_fma_f64 v[92:93], v[146:147], v[144:145], -v[92:93]
	v_mul_f64 v[146:147], v[146:147], v[94:95]
	v_fmac_f64_e32 v[146:147], v[148:149], v[144:145]
	s_waitcnt vmcnt(48)
	v_add_f64 v[88:89], v[88:89], -v[92:93]
	v_add_f64 v[90:91], v[90:91], -v[146:147]
	s_waitcnt lgkmcnt(0)
	v_mul_f64 v[92:93], v[152:153], v[94:95]
	ds_read2_b64 v[146:149], v254 offset0:16 offset1:17
	v_fma_f64 v[92:93], v[150:151], v[144:145], -v[92:93]
	v_mul_f64 v[150:151], v[150:151], v[94:95]
	v_fmac_f64_e32 v[150:151], v[152:153], v[144:145]
	s_waitcnt vmcnt(47)
	v_add_f64 v[86:87], v[86:87], -v[150:151]
	ds_read2_b64 v[150:153], v254 offset0:18 offset1:19
	v_add_f64 v[84:85], v[84:85], -v[92:93]
	s_waitcnt lgkmcnt(1)
	v_mul_f64 v[92:93], v[148:149], v[94:95]
	v_fma_f64 v[92:93], v[146:147], v[144:145], -v[92:93]
	v_mul_f64 v[146:147], v[146:147], v[94:95]
	v_fmac_f64_e32 v[146:147], v[148:149], v[144:145]
	s_waitcnt vmcnt(46)
	v_add_f64 v[80:81], v[80:81], -v[92:93]
	v_add_f64 v[82:83], v[82:83], -v[146:147]
	s_waitcnt lgkmcnt(0)
	v_mul_f64 v[92:93], v[152:153], v[94:95]
	ds_read2_b64 v[146:149], v254 offset0:20 offset1:21
	v_fma_f64 v[92:93], v[150:151], v[144:145], -v[92:93]
	v_mul_f64 v[150:151], v[150:151], v[94:95]
	v_fmac_f64_e32 v[150:151], v[152:153], v[144:145]
	s_waitcnt vmcnt(45)
	v_add_f64 v[78:79], v[78:79], -v[150:151]
	ds_read2_b64 v[150:153], v254 offset0:22 offset1:23
	v_add_f64 v[76:77], v[76:77], -v[92:93]
	;; [unrolled: 18-line block ×7, first 2 shown]
	s_waitcnt lgkmcnt(1)
	v_mul_f64 v[92:93], v[148:149], v[94:95]
	v_fma_f64 v[92:93], v[146:147], v[144:145], -v[92:93]
	v_mul_f64 v[146:147], v[146:147], v[94:95]
	v_fmac_f64_e32 v[146:147], v[148:149], v[144:145]
	s_waitcnt vmcnt(15)
	v_add_f64 v[32:33], v[32:33], -v[92:93]
	v_add_f64 v[34:35], v[34:35], -v[146:147]
	s_waitcnt lgkmcnt(0)
	v_mul_f64 v[92:93], v[152:153], v[94:95]
	ds_read2_b64 v[146:149], v254 offset0:44 offset1:45
	v_fma_f64 v[92:93], v[150:151], v[144:145], -v[92:93]
	v_mul_f64 v[150:151], v[150:151], v[94:95]
	v_fmac_f64_e32 v[150:151], v[152:153], v[144:145]
	v_add_f64 v[30:31], v[30:31], -v[150:151]
	ds_read2_b64 v[150:153], v254 offset0:46 offset1:47
	v_add_f64 v[28:29], v[28:29], -v[92:93]
	s_waitcnt lgkmcnt(1)
	v_mul_f64 v[92:93], v[148:149], v[94:95]
	v_fma_f64 v[92:93], v[146:147], v[144:145], -v[92:93]
	v_mul_f64 v[146:147], v[146:147], v[94:95]
	v_fmac_f64_e32 v[146:147], v[148:149], v[144:145]
	s_waitcnt vmcnt(13)
	v_add_f64 v[24:25], v[24:25], -v[92:93]
	v_add_f64 v[26:27], v[26:27], -v[146:147]
	s_waitcnt lgkmcnt(0)
	v_mul_f64 v[92:93], v[152:153], v[94:95]
	ds_read2_b64 v[146:149], v254 offset0:48 offset1:49
	v_fma_f64 v[92:93], v[150:151], v[144:145], -v[92:93]
	v_mul_f64 v[150:151], v[150:151], v[94:95]
	v_fmac_f64_e32 v[150:151], v[152:153], v[144:145]
	s_waitcnt vmcnt(12)
	v_add_f64 v[22:23], v[22:23], -v[150:151]
	ds_read2_b64 v[150:153], v254 offset0:50 offset1:51
	v_add_f64 v[20:21], v[20:21], -v[92:93]
	s_waitcnt lgkmcnt(1)
	v_mul_f64 v[92:93], v[148:149], v[94:95]
	v_fma_f64 v[92:93], v[146:147], v[144:145], -v[92:93]
	v_mul_f64 v[146:147], v[146:147], v[94:95]
	v_fmac_f64_e32 v[146:147], v[148:149], v[144:145]
	s_waitcnt vmcnt(11)
	v_add_f64 v[16:17], v[16:17], -v[92:93]
	v_add_f64 v[18:19], v[18:19], -v[146:147]
	s_waitcnt lgkmcnt(0)
	v_mul_f64 v[92:93], v[152:153], v[94:95]
	ds_read2_b64 v[146:149], v254 offset0:52 offset1:53
	v_fma_f64 v[92:93], v[150:151], v[144:145], -v[92:93]
	v_mul_f64 v[150:151], v[150:151], v[94:95]
	v_fmac_f64_e32 v[150:151], v[152:153], v[144:145]
	s_waitcnt vmcnt(10)
	;; [unrolled: 18-line block ×3, first 2 shown]
	v_add_f64 v[6:7], v[6:7], -v[150:151]
	ds_read2_b64 v[150:153], v254 offset0:58 offset1:59
	v_add_f64 v[4:5], v[4:5], -v[92:93]
	s_waitcnt lgkmcnt(1)
	v_mul_f64 v[92:93], v[148:149], v[94:95]
	v_fma_f64 v[92:93], v[146:147], v[144:145], -v[92:93]
	v_mul_f64 v[146:147], v[146:147], v[94:95]
	v_fmac_f64_e32 v[146:147], v[148:149], v[144:145]
	v_add_f64 v[0:1], v[0:1], -v[92:93]
	v_add_f64 v[2:3], v[2:3], -v[146:147]
	s_waitcnt lgkmcnt(0)
	v_mul_f64 v[92:93], v[152:153], v[94:95]
	v_mul_f64 v[146:147], v[150:151], v[94:95]
	v_fma_f64 v[92:93], v[150:151], v[144:145], -v[92:93]
	v_fmac_f64_e32 v[146:147], v[152:153], v[144:145]
	s_waitcnt vmcnt(7)
	v_add_f64 v[116:117], v[116:117], -v[92:93]
	v_add_f64 v[118:119], v[118:119], -v[146:147]
	v_mov_b64_e32 v[92:93], v[144:145]
.LBB59_55:
	s_or_b64 exec, exec, s[2:3]
	v_cmp_eq_u32_e32 vcc, 6, v240
	s_waitcnt lgkmcnt(0)
	s_barrier
	s_and_saveexec_b64 s[4:5], vcc
	s_cbranch_execz .LBB59_62
; %bb.56:
	s_waitcnt vmcnt(48)
	ds_write2_b64 v241, v[88:89], v[90:91] offset1:1
	s_waitcnt vmcnt(47)
	ds_write2_b64 v254, v[84:85], v[86:87] offset0:14 offset1:15
	s_waitcnt vmcnt(46)
	ds_write2_b64 v254, v[80:81], v[82:83] offset0:16 offset1:17
	;; [unrolled: 2-line block ×14, first 2 shown]
	ds_write2_b64 v254, v[28:29], v[30:31] offset0:42 offset1:43
	s_waitcnt vmcnt(13)
	ds_write2_b64 v254, v[24:25], v[26:27] offset0:44 offset1:45
	s_waitcnt vmcnt(12)
	;; [unrolled: 2-line block ×6, first 2 shown]
	ds_write2_b64 v254, v[4:5], v[6:7] offset0:54 offset1:55
	ds_write2_b64 v254, v[0:1], v[2:3] offset0:56 offset1:57
	s_waitcnt vmcnt(7)
	ds_write2_b64 v254, v[116:117], v[118:119] offset0:58 offset1:59
	ds_read2_b64 v[144:147], v241 offset1:1
	s_waitcnt lgkmcnt(0)
	v_cmp_neq_f64_e32 vcc, 0, v[144:145]
	v_cmp_neq_f64_e64 s[2:3], 0, v[146:147]
	s_or_b64 s[2:3], vcc, s[2:3]
	s_and_b64 exec, exec, s[2:3]
	s_cbranch_execz .LBB59_62
; %bb.57:
	v_cmp_ngt_f64_e64 s[2:3], |v[144:145]|, |v[146:147]|
                                        ; implicit-def: $vgpr148_vgpr149
	s_and_saveexec_b64 s[10:11], s[2:3]
	s_xor_b64 s[2:3], exec, s[10:11]
                                        ; implicit-def: $vgpr150_vgpr151
	s_cbranch_execz .LBB59_59
; %bb.58:
	v_div_scale_f64 v[148:149], s[10:11], v[146:147], v[146:147], v[144:145]
	v_rcp_f64_e32 v[150:151], v[148:149]
	v_div_scale_f64 v[152:153], vcc, v[144:145], v[146:147], v[144:145]
	v_fma_f64 v[154:155], -v[148:149], v[150:151], 1.0
	v_fmac_f64_e32 v[150:151], v[150:151], v[154:155]
	v_fma_f64 v[154:155], -v[148:149], v[150:151], 1.0
	v_fmac_f64_e32 v[150:151], v[150:151], v[154:155]
	v_mul_f64 v[154:155], v[152:153], v[150:151]
	v_fma_f64 v[148:149], -v[148:149], v[154:155], v[152:153]
	v_div_fmas_f64 v[148:149], v[148:149], v[150:151], v[154:155]
	v_div_fixup_f64 v[148:149], v[148:149], v[146:147], v[144:145]
	v_fmac_f64_e32 v[146:147], v[144:145], v[148:149]
	v_div_scale_f64 v[144:145], s[10:11], v[146:147], v[146:147], 1.0
	v_rcp_f64_e32 v[150:151], v[144:145]
	s_nop 0
	v_fma_f64 v[152:153], -v[144:145], v[150:151], 1.0
	v_fmac_f64_e32 v[150:151], v[150:151], v[152:153]
	v_fma_f64 v[152:153], -v[144:145], v[150:151], 1.0
	v_fmac_f64_e32 v[150:151], v[150:151], v[152:153]
	v_div_scale_f64 v[152:153], vcc, 1.0, v[146:147], 1.0
	v_mul_f64 v[154:155], v[152:153], v[150:151]
	v_fma_f64 v[144:145], -v[144:145], v[154:155], v[152:153]
	s_nop 1
	v_div_fmas_f64 v[144:145], v[144:145], v[150:151], v[154:155]
	v_div_fixup_f64 v[150:151], v[144:145], v[146:147], 1.0
	v_mul_f64 v[148:149], v[148:149], v[150:151]
	v_xor_b32_e32 v151, 0x80000000, v151
                                        ; implicit-def: $vgpr144_vgpr145
.LBB59_59:
	s_andn2_saveexec_b64 s[2:3], s[2:3]
	s_cbranch_execz .LBB59_61
; %bb.60:
	v_div_scale_f64 v[148:149], s[10:11], v[144:145], v[144:145], v[146:147]
	v_rcp_f64_e32 v[150:151], v[148:149]
	v_div_scale_f64 v[152:153], vcc, v[146:147], v[144:145], v[146:147]
	v_fma_f64 v[154:155], -v[148:149], v[150:151], 1.0
	v_fmac_f64_e32 v[150:151], v[150:151], v[154:155]
	v_fma_f64 v[154:155], -v[148:149], v[150:151], 1.0
	v_fmac_f64_e32 v[150:151], v[150:151], v[154:155]
	v_mul_f64 v[154:155], v[152:153], v[150:151]
	v_fma_f64 v[148:149], -v[148:149], v[154:155], v[152:153]
	v_div_fmas_f64 v[148:149], v[148:149], v[150:151], v[154:155]
	v_div_fixup_f64 v[150:151], v[148:149], v[144:145], v[146:147]
	v_fmac_f64_e32 v[144:145], v[146:147], v[150:151]
	v_div_scale_f64 v[146:147], s[10:11], v[144:145], v[144:145], 1.0
	v_rcp_f64_e32 v[148:149], v[146:147]
	s_nop 0
	v_fma_f64 v[152:153], -v[146:147], v[148:149], 1.0
	v_fmac_f64_e32 v[148:149], v[148:149], v[152:153]
	v_fma_f64 v[152:153], -v[146:147], v[148:149], 1.0
	v_fmac_f64_e32 v[148:149], v[148:149], v[152:153]
	v_div_scale_f64 v[152:153], vcc, 1.0, v[144:145], 1.0
	v_mul_f64 v[154:155], v[152:153], v[148:149]
	v_fma_f64 v[146:147], -v[146:147], v[154:155], v[152:153]
	s_nop 1
	v_div_fmas_f64 v[146:147], v[146:147], v[148:149], v[154:155]
	v_div_fixup_f64 v[148:149], v[146:147], v[144:145], 1.0
	v_mul_f64 v[150:151], v[150:151], -v[148:149]
.LBB59_61:
	s_or_b64 exec, exec, s[2:3]
	ds_write2_b64 v241, v[148:149], v[150:151] offset1:1
.LBB59_62:
	s_or_b64 exec, exec, s[4:5]
	s_waitcnt lgkmcnt(0)
	s_barrier
	ds_read2_b64 v[144:147], v241 offset1:1
	v_cmp_lt_u32_e32 vcc, 6, v240
	s_and_saveexec_b64 s[2:3], vcc
	s_cbranch_execz .LBB59_64
; %bb.63:
	ds_read2_b64 v[150:153], v254 offset0:14 offset1:15
	ds_read2_b64 v[154:157], v254 offset0:16 offset1:17
	s_waitcnt vmcnt(48) lgkmcnt(2)
	v_mul_f64 v[148:149], v[146:147], v[90:91]
	v_mul_f64 v[90:91], v[144:145], v[90:91]
	v_fmac_f64_e32 v[90:91], v[146:147], v[88:89]
	v_fma_f64 v[148:149], v[144:145], v[88:89], -v[148:149]
	s_waitcnt lgkmcnt(1)
	v_mul_f64 v[88:89], v[152:153], v[90:91]
	v_fma_f64 v[88:89], v[150:151], v[148:149], -v[88:89]
	v_mul_f64 v[150:151], v[150:151], v[90:91]
	v_fmac_f64_e32 v[150:151], v[152:153], v[148:149]
	s_waitcnt vmcnt(47)
	v_add_f64 v[86:87], v[86:87], -v[150:151]
	ds_read2_b64 v[150:153], v254 offset0:18 offset1:19
	v_add_f64 v[84:85], v[84:85], -v[88:89]
	s_waitcnt lgkmcnt(1)
	v_mul_f64 v[88:89], v[156:157], v[90:91]
	v_fma_f64 v[88:89], v[154:155], v[148:149], -v[88:89]
	v_mul_f64 v[154:155], v[154:155], v[90:91]
	v_fmac_f64_e32 v[154:155], v[156:157], v[148:149]
	s_waitcnt vmcnt(46)
	v_add_f64 v[80:81], v[80:81], -v[88:89]
	v_add_f64 v[82:83], v[82:83], -v[154:155]
	ds_read2_b64 v[154:157], v254 offset0:20 offset1:21
	s_waitcnt lgkmcnt(1)
	v_mul_f64 v[88:89], v[152:153], v[90:91]
	v_fma_f64 v[88:89], v[150:151], v[148:149], -v[88:89]
	v_mul_f64 v[150:151], v[150:151], v[90:91]
	v_fmac_f64_e32 v[150:151], v[152:153], v[148:149]
	s_waitcnt vmcnt(45)
	v_add_f64 v[78:79], v[78:79], -v[150:151]
	ds_read2_b64 v[150:153], v254 offset0:22 offset1:23
	v_add_f64 v[76:77], v[76:77], -v[88:89]
	s_waitcnt lgkmcnt(1)
	v_mul_f64 v[88:89], v[156:157], v[90:91]
	v_fma_f64 v[88:89], v[154:155], v[148:149], -v[88:89]
	v_mul_f64 v[154:155], v[154:155], v[90:91]
	v_fmac_f64_e32 v[154:155], v[156:157], v[148:149]
	s_waitcnt vmcnt(44)
	v_add_f64 v[72:73], v[72:73], -v[88:89]
	v_add_f64 v[74:75], v[74:75], -v[154:155]
	ds_read2_b64 v[154:157], v254 offset0:24 offset1:25
	;; [unrolled: 18-line block ×7, first 2 shown]
	s_waitcnt lgkmcnt(1)
	v_mul_f64 v[88:89], v[152:153], v[90:91]
	v_fma_f64 v[88:89], v[150:151], v[148:149], -v[88:89]
	v_mul_f64 v[150:151], v[150:151], v[90:91]
	v_fmac_f64_e32 v[150:151], v[152:153], v[148:149]
	v_add_f64 v[30:31], v[30:31], -v[150:151]
	ds_read2_b64 v[150:153], v254 offset0:46 offset1:47
	v_add_f64 v[28:29], v[28:29], -v[88:89]
	s_waitcnt lgkmcnt(1)
	v_mul_f64 v[88:89], v[156:157], v[90:91]
	v_fma_f64 v[88:89], v[154:155], v[148:149], -v[88:89]
	v_mul_f64 v[154:155], v[154:155], v[90:91]
	v_fmac_f64_e32 v[154:155], v[156:157], v[148:149]
	s_waitcnt vmcnt(13)
	v_add_f64 v[24:25], v[24:25], -v[88:89]
	v_add_f64 v[26:27], v[26:27], -v[154:155]
	ds_read2_b64 v[154:157], v254 offset0:48 offset1:49
	s_waitcnt lgkmcnt(1)
	v_mul_f64 v[88:89], v[152:153], v[90:91]
	v_fma_f64 v[88:89], v[150:151], v[148:149], -v[88:89]
	v_mul_f64 v[150:151], v[150:151], v[90:91]
	v_fmac_f64_e32 v[150:151], v[152:153], v[148:149]
	s_waitcnt vmcnt(12)
	v_add_f64 v[22:23], v[22:23], -v[150:151]
	ds_read2_b64 v[150:153], v254 offset0:50 offset1:51
	v_add_f64 v[20:21], v[20:21], -v[88:89]
	s_waitcnt lgkmcnt(1)
	v_mul_f64 v[88:89], v[156:157], v[90:91]
	v_fma_f64 v[88:89], v[154:155], v[148:149], -v[88:89]
	v_mul_f64 v[154:155], v[154:155], v[90:91]
	v_fmac_f64_e32 v[154:155], v[156:157], v[148:149]
	s_waitcnt vmcnt(11)
	v_add_f64 v[16:17], v[16:17], -v[88:89]
	v_add_f64 v[18:19], v[18:19], -v[154:155]
	ds_read2_b64 v[154:157], v254 offset0:52 offset1:53
	s_waitcnt lgkmcnt(1)
	v_mul_f64 v[88:89], v[152:153], v[90:91]
	v_fma_f64 v[88:89], v[150:151], v[148:149], -v[88:89]
	v_mul_f64 v[150:151], v[150:151], v[90:91]
	v_fmac_f64_e32 v[150:151], v[152:153], v[148:149]
	s_waitcnt vmcnt(10)
	;; [unrolled: 18-line block ×3, first 2 shown]
	v_add_f64 v[6:7], v[6:7], -v[150:151]
	ds_read2_b64 v[150:153], v254 offset0:58 offset1:59
	v_add_f64 v[4:5], v[4:5], -v[88:89]
	s_waitcnt lgkmcnt(1)
	v_mul_f64 v[88:89], v[156:157], v[90:91]
	v_fma_f64 v[88:89], v[154:155], v[148:149], -v[88:89]
	v_add_f64 v[0:1], v[0:1], -v[88:89]
	s_waitcnt lgkmcnt(0)
	v_mul_f64 v[88:89], v[152:153], v[90:91]
	v_mul_f64 v[154:155], v[154:155], v[90:91]
	v_fma_f64 v[88:89], v[150:151], v[148:149], -v[88:89]
	v_mul_f64 v[150:151], v[150:151], v[90:91]
	v_fmac_f64_e32 v[154:155], v[156:157], v[148:149]
	v_fmac_f64_e32 v[150:151], v[152:153], v[148:149]
	v_add_f64 v[2:3], v[2:3], -v[154:155]
	s_waitcnt vmcnt(7)
	v_add_f64 v[116:117], v[116:117], -v[88:89]
	v_add_f64 v[118:119], v[118:119], -v[150:151]
	v_mov_b64_e32 v[88:89], v[148:149]
.LBB59_64:
	s_or_b64 exec, exec, s[2:3]
	v_cmp_eq_u32_e32 vcc, 7, v240
	s_waitcnt lgkmcnt(0)
	s_barrier
	s_and_saveexec_b64 s[4:5], vcc
	s_cbranch_execz .LBB59_71
; %bb.65:
	s_waitcnt vmcnt(47)
	ds_write2_b64 v241, v[84:85], v[86:87] offset1:1
	s_waitcnt vmcnt(46)
	ds_write2_b64 v254, v[80:81], v[82:83] offset0:16 offset1:17
	s_waitcnt vmcnt(45)
	ds_write2_b64 v254, v[76:77], v[78:79] offset0:18 offset1:19
	;; [unrolled: 2-line block ×13, first 2 shown]
	ds_write2_b64 v254, v[28:29], v[30:31] offset0:42 offset1:43
	s_waitcnt vmcnt(13)
	ds_write2_b64 v254, v[24:25], v[26:27] offset0:44 offset1:45
	s_waitcnt vmcnt(12)
	;; [unrolled: 2-line block ×6, first 2 shown]
	ds_write2_b64 v254, v[4:5], v[6:7] offset0:54 offset1:55
	ds_write2_b64 v254, v[0:1], v[2:3] offset0:56 offset1:57
	s_waitcnt vmcnt(7)
	ds_write2_b64 v254, v[116:117], v[118:119] offset0:58 offset1:59
	ds_read2_b64 v[148:151], v241 offset1:1
	s_waitcnt lgkmcnt(0)
	v_cmp_neq_f64_e32 vcc, 0, v[148:149]
	v_cmp_neq_f64_e64 s[2:3], 0, v[150:151]
	s_or_b64 s[2:3], vcc, s[2:3]
	s_and_b64 exec, exec, s[2:3]
	s_cbranch_execz .LBB59_71
; %bb.66:
	v_cmp_ngt_f64_e64 s[2:3], |v[148:149]|, |v[150:151]|
                                        ; implicit-def: $vgpr152_vgpr153
	s_and_saveexec_b64 s[10:11], s[2:3]
	s_xor_b64 s[2:3], exec, s[10:11]
                                        ; implicit-def: $vgpr154_vgpr155
	s_cbranch_execz .LBB59_68
; %bb.67:
	v_div_scale_f64 v[152:153], s[10:11], v[150:151], v[150:151], v[148:149]
	v_rcp_f64_e32 v[154:155], v[152:153]
	v_div_scale_f64 v[156:157], vcc, v[148:149], v[150:151], v[148:149]
	v_fma_f64 v[158:159], -v[152:153], v[154:155], 1.0
	v_fmac_f64_e32 v[154:155], v[154:155], v[158:159]
	v_fma_f64 v[158:159], -v[152:153], v[154:155], 1.0
	v_fmac_f64_e32 v[154:155], v[154:155], v[158:159]
	v_mul_f64 v[158:159], v[156:157], v[154:155]
	v_fma_f64 v[152:153], -v[152:153], v[158:159], v[156:157]
	v_div_fmas_f64 v[152:153], v[152:153], v[154:155], v[158:159]
	v_div_fixup_f64 v[152:153], v[152:153], v[150:151], v[148:149]
	v_fmac_f64_e32 v[150:151], v[148:149], v[152:153]
	v_div_scale_f64 v[148:149], s[10:11], v[150:151], v[150:151], 1.0
	v_rcp_f64_e32 v[154:155], v[148:149]
	s_nop 0
	v_fma_f64 v[156:157], -v[148:149], v[154:155], 1.0
	v_fmac_f64_e32 v[154:155], v[154:155], v[156:157]
	v_fma_f64 v[156:157], -v[148:149], v[154:155], 1.0
	v_fmac_f64_e32 v[154:155], v[154:155], v[156:157]
	v_div_scale_f64 v[156:157], vcc, 1.0, v[150:151], 1.0
	v_mul_f64 v[158:159], v[156:157], v[154:155]
	v_fma_f64 v[148:149], -v[148:149], v[158:159], v[156:157]
	s_nop 1
	v_div_fmas_f64 v[148:149], v[148:149], v[154:155], v[158:159]
	v_div_fixup_f64 v[154:155], v[148:149], v[150:151], 1.0
	v_mul_f64 v[152:153], v[152:153], v[154:155]
	v_xor_b32_e32 v155, 0x80000000, v155
                                        ; implicit-def: $vgpr148_vgpr149
.LBB59_68:
	s_andn2_saveexec_b64 s[2:3], s[2:3]
	s_cbranch_execz .LBB59_70
; %bb.69:
	v_div_scale_f64 v[152:153], s[10:11], v[148:149], v[148:149], v[150:151]
	v_rcp_f64_e32 v[154:155], v[152:153]
	v_div_scale_f64 v[156:157], vcc, v[150:151], v[148:149], v[150:151]
	v_fma_f64 v[158:159], -v[152:153], v[154:155], 1.0
	v_fmac_f64_e32 v[154:155], v[154:155], v[158:159]
	v_fma_f64 v[158:159], -v[152:153], v[154:155], 1.0
	v_fmac_f64_e32 v[154:155], v[154:155], v[158:159]
	v_mul_f64 v[158:159], v[156:157], v[154:155]
	v_fma_f64 v[152:153], -v[152:153], v[158:159], v[156:157]
	v_div_fmas_f64 v[152:153], v[152:153], v[154:155], v[158:159]
	v_div_fixup_f64 v[154:155], v[152:153], v[148:149], v[150:151]
	v_fmac_f64_e32 v[148:149], v[150:151], v[154:155]
	v_div_scale_f64 v[150:151], s[10:11], v[148:149], v[148:149], 1.0
	v_rcp_f64_e32 v[152:153], v[150:151]
	s_nop 0
	v_fma_f64 v[156:157], -v[150:151], v[152:153], 1.0
	v_fmac_f64_e32 v[152:153], v[152:153], v[156:157]
	v_fma_f64 v[156:157], -v[150:151], v[152:153], 1.0
	v_fmac_f64_e32 v[152:153], v[152:153], v[156:157]
	v_div_scale_f64 v[156:157], vcc, 1.0, v[148:149], 1.0
	v_mul_f64 v[158:159], v[156:157], v[152:153]
	v_fma_f64 v[150:151], -v[150:151], v[158:159], v[156:157]
	s_nop 1
	v_div_fmas_f64 v[150:151], v[150:151], v[152:153], v[158:159]
	v_div_fixup_f64 v[152:153], v[150:151], v[148:149], 1.0
	v_mul_f64 v[154:155], v[154:155], -v[152:153]
.LBB59_70:
	s_or_b64 exec, exec, s[2:3]
	ds_write2_b64 v241, v[152:153], v[154:155] offset1:1
.LBB59_71:
	s_or_b64 exec, exec, s[4:5]
	s_waitcnt lgkmcnt(0)
	s_barrier
	ds_read2_b64 v[148:151], v241 offset1:1
	v_cmp_lt_u32_e32 vcc, 7, v240
	s_and_saveexec_b64 s[2:3], vcc
	s_cbranch_execz .LBB59_73
; %bb.72:
	ds_read2_b64 v[154:157], v254 offset0:16 offset1:17
	ds_read2_b64 v[158:161], v254 offset0:18 offset1:19
	s_waitcnt vmcnt(47) lgkmcnt(2)
	v_mul_f64 v[152:153], v[150:151], v[86:87]
	v_mul_f64 v[86:87], v[148:149], v[86:87]
	v_fmac_f64_e32 v[86:87], v[150:151], v[84:85]
	v_fma_f64 v[152:153], v[148:149], v[84:85], -v[152:153]
	s_waitcnt lgkmcnt(1)
	v_mul_f64 v[84:85], v[156:157], v[86:87]
	v_fma_f64 v[84:85], v[154:155], v[152:153], -v[84:85]
	v_mul_f64 v[154:155], v[154:155], v[86:87]
	v_fmac_f64_e32 v[154:155], v[156:157], v[152:153]
	s_waitcnt vmcnt(46)
	v_add_f64 v[80:81], v[80:81], -v[84:85]
	v_add_f64 v[82:83], v[82:83], -v[154:155]
	s_waitcnt lgkmcnt(0)
	v_mul_f64 v[84:85], v[160:161], v[86:87]
	ds_read2_b64 v[154:157], v254 offset0:20 offset1:21
	v_fma_f64 v[84:85], v[158:159], v[152:153], -v[84:85]
	v_mul_f64 v[158:159], v[158:159], v[86:87]
	v_fmac_f64_e32 v[158:159], v[160:161], v[152:153]
	s_waitcnt vmcnt(45)
	v_add_f64 v[78:79], v[78:79], -v[158:159]
	ds_read2_b64 v[158:161], v254 offset0:22 offset1:23
	v_add_f64 v[76:77], v[76:77], -v[84:85]
	s_waitcnt lgkmcnt(1)
	v_mul_f64 v[84:85], v[156:157], v[86:87]
	v_fma_f64 v[84:85], v[154:155], v[152:153], -v[84:85]
	v_mul_f64 v[154:155], v[154:155], v[86:87]
	v_fmac_f64_e32 v[154:155], v[156:157], v[152:153]
	s_waitcnt vmcnt(44)
	v_add_f64 v[72:73], v[72:73], -v[84:85]
	v_add_f64 v[74:75], v[74:75], -v[154:155]
	s_waitcnt lgkmcnt(0)
	v_mul_f64 v[84:85], v[160:161], v[86:87]
	ds_read2_b64 v[154:157], v254 offset0:24 offset1:25
	v_fma_f64 v[84:85], v[158:159], v[152:153], -v[84:85]
	v_mul_f64 v[158:159], v[158:159], v[86:87]
	v_fmac_f64_e32 v[158:159], v[160:161], v[152:153]
	s_waitcnt vmcnt(43)
	v_add_f64 v[70:71], v[70:71], -v[158:159]
	ds_read2_b64 v[158:161], v254 offset0:26 offset1:27
	v_add_f64 v[68:69], v[68:69], -v[84:85]
	;; [unrolled: 18-line block ×6, first 2 shown]
	s_waitcnt lgkmcnt(1)
	v_mul_f64 v[84:85], v[156:157], v[86:87]
	v_fma_f64 v[84:85], v[154:155], v[152:153], -v[84:85]
	v_mul_f64 v[154:155], v[154:155], v[86:87]
	v_fmac_f64_e32 v[154:155], v[156:157], v[152:153]
	s_waitcnt vmcnt(15)
	v_add_f64 v[32:33], v[32:33], -v[84:85]
	v_add_f64 v[34:35], v[34:35], -v[154:155]
	s_waitcnt lgkmcnt(0)
	v_mul_f64 v[84:85], v[160:161], v[86:87]
	ds_read2_b64 v[154:157], v254 offset0:44 offset1:45
	v_fma_f64 v[84:85], v[158:159], v[152:153], -v[84:85]
	v_mul_f64 v[158:159], v[158:159], v[86:87]
	v_fmac_f64_e32 v[158:159], v[160:161], v[152:153]
	v_add_f64 v[30:31], v[30:31], -v[158:159]
	ds_read2_b64 v[158:161], v254 offset0:46 offset1:47
	v_add_f64 v[28:29], v[28:29], -v[84:85]
	s_waitcnt lgkmcnt(1)
	v_mul_f64 v[84:85], v[156:157], v[86:87]
	v_fma_f64 v[84:85], v[154:155], v[152:153], -v[84:85]
	v_mul_f64 v[154:155], v[154:155], v[86:87]
	v_fmac_f64_e32 v[154:155], v[156:157], v[152:153]
	s_waitcnt vmcnt(13)
	v_add_f64 v[24:25], v[24:25], -v[84:85]
	v_add_f64 v[26:27], v[26:27], -v[154:155]
	s_waitcnt lgkmcnt(0)
	v_mul_f64 v[84:85], v[160:161], v[86:87]
	ds_read2_b64 v[154:157], v254 offset0:48 offset1:49
	v_fma_f64 v[84:85], v[158:159], v[152:153], -v[84:85]
	v_mul_f64 v[158:159], v[158:159], v[86:87]
	v_fmac_f64_e32 v[158:159], v[160:161], v[152:153]
	s_waitcnt vmcnt(12)
	v_add_f64 v[22:23], v[22:23], -v[158:159]
	ds_read2_b64 v[158:161], v254 offset0:50 offset1:51
	v_add_f64 v[20:21], v[20:21], -v[84:85]
	s_waitcnt lgkmcnt(1)
	v_mul_f64 v[84:85], v[156:157], v[86:87]
	v_fma_f64 v[84:85], v[154:155], v[152:153], -v[84:85]
	v_mul_f64 v[154:155], v[154:155], v[86:87]
	v_fmac_f64_e32 v[154:155], v[156:157], v[152:153]
	s_waitcnt vmcnt(11)
	v_add_f64 v[16:17], v[16:17], -v[84:85]
	v_add_f64 v[18:19], v[18:19], -v[154:155]
	s_waitcnt lgkmcnt(0)
	v_mul_f64 v[84:85], v[160:161], v[86:87]
	ds_read2_b64 v[154:157], v254 offset0:52 offset1:53
	v_fma_f64 v[84:85], v[158:159], v[152:153], -v[84:85]
	v_mul_f64 v[158:159], v[158:159], v[86:87]
	v_fmac_f64_e32 v[158:159], v[160:161], v[152:153]
	s_waitcnt vmcnt(10)
	;; [unrolled: 18-line block ×3, first 2 shown]
	v_add_f64 v[6:7], v[6:7], -v[158:159]
	ds_read2_b64 v[158:161], v254 offset0:58 offset1:59
	v_add_f64 v[4:5], v[4:5], -v[84:85]
	s_waitcnt lgkmcnt(1)
	v_mul_f64 v[84:85], v[156:157], v[86:87]
	v_fma_f64 v[84:85], v[154:155], v[152:153], -v[84:85]
	v_mul_f64 v[154:155], v[154:155], v[86:87]
	v_fmac_f64_e32 v[154:155], v[156:157], v[152:153]
	v_add_f64 v[0:1], v[0:1], -v[84:85]
	v_add_f64 v[2:3], v[2:3], -v[154:155]
	s_waitcnt lgkmcnt(0)
	v_mul_f64 v[84:85], v[160:161], v[86:87]
	v_mul_f64 v[154:155], v[158:159], v[86:87]
	v_fma_f64 v[84:85], v[158:159], v[152:153], -v[84:85]
	v_fmac_f64_e32 v[154:155], v[160:161], v[152:153]
	s_waitcnt vmcnt(7)
	v_add_f64 v[116:117], v[116:117], -v[84:85]
	v_add_f64 v[118:119], v[118:119], -v[154:155]
	v_mov_b64_e32 v[84:85], v[152:153]
.LBB59_73:
	s_or_b64 exec, exec, s[2:3]
	v_cmp_eq_u32_e32 vcc, 8, v240
	s_waitcnt lgkmcnt(0)
	s_barrier
	s_and_saveexec_b64 s[4:5], vcc
	s_cbranch_execz .LBB59_80
; %bb.74:
	s_waitcnt vmcnt(46)
	ds_write2_b64 v241, v[80:81], v[82:83] offset1:1
	s_waitcnt vmcnt(45)
	ds_write2_b64 v254, v[76:77], v[78:79] offset0:18 offset1:19
	s_waitcnt vmcnt(44)
	ds_write2_b64 v254, v[72:73], v[74:75] offset0:20 offset1:21
	;; [unrolled: 2-line block ×12, first 2 shown]
	ds_write2_b64 v254, v[28:29], v[30:31] offset0:42 offset1:43
	s_waitcnt vmcnt(13)
	ds_write2_b64 v254, v[24:25], v[26:27] offset0:44 offset1:45
	s_waitcnt vmcnt(12)
	;; [unrolled: 2-line block ×6, first 2 shown]
	ds_write2_b64 v254, v[4:5], v[6:7] offset0:54 offset1:55
	ds_write2_b64 v254, v[0:1], v[2:3] offset0:56 offset1:57
	s_waitcnt vmcnt(7)
	ds_write2_b64 v254, v[116:117], v[118:119] offset0:58 offset1:59
	ds_read2_b64 v[152:155], v241 offset1:1
	s_waitcnt lgkmcnt(0)
	v_cmp_neq_f64_e32 vcc, 0, v[152:153]
	v_cmp_neq_f64_e64 s[2:3], 0, v[154:155]
	s_or_b64 s[2:3], vcc, s[2:3]
	s_and_b64 exec, exec, s[2:3]
	s_cbranch_execz .LBB59_80
; %bb.75:
	v_cmp_ngt_f64_e64 s[2:3], |v[152:153]|, |v[154:155]|
                                        ; implicit-def: $vgpr156_vgpr157
	s_and_saveexec_b64 s[10:11], s[2:3]
	s_xor_b64 s[2:3], exec, s[10:11]
                                        ; implicit-def: $vgpr158_vgpr159
	s_cbranch_execz .LBB59_77
; %bb.76:
	v_div_scale_f64 v[156:157], s[10:11], v[154:155], v[154:155], v[152:153]
	v_rcp_f64_e32 v[158:159], v[156:157]
	v_div_scale_f64 v[160:161], vcc, v[152:153], v[154:155], v[152:153]
	v_fma_f64 v[162:163], -v[156:157], v[158:159], 1.0
	v_fmac_f64_e32 v[158:159], v[158:159], v[162:163]
	v_fma_f64 v[162:163], -v[156:157], v[158:159], 1.0
	v_fmac_f64_e32 v[158:159], v[158:159], v[162:163]
	v_mul_f64 v[162:163], v[160:161], v[158:159]
	v_fma_f64 v[156:157], -v[156:157], v[162:163], v[160:161]
	v_div_fmas_f64 v[156:157], v[156:157], v[158:159], v[162:163]
	v_div_fixup_f64 v[156:157], v[156:157], v[154:155], v[152:153]
	v_fmac_f64_e32 v[154:155], v[152:153], v[156:157]
	v_div_scale_f64 v[152:153], s[10:11], v[154:155], v[154:155], 1.0
	v_rcp_f64_e32 v[158:159], v[152:153]
	s_nop 0
	v_fma_f64 v[160:161], -v[152:153], v[158:159], 1.0
	v_fmac_f64_e32 v[158:159], v[158:159], v[160:161]
	v_fma_f64 v[160:161], -v[152:153], v[158:159], 1.0
	v_fmac_f64_e32 v[158:159], v[158:159], v[160:161]
	v_div_scale_f64 v[160:161], vcc, 1.0, v[154:155], 1.0
	v_mul_f64 v[162:163], v[160:161], v[158:159]
	v_fma_f64 v[152:153], -v[152:153], v[162:163], v[160:161]
	s_nop 1
	v_div_fmas_f64 v[152:153], v[152:153], v[158:159], v[162:163]
	v_div_fixup_f64 v[158:159], v[152:153], v[154:155], 1.0
	v_mul_f64 v[156:157], v[156:157], v[158:159]
	v_xor_b32_e32 v159, 0x80000000, v159
                                        ; implicit-def: $vgpr152_vgpr153
.LBB59_77:
	s_andn2_saveexec_b64 s[2:3], s[2:3]
	s_cbranch_execz .LBB59_79
; %bb.78:
	v_div_scale_f64 v[156:157], s[10:11], v[152:153], v[152:153], v[154:155]
	v_rcp_f64_e32 v[158:159], v[156:157]
	v_div_scale_f64 v[160:161], vcc, v[154:155], v[152:153], v[154:155]
	v_fma_f64 v[162:163], -v[156:157], v[158:159], 1.0
	v_fmac_f64_e32 v[158:159], v[158:159], v[162:163]
	v_fma_f64 v[162:163], -v[156:157], v[158:159], 1.0
	v_fmac_f64_e32 v[158:159], v[158:159], v[162:163]
	v_mul_f64 v[162:163], v[160:161], v[158:159]
	v_fma_f64 v[156:157], -v[156:157], v[162:163], v[160:161]
	v_div_fmas_f64 v[156:157], v[156:157], v[158:159], v[162:163]
	v_div_fixup_f64 v[158:159], v[156:157], v[152:153], v[154:155]
	v_fmac_f64_e32 v[152:153], v[154:155], v[158:159]
	v_div_scale_f64 v[154:155], s[10:11], v[152:153], v[152:153], 1.0
	v_rcp_f64_e32 v[156:157], v[154:155]
	s_nop 0
	v_fma_f64 v[160:161], -v[154:155], v[156:157], 1.0
	v_fmac_f64_e32 v[156:157], v[156:157], v[160:161]
	v_fma_f64 v[160:161], -v[154:155], v[156:157], 1.0
	v_fmac_f64_e32 v[156:157], v[156:157], v[160:161]
	v_div_scale_f64 v[160:161], vcc, 1.0, v[152:153], 1.0
	v_mul_f64 v[162:163], v[160:161], v[156:157]
	v_fma_f64 v[154:155], -v[154:155], v[162:163], v[160:161]
	s_nop 1
	v_div_fmas_f64 v[154:155], v[154:155], v[156:157], v[162:163]
	v_div_fixup_f64 v[156:157], v[154:155], v[152:153], 1.0
	v_mul_f64 v[158:159], v[158:159], -v[156:157]
.LBB59_79:
	s_or_b64 exec, exec, s[2:3]
	ds_write2_b64 v241, v[156:157], v[158:159] offset1:1
.LBB59_80:
	s_or_b64 exec, exec, s[4:5]
	s_waitcnt lgkmcnt(0)
	s_barrier
	ds_read2_b64 v[152:155], v241 offset1:1
	v_cmp_lt_u32_e32 vcc, 8, v240
	s_and_saveexec_b64 s[2:3], vcc
	s_cbranch_execz .LBB59_82
; %bb.81:
	ds_read2_b64 v[158:161], v254 offset0:18 offset1:19
	ds_read2_b64 v[162:165], v254 offset0:20 offset1:21
	s_waitcnt vmcnt(46) lgkmcnt(2)
	v_mul_f64 v[156:157], v[154:155], v[82:83]
	v_mul_f64 v[82:83], v[152:153], v[82:83]
	v_fmac_f64_e32 v[82:83], v[154:155], v[80:81]
	v_fma_f64 v[156:157], v[152:153], v[80:81], -v[156:157]
	s_waitcnt lgkmcnt(1)
	v_mul_f64 v[80:81], v[160:161], v[82:83]
	v_fma_f64 v[80:81], v[158:159], v[156:157], -v[80:81]
	v_mul_f64 v[158:159], v[158:159], v[82:83]
	v_fmac_f64_e32 v[158:159], v[160:161], v[156:157]
	s_waitcnt vmcnt(45)
	v_add_f64 v[78:79], v[78:79], -v[158:159]
	ds_read2_b64 v[158:161], v254 offset0:22 offset1:23
	v_add_f64 v[76:77], v[76:77], -v[80:81]
	s_waitcnt lgkmcnt(1)
	v_mul_f64 v[80:81], v[164:165], v[82:83]
	v_fma_f64 v[80:81], v[162:163], v[156:157], -v[80:81]
	v_mul_f64 v[162:163], v[162:163], v[82:83]
	v_fmac_f64_e32 v[162:163], v[164:165], v[156:157]
	s_waitcnt vmcnt(44)
	v_add_f64 v[72:73], v[72:73], -v[80:81]
	v_add_f64 v[74:75], v[74:75], -v[162:163]
	ds_read2_b64 v[162:165], v254 offset0:24 offset1:25
	s_waitcnt lgkmcnt(1)
	v_mul_f64 v[80:81], v[160:161], v[82:83]
	v_fma_f64 v[80:81], v[158:159], v[156:157], -v[80:81]
	v_mul_f64 v[158:159], v[158:159], v[82:83]
	v_fmac_f64_e32 v[158:159], v[160:161], v[156:157]
	s_waitcnt vmcnt(43)
	v_add_f64 v[70:71], v[70:71], -v[158:159]
	ds_read2_b64 v[158:161], v254 offset0:26 offset1:27
	v_add_f64 v[68:69], v[68:69], -v[80:81]
	s_waitcnt lgkmcnt(1)
	v_mul_f64 v[80:81], v[164:165], v[82:83]
	v_fma_f64 v[80:81], v[162:163], v[156:157], -v[80:81]
	v_mul_f64 v[162:163], v[162:163], v[82:83]
	v_fmac_f64_e32 v[162:163], v[164:165], v[156:157]
	s_waitcnt vmcnt(42)
	v_add_f64 v[64:65], v[64:65], -v[80:81]
	v_add_f64 v[66:67], v[66:67], -v[162:163]
	ds_read2_b64 v[162:165], v254 offset0:28 offset1:29
	;; [unrolled: 18-line block ×6, first 2 shown]
	s_waitcnt lgkmcnt(1)
	v_mul_f64 v[80:81], v[160:161], v[82:83]
	v_fma_f64 v[80:81], v[158:159], v[156:157], -v[80:81]
	v_mul_f64 v[158:159], v[158:159], v[82:83]
	v_fmac_f64_e32 v[158:159], v[160:161], v[156:157]
	v_add_f64 v[30:31], v[30:31], -v[158:159]
	ds_read2_b64 v[158:161], v254 offset0:46 offset1:47
	v_add_f64 v[28:29], v[28:29], -v[80:81]
	s_waitcnt lgkmcnt(1)
	v_mul_f64 v[80:81], v[164:165], v[82:83]
	v_fma_f64 v[80:81], v[162:163], v[156:157], -v[80:81]
	v_mul_f64 v[162:163], v[162:163], v[82:83]
	v_fmac_f64_e32 v[162:163], v[164:165], v[156:157]
	s_waitcnt vmcnt(13)
	v_add_f64 v[24:25], v[24:25], -v[80:81]
	v_add_f64 v[26:27], v[26:27], -v[162:163]
	ds_read2_b64 v[162:165], v254 offset0:48 offset1:49
	s_waitcnt lgkmcnt(1)
	v_mul_f64 v[80:81], v[160:161], v[82:83]
	v_fma_f64 v[80:81], v[158:159], v[156:157], -v[80:81]
	v_mul_f64 v[158:159], v[158:159], v[82:83]
	v_fmac_f64_e32 v[158:159], v[160:161], v[156:157]
	s_waitcnt vmcnt(12)
	v_add_f64 v[22:23], v[22:23], -v[158:159]
	ds_read2_b64 v[158:161], v254 offset0:50 offset1:51
	v_add_f64 v[20:21], v[20:21], -v[80:81]
	s_waitcnt lgkmcnt(1)
	v_mul_f64 v[80:81], v[164:165], v[82:83]
	v_fma_f64 v[80:81], v[162:163], v[156:157], -v[80:81]
	v_mul_f64 v[162:163], v[162:163], v[82:83]
	v_fmac_f64_e32 v[162:163], v[164:165], v[156:157]
	s_waitcnt vmcnt(11)
	v_add_f64 v[16:17], v[16:17], -v[80:81]
	v_add_f64 v[18:19], v[18:19], -v[162:163]
	ds_read2_b64 v[162:165], v254 offset0:52 offset1:53
	s_waitcnt lgkmcnt(1)
	v_mul_f64 v[80:81], v[160:161], v[82:83]
	v_fma_f64 v[80:81], v[158:159], v[156:157], -v[80:81]
	v_mul_f64 v[158:159], v[158:159], v[82:83]
	v_fmac_f64_e32 v[158:159], v[160:161], v[156:157]
	s_waitcnt vmcnt(10)
	v_add_f64 v[14:15], v[14:15], -v[158:159]
	ds_read2_b64 v[158:161], v254 offset0:54 offset1:55
	v_add_f64 v[12:13], v[12:13], -v[80:81]
	s_waitcnt lgkmcnt(1)
	v_mul_f64 v[80:81], v[164:165], v[82:83]
	v_fma_f64 v[80:81], v[162:163], v[156:157], -v[80:81]
	v_mul_f64 v[162:163], v[162:163], v[82:83]
	v_fmac_f64_e32 v[162:163], v[164:165], v[156:157]
	s_waitcnt vmcnt(9)
	v_add_f64 v[8:9], v[8:9], -v[80:81]
	v_add_f64 v[10:11], v[10:11], -v[162:163]
	ds_read2_b64 v[162:165], v254 offset0:56 offset1:57
	s_waitcnt lgkmcnt(1)
	v_mul_f64 v[80:81], v[160:161], v[82:83]
	v_fma_f64 v[80:81], v[158:159], v[156:157], -v[80:81]
	v_mul_f64 v[158:159], v[158:159], v[82:83]
	v_fmac_f64_e32 v[158:159], v[160:161], v[156:157]
	s_waitcnt vmcnt(8)
	v_add_f64 v[6:7], v[6:7], -v[158:159]
	ds_read2_b64 v[158:161], v254 offset0:58 offset1:59
	v_add_f64 v[4:5], v[4:5], -v[80:81]
	s_waitcnt lgkmcnt(1)
	v_mul_f64 v[80:81], v[164:165], v[82:83]
	v_fma_f64 v[80:81], v[162:163], v[156:157], -v[80:81]
	v_add_f64 v[0:1], v[0:1], -v[80:81]
	s_waitcnt lgkmcnt(0)
	v_mul_f64 v[80:81], v[160:161], v[82:83]
	v_mul_f64 v[162:163], v[162:163], v[82:83]
	v_fma_f64 v[80:81], v[158:159], v[156:157], -v[80:81]
	v_mul_f64 v[158:159], v[158:159], v[82:83]
	v_fmac_f64_e32 v[162:163], v[164:165], v[156:157]
	v_fmac_f64_e32 v[158:159], v[160:161], v[156:157]
	v_add_f64 v[2:3], v[2:3], -v[162:163]
	s_waitcnt vmcnt(7)
	v_add_f64 v[116:117], v[116:117], -v[80:81]
	v_add_f64 v[118:119], v[118:119], -v[158:159]
	v_mov_b64_e32 v[80:81], v[156:157]
.LBB59_82:
	s_or_b64 exec, exec, s[2:3]
	v_cmp_eq_u32_e32 vcc, 9, v240
	s_waitcnt lgkmcnt(0)
	s_barrier
	s_and_saveexec_b64 s[4:5], vcc
	s_cbranch_execz .LBB59_89
; %bb.83:
	s_waitcnt vmcnt(45)
	ds_write2_b64 v241, v[76:77], v[78:79] offset1:1
	s_waitcnt vmcnt(44)
	ds_write2_b64 v254, v[72:73], v[74:75] offset0:20 offset1:21
	s_waitcnt vmcnt(43)
	ds_write2_b64 v254, v[68:69], v[70:71] offset0:22 offset1:23
	;; [unrolled: 2-line block ×11, first 2 shown]
	ds_write2_b64 v254, v[28:29], v[30:31] offset0:42 offset1:43
	s_waitcnt vmcnt(13)
	ds_write2_b64 v254, v[24:25], v[26:27] offset0:44 offset1:45
	s_waitcnt vmcnt(12)
	;; [unrolled: 2-line block ×6, first 2 shown]
	ds_write2_b64 v254, v[4:5], v[6:7] offset0:54 offset1:55
	ds_write2_b64 v254, v[0:1], v[2:3] offset0:56 offset1:57
	s_waitcnt vmcnt(7)
	ds_write2_b64 v254, v[116:117], v[118:119] offset0:58 offset1:59
	ds_read2_b64 v[156:159], v241 offset1:1
	s_waitcnt lgkmcnt(0)
	v_cmp_neq_f64_e32 vcc, 0, v[156:157]
	v_cmp_neq_f64_e64 s[2:3], 0, v[158:159]
	s_or_b64 s[2:3], vcc, s[2:3]
	s_and_b64 exec, exec, s[2:3]
	s_cbranch_execz .LBB59_89
; %bb.84:
	v_cmp_ngt_f64_e64 s[2:3], |v[156:157]|, |v[158:159]|
                                        ; implicit-def: $vgpr160_vgpr161
	s_and_saveexec_b64 s[10:11], s[2:3]
	s_xor_b64 s[2:3], exec, s[10:11]
                                        ; implicit-def: $vgpr162_vgpr163
	s_cbranch_execz .LBB59_86
; %bb.85:
	v_div_scale_f64 v[160:161], s[10:11], v[158:159], v[158:159], v[156:157]
	v_rcp_f64_e32 v[162:163], v[160:161]
	v_div_scale_f64 v[164:165], vcc, v[156:157], v[158:159], v[156:157]
	v_fma_f64 v[166:167], -v[160:161], v[162:163], 1.0
	v_fmac_f64_e32 v[162:163], v[162:163], v[166:167]
	v_fma_f64 v[166:167], -v[160:161], v[162:163], 1.0
	v_fmac_f64_e32 v[162:163], v[162:163], v[166:167]
	v_mul_f64 v[166:167], v[164:165], v[162:163]
	v_fma_f64 v[160:161], -v[160:161], v[166:167], v[164:165]
	v_div_fmas_f64 v[160:161], v[160:161], v[162:163], v[166:167]
	v_div_fixup_f64 v[160:161], v[160:161], v[158:159], v[156:157]
	v_fmac_f64_e32 v[158:159], v[156:157], v[160:161]
	v_div_scale_f64 v[156:157], s[10:11], v[158:159], v[158:159], 1.0
	v_rcp_f64_e32 v[162:163], v[156:157]
	s_nop 0
	v_fma_f64 v[164:165], -v[156:157], v[162:163], 1.0
	v_fmac_f64_e32 v[162:163], v[162:163], v[164:165]
	v_fma_f64 v[164:165], -v[156:157], v[162:163], 1.0
	v_fmac_f64_e32 v[162:163], v[162:163], v[164:165]
	v_div_scale_f64 v[164:165], vcc, 1.0, v[158:159], 1.0
	v_mul_f64 v[166:167], v[164:165], v[162:163]
	v_fma_f64 v[156:157], -v[156:157], v[166:167], v[164:165]
	s_nop 1
	v_div_fmas_f64 v[156:157], v[156:157], v[162:163], v[166:167]
	v_div_fixup_f64 v[162:163], v[156:157], v[158:159], 1.0
	v_mul_f64 v[160:161], v[160:161], v[162:163]
	v_xor_b32_e32 v163, 0x80000000, v163
                                        ; implicit-def: $vgpr156_vgpr157
.LBB59_86:
	s_andn2_saveexec_b64 s[2:3], s[2:3]
	s_cbranch_execz .LBB59_88
; %bb.87:
	v_div_scale_f64 v[160:161], s[10:11], v[156:157], v[156:157], v[158:159]
	v_rcp_f64_e32 v[162:163], v[160:161]
	v_div_scale_f64 v[164:165], vcc, v[158:159], v[156:157], v[158:159]
	v_fma_f64 v[166:167], -v[160:161], v[162:163], 1.0
	v_fmac_f64_e32 v[162:163], v[162:163], v[166:167]
	v_fma_f64 v[166:167], -v[160:161], v[162:163], 1.0
	v_fmac_f64_e32 v[162:163], v[162:163], v[166:167]
	v_mul_f64 v[166:167], v[164:165], v[162:163]
	v_fma_f64 v[160:161], -v[160:161], v[166:167], v[164:165]
	v_div_fmas_f64 v[160:161], v[160:161], v[162:163], v[166:167]
	v_div_fixup_f64 v[162:163], v[160:161], v[156:157], v[158:159]
	v_fmac_f64_e32 v[156:157], v[158:159], v[162:163]
	v_div_scale_f64 v[158:159], s[10:11], v[156:157], v[156:157], 1.0
	v_rcp_f64_e32 v[160:161], v[158:159]
	s_nop 0
	v_fma_f64 v[164:165], -v[158:159], v[160:161], 1.0
	v_fmac_f64_e32 v[160:161], v[160:161], v[164:165]
	v_fma_f64 v[164:165], -v[158:159], v[160:161], 1.0
	v_fmac_f64_e32 v[160:161], v[160:161], v[164:165]
	v_div_scale_f64 v[164:165], vcc, 1.0, v[156:157], 1.0
	v_mul_f64 v[166:167], v[164:165], v[160:161]
	v_fma_f64 v[158:159], -v[158:159], v[166:167], v[164:165]
	s_nop 1
	v_div_fmas_f64 v[158:159], v[158:159], v[160:161], v[166:167]
	v_div_fixup_f64 v[160:161], v[158:159], v[156:157], 1.0
	v_mul_f64 v[162:163], v[162:163], -v[160:161]
.LBB59_88:
	s_or_b64 exec, exec, s[2:3]
	ds_write2_b64 v241, v[160:161], v[162:163] offset1:1
.LBB59_89:
	s_or_b64 exec, exec, s[4:5]
	s_waitcnt lgkmcnt(0)
	s_barrier
	ds_read2_b64 v[156:159], v241 offset1:1
	v_cmp_lt_u32_e32 vcc, 9, v240
	s_and_saveexec_b64 s[2:3], vcc
	s_cbranch_execz .LBB59_91
; %bb.90:
	ds_read2_b64 v[162:165], v254 offset0:20 offset1:21
	ds_read2_b64 v[166:169], v254 offset0:22 offset1:23
	s_waitcnt vmcnt(45) lgkmcnt(2)
	v_mul_f64 v[160:161], v[158:159], v[78:79]
	v_mul_f64 v[78:79], v[156:157], v[78:79]
	v_fmac_f64_e32 v[78:79], v[158:159], v[76:77]
	v_fma_f64 v[160:161], v[156:157], v[76:77], -v[160:161]
	s_waitcnt lgkmcnt(1)
	v_mul_f64 v[76:77], v[164:165], v[78:79]
	v_fma_f64 v[76:77], v[162:163], v[160:161], -v[76:77]
	v_mul_f64 v[162:163], v[162:163], v[78:79]
	v_fmac_f64_e32 v[162:163], v[164:165], v[160:161]
	s_waitcnt vmcnt(44)
	v_add_f64 v[72:73], v[72:73], -v[76:77]
	v_add_f64 v[74:75], v[74:75], -v[162:163]
	s_waitcnt lgkmcnt(0)
	v_mul_f64 v[76:77], v[168:169], v[78:79]
	ds_read2_b64 v[162:165], v254 offset0:24 offset1:25
	v_fma_f64 v[76:77], v[166:167], v[160:161], -v[76:77]
	v_mul_f64 v[166:167], v[166:167], v[78:79]
	v_fmac_f64_e32 v[166:167], v[168:169], v[160:161]
	s_waitcnt vmcnt(43)
	v_add_f64 v[70:71], v[70:71], -v[166:167]
	ds_read2_b64 v[166:169], v254 offset0:26 offset1:27
	v_add_f64 v[68:69], v[68:69], -v[76:77]
	s_waitcnt lgkmcnt(1)
	v_mul_f64 v[76:77], v[164:165], v[78:79]
	v_fma_f64 v[76:77], v[162:163], v[160:161], -v[76:77]
	v_mul_f64 v[162:163], v[162:163], v[78:79]
	v_fmac_f64_e32 v[162:163], v[164:165], v[160:161]
	s_waitcnt vmcnt(42)
	v_add_f64 v[64:65], v[64:65], -v[76:77]
	v_add_f64 v[66:67], v[66:67], -v[162:163]
	s_waitcnt lgkmcnt(0)
	v_mul_f64 v[76:77], v[168:169], v[78:79]
	ds_read2_b64 v[162:165], v254 offset0:28 offset1:29
	v_fma_f64 v[76:77], v[166:167], v[160:161], -v[76:77]
	v_mul_f64 v[166:167], v[166:167], v[78:79]
	v_fmac_f64_e32 v[166:167], v[168:169], v[160:161]
	s_waitcnt vmcnt(41)
	v_add_f64 v[62:63], v[62:63], -v[166:167]
	ds_read2_b64 v[166:169], v254 offset0:30 offset1:31
	v_add_f64 v[60:61], v[60:61], -v[76:77]
	;; [unrolled: 18-line block ×5, first 2 shown]
	s_waitcnt lgkmcnt(1)
	v_mul_f64 v[76:77], v[164:165], v[78:79]
	v_fma_f64 v[76:77], v[162:163], v[160:161], -v[76:77]
	v_mul_f64 v[162:163], v[162:163], v[78:79]
	v_fmac_f64_e32 v[162:163], v[164:165], v[160:161]
	s_waitcnt vmcnt(15)
	v_add_f64 v[32:33], v[32:33], -v[76:77]
	v_add_f64 v[34:35], v[34:35], -v[162:163]
	s_waitcnt lgkmcnt(0)
	v_mul_f64 v[76:77], v[168:169], v[78:79]
	ds_read2_b64 v[162:165], v254 offset0:44 offset1:45
	v_fma_f64 v[76:77], v[166:167], v[160:161], -v[76:77]
	v_mul_f64 v[166:167], v[166:167], v[78:79]
	v_fmac_f64_e32 v[166:167], v[168:169], v[160:161]
	v_add_f64 v[30:31], v[30:31], -v[166:167]
	ds_read2_b64 v[166:169], v254 offset0:46 offset1:47
	v_add_f64 v[28:29], v[28:29], -v[76:77]
	s_waitcnt lgkmcnt(1)
	v_mul_f64 v[76:77], v[164:165], v[78:79]
	v_fma_f64 v[76:77], v[162:163], v[160:161], -v[76:77]
	v_mul_f64 v[162:163], v[162:163], v[78:79]
	v_fmac_f64_e32 v[162:163], v[164:165], v[160:161]
	s_waitcnt vmcnt(13)
	v_add_f64 v[24:25], v[24:25], -v[76:77]
	v_add_f64 v[26:27], v[26:27], -v[162:163]
	s_waitcnt lgkmcnt(0)
	v_mul_f64 v[76:77], v[168:169], v[78:79]
	ds_read2_b64 v[162:165], v254 offset0:48 offset1:49
	v_fma_f64 v[76:77], v[166:167], v[160:161], -v[76:77]
	v_mul_f64 v[166:167], v[166:167], v[78:79]
	v_fmac_f64_e32 v[166:167], v[168:169], v[160:161]
	s_waitcnt vmcnt(12)
	v_add_f64 v[22:23], v[22:23], -v[166:167]
	ds_read2_b64 v[166:169], v254 offset0:50 offset1:51
	v_add_f64 v[20:21], v[20:21], -v[76:77]
	s_waitcnt lgkmcnt(1)
	v_mul_f64 v[76:77], v[164:165], v[78:79]
	v_fma_f64 v[76:77], v[162:163], v[160:161], -v[76:77]
	v_mul_f64 v[162:163], v[162:163], v[78:79]
	v_fmac_f64_e32 v[162:163], v[164:165], v[160:161]
	s_waitcnt vmcnt(11)
	v_add_f64 v[16:17], v[16:17], -v[76:77]
	v_add_f64 v[18:19], v[18:19], -v[162:163]
	s_waitcnt lgkmcnt(0)
	v_mul_f64 v[76:77], v[168:169], v[78:79]
	ds_read2_b64 v[162:165], v254 offset0:52 offset1:53
	v_fma_f64 v[76:77], v[166:167], v[160:161], -v[76:77]
	v_mul_f64 v[166:167], v[166:167], v[78:79]
	v_fmac_f64_e32 v[166:167], v[168:169], v[160:161]
	s_waitcnt vmcnt(10)
	;; [unrolled: 18-line block ×3, first 2 shown]
	v_add_f64 v[6:7], v[6:7], -v[166:167]
	ds_read2_b64 v[166:169], v254 offset0:58 offset1:59
	v_add_f64 v[4:5], v[4:5], -v[76:77]
	s_waitcnt lgkmcnt(1)
	v_mul_f64 v[76:77], v[164:165], v[78:79]
	v_fma_f64 v[76:77], v[162:163], v[160:161], -v[76:77]
	v_mul_f64 v[162:163], v[162:163], v[78:79]
	v_fmac_f64_e32 v[162:163], v[164:165], v[160:161]
	v_add_f64 v[0:1], v[0:1], -v[76:77]
	v_add_f64 v[2:3], v[2:3], -v[162:163]
	s_waitcnt lgkmcnt(0)
	v_mul_f64 v[76:77], v[168:169], v[78:79]
	v_mul_f64 v[162:163], v[166:167], v[78:79]
	v_fma_f64 v[76:77], v[166:167], v[160:161], -v[76:77]
	v_fmac_f64_e32 v[162:163], v[168:169], v[160:161]
	s_waitcnt vmcnt(7)
	v_add_f64 v[116:117], v[116:117], -v[76:77]
	v_add_f64 v[118:119], v[118:119], -v[162:163]
	v_mov_b64_e32 v[76:77], v[160:161]
.LBB59_91:
	s_or_b64 exec, exec, s[2:3]
	v_cmp_eq_u32_e32 vcc, 10, v240
	s_waitcnt lgkmcnt(0)
	s_barrier
	s_and_saveexec_b64 s[4:5], vcc
	s_cbranch_execz .LBB59_98
; %bb.92:
	s_waitcnt vmcnt(44)
	ds_write2_b64 v241, v[72:73], v[74:75] offset1:1
	s_waitcnt vmcnt(43)
	ds_write2_b64 v254, v[68:69], v[70:71] offset0:22 offset1:23
	s_waitcnt vmcnt(42)
	ds_write2_b64 v254, v[64:65], v[66:67] offset0:24 offset1:25
	s_waitcnt vmcnt(41)
	ds_write2_b64 v254, v[60:61], v[62:63] offset0:26 offset1:27
	s_waitcnt vmcnt(40)
	ds_write2_b64 v254, v[56:57], v[58:59] offset0:28 offset1:29
	s_waitcnt vmcnt(39)
	ds_write2_b64 v254, v[52:53], v[54:55] offset0:30 offset1:31
	s_waitcnt vmcnt(38)
	ds_write2_b64 v254, v[48:49], v[50:51] offset0:32 offset1:33
	s_waitcnt vmcnt(37)
	ds_write2_b64 v254, v[44:45], v[46:47] offset0:34 offset1:35
	s_waitcnt vmcnt(36)
	ds_write2_b64 v254, v[40:41], v[42:43] offset0:36 offset1:37
	s_waitcnt vmcnt(35)
	ds_write2_b64 v254, v[36:37], v[38:39] offset0:38 offset1:39
	s_waitcnt vmcnt(15)
	ds_write2_b64 v254, v[32:33], v[34:35] offset0:40 offset1:41
	ds_write2_b64 v254, v[28:29], v[30:31] offset0:42 offset1:43
	s_waitcnt vmcnt(13)
	ds_write2_b64 v254, v[24:25], v[26:27] offset0:44 offset1:45
	s_waitcnt vmcnt(12)
	;; [unrolled: 2-line block ×6, first 2 shown]
	ds_write2_b64 v254, v[4:5], v[6:7] offset0:54 offset1:55
	ds_write2_b64 v254, v[0:1], v[2:3] offset0:56 offset1:57
	s_waitcnt vmcnt(7)
	ds_write2_b64 v254, v[116:117], v[118:119] offset0:58 offset1:59
	ds_read2_b64 v[160:163], v241 offset1:1
	s_waitcnt lgkmcnt(0)
	v_cmp_neq_f64_e32 vcc, 0, v[160:161]
	v_cmp_neq_f64_e64 s[2:3], 0, v[162:163]
	s_or_b64 s[2:3], vcc, s[2:3]
	s_and_b64 exec, exec, s[2:3]
	s_cbranch_execz .LBB59_98
; %bb.93:
	v_cmp_ngt_f64_e64 s[2:3], |v[160:161]|, |v[162:163]|
                                        ; implicit-def: $vgpr164_vgpr165
	s_and_saveexec_b64 s[10:11], s[2:3]
	s_xor_b64 s[2:3], exec, s[10:11]
                                        ; implicit-def: $vgpr166_vgpr167
	s_cbranch_execz .LBB59_95
; %bb.94:
	v_div_scale_f64 v[164:165], s[10:11], v[162:163], v[162:163], v[160:161]
	v_rcp_f64_e32 v[166:167], v[164:165]
	v_div_scale_f64 v[168:169], vcc, v[160:161], v[162:163], v[160:161]
	v_fma_f64 v[170:171], -v[164:165], v[166:167], 1.0
	v_fmac_f64_e32 v[166:167], v[166:167], v[170:171]
	v_fma_f64 v[170:171], -v[164:165], v[166:167], 1.0
	v_fmac_f64_e32 v[166:167], v[166:167], v[170:171]
	v_mul_f64 v[170:171], v[168:169], v[166:167]
	v_fma_f64 v[164:165], -v[164:165], v[170:171], v[168:169]
	v_div_fmas_f64 v[164:165], v[164:165], v[166:167], v[170:171]
	v_div_fixup_f64 v[164:165], v[164:165], v[162:163], v[160:161]
	v_fmac_f64_e32 v[162:163], v[160:161], v[164:165]
	v_div_scale_f64 v[160:161], s[10:11], v[162:163], v[162:163], 1.0
	v_rcp_f64_e32 v[166:167], v[160:161]
	s_nop 0
	v_fma_f64 v[168:169], -v[160:161], v[166:167], 1.0
	v_fmac_f64_e32 v[166:167], v[166:167], v[168:169]
	v_fma_f64 v[168:169], -v[160:161], v[166:167], 1.0
	v_fmac_f64_e32 v[166:167], v[166:167], v[168:169]
	v_div_scale_f64 v[168:169], vcc, 1.0, v[162:163], 1.0
	v_mul_f64 v[170:171], v[168:169], v[166:167]
	v_fma_f64 v[160:161], -v[160:161], v[170:171], v[168:169]
	s_nop 1
	v_div_fmas_f64 v[160:161], v[160:161], v[166:167], v[170:171]
	v_div_fixup_f64 v[166:167], v[160:161], v[162:163], 1.0
	v_mul_f64 v[164:165], v[164:165], v[166:167]
	v_xor_b32_e32 v167, 0x80000000, v167
                                        ; implicit-def: $vgpr160_vgpr161
.LBB59_95:
	s_andn2_saveexec_b64 s[2:3], s[2:3]
	s_cbranch_execz .LBB59_97
; %bb.96:
	v_div_scale_f64 v[164:165], s[10:11], v[160:161], v[160:161], v[162:163]
	v_rcp_f64_e32 v[166:167], v[164:165]
	v_div_scale_f64 v[168:169], vcc, v[162:163], v[160:161], v[162:163]
	v_fma_f64 v[170:171], -v[164:165], v[166:167], 1.0
	v_fmac_f64_e32 v[166:167], v[166:167], v[170:171]
	v_fma_f64 v[170:171], -v[164:165], v[166:167], 1.0
	v_fmac_f64_e32 v[166:167], v[166:167], v[170:171]
	v_mul_f64 v[170:171], v[168:169], v[166:167]
	v_fma_f64 v[164:165], -v[164:165], v[170:171], v[168:169]
	v_div_fmas_f64 v[164:165], v[164:165], v[166:167], v[170:171]
	v_div_fixup_f64 v[166:167], v[164:165], v[160:161], v[162:163]
	v_fmac_f64_e32 v[160:161], v[162:163], v[166:167]
	v_div_scale_f64 v[162:163], s[10:11], v[160:161], v[160:161], 1.0
	v_rcp_f64_e32 v[164:165], v[162:163]
	s_nop 0
	v_fma_f64 v[168:169], -v[162:163], v[164:165], 1.0
	v_fmac_f64_e32 v[164:165], v[164:165], v[168:169]
	v_fma_f64 v[168:169], -v[162:163], v[164:165], 1.0
	v_fmac_f64_e32 v[164:165], v[164:165], v[168:169]
	v_div_scale_f64 v[168:169], vcc, 1.0, v[160:161], 1.0
	v_mul_f64 v[170:171], v[168:169], v[164:165]
	v_fma_f64 v[162:163], -v[162:163], v[170:171], v[168:169]
	s_nop 1
	v_div_fmas_f64 v[162:163], v[162:163], v[164:165], v[170:171]
	v_div_fixup_f64 v[164:165], v[162:163], v[160:161], 1.0
	v_mul_f64 v[166:167], v[166:167], -v[164:165]
.LBB59_97:
	s_or_b64 exec, exec, s[2:3]
	ds_write2_b64 v241, v[164:165], v[166:167] offset1:1
.LBB59_98:
	s_or_b64 exec, exec, s[4:5]
	s_waitcnt lgkmcnt(0)
	s_barrier
	ds_read2_b64 v[160:163], v241 offset1:1
	v_cmp_lt_u32_e32 vcc, 10, v240
	s_and_saveexec_b64 s[2:3], vcc
	s_cbranch_execz .LBB59_100
; %bb.99:
	ds_read2_b64 v[166:169], v254 offset0:22 offset1:23
	ds_read2_b64 v[170:173], v254 offset0:24 offset1:25
	s_waitcnt vmcnt(44) lgkmcnt(2)
	v_mul_f64 v[164:165], v[162:163], v[74:75]
	v_mul_f64 v[74:75], v[160:161], v[74:75]
	v_fmac_f64_e32 v[74:75], v[162:163], v[72:73]
	v_fma_f64 v[164:165], v[160:161], v[72:73], -v[164:165]
	s_waitcnt lgkmcnt(1)
	v_mul_f64 v[72:73], v[168:169], v[74:75]
	v_fma_f64 v[72:73], v[166:167], v[164:165], -v[72:73]
	v_mul_f64 v[166:167], v[166:167], v[74:75]
	v_fmac_f64_e32 v[166:167], v[168:169], v[164:165]
	s_waitcnt vmcnt(43)
	v_add_f64 v[70:71], v[70:71], -v[166:167]
	ds_read2_b64 v[166:169], v254 offset0:26 offset1:27
	v_add_f64 v[68:69], v[68:69], -v[72:73]
	s_waitcnt lgkmcnt(1)
	v_mul_f64 v[72:73], v[172:173], v[74:75]
	v_fma_f64 v[72:73], v[170:171], v[164:165], -v[72:73]
	v_mul_f64 v[170:171], v[170:171], v[74:75]
	v_fmac_f64_e32 v[170:171], v[172:173], v[164:165]
	s_waitcnt vmcnt(42)
	v_add_f64 v[64:65], v[64:65], -v[72:73]
	v_add_f64 v[66:67], v[66:67], -v[170:171]
	ds_read2_b64 v[170:173], v254 offset0:28 offset1:29
	s_waitcnt lgkmcnt(1)
	v_mul_f64 v[72:73], v[168:169], v[74:75]
	v_fma_f64 v[72:73], v[166:167], v[164:165], -v[72:73]
	v_mul_f64 v[166:167], v[166:167], v[74:75]
	v_fmac_f64_e32 v[166:167], v[168:169], v[164:165]
	s_waitcnt vmcnt(41)
	v_add_f64 v[62:63], v[62:63], -v[166:167]
	ds_read2_b64 v[166:169], v254 offset0:30 offset1:31
	v_add_f64 v[60:61], v[60:61], -v[72:73]
	s_waitcnt lgkmcnt(1)
	v_mul_f64 v[72:73], v[172:173], v[74:75]
	v_fma_f64 v[72:73], v[170:171], v[164:165], -v[72:73]
	v_mul_f64 v[170:171], v[170:171], v[74:75]
	v_fmac_f64_e32 v[170:171], v[172:173], v[164:165]
	s_waitcnt vmcnt(40)
	v_add_f64 v[56:57], v[56:57], -v[72:73]
	v_add_f64 v[58:59], v[58:59], -v[170:171]
	ds_read2_b64 v[170:173], v254 offset0:32 offset1:33
	;; [unrolled: 18-line block ×5, first 2 shown]
	s_waitcnt lgkmcnt(1)
	v_mul_f64 v[72:73], v[168:169], v[74:75]
	v_fma_f64 v[72:73], v[166:167], v[164:165], -v[72:73]
	v_mul_f64 v[166:167], v[166:167], v[74:75]
	v_fmac_f64_e32 v[166:167], v[168:169], v[164:165]
	v_add_f64 v[30:31], v[30:31], -v[166:167]
	ds_read2_b64 v[166:169], v254 offset0:46 offset1:47
	v_add_f64 v[28:29], v[28:29], -v[72:73]
	s_waitcnt lgkmcnt(1)
	v_mul_f64 v[72:73], v[172:173], v[74:75]
	v_fma_f64 v[72:73], v[170:171], v[164:165], -v[72:73]
	v_mul_f64 v[170:171], v[170:171], v[74:75]
	v_fmac_f64_e32 v[170:171], v[172:173], v[164:165]
	s_waitcnt vmcnt(13)
	v_add_f64 v[24:25], v[24:25], -v[72:73]
	v_add_f64 v[26:27], v[26:27], -v[170:171]
	ds_read2_b64 v[170:173], v254 offset0:48 offset1:49
	s_waitcnt lgkmcnt(1)
	v_mul_f64 v[72:73], v[168:169], v[74:75]
	v_fma_f64 v[72:73], v[166:167], v[164:165], -v[72:73]
	v_mul_f64 v[166:167], v[166:167], v[74:75]
	v_fmac_f64_e32 v[166:167], v[168:169], v[164:165]
	s_waitcnt vmcnt(12)
	v_add_f64 v[22:23], v[22:23], -v[166:167]
	ds_read2_b64 v[166:169], v254 offset0:50 offset1:51
	v_add_f64 v[20:21], v[20:21], -v[72:73]
	s_waitcnt lgkmcnt(1)
	v_mul_f64 v[72:73], v[172:173], v[74:75]
	v_fma_f64 v[72:73], v[170:171], v[164:165], -v[72:73]
	v_mul_f64 v[170:171], v[170:171], v[74:75]
	v_fmac_f64_e32 v[170:171], v[172:173], v[164:165]
	s_waitcnt vmcnt(11)
	v_add_f64 v[16:17], v[16:17], -v[72:73]
	v_add_f64 v[18:19], v[18:19], -v[170:171]
	ds_read2_b64 v[170:173], v254 offset0:52 offset1:53
	s_waitcnt lgkmcnt(1)
	v_mul_f64 v[72:73], v[168:169], v[74:75]
	v_fma_f64 v[72:73], v[166:167], v[164:165], -v[72:73]
	v_mul_f64 v[166:167], v[166:167], v[74:75]
	v_fmac_f64_e32 v[166:167], v[168:169], v[164:165]
	s_waitcnt vmcnt(10)
	;; [unrolled: 18-line block ×3, first 2 shown]
	v_add_f64 v[6:7], v[6:7], -v[166:167]
	ds_read2_b64 v[166:169], v254 offset0:58 offset1:59
	v_add_f64 v[4:5], v[4:5], -v[72:73]
	s_waitcnt lgkmcnt(1)
	v_mul_f64 v[72:73], v[172:173], v[74:75]
	v_fma_f64 v[72:73], v[170:171], v[164:165], -v[72:73]
	v_add_f64 v[0:1], v[0:1], -v[72:73]
	s_waitcnt lgkmcnt(0)
	v_mul_f64 v[72:73], v[168:169], v[74:75]
	v_mul_f64 v[170:171], v[170:171], v[74:75]
	v_fma_f64 v[72:73], v[166:167], v[164:165], -v[72:73]
	v_mul_f64 v[166:167], v[166:167], v[74:75]
	v_fmac_f64_e32 v[170:171], v[172:173], v[164:165]
	v_fmac_f64_e32 v[166:167], v[168:169], v[164:165]
	v_add_f64 v[2:3], v[2:3], -v[170:171]
	s_waitcnt vmcnt(7)
	v_add_f64 v[116:117], v[116:117], -v[72:73]
	v_add_f64 v[118:119], v[118:119], -v[166:167]
	v_mov_b64_e32 v[72:73], v[164:165]
.LBB59_100:
	s_or_b64 exec, exec, s[2:3]
	v_cmp_eq_u32_e32 vcc, 11, v240
	s_waitcnt lgkmcnt(0)
	s_barrier
	s_and_saveexec_b64 s[4:5], vcc
	s_cbranch_execz .LBB59_107
; %bb.101:
	s_waitcnt vmcnt(43)
	ds_write2_b64 v241, v[68:69], v[70:71] offset1:1
	s_waitcnt vmcnt(42)
	ds_write2_b64 v254, v[64:65], v[66:67] offset0:24 offset1:25
	s_waitcnt vmcnt(41)
	ds_write2_b64 v254, v[60:61], v[62:63] offset0:26 offset1:27
	;; [unrolled: 2-line block ×9, first 2 shown]
	ds_write2_b64 v254, v[28:29], v[30:31] offset0:42 offset1:43
	s_waitcnt vmcnt(13)
	ds_write2_b64 v254, v[24:25], v[26:27] offset0:44 offset1:45
	s_waitcnt vmcnt(12)
	;; [unrolled: 2-line block ×6, first 2 shown]
	ds_write2_b64 v254, v[4:5], v[6:7] offset0:54 offset1:55
	ds_write2_b64 v254, v[0:1], v[2:3] offset0:56 offset1:57
	s_waitcnt vmcnt(7)
	ds_write2_b64 v254, v[116:117], v[118:119] offset0:58 offset1:59
	ds_read2_b64 v[164:167], v241 offset1:1
	s_waitcnt lgkmcnt(0)
	v_cmp_neq_f64_e32 vcc, 0, v[164:165]
	v_cmp_neq_f64_e64 s[2:3], 0, v[166:167]
	s_or_b64 s[2:3], vcc, s[2:3]
	s_and_b64 exec, exec, s[2:3]
	s_cbranch_execz .LBB59_107
; %bb.102:
	v_cmp_ngt_f64_e64 s[2:3], |v[164:165]|, |v[166:167]|
                                        ; implicit-def: $vgpr168_vgpr169
	s_and_saveexec_b64 s[10:11], s[2:3]
	s_xor_b64 s[2:3], exec, s[10:11]
                                        ; implicit-def: $vgpr170_vgpr171
	s_cbranch_execz .LBB59_104
; %bb.103:
	v_div_scale_f64 v[168:169], s[10:11], v[166:167], v[166:167], v[164:165]
	v_rcp_f64_e32 v[170:171], v[168:169]
	v_div_scale_f64 v[172:173], vcc, v[164:165], v[166:167], v[164:165]
	v_fma_f64 v[174:175], -v[168:169], v[170:171], 1.0
	v_fmac_f64_e32 v[170:171], v[170:171], v[174:175]
	v_fma_f64 v[174:175], -v[168:169], v[170:171], 1.0
	v_fmac_f64_e32 v[170:171], v[170:171], v[174:175]
	v_mul_f64 v[174:175], v[172:173], v[170:171]
	v_fma_f64 v[168:169], -v[168:169], v[174:175], v[172:173]
	v_div_fmas_f64 v[168:169], v[168:169], v[170:171], v[174:175]
	v_div_fixup_f64 v[168:169], v[168:169], v[166:167], v[164:165]
	v_fmac_f64_e32 v[166:167], v[164:165], v[168:169]
	v_div_scale_f64 v[164:165], s[10:11], v[166:167], v[166:167], 1.0
	v_rcp_f64_e32 v[170:171], v[164:165]
	s_nop 0
	v_fma_f64 v[172:173], -v[164:165], v[170:171], 1.0
	v_fmac_f64_e32 v[170:171], v[170:171], v[172:173]
	v_fma_f64 v[172:173], -v[164:165], v[170:171], 1.0
	v_fmac_f64_e32 v[170:171], v[170:171], v[172:173]
	v_div_scale_f64 v[172:173], vcc, 1.0, v[166:167], 1.0
	v_mul_f64 v[174:175], v[172:173], v[170:171]
	v_fma_f64 v[164:165], -v[164:165], v[174:175], v[172:173]
	s_nop 1
	v_div_fmas_f64 v[164:165], v[164:165], v[170:171], v[174:175]
	v_div_fixup_f64 v[170:171], v[164:165], v[166:167], 1.0
	v_mul_f64 v[168:169], v[168:169], v[170:171]
	v_xor_b32_e32 v171, 0x80000000, v171
                                        ; implicit-def: $vgpr164_vgpr165
.LBB59_104:
	s_andn2_saveexec_b64 s[2:3], s[2:3]
	s_cbranch_execz .LBB59_106
; %bb.105:
	v_div_scale_f64 v[168:169], s[10:11], v[164:165], v[164:165], v[166:167]
	v_rcp_f64_e32 v[170:171], v[168:169]
	v_div_scale_f64 v[172:173], vcc, v[166:167], v[164:165], v[166:167]
	v_fma_f64 v[174:175], -v[168:169], v[170:171], 1.0
	v_fmac_f64_e32 v[170:171], v[170:171], v[174:175]
	v_fma_f64 v[174:175], -v[168:169], v[170:171], 1.0
	v_fmac_f64_e32 v[170:171], v[170:171], v[174:175]
	v_mul_f64 v[174:175], v[172:173], v[170:171]
	v_fma_f64 v[168:169], -v[168:169], v[174:175], v[172:173]
	v_div_fmas_f64 v[168:169], v[168:169], v[170:171], v[174:175]
	v_div_fixup_f64 v[170:171], v[168:169], v[164:165], v[166:167]
	v_fmac_f64_e32 v[164:165], v[166:167], v[170:171]
	v_div_scale_f64 v[166:167], s[10:11], v[164:165], v[164:165], 1.0
	v_rcp_f64_e32 v[168:169], v[166:167]
	s_nop 0
	v_fma_f64 v[172:173], -v[166:167], v[168:169], 1.0
	v_fmac_f64_e32 v[168:169], v[168:169], v[172:173]
	v_fma_f64 v[172:173], -v[166:167], v[168:169], 1.0
	v_fmac_f64_e32 v[168:169], v[168:169], v[172:173]
	v_div_scale_f64 v[172:173], vcc, 1.0, v[164:165], 1.0
	v_mul_f64 v[174:175], v[172:173], v[168:169]
	v_fma_f64 v[166:167], -v[166:167], v[174:175], v[172:173]
	s_nop 1
	v_div_fmas_f64 v[166:167], v[166:167], v[168:169], v[174:175]
	v_div_fixup_f64 v[168:169], v[166:167], v[164:165], 1.0
	v_mul_f64 v[170:171], v[170:171], -v[168:169]
.LBB59_106:
	s_or_b64 exec, exec, s[2:3]
	ds_write2_b64 v241, v[168:169], v[170:171] offset1:1
.LBB59_107:
	s_or_b64 exec, exec, s[4:5]
	s_waitcnt lgkmcnt(0)
	s_barrier
	ds_read2_b64 v[164:167], v241 offset1:1
	v_cmp_lt_u32_e32 vcc, 11, v240
	s_and_saveexec_b64 s[2:3], vcc
	s_cbranch_execz .LBB59_109
; %bb.108:
	ds_read2_b64 v[170:173], v254 offset0:24 offset1:25
	ds_read2_b64 v[174:177], v254 offset0:26 offset1:27
	s_waitcnt vmcnt(43) lgkmcnt(2)
	v_mul_f64 v[168:169], v[166:167], v[70:71]
	v_mul_f64 v[70:71], v[164:165], v[70:71]
	v_fmac_f64_e32 v[70:71], v[166:167], v[68:69]
	v_fma_f64 v[168:169], v[164:165], v[68:69], -v[168:169]
	s_waitcnt lgkmcnt(1)
	v_mul_f64 v[68:69], v[172:173], v[70:71]
	v_fma_f64 v[68:69], v[170:171], v[168:169], -v[68:69]
	v_mul_f64 v[170:171], v[170:171], v[70:71]
	v_fmac_f64_e32 v[170:171], v[172:173], v[168:169]
	s_waitcnt vmcnt(42)
	v_add_f64 v[64:65], v[64:65], -v[68:69]
	v_add_f64 v[66:67], v[66:67], -v[170:171]
	s_waitcnt lgkmcnt(0)
	v_mul_f64 v[68:69], v[176:177], v[70:71]
	ds_read2_b64 v[170:173], v254 offset0:28 offset1:29
	v_fma_f64 v[68:69], v[174:175], v[168:169], -v[68:69]
	v_mul_f64 v[174:175], v[174:175], v[70:71]
	v_fmac_f64_e32 v[174:175], v[176:177], v[168:169]
	s_waitcnt vmcnt(41)
	v_add_f64 v[62:63], v[62:63], -v[174:175]
	ds_read2_b64 v[174:177], v254 offset0:30 offset1:31
	v_add_f64 v[60:61], v[60:61], -v[68:69]
	s_waitcnt lgkmcnt(1)
	v_mul_f64 v[68:69], v[172:173], v[70:71]
	v_fma_f64 v[68:69], v[170:171], v[168:169], -v[68:69]
	v_mul_f64 v[170:171], v[170:171], v[70:71]
	v_fmac_f64_e32 v[170:171], v[172:173], v[168:169]
	s_waitcnt vmcnt(40)
	v_add_f64 v[56:57], v[56:57], -v[68:69]
	v_add_f64 v[58:59], v[58:59], -v[170:171]
	s_waitcnt lgkmcnt(0)
	v_mul_f64 v[68:69], v[176:177], v[70:71]
	ds_read2_b64 v[170:173], v254 offset0:32 offset1:33
	v_fma_f64 v[68:69], v[174:175], v[168:169], -v[68:69]
	v_mul_f64 v[174:175], v[174:175], v[70:71]
	v_fmac_f64_e32 v[174:175], v[176:177], v[168:169]
	s_waitcnt vmcnt(39)
	v_add_f64 v[54:55], v[54:55], -v[174:175]
	ds_read2_b64 v[174:177], v254 offset0:34 offset1:35
	v_add_f64 v[52:53], v[52:53], -v[68:69]
	;; [unrolled: 18-line block ×4, first 2 shown]
	s_waitcnt lgkmcnt(1)
	v_mul_f64 v[68:69], v[172:173], v[70:71]
	v_fma_f64 v[68:69], v[170:171], v[168:169], -v[68:69]
	v_mul_f64 v[170:171], v[170:171], v[70:71]
	v_fmac_f64_e32 v[170:171], v[172:173], v[168:169]
	s_waitcnt vmcnt(15)
	v_add_f64 v[32:33], v[32:33], -v[68:69]
	v_add_f64 v[34:35], v[34:35], -v[170:171]
	s_waitcnt lgkmcnt(0)
	v_mul_f64 v[68:69], v[176:177], v[70:71]
	ds_read2_b64 v[170:173], v254 offset0:44 offset1:45
	v_fma_f64 v[68:69], v[174:175], v[168:169], -v[68:69]
	v_mul_f64 v[174:175], v[174:175], v[70:71]
	v_fmac_f64_e32 v[174:175], v[176:177], v[168:169]
	v_add_f64 v[30:31], v[30:31], -v[174:175]
	ds_read2_b64 v[174:177], v254 offset0:46 offset1:47
	v_add_f64 v[28:29], v[28:29], -v[68:69]
	s_waitcnt lgkmcnt(1)
	v_mul_f64 v[68:69], v[172:173], v[70:71]
	v_fma_f64 v[68:69], v[170:171], v[168:169], -v[68:69]
	v_mul_f64 v[170:171], v[170:171], v[70:71]
	v_fmac_f64_e32 v[170:171], v[172:173], v[168:169]
	s_waitcnt vmcnt(13)
	v_add_f64 v[24:25], v[24:25], -v[68:69]
	v_add_f64 v[26:27], v[26:27], -v[170:171]
	s_waitcnt lgkmcnt(0)
	v_mul_f64 v[68:69], v[176:177], v[70:71]
	ds_read2_b64 v[170:173], v254 offset0:48 offset1:49
	v_fma_f64 v[68:69], v[174:175], v[168:169], -v[68:69]
	v_mul_f64 v[174:175], v[174:175], v[70:71]
	v_fmac_f64_e32 v[174:175], v[176:177], v[168:169]
	s_waitcnt vmcnt(12)
	v_add_f64 v[22:23], v[22:23], -v[174:175]
	ds_read2_b64 v[174:177], v254 offset0:50 offset1:51
	v_add_f64 v[20:21], v[20:21], -v[68:69]
	s_waitcnt lgkmcnt(1)
	v_mul_f64 v[68:69], v[172:173], v[70:71]
	v_fma_f64 v[68:69], v[170:171], v[168:169], -v[68:69]
	v_mul_f64 v[170:171], v[170:171], v[70:71]
	v_fmac_f64_e32 v[170:171], v[172:173], v[168:169]
	s_waitcnt vmcnt(11)
	v_add_f64 v[16:17], v[16:17], -v[68:69]
	v_add_f64 v[18:19], v[18:19], -v[170:171]
	s_waitcnt lgkmcnt(0)
	v_mul_f64 v[68:69], v[176:177], v[70:71]
	ds_read2_b64 v[170:173], v254 offset0:52 offset1:53
	v_fma_f64 v[68:69], v[174:175], v[168:169], -v[68:69]
	v_mul_f64 v[174:175], v[174:175], v[70:71]
	v_fmac_f64_e32 v[174:175], v[176:177], v[168:169]
	s_waitcnt vmcnt(10)
	;; [unrolled: 18-line block ×3, first 2 shown]
	v_add_f64 v[6:7], v[6:7], -v[174:175]
	ds_read2_b64 v[174:177], v254 offset0:58 offset1:59
	v_add_f64 v[4:5], v[4:5], -v[68:69]
	s_waitcnt lgkmcnt(1)
	v_mul_f64 v[68:69], v[172:173], v[70:71]
	v_fma_f64 v[68:69], v[170:171], v[168:169], -v[68:69]
	v_mul_f64 v[170:171], v[170:171], v[70:71]
	v_fmac_f64_e32 v[170:171], v[172:173], v[168:169]
	v_add_f64 v[0:1], v[0:1], -v[68:69]
	v_add_f64 v[2:3], v[2:3], -v[170:171]
	s_waitcnt lgkmcnt(0)
	v_mul_f64 v[68:69], v[176:177], v[70:71]
	v_mul_f64 v[170:171], v[174:175], v[70:71]
	v_fma_f64 v[68:69], v[174:175], v[168:169], -v[68:69]
	v_fmac_f64_e32 v[170:171], v[176:177], v[168:169]
	s_waitcnt vmcnt(7)
	v_add_f64 v[116:117], v[116:117], -v[68:69]
	v_add_f64 v[118:119], v[118:119], -v[170:171]
	v_mov_b64_e32 v[68:69], v[168:169]
.LBB59_109:
	s_or_b64 exec, exec, s[2:3]
	v_cmp_eq_u32_e32 vcc, 12, v240
	s_waitcnt lgkmcnt(0)
	s_barrier
	s_and_saveexec_b64 s[4:5], vcc
	s_cbranch_execz .LBB59_116
; %bb.110:
	s_waitcnt vmcnt(42)
	ds_write2_b64 v241, v[64:65], v[66:67] offset1:1
	s_waitcnt vmcnt(41)
	ds_write2_b64 v254, v[60:61], v[62:63] offset0:26 offset1:27
	s_waitcnt vmcnt(40)
	ds_write2_b64 v254, v[56:57], v[58:59] offset0:28 offset1:29
	s_waitcnt vmcnt(39)
	ds_write2_b64 v254, v[52:53], v[54:55] offset0:30 offset1:31
	s_waitcnt vmcnt(38)
	ds_write2_b64 v254, v[48:49], v[50:51] offset0:32 offset1:33
	s_waitcnt vmcnt(37)
	ds_write2_b64 v254, v[44:45], v[46:47] offset0:34 offset1:35
	s_waitcnt vmcnt(36)
	ds_write2_b64 v254, v[40:41], v[42:43] offset0:36 offset1:37
	s_waitcnt vmcnt(35)
	ds_write2_b64 v254, v[36:37], v[38:39] offset0:38 offset1:39
	s_waitcnt vmcnt(15)
	ds_write2_b64 v254, v[32:33], v[34:35] offset0:40 offset1:41
	ds_write2_b64 v254, v[28:29], v[30:31] offset0:42 offset1:43
	s_waitcnt vmcnt(13)
	ds_write2_b64 v254, v[24:25], v[26:27] offset0:44 offset1:45
	s_waitcnt vmcnt(12)
	;; [unrolled: 2-line block ×6, first 2 shown]
	ds_write2_b64 v254, v[4:5], v[6:7] offset0:54 offset1:55
	ds_write2_b64 v254, v[0:1], v[2:3] offset0:56 offset1:57
	s_waitcnt vmcnt(7)
	ds_write2_b64 v254, v[116:117], v[118:119] offset0:58 offset1:59
	ds_read2_b64 v[168:171], v241 offset1:1
	s_waitcnt lgkmcnt(0)
	v_cmp_neq_f64_e32 vcc, 0, v[168:169]
	v_cmp_neq_f64_e64 s[2:3], 0, v[170:171]
	s_or_b64 s[2:3], vcc, s[2:3]
	s_and_b64 exec, exec, s[2:3]
	s_cbranch_execz .LBB59_116
; %bb.111:
	v_cmp_ngt_f64_e64 s[2:3], |v[168:169]|, |v[170:171]|
                                        ; implicit-def: $vgpr172_vgpr173
	s_and_saveexec_b64 s[10:11], s[2:3]
	s_xor_b64 s[2:3], exec, s[10:11]
                                        ; implicit-def: $vgpr174_vgpr175
	s_cbranch_execz .LBB59_113
; %bb.112:
	v_div_scale_f64 v[172:173], s[10:11], v[170:171], v[170:171], v[168:169]
	v_rcp_f64_e32 v[174:175], v[172:173]
	v_div_scale_f64 v[176:177], vcc, v[168:169], v[170:171], v[168:169]
	v_fma_f64 v[178:179], -v[172:173], v[174:175], 1.0
	v_fmac_f64_e32 v[174:175], v[174:175], v[178:179]
	v_fma_f64 v[178:179], -v[172:173], v[174:175], 1.0
	v_fmac_f64_e32 v[174:175], v[174:175], v[178:179]
	v_mul_f64 v[178:179], v[176:177], v[174:175]
	v_fma_f64 v[172:173], -v[172:173], v[178:179], v[176:177]
	v_div_fmas_f64 v[172:173], v[172:173], v[174:175], v[178:179]
	v_div_fixup_f64 v[172:173], v[172:173], v[170:171], v[168:169]
	v_fmac_f64_e32 v[170:171], v[168:169], v[172:173]
	v_div_scale_f64 v[168:169], s[10:11], v[170:171], v[170:171], 1.0
	v_rcp_f64_e32 v[174:175], v[168:169]
	s_nop 0
	v_fma_f64 v[176:177], -v[168:169], v[174:175], 1.0
	v_fmac_f64_e32 v[174:175], v[174:175], v[176:177]
	v_fma_f64 v[176:177], -v[168:169], v[174:175], 1.0
	v_fmac_f64_e32 v[174:175], v[174:175], v[176:177]
	v_div_scale_f64 v[176:177], vcc, 1.0, v[170:171], 1.0
	v_mul_f64 v[178:179], v[176:177], v[174:175]
	v_fma_f64 v[168:169], -v[168:169], v[178:179], v[176:177]
	s_nop 1
	v_div_fmas_f64 v[168:169], v[168:169], v[174:175], v[178:179]
	v_div_fixup_f64 v[174:175], v[168:169], v[170:171], 1.0
	v_mul_f64 v[172:173], v[172:173], v[174:175]
	v_xor_b32_e32 v175, 0x80000000, v175
                                        ; implicit-def: $vgpr168_vgpr169
.LBB59_113:
	s_andn2_saveexec_b64 s[2:3], s[2:3]
	s_cbranch_execz .LBB59_115
; %bb.114:
	v_div_scale_f64 v[172:173], s[10:11], v[168:169], v[168:169], v[170:171]
	v_rcp_f64_e32 v[174:175], v[172:173]
	v_div_scale_f64 v[176:177], vcc, v[170:171], v[168:169], v[170:171]
	v_fma_f64 v[178:179], -v[172:173], v[174:175], 1.0
	v_fmac_f64_e32 v[174:175], v[174:175], v[178:179]
	v_fma_f64 v[178:179], -v[172:173], v[174:175], 1.0
	v_fmac_f64_e32 v[174:175], v[174:175], v[178:179]
	v_mul_f64 v[178:179], v[176:177], v[174:175]
	v_fma_f64 v[172:173], -v[172:173], v[178:179], v[176:177]
	v_div_fmas_f64 v[172:173], v[172:173], v[174:175], v[178:179]
	v_div_fixup_f64 v[174:175], v[172:173], v[168:169], v[170:171]
	v_fmac_f64_e32 v[168:169], v[170:171], v[174:175]
	v_div_scale_f64 v[170:171], s[10:11], v[168:169], v[168:169], 1.0
	v_rcp_f64_e32 v[172:173], v[170:171]
	s_nop 0
	v_fma_f64 v[176:177], -v[170:171], v[172:173], 1.0
	v_fmac_f64_e32 v[172:173], v[172:173], v[176:177]
	v_fma_f64 v[176:177], -v[170:171], v[172:173], 1.0
	v_fmac_f64_e32 v[172:173], v[172:173], v[176:177]
	v_div_scale_f64 v[176:177], vcc, 1.0, v[168:169], 1.0
	v_mul_f64 v[178:179], v[176:177], v[172:173]
	v_fma_f64 v[170:171], -v[170:171], v[178:179], v[176:177]
	s_nop 1
	v_div_fmas_f64 v[170:171], v[170:171], v[172:173], v[178:179]
	v_div_fixup_f64 v[172:173], v[170:171], v[168:169], 1.0
	v_mul_f64 v[174:175], v[174:175], -v[172:173]
.LBB59_115:
	s_or_b64 exec, exec, s[2:3]
	ds_write2_b64 v241, v[172:173], v[174:175] offset1:1
.LBB59_116:
	s_or_b64 exec, exec, s[4:5]
	s_waitcnt lgkmcnt(0)
	s_barrier
	ds_read2_b64 v[168:171], v241 offset1:1
	v_cmp_lt_u32_e32 vcc, 12, v240
	s_and_saveexec_b64 s[2:3], vcc
	s_cbranch_execz .LBB59_118
; %bb.117:
	ds_read2_b64 v[174:177], v254 offset0:26 offset1:27
	ds_read2_b64 v[178:181], v254 offset0:28 offset1:29
	s_waitcnt vmcnt(42) lgkmcnt(2)
	v_mul_f64 v[172:173], v[170:171], v[66:67]
	v_mul_f64 v[66:67], v[168:169], v[66:67]
	v_fmac_f64_e32 v[66:67], v[170:171], v[64:65]
	v_fma_f64 v[172:173], v[168:169], v[64:65], -v[172:173]
	s_waitcnt lgkmcnt(1)
	v_mul_f64 v[64:65], v[176:177], v[66:67]
	v_fma_f64 v[64:65], v[174:175], v[172:173], -v[64:65]
	v_mul_f64 v[174:175], v[174:175], v[66:67]
	v_fmac_f64_e32 v[174:175], v[176:177], v[172:173]
	s_waitcnt vmcnt(41)
	v_add_f64 v[62:63], v[62:63], -v[174:175]
	ds_read2_b64 v[174:177], v254 offset0:30 offset1:31
	v_add_f64 v[60:61], v[60:61], -v[64:65]
	s_waitcnt lgkmcnt(1)
	v_mul_f64 v[64:65], v[180:181], v[66:67]
	v_fma_f64 v[64:65], v[178:179], v[172:173], -v[64:65]
	v_mul_f64 v[178:179], v[178:179], v[66:67]
	v_fmac_f64_e32 v[178:179], v[180:181], v[172:173]
	s_waitcnt vmcnt(40)
	v_add_f64 v[56:57], v[56:57], -v[64:65]
	v_add_f64 v[58:59], v[58:59], -v[178:179]
	ds_read2_b64 v[178:181], v254 offset0:32 offset1:33
	s_waitcnt lgkmcnt(1)
	v_mul_f64 v[64:65], v[176:177], v[66:67]
	v_fma_f64 v[64:65], v[174:175], v[172:173], -v[64:65]
	v_mul_f64 v[174:175], v[174:175], v[66:67]
	v_fmac_f64_e32 v[174:175], v[176:177], v[172:173]
	s_waitcnt vmcnt(39)
	v_add_f64 v[54:55], v[54:55], -v[174:175]
	ds_read2_b64 v[174:177], v254 offset0:34 offset1:35
	v_add_f64 v[52:53], v[52:53], -v[64:65]
	s_waitcnt lgkmcnt(1)
	v_mul_f64 v[64:65], v[180:181], v[66:67]
	v_fma_f64 v[64:65], v[178:179], v[172:173], -v[64:65]
	v_mul_f64 v[178:179], v[178:179], v[66:67]
	v_fmac_f64_e32 v[178:179], v[180:181], v[172:173]
	s_waitcnt vmcnt(38)
	v_add_f64 v[48:49], v[48:49], -v[64:65]
	v_add_f64 v[50:51], v[50:51], -v[178:179]
	ds_read2_b64 v[178:181], v254 offset0:36 offset1:37
	;; [unrolled: 18-line block ×4, first 2 shown]
	s_waitcnt lgkmcnt(1)
	v_mul_f64 v[64:65], v[176:177], v[66:67]
	v_fma_f64 v[64:65], v[174:175], v[172:173], -v[64:65]
	v_mul_f64 v[174:175], v[174:175], v[66:67]
	v_fmac_f64_e32 v[174:175], v[176:177], v[172:173]
	v_add_f64 v[30:31], v[30:31], -v[174:175]
	ds_read2_b64 v[174:177], v254 offset0:46 offset1:47
	v_add_f64 v[28:29], v[28:29], -v[64:65]
	s_waitcnt lgkmcnt(1)
	v_mul_f64 v[64:65], v[180:181], v[66:67]
	v_fma_f64 v[64:65], v[178:179], v[172:173], -v[64:65]
	v_mul_f64 v[178:179], v[178:179], v[66:67]
	v_fmac_f64_e32 v[178:179], v[180:181], v[172:173]
	s_waitcnt vmcnt(13)
	v_add_f64 v[24:25], v[24:25], -v[64:65]
	v_add_f64 v[26:27], v[26:27], -v[178:179]
	ds_read2_b64 v[178:181], v254 offset0:48 offset1:49
	s_waitcnt lgkmcnt(1)
	v_mul_f64 v[64:65], v[176:177], v[66:67]
	v_fma_f64 v[64:65], v[174:175], v[172:173], -v[64:65]
	v_mul_f64 v[174:175], v[174:175], v[66:67]
	v_fmac_f64_e32 v[174:175], v[176:177], v[172:173]
	s_waitcnt vmcnt(12)
	v_add_f64 v[22:23], v[22:23], -v[174:175]
	ds_read2_b64 v[174:177], v254 offset0:50 offset1:51
	v_add_f64 v[20:21], v[20:21], -v[64:65]
	s_waitcnt lgkmcnt(1)
	v_mul_f64 v[64:65], v[180:181], v[66:67]
	v_fma_f64 v[64:65], v[178:179], v[172:173], -v[64:65]
	v_mul_f64 v[178:179], v[178:179], v[66:67]
	v_fmac_f64_e32 v[178:179], v[180:181], v[172:173]
	s_waitcnt vmcnt(11)
	v_add_f64 v[16:17], v[16:17], -v[64:65]
	v_add_f64 v[18:19], v[18:19], -v[178:179]
	ds_read2_b64 v[178:181], v254 offset0:52 offset1:53
	s_waitcnt lgkmcnt(1)
	v_mul_f64 v[64:65], v[176:177], v[66:67]
	v_fma_f64 v[64:65], v[174:175], v[172:173], -v[64:65]
	v_mul_f64 v[174:175], v[174:175], v[66:67]
	v_fmac_f64_e32 v[174:175], v[176:177], v[172:173]
	s_waitcnt vmcnt(10)
	;; [unrolled: 18-line block ×3, first 2 shown]
	v_add_f64 v[6:7], v[6:7], -v[174:175]
	ds_read2_b64 v[174:177], v254 offset0:58 offset1:59
	v_add_f64 v[4:5], v[4:5], -v[64:65]
	s_waitcnt lgkmcnt(1)
	v_mul_f64 v[64:65], v[180:181], v[66:67]
	v_fma_f64 v[64:65], v[178:179], v[172:173], -v[64:65]
	v_add_f64 v[0:1], v[0:1], -v[64:65]
	s_waitcnt lgkmcnt(0)
	v_mul_f64 v[64:65], v[176:177], v[66:67]
	v_mul_f64 v[178:179], v[178:179], v[66:67]
	v_fma_f64 v[64:65], v[174:175], v[172:173], -v[64:65]
	v_mul_f64 v[174:175], v[174:175], v[66:67]
	v_fmac_f64_e32 v[178:179], v[180:181], v[172:173]
	v_fmac_f64_e32 v[174:175], v[176:177], v[172:173]
	v_add_f64 v[2:3], v[2:3], -v[178:179]
	s_waitcnt vmcnt(7)
	v_add_f64 v[116:117], v[116:117], -v[64:65]
	v_add_f64 v[118:119], v[118:119], -v[174:175]
	v_mov_b64_e32 v[64:65], v[172:173]
.LBB59_118:
	s_or_b64 exec, exec, s[2:3]
	v_cmp_eq_u32_e32 vcc, 13, v240
	s_waitcnt lgkmcnt(0)
	s_barrier
	s_and_saveexec_b64 s[4:5], vcc
	s_cbranch_execz .LBB59_125
; %bb.119:
	s_waitcnt vmcnt(41)
	ds_write2_b64 v241, v[60:61], v[62:63] offset1:1
	s_waitcnt vmcnt(40)
	ds_write2_b64 v254, v[56:57], v[58:59] offset0:28 offset1:29
	s_waitcnt vmcnt(39)
	ds_write2_b64 v254, v[52:53], v[54:55] offset0:30 offset1:31
	;; [unrolled: 2-line block ×7, first 2 shown]
	ds_write2_b64 v254, v[28:29], v[30:31] offset0:42 offset1:43
	s_waitcnt vmcnt(13)
	ds_write2_b64 v254, v[24:25], v[26:27] offset0:44 offset1:45
	s_waitcnt vmcnt(12)
	;; [unrolled: 2-line block ×6, first 2 shown]
	ds_write2_b64 v254, v[4:5], v[6:7] offset0:54 offset1:55
	ds_write2_b64 v254, v[0:1], v[2:3] offset0:56 offset1:57
	s_waitcnt vmcnt(7)
	ds_write2_b64 v254, v[116:117], v[118:119] offset0:58 offset1:59
	ds_read2_b64 v[172:175], v241 offset1:1
	s_waitcnt lgkmcnt(0)
	v_cmp_neq_f64_e32 vcc, 0, v[172:173]
	v_cmp_neq_f64_e64 s[2:3], 0, v[174:175]
	s_or_b64 s[2:3], vcc, s[2:3]
	s_and_b64 exec, exec, s[2:3]
	s_cbranch_execz .LBB59_125
; %bb.120:
	v_cmp_ngt_f64_e64 s[2:3], |v[172:173]|, |v[174:175]|
                                        ; implicit-def: $vgpr176_vgpr177
	s_and_saveexec_b64 s[10:11], s[2:3]
	s_xor_b64 s[2:3], exec, s[10:11]
                                        ; implicit-def: $vgpr178_vgpr179
	s_cbranch_execz .LBB59_122
; %bb.121:
	v_div_scale_f64 v[176:177], s[10:11], v[174:175], v[174:175], v[172:173]
	v_rcp_f64_e32 v[178:179], v[176:177]
	v_div_scale_f64 v[180:181], vcc, v[172:173], v[174:175], v[172:173]
	v_fma_f64 v[182:183], -v[176:177], v[178:179], 1.0
	v_fmac_f64_e32 v[178:179], v[178:179], v[182:183]
	v_fma_f64 v[182:183], -v[176:177], v[178:179], 1.0
	v_fmac_f64_e32 v[178:179], v[178:179], v[182:183]
	v_mul_f64 v[182:183], v[180:181], v[178:179]
	v_fma_f64 v[176:177], -v[176:177], v[182:183], v[180:181]
	v_div_fmas_f64 v[176:177], v[176:177], v[178:179], v[182:183]
	v_div_fixup_f64 v[176:177], v[176:177], v[174:175], v[172:173]
	v_fmac_f64_e32 v[174:175], v[172:173], v[176:177]
	v_div_scale_f64 v[172:173], s[10:11], v[174:175], v[174:175], 1.0
	v_rcp_f64_e32 v[178:179], v[172:173]
	s_nop 0
	v_fma_f64 v[180:181], -v[172:173], v[178:179], 1.0
	v_fmac_f64_e32 v[178:179], v[178:179], v[180:181]
	v_fma_f64 v[180:181], -v[172:173], v[178:179], 1.0
	v_fmac_f64_e32 v[178:179], v[178:179], v[180:181]
	v_div_scale_f64 v[180:181], vcc, 1.0, v[174:175], 1.0
	v_mul_f64 v[182:183], v[180:181], v[178:179]
	v_fma_f64 v[172:173], -v[172:173], v[182:183], v[180:181]
	s_nop 1
	v_div_fmas_f64 v[172:173], v[172:173], v[178:179], v[182:183]
	v_div_fixup_f64 v[178:179], v[172:173], v[174:175], 1.0
	v_mul_f64 v[176:177], v[176:177], v[178:179]
	v_xor_b32_e32 v179, 0x80000000, v179
                                        ; implicit-def: $vgpr172_vgpr173
.LBB59_122:
	s_andn2_saveexec_b64 s[2:3], s[2:3]
	s_cbranch_execz .LBB59_124
; %bb.123:
	v_div_scale_f64 v[176:177], s[10:11], v[172:173], v[172:173], v[174:175]
	v_rcp_f64_e32 v[178:179], v[176:177]
	v_div_scale_f64 v[180:181], vcc, v[174:175], v[172:173], v[174:175]
	v_fma_f64 v[182:183], -v[176:177], v[178:179], 1.0
	v_fmac_f64_e32 v[178:179], v[178:179], v[182:183]
	v_fma_f64 v[182:183], -v[176:177], v[178:179], 1.0
	v_fmac_f64_e32 v[178:179], v[178:179], v[182:183]
	v_mul_f64 v[182:183], v[180:181], v[178:179]
	v_fma_f64 v[176:177], -v[176:177], v[182:183], v[180:181]
	v_div_fmas_f64 v[176:177], v[176:177], v[178:179], v[182:183]
	v_div_fixup_f64 v[178:179], v[176:177], v[172:173], v[174:175]
	v_fmac_f64_e32 v[172:173], v[174:175], v[178:179]
	v_div_scale_f64 v[174:175], s[10:11], v[172:173], v[172:173], 1.0
	v_rcp_f64_e32 v[176:177], v[174:175]
	s_nop 0
	v_fma_f64 v[180:181], -v[174:175], v[176:177], 1.0
	v_fmac_f64_e32 v[176:177], v[176:177], v[180:181]
	v_fma_f64 v[180:181], -v[174:175], v[176:177], 1.0
	v_fmac_f64_e32 v[176:177], v[176:177], v[180:181]
	v_div_scale_f64 v[180:181], vcc, 1.0, v[172:173], 1.0
	v_mul_f64 v[182:183], v[180:181], v[176:177]
	v_fma_f64 v[174:175], -v[174:175], v[182:183], v[180:181]
	s_nop 1
	v_div_fmas_f64 v[174:175], v[174:175], v[176:177], v[182:183]
	v_div_fixup_f64 v[176:177], v[174:175], v[172:173], 1.0
	v_mul_f64 v[178:179], v[178:179], -v[176:177]
.LBB59_124:
	s_or_b64 exec, exec, s[2:3]
	ds_write2_b64 v241, v[176:177], v[178:179] offset1:1
.LBB59_125:
	s_or_b64 exec, exec, s[4:5]
	s_waitcnt lgkmcnt(0)
	s_barrier
	ds_read2_b64 v[172:175], v241 offset1:1
	v_cmp_lt_u32_e32 vcc, 13, v240
	s_and_saveexec_b64 s[2:3], vcc
	s_cbranch_execz .LBB59_127
; %bb.126:
	ds_read2_b64 v[178:181], v254 offset0:28 offset1:29
	ds_read2_b64 v[182:185], v254 offset0:30 offset1:31
	s_waitcnt vmcnt(41) lgkmcnt(2)
	v_mul_f64 v[176:177], v[172:173], v[62:63]
	v_fmac_f64_e32 v[176:177], v[174:175], v[60:61]
	v_mul_f64 v[62:63], v[174:175], v[62:63]
	v_fma_f64 v[60:61], v[172:173], v[60:61], -v[62:63]
	s_waitcnt lgkmcnt(1)
	v_mul_f64 v[62:63], v[180:181], v[176:177]
	v_fma_f64 v[62:63], v[178:179], v[60:61], -v[62:63]
	v_mul_f64 v[178:179], v[178:179], v[176:177]
	v_fmac_f64_e32 v[178:179], v[180:181], v[60:61]
	s_waitcnt vmcnt(40)
	v_add_f64 v[56:57], v[56:57], -v[62:63]
	v_add_f64 v[58:59], v[58:59], -v[178:179]
	s_waitcnt lgkmcnt(0)
	v_mul_f64 v[62:63], v[184:185], v[176:177]
	ds_read2_b64 v[178:181], v254 offset0:32 offset1:33
	v_fma_f64 v[62:63], v[182:183], v[60:61], -v[62:63]
	v_mul_f64 v[182:183], v[182:183], v[176:177]
	v_fmac_f64_e32 v[182:183], v[184:185], v[60:61]
	s_waitcnt vmcnt(39)
	v_add_f64 v[54:55], v[54:55], -v[182:183]
	ds_read2_b64 v[182:185], v254 offset0:34 offset1:35
	v_add_f64 v[52:53], v[52:53], -v[62:63]
	s_waitcnt lgkmcnt(1)
	v_mul_f64 v[62:63], v[180:181], v[176:177]
	v_fma_f64 v[62:63], v[178:179], v[60:61], -v[62:63]
	v_mul_f64 v[178:179], v[178:179], v[176:177]
	v_fmac_f64_e32 v[178:179], v[180:181], v[60:61]
	s_waitcnt vmcnt(38)
	v_add_f64 v[48:49], v[48:49], -v[62:63]
	v_add_f64 v[50:51], v[50:51], -v[178:179]
	s_waitcnt lgkmcnt(0)
	v_mul_f64 v[62:63], v[184:185], v[176:177]
	ds_read2_b64 v[178:181], v254 offset0:36 offset1:37
	v_fma_f64 v[62:63], v[182:183], v[60:61], -v[62:63]
	v_mul_f64 v[182:183], v[182:183], v[176:177]
	v_fmac_f64_e32 v[182:183], v[184:185], v[60:61]
	s_waitcnt vmcnt(37)
	v_add_f64 v[46:47], v[46:47], -v[182:183]
	ds_read2_b64 v[182:185], v254 offset0:38 offset1:39
	v_add_f64 v[44:45], v[44:45], -v[62:63]
	;; [unrolled: 18-line block ×3, first 2 shown]
	s_waitcnt lgkmcnt(1)
	v_mul_f64 v[62:63], v[180:181], v[176:177]
	v_fma_f64 v[62:63], v[178:179], v[60:61], -v[62:63]
	v_mul_f64 v[178:179], v[178:179], v[176:177]
	v_fmac_f64_e32 v[178:179], v[180:181], v[60:61]
	s_waitcnt vmcnt(15)
	v_add_f64 v[32:33], v[32:33], -v[62:63]
	v_add_f64 v[34:35], v[34:35], -v[178:179]
	s_waitcnt lgkmcnt(0)
	v_mul_f64 v[62:63], v[184:185], v[176:177]
	ds_read2_b64 v[178:181], v254 offset0:44 offset1:45
	v_fma_f64 v[62:63], v[182:183], v[60:61], -v[62:63]
	v_mul_f64 v[182:183], v[182:183], v[176:177]
	v_fmac_f64_e32 v[182:183], v[184:185], v[60:61]
	v_add_f64 v[30:31], v[30:31], -v[182:183]
	ds_read2_b64 v[182:185], v254 offset0:46 offset1:47
	v_add_f64 v[28:29], v[28:29], -v[62:63]
	s_waitcnt lgkmcnt(1)
	v_mul_f64 v[62:63], v[180:181], v[176:177]
	v_fma_f64 v[62:63], v[178:179], v[60:61], -v[62:63]
	v_mul_f64 v[178:179], v[178:179], v[176:177]
	v_fmac_f64_e32 v[178:179], v[180:181], v[60:61]
	s_waitcnt vmcnt(13)
	v_add_f64 v[24:25], v[24:25], -v[62:63]
	v_add_f64 v[26:27], v[26:27], -v[178:179]
	s_waitcnt lgkmcnt(0)
	v_mul_f64 v[62:63], v[184:185], v[176:177]
	ds_read2_b64 v[178:181], v254 offset0:48 offset1:49
	v_fma_f64 v[62:63], v[182:183], v[60:61], -v[62:63]
	v_mul_f64 v[182:183], v[182:183], v[176:177]
	v_fmac_f64_e32 v[182:183], v[184:185], v[60:61]
	s_waitcnt vmcnt(12)
	v_add_f64 v[22:23], v[22:23], -v[182:183]
	ds_read2_b64 v[182:185], v254 offset0:50 offset1:51
	v_add_f64 v[20:21], v[20:21], -v[62:63]
	s_waitcnt lgkmcnt(1)
	v_mul_f64 v[62:63], v[180:181], v[176:177]
	v_fma_f64 v[62:63], v[178:179], v[60:61], -v[62:63]
	v_mul_f64 v[178:179], v[178:179], v[176:177]
	v_fmac_f64_e32 v[178:179], v[180:181], v[60:61]
	s_waitcnt vmcnt(11)
	v_add_f64 v[16:17], v[16:17], -v[62:63]
	v_add_f64 v[18:19], v[18:19], -v[178:179]
	s_waitcnt lgkmcnt(0)
	v_mul_f64 v[62:63], v[184:185], v[176:177]
	ds_read2_b64 v[178:181], v254 offset0:52 offset1:53
	v_fma_f64 v[62:63], v[182:183], v[60:61], -v[62:63]
	v_mul_f64 v[182:183], v[182:183], v[176:177]
	v_fmac_f64_e32 v[182:183], v[184:185], v[60:61]
	s_waitcnt vmcnt(10)
	;; [unrolled: 18-line block ×3, first 2 shown]
	v_add_f64 v[6:7], v[6:7], -v[182:183]
	ds_read2_b64 v[182:185], v254 offset0:58 offset1:59
	v_add_f64 v[4:5], v[4:5], -v[62:63]
	s_waitcnt lgkmcnt(1)
	v_mul_f64 v[62:63], v[180:181], v[176:177]
	v_fma_f64 v[62:63], v[178:179], v[60:61], -v[62:63]
	v_mul_f64 v[178:179], v[178:179], v[176:177]
	v_fmac_f64_e32 v[178:179], v[180:181], v[60:61]
	v_add_f64 v[0:1], v[0:1], -v[62:63]
	v_add_f64 v[2:3], v[2:3], -v[178:179]
	s_waitcnt lgkmcnt(0)
	v_mul_f64 v[62:63], v[184:185], v[176:177]
	v_mul_f64 v[178:179], v[182:183], v[176:177]
	v_fma_f64 v[62:63], v[182:183], v[60:61], -v[62:63]
	v_fmac_f64_e32 v[178:179], v[184:185], v[60:61]
	s_waitcnt vmcnt(7)
	v_add_f64 v[116:117], v[116:117], -v[62:63]
	v_add_f64 v[118:119], v[118:119], -v[178:179]
	v_mov_b64_e32 v[62:63], v[176:177]
.LBB59_127:
	s_or_b64 exec, exec, s[2:3]
	v_cmp_eq_u32_e32 vcc, 14, v240
	s_waitcnt lgkmcnt(0)
	s_barrier
	s_and_saveexec_b64 s[4:5], vcc
	s_cbranch_execz .LBB59_134
; %bb.128:
	s_waitcnt vmcnt(40)
	ds_write2_b64 v241, v[56:57], v[58:59] offset1:1
	s_waitcnt vmcnt(39)
	ds_write2_b64 v254, v[52:53], v[54:55] offset0:30 offset1:31
	s_waitcnt vmcnt(38)
	ds_write2_b64 v254, v[48:49], v[50:51] offset0:32 offset1:33
	;; [unrolled: 2-line block ×6, first 2 shown]
	ds_write2_b64 v254, v[28:29], v[30:31] offset0:42 offset1:43
	s_waitcnt vmcnt(13)
	ds_write2_b64 v254, v[24:25], v[26:27] offset0:44 offset1:45
	s_waitcnt vmcnt(12)
	;; [unrolled: 2-line block ×6, first 2 shown]
	ds_write2_b64 v254, v[4:5], v[6:7] offset0:54 offset1:55
	ds_write2_b64 v254, v[0:1], v[2:3] offset0:56 offset1:57
	s_waitcnt vmcnt(7)
	ds_write2_b64 v254, v[116:117], v[118:119] offset0:58 offset1:59
	ds_read2_b64 v[176:179], v241 offset1:1
	s_waitcnt lgkmcnt(0)
	v_cmp_neq_f64_e32 vcc, 0, v[176:177]
	v_cmp_neq_f64_e64 s[2:3], 0, v[178:179]
	s_or_b64 s[2:3], vcc, s[2:3]
	s_and_b64 exec, exec, s[2:3]
	s_cbranch_execz .LBB59_134
; %bb.129:
	v_cmp_ngt_f64_e64 s[2:3], |v[176:177]|, |v[178:179]|
                                        ; implicit-def: $vgpr180_vgpr181
	s_and_saveexec_b64 s[10:11], s[2:3]
	s_xor_b64 s[2:3], exec, s[10:11]
                                        ; implicit-def: $vgpr182_vgpr183
	s_cbranch_execz .LBB59_131
; %bb.130:
	v_div_scale_f64 v[180:181], s[10:11], v[178:179], v[178:179], v[176:177]
	v_rcp_f64_e32 v[182:183], v[180:181]
	v_div_scale_f64 v[184:185], vcc, v[176:177], v[178:179], v[176:177]
	v_fma_f64 v[186:187], -v[180:181], v[182:183], 1.0
	v_fmac_f64_e32 v[182:183], v[182:183], v[186:187]
	v_fma_f64 v[186:187], -v[180:181], v[182:183], 1.0
	v_fmac_f64_e32 v[182:183], v[182:183], v[186:187]
	v_mul_f64 v[186:187], v[184:185], v[182:183]
	v_fma_f64 v[180:181], -v[180:181], v[186:187], v[184:185]
	v_div_fmas_f64 v[180:181], v[180:181], v[182:183], v[186:187]
	v_div_fixup_f64 v[180:181], v[180:181], v[178:179], v[176:177]
	v_fmac_f64_e32 v[178:179], v[176:177], v[180:181]
	v_div_scale_f64 v[176:177], s[10:11], v[178:179], v[178:179], 1.0
	v_rcp_f64_e32 v[182:183], v[176:177]
	s_nop 0
	v_fma_f64 v[184:185], -v[176:177], v[182:183], 1.0
	v_fmac_f64_e32 v[182:183], v[182:183], v[184:185]
	v_fma_f64 v[184:185], -v[176:177], v[182:183], 1.0
	v_fmac_f64_e32 v[182:183], v[182:183], v[184:185]
	v_div_scale_f64 v[184:185], vcc, 1.0, v[178:179], 1.0
	v_mul_f64 v[186:187], v[184:185], v[182:183]
	v_fma_f64 v[176:177], -v[176:177], v[186:187], v[184:185]
	s_nop 1
	v_div_fmas_f64 v[176:177], v[176:177], v[182:183], v[186:187]
	v_div_fixup_f64 v[182:183], v[176:177], v[178:179], 1.0
	v_mul_f64 v[180:181], v[180:181], v[182:183]
	v_xor_b32_e32 v183, 0x80000000, v183
                                        ; implicit-def: $vgpr176_vgpr177
.LBB59_131:
	s_andn2_saveexec_b64 s[2:3], s[2:3]
	s_cbranch_execz .LBB59_133
; %bb.132:
	v_div_scale_f64 v[180:181], s[10:11], v[176:177], v[176:177], v[178:179]
	v_rcp_f64_e32 v[182:183], v[180:181]
	v_div_scale_f64 v[184:185], vcc, v[178:179], v[176:177], v[178:179]
	v_fma_f64 v[186:187], -v[180:181], v[182:183], 1.0
	v_fmac_f64_e32 v[182:183], v[182:183], v[186:187]
	v_fma_f64 v[186:187], -v[180:181], v[182:183], 1.0
	v_fmac_f64_e32 v[182:183], v[182:183], v[186:187]
	v_mul_f64 v[186:187], v[184:185], v[182:183]
	v_fma_f64 v[180:181], -v[180:181], v[186:187], v[184:185]
	v_div_fmas_f64 v[180:181], v[180:181], v[182:183], v[186:187]
	v_div_fixup_f64 v[182:183], v[180:181], v[176:177], v[178:179]
	v_fmac_f64_e32 v[176:177], v[178:179], v[182:183]
	v_div_scale_f64 v[178:179], s[10:11], v[176:177], v[176:177], 1.0
	v_rcp_f64_e32 v[180:181], v[178:179]
	s_nop 0
	v_fma_f64 v[184:185], -v[178:179], v[180:181], 1.0
	v_fmac_f64_e32 v[180:181], v[180:181], v[184:185]
	v_fma_f64 v[184:185], -v[178:179], v[180:181], 1.0
	v_fmac_f64_e32 v[180:181], v[180:181], v[184:185]
	v_div_scale_f64 v[184:185], vcc, 1.0, v[176:177], 1.0
	v_mul_f64 v[186:187], v[184:185], v[180:181]
	v_fma_f64 v[178:179], -v[178:179], v[186:187], v[184:185]
	s_nop 1
	v_div_fmas_f64 v[178:179], v[178:179], v[180:181], v[186:187]
	v_div_fixup_f64 v[180:181], v[178:179], v[176:177], 1.0
	v_mul_f64 v[182:183], v[182:183], -v[180:181]
.LBB59_133:
	s_or_b64 exec, exec, s[2:3]
	ds_write2_b64 v241, v[180:181], v[182:183] offset1:1
.LBB59_134:
	s_or_b64 exec, exec, s[4:5]
	s_waitcnt lgkmcnt(0)
	s_barrier
	ds_read2_b64 v[176:179], v241 offset1:1
	v_cmp_lt_u32_e32 vcc, 14, v240
	s_and_saveexec_b64 s[2:3], vcc
	s_cbranch_execz .LBB59_136
; %bb.135:
	ds_read2_b64 v[182:185], v254 offset0:30 offset1:31
	s_waitcnt vmcnt(40) lgkmcnt(1)
	v_mul_f64 v[180:181], v[176:177], v[58:59]
	v_fmac_f64_e32 v[180:181], v[178:179], v[56:57]
	v_mul_f64 v[58:59], v[178:179], v[58:59]
	v_fma_f64 v[56:57], v[176:177], v[56:57], -v[58:59]
	s_waitcnt lgkmcnt(0)
	v_mul_f64 v[58:59], v[184:185], v[180:181]
	v_fma_f64 v[58:59], v[182:183], v[56:57], -v[58:59]
	v_mul_f64 v[182:183], v[182:183], v[180:181]
	v_fmac_f64_e32 v[182:183], v[184:185], v[56:57]
	s_waitcnt vmcnt(39)
	v_add_f64 v[54:55], v[54:55], -v[182:183]
	ds_read2_b64 v[182:185], v254 offset0:32 offset1:33
	v_add_f64 v[52:53], v[52:53], -v[58:59]
	s_waitcnt lgkmcnt(0)
	v_mul_f64 v[58:59], v[184:185], v[180:181]
	v_fma_f64 v[58:59], v[182:183], v[56:57], -v[58:59]
	v_mul_f64 v[182:183], v[182:183], v[180:181]
	v_fmac_f64_e32 v[182:183], v[184:185], v[56:57]
	s_waitcnt vmcnt(38)
	v_add_f64 v[50:51], v[50:51], -v[182:183]
	ds_read2_b64 v[182:185], v254 offset0:34 offset1:35
	v_add_f64 v[48:49], v[48:49], -v[58:59]
	;; [unrolled: 9-line block ×6, first 2 shown]
	s_waitcnt lgkmcnt(0)
	v_mul_f64 v[58:59], v[184:185], v[180:181]
	v_fma_f64 v[58:59], v[182:183], v[56:57], -v[58:59]
	v_mul_f64 v[182:183], v[182:183], v[180:181]
	v_fmac_f64_e32 v[182:183], v[184:185], v[56:57]
	v_add_f64 v[30:31], v[30:31], -v[182:183]
	ds_read2_b64 v[182:185], v254 offset0:44 offset1:45
	v_add_f64 v[28:29], v[28:29], -v[58:59]
	s_waitcnt lgkmcnt(0)
	v_mul_f64 v[58:59], v[184:185], v[180:181]
	v_fma_f64 v[58:59], v[182:183], v[56:57], -v[58:59]
	v_mul_f64 v[182:183], v[182:183], v[180:181]
	v_fmac_f64_e32 v[182:183], v[184:185], v[56:57]
	s_waitcnt vmcnt(13)
	v_add_f64 v[26:27], v[26:27], -v[182:183]
	ds_read2_b64 v[182:185], v254 offset0:46 offset1:47
	v_add_f64 v[24:25], v[24:25], -v[58:59]
	s_waitcnt lgkmcnt(0)
	v_mul_f64 v[58:59], v[184:185], v[180:181]
	v_fma_f64 v[58:59], v[182:183], v[56:57], -v[58:59]
	v_mul_f64 v[182:183], v[182:183], v[180:181]
	v_fmac_f64_e32 v[182:183], v[184:185], v[56:57]
	s_waitcnt vmcnt(12)
	;; [unrolled: 9-line block ×6, first 2 shown]
	v_add_f64 v[6:7], v[6:7], -v[182:183]
	ds_read2_b64 v[182:185], v254 offset0:56 offset1:57
	v_add_f64 v[4:5], v[4:5], -v[58:59]
	s_waitcnt lgkmcnt(0)
	v_mul_f64 v[58:59], v[184:185], v[180:181]
	v_fma_f64 v[58:59], v[182:183], v[56:57], -v[58:59]
	v_mul_f64 v[182:183], v[182:183], v[180:181]
	v_fmac_f64_e32 v[182:183], v[184:185], v[56:57]
	v_add_f64 v[2:3], v[2:3], -v[182:183]
	ds_read2_b64 v[182:185], v254 offset0:58 offset1:59
	v_add_f64 v[0:1], v[0:1], -v[58:59]
	s_waitcnt lgkmcnt(0)
	v_mul_f64 v[58:59], v[184:185], v[180:181]
	v_fma_f64 v[58:59], v[182:183], v[56:57], -v[58:59]
	v_mul_f64 v[182:183], v[182:183], v[180:181]
	v_fmac_f64_e32 v[182:183], v[184:185], v[56:57]
	s_waitcnt vmcnt(7)
	v_add_f64 v[116:117], v[116:117], -v[58:59]
	v_add_f64 v[118:119], v[118:119], -v[182:183]
	v_mov_b64_e32 v[58:59], v[180:181]
.LBB59_136:
	s_or_b64 exec, exec, s[2:3]
	v_cmp_eq_u32_e32 vcc, 15, v240
	s_waitcnt lgkmcnt(0)
	s_barrier
	s_and_saveexec_b64 s[4:5], vcc
	s_cbranch_execz .LBB59_143
; %bb.137:
	s_waitcnt vmcnt(39)
	ds_write2_b64 v241, v[52:53], v[54:55] offset1:1
	s_waitcnt vmcnt(38)
	ds_write2_b64 v254, v[48:49], v[50:51] offset0:32 offset1:33
	s_waitcnt vmcnt(37)
	ds_write2_b64 v254, v[44:45], v[46:47] offset0:34 offset1:35
	;; [unrolled: 2-line block ×5, first 2 shown]
	ds_write2_b64 v254, v[28:29], v[30:31] offset0:42 offset1:43
	s_waitcnt vmcnt(13)
	ds_write2_b64 v254, v[24:25], v[26:27] offset0:44 offset1:45
	s_waitcnt vmcnt(12)
	;; [unrolled: 2-line block ×6, first 2 shown]
	ds_write2_b64 v254, v[4:5], v[6:7] offset0:54 offset1:55
	ds_write2_b64 v254, v[0:1], v[2:3] offset0:56 offset1:57
	s_waitcnt vmcnt(7)
	ds_write2_b64 v254, v[116:117], v[118:119] offset0:58 offset1:59
	ds_read2_b64 v[180:183], v241 offset1:1
	s_waitcnt lgkmcnt(0)
	v_cmp_neq_f64_e32 vcc, 0, v[180:181]
	v_cmp_neq_f64_e64 s[2:3], 0, v[182:183]
	s_or_b64 s[2:3], vcc, s[2:3]
	s_and_b64 exec, exec, s[2:3]
	s_cbranch_execz .LBB59_143
; %bb.138:
	v_cmp_ngt_f64_e64 s[2:3], |v[180:181]|, |v[182:183]|
                                        ; implicit-def: $vgpr184_vgpr185
	s_and_saveexec_b64 s[10:11], s[2:3]
	s_xor_b64 s[2:3], exec, s[10:11]
                                        ; implicit-def: $vgpr186_vgpr187
	s_cbranch_execz .LBB59_140
; %bb.139:
	v_div_scale_f64 v[184:185], s[10:11], v[182:183], v[182:183], v[180:181]
	v_rcp_f64_e32 v[186:187], v[184:185]
	v_div_scale_f64 v[188:189], vcc, v[180:181], v[182:183], v[180:181]
	v_fma_f64 v[190:191], -v[184:185], v[186:187], 1.0
	v_fmac_f64_e32 v[186:187], v[186:187], v[190:191]
	v_fma_f64 v[190:191], -v[184:185], v[186:187], 1.0
	v_fmac_f64_e32 v[186:187], v[186:187], v[190:191]
	v_mul_f64 v[190:191], v[188:189], v[186:187]
	v_fma_f64 v[184:185], -v[184:185], v[190:191], v[188:189]
	v_div_fmas_f64 v[184:185], v[184:185], v[186:187], v[190:191]
	v_div_fixup_f64 v[184:185], v[184:185], v[182:183], v[180:181]
	v_fmac_f64_e32 v[182:183], v[180:181], v[184:185]
	v_div_scale_f64 v[180:181], s[10:11], v[182:183], v[182:183], 1.0
	v_rcp_f64_e32 v[186:187], v[180:181]
	s_nop 0
	v_fma_f64 v[188:189], -v[180:181], v[186:187], 1.0
	v_fmac_f64_e32 v[186:187], v[186:187], v[188:189]
	v_fma_f64 v[188:189], -v[180:181], v[186:187], 1.0
	v_fmac_f64_e32 v[186:187], v[186:187], v[188:189]
	v_div_scale_f64 v[188:189], vcc, 1.0, v[182:183], 1.0
	v_mul_f64 v[190:191], v[188:189], v[186:187]
	v_fma_f64 v[180:181], -v[180:181], v[190:191], v[188:189]
	s_nop 1
	v_div_fmas_f64 v[180:181], v[180:181], v[186:187], v[190:191]
	v_div_fixup_f64 v[186:187], v[180:181], v[182:183], 1.0
	v_mul_f64 v[184:185], v[184:185], v[186:187]
	v_xor_b32_e32 v187, 0x80000000, v187
                                        ; implicit-def: $vgpr180_vgpr181
.LBB59_140:
	s_andn2_saveexec_b64 s[2:3], s[2:3]
	s_cbranch_execz .LBB59_142
; %bb.141:
	v_div_scale_f64 v[184:185], s[10:11], v[180:181], v[180:181], v[182:183]
	v_rcp_f64_e32 v[186:187], v[184:185]
	v_div_scale_f64 v[188:189], vcc, v[182:183], v[180:181], v[182:183]
	v_fma_f64 v[190:191], -v[184:185], v[186:187], 1.0
	v_fmac_f64_e32 v[186:187], v[186:187], v[190:191]
	v_fma_f64 v[190:191], -v[184:185], v[186:187], 1.0
	v_fmac_f64_e32 v[186:187], v[186:187], v[190:191]
	v_mul_f64 v[190:191], v[188:189], v[186:187]
	v_fma_f64 v[184:185], -v[184:185], v[190:191], v[188:189]
	v_div_fmas_f64 v[184:185], v[184:185], v[186:187], v[190:191]
	v_div_fixup_f64 v[186:187], v[184:185], v[180:181], v[182:183]
	v_fmac_f64_e32 v[180:181], v[182:183], v[186:187]
	v_div_scale_f64 v[182:183], s[10:11], v[180:181], v[180:181], 1.0
	v_rcp_f64_e32 v[184:185], v[182:183]
	s_nop 0
	v_fma_f64 v[188:189], -v[182:183], v[184:185], 1.0
	v_fmac_f64_e32 v[184:185], v[184:185], v[188:189]
	v_fma_f64 v[188:189], -v[182:183], v[184:185], 1.0
	v_fmac_f64_e32 v[184:185], v[184:185], v[188:189]
	v_div_scale_f64 v[188:189], vcc, 1.0, v[180:181], 1.0
	v_mul_f64 v[190:191], v[188:189], v[184:185]
	v_fma_f64 v[182:183], -v[182:183], v[190:191], v[188:189]
	s_nop 1
	v_div_fmas_f64 v[182:183], v[182:183], v[184:185], v[190:191]
	v_div_fixup_f64 v[184:185], v[182:183], v[180:181], 1.0
	v_mul_f64 v[186:187], v[186:187], -v[184:185]
.LBB59_142:
	s_or_b64 exec, exec, s[2:3]
	ds_write2_b64 v241, v[184:185], v[186:187] offset1:1
.LBB59_143:
	s_or_b64 exec, exec, s[4:5]
	s_waitcnt lgkmcnt(0)
	s_barrier
	ds_read2_b64 v[180:183], v241 offset1:1
	v_cmp_lt_u32_e32 vcc, 15, v240
	s_and_saveexec_b64 s[2:3], vcc
	s_cbranch_execz .LBB59_145
; %bb.144:
	ds_read2_b64 v[186:189], v254 offset0:32 offset1:33
	s_waitcnt vmcnt(39) lgkmcnt(1)
	v_mul_f64 v[184:185], v[180:181], v[54:55]
	v_fmac_f64_e32 v[184:185], v[182:183], v[52:53]
	v_mul_f64 v[54:55], v[182:183], v[54:55]
	v_fma_f64 v[52:53], v[180:181], v[52:53], -v[54:55]
	s_waitcnt lgkmcnt(0)
	v_mul_f64 v[54:55], v[188:189], v[184:185]
	v_fma_f64 v[54:55], v[186:187], v[52:53], -v[54:55]
	v_mul_f64 v[186:187], v[186:187], v[184:185]
	v_fmac_f64_e32 v[186:187], v[188:189], v[52:53]
	s_waitcnt vmcnt(38)
	v_add_f64 v[50:51], v[50:51], -v[186:187]
	ds_read2_b64 v[186:189], v254 offset0:34 offset1:35
	v_add_f64 v[48:49], v[48:49], -v[54:55]
	s_waitcnt lgkmcnt(0)
	v_mul_f64 v[54:55], v[188:189], v[184:185]
	v_fma_f64 v[54:55], v[186:187], v[52:53], -v[54:55]
	v_mul_f64 v[186:187], v[186:187], v[184:185]
	v_fmac_f64_e32 v[186:187], v[188:189], v[52:53]
	s_waitcnt vmcnt(37)
	v_add_f64 v[46:47], v[46:47], -v[186:187]
	ds_read2_b64 v[186:189], v254 offset0:36 offset1:37
	v_add_f64 v[44:45], v[44:45], -v[54:55]
	;; [unrolled: 9-line block ×5, first 2 shown]
	s_waitcnt lgkmcnt(0)
	v_mul_f64 v[54:55], v[188:189], v[184:185]
	v_fma_f64 v[54:55], v[186:187], v[52:53], -v[54:55]
	v_mul_f64 v[186:187], v[186:187], v[184:185]
	v_fmac_f64_e32 v[186:187], v[188:189], v[52:53]
	v_add_f64 v[30:31], v[30:31], -v[186:187]
	ds_read2_b64 v[186:189], v254 offset0:44 offset1:45
	v_add_f64 v[28:29], v[28:29], -v[54:55]
	s_waitcnt lgkmcnt(0)
	v_mul_f64 v[54:55], v[188:189], v[184:185]
	v_fma_f64 v[54:55], v[186:187], v[52:53], -v[54:55]
	v_mul_f64 v[186:187], v[186:187], v[184:185]
	v_fmac_f64_e32 v[186:187], v[188:189], v[52:53]
	s_waitcnt vmcnt(13)
	v_add_f64 v[26:27], v[26:27], -v[186:187]
	ds_read2_b64 v[186:189], v254 offset0:46 offset1:47
	v_add_f64 v[24:25], v[24:25], -v[54:55]
	s_waitcnt lgkmcnt(0)
	v_mul_f64 v[54:55], v[188:189], v[184:185]
	v_fma_f64 v[54:55], v[186:187], v[52:53], -v[54:55]
	v_mul_f64 v[186:187], v[186:187], v[184:185]
	v_fmac_f64_e32 v[186:187], v[188:189], v[52:53]
	s_waitcnt vmcnt(12)
	;; [unrolled: 9-line block ×6, first 2 shown]
	v_add_f64 v[6:7], v[6:7], -v[186:187]
	ds_read2_b64 v[186:189], v254 offset0:56 offset1:57
	v_add_f64 v[4:5], v[4:5], -v[54:55]
	s_waitcnt lgkmcnt(0)
	v_mul_f64 v[54:55], v[188:189], v[184:185]
	v_fma_f64 v[54:55], v[186:187], v[52:53], -v[54:55]
	v_mul_f64 v[186:187], v[186:187], v[184:185]
	v_fmac_f64_e32 v[186:187], v[188:189], v[52:53]
	v_add_f64 v[2:3], v[2:3], -v[186:187]
	ds_read2_b64 v[186:189], v254 offset0:58 offset1:59
	v_add_f64 v[0:1], v[0:1], -v[54:55]
	s_waitcnt lgkmcnt(0)
	v_mul_f64 v[54:55], v[188:189], v[184:185]
	v_fma_f64 v[54:55], v[186:187], v[52:53], -v[54:55]
	v_mul_f64 v[186:187], v[186:187], v[184:185]
	v_fmac_f64_e32 v[186:187], v[188:189], v[52:53]
	s_waitcnt vmcnt(7)
	v_add_f64 v[116:117], v[116:117], -v[54:55]
	v_add_f64 v[118:119], v[118:119], -v[186:187]
	v_mov_b64_e32 v[54:55], v[184:185]
.LBB59_145:
	s_or_b64 exec, exec, s[2:3]
	v_cmp_eq_u32_e32 vcc, 16, v240
	s_waitcnt lgkmcnt(0)
	s_barrier
	s_and_saveexec_b64 s[4:5], vcc
	s_cbranch_execz .LBB59_152
; %bb.146:
	s_waitcnt vmcnt(38)
	ds_write2_b64 v241, v[48:49], v[50:51] offset1:1
	s_waitcnt vmcnt(37)
	ds_write2_b64 v254, v[44:45], v[46:47] offset0:34 offset1:35
	s_waitcnt vmcnt(36)
	ds_write2_b64 v254, v[40:41], v[42:43] offset0:36 offset1:37
	;; [unrolled: 2-line block ×4, first 2 shown]
	ds_write2_b64 v254, v[28:29], v[30:31] offset0:42 offset1:43
	s_waitcnt vmcnt(13)
	ds_write2_b64 v254, v[24:25], v[26:27] offset0:44 offset1:45
	s_waitcnt vmcnt(12)
	;; [unrolled: 2-line block ×6, first 2 shown]
	ds_write2_b64 v254, v[4:5], v[6:7] offset0:54 offset1:55
	ds_write2_b64 v254, v[0:1], v[2:3] offset0:56 offset1:57
	s_waitcnt vmcnt(7)
	ds_write2_b64 v254, v[116:117], v[118:119] offset0:58 offset1:59
	ds_read2_b64 v[184:187], v241 offset1:1
	s_waitcnt lgkmcnt(0)
	v_cmp_neq_f64_e32 vcc, 0, v[184:185]
	v_cmp_neq_f64_e64 s[2:3], 0, v[186:187]
	s_or_b64 s[2:3], vcc, s[2:3]
	s_and_b64 exec, exec, s[2:3]
	s_cbranch_execz .LBB59_152
; %bb.147:
	v_cmp_ngt_f64_e64 s[2:3], |v[184:185]|, |v[186:187]|
                                        ; implicit-def: $vgpr188_vgpr189
	s_and_saveexec_b64 s[10:11], s[2:3]
	s_xor_b64 s[2:3], exec, s[10:11]
                                        ; implicit-def: $vgpr190_vgpr191
	s_cbranch_execz .LBB59_149
; %bb.148:
	v_div_scale_f64 v[188:189], s[10:11], v[186:187], v[186:187], v[184:185]
	v_rcp_f64_e32 v[190:191], v[188:189]
	v_div_scale_f64 v[192:193], vcc, v[184:185], v[186:187], v[184:185]
	v_fma_f64 v[194:195], -v[188:189], v[190:191], 1.0
	v_fmac_f64_e32 v[190:191], v[190:191], v[194:195]
	v_fma_f64 v[194:195], -v[188:189], v[190:191], 1.0
	v_fmac_f64_e32 v[190:191], v[190:191], v[194:195]
	v_mul_f64 v[194:195], v[192:193], v[190:191]
	v_fma_f64 v[188:189], -v[188:189], v[194:195], v[192:193]
	v_div_fmas_f64 v[188:189], v[188:189], v[190:191], v[194:195]
	v_div_fixup_f64 v[188:189], v[188:189], v[186:187], v[184:185]
	v_fmac_f64_e32 v[186:187], v[184:185], v[188:189]
	v_div_scale_f64 v[184:185], s[10:11], v[186:187], v[186:187], 1.0
	v_rcp_f64_e32 v[190:191], v[184:185]
	s_nop 0
	v_fma_f64 v[192:193], -v[184:185], v[190:191], 1.0
	v_fmac_f64_e32 v[190:191], v[190:191], v[192:193]
	v_fma_f64 v[192:193], -v[184:185], v[190:191], 1.0
	v_fmac_f64_e32 v[190:191], v[190:191], v[192:193]
	v_div_scale_f64 v[192:193], vcc, 1.0, v[186:187], 1.0
	v_mul_f64 v[194:195], v[192:193], v[190:191]
	v_fma_f64 v[184:185], -v[184:185], v[194:195], v[192:193]
	s_nop 1
	v_div_fmas_f64 v[184:185], v[184:185], v[190:191], v[194:195]
	v_div_fixup_f64 v[190:191], v[184:185], v[186:187], 1.0
	v_mul_f64 v[188:189], v[188:189], v[190:191]
	v_xor_b32_e32 v191, 0x80000000, v191
                                        ; implicit-def: $vgpr184_vgpr185
.LBB59_149:
	s_andn2_saveexec_b64 s[2:3], s[2:3]
	s_cbranch_execz .LBB59_151
; %bb.150:
	v_div_scale_f64 v[188:189], s[10:11], v[184:185], v[184:185], v[186:187]
	v_rcp_f64_e32 v[190:191], v[188:189]
	v_div_scale_f64 v[192:193], vcc, v[186:187], v[184:185], v[186:187]
	v_fma_f64 v[194:195], -v[188:189], v[190:191], 1.0
	v_fmac_f64_e32 v[190:191], v[190:191], v[194:195]
	v_fma_f64 v[194:195], -v[188:189], v[190:191], 1.0
	v_fmac_f64_e32 v[190:191], v[190:191], v[194:195]
	v_mul_f64 v[194:195], v[192:193], v[190:191]
	v_fma_f64 v[188:189], -v[188:189], v[194:195], v[192:193]
	v_div_fmas_f64 v[188:189], v[188:189], v[190:191], v[194:195]
	v_div_fixup_f64 v[190:191], v[188:189], v[184:185], v[186:187]
	v_fmac_f64_e32 v[184:185], v[186:187], v[190:191]
	v_div_scale_f64 v[186:187], s[10:11], v[184:185], v[184:185], 1.0
	v_rcp_f64_e32 v[188:189], v[186:187]
	s_nop 0
	v_fma_f64 v[192:193], -v[186:187], v[188:189], 1.0
	v_fmac_f64_e32 v[188:189], v[188:189], v[192:193]
	v_fma_f64 v[192:193], -v[186:187], v[188:189], 1.0
	v_fmac_f64_e32 v[188:189], v[188:189], v[192:193]
	v_div_scale_f64 v[192:193], vcc, 1.0, v[184:185], 1.0
	v_mul_f64 v[194:195], v[192:193], v[188:189]
	v_fma_f64 v[186:187], -v[186:187], v[194:195], v[192:193]
	s_nop 1
	v_div_fmas_f64 v[186:187], v[186:187], v[188:189], v[194:195]
	v_div_fixup_f64 v[188:189], v[186:187], v[184:185], 1.0
	v_mul_f64 v[190:191], v[190:191], -v[188:189]
.LBB59_151:
	s_or_b64 exec, exec, s[2:3]
	ds_write2_b64 v241, v[188:189], v[190:191] offset1:1
.LBB59_152:
	s_or_b64 exec, exec, s[4:5]
	s_waitcnt lgkmcnt(0)
	s_barrier
	ds_read2_b64 v[184:187], v241 offset1:1
	v_cmp_lt_u32_e32 vcc, 16, v240
	s_and_saveexec_b64 s[2:3], vcc
	s_cbranch_execz .LBB59_154
; %bb.153:
	ds_read2_b64 v[190:193], v254 offset0:34 offset1:35
	s_waitcnt vmcnt(38) lgkmcnt(1)
	v_mul_f64 v[188:189], v[184:185], v[50:51]
	v_fmac_f64_e32 v[188:189], v[186:187], v[48:49]
	v_mul_f64 v[50:51], v[186:187], v[50:51]
	v_fma_f64 v[48:49], v[184:185], v[48:49], -v[50:51]
	s_waitcnt lgkmcnt(0)
	v_mul_f64 v[50:51], v[192:193], v[188:189]
	v_fma_f64 v[50:51], v[190:191], v[48:49], -v[50:51]
	v_mul_f64 v[190:191], v[190:191], v[188:189]
	v_fmac_f64_e32 v[190:191], v[192:193], v[48:49]
	s_waitcnt vmcnt(37)
	v_add_f64 v[46:47], v[46:47], -v[190:191]
	ds_read2_b64 v[190:193], v254 offset0:36 offset1:37
	v_add_f64 v[44:45], v[44:45], -v[50:51]
	s_waitcnt lgkmcnt(0)
	v_mul_f64 v[50:51], v[192:193], v[188:189]
	v_fma_f64 v[50:51], v[190:191], v[48:49], -v[50:51]
	v_mul_f64 v[190:191], v[190:191], v[188:189]
	v_fmac_f64_e32 v[190:191], v[192:193], v[48:49]
	s_waitcnt vmcnt(36)
	v_add_f64 v[42:43], v[42:43], -v[190:191]
	ds_read2_b64 v[190:193], v254 offset0:38 offset1:39
	v_add_f64 v[40:41], v[40:41], -v[50:51]
	s_waitcnt lgkmcnt(0)
	v_mul_f64 v[50:51], v[192:193], v[188:189]
	v_fma_f64 v[50:51], v[190:191], v[48:49], -v[50:51]
	v_mul_f64 v[190:191], v[190:191], v[188:189]
	v_fmac_f64_e32 v[190:191], v[192:193], v[48:49]
	s_waitcnt vmcnt(35)
	v_add_f64 v[38:39], v[38:39], -v[190:191]
	ds_read2_b64 v[190:193], v254 offset0:40 offset1:41
	v_add_f64 v[36:37], v[36:37], -v[50:51]
	s_waitcnt lgkmcnt(0)
	v_mul_f64 v[50:51], v[192:193], v[188:189]
	v_fma_f64 v[50:51], v[190:191], v[48:49], -v[50:51]
	v_mul_f64 v[190:191], v[190:191], v[188:189]
	v_fmac_f64_e32 v[190:191], v[192:193], v[48:49]
	s_waitcnt vmcnt(15)
	v_add_f64 v[34:35], v[34:35], -v[190:191]
	ds_read2_b64 v[190:193], v254 offset0:42 offset1:43
	v_add_f64 v[32:33], v[32:33], -v[50:51]
	s_waitcnt lgkmcnt(0)
	v_mul_f64 v[50:51], v[192:193], v[188:189]
	v_fma_f64 v[50:51], v[190:191], v[48:49], -v[50:51]
	v_mul_f64 v[190:191], v[190:191], v[188:189]
	v_fmac_f64_e32 v[190:191], v[192:193], v[48:49]
	v_add_f64 v[30:31], v[30:31], -v[190:191]
	ds_read2_b64 v[190:193], v254 offset0:44 offset1:45
	v_add_f64 v[28:29], v[28:29], -v[50:51]
	s_waitcnt lgkmcnt(0)
	v_mul_f64 v[50:51], v[192:193], v[188:189]
	v_fma_f64 v[50:51], v[190:191], v[48:49], -v[50:51]
	v_mul_f64 v[190:191], v[190:191], v[188:189]
	v_fmac_f64_e32 v[190:191], v[192:193], v[48:49]
	s_waitcnt vmcnt(13)
	v_add_f64 v[26:27], v[26:27], -v[190:191]
	ds_read2_b64 v[190:193], v254 offset0:46 offset1:47
	v_add_f64 v[24:25], v[24:25], -v[50:51]
	s_waitcnt lgkmcnt(0)
	v_mul_f64 v[50:51], v[192:193], v[188:189]
	v_fma_f64 v[50:51], v[190:191], v[48:49], -v[50:51]
	v_mul_f64 v[190:191], v[190:191], v[188:189]
	v_fmac_f64_e32 v[190:191], v[192:193], v[48:49]
	s_waitcnt vmcnt(12)
	;; [unrolled: 9-line block ×6, first 2 shown]
	v_add_f64 v[6:7], v[6:7], -v[190:191]
	ds_read2_b64 v[190:193], v254 offset0:56 offset1:57
	v_add_f64 v[4:5], v[4:5], -v[50:51]
	s_waitcnt lgkmcnt(0)
	v_mul_f64 v[50:51], v[192:193], v[188:189]
	v_fma_f64 v[50:51], v[190:191], v[48:49], -v[50:51]
	v_mul_f64 v[190:191], v[190:191], v[188:189]
	v_fmac_f64_e32 v[190:191], v[192:193], v[48:49]
	v_add_f64 v[2:3], v[2:3], -v[190:191]
	ds_read2_b64 v[190:193], v254 offset0:58 offset1:59
	v_add_f64 v[0:1], v[0:1], -v[50:51]
	s_waitcnt lgkmcnt(0)
	v_mul_f64 v[50:51], v[192:193], v[188:189]
	v_fma_f64 v[50:51], v[190:191], v[48:49], -v[50:51]
	v_mul_f64 v[190:191], v[190:191], v[188:189]
	v_fmac_f64_e32 v[190:191], v[192:193], v[48:49]
	s_waitcnt vmcnt(7)
	v_add_f64 v[116:117], v[116:117], -v[50:51]
	v_add_f64 v[118:119], v[118:119], -v[190:191]
	v_mov_b64_e32 v[50:51], v[188:189]
.LBB59_154:
	s_or_b64 exec, exec, s[2:3]
	v_cmp_eq_u32_e32 vcc, 17, v240
	s_waitcnt lgkmcnt(0)
	s_barrier
	s_and_saveexec_b64 s[4:5], vcc
	s_cbranch_execz .LBB59_161
; %bb.155:
	s_waitcnt vmcnt(37)
	ds_write2_b64 v241, v[44:45], v[46:47] offset1:1
	s_waitcnt vmcnt(36)
	ds_write2_b64 v254, v[40:41], v[42:43] offset0:36 offset1:37
	s_waitcnt vmcnt(35)
	ds_write2_b64 v254, v[36:37], v[38:39] offset0:38 offset1:39
	;; [unrolled: 2-line block ×3, first 2 shown]
	ds_write2_b64 v254, v[28:29], v[30:31] offset0:42 offset1:43
	s_waitcnt vmcnt(13)
	ds_write2_b64 v254, v[24:25], v[26:27] offset0:44 offset1:45
	s_waitcnt vmcnt(12)
	;; [unrolled: 2-line block ×6, first 2 shown]
	ds_write2_b64 v254, v[4:5], v[6:7] offset0:54 offset1:55
	ds_write2_b64 v254, v[0:1], v[2:3] offset0:56 offset1:57
	s_waitcnt vmcnt(7)
	ds_write2_b64 v254, v[116:117], v[118:119] offset0:58 offset1:59
	ds_read2_b64 v[188:191], v241 offset1:1
	s_waitcnt lgkmcnt(0)
	v_cmp_neq_f64_e32 vcc, 0, v[188:189]
	v_cmp_neq_f64_e64 s[2:3], 0, v[190:191]
	s_or_b64 s[2:3], vcc, s[2:3]
	s_and_b64 exec, exec, s[2:3]
	s_cbranch_execz .LBB59_161
; %bb.156:
	v_cmp_ngt_f64_e64 s[2:3], |v[188:189]|, |v[190:191]|
                                        ; implicit-def: $vgpr192_vgpr193
	s_and_saveexec_b64 s[10:11], s[2:3]
	s_xor_b64 s[2:3], exec, s[10:11]
                                        ; implicit-def: $vgpr194_vgpr195
	s_cbranch_execz .LBB59_158
; %bb.157:
	v_div_scale_f64 v[192:193], s[10:11], v[190:191], v[190:191], v[188:189]
	v_rcp_f64_e32 v[194:195], v[192:193]
	v_div_scale_f64 v[196:197], vcc, v[188:189], v[190:191], v[188:189]
	v_fma_f64 v[198:199], -v[192:193], v[194:195], 1.0
	v_fmac_f64_e32 v[194:195], v[194:195], v[198:199]
	v_fma_f64 v[198:199], -v[192:193], v[194:195], 1.0
	v_fmac_f64_e32 v[194:195], v[194:195], v[198:199]
	v_mul_f64 v[198:199], v[196:197], v[194:195]
	v_fma_f64 v[192:193], -v[192:193], v[198:199], v[196:197]
	v_div_fmas_f64 v[192:193], v[192:193], v[194:195], v[198:199]
	v_div_fixup_f64 v[192:193], v[192:193], v[190:191], v[188:189]
	v_fmac_f64_e32 v[190:191], v[188:189], v[192:193]
	v_div_scale_f64 v[188:189], s[10:11], v[190:191], v[190:191], 1.0
	v_rcp_f64_e32 v[194:195], v[188:189]
	s_nop 0
	v_fma_f64 v[196:197], -v[188:189], v[194:195], 1.0
	v_fmac_f64_e32 v[194:195], v[194:195], v[196:197]
	v_fma_f64 v[196:197], -v[188:189], v[194:195], 1.0
	v_fmac_f64_e32 v[194:195], v[194:195], v[196:197]
	v_div_scale_f64 v[196:197], vcc, 1.0, v[190:191], 1.0
	v_mul_f64 v[198:199], v[196:197], v[194:195]
	v_fma_f64 v[188:189], -v[188:189], v[198:199], v[196:197]
	s_nop 1
	v_div_fmas_f64 v[188:189], v[188:189], v[194:195], v[198:199]
	v_div_fixup_f64 v[194:195], v[188:189], v[190:191], 1.0
	v_mul_f64 v[192:193], v[192:193], v[194:195]
	v_xor_b32_e32 v195, 0x80000000, v195
                                        ; implicit-def: $vgpr188_vgpr189
.LBB59_158:
	s_andn2_saveexec_b64 s[2:3], s[2:3]
	s_cbranch_execz .LBB59_160
; %bb.159:
	v_div_scale_f64 v[192:193], s[10:11], v[188:189], v[188:189], v[190:191]
	v_rcp_f64_e32 v[194:195], v[192:193]
	v_div_scale_f64 v[196:197], vcc, v[190:191], v[188:189], v[190:191]
	v_fma_f64 v[198:199], -v[192:193], v[194:195], 1.0
	v_fmac_f64_e32 v[194:195], v[194:195], v[198:199]
	v_fma_f64 v[198:199], -v[192:193], v[194:195], 1.0
	v_fmac_f64_e32 v[194:195], v[194:195], v[198:199]
	v_mul_f64 v[198:199], v[196:197], v[194:195]
	v_fma_f64 v[192:193], -v[192:193], v[198:199], v[196:197]
	v_div_fmas_f64 v[192:193], v[192:193], v[194:195], v[198:199]
	v_div_fixup_f64 v[194:195], v[192:193], v[188:189], v[190:191]
	v_fmac_f64_e32 v[188:189], v[190:191], v[194:195]
	v_div_scale_f64 v[190:191], s[10:11], v[188:189], v[188:189], 1.0
	v_rcp_f64_e32 v[192:193], v[190:191]
	s_nop 0
	v_fma_f64 v[196:197], -v[190:191], v[192:193], 1.0
	v_fmac_f64_e32 v[192:193], v[192:193], v[196:197]
	v_fma_f64 v[196:197], -v[190:191], v[192:193], 1.0
	v_fmac_f64_e32 v[192:193], v[192:193], v[196:197]
	v_div_scale_f64 v[196:197], vcc, 1.0, v[188:189], 1.0
	v_mul_f64 v[198:199], v[196:197], v[192:193]
	v_fma_f64 v[190:191], -v[190:191], v[198:199], v[196:197]
	s_nop 1
	v_div_fmas_f64 v[190:191], v[190:191], v[192:193], v[198:199]
	v_div_fixup_f64 v[192:193], v[190:191], v[188:189], 1.0
	v_mul_f64 v[194:195], v[194:195], -v[192:193]
.LBB59_160:
	s_or_b64 exec, exec, s[2:3]
	ds_write2_b64 v241, v[192:193], v[194:195] offset1:1
.LBB59_161:
	s_or_b64 exec, exec, s[4:5]
	s_waitcnt lgkmcnt(0)
	s_barrier
	ds_read2_b64 v[188:191], v241 offset1:1
	v_cmp_lt_u32_e32 vcc, 17, v240
	s_and_saveexec_b64 s[2:3], vcc
	s_cbranch_execz .LBB59_163
; %bb.162:
	ds_read2_b64 v[194:197], v254 offset0:36 offset1:37
	s_waitcnt vmcnt(37) lgkmcnt(1)
	v_mul_f64 v[192:193], v[188:189], v[46:47]
	v_fmac_f64_e32 v[192:193], v[190:191], v[44:45]
	v_mul_f64 v[46:47], v[190:191], v[46:47]
	v_fma_f64 v[44:45], v[188:189], v[44:45], -v[46:47]
	s_waitcnt lgkmcnt(0)
	v_mul_f64 v[46:47], v[196:197], v[192:193]
	v_fma_f64 v[46:47], v[194:195], v[44:45], -v[46:47]
	v_mul_f64 v[194:195], v[194:195], v[192:193]
	v_fmac_f64_e32 v[194:195], v[196:197], v[44:45]
	s_waitcnt vmcnt(36)
	v_add_f64 v[42:43], v[42:43], -v[194:195]
	ds_read2_b64 v[194:197], v254 offset0:38 offset1:39
	v_add_f64 v[40:41], v[40:41], -v[46:47]
	s_waitcnt lgkmcnt(0)
	v_mul_f64 v[46:47], v[196:197], v[192:193]
	v_fma_f64 v[46:47], v[194:195], v[44:45], -v[46:47]
	v_mul_f64 v[194:195], v[194:195], v[192:193]
	v_fmac_f64_e32 v[194:195], v[196:197], v[44:45]
	s_waitcnt vmcnt(35)
	v_add_f64 v[38:39], v[38:39], -v[194:195]
	ds_read2_b64 v[194:197], v254 offset0:40 offset1:41
	v_add_f64 v[36:37], v[36:37], -v[46:47]
	;; [unrolled: 9-line block ×3, first 2 shown]
	s_waitcnt lgkmcnt(0)
	v_mul_f64 v[46:47], v[196:197], v[192:193]
	v_fma_f64 v[46:47], v[194:195], v[44:45], -v[46:47]
	v_mul_f64 v[194:195], v[194:195], v[192:193]
	v_fmac_f64_e32 v[194:195], v[196:197], v[44:45]
	v_add_f64 v[30:31], v[30:31], -v[194:195]
	ds_read2_b64 v[194:197], v254 offset0:44 offset1:45
	v_add_f64 v[28:29], v[28:29], -v[46:47]
	s_waitcnt lgkmcnt(0)
	v_mul_f64 v[46:47], v[196:197], v[192:193]
	v_fma_f64 v[46:47], v[194:195], v[44:45], -v[46:47]
	v_mul_f64 v[194:195], v[194:195], v[192:193]
	v_fmac_f64_e32 v[194:195], v[196:197], v[44:45]
	s_waitcnt vmcnt(13)
	v_add_f64 v[26:27], v[26:27], -v[194:195]
	ds_read2_b64 v[194:197], v254 offset0:46 offset1:47
	v_add_f64 v[24:25], v[24:25], -v[46:47]
	s_waitcnt lgkmcnt(0)
	v_mul_f64 v[46:47], v[196:197], v[192:193]
	v_fma_f64 v[46:47], v[194:195], v[44:45], -v[46:47]
	v_mul_f64 v[194:195], v[194:195], v[192:193]
	v_fmac_f64_e32 v[194:195], v[196:197], v[44:45]
	s_waitcnt vmcnt(12)
	;; [unrolled: 9-line block ×6, first 2 shown]
	v_add_f64 v[6:7], v[6:7], -v[194:195]
	ds_read2_b64 v[194:197], v254 offset0:56 offset1:57
	v_add_f64 v[4:5], v[4:5], -v[46:47]
	s_waitcnt lgkmcnt(0)
	v_mul_f64 v[46:47], v[196:197], v[192:193]
	v_fma_f64 v[46:47], v[194:195], v[44:45], -v[46:47]
	v_mul_f64 v[194:195], v[194:195], v[192:193]
	v_fmac_f64_e32 v[194:195], v[196:197], v[44:45]
	v_add_f64 v[2:3], v[2:3], -v[194:195]
	ds_read2_b64 v[194:197], v254 offset0:58 offset1:59
	v_add_f64 v[0:1], v[0:1], -v[46:47]
	s_waitcnt lgkmcnt(0)
	v_mul_f64 v[46:47], v[196:197], v[192:193]
	v_fma_f64 v[46:47], v[194:195], v[44:45], -v[46:47]
	v_mul_f64 v[194:195], v[194:195], v[192:193]
	v_fmac_f64_e32 v[194:195], v[196:197], v[44:45]
	s_waitcnt vmcnt(7)
	v_add_f64 v[116:117], v[116:117], -v[46:47]
	v_add_f64 v[118:119], v[118:119], -v[194:195]
	v_mov_b64_e32 v[46:47], v[192:193]
.LBB59_163:
	s_or_b64 exec, exec, s[2:3]
	v_cmp_eq_u32_e32 vcc, 18, v240
	s_waitcnt lgkmcnt(0)
	s_barrier
	s_and_saveexec_b64 s[4:5], vcc
	s_cbranch_execz .LBB59_170
; %bb.164:
	s_waitcnt vmcnt(36)
	ds_write2_b64 v241, v[40:41], v[42:43] offset1:1
	s_waitcnt vmcnt(35)
	ds_write2_b64 v254, v[36:37], v[38:39] offset0:38 offset1:39
	s_waitcnt vmcnt(15)
	ds_write2_b64 v254, v[32:33], v[34:35] offset0:40 offset1:41
	ds_write2_b64 v254, v[28:29], v[30:31] offset0:42 offset1:43
	s_waitcnt vmcnt(13)
	ds_write2_b64 v254, v[24:25], v[26:27] offset0:44 offset1:45
	s_waitcnt vmcnt(12)
	;; [unrolled: 2-line block ×6, first 2 shown]
	ds_write2_b64 v254, v[4:5], v[6:7] offset0:54 offset1:55
	ds_write2_b64 v254, v[0:1], v[2:3] offset0:56 offset1:57
	s_waitcnt vmcnt(7)
	ds_write2_b64 v254, v[116:117], v[118:119] offset0:58 offset1:59
	ds_read2_b64 v[192:195], v241 offset1:1
	s_waitcnt lgkmcnt(0)
	v_cmp_neq_f64_e32 vcc, 0, v[192:193]
	v_cmp_neq_f64_e64 s[2:3], 0, v[194:195]
	s_or_b64 s[2:3], vcc, s[2:3]
	s_and_b64 exec, exec, s[2:3]
	s_cbranch_execz .LBB59_170
; %bb.165:
	v_cmp_ngt_f64_e64 s[2:3], |v[192:193]|, |v[194:195]|
                                        ; implicit-def: $vgpr196_vgpr197
	s_and_saveexec_b64 s[10:11], s[2:3]
	s_xor_b64 s[2:3], exec, s[10:11]
                                        ; implicit-def: $vgpr198_vgpr199
	s_cbranch_execz .LBB59_167
; %bb.166:
	v_div_scale_f64 v[196:197], s[10:11], v[194:195], v[194:195], v[192:193]
	v_rcp_f64_e32 v[198:199], v[196:197]
	v_div_scale_f64 v[200:201], vcc, v[192:193], v[194:195], v[192:193]
	v_fma_f64 v[202:203], -v[196:197], v[198:199], 1.0
	v_fmac_f64_e32 v[198:199], v[198:199], v[202:203]
	v_fma_f64 v[202:203], -v[196:197], v[198:199], 1.0
	v_fmac_f64_e32 v[198:199], v[198:199], v[202:203]
	v_mul_f64 v[202:203], v[200:201], v[198:199]
	v_fma_f64 v[196:197], -v[196:197], v[202:203], v[200:201]
	v_div_fmas_f64 v[196:197], v[196:197], v[198:199], v[202:203]
	v_div_fixup_f64 v[196:197], v[196:197], v[194:195], v[192:193]
	v_fmac_f64_e32 v[194:195], v[192:193], v[196:197]
	v_div_scale_f64 v[192:193], s[10:11], v[194:195], v[194:195], 1.0
	v_rcp_f64_e32 v[198:199], v[192:193]
	s_nop 0
	v_fma_f64 v[200:201], -v[192:193], v[198:199], 1.0
	v_fmac_f64_e32 v[198:199], v[198:199], v[200:201]
	v_fma_f64 v[200:201], -v[192:193], v[198:199], 1.0
	v_fmac_f64_e32 v[198:199], v[198:199], v[200:201]
	v_div_scale_f64 v[200:201], vcc, 1.0, v[194:195], 1.0
	v_mul_f64 v[202:203], v[200:201], v[198:199]
	v_fma_f64 v[192:193], -v[192:193], v[202:203], v[200:201]
	s_nop 1
	v_div_fmas_f64 v[192:193], v[192:193], v[198:199], v[202:203]
	v_div_fixup_f64 v[198:199], v[192:193], v[194:195], 1.0
	v_mul_f64 v[196:197], v[196:197], v[198:199]
	v_xor_b32_e32 v199, 0x80000000, v199
                                        ; implicit-def: $vgpr192_vgpr193
.LBB59_167:
	s_andn2_saveexec_b64 s[2:3], s[2:3]
	s_cbranch_execz .LBB59_169
; %bb.168:
	v_div_scale_f64 v[196:197], s[10:11], v[192:193], v[192:193], v[194:195]
	v_rcp_f64_e32 v[198:199], v[196:197]
	v_div_scale_f64 v[200:201], vcc, v[194:195], v[192:193], v[194:195]
	v_fma_f64 v[202:203], -v[196:197], v[198:199], 1.0
	v_fmac_f64_e32 v[198:199], v[198:199], v[202:203]
	v_fma_f64 v[202:203], -v[196:197], v[198:199], 1.0
	v_fmac_f64_e32 v[198:199], v[198:199], v[202:203]
	v_mul_f64 v[202:203], v[200:201], v[198:199]
	v_fma_f64 v[196:197], -v[196:197], v[202:203], v[200:201]
	v_div_fmas_f64 v[196:197], v[196:197], v[198:199], v[202:203]
	v_div_fixup_f64 v[198:199], v[196:197], v[192:193], v[194:195]
	v_fmac_f64_e32 v[192:193], v[194:195], v[198:199]
	v_div_scale_f64 v[194:195], s[10:11], v[192:193], v[192:193], 1.0
	v_rcp_f64_e32 v[196:197], v[194:195]
	s_nop 0
	v_fma_f64 v[200:201], -v[194:195], v[196:197], 1.0
	v_fmac_f64_e32 v[196:197], v[196:197], v[200:201]
	v_fma_f64 v[200:201], -v[194:195], v[196:197], 1.0
	v_fmac_f64_e32 v[196:197], v[196:197], v[200:201]
	v_div_scale_f64 v[200:201], vcc, 1.0, v[192:193], 1.0
	v_mul_f64 v[202:203], v[200:201], v[196:197]
	v_fma_f64 v[194:195], -v[194:195], v[202:203], v[200:201]
	s_nop 1
	v_div_fmas_f64 v[194:195], v[194:195], v[196:197], v[202:203]
	v_div_fixup_f64 v[196:197], v[194:195], v[192:193], 1.0
	v_mul_f64 v[198:199], v[198:199], -v[196:197]
.LBB59_169:
	s_or_b64 exec, exec, s[2:3]
	ds_write2_b64 v241, v[196:197], v[198:199] offset1:1
.LBB59_170:
	s_or_b64 exec, exec, s[4:5]
	s_waitcnt lgkmcnt(0)
	s_barrier
	ds_read2_b64 v[192:195], v241 offset1:1
	v_cmp_lt_u32_e32 vcc, 18, v240
	s_and_saveexec_b64 s[2:3], vcc
	s_cbranch_execz .LBB59_172
; %bb.171:
	ds_read2_b64 v[198:201], v254 offset0:38 offset1:39
	s_waitcnt vmcnt(36) lgkmcnt(1)
	v_mul_f64 v[196:197], v[192:193], v[42:43]
	v_fmac_f64_e32 v[196:197], v[194:195], v[40:41]
	v_mul_f64 v[42:43], v[194:195], v[42:43]
	v_fma_f64 v[40:41], v[192:193], v[40:41], -v[42:43]
	s_waitcnt lgkmcnt(0)
	v_mul_f64 v[42:43], v[200:201], v[196:197]
	v_fma_f64 v[42:43], v[198:199], v[40:41], -v[42:43]
	v_mul_f64 v[198:199], v[198:199], v[196:197]
	v_fmac_f64_e32 v[198:199], v[200:201], v[40:41]
	s_waitcnt vmcnt(35)
	v_add_f64 v[38:39], v[38:39], -v[198:199]
	ds_read2_b64 v[198:201], v254 offset0:40 offset1:41
	v_add_f64 v[36:37], v[36:37], -v[42:43]
	s_waitcnt lgkmcnt(0)
	v_mul_f64 v[42:43], v[200:201], v[196:197]
	v_fma_f64 v[42:43], v[198:199], v[40:41], -v[42:43]
	v_mul_f64 v[198:199], v[198:199], v[196:197]
	v_fmac_f64_e32 v[198:199], v[200:201], v[40:41]
	s_waitcnt vmcnt(15)
	v_add_f64 v[34:35], v[34:35], -v[198:199]
	ds_read2_b64 v[198:201], v254 offset0:42 offset1:43
	v_add_f64 v[32:33], v[32:33], -v[42:43]
	s_waitcnt lgkmcnt(0)
	v_mul_f64 v[42:43], v[200:201], v[196:197]
	v_fma_f64 v[42:43], v[198:199], v[40:41], -v[42:43]
	v_mul_f64 v[198:199], v[198:199], v[196:197]
	v_fmac_f64_e32 v[198:199], v[200:201], v[40:41]
	v_add_f64 v[30:31], v[30:31], -v[198:199]
	ds_read2_b64 v[198:201], v254 offset0:44 offset1:45
	v_add_f64 v[28:29], v[28:29], -v[42:43]
	s_waitcnt lgkmcnt(0)
	v_mul_f64 v[42:43], v[200:201], v[196:197]
	v_fma_f64 v[42:43], v[198:199], v[40:41], -v[42:43]
	v_mul_f64 v[198:199], v[198:199], v[196:197]
	v_fmac_f64_e32 v[198:199], v[200:201], v[40:41]
	s_waitcnt vmcnt(13)
	v_add_f64 v[26:27], v[26:27], -v[198:199]
	ds_read2_b64 v[198:201], v254 offset0:46 offset1:47
	v_add_f64 v[24:25], v[24:25], -v[42:43]
	s_waitcnt lgkmcnt(0)
	v_mul_f64 v[42:43], v[200:201], v[196:197]
	v_fma_f64 v[42:43], v[198:199], v[40:41], -v[42:43]
	v_mul_f64 v[198:199], v[198:199], v[196:197]
	v_fmac_f64_e32 v[198:199], v[200:201], v[40:41]
	s_waitcnt vmcnt(12)
	v_add_f64 v[22:23], v[22:23], -v[198:199]
	ds_read2_b64 v[198:201], v254 offset0:48 offset1:49
	v_add_f64 v[20:21], v[20:21], -v[42:43]
	s_waitcnt lgkmcnt(0)
	v_mul_f64 v[42:43], v[200:201], v[196:197]
	v_fma_f64 v[42:43], v[198:199], v[40:41], -v[42:43]
	v_mul_f64 v[198:199], v[198:199], v[196:197]
	v_fmac_f64_e32 v[198:199], v[200:201], v[40:41]
	s_waitcnt vmcnt(11)
	v_add_f64 v[18:19], v[18:19], -v[198:199]
	ds_read2_b64 v[198:201], v254 offset0:50 offset1:51
	v_add_f64 v[16:17], v[16:17], -v[42:43]
	s_waitcnt lgkmcnt(0)
	v_mul_f64 v[42:43], v[200:201], v[196:197]
	v_fma_f64 v[42:43], v[198:199], v[40:41], -v[42:43]
	v_mul_f64 v[198:199], v[198:199], v[196:197]
	v_fmac_f64_e32 v[198:199], v[200:201], v[40:41]
	s_waitcnt vmcnt(10)
	v_add_f64 v[14:15], v[14:15], -v[198:199]
	ds_read2_b64 v[198:201], v254 offset0:52 offset1:53
	v_add_f64 v[12:13], v[12:13], -v[42:43]
	s_waitcnt lgkmcnt(0)
	v_mul_f64 v[42:43], v[200:201], v[196:197]
	v_fma_f64 v[42:43], v[198:199], v[40:41], -v[42:43]
	v_mul_f64 v[198:199], v[198:199], v[196:197]
	v_fmac_f64_e32 v[198:199], v[200:201], v[40:41]
	s_waitcnt vmcnt(9)
	v_add_f64 v[10:11], v[10:11], -v[198:199]
	ds_read2_b64 v[198:201], v254 offset0:54 offset1:55
	v_add_f64 v[8:9], v[8:9], -v[42:43]
	s_waitcnt lgkmcnt(0)
	v_mul_f64 v[42:43], v[200:201], v[196:197]
	v_fma_f64 v[42:43], v[198:199], v[40:41], -v[42:43]
	v_mul_f64 v[198:199], v[198:199], v[196:197]
	v_fmac_f64_e32 v[198:199], v[200:201], v[40:41]
	s_waitcnt vmcnt(8)
	v_add_f64 v[6:7], v[6:7], -v[198:199]
	ds_read2_b64 v[198:201], v254 offset0:56 offset1:57
	v_add_f64 v[4:5], v[4:5], -v[42:43]
	s_waitcnt lgkmcnt(0)
	v_mul_f64 v[42:43], v[200:201], v[196:197]
	v_fma_f64 v[42:43], v[198:199], v[40:41], -v[42:43]
	v_mul_f64 v[198:199], v[198:199], v[196:197]
	v_fmac_f64_e32 v[198:199], v[200:201], v[40:41]
	v_add_f64 v[2:3], v[2:3], -v[198:199]
	ds_read2_b64 v[198:201], v254 offset0:58 offset1:59
	v_add_f64 v[0:1], v[0:1], -v[42:43]
	s_waitcnt lgkmcnt(0)
	v_mul_f64 v[42:43], v[200:201], v[196:197]
	v_fma_f64 v[42:43], v[198:199], v[40:41], -v[42:43]
	v_mul_f64 v[198:199], v[198:199], v[196:197]
	v_fmac_f64_e32 v[198:199], v[200:201], v[40:41]
	s_waitcnt vmcnt(7)
	v_add_f64 v[116:117], v[116:117], -v[42:43]
	v_add_f64 v[118:119], v[118:119], -v[198:199]
	v_mov_b64_e32 v[42:43], v[196:197]
.LBB59_172:
	s_or_b64 exec, exec, s[2:3]
	v_cmp_eq_u32_e32 vcc, 19, v240
	s_waitcnt lgkmcnt(0)
	s_barrier
	s_and_saveexec_b64 s[4:5], vcc
	s_cbranch_execz .LBB59_179
; %bb.173:
	s_waitcnt vmcnt(35)
	ds_write2_b64 v241, v[36:37], v[38:39] offset1:1
	s_waitcnt vmcnt(15)
	ds_write2_b64 v254, v[32:33], v[34:35] offset0:40 offset1:41
	ds_write2_b64 v254, v[28:29], v[30:31] offset0:42 offset1:43
	s_waitcnt vmcnt(13)
	ds_write2_b64 v254, v[24:25], v[26:27] offset0:44 offset1:45
	s_waitcnt vmcnt(12)
	;; [unrolled: 2-line block ×6, first 2 shown]
	ds_write2_b64 v254, v[4:5], v[6:7] offset0:54 offset1:55
	ds_write2_b64 v254, v[0:1], v[2:3] offset0:56 offset1:57
	s_waitcnt vmcnt(7)
	ds_write2_b64 v254, v[116:117], v[118:119] offset0:58 offset1:59
	ds_read2_b64 v[196:199], v241 offset1:1
	s_waitcnt lgkmcnt(0)
	v_cmp_neq_f64_e32 vcc, 0, v[196:197]
	v_cmp_neq_f64_e64 s[2:3], 0, v[198:199]
	s_or_b64 s[2:3], vcc, s[2:3]
	s_and_b64 exec, exec, s[2:3]
	s_cbranch_execz .LBB59_179
; %bb.174:
	v_cmp_ngt_f64_e64 s[2:3], |v[196:197]|, |v[198:199]|
                                        ; implicit-def: $vgpr200_vgpr201
	s_and_saveexec_b64 s[10:11], s[2:3]
	s_xor_b64 s[2:3], exec, s[10:11]
                                        ; implicit-def: $vgpr202_vgpr203
	s_cbranch_execz .LBB59_176
; %bb.175:
	v_div_scale_f64 v[200:201], s[10:11], v[198:199], v[198:199], v[196:197]
	v_rcp_f64_e32 v[202:203], v[200:201]
	v_div_scale_f64 v[204:205], vcc, v[196:197], v[198:199], v[196:197]
	v_fma_f64 v[206:207], -v[200:201], v[202:203], 1.0
	v_fmac_f64_e32 v[202:203], v[202:203], v[206:207]
	v_fma_f64 v[206:207], -v[200:201], v[202:203], 1.0
	v_fmac_f64_e32 v[202:203], v[202:203], v[206:207]
	v_mul_f64 v[206:207], v[204:205], v[202:203]
	v_fma_f64 v[200:201], -v[200:201], v[206:207], v[204:205]
	v_div_fmas_f64 v[200:201], v[200:201], v[202:203], v[206:207]
	v_div_fixup_f64 v[200:201], v[200:201], v[198:199], v[196:197]
	v_fmac_f64_e32 v[198:199], v[196:197], v[200:201]
	v_div_scale_f64 v[196:197], s[10:11], v[198:199], v[198:199], 1.0
	v_rcp_f64_e32 v[202:203], v[196:197]
	s_nop 0
	v_fma_f64 v[204:205], -v[196:197], v[202:203], 1.0
	v_fmac_f64_e32 v[202:203], v[202:203], v[204:205]
	v_fma_f64 v[204:205], -v[196:197], v[202:203], 1.0
	v_fmac_f64_e32 v[202:203], v[202:203], v[204:205]
	v_div_scale_f64 v[204:205], vcc, 1.0, v[198:199], 1.0
	v_mul_f64 v[206:207], v[204:205], v[202:203]
	v_fma_f64 v[196:197], -v[196:197], v[206:207], v[204:205]
	s_nop 1
	v_div_fmas_f64 v[196:197], v[196:197], v[202:203], v[206:207]
	v_div_fixup_f64 v[202:203], v[196:197], v[198:199], 1.0
	v_mul_f64 v[200:201], v[200:201], v[202:203]
	v_xor_b32_e32 v203, 0x80000000, v203
                                        ; implicit-def: $vgpr196_vgpr197
.LBB59_176:
	s_andn2_saveexec_b64 s[2:3], s[2:3]
	s_cbranch_execz .LBB59_178
; %bb.177:
	v_div_scale_f64 v[200:201], s[10:11], v[196:197], v[196:197], v[198:199]
	v_rcp_f64_e32 v[202:203], v[200:201]
	v_div_scale_f64 v[204:205], vcc, v[198:199], v[196:197], v[198:199]
	v_fma_f64 v[206:207], -v[200:201], v[202:203], 1.0
	v_fmac_f64_e32 v[202:203], v[202:203], v[206:207]
	v_fma_f64 v[206:207], -v[200:201], v[202:203], 1.0
	v_fmac_f64_e32 v[202:203], v[202:203], v[206:207]
	v_mul_f64 v[206:207], v[204:205], v[202:203]
	v_fma_f64 v[200:201], -v[200:201], v[206:207], v[204:205]
	v_div_fmas_f64 v[200:201], v[200:201], v[202:203], v[206:207]
	v_div_fixup_f64 v[202:203], v[200:201], v[196:197], v[198:199]
	v_fmac_f64_e32 v[196:197], v[198:199], v[202:203]
	v_div_scale_f64 v[198:199], s[10:11], v[196:197], v[196:197], 1.0
	v_rcp_f64_e32 v[200:201], v[198:199]
	s_nop 0
	v_fma_f64 v[204:205], -v[198:199], v[200:201], 1.0
	v_fmac_f64_e32 v[200:201], v[200:201], v[204:205]
	v_fma_f64 v[204:205], -v[198:199], v[200:201], 1.0
	v_fmac_f64_e32 v[200:201], v[200:201], v[204:205]
	v_div_scale_f64 v[204:205], vcc, 1.0, v[196:197], 1.0
	v_mul_f64 v[206:207], v[204:205], v[200:201]
	v_fma_f64 v[198:199], -v[198:199], v[206:207], v[204:205]
	s_nop 1
	v_div_fmas_f64 v[198:199], v[198:199], v[200:201], v[206:207]
	v_div_fixup_f64 v[200:201], v[198:199], v[196:197], 1.0
	v_mul_f64 v[202:203], v[202:203], -v[200:201]
.LBB59_178:
	s_or_b64 exec, exec, s[2:3]
	ds_write2_b64 v241, v[200:201], v[202:203] offset1:1
.LBB59_179:
	s_or_b64 exec, exec, s[4:5]
	s_waitcnt lgkmcnt(0)
	s_barrier
	ds_read2_b64 v[196:199], v241 offset1:1
	v_cmp_lt_u32_e32 vcc, 19, v240
	s_and_saveexec_b64 s[2:3], vcc
	s_cbranch_execz .LBB59_181
; %bb.180:
	ds_read2_b64 v[202:205], v254 offset0:40 offset1:41
	s_waitcnt vmcnt(35) lgkmcnt(1)
	v_mul_f64 v[200:201], v[196:197], v[38:39]
	v_fmac_f64_e32 v[200:201], v[198:199], v[36:37]
	v_mul_f64 v[38:39], v[198:199], v[38:39]
	v_fma_f64 v[36:37], v[196:197], v[36:37], -v[38:39]
	s_waitcnt lgkmcnt(0)
	v_mul_f64 v[38:39], v[204:205], v[200:201]
	v_fma_f64 v[38:39], v[202:203], v[36:37], -v[38:39]
	v_mul_f64 v[202:203], v[202:203], v[200:201]
	v_fmac_f64_e32 v[202:203], v[204:205], v[36:37]
	s_waitcnt vmcnt(15)
	v_add_f64 v[34:35], v[34:35], -v[202:203]
	ds_read2_b64 v[202:205], v254 offset0:42 offset1:43
	v_add_f64 v[32:33], v[32:33], -v[38:39]
	s_waitcnt lgkmcnt(0)
	v_mul_f64 v[38:39], v[204:205], v[200:201]
	v_fma_f64 v[38:39], v[202:203], v[36:37], -v[38:39]
	v_mul_f64 v[202:203], v[202:203], v[200:201]
	v_fmac_f64_e32 v[202:203], v[204:205], v[36:37]
	v_add_f64 v[30:31], v[30:31], -v[202:203]
	ds_read2_b64 v[202:205], v254 offset0:44 offset1:45
	v_add_f64 v[28:29], v[28:29], -v[38:39]
	s_waitcnt lgkmcnt(0)
	v_mul_f64 v[38:39], v[204:205], v[200:201]
	v_fma_f64 v[38:39], v[202:203], v[36:37], -v[38:39]
	v_mul_f64 v[202:203], v[202:203], v[200:201]
	v_fmac_f64_e32 v[202:203], v[204:205], v[36:37]
	s_waitcnt vmcnt(13)
	v_add_f64 v[26:27], v[26:27], -v[202:203]
	ds_read2_b64 v[202:205], v254 offset0:46 offset1:47
	v_add_f64 v[24:25], v[24:25], -v[38:39]
	s_waitcnt lgkmcnt(0)
	v_mul_f64 v[38:39], v[204:205], v[200:201]
	v_fma_f64 v[38:39], v[202:203], v[36:37], -v[38:39]
	v_mul_f64 v[202:203], v[202:203], v[200:201]
	v_fmac_f64_e32 v[202:203], v[204:205], v[36:37]
	s_waitcnt vmcnt(12)
	;; [unrolled: 9-line block ×6, first 2 shown]
	v_add_f64 v[6:7], v[6:7], -v[202:203]
	ds_read2_b64 v[202:205], v254 offset0:56 offset1:57
	v_add_f64 v[4:5], v[4:5], -v[38:39]
	s_waitcnt lgkmcnt(0)
	v_mul_f64 v[38:39], v[204:205], v[200:201]
	v_fma_f64 v[38:39], v[202:203], v[36:37], -v[38:39]
	v_mul_f64 v[202:203], v[202:203], v[200:201]
	v_fmac_f64_e32 v[202:203], v[204:205], v[36:37]
	v_add_f64 v[2:3], v[2:3], -v[202:203]
	ds_read2_b64 v[202:205], v254 offset0:58 offset1:59
	v_add_f64 v[0:1], v[0:1], -v[38:39]
	s_waitcnt lgkmcnt(0)
	v_mul_f64 v[38:39], v[204:205], v[200:201]
	v_fma_f64 v[38:39], v[202:203], v[36:37], -v[38:39]
	v_mul_f64 v[202:203], v[202:203], v[200:201]
	v_fmac_f64_e32 v[202:203], v[204:205], v[36:37]
	s_waitcnt vmcnt(7)
	v_add_f64 v[116:117], v[116:117], -v[38:39]
	v_add_f64 v[118:119], v[118:119], -v[202:203]
	v_mov_b64_e32 v[38:39], v[200:201]
.LBB59_181:
	s_or_b64 exec, exec, s[2:3]
	v_cmp_eq_u32_e32 vcc, 20, v240
	s_waitcnt lgkmcnt(0)
	s_barrier
	s_and_saveexec_b64 s[4:5], vcc
	s_cbranch_execz .LBB59_188
; %bb.182:
	s_waitcnt vmcnt(15)
	ds_write2_b64 v241, v[32:33], v[34:35] offset1:1
	ds_write2_b64 v254, v[28:29], v[30:31] offset0:42 offset1:43
	s_waitcnt vmcnt(13)
	ds_write2_b64 v254, v[24:25], v[26:27] offset0:44 offset1:45
	s_waitcnt vmcnt(12)
	;; [unrolled: 2-line block ×6, first 2 shown]
	ds_write2_b64 v254, v[4:5], v[6:7] offset0:54 offset1:55
	ds_write2_b64 v254, v[0:1], v[2:3] offset0:56 offset1:57
	s_waitcnt vmcnt(7)
	ds_write2_b64 v254, v[116:117], v[118:119] offset0:58 offset1:59
	ds_read2_b64 v[200:203], v241 offset1:1
	s_waitcnt lgkmcnt(0)
	v_cmp_neq_f64_e32 vcc, 0, v[200:201]
	v_cmp_neq_f64_e64 s[2:3], 0, v[202:203]
	s_or_b64 s[2:3], vcc, s[2:3]
	s_and_b64 exec, exec, s[2:3]
	s_cbranch_execz .LBB59_188
; %bb.183:
	v_cmp_ngt_f64_e64 s[2:3], |v[200:201]|, |v[202:203]|
                                        ; implicit-def: $vgpr204_vgpr205
	s_and_saveexec_b64 s[10:11], s[2:3]
	s_xor_b64 s[2:3], exec, s[10:11]
                                        ; implicit-def: $vgpr206_vgpr207
	s_cbranch_execz .LBB59_185
; %bb.184:
	v_div_scale_f64 v[204:205], s[10:11], v[202:203], v[202:203], v[200:201]
	v_rcp_f64_e32 v[206:207], v[204:205]
	v_div_scale_f64 v[208:209], vcc, v[200:201], v[202:203], v[200:201]
	v_fma_f64 v[210:211], -v[204:205], v[206:207], 1.0
	v_fmac_f64_e32 v[206:207], v[206:207], v[210:211]
	v_fma_f64 v[210:211], -v[204:205], v[206:207], 1.0
	v_fmac_f64_e32 v[206:207], v[206:207], v[210:211]
	v_mul_f64 v[210:211], v[208:209], v[206:207]
	v_fma_f64 v[204:205], -v[204:205], v[210:211], v[208:209]
	v_div_fmas_f64 v[204:205], v[204:205], v[206:207], v[210:211]
	v_div_fixup_f64 v[204:205], v[204:205], v[202:203], v[200:201]
	v_fmac_f64_e32 v[202:203], v[200:201], v[204:205]
	v_div_scale_f64 v[200:201], s[10:11], v[202:203], v[202:203], 1.0
	v_rcp_f64_e32 v[206:207], v[200:201]
	s_nop 0
	v_fma_f64 v[208:209], -v[200:201], v[206:207], 1.0
	v_fmac_f64_e32 v[206:207], v[206:207], v[208:209]
	v_fma_f64 v[208:209], -v[200:201], v[206:207], 1.0
	v_fmac_f64_e32 v[206:207], v[206:207], v[208:209]
	v_div_scale_f64 v[208:209], vcc, 1.0, v[202:203], 1.0
	v_mul_f64 v[210:211], v[208:209], v[206:207]
	v_fma_f64 v[200:201], -v[200:201], v[210:211], v[208:209]
	s_nop 1
	v_div_fmas_f64 v[200:201], v[200:201], v[206:207], v[210:211]
	v_div_fixup_f64 v[206:207], v[200:201], v[202:203], 1.0
	v_mul_f64 v[204:205], v[204:205], v[206:207]
	v_xor_b32_e32 v207, 0x80000000, v207
                                        ; implicit-def: $vgpr200_vgpr201
.LBB59_185:
	s_andn2_saveexec_b64 s[2:3], s[2:3]
	s_cbranch_execz .LBB59_187
; %bb.186:
	v_div_scale_f64 v[204:205], s[10:11], v[200:201], v[200:201], v[202:203]
	v_rcp_f64_e32 v[206:207], v[204:205]
	v_div_scale_f64 v[208:209], vcc, v[202:203], v[200:201], v[202:203]
	v_fma_f64 v[210:211], -v[204:205], v[206:207], 1.0
	v_fmac_f64_e32 v[206:207], v[206:207], v[210:211]
	v_fma_f64 v[210:211], -v[204:205], v[206:207], 1.0
	v_fmac_f64_e32 v[206:207], v[206:207], v[210:211]
	v_mul_f64 v[210:211], v[208:209], v[206:207]
	v_fma_f64 v[204:205], -v[204:205], v[210:211], v[208:209]
	v_div_fmas_f64 v[204:205], v[204:205], v[206:207], v[210:211]
	v_div_fixup_f64 v[206:207], v[204:205], v[200:201], v[202:203]
	v_fmac_f64_e32 v[200:201], v[202:203], v[206:207]
	v_div_scale_f64 v[202:203], s[10:11], v[200:201], v[200:201], 1.0
	v_rcp_f64_e32 v[204:205], v[202:203]
	s_nop 0
	v_fma_f64 v[208:209], -v[202:203], v[204:205], 1.0
	v_fmac_f64_e32 v[204:205], v[204:205], v[208:209]
	v_fma_f64 v[208:209], -v[202:203], v[204:205], 1.0
	v_fmac_f64_e32 v[204:205], v[204:205], v[208:209]
	v_div_scale_f64 v[208:209], vcc, 1.0, v[200:201], 1.0
	v_mul_f64 v[210:211], v[208:209], v[204:205]
	v_fma_f64 v[202:203], -v[202:203], v[210:211], v[208:209]
	s_nop 1
	v_div_fmas_f64 v[202:203], v[202:203], v[204:205], v[210:211]
	v_div_fixup_f64 v[204:205], v[202:203], v[200:201], 1.0
	v_mul_f64 v[206:207], v[206:207], -v[204:205]
.LBB59_187:
	s_or_b64 exec, exec, s[2:3]
	ds_write2_b64 v241, v[204:205], v[206:207] offset1:1
.LBB59_188:
	s_or_b64 exec, exec, s[4:5]
	s_waitcnt lgkmcnt(0)
	s_barrier
	ds_read2_b64 v[200:203], v241 offset1:1
	v_cmp_lt_u32_e32 vcc, 20, v240
	s_and_saveexec_b64 s[2:3], vcc
	s_cbranch_execz .LBB59_190
; %bb.189:
	ds_read2_b64 v[206:209], v254 offset0:42 offset1:43
	s_waitcnt vmcnt(15) lgkmcnt(1)
	v_mul_f64 v[204:205], v[200:201], v[34:35]
	v_fmac_f64_e32 v[204:205], v[202:203], v[32:33]
	v_mul_f64 v[34:35], v[202:203], v[34:35]
	v_fma_f64 v[32:33], v[200:201], v[32:33], -v[34:35]
	s_waitcnt lgkmcnt(0)
	v_mul_f64 v[34:35], v[208:209], v[204:205]
	v_fma_f64 v[34:35], v[206:207], v[32:33], -v[34:35]
	v_mul_f64 v[206:207], v[206:207], v[204:205]
	v_fmac_f64_e32 v[206:207], v[208:209], v[32:33]
	v_add_f64 v[30:31], v[30:31], -v[206:207]
	ds_read2_b64 v[206:209], v254 offset0:44 offset1:45
	v_add_f64 v[28:29], v[28:29], -v[34:35]
	s_waitcnt lgkmcnt(0)
	v_mul_f64 v[34:35], v[208:209], v[204:205]
	v_fma_f64 v[34:35], v[206:207], v[32:33], -v[34:35]
	v_mul_f64 v[206:207], v[206:207], v[204:205]
	v_fmac_f64_e32 v[206:207], v[208:209], v[32:33]
	s_waitcnt vmcnt(13)
	v_add_f64 v[26:27], v[26:27], -v[206:207]
	ds_read2_b64 v[206:209], v254 offset0:46 offset1:47
	v_add_f64 v[24:25], v[24:25], -v[34:35]
	s_waitcnt lgkmcnt(0)
	v_mul_f64 v[34:35], v[208:209], v[204:205]
	v_fma_f64 v[34:35], v[206:207], v[32:33], -v[34:35]
	v_mul_f64 v[206:207], v[206:207], v[204:205]
	v_fmac_f64_e32 v[206:207], v[208:209], v[32:33]
	s_waitcnt vmcnt(12)
	;; [unrolled: 9-line block ×6, first 2 shown]
	v_add_f64 v[6:7], v[6:7], -v[206:207]
	ds_read2_b64 v[206:209], v254 offset0:56 offset1:57
	v_add_f64 v[4:5], v[4:5], -v[34:35]
	s_waitcnt lgkmcnt(0)
	v_mul_f64 v[34:35], v[208:209], v[204:205]
	v_fma_f64 v[34:35], v[206:207], v[32:33], -v[34:35]
	v_mul_f64 v[206:207], v[206:207], v[204:205]
	v_fmac_f64_e32 v[206:207], v[208:209], v[32:33]
	v_add_f64 v[2:3], v[2:3], -v[206:207]
	ds_read2_b64 v[206:209], v254 offset0:58 offset1:59
	v_add_f64 v[0:1], v[0:1], -v[34:35]
	s_waitcnt lgkmcnt(0)
	v_mul_f64 v[34:35], v[208:209], v[204:205]
	v_fma_f64 v[34:35], v[206:207], v[32:33], -v[34:35]
	v_mul_f64 v[206:207], v[206:207], v[204:205]
	v_fmac_f64_e32 v[206:207], v[208:209], v[32:33]
	s_waitcnt vmcnt(7)
	v_add_f64 v[116:117], v[116:117], -v[34:35]
	v_add_f64 v[118:119], v[118:119], -v[206:207]
	v_mov_b64_e32 v[34:35], v[204:205]
.LBB59_190:
	s_or_b64 exec, exec, s[2:3]
	v_cmp_eq_u32_e32 vcc, 21, v240
	s_waitcnt lgkmcnt(0)
	s_barrier
	s_and_saveexec_b64 s[4:5], vcc
	s_cbranch_execz .LBB59_197
; %bb.191:
	s_waitcnt vmcnt(16)
	ds_write2_b64 v241, v[28:29], v[30:31] offset1:1
	s_waitcnt vmcnt(13)
	ds_write2_b64 v254, v[24:25], v[26:27] offset0:44 offset1:45
	s_waitcnt vmcnt(12)
	ds_write2_b64 v254, v[20:21], v[22:23] offset0:46 offset1:47
	;; [unrolled: 2-line block ×6, first 2 shown]
	ds_write2_b64 v254, v[0:1], v[2:3] offset0:56 offset1:57
	s_waitcnt vmcnt(7)
	ds_write2_b64 v254, v[116:117], v[118:119] offset0:58 offset1:59
	ds_read2_b64 v[204:207], v241 offset1:1
	s_waitcnt lgkmcnt(0)
	v_cmp_neq_f64_e32 vcc, 0, v[204:205]
	v_cmp_neq_f64_e64 s[2:3], 0, v[206:207]
	s_or_b64 s[2:3], vcc, s[2:3]
	s_and_b64 exec, exec, s[2:3]
	s_cbranch_execz .LBB59_197
; %bb.192:
	v_cmp_ngt_f64_e64 s[2:3], |v[204:205]|, |v[206:207]|
                                        ; implicit-def: $vgpr208_vgpr209
	s_and_saveexec_b64 s[10:11], s[2:3]
	s_xor_b64 s[2:3], exec, s[10:11]
                                        ; implicit-def: $vgpr210_vgpr211
	s_cbranch_execz .LBB59_194
; %bb.193:
	v_div_scale_f64 v[208:209], s[10:11], v[206:207], v[206:207], v[204:205]
	v_rcp_f64_e32 v[210:211], v[208:209]
	v_div_scale_f64 v[212:213], vcc, v[204:205], v[206:207], v[204:205]
	v_fma_f64 v[214:215], -v[208:209], v[210:211], 1.0
	v_fmac_f64_e32 v[210:211], v[210:211], v[214:215]
	v_fma_f64 v[214:215], -v[208:209], v[210:211], 1.0
	v_fmac_f64_e32 v[210:211], v[210:211], v[214:215]
	v_mul_f64 v[214:215], v[212:213], v[210:211]
	v_fma_f64 v[208:209], -v[208:209], v[214:215], v[212:213]
	v_div_fmas_f64 v[208:209], v[208:209], v[210:211], v[214:215]
	v_div_fixup_f64 v[208:209], v[208:209], v[206:207], v[204:205]
	v_fmac_f64_e32 v[206:207], v[204:205], v[208:209]
	v_div_scale_f64 v[204:205], s[10:11], v[206:207], v[206:207], 1.0
	v_rcp_f64_e32 v[210:211], v[204:205]
	s_nop 0
	v_fma_f64 v[212:213], -v[204:205], v[210:211], 1.0
	v_fmac_f64_e32 v[210:211], v[210:211], v[212:213]
	v_fma_f64 v[212:213], -v[204:205], v[210:211], 1.0
	v_fmac_f64_e32 v[210:211], v[210:211], v[212:213]
	v_div_scale_f64 v[212:213], vcc, 1.0, v[206:207], 1.0
	v_mul_f64 v[214:215], v[212:213], v[210:211]
	v_fma_f64 v[204:205], -v[204:205], v[214:215], v[212:213]
	s_nop 1
	v_div_fmas_f64 v[204:205], v[204:205], v[210:211], v[214:215]
	v_div_fixup_f64 v[210:211], v[204:205], v[206:207], 1.0
	v_mul_f64 v[208:209], v[208:209], v[210:211]
	v_xor_b32_e32 v211, 0x80000000, v211
                                        ; implicit-def: $vgpr204_vgpr205
.LBB59_194:
	s_andn2_saveexec_b64 s[2:3], s[2:3]
	s_cbranch_execz .LBB59_196
; %bb.195:
	v_div_scale_f64 v[208:209], s[10:11], v[204:205], v[204:205], v[206:207]
	v_rcp_f64_e32 v[210:211], v[208:209]
	v_div_scale_f64 v[212:213], vcc, v[206:207], v[204:205], v[206:207]
	v_fma_f64 v[214:215], -v[208:209], v[210:211], 1.0
	v_fmac_f64_e32 v[210:211], v[210:211], v[214:215]
	v_fma_f64 v[214:215], -v[208:209], v[210:211], 1.0
	v_fmac_f64_e32 v[210:211], v[210:211], v[214:215]
	v_mul_f64 v[214:215], v[212:213], v[210:211]
	v_fma_f64 v[208:209], -v[208:209], v[214:215], v[212:213]
	v_div_fmas_f64 v[208:209], v[208:209], v[210:211], v[214:215]
	v_div_fixup_f64 v[210:211], v[208:209], v[204:205], v[206:207]
	v_fmac_f64_e32 v[204:205], v[206:207], v[210:211]
	v_div_scale_f64 v[206:207], s[10:11], v[204:205], v[204:205], 1.0
	v_rcp_f64_e32 v[208:209], v[206:207]
	s_nop 0
	v_fma_f64 v[212:213], -v[206:207], v[208:209], 1.0
	v_fmac_f64_e32 v[208:209], v[208:209], v[212:213]
	v_fma_f64 v[212:213], -v[206:207], v[208:209], 1.0
	v_fmac_f64_e32 v[208:209], v[208:209], v[212:213]
	v_div_scale_f64 v[212:213], vcc, 1.0, v[204:205], 1.0
	v_mul_f64 v[214:215], v[212:213], v[208:209]
	v_fma_f64 v[206:207], -v[206:207], v[214:215], v[212:213]
	s_nop 1
	v_div_fmas_f64 v[206:207], v[206:207], v[208:209], v[214:215]
	v_div_fixup_f64 v[208:209], v[206:207], v[204:205], 1.0
	v_mul_f64 v[210:211], v[210:211], -v[208:209]
.LBB59_196:
	s_or_b64 exec, exec, s[2:3]
	ds_write2_b64 v241, v[208:209], v[210:211] offset1:1
.LBB59_197:
	s_or_b64 exec, exec, s[4:5]
	s_waitcnt lgkmcnt(0)
	s_barrier
	ds_read2_b64 v[204:207], v241 offset1:1
	v_cmp_lt_u32_e32 vcc, 21, v240
	s_and_saveexec_b64 s[2:3], vcc
	s_cbranch_execz .LBB59_199
; %bb.198:
	ds_read2_b64 v[210:213], v254 offset0:44 offset1:45
	s_waitcnt vmcnt(16) lgkmcnt(1)
	v_mul_f64 v[208:209], v[204:205], v[30:31]
	v_fmac_f64_e32 v[208:209], v[206:207], v[28:29]
	v_mul_f64 v[30:31], v[206:207], v[30:31]
	v_fma_f64 v[28:29], v[204:205], v[28:29], -v[30:31]
	s_waitcnt lgkmcnt(0)
	v_mul_f64 v[30:31], v[212:213], v[208:209]
	v_fma_f64 v[30:31], v[210:211], v[28:29], -v[30:31]
	v_mul_f64 v[210:211], v[210:211], v[208:209]
	v_fmac_f64_e32 v[210:211], v[212:213], v[28:29]
	s_waitcnt vmcnt(13)
	v_add_f64 v[26:27], v[26:27], -v[210:211]
	ds_read2_b64 v[210:213], v254 offset0:46 offset1:47
	v_add_f64 v[24:25], v[24:25], -v[30:31]
	s_waitcnt lgkmcnt(0)
	v_mul_f64 v[30:31], v[212:213], v[208:209]
	v_fma_f64 v[30:31], v[210:211], v[28:29], -v[30:31]
	v_mul_f64 v[210:211], v[210:211], v[208:209]
	v_fmac_f64_e32 v[210:211], v[212:213], v[28:29]
	s_waitcnt vmcnt(12)
	v_add_f64 v[22:23], v[22:23], -v[210:211]
	ds_read2_b64 v[210:213], v254 offset0:48 offset1:49
	v_add_f64 v[20:21], v[20:21], -v[30:31]
	;; [unrolled: 9-line block ×6, first 2 shown]
	s_waitcnt lgkmcnt(0)
	v_mul_f64 v[30:31], v[212:213], v[208:209]
	v_fma_f64 v[30:31], v[210:211], v[28:29], -v[30:31]
	v_mul_f64 v[210:211], v[210:211], v[208:209]
	v_fmac_f64_e32 v[210:211], v[212:213], v[28:29]
	v_add_f64 v[2:3], v[2:3], -v[210:211]
	ds_read2_b64 v[210:213], v254 offset0:58 offset1:59
	v_add_f64 v[0:1], v[0:1], -v[30:31]
	s_waitcnt lgkmcnt(0)
	v_mul_f64 v[30:31], v[212:213], v[208:209]
	v_fma_f64 v[30:31], v[210:211], v[28:29], -v[30:31]
	v_mul_f64 v[210:211], v[210:211], v[208:209]
	v_fmac_f64_e32 v[210:211], v[212:213], v[28:29]
	s_waitcnt vmcnt(7)
	v_add_f64 v[116:117], v[116:117], -v[30:31]
	v_add_f64 v[118:119], v[118:119], -v[210:211]
	v_mov_b64_e32 v[30:31], v[208:209]
.LBB59_199:
	s_or_b64 exec, exec, s[2:3]
	v_cmp_eq_u32_e32 vcc, 22, v240
	s_waitcnt lgkmcnt(0)
	s_barrier
	s_and_saveexec_b64 s[4:5], vcc
	s_cbranch_execz .LBB59_206
; %bb.200:
	s_waitcnt vmcnt(13)
	ds_write2_b64 v241, v[24:25], v[26:27] offset1:1
	s_waitcnt vmcnt(12)
	ds_write2_b64 v254, v[20:21], v[22:23] offset0:46 offset1:47
	s_waitcnt vmcnt(11)
	ds_write2_b64 v254, v[16:17], v[18:19] offset0:48 offset1:49
	;; [unrolled: 2-line block ×5, first 2 shown]
	ds_write2_b64 v254, v[0:1], v[2:3] offset0:56 offset1:57
	s_waitcnt vmcnt(7)
	ds_write2_b64 v254, v[116:117], v[118:119] offset0:58 offset1:59
	ds_read2_b64 v[208:211], v241 offset1:1
	s_waitcnt lgkmcnt(0)
	v_cmp_neq_f64_e32 vcc, 0, v[208:209]
	v_cmp_neq_f64_e64 s[2:3], 0, v[210:211]
	s_or_b64 s[2:3], vcc, s[2:3]
	s_and_b64 exec, exec, s[2:3]
	s_cbranch_execz .LBB59_206
; %bb.201:
	v_cmp_ngt_f64_e64 s[2:3], |v[208:209]|, |v[210:211]|
                                        ; implicit-def: $vgpr212_vgpr213
	s_and_saveexec_b64 s[10:11], s[2:3]
	s_xor_b64 s[2:3], exec, s[10:11]
                                        ; implicit-def: $vgpr214_vgpr215
	s_cbranch_execz .LBB59_203
; %bb.202:
	v_div_scale_f64 v[212:213], s[10:11], v[210:211], v[210:211], v[208:209]
	v_rcp_f64_e32 v[214:215], v[212:213]
	v_div_scale_f64 v[216:217], vcc, v[208:209], v[210:211], v[208:209]
	v_fma_f64 v[218:219], -v[212:213], v[214:215], 1.0
	v_fmac_f64_e32 v[214:215], v[214:215], v[218:219]
	v_fma_f64 v[218:219], -v[212:213], v[214:215], 1.0
	v_fmac_f64_e32 v[214:215], v[214:215], v[218:219]
	v_mul_f64 v[218:219], v[216:217], v[214:215]
	v_fma_f64 v[212:213], -v[212:213], v[218:219], v[216:217]
	v_div_fmas_f64 v[212:213], v[212:213], v[214:215], v[218:219]
	v_div_fixup_f64 v[212:213], v[212:213], v[210:211], v[208:209]
	v_fmac_f64_e32 v[210:211], v[208:209], v[212:213]
	v_div_scale_f64 v[208:209], s[10:11], v[210:211], v[210:211], 1.0
	v_rcp_f64_e32 v[214:215], v[208:209]
	s_nop 0
	v_fma_f64 v[216:217], -v[208:209], v[214:215], 1.0
	v_fmac_f64_e32 v[214:215], v[214:215], v[216:217]
	v_fma_f64 v[216:217], -v[208:209], v[214:215], 1.0
	v_fmac_f64_e32 v[214:215], v[214:215], v[216:217]
	v_div_scale_f64 v[216:217], vcc, 1.0, v[210:211], 1.0
	v_mul_f64 v[218:219], v[216:217], v[214:215]
	v_fma_f64 v[208:209], -v[208:209], v[218:219], v[216:217]
	s_nop 1
	v_div_fmas_f64 v[208:209], v[208:209], v[214:215], v[218:219]
	v_div_fixup_f64 v[214:215], v[208:209], v[210:211], 1.0
	v_mul_f64 v[212:213], v[212:213], v[214:215]
	v_xor_b32_e32 v215, 0x80000000, v215
                                        ; implicit-def: $vgpr208_vgpr209
.LBB59_203:
	s_andn2_saveexec_b64 s[2:3], s[2:3]
	s_cbranch_execz .LBB59_205
; %bb.204:
	v_div_scale_f64 v[212:213], s[10:11], v[208:209], v[208:209], v[210:211]
	v_rcp_f64_e32 v[214:215], v[212:213]
	v_div_scale_f64 v[216:217], vcc, v[210:211], v[208:209], v[210:211]
	v_fma_f64 v[218:219], -v[212:213], v[214:215], 1.0
	v_fmac_f64_e32 v[214:215], v[214:215], v[218:219]
	v_fma_f64 v[218:219], -v[212:213], v[214:215], 1.0
	v_fmac_f64_e32 v[214:215], v[214:215], v[218:219]
	v_mul_f64 v[218:219], v[216:217], v[214:215]
	v_fma_f64 v[212:213], -v[212:213], v[218:219], v[216:217]
	v_div_fmas_f64 v[212:213], v[212:213], v[214:215], v[218:219]
	v_div_fixup_f64 v[214:215], v[212:213], v[208:209], v[210:211]
	v_fmac_f64_e32 v[208:209], v[210:211], v[214:215]
	v_div_scale_f64 v[210:211], s[10:11], v[208:209], v[208:209], 1.0
	v_rcp_f64_e32 v[212:213], v[210:211]
	s_nop 0
	v_fma_f64 v[216:217], -v[210:211], v[212:213], 1.0
	v_fmac_f64_e32 v[212:213], v[212:213], v[216:217]
	v_fma_f64 v[216:217], -v[210:211], v[212:213], 1.0
	v_fmac_f64_e32 v[212:213], v[212:213], v[216:217]
	v_div_scale_f64 v[216:217], vcc, 1.0, v[208:209], 1.0
	v_mul_f64 v[218:219], v[216:217], v[212:213]
	v_fma_f64 v[210:211], -v[210:211], v[218:219], v[216:217]
	s_nop 1
	v_div_fmas_f64 v[210:211], v[210:211], v[212:213], v[218:219]
	v_div_fixup_f64 v[212:213], v[210:211], v[208:209], 1.0
	v_mul_f64 v[214:215], v[214:215], -v[212:213]
.LBB59_205:
	s_or_b64 exec, exec, s[2:3]
	ds_write2_b64 v241, v[212:213], v[214:215] offset1:1
.LBB59_206:
	s_or_b64 exec, exec, s[4:5]
	s_waitcnt lgkmcnt(0)
	s_barrier
	ds_read2_b64 v[208:211], v241 offset1:1
	v_cmp_lt_u32_e32 vcc, 22, v240
	s_and_saveexec_b64 s[2:3], vcc
	s_cbranch_execz .LBB59_208
; %bb.207:
	ds_read2_b64 v[214:217], v254 offset0:46 offset1:47
	s_waitcnt vmcnt(13) lgkmcnt(1)
	v_mul_f64 v[212:213], v[208:209], v[26:27]
	v_fmac_f64_e32 v[212:213], v[210:211], v[24:25]
	v_mul_f64 v[26:27], v[210:211], v[26:27]
	v_fma_f64 v[24:25], v[208:209], v[24:25], -v[26:27]
	s_waitcnt lgkmcnt(0)
	v_mul_f64 v[26:27], v[216:217], v[212:213]
	v_fma_f64 v[26:27], v[214:215], v[24:25], -v[26:27]
	v_mul_f64 v[214:215], v[214:215], v[212:213]
	v_fmac_f64_e32 v[214:215], v[216:217], v[24:25]
	s_waitcnt vmcnt(12)
	v_add_f64 v[22:23], v[22:23], -v[214:215]
	ds_read2_b64 v[214:217], v254 offset0:48 offset1:49
	v_add_f64 v[20:21], v[20:21], -v[26:27]
	s_waitcnt lgkmcnt(0)
	v_mul_f64 v[26:27], v[216:217], v[212:213]
	v_fma_f64 v[26:27], v[214:215], v[24:25], -v[26:27]
	v_mul_f64 v[214:215], v[214:215], v[212:213]
	v_fmac_f64_e32 v[214:215], v[216:217], v[24:25]
	s_waitcnt vmcnt(11)
	v_add_f64 v[18:19], v[18:19], -v[214:215]
	ds_read2_b64 v[214:217], v254 offset0:50 offset1:51
	v_add_f64 v[16:17], v[16:17], -v[26:27]
	;; [unrolled: 9-line block ×5, first 2 shown]
	s_waitcnt lgkmcnt(0)
	v_mul_f64 v[26:27], v[216:217], v[212:213]
	v_fma_f64 v[26:27], v[214:215], v[24:25], -v[26:27]
	v_mul_f64 v[214:215], v[214:215], v[212:213]
	v_fmac_f64_e32 v[214:215], v[216:217], v[24:25]
	v_add_f64 v[2:3], v[2:3], -v[214:215]
	ds_read2_b64 v[214:217], v254 offset0:58 offset1:59
	v_add_f64 v[0:1], v[0:1], -v[26:27]
	s_waitcnt lgkmcnt(0)
	v_mul_f64 v[26:27], v[216:217], v[212:213]
	v_fma_f64 v[26:27], v[214:215], v[24:25], -v[26:27]
	v_mul_f64 v[214:215], v[214:215], v[212:213]
	v_fmac_f64_e32 v[214:215], v[216:217], v[24:25]
	s_waitcnt vmcnt(7)
	v_add_f64 v[116:117], v[116:117], -v[26:27]
	v_add_f64 v[118:119], v[118:119], -v[214:215]
	v_mov_b64_e32 v[26:27], v[212:213]
.LBB59_208:
	s_or_b64 exec, exec, s[2:3]
	v_cmp_eq_u32_e32 vcc, 23, v240
	s_waitcnt lgkmcnt(0)
	s_barrier
	s_and_saveexec_b64 s[4:5], vcc
	s_cbranch_execz .LBB59_215
; %bb.209:
	s_waitcnt vmcnt(12)
	ds_write2_b64 v241, v[20:21], v[22:23] offset1:1
	s_waitcnt vmcnt(11)
	ds_write2_b64 v254, v[16:17], v[18:19] offset0:48 offset1:49
	s_waitcnt vmcnt(10)
	ds_write2_b64 v254, v[12:13], v[14:15] offset0:50 offset1:51
	s_waitcnt vmcnt(9)
	ds_write2_b64 v254, v[8:9], v[10:11] offset0:52 offset1:53
	s_waitcnt vmcnt(8)
	ds_write2_b64 v254, v[4:5], v[6:7] offset0:54 offset1:55
	ds_write2_b64 v254, v[0:1], v[2:3] offset0:56 offset1:57
	s_waitcnt vmcnt(7)
	ds_write2_b64 v254, v[116:117], v[118:119] offset0:58 offset1:59
	ds_read2_b64 v[212:215], v241 offset1:1
	s_waitcnt lgkmcnt(0)
	v_cmp_neq_f64_e32 vcc, 0, v[212:213]
	v_cmp_neq_f64_e64 s[2:3], 0, v[214:215]
	s_or_b64 s[2:3], vcc, s[2:3]
	s_and_b64 exec, exec, s[2:3]
	s_cbranch_execz .LBB59_215
; %bb.210:
	v_cmp_ngt_f64_e64 s[2:3], |v[212:213]|, |v[214:215]|
                                        ; implicit-def: $vgpr216_vgpr217
	s_and_saveexec_b64 s[10:11], s[2:3]
	s_xor_b64 s[2:3], exec, s[10:11]
                                        ; implicit-def: $vgpr218_vgpr219
	s_cbranch_execz .LBB59_212
; %bb.211:
	v_div_scale_f64 v[216:217], s[10:11], v[214:215], v[214:215], v[212:213]
	v_rcp_f64_e32 v[218:219], v[216:217]
	v_div_scale_f64 v[220:221], vcc, v[212:213], v[214:215], v[212:213]
	v_fma_f64 v[222:223], -v[216:217], v[218:219], 1.0
	v_fmac_f64_e32 v[218:219], v[218:219], v[222:223]
	v_fma_f64 v[222:223], -v[216:217], v[218:219], 1.0
	v_fmac_f64_e32 v[218:219], v[218:219], v[222:223]
	v_mul_f64 v[222:223], v[220:221], v[218:219]
	v_fma_f64 v[216:217], -v[216:217], v[222:223], v[220:221]
	v_div_fmas_f64 v[216:217], v[216:217], v[218:219], v[222:223]
	v_div_fixup_f64 v[216:217], v[216:217], v[214:215], v[212:213]
	v_fmac_f64_e32 v[214:215], v[212:213], v[216:217]
	v_div_scale_f64 v[212:213], s[10:11], v[214:215], v[214:215], 1.0
	v_rcp_f64_e32 v[218:219], v[212:213]
	s_nop 0
	v_fma_f64 v[220:221], -v[212:213], v[218:219], 1.0
	v_fmac_f64_e32 v[218:219], v[218:219], v[220:221]
	v_fma_f64 v[220:221], -v[212:213], v[218:219], 1.0
	v_fmac_f64_e32 v[218:219], v[218:219], v[220:221]
	v_div_scale_f64 v[220:221], vcc, 1.0, v[214:215], 1.0
	v_mul_f64 v[222:223], v[220:221], v[218:219]
	v_fma_f64 v[212:213], -v[212:213], v[222:223], v[220:221]
	s_nop 1
	v_div_fmas_f64 v[212:213], v[212:213], v[218:219], v[222:223]
	v_div_fixup_f64 v[218:219], v[212:213], v[214:215], 1.0
	v_mul_f64 v[216:217], v[216:217], v[218:219]
	v_xor_b32_e32 v219, 0x80000000, v219
                                        ; implicit-def: $vgpr212_vgpr213
.LBB59_212:
	s_andn2_saveexec_b64 s[2:3], s[2:3]
	s_cbranch_execz .LBB59_214
; %bb.213:
	v_div_scale_f64 v[216:217], s[10:11], v[212:213], v[212:213], v[214:215]
	v_rcp_f64_e32 v[218:219], v[216:217]
	v_div_scale_f64 v[220:221], vcc, v[214:215], v[212:213], v[214:215]
	v_fma_f64 v[222:223], -v[216:217], v[218:219], 1.0
	v_fmac_f64_e32 v[218:219], v[218:219], v[222:223]
	v_fma_f64 v[222:223], -v[216:217], v[218:219], 1.0
	v_fmac_f64_e32 v[218:219], v[218:219], v[222:223]
	v_mul_f64 v[222:223], v[220:221], v[218:219]
	v_fma_f64 v[216:217], -v[216:217], v[222:223], v[220:221]
	v_div_fmas_f64 v[216:217], v[216:217], v[218:219], v[222:223]
	v_div_fixup_f64 v[218:219], v[216:217], v[212:213], v[214:215]
	v_fmac_f64_e32 v[212:213], v[214:215], v[218:219]
	v_div_scale_f64 v[214:215], s[10:11], v[212:213], v[212:213], 1.0
	v_rcp_f64_e32 v[216:217], v[214:215]
	s_nop 0
	v_fma_f64 v[220:221], -v[214:215], v[216:217], 1.0
	v_fmac_f64_e32 v[216:217], v[216:217], v[220:221]
	v_fma_f64 v[220:221], -v[214:215], v[216:217], 1.0
	v_fmac_f64_e32 v[216:217], v[216:217], v[220:221]
	v_div_scale_f64 v[220:221], vcc, 1.0, v[212:213], 1.0
	v_mul_f64 v[222:223], v[220:221], v[216:217]
	v_fma_f64 v[214:215], -v[214:215], v[222:223], v[220:221]
	s_nop 1
	v_div_fmas_f64 v[214:215], v[214:215], v[216:217], v[222:223]
	v_div_fixup_f64 v[216:217], v[214:215], v[212:213], 1.0
	v_mul_f64 v[218:219], v[218:219], -v[216:217]
.LBB59_214:
	s_or_b64 exec, exec, s[2:3]
	ds_write2_b64 v241, v[216:217], v[218:219] offset1:1
.LBB59_215:
	s_or_b64 exec, exec, s[4:5]
	s_waitcnt lgkmcnt(0)
	s_barrier
	ds_read2_b64 v[212:215], v241 offset1:1
	v_cmp_lt_u32_e32 vcc, 23, v240
	s_and_saveexec_b64 s[2:3], vcc
	s_cbranch_execz .LBB59_217
; %bb.216:
	ds_read2_b64 v[216:219], v254 offset0:48 offset1:49
	s_waitcnt vmcnt(12) lgkmcnt(1)
	v_mul_f64 v[220:221], v[212:213], v[22:23]
	v_fmac_f64_e32 v[220:221], v[214:215], v[20:21]
	v_mul_f64 v[22:23], v[214:215], v[22:23]
	v_fma_f64 v[20:21], v[212:213], v[20:21], -v[22:23]
	s_waitcnt lgkmcnt(0)
	v_mul_f64 v[22:23], v[218:219], v[220:221]
	v_fma_f64 v[22:23], v[216:217], v[20:21], -v[22:23]
	v_mul_f64 v[216:217], v[216:217], v[220:221]
	v_fmac_f64_e32 v[216:217], v[218:219], v[20:21]
	s_waitcnt vmcnt(11)
	v_add_f64 v[18:19], v[18:19], -v[216:217]
	ds_read2_b64 v[216:219], v254 offset0:50 offset1:51
	v_add_f64 v[16:17], v[16:17], -v[22:23]
	s_waitcnt lgkmcnt(0)
	v_mul_f64 v[22:23], v[218:219], v[220:221]
	v_fma_f64 v[22:23], v[216:217], v[20:21], -v[22:23]
	v_mul_f64 v[216:217], v[216:217], v[220:221]
	v_fmac_f64_e32 v[216:217], v[218:219], v[20:21]
	s_waitcnt vmcnt(10)
	v_add_f64 v[14:15], v[14:15], -v[216:217]
	ds_read2_b64 v[216:219], v254 offset0:52 offset1:53
	v_add_f64 v[12:13], v[12:13], -v[22:23]
	;; [unrolled: 9-line block ×4, first 2 shown]
	s_waitcnt lgkmcnt(0)
	v_mul_f64 v[22:23], v[218:219], v[220:221]
	v_fma_f64 v[22:23], v[216:217], v[20:21], -v[22:23]
	v_mul_f64 v[216:217], v[216:217], v[220:221]
	v_fmac_f64_e32 v[216:217], v[218:219], v[20:21]
	v_add_f64 v[2:3], v[2:3], -v[216:217]
	ds_read2_b64 v[216:219], v254 offset0:58 offset1:59
	v_add_f64 v[0:1], v[0:1], -v[22:23]
	s_waitcnt lgkmcnt(0)
	v_mul_f64 v[22:23], v[218:219], v[220:221]
	v_fma_f64 v[22:23], v[216:217], v[20:21], -v[22:23]
	v_mul_f64 v[216:217], v[216:217], v[220:221]
	v_fmac_f64_e32 v[216:217], v[218:219], v[20:21]
	s_waitcnt vmcnt(7)
	v_add_f64 v[116:117], v[116:117], -v[22:23]
	v_add_f64 v[118:119], v[118:119], -v[216:217]
	v_mov_b64_e32 v[22:23], v[220:221]
.LBB59_217:
	s_or_b64 exec, exec, s[2:3]
	v_cmp_eq_u32_e32 vcc, 24, v240
	s_waitcnt lgkmcnt(0)
	s_barrier
	s_and_saveexec_b64 s[4:5], vcc
	s_cbranch_execz .LBB59_224
; %bb.218:
	s_waitcnt vmcnt(11)
	ds_write2_b64 v241, v[16:17], v[18:19] offset1:1
	s_waitcnt vmcnt(10)
	ds_write2_b64 v254, v[12:13], v[14:15] offset0:50 offset1:51
	s_waitcnt vmcnt(9)
	ds_write2_b64 v254, v[8:9], v[10:11] offset0:52 offset1:53
	;; [unrolled: 2-line block ×3, first 2 shown]
	ds_write2_b64 v254, v[0:1], v[2:3] offset0:56 offset1:57
	s_waitcnt vmcnt(7)
	ds_write2_b64 v254, v[116:117], v[118:119] offset0:58 offset1:59
	ds_read2_b64 v[216:219], v241 offset1:1
	s_waitcnt lgkmcnt(0)
	v_cmp_neq_f64_e32 vcc, 0, v[216:217]
	v_cmp_neq_f64_e64 s[2:3], 0, v[218:219]
	s_or_b64 s[2:3], vcc, s[2:3]
	s_and_b64 exec, exec, s[2:3]
	s_cbranch_execz .LBB59_224
; %bb.219:
	v_cmp_ngt_f64_e64 s[2:3], |v[216:217]|, |v[218:219]|
                                        ; implicit-def: $vgpr220_vgpr221
	s_and_saveexec_b64 s[10:11], s[2:3]
	s_xor_b64 s[2:3], exec, s[10:11]
                                        ; implicit-def: $vgpr222_vgpr223
	s_cbranch_execz .LBB59_221
; %bb.220:
	v_div_scale_f64 v[220:221], s[10:11], v[218:219], v[218:219], v[216:217]
	v_rcp_f64_e32 v[222:223], v[220:221]
	v_div_scale_f64 v[224:225], vcc, v[216:217], v[218:219], v[216:217]
	v_fma_f64 v[226:227], -v[220:221], v[222:223], 1.0
	v_fmac_f64_e32 v[222:223], v[222:223], v[226:227]
	v_fma_f64 v[226:227], -v[220:221], v[222:223], 1.0
	v_fmac_f64_e32 v[222:223], v[222:223], v[226:227]
	v_mul_f64 v[226:227], v[224:225], v[222:223]
	v_fma_f64 v[220:221], -v[220:221], v[226:227], v[224:225]
	v_div_fmas_f64 v[220:221], v[220:221], v[222:223], v[226:227]
	v_div_fixup_f64 v[220:221], v[220:221], v[218:219], v[216:217]
	v_fmac_f64_e32 v[218:219], v[216:217], v[220:221]
	v_div_scale_f64 v[216:217], s[10:11], v[218:219], v[218:219], 1.0
	v_rcp_f64_e32 v[222:223], v[216:217]
	s_nop 0
	v_fma_f64 v[224:225], -v[216:217], v[222:223], 1.0
	v_fmac_f64_e32 v[222:223], v[222:223], v[224:225]
	v_fma_f64 v[224:225], -v[216:217], v[222:223], 1.0
	v_fmac_f64_e32 v[222:223], v[222:223], v[224:225]
	v_div_scale_f64 v[224:225], vcc, 1.0, v[218:219], 1.0
	v_mul_f64 v[226:227], v[224:225], v[222:223]
	v_fma_f64 v[216:217], -v[216:217], v[226:227], v[224:225]
	s_nop 1
	v_div_fmas_f64 v[216:217], v[216:217], v[222:223], v[226:227]
	v_div_fixup_f64 v[222:223], v[216:217], v[218:219], 1.0
	v_mul_f64 v[220:221], v[220:221], v[222:223]
	v_xor_b32_e32 v223, 0x80000000, v223
                                        ; implicit-def: $vgpr216_vgpr217
.LBB59_221:
	s_andn2_saveexec_b64 s[2:3], s[2:3]
	s_cbranch_execz .LBB59_223
; %bb.222:
	v_div_scale_f64 v[220:221], s[10:11], v[216:217], v[216:217], v[218:219]
	v_rcp_f64_e32 v[222:223], v[220:221]
	v_div_scale_f64 v[224:225], vcc, v[218:219], v[216:217], v[218:219]
	v_fma_f64 v[226:227], -v[220:221], v[222:223], 1.0
	v_fmac_f64_e32 v[222:223], v[222:223], v[226:227]
	v_fma_f64 v[226:227], -v[220:221], v[222:223], 1.0
	v_fmac_f64_e32 v[222:223], v[222:223], v[226:227]
	v_mul_f64 v[226:227], v[224:225], v[222:223]
	v_fma_f64 v[220:221], -v[220:221], v[226:227], v[224:225]
	v_div_fmas_f64 v[220:221], v[220:221], v[222:223], v[226:227]
	v_div_fixup_f64 v[222:223], v[220:221], v[216:217], v[218:219]
	v_fmac_f64_e32 v[216:217], v[218:219], v[222:223]
	v_div_scale_f64 v[218:219], s[10:11], v[216:217], v[216:217], 1.0
	v_rcp_f64_e32 v[220:221], v[218:219]
	s_nop 0
	v_fma_f64 v[224:225], -v[218:219], v[220:221], 1.0
	v_fmac_f64_e32 v[220:221], v[220:221], v[224:225]
	v_fma_f64 v[224:225], -v[218:219], v[220:221], 1.0
	v_fmac_f64_e32 v[220:221], v[220:221], v[224:225]
	v_div_scale_f64 v[224:225], vcc, 1.0, v[216:217], 1.0
	v_mul_f64 v[226:227], v[224:225], v[220:221]
	v_fma_f64 v[218:219], -v[218:219], v[226:227], v[224:225]
	s_nop 1
	v_div_fmas_f64 v[218:219], v[218:219], v[220:221], v[226:227]
	v_div_fixup_f64 v[220:221], v[218:219], v[216:217], 1.0
	v_mul_f64 v[222:223], v[222:223], -v[220:221]
.LBB59_223:
	s_or_b64 exec, exec, s[2:3]
	ds_write2_b64 v241, v[220:221], v[222:223] offset1:1
.LBB59_224:
	s_or_b64 exec, exec, s[4:5]
	s_waitcnt lgkmcnt(0)
	s_barrier
	ds_read2_b64 v[216:219], v241 offset1:1
	v_cmp_lt_u32_e32 vcc, 24, v240
	s_and_saveexec_b64 s[2:3], vcc
	s_cbranch_execz .LBB59_226
; %bb.225:
	ds_read2_b64 v[220:223], v254 offset0:50 offset1:51
	s_waitcnt vmcnt(11) lgkmcnt(1)
	v_mul_f64 v[224:225], v[216:217], v[18:19]
	v_fmac_f64_e32 v[224:225], v[218:219], v[16:17]
	v_mul_f64 v[18:19], v[218:219], v[18:19]
	v_fma_f64 v[16:17], v[216:217], v[16:17], -v[18:19]
	s_waitcnt lgkmcnt(0)
	v_mul_f64 v[18:19], v[222:223], v[224:225]
	v_fma_f64 v[18:19], v[220:221], v[16:17], -v[18:19]
	v_mul_f64 v[220:221], v[220:221], v[224:225]
	v_fmac_f64_e32 v[220:221], v[222:223], v[16:17]
	s_waitcnt vmcnt(10)
	v_add_f64 v[14:15], v[14:15], -v[220:221]
	ds_read2_b64 v[220:223], v254 offset0:52 offset1:53
	v_add_f64 v[12:13], v[12:13], -v[18:19]
	s_waitcnt lgkmcnt(0)
	v_mul_f64 v[18:19], v[222:223], v[224:225]
	v_fma_f64 v[18:19], v[220:221], v[16:17], -v[18:19]
	v_mul_f64 v[220:221], v[220:221], v[224:225]
	v_fmac_f64_e32 v[220:221], v[222:223], v[16:17]
	s_waitcnt vmcnt(9)
	v_add_f64 v[10:11], v[10:11], -v[220:221]
	ds_read2_b64 v[220:223], v254 offset0:54 offset1:55
	v_add_f64 v[8:9], v[8:9], -v[18:19]
	;; [unrolled: 9-line block ×3, first 2 shown]
	s_waitcnt lgkmcnt(0)
	v_mul_f64 v[18:19], v[222:223], v[224:225]
	v_fma_f64 v[18:19], v[220:221], v[16:17], -v[18:19]
	v_mul_f64 v[220:221], v[220:221], v[224:225]
	v_fmac_f64_e32 v[220:221], v[222:223], v[16:17]
	v_add_f64 v[2:3], v[2:3], -v[220:221]
	ds_read2_b64 v[220:223], v254 offset0:58 offset1:59
	v_add_f64 v[0:1], v[0:1], -v[18:19]
	s_waitcnt lgkmcnt(0)
	v_mul_f64 v[18:19], v[222:223], v[224:225]
	v_fma_f64 v[18:19], v[220:221], v[16:17], -v[18:19]
	v_mul_f64 v[220:221], v[220:221], v[224:225]
	v_fmac_f64_e32 v[220:221], v[222:223], v[16:17]
	s_waitcnt vmcnt(7)
	v_add_f64 v[116:117], v[116:117], -v[18:19]
	v_add_f64 v[118:119], v[118:119], -v[220:221]
	v_mov_b64_e32 v[18:19], v[224:225]
.LBB59_226:
	s_or_b64 exec, exec, s[2:3]
	v_cmp_eq_u32_e32 vcc, 25, v240
	s_waitcnt lgkmcnt(0)
	s_barrier
	s_and_saveexec_b64 s[4:5], vcc
	s_cbranch_execz .LBB59_233
; %bb.227:
	s_waitcnt vmcnt(10)
	ds_write2_b64 v241, v[12:13], v[14:15] offset1:1
	s_waitcnt vmcnt(9)
	ds_write2_b64 v254, v[8:9], v[10:11] offset0:52 offset1:53
	s_waitcnt vmcnt(8)
	ds_write2_b64 v254, v[4:5], v[6:7] offset0:54 offset1:55
	ds_write2_b64 v254, v[0:1], v[2:3] offset0:56 offset1:57
	s_waitcnt vmcnt(7)
	ds_write2_b64 v254, v[116:117], v[118:119] offset0:58 offset1:59
	ds_read2_b64 v[220:223], v241 offset1:1
	s_waitcnt lgkmcnt(0)
	v_cmp_neq_f64_e32 vcc, 0, v[220:221]
	v_cmp_neq_f64_e64 s[2:3], 0, v[222:223]
	s_or_b64 s[2:3], vcc, s[2:3]
	s_and_b64 exec, exec, s[2:3]
	s_cbranch_execz .LBB59_233
; %bb.228:
	v_cmp_ngt_f64_e64 s[2:3], |v[220:221]|, |v[222:223]|
                                        ; implicit-def: $vgpr224_vgpr225
	s_and_saveexec_b64 s[10:11], s[2:3]
	s_xor_b64 s[2:3], exec, s[10:11]
                                        ; implicit-def: $vgpr226_vgpr227
	s_cbranch_execz .LBB59_230
; %bb.229:
	v_div_scale_f64 v[224:225], s[10:11], v[222:223], v[222:223], v[220:221]
	v_rcp_f64_e32 v[226:227], v[224:225]
	v_div_scale_f64 v[228:229], vcc, v[220:221], v[222:223], v[220:221]
	v_fma_f64 v[230:231], -v[224:225], v[226:227], 1.0
	v_fmac_f64_e32 v[226:227], v[226:227], v[230:231]
	v_fma_f64 v[230:231], -v[224:225], v[226:227], 1.0
	v_fmac_f64_e32 v[226:227], v[226:227], v[230:231]
	v_mul_f64 v[230:231], v[228:229], v[226:227]
	v_fma_f64 v[224:225], -v[224:225], v[230:231], v[228:229]
	v_div_fmas_f64 v[224:225], v[224:225], v[226:227], v[230:231]
	v_div_fixup_f64 v[224:225], v[224:225], v[222:223], v[220:221]
	v_fmac_f64_e32 v[222:223], v[220:221], v[224:225]
	v_div_scale_f64 v[220:221], s[10:11], v[222:223], v[222:223], 1.0
	v_rcp_f64_e32 v[226:227], v[220:221]
	s_nop 0
	v_fma_f64 v[228:229], -v[220:221], v[226:227], 1.0
	v_fmac_f64_e32 v[226:227], v[226:227], v[228:229]
	v_fma_f64 v[228:229], -v[220:221], v[226:227], 1.0
	v_fmac_f64_e32 v[226:227], v[226:227], v[228:229]
	v_div_scale_f64 v[228:229], vcc, 1.0, v[222:223], 1.0
	v_mul_f64 v[230:231], v[228:229], v[226:227]
	v_fma_f64 v[220:221], -v[220:221], v[230:231], v[228:229]
	s_nop 1
	v_div_fmas_f64 v[220:221], v[220:221], v[226:227], v[230:231]
	v_div_fixup_f64 v[226:227], v[220:221], v[222:223], 1.0
	v_mul_f64 v[224:225], v[224:225], v[226:227]
	v_xor_b32_e32 v227, 0x80000000, v227
                                        ; implicit-def: $vgpr220_vgpr221
.LBB59_230:
	s_andn2_saveexec_b64 s[2:3], s[2:3]
	s_cbranch_execz .LBB59_232
; %bb.231:
	v_div_scale_f64 v[224:225], s[10:11], v[220:221], v[220:221], v[222:223]
	v_rcp_f64_e32 v[226:227], v[224:225]
	v_div_scale_f64 v[228:229], vcc, v[222:223], v[220:221], v[222:223]
	v_fma_f64 v[230:231], -v[224:225], v[226:227], 1.0
	v_fmac_f64_e32 v[226:227], v[226:227], v[230:231]
	v_fma_f64 v[230:231], -v[224:225], v[226:227], 1.0
	v_fmac_f64_e32 v[226:227], v[226:227], v[230:231]
	v_mul_f64 v[230:231], v[228:229], v[226:227]
	v_fma_f64 v[224:225], -v[224:225], v[230:231], v[228:229]
	v_div_fmas_f64 v[224:225], v[224:225], v[226:227], v[230:231]
	v_div_fixup_f64 v[226:227], v[224:225], v[220:221], v[222:223]
	v_fmac_f64_e32 v[220:221], v[222:223], v[226:227]
	v_div_scale_f64 v[222:223], s[10:11], v[220:221], v[220:221], 1.0
	v_rcp_f64_e32 v[224:225], v[222:223]
	s_nop 0
	v_fma_f64 v[228:229], -v[222:223], v[224:225], 1.0
	v_fmac_f64_e32 v[224:225], v[224:225], v[228:229]
	v_fma_f64 v[228:229], -v[222:223], v[224:225], 1.0
	v_fmac_f64_e32 v[224:225], v[224:225], v[228:229]
	v_div_scale_f64 v[228:229], vcc, 1.0, v[220:221], 1.0
	v_mul_f64 v[230:231], v[228:229], v[224:225]
	v_fma_f64 v[222:223], -v[222:223], v[230:231], v[228:229]
	s_nop 1
	v_div_fmas_f64 v[222:223], v[222:223], v[224:225], v[230:231]
	v_div_fixup_f64 v[224:225], v[222:223], v[220:221], 1.0
	v_mul_f64 v[226:227], v[226:227], -v[224:225]
.LBB59_232:
	s_or_b64 exec, exec, s[2:3]
	ds_write2_b64 v241, v[224:225], v[226:227] offset1:1
.LBB59_233:
	s_or_b64 exec, exec, s[4:5]
	s_waitcnt lgkmcnt(0)
	s_barrier
	ds_read2_b64 v[220:223], v241 offset1:1
	v_cmp_lt_u32_e32 vcc, 25, v240
	s_and_saveexec_b64 s[2:3], vcc
	s_cbranch_execz .LBB59_235
; %bb.234:
	ds_read2_b64 v[224:227], v254 offset0:52 offset1:53
	s_waitcnt vmcnt(10) lgkmcnt(1)
	v_mul_f64 v[228:229], v[220:221], v[14:15]
	v_fmac_f64_e32 v[228:229], v[222:223], v[12:13]
	v_mul_f64 v[14:15], v[222:223], v[14:15]
	v_fma_f64 v[12:13], v[220:221], v[12:13], -v[14:15]
	s_waitcnt lgkmcnt(0)
	v_mul_f64 v[14:15], v[226:227], v[228:229]
	v_fma_f64 v[14:15], v[224:225], v[12:13], -v[14:15]
	v_mul_f64 v[224:225], v[224:225], v[228:229]
	v_fmac_f64_e32 v[224:225], v[226:227], v[12:13]
	s_waitcnt vmcnt(9)
	v_add_f64 v[10:11], v[10:11], -v[224:225]
	ds_read2_b64 v[224:227], v254 offset0:54 offset1:55
	v_add_f64 v[8:9], v[8:9], -v[14:15]
	s_waitcnt lgkmcnt(0)
	v_mul_f64 v[14:15], v[226:227], v[228:229]
	v_fma_f64 v[14:15], v[224:225], v[12:13], -v[14:15]
	v_mul_f64 v[224:225], v[224:225], v[228:229]
	v_fmac_f64_e32 v[224:225], v[226:227], v[12:13]
	s_waitcnt vmcnt(8)
	v_add_f64 v[6:7], v[6:7], -v[224:225]
	ds_read2_b64 v[224:227], v254 offset0:56 offset1:57
	v_add_f64 v[4:5], v[4:5], -v[14:15]
	s_waitcnt lgkmcnt(0)
	v_mul_f64 v[14:15], v[226:227], v[228:229]
	v_fma_f64 v[14:15], v[224:225], v[12:13], -v[14:15]
	v_mul_f64 v[224:225], v[224:225], v[228:229]
	v_fmac_f64_e32 v[224:225], v[226:227], v[12:13]
	v_add_f64 v[2:3], v[2:3], -v[224:225]
	ds_read2_b64 v[224:227], v254 offset0:58 offset1:59
	v_add_f64 v[0:1], v[0:1], -v[14:15]
	s_waitcnt lgkmcnt(0)
	v_mul_f64 v[14:15], v[226:227], v[228:229]
	v_fma_f64 v[14:15], v[224:225], v[12:13], -v[14:15]
	v_mul_f64 v[224:225], v[224:225], v[228:229]
	v_fmac_f64_e32 v[224:225], v[226:227], v[12:13]
	s_waitcnt vmcnt(7)
	v_add_f64 v[116:117], v[116:117], -v[14:15]
	v_add_f64 v[118:119], v[118:119], -v[224:225]
	v_mov_b64_e32 v[14:15], v[228:229]
.LBB59_235:
	s_or_b64 exec, exec, s[2:3]
	v_cmp_eq_u32_e32 vcc, 26, v240
	s_waitcnt lgkmcnt(0)
	s_barrier
	s_and_saveexec_b64 s[4:5], vcc
	s_cbranch_execz .LBB59_242
; %bb.236:
	s_waitcnt vmcnt(9)
	ds_write2_b64 v241, v[8:9], v[10:11] offset1:1
	s_waitcnt vmcnt(8)
	ds_write2_b64 v254, v[4:5], v[6:7] offset0:54 offset1:55
	ds_write2_b64 v254, v[0:1], v[2:3] offset0:56 offset1:57
	s_waitcnt vmcnt(7)
	ds_write2_b64 v254, v[116:117], v[118:119] offset0:58 offset1:59
	ds_read2_b64 v[224:227], v241 offset1:1
	s_waitcnt lgkmcnt(0)
	v_cmp_neq_f64_e32 vcc, 0, v[224:225]
	v_cmp_neq_f64_e64 s[2:3], 0, v[226:227]
	s_or_b64 s[2:3], vcc, s[2:3]
	s_and_b64 exec, exec, s[2:3]
	s_cbranch_execz .LBB59_242
; %bb.237:
	v_cmp_ngt_f64_e64 s[2:3], |v[224:225]|, |v[226:227]|
                                        ; implicit-def: $vgpr228_vgpr229
	s_and_saveexec_b64 s[10:11], s[2:3]
	s_xor_b64 s[2:3], exec, s[10:11]
                                        ; implicit-def: $vgpr230_vgpr231
	s_cbranch_execz .LBB59_239
; %bb.238:
	v_div_scale_f64 v[228:229], s[10:11], v[226:227], v[226:227], v[224:225]
	v_rcp_f64_e32 v[230:231], v[228:229]
	v_div_scale_f64 v[232:233], vcc, v[224:225], v[226:227], v[224:225]
	v_fma_f64 v[234:235], -v[228:229], v[230:231], 1.0
	v_fmac_f64_e32 v[230:231], v[230:231], v[234:235]
	v_fma_f64 v[234:235], -v[228:229], v[230:231], 1.0
	v_fmac_f64_e32 v[230:231], v[230:231], v[234:235]
	v_mul_f64 v[234:235], v[232:233], v[230:231]
	v_fma_f64 v[228:229], -v[228:229], v[234:235], v[232:233]
	v_div_fmas_f64 v[228:229], v[228:229], v[230:231], v[234:235]
	v_div_fixup_f64 v[228:229], v[228:229], v[226:227], v[224:225]
	v_fmac_f64_e32 v[226:227], v[224:225], v[228:229]
	v_div_scale_f64 v[224:225], s[10:11], v[226:227], v[226:227], 1.0
	v_rcp_f64_e32 v[230:231], v[224:225]
	s_nop 0
	v_fma_f64 v[232:233], -v[224:225], v[230:231], 1.0
	v_fmac_f64_e32 v[230:231], v[230:231], v[232:233]
	v_fma_f64 v[232:233], -v[224:225], v[230:231], 1.0
	v_fmac_f64_e32 v[230:231], v[230:231], v[232:233]
	v_div_scale_f64 v[232:233], vcc, 1.0, v[226:227], 1.0
	v_mul_f64 v[234:235], v[232:233], v[230:231]
	v_fma_f64 v[224:225], -v[224:225], v[234:235], v[232:233]
	s_nop 1
	v_div_fmas_f64 v[224:225], v[224:225], v[230:231], v[234:235]
	v_div_fixup_f64 v[230:231], v[224:225], v[226:227], 1.0
	v_mul_f64 v[228:229], v[228:229], v[230:231]
	v_xor_b32_e32 v231, 0x80000000, v231
                                        ; implicit-def: $vgpr224_vgpr225
.LBB59_239:
	s_andn2_saveexec_b64 s[2:3], s[2:3]
	s_cbranch_execz .LBB59_241
; %bb.240:
	v_div_scale_f64 v[228:229], s[10:11], v[224:225], v[224:225], v[226:227]
	v_rcp_f64_e32 v[230:231], v[228:229]
	v_div_scale_f64 v[232:233], vcc, v[226:227], v[224:225], v[226:227]
	v_fma_f64 v[234:235], -v[228:229], v[230:231], 1.0
	v_fmac_f64_e32 v[230:231], v[230:231], v[234:235]
	v_fma_f64 v[234:235], -v[228:229], v[230:231], 1.0
	v_fmac_f64_e32 v[230:231], v[230:231], v[234:235]
	v_mul_f64 v[234:235], v[232:233], v[230:231]
	v_fma_f64 v[228:229], -v[228:229], v[234:235], v[232:233]
	v_div_fmas_f64 v[228:229], v[228:229], v[230:231], v[234:235]
	v_div_fixup_f64 v[230:231], v[228:229], v[224:225], v[226:227]
	v_fmac_f64_e32 v[224:225], v[226:227], v[230:231]
	v_div_scale_f64 v[226:227], s[10:11], v[224:225], v[224:225], 1.0
	v_rcp_f64_e32 v[228:229], v[226:227]
	s_nop 0
	v_fma_f64 v[232:233], -v[226:227], v[228:229], 1.0
	v_fmac_f64_e32 v[228:229], v[228:229], v[232:233]
	v_fma_f64 v[232:233], -v[226:227], v[228:229], 1.0
	v_fmac_f64_e32 v[228:229], v[228:229], v[232:233]
	v_div_scale_f64 v[232:233], vcc, 1.0, v[224:225], 1.0
	v_mul_f64 v[234:235], v[232:233], v[228:229]
	v_fma_f64 v[226:227], -v[226:227], v[234:235], v[232:233]
	s_nop 1
	v_div_fmas_f64 v[226:227], v[226:227], v[228:229], v[234:235]
	v_div_fixup_f64 v[228:229], v[226:227], v[224:225], 1.0
	v_mul_f64 v[230:231], v[230:231], -v[228:229]
.LBB59_241:
	s_or_b64 exec, exec, s[2:3]
	ds_write2_b64 v241, v[228:229], v[230:231] offset1:1
.LBB59_242:
	s_or_b64 exec, exec, s[4:5]
	s_waitcnt lgkmcnt(0)
	s_barrier
	ds_read2_b64 v[224:227], v241 offset1:1
	v_cmp_lt_u32_e32 vcc, 26, v240
	s_and_saveexec_b64 s[2:3], vcc
	s_cbranch_execz .LBB59_244
; %bb.243:
	ds_read2_b64 v[228:231], v254 offset0:54 offset1:55
	s_waitcnt vmcnt(9) lgkmcnt(1)
	v_mul_f64 v[232:233], v[224:225], v[10:11]
	v_fmac_f64_e32 v[232:233], v[226:227], v[8:9]
	v_mul_f64 v[10:11], v[226:227], v[10:11]
	v_fma_f64 v[8:9], v[224:225], v[8:9], -v[10:11]
	s_waitcnt lgkmcnt(0)
	v_mul_f64 v[10:11], v[230:231], v[232:233]
	v_fma_f64 v[10:11], v[228:229], v[8:9], -v[10:11]
	v_mul_f64 v[228:229], v[228:229], v[232:233]
	v_fmac_f64_e32 v[228:229], v[230:231], v[8:9]
	s_waitcnt vmcnt(8)
	v_add_f64 v[6:7], v[6:7], -v[228:229]
	ds_read2_b64 v[228:231], v254 offset0:56 offset1:57
	v_add_f64 v[4:5], v[4:5], -v[10:11]
	s_waitcnt lgkmcnt(0)
	v_mul_f64 v[10:11], v[230:231], v[232:233]
	v_fma_f64 v[10:11], v[228:229], v[8:9], -v[10:11]
	v_mul_f64 v[228:229], v[228:229], v[232:233]
	v_fmac_f64_e32 v[228:229], v[230:231], v[8:9]
	v_add_f64 v[2:3], v[2:3], -v[228:229]
	ds_read2_b64 v[228:231], v254 offset0:58 offset1:59
	v_add_f64 v[0:1], v[0:1], -v[10:11]
	s_waitcnt lgkmcnt(0)
	v_mul_f64 v[10:11], v[230:231], v[232:233]
	v_fma_f64 v[10:11], v[228:229], v[8:9], -v[10:11]
	v_mul_f64 v[228:229], v[228:229], v[232:233]
	v_fmac_f64_e32 v[228:229], v[230:231], v[8:9]
	s_waitcnt vmcnt(7)
	v_add_f64 v[116:117], v[116:117], -v[10:11]
	v_add_f64 v[118:119], v[118:119], -v[228:229]
	v_mov_b64_e32 v[10:11], v[232:233]
.LBB59_244:
	s_or_b64 exec, exec, s[2:3]
	v_cmp_eq_u32_e32 vcc, 27, v240
	s_waitcnt lgkmcnt(0)
	s_barrier
	s_and_saveexec_b64 s[4:5], vcc
	s_cbranch_execz .LBB59_251
; %bb.245:
	s_waitcnt vmcnt(8)
	ds_write2_b64 v241, v[4:5], v[6:7] offset1:1
	ds_write2_b64 v254, v[0:1], v[2:3] offset0:56 offset1:57
	s_waitcnt vmcnt(7)
	ds_write2_b64 v254, v[116:117], v[118:119] offset0:58 offset1:59
	ds_read2_b64 v[228:231], v241 offset1:1
	s_waitcnt lgkmcnt(0)
	v_cmp_neq_f64_e32 vcc, 0, v[228:229]
	v_cmp_neq_f64_e64 s[2:3], 0, v[230:231]
	s_or_b64 s[2:3], vcc, s[2:3]
	s_and_b64 exec, exec, s[2:3]
	s_cbranch_execz .LBB59_251
; %bb.246:
	v_cmp_ngt_f64_e64 s[2:3], |v[228:229]|, |v[230:231]|
                                        ; implicit-def: $vgpr232_vgpr233
	s_and_saveexec_b64 s[10:11], s[2:3]
	s_xor_b64 s[2:3], exec, s[10:11]
                                        ; implicit-def: $vgpr234_vgpr235
	s_cbranch_execz .LBB59_248
; %bb.247:
	v_div_scale_f64 v[232:233], s[10:11], v[230:231], v[230:231], v[228:229]
	v_rcp_f64_e32 v[234:235], v[232:233]
	v_div_scale_f64 v[236:237], vcc, v[228:229], v[230:231], v[228:229]
	v_fma_f64 v[238:239], -v[232:233], v[234:235], 1.0
	v_fmac_f64_e32 v[234:235], v[234:235], v[238:239]
	v_fma_f64 v[238:239], -v[232:233], v[234:235], 1.0
	v_fmac_f64_e32 v[234:235], v[234:235], v[238:239]
	v_mul_f64 v[238:239], v[236:237], v[234:235]
	v_fma_f64 v[232:233], -v[232:233], v[238:239], v[236:237]
	v_div_fmas_f64 v[232:233], v[232:233], v[234:235], v[238:239]
	v_div_fixup_f64 v[232:233], v[232:233], v[230:231], v[228:229]
	v_fmac_f64_e32 v[230:231], v[228:229], v[232:233]
	v_div_scale_f64 v[228:229], s[10:11], v[230:231], v[230:231], 1.0
	v_rcp_f64_e32 v[234:235], v[228:229]
	s_nop 0
	v_fma_f64 v[236:237], -v[228:229], v[234:235], 1.0
	v_fmac_f64_e32 v[234:235], v[234:235], v[236:237]
	v_fma_f64 v[236:237], -v[228:229], v[234:235], 1.0
	v_fmac_f64_e32 v[234:235], v[234:235], v[236:237]
	v_div_scale_f64 v[236:237], vcc, 1.0, v[230:231], 1.0
	v_mul_f64 v[238:239], v[236:237], v[234:235]
	v_fma_f64 v[228:229], -v[228:229], v[238:239], v[236:237]
	s_nop 1
	v_div_fmas_f64 v[228:229], v[228:229], v[234:235], v[238:239]
	v_div_fixup_f64 v[234:235], v[228:229], v[230:231], 1.0
	v_mul_f64 v[232:233], v[232:233], v[234:235]
	v_xor_b32_e32 v235, 0x80000000, v235
                                        ; implicit-def: $vgpr228_vgpr229
.LBB59_248:
	s_andn2_saveexec_b64 s[2:3], s[2:3]
	s_cbranch_execz .LBB59_250
; %bb.249:
	v_div_scale_f64 v[232:233], s[10:11], v[228:229], v[228:229], v[230:231]
	v_rcp_f64_e32 v[234:235], v[232:233]
	v_div_scale_f64 v[236:237], vcc, v[230:231], v[228:229], v[230:231]
	v_fma_f64 v[238:239], -v[232:233], v[234:235], 1.0
	v_fmac_f64_e32 v[234:235], v[234:235], v[238:239]
	v_fma_f64 v[238:239], -v[232:233], v[234:235], 1.0
	v_fmac_f64_e32 v[234:235], v[234:235], v[238:239]
	v_mul_f64 v[238:239], v[236:237], v[234:235]
	v_fma_f64 v[232:233], -v[232:233], v[238:239], v[236:237]
	v_div_fmas_f64 v[232:233], v[232:233], v[234:235], v[238:239]
	v_div_fixup_f64 v[234:235], v[232:233], v[228:229], v[230:231]
	v_fmac_f64_e32 v[228:229], v[230:231], v[234:235]
	v_div_scale_f64 v[230:231], s[10:11], v[228:229], v[228:229], 1.0
	v_rcp_f64_e32 v[232:233], v[230:231]
	s_nop 0
	v_fma_f64 v[236:237], -v[230:231], v[232:233], 1.0
	v_fmac_f64_e32 v[232:233], v[232:233], v[236:237]
	v_fma_f64 v[236:237], -v[230:231], v[232:233], 1.0
	v_fmac_f64_e32 v[232:233], v[232:233], v[236:237]
	v_div_scale_f64 v[236:237], vcc, 1.0, v[228:229], 1.0
	v_mul_f64 v[238:239], v[236:237], v[232:233]
	v_fma_f64 v[230:231], -v[230:231], v[238:239], v[236:237]
	s_nop 1
	v_div_fmas_f64 v[230:231], v[230:231], v[232:233], v[238:239]
	v_div_fixup_f64 v[232:233], v[230:231], v[228:229], 1.0
	v_mul_f64 v[234:235], v[234:235], -v[232:233]
.LBB59_250:
	s_or_b64 exec, exec, s[2:3]
	ds_write2_b64 v241, v[232:233], v[234:235] offset1:1
.LBB59_251:
	s_or_b64 exec, exec, s[4:5]
	s_waitcnt lgkmcnt(0)
	s_barrier
	ds_read2_b64 v[228:231], v241 offset1:1
	v_cmp_lt_u32_e32 vcc, 27, v240
	s_and_saveexec_b64 s[2:3], vcc
	s_cbranch_execz .LBB59_253
; %bb.252:
	ds_read2_b64 v[232:235], v254 offset0:56 offset1:57
	s_waitcnt vmcnt(8) lgkmcnt(1)
	v_mul_f64 v[236:237], v[228:229], v[6:7]
	v_fmac_f64_e32 v[236:237], v[230:231], v[4:5]
	v_mul_f64 v[6:7], v[230:231], v[6:7]
	v_fma_f64 v[4:5], v[228:229], v[4:5], -v[6:7]
	s_waitcnt lgkmcnt(0)
	v_mul_f64 v[6:7], v[234:235], v[236:237]
	v_fma_f64 v[6:7], v[232:233], v[4:5], -v[6:7]
	v_mul_f64 v[232:233], v[232:233], v[236:237]
	v_fmac_f64_e32 v[232:233], v[234:235], v[4:5]
	v_add_f64 v[2:3], v[2:3], -v[232:233]
	ds_read2_b64 v[232:235], v254 offset0:58 offset1:59
	v_add_f64 v[0:1], v[0:1], -v[6:7]
	s_waitcnt lgkmcnt(0)
	v_mul_f64 v[6:7], v[234:235], v[236:237]
	v_fma_f64 v[6:7], v[232:233], v[4:5], -v[6:7]
	v_mul_f64 v[232:233], v[232:233], v[236:237]
	v_fmac_f64_e32 v[232:233], v[234:235], v[4:5]
	s_waitcnt vmcnt(7)
	v_add_f64 v[116:117], v[116:117], -v[6:7]
	v_add_f64 v[118:119], v[118:119], -v[232:233]
	v_mov_b64_e32 v[6:7], v[236:237]
.LBB59_253:
	s_or_b64 exec, exec, s[2:3]
	v_cmp_eq_u32_e32 vcc, 28, v240
	s_waitcnt lgkmcnt(0)
	s_barrier
	s_and_saveexec_b64 s[4:5], vcc
	s_cbranch_execz .LBB59_260
; %bb.254:
	s_waitcnt vmcnt(34)
	ds_write2_b64 v241, v[0:1], v[2:3] offset1:1
	s_waitcnt vmcnt(7)
	ds_write2_b64 v254, v[116:117], v[118:119] offset0:58 offset1:59
	ds_read2_b64 v[232:235], v241 offset1:1
	s_waitcnt lgkmcnt(0)
	v_cmp_neq_f64_e32 vcc, 0, v[232:233]
	v_cmp_neq_f64_e64 s[2:3], 0, v[234:235]
	s_or_b64 s[2:3], vcc, s[2:3]
	s_and_b64 exec, exec, s[2:3]
	s_cbranch_execz .LBB59_260
; %bb.255:
	v_cmp_ngt_f64_e64 s[2:3], |v[232:233]|, |v[234:235]|
                                        ; implicit-def: $vgpr236_vgpr237
	s_and_saveexec_b64 s[10:11], s[2:3]
	s_xor_b64 s[2:3], exec, s[10:11]
                                        ; implicit-def: $vgpr238_vgpr239
	s_cbranch_execz .LBB59_257
; %bb.256:
	v_div_scale_f64 v[236:237], s[10:11], v[234:235], v[234:235], v[232:233]
	v_rcp_f64_e32 v[238:239], v[236:237]
	v_mov_b64_e32 v[120:121], v[244:245]
	v_div_scale_f64 v[242:243], vcc, v[232:233], v[234:235], v[232:233]
	v_fma_f64 v[244:245], -v[236:237], v[238:239], 1.0
	v_fmac_f64_e32 v[238:239], v[238:239], v[244:245]
	v_fma_f64 v[244:245], -v[236:237], v[238:239], 1.0
	v_fmac_f64_e32 v[238:239], v[238:239], v[244:245]
	v_mul_f64 v[244:245], v[242:243], v[238:239]
	v_fma_f64 v[236:237], -v[236:237], v[244:245], v[242:243]
	v_div_fmas_f64 v[236:237], v[236:237], v[238:239], v[244:245]
	v_div_fixup_f64 v[236:237], v[236:237], v[234:235], v[232:233]
	v_fmac_f64_e32 v[234:235], v[232:233], v[236:237]
	v_div_scale_f64 v[232:233], s[10:11], v[234:235], v[234:235], 1.0
	v_rcp_f64_e32 v[238:239], v[232:233]
	s_nop 0
	v_fma_f64 v[242:243], -v[232:233], v[238:239], 1.0
	v_fmac_f64_e32 v[238:239], v[238:239], v[242:243]
	v_fma_f64 v[242:243], -v[232:233], v[238:239], 1.0
	v_fmac_f64_e32 v[238:239], v[238:239], v[242:243]
	v_div_scale_f64 v[242:243], vcc, 1.0, v[234:235], 1.0
	v_mul_f64 v[244:245], v[242:243], v[238:239]
	v_fma_f64 v[232:233], -v[232:233], v[244:245], v[242:243]
	s_nop 1
	v_div_fmas_f64 v[232:233], v[232:233], v[238:239], v[244:245]
	v_div_fixup_f64 v[238:239], v[232:233], v[234:235], 1.0
	v_mov_b64_e32 v[244:245], v[120:121]
	v_mul_f64 v[236:237], v[236:237], v[238:239]
	v_xor_b32_e32 v239, 0x80000000, v239
                                        ; implicit-def: $vgpr232_vgpr233
.LBB59_257:
	s_andn2_saveexec_b64 s[2:3], s[2:3]
	s_cbranch_execz .LBB59_259
; %bb.258:
	v_div_scale_f64 v[236:237], s[10:11], v[232:233], v[232:233], v[234:235]
	v_rcp_f64_e32 v[238:239], v[236:237]
	v_mov_b64_e32 v[120:121], v[244:245]
	v_div_scale_f64 v[242:243], vcc, v[234:235], v[232:233], v[234:235]
	v_fma_f64 v[244:245], -v[236:237], v[238:239], 1.0
	v_fmac_f64_e32 v[238:239], v[238:239], v[244:245]
	v_fma_f64 v[244:245], -v[236:237], v[238:239], 1.0
	v_fmac_f64_e32 v[238:239], v[238:239], v[244:245]
	v_mul_f64 v[244:245], v[242:243], v[238:239]
	v_fma_f64 v[236:237], -v[236:237], v[244:245], v[242:243]
	v_div_fmas_f64 v[236:237], v[236:237], v[238:239], v[244:245]
	v_div_fixup_f64 v[238:239], v[236:237], v[232:233], v[234:235]
	v_fmac_f64_e32 v[232:233], v[234:235], v[238:239]
	v_div_scale_f64 v[234:235], s[10:11], v[232:233], v[232:233], 1.0
	v_rcp_f64_e32 v[236:237], v[234:235]
	s_nop 0
	v_fma_f64 v[242:243], -v[234:235], v[236:237], 1.0
	v_fmac_f64_e32 v[236:237], v[236:237], v[242:243]
	v_fma_f64 v[242:243], -v[234:235], v[236:237], 1.0
	v_fmac_f64_e32 v[236:237], v[236:237], v[242:243]
	v_div_scale_f64 v[242:243], vcc, 1.0, v[232:233], 1.0
	v_mul_f64 v[244:245], v[242:243], v[236:237]
	v_fma_f64 v[234:235], -v[234:235], v[244:245], v[242:243]
	s_nop 1
	v_div_fmas_f64 v[234:235], v[234:235], v[236:237], v[244:245]
	v_div_fixup_f64 v[236:237], v[234:235], v[232:233], 1.0
	v_mov_b64_e32 v[244:245], v[120:121]
	v_mul_f64 v[238:239], v[238:239], -v[236:237]
.LBB59_259:
	s_or_b64 exec, exec, s[2:3]
	ds_write2_b64 v241, v[236:237], v[238:239] offset1:1
.LBB59_260:
	s_or_b64 exec, exec, s[4:5]
	s_waitcnt lgkmcnt(0)
	s_barrier
	ds_read2_b64 v[232:235], v241 offset1:1
	v_cmp_lt_u32_e32 vcc, 28, v240
	s_and_saveexec_b64 s[2:3], vcc
	s_cbranch_execz .LBB59_262
; %bb.261:
	ds_read2_b64 v[236:239], v254 offset0:58 offset1:59
	s_waitcnt vmcnt(34) lgkmcnt(1)
	v_mul_f64 v[242:243], v[232:233], v[2:3]
	v_mul_f64 v[2:3], v[234:235], v[2:3]
	v_fmac_f64_e32 v[242:243], v[234:235], v[0:1]
	v_fma_f64 v[0:1], v[232:233], v[0:1], -v[2:3]
	s_waitcnt lgkmcnt(0)
	v_mul_f64 v[2:3], v[238:239], v[242:243]
	v_fma_f64 v[2:3], v[236:237], v[0:1], -v[2:3]
	v_mul_f64 v[236:237], v[236:237], v[242:243]
	v_fmac_f64_e32 v[236:237], v[238:239], v[0:1]
	s_waitcnt vmcnt(7)
	v_add_f64 v[116:117], v[116:117], -v[2:3]
	v_add_f64 v[118:119], v[118:119], -v[236:237]
	v_mov_b64_e32 v[2:3], v[242:243]
.LBB59_262:
	s_or_b64 exec, exec, s[2:3]
	v_cmp_eq_u32_e32 vcc, 29, v240
	s_waitcnt lgkmcnt(0)
	s_barrier
	s_and_saveexec_b64 s[4:5], vcc
	s_cbranch_execz .LBB59_269
; %bb.263:
	s_waitcnt vmcnt(7)
	v_cmp_neq_f64_e32 vcc, 0, v[116:117]
	v_cmp_neq_f64_e64 s[2:3], 0, v[118:119]
	s_or_b64 s[2:3], vcc, s[2:3]
	ds_write2_b64 v241, v[116:117], v[118:119] offset1:1
	s_and_b64 exec, exec, s[2:3]
	s_cbranch_execz .LBB59_269
; %bb.264:
	v_cmp_ngt_f64_e64 s[2:3], |v[116:117]|, |v[118:119]|
                                        ; implicit-def: $vgpr236_vgpr237
	s_and_saveexec_b64 s[10:11], s[2:3]
	s_xor_b64 s[2:3], exec, s[10:11]
                                        ; implicit-def: $vgpr238_vgpr239
	s_cbranch_execz .LBB59_266
; %bb.265:
	v_mov_b64_e32 v[112:113], v[212:213]
	v_mov_b64_e32 v[114:115], v[214:215]
	;; [unrolled: 1-line block ×88, first 2 shown]
	v_div_scale_f64 v[236:237], s[10:11], v[118:119], v[118:119], v[116:117]
	v_mov_b64_e32 v[216:217], v[92:93]
	v_mov_b64_e32 v[92:93], v[96:97]
	v_rcp_f64_e32 v[238:239], v[236:237]
	v_mov_b64_e32 v[94:95], v[98:99]
	v_mov_b64_e32 v[96:97], v[100:101]
	;; [unrolled: 1-line block ×7, first 2 shown]
	v_fma_f64 v[244:245], -v[236:237], v[238:239], 1.0
	v_mov_b64_e32 v[96:97], v[92:93]
	v_mov_b64_e32 v[92:93], v[216:217]
	v_fmac_f64_e32 v[238:239], v[238:239], v[244:245]
	v_mov_b64_e32 v[94:95], v[218:219]
	v_mov_b64_e32 v[218:219], v[90:91]
	v_fma_f64 v[244:245], -v[236:237], v[238:239], 1.0
	v_mov_b64_e32 v[216:217], v[88:89]
	v_mov_b64_e32 v[90:91], v[86:87]
	v_div_scale_f64 v[242:243], vcc, v[116:117], v[118:119], v[116:117]
	v_fmac_f64_e32 v[238:239], v[238:239], v[244:245]
	v_mov_b64_e32 v[88:89], v[84:85]
	v_mov_b64_e32 v[86:87], v[82:83]
	v_mul_f64 v[244:245], v[242:243], v[238:239]
	v_mov_b64_e32 v[84:85], v[80:81]
	v_mov_b64_e32 v[82:83], v[78:79]
	v_fma_f64 v[236:237], -v[236:237], v[244:245], v[242:243]
	v_mov_b64_e32 v[80:81], v[76:77]
	v_mov_b64_e32 v[78:79], v[74:75]
	v_div_fmas_f64 v[236:237], v[236:237], v[238:239], v[244:245]
	v_mov_b64_e32 v[76:77], v[72:73]
	v_mov_b64_e32 v[74:75], v[70:71]
	v_div_fixup_f64 v[236:237], v[236:237], v[118:119], v[116:117]
	v_mov_b64_e32 v[72:73], v[68:69]
	v_mov_b64_e32 v[70:71], v[66:67]
	v_fma_f64 v[238:239], v[116:117], v[236:237], v[118:119]
	v_mov_b64_e32 v[68:69], v[64:65]
	v_mov_b64_e32 v[66:67], v[62:63]
	v_div_scale_f64 v[242:243], s[10:11], v[238:239], v[238:239], 1.0
	v_mov_b64_e32 v[64:65], v[60:61]
	v_mov_b64_e32 v[62:63], v[58:59]
	v_rcp_f64_e32 v[244:245], v[242:243]
	v_mov_b64_e32 v[60:61], v[56:57]
	v_mov_b64_e32 v[56:57], v[220:221]
	;; [unrolled: 1-line block ×8, first 2 shown]
	v_fma_f64 v[254:255], -v[242:243], v[244:245], 1.0
	v_mov_b64_e32 v[48:49], v[44:45]
	v_mov_b64_e32 v[46:47], v[42:43]
	v_fmac_f64_e32 v[244:245], v[244:245], v[254:255]
	v_mov_b64_e32 v[44:45], v[40:41]
	v_mov_b64_e32 v[42:43], v[38:39]
	v_fma_f64 v[254:255], -v[242:243], v[244:245], 1.0
	v_mov_b64_e32 v[40:41], v[36:37]
	v_mov_b64_e32 v[38:39], v[34:35]
	v_fmac_f64_e32 v[244:245], v[244:245], v[254:255]
	v_div_scale_f64 v[254:255], vcc, 1.0, v[238:239], 1.0
	v_mov_b64_e32 v[36:37], v[32:33]
	v_mov_b64_e32 v[34:35], v[30:31]
	v_mul_f64 v[248:249], v[254:255], v[244:245]
	v_mov_b64_e32 v[32:33], v[28:29]
	v_mov_b64_e32 v[30:31], v[26:27]
	v_fma_f64 v[242:243], -v[242:243], v[248:249], v[254:255]
	v_mov_b64_e32 v[28:29], v[24:25]
	v_mov_b64_e32 v[24:25], v[250:251]
	v_div_fmas_f64 v[242:243], v[242:243], v[244:245], v[248:249]
	v_mov_b64_e32 v[26:27], v[252:253]
	v_mov_b64_e32 v[250:251], v[126:127]
	;; [unrolled: 1-line block ×48, first 2 shown]
	v_div_fixup_f64 v[238:239], v[242:243], v[238:239], 1.0
	v_mov_b64_e32 v[244:245], v[122:123]
	v_mov_b64_e32 v[252:253], v[120:121]
	;; [unrolled: 1-line block ×3, first 2 shown]
	v_mul_f64 v[236:237], v[236:237], v[238:239]
	v_xor_b32_e32 v239, 0x80000000, v239
.LBB59_266:
	s_andn2_saveexec_b64 s[2:3], s[2:3]
	s_cbranch_execz .LBB59_268
; %bb.267:
	v_mov_b64_e32 v[112:113], v[212:213]
	v_mov_b64_e32 v[114:115], v[214:215]
	;; [unrolled: 1-line block ×90, first 2 shown]
	v_div_scale_f64 v[236:237], s[10:11], v[116:117], v[116:117], v[118:119]
	v_mov_b64_e32 v[94:95], v[98:99]
	v_mov_b64_e32 v[96:97], v[100:101]
	v_rcp_f64_e32 v[238:239], v[236:237]
	v_mov_b64_e32 v[98:99], v[102:103]
	v_mov_b64_e32 v[102:103], v[98:99]
	;; [unrolled: 1-line block ×7, first 2 shown]
	v_fma_f64 v[244:245], -v[236:237], v[238:239], 1.0
	v_mov_b64_e32 v[94:95], v[218:219]
	v_mov_b64_e32 v[218:219], v[90:91]
	v_fmac_f64_e32 v[238:239], v[238:239], v[244:245]
	v_mov_b64_e32 v[216:217], v[88:89]
	v_mov_b64_e32 v[90:91], v[86:87]
	v_fma_f64 v[244:245], -v[236:237], v[238:239], 1.0
	v_mov_b64_e32 v[88:89], v[84:85]
	v_mov_b64_e32 v[86:87], v[82:83]
	v_div_scale_f64 v[242:243], vcc, v[118:119], v[116:117], v[118:119]
	v_fmac_f64_e32 v[238:239], v[238:239], v[244:245]
	v_mov_b64_e32 v[84:85], v[80:81]
	v_mov_b64_e32 v[82:83], v[78:79]
	v_mul_f64 v[244:245], v[242:243], v[238:239]
	v_mov_b64_e32 v[80:81], v[76:77]
	v_mov_b64_e32 v[78:79], v[74:75]
	v_fma_f64 v[236:237], -v[236:237], v[244:245], v[242:243]
	v_mov_b64_e32 v[76:77], v[72:73]
	v_mov_b64_e32 v[74:75], v[70:71]
	v_div_fmas_f64 v[236:237], v[236:237], v[238:239], v[244:245]
	v_mov_b64_e32 v[72:73], v[68:69]
	v_mov_b64_e32 v[70:71], v[66:67]
	v_div_fixup_f64 v[238:239], v[236:237], v[116:117], v[118:119]
	v_mov_b64_e32 v[68:69], v[64:65]
	v_mov_b64_e32 v[66:67], v[62:63]
	v_fma_f64 v[236:237], v[118:119], v[238:239], v[116:117]
	v_mov_b64_e32 v[64:65], v[60:61]
	v_mov_b64_e32 v[62:63], v[58:59]
	v_div_scale_f64 v[242:243], s[10:11], v[236:237], v[236:237], 1.0
	v_mov_b64_e32 v[60:61], v[56:57]
	v_mov_b64_e32 v[56:57], v[220:221]
	v_rcp_f64_e32 v[244:245], v[242:243]
	v_mov_b64_e32 v[58:59], v[222:223]
	v_mov_b64_e32 v[222:223], v[54:55]
	;; [unrolled: 1-line block ×8, first 2 shown]
	v_fma_f64 v[248:249], -v[242:243], v[244:245], 1.0
	v_mov_b64_e32 v[44:45], v[40:41]
	v_mov_b64_e32 v[42:43], v[38:39]
	v_fmac_f64_e32 v[244:245], v[244:245], v[248:249]
	v_mov_b64_e32 v[40:41], v[36:37]
	v_mov_b64_e32 v[38:39], v[34:35]
	v_fma_f64 v[248:249], -v[242:243], v[244:245], 1.0
	v_mov_b64_e32 v[36:37], v[32:33]
	v_mov_b64_e32 v[34:35], v[30:31]
	v_fmac_f64_e32 v[244:245], v[244:245], v[248:249]
	v_div_scale_f64 v[248:249], vcc, 1.0, v[236:237], 1.0
	v_mov_b64_e32 v[32:33], v[28:29]
	v_mov_b64_e32 v[30:31], v[26:27]
	v_mul_f64 v[254:255], v[248:249], v[244:245]
	v_mov_b64_e32 v[28:29], v[24:25]
	v_mov_b64_e32 v[24:25], v[250:251]
	v_fma_f64 v[242:243], -v[242:243], v[254:255], v[248:249]
	v_mov_b64_e32 v[26:27], v[252:253]
	v_mov_b64_e32 v[250:251], v[126:127]
	;; [unrolled: 1-line block ×44, first 2 shown]
	v_div_fmas_f64 v[242:243], v[242:243], v[244:245], v[254:255]
	v_mov_b64_e32 v[206:207], v[210:211]
	v_mov_b64_e32 v[208:209], v[212:213]
	;; [unrolled: 1-line block ×4, first 2 shown]
	v_div_fixup_f64 v[236:237], v[242:243], v[236:237], 1.0
	v_mov_b64_e32 v[252:253], v[120:121]
	v_mov_b64_e32 v[244:245], v[122:123]
	;; [unrolled: 1-line block ×3, first 2 shown]
	v_mul_f64 v[238:239], v[238:239], -v[236:237]
.LBB59_268:
	s_or_b64 exec, exec, s[2:3]
	ds_write2_b64 v241, v[236:237], v[238:239] offset1:1
.LBB59_269:
	s_or_b64 exec, exec, s[4:5]
	s_waitcnt lgkmcnt(0)
	s_barrier
	ds_read2_b64 v[236:239], v241 offset1:1
	s_waitcnt lgkmcnt(0)
	s_barrier
	s_and_saveexec_b64 s[2:3], s[0:1]
	s_cbranch_execz .LBB59_272
; %bb.270:
	scratch_load_dwordx2 v[112:113], off, off offset:240 ; 8-byte Folded Reload
	v_cmp_eq_f64_e32 vcc, 0, v[248:249]
	v_cmp_eq_f64_e64 s[0:1], 0, v[250:251]
	s_and_b64 s[4:5], vcc, s[0:1]
	v_cmp_neq_f64_e32 vcc, 0, v[124:125]
	v_cmp_neq_f64_e64 s[0:1], 0, v[126:127]
	s_or_b64 s[0:1], vcc, s[0:1]
	v_cndmask_b32_e64 v120, 0, 1, s[4:5]
	s_or_b64 vcc, s[0:1], s[4:5]
	v_cndmask_b32_e32 v120, 2, v120, vcc
	v_cmp_eq_f64_e32 vcc, 0, v[128:129]
	v_cmp_eq_f64_e64 s[0:1], 0, v[130:131]
	s_and_b64 s[0:1], vcc, s[0:1]
	v_cmp_eq_u32_e32 vcc, 0, v120
	s_and_b64 s[0:1], s[0:1], vcc
	v_cndmask_b32_e64 v120, v120, 3, s[0:1]
	v_cmp_eq_f64_e32 vcc, 0, v[132:133]
	v_cmp_eq_f64_e64 s[0:1], 0, v[134:135]
	s_and_b64 s[0:1], vcc, s[0:1]
	v_cmp_eq_u32_e32 vcc, 0, v120
	s_and_b64 s[0:1], s[0:1], vcc
	v_cndmask_b32_e64 v120, v120, 4, s[0:1]
	;; [unrolled: 6-line block ×14, first 2 shown]
	v_mov_b32_e32 v120, s6
	v_mov_b32_e32 v121, s7
	s_waitcnt vmcnt(0)
	v_lshl_add_u64 v[120:121], v[112:113], 2, v[120:121]
	global_load_dword v123, v[120:121], off
	v_cmp_eq_f64_e32 vcc, 0, v[184:185]
	v_cmp_eq_f64_e64 s[0:1], 0, v[186:187]
	s_and_b64 s[0:1], vcc, s[0:1]
	v_cmp_eq_u32_e32 vcc, 0, v122
	s_and_b64 s[0:1], s[0:1], vcc
	v_cndmask_b32_e64 v122, v122, 17, s[0:1]
	v_cmp_eq_f64_e32 vcc, 0, v[188:189]
	v_cmp_eq_f64_e64 s[0:1], 0, v[190:191]
	s_and_b64 s[0:1], vcc, s[0:1]
	v_cmp_eq_u32_e32 vcc, 0, v122
	s_and_b64 s[0:1], s[0:1], vcc
	v_cndmask_b32_e64 v122, v122, 18, s[0:1]
	;; [unrolled: 6-line block ×14, first 2 shown]
	s_waitcnt vmcnt(0)
	v_cmp_eq_u32_e32 vcc, 0, v123
	v_cmp_ne_u32_e64 s[0:1], 0, v122
	s_and_b64 s[0:1], vcc, s[0:1]
	s_and_b64 exec, exec, s[0:1]
	s_cbranch_execz .LBB59_272
; %bb.271:
	v_add_u32_e32 v122, s9, v122
	global_store_dword v[120:121], v122, off
.LBB59_272:
	s_or_b64 exec, exec, s[2:3]
	scratch_load_dwordx4 v[112:115], off, off ; 16-byte Folded Reload
	s_waitcnt vmcnt(8)
	v_mul_f64 v[120:121], v[238:239], v[118:119]
	v_mul_f64 v[122:123], v[236:237], v[118:119]
	v_fma_f64 v[120:121], v[236:237], v[116:117], -v[120:121]
	v_fmac_f64_e32 v[122:123], v[238:239], v[116:117]
	v_cmp_lt_u32_e32 vcc, 29, v240
	s_waitcnt vmcnt(0)
	global_store_dwordx4 v[252:253], v[112:115], off
	scratch_load_dwordx2 v[112:113], off, off offset:216 ; 8-byte Folded Reload
	v_cndmask_b32_e32 v119, v119, v123, vcc
	v_cndmask_b32_e32 v118, v118, v122, vcc
	;; [unrolled: 1-line block ×4, first 2 shown]
	s_waitcnt vmcnt(0)
	global_store_dwordx4 v[112:113], v[108:111], off
	scratch_load_dwordx2 v[108:109], off, off offset:232 ; 8-byte Folded Reload
	s_waitcnt vmcnt(0)
	global_store_dwordx4 v[108:109], v[104:107], off
	scratch_load_dwordx2 v[104:105], off, off offset:224 ; 8-byte Folded Reload
	s_waitcnt vmcnt(0)
	global_store_dwordx4 v[104:105], v[100:103], off
	global_store_dwordx4 v[244:245], v[96:99], off
	scratch_load_dwordx2 v[96:97], off, off offset:16 ; 8-byte Folded Reload
	s_waitcnt vmcnt(0)
	global_store_dwordx4 v[96:97], v[92:95], off
	scratch_load_dwordx2 v[92:93], off, off offset:24 ; 8-byte Folded Reload
	s_waitcnt vmcnt(0)
	global_store_dwordx4 v[92:93], v[88:91], off
	scratch_load_dwordx2 v[88:89], off, off offset:32 ; 8-byte Folded Reload
	s_waitcnt vmcnt(0)
	global_store_dwordx4 v[88:89], v[84:87], off
	scratch_load_dwordx2 v[84:85], off, off offset:40 ; 8-byte Folded Reload
	s_waitcnt vmcnt(0)
	global_store_dwordx4 v[84:85], v[80:83], off
	scratch_load_dwordx2 v[80:81], off, off offset:48 ; 8-byte Folded Reload
	s_waitcnt vmcnt(0)
	global_store_dwordx4 v[80:81], v[76:79], off
	scratch_load_dwordx2 v[76:77], off, off offset:56 ; 8-byte Folded Reload
	s_waitcnt vmcnt(0)
	global_store_dwordx4 v[76:77], v[72:75], off
	scratch_load_dwordx2 v[72:73], off, off offset:64 ; 8-byte Folded Reload
	s_waitcnt vmcnt(0)
	global_store_dwordx4 v[72:73], v[68:71], off
	scratch_load_dwordx2 v[68:69], off, off offset:72 ; 8-byte Folded Reload
	s_waitcnt vmcnt(0)
	global_store_dwordx4 v[68:69], v[64:67], off
	scratch_load_dwordx2 v[64:65], off, off offset:80 ; 8-byte Folded Reload
	s_waitcnt vmcnt(0)
	global_store_dwordx4 v[64:65], v[60:63], off
	scratch_load_dwordx2 v[60:61], off, off offset:88 ; 8-byte Folded Reload
	s_waitcnt vmcnt(0)
	global_store_dwordx4 v[60:61], v[56:59], off
	scratch_load_dwordx2 v[56:57], off, off offset:96 ; 8-byte Folded Reload
	s_waitcnt vmcnt(0)
	global_store_dwordx4 v[56:57], v[52:55], off
	scratch_load_dwordx2 v[52:53], off, off offset:104 ; 8-byte Folded Reload
	s_waitcnt vmcnt(0)
	global_store_dwordx4 v[52:53], v[48:51], off
	scratch_load_dwordx2 v[48:49], off, off offset:112 ; 8-byte Folded Reload
	s_waitcnt vmcnt(0)
	global_store_dwordx4 v[48:49], v[44:47], off
	scratch_load_dwordx2 v[44:45], off, off offset:120 ; 8-byte Folded Reload
	s_waitcnt vmcnt(0)
	global_store_dwordx4 v[44:45], v[40:43], off
	scratch_load_dwordx2 v[40:41], off, off offset:128 ; 8-byte Folded Reload
	s_waitcnt vmcnt(0)
	global_store_dwordx4 v[40:41], v[36:39], off
	scratch_load_dwordx2 v[36:37], off, off offset:136 ; 8-byte Folded Reload
	s_waitcnt vmcnt(0)
	global_store_dwordx4 v[36:37], v[32:35], off
	scratch_load_dwordx2 v[32:33], off, off offset:144 ; 8-byte Folded Reload
	s_waitcnt vmcnt(0)
	global_store_dwordx4 v[32:33], v[28:31], off
	scratch_load_dwordx2 v[28:29], off, off offset:152 ; 8-byte Folded Reload
	s_waitcnt vmcnt(0)
	global_store_dwordx4 v[28:29], v[24:27], off
	scratch_load_dwordx2 v[24:25], off, off offset:160 ; 8-byte Folded Reload
	s_waitcnt vmcnt(0)
	global_store_dwordx4 v[24:25], v[20:23], off
	scratch_load_dwordx2 v[20:21], off, off offset:168 ; 8-byte Folded Reload
	s_waitcnt vmcnt(0)
	global_store_dwordx4 v[20:21], v[16:19], off
	scratch_load_dwordx2 v[16:17], off, off offset:176 ; 8-byte Folded Reload
	s_waitcnt vmcnt(0)
	global_store_dwordx4 v[16:17], v[12:15], off
	scratch_load_dwordx2 v[12:13], off, off offset:184 ; 8-byte Folded Reload
	s_waitcnt vmcnt(0)
	global_store_dwordx4 v[12:13], v[8:11], off
	scratch_load_dwordx2 v[8:9], off, off offset:192 ; 8-byte Folded Reload
	s_waitcnt vmcnt(0)
	global_store_dwordx4 v[8:9], v[4:7], off
	scratch_load_dwordx2 v[4:5], off, off offset:200 ; 8-byte Folded Reload
	s_waitcnt vmcnt(0)
	global_store_dwordx4 v[4:5], v[0:3], off
	scratch_load_dwordx2 v[0:1], off, off offset:208 ; 8-byte Folded Reload
	s_waitcnt vmcnt(0)
	global_store_dwordx4 v[0:1], v[116:119], off
.LBB59_273:
	s_endpgm
	.section	.rodata,"a",@progbits
	.p2align	6, 0x0
	.amdhsa_kernel _ZN9rocsolver6v33100L23getf2_npvt_small_kernelILi30E19rocblas_complex_numIdEiiPS3_EEvT1_T3_lS5_lPT2_S5_S5_
		.amdhsa_group_segment_fixed_size 0
		.amdhsa_private_segment_fixed_size 252
		.amdhsa_kernarg_size 312
		.amdhsa_user_sgpr_count 2
		.amdhsa_user_sgpr_dispatch_ptr 0
		.amdhsa_user_sgpr_queue_ptr 0
		.amdhsa_user_sgpr_kernarg_segment_ptr 1
		.amdhsa_user_sgpr_dispatch_id 0
		.amdhsa_user_sgpr_kernarg_preload_length 0
		.amdhsa_user_sgpr_kernarg_preload_offset 0
		.amdhsa_user_sgpr_private_segment_size 0
		.amdhsa_uses_dynamic_stack 0
		.amdhsa_enable_private_segment 1
		.amdhsa_system_sgpr_workgroup_id_x 1
		.amdhsa_system_sgpr_workgroup_id_y 1
		.amdhsa_system_sgpr_workgroup_id_z 0
		.amdhsa_system_sgpr_workgroup_info 0
		.amdhsa_system_vgpr_workitem_id 1
		.amdhsa_next_free_vgpr 256
		.amdhsa_next_free_sgpr 16
		.amdhsa_accum_offset 256
		.amdhsa_reserve_vcc 1
		.amdhsa_float_round_mode_32 0
		.amdhsa_float_round_mode_16_64 0
		.amdhsa_float_denorm_mode_32 3
		.amdhsa_float_denorm_mode_16_64 3
		.amdhsa_dx10_clamp 1
		.amdhsa_ieee_mode 1
		.amdhsa_fp16_overflow 0
		.amdhsa_tg_split 0
		.amdhsa_exception_fp_ieee_invalid_op 0
		.amdhsa_exception_fp_denorm_src 0
		.amdhsa_exception_fp_ieee_div_zero 0
		.amdhsa_exception_fp_ieee_overflow 0
		.amdhsa_exception_fp_ieee_underflow 0
		.amdhsa_exception_fp_ieee_inexact 0
		.amdhsa_exception_int_div_zero 0
	.end_amdhsa_kernel
	.section	.text._ZN9rocsolver6v33100L23getf2_npvt_small_kernelILi30E19rocblas_complex_numIdEiiPS3_EEvT1_T3_lS5_lPT2_S5_S5_,"axG",@progbits,_ZN9rocsolver6v33100L23getf2_npvt_small_kernelILi30E19rocblas_complex_numIdEiiPS3_EEvT1_T3_lS5_lPT2_S5_S5_,comdat
.Lfunc_end59:
	.size	_ZN9rocsolver6v33100L23getf2_npvt_small_kernelILi30E19rocblas_complex_numIdEiiPS3_EEvT1_T3_lS5_lPT2_S5_S5_, .Lfunc_end59-_ZN9rocsolver6v33100L23getf2_npvt_small_kernelILi30E19rocblas_complex_numIdEiiPS3_EEvT1_T3_lS5_lPT2_S5_S5_
                                        ; -- End function
	.set _ZN9rocsolver6v33100L23getf2_npvt_small_kernelILi30E19rocblas_complex_numIdEiiPS3_EEvT1_T3_lS5_lPT2_S5_S5_.num_vgpr, 256
	.set _ZN9rocsolver6v33100L23getf2_npvt_small_kernelILi30E19rocblas_complex_numIdEiiPS3_EEvT1_T3_lS5_lPT2_S5_S5_.num_agpr, 0
	.set _ZN9rocsolver6v33100L23getf2_npvt_small_kernelILi30E19rocblas_complex_numIdEiiPS3_EEvT1_T3_lS5_lPT2_S5_S5_.numbered_sgpr, 16
	.set _ZN9rocsolver6v33100L23getf2_npvt_small_kernelILi30E19rocblas_complex_numIdEiiPS3_EEvT1_T3_lS5_lPT2_S5_S5_.num_named_barrier, 0
	.set _ZN9rocsolver6v33100L23getf2_npvt_small_kernelILi30E19rocblas_complex_numIdEiiPS3_EEvT1_T3_lS5_lPT2_S5_S5_.private_seg_size, 252
	.set _ZN9rocsolver6v33100L23getf2_npvt_small_kernelILi30E19rocblas_complex_numIdEiiPS3_EEvT1_T3_lS5_lPT2_S5_S5_.uses_vcc, 1
	.set _ZN9rocsolver6v33100L23getf2_npvt_small_kernelILi30E19rocblas_complex_numIdEiiPS3_EEvT1_T3_lS5_lPT2_S5_S5_.uses_flat_scratch, 0
	.set _ZN9rocsolver6v33100L23getf2_npvt_small_kernelILi30E19rocblas_complex_numIdEiiPS3_EEvT1_T3_lS5_lPT2_S5_S5_.has_dyn_sized_stack, 0
	.set _ZN9rocsolver6v33100L23getf2_npvt_small_kernelILi30E19rocblas_complex_numIdEiiPS3_EEvT1_T3_lS5_lPT2_S5_S5_.has_recursion, 0
	.set _ZN9rocsolver6v33100L23getf2_npvt_small_kernelILi30E19rocblas_complex_numIdEiiPS3_EEvT1_T3_lS5_lPT2_S5_S5_.has_indirect_call, 0
	.section	.AMDGPU.csdata,"",@progbits
; Kernel info:
; codeLenInByte = 50972
; TotalNumSgprs: 22
; NumVgprs: 256
; NumAgprs: 0
; TotalNumVgprs: 256
; ScratchSize: 252
; MemoryBound: 1
; FloatMode: 240
; IeeeMode: 1
; LDSByteSize: 0 bytes/workgroup (compile time only)
; SGPRBlocks: 2
; VGPRBlocks: 31
; NumSGPRsForWavesPerEU: 22
; NumVGPRsForWavesPerEU: 256
; AccumOffset: 256
; Occupancy: 2
; WaveLimiterHint : 0
; COMPUTE_PGM_RSRC2:SCRATCH_EN: 1
; COMPUTE_PGM_RSRC2:USER_SGPR: 2
; COMPUTE_PGM_RSRC2:TRAP_HANDLER: 0
; COMPUTE_PGM_RSRC2:TGID_X_EN: 1
; COMPUTE_PGM_RSRC2:TGID_Y_EN: 1
; COMPUTE_PGM_RSRC2:TGID_Z_EN: 0
; COMPUTE_PGM_RSRC2:TIDIG_COMP_CNT: 1
; COMPUTE_PGM_RSRC3_GFX90A:ACCUM_OFFSET: 63
; COMPUTE_PGM_RSRC3_GFX90A:TG_SPLIT: 0
	.section	.text._ZN9rocsolver6v33100L18getf2_small_kernelILi31E19rocblas_complex_numIdEiiPS3_EEvT1_T3_lS5_lPS5_llPT2_S5_S5_S7_l,"axG",@progbits,_ZN9rocsolver6v33100L18getf2_small_kernelILi31E19rocblas_complex_numIdEiiPS3_EEvT1_T3_lS5_lPS5_llPT2_S5_S5_S7_l,comdat
	.globl	_ZN9rocsolver6v33100L18getf2_small_kernelILi31E19rocblas_complex_numIdEiiPS3_EEvT1_T3_lS5_lPS5_llPT2_S5_S5_S7_l ; -- Begin function _ZN9rocsolver6v33100L18getf2_small_kernelILi31E19rocblas_complex_numIdEiiPS3_EEvT1_T3_lS5_lPS5_llPT2_S5_S5_S7_l
	.p2align	8
	.type	_ZN9rocsolver6v33100L18getf2_small_kernelILi31E19rocblas_complex_numIdEiiPS3_EEvT1_T3_lS5_lPS5_llPT2_S5_S5_S7_l,@function
_ZN9rocsolver6v33100L18getf2_small_kernelILi31E19rocblas_complex_numIdEiiPS3_EEvT1_T3_lS5_lPS5_llPT2_S5_S5_S7_l: ; @_ZN9rocsolver6v33100L18getf2_small_kernelILi31E19rocblas_complex_numIdEiiPS3_EEvT1_T3_lS5_lPS5_llPT2_S5_S5_S7_l
; %bb.0:
	s_load_dword s2, s[0:1], 0x6c
	s_load_dwordx2 s[12:13], s[0:1], 0x48
	v_bfe_u32 v124, v0, 10, 10
	s_waitcnt lgkmcnt(0)
	s_lshr_b32 s2, s2, 16
	s_mul_i32 s3, s3, s2
	v_add_u32_e32 v130, s3, v124
	v_cmp_gt_i32_e32 vcc, s12, v130
	s_and_saveexec_b64 s[2:3], vcc
	s_cbranch_execz .LBB60_652
; %bb.1:
	s_load_dwordx4 s[4:7], s[0:1], 0x50
	v_ashrrev_i32_e32 v131, 31, v130
	v_mov_b64_e32 v[132:133], 0
	s_waitcnt lgkmcnt(0)
	s_cmp_eq_u64 s[4:5], 0
	s_cselect_b64 s[14:15], -1, 0
	s_and_b64 vcc, exec, s[14:15]
	s_cbranch_vccnz .LBB60_3
; %bb.2:
	v_mul_lo_u32 v1, s7, v130
	v_mul_lo_u32 v4, s6, v131
	v_mad_u64_u32 v[2:3], s[2:3], s6, v130, 0
	v_add3_u32 v3, v3, v4, v1
	v_lshl_add_u64 v[132:133], v[2:3], 2, s[4:5]
.LBB60_3:
	s_load_dwordx4 s[16:19], s[0:1], 0x8
	s_load_dwordx8 s[4:11], s[0:1], 0x20
	s_load_dword s2, s[0:1], 0x18
	s_load_dword s20, s[0:1], 0x0
	v_and_b32_e32 v139, 0x3ff, v0
	s_waitcnt lgkmcnt(0)
	v_mov_b32_e32 v2, s16
	v_mul_lo_u32 v1, s5, v130
	v_mul_lo_u32 v6, s4, v131
	v_mad_u64_u32 v[4:5], s[4:5], s4, v130, 0
	v_mov_b32_e32 v3, s17
	v_add3_u32 v5, v5, v6, v1
	v_lshl_add_u64 v[2:3], v[4:5], 4, v[2:3]
	s_add_i32 s12, s2, s2
	v_lshl_add_u64 v[128:129], s[18:19], 4, v[2:3]
	v_add_u32_e32 v2, s12, v139
	v_add_u32_e32 v4, s2, v2
	;; [unrolled: 1-line block ×3, first 2 shown]
	v_lshlrev_b32_e32 v134, 4, v139
	v_mov_b32_e32 v135, 0
	v_add_u32_e32 v8, s2, v6
	v_lshl_add_u64 v[0:1], v[128:129], 0, v[134:135]
	s_ashr_i32 s3, s2, 31
	v_ashrrev_i32_e32 v9, 31, v8
	v_add_u32_e32 v12, s2, v8
	v_lshl_add_u64 v[10:11], s[2:3], 4, v[0:1]
	global_load_dwordx4 v[84:87], v[0:1], off
	global_load_dwordx4 v[80:83], v[10:11], off
	v_lshl_add_u64 v[0:1], v[8:9], 4, v[128:129]
	v_ashrrev_i32_e32 v13, 31, v12
	v_add_u32_e32 v8, s2, v12
	v_lshl_add_u64 v[10:11], v[12:13], 4, v[128:129]
	v_add_u32_e32 v12, s2, v8
	v_add_u32_e32 v14, s2, v12
	;; [unrolled: 1-line block ×13, first 2 shown]
	v_ashrrev_i32_e32 v37, 31, v36
	v_add_u32_e32 v38, s2, v36
	v_lshl_add_u64 v[120:121], v[36:37], 4, v[128:129]
	v_add_u32_e32 v36, s2, v38
	v_ashrrev_i32_e32 v37, 31, v36
	v_lshl_add_u64 v[126:127], v[36:37], 4, v[128:129]
	v_add_u32_e32 v36, s2, v36
	v_ashrrev_i32_e32 v37, 31, v36
	v_lshl_add_u64 v[136:137], v[36:37], 4, v[128:129]
	v_add_u32_e32 v36, s2, v36
	v_ashrrev_i32_e32 v37, 31, v36
	v_lshl_add_u64 v[140:141], v[36:37], 4, v[128:129]
	v_add_u32_e32 v36, s2, v36
	v_ashrrev_i32_e32 v37, 31, v36
	v_lshl_add_u64 v[142:143], v[36:37], 4, v[128:129]
	v_add_u32_e32 v36, s2, v36
	v_ashrrev_i32_e32 v37, 31, v36
	v_lshl_add_u64 v[144:145], v[36:37], 4, v[128:129]
	v_add_u32_e32 v36, s2, v36
	v_ashrrev_i32_e32 v37, 31, v36
	v_lshl_add_u64 v[146:147], v[36:37], 4, v[128:129]
	v_add_u32_e32 v36, s2, v36
	v_ashrrev_i32_e32 v37, 31, v36
	v_lshl_add_u64 v[148:149], v[36:37], 4, v[128:129]
	v_add_u32_e32 v36, s2, v36
	v_ashrrev_i32_e32 v37, 31, v36
	v_ashrrev_i32_e32 v3, 31, v2
	v_ashrrev_i32_e32 v5, 31, v4
	;; [unrolled: 1-line block ×17, first 2 shown]
	v_lshl_add_u64 v[150:151], v[36:37], 4, v[128:129]
	v_add_u32_e32 v36, s2, v36
	v_lshl_add_u64 v[2:3], v[2:3], 4, v[128:129]
	v_lshl_add_u64 v[4:5], v[4:5], 4, v[128:129]
	;; [unrolled: 1-line block ×17, first 2 shown]
	v_ashrrev_i32_e32 v37, 31, v36
	v_lshl_add_u64 v[152:153], v[36:37], 4, v[128:129]
	global_load_dwordx4 v[116:119], v[2:3], off
	global_load_dwordx4 v[112:115], v[4:5], off
	;; [unrolled: 1-line block ×13, first 2 shown]
                                        ; kill: killed $vgpr8_vgpr9
                                        ; kill: killed $vgpr12_vgpr13
                                        ; kill: killed $vgpr14_vgpr15
                                        ; kill: killed $vgpr16_vgpr17
                                        ; kill: killed $vgpr18_vgpr19
                                        ; kill: killed $vgpr2_vgpr3
                                        ; kill: killed $vgpr20_vgpr21
                                        ; kill: killed $vgpr4_vgpr5
                                        ; kill: killed $vgpr22_vgpr23
                                        ; kill: killed $vgpr6_vgpr7
                                        ; kill: killed $vgpr24_vgpr25
                                        ; kill: killed $vgpr0_vgpr1
                                        ; kill: killed $vgpr10_vgpr11
	global_load_dwordx4 v[60:63], v[26:27], off
	global_load_dwordx4 v[52:55], v[28:29], off
	;; [unrolled: 1-line block ×6, first 2 shown]
                                        ; kill: killed $vgpr28_vgpr29
                                        ; kill: killed $vgpr30_vgpr31
                                        ; kill: killed $vgpr32_vgpr33
                                        ; kill: killed $vgpr34_vgpr35
                                        ; kill: killed $vgpr120_vgpr121
                                        ; kill: killed $vgpr26_vgpr27
	s_nop 0
	global_load_dwordx4 v[32:35], v[122:123], off
	global_load_dwordx4 v[28:31], v[126:127], off
	;; [unrolled: 1-line block ×3, first 2 shown]
                                        ; kill: killed $vgpr122_vgpr123
                                        ; kill: killed $vgpr126_vgpr127
                                        ; kill: killed $vgpr136_vgpr137
	global_load_dwordx4 v[20:23], v[140:141], off
	global_load_dwordx4 v[16:19], v[142:143], off
                                        ; kill: killed $vgpr142_vgpr143
                                        ; kill: killed $vgpr140_vgpr141
	global_load_dwordx4 v[12:15], v[144:145], off
	global_load_dwordx4 v[8:11], v[146:147], off
	;; [unrolled: 1-line block ×5, first 2 shown]
	s_load_dwordx2 s[4:5], s[0:1], 0x40
	s_max_i32 s0, s20, 31
	v_mul_lo_u32 v137, s0, v124
	v_lshl_add_u32 v136, v137, 4, 0
	v_add_u32_e32 v124, v136, v134
	s_waitcnt vmcnt(30)
	ds_write2_b64 v124, v[84:85], v[86:87] offset1:1
	s_waitcnt lgkmcnt(0)
	s_barrier
	ds_read2_b64 v[124:127], v136 offset1:1
	s_cmp_lt_i32 s20, 2
	v_lshlrev_b32_e32 v140, 4, v137
	s_cbranch_scc1 .LBB60_6
; %bb.4:
	v_add3_u32 v134, v140, 0, 16
	s_mov_b32 s16, 1
	v_mov_b32_e32 v135, 0
.LBB60_5:                               ; =>This Inner Loop Header: Depth=1
	ds_read2_b64 v[142:145], v134 offset1:1
	s_waitcnt lgkmcnt(1)
	v_xor_b32_e32 v137, 0x80000000, v125
	v_xor_b32_e32 v138, 0x80000000, v127
	v_cmp_gt_f64_e32 vcc, 0, v[126:127]
	v_cmp_gt_f64_e64 s[0:1], 0, v[124:125]
	v_mov_b32_e32 v146, v124
	v_mov_b32_e32 v148, v126
	v_cndmask_b32_e64 v147, v125, v137, s[0:1]
	v_cndmask_b32_e32 v149, v127, v138, vcc
	s_waitcnt lgkmcnt(0)
	v_xor_b32_e32 v137, 0x80000000, v143
	v_xor_b32_e32 v138, 0x80000000, v145
	v_cmp_gt_f64_e32 vcc, 0, v[144:145]
	v_cmp_gt_f64_e64 s[0:1], 0, v[142:143]
	v_add_f64 v[146:147], v[146:147], v[148:149]
	v_mov_b32_e32 v148, v142
	v_mov_b32_e32 v150, v144
	v_cndmask_b32_e64 v149, v143, v137, s[0:1]
	v_cndmask_b32_e32 v151, v145, v138, vcc
	v_add_f64 v[148:149], v[148:149], v[150:151]
	v_mov_b32_e32 v141, s16
	s_add_i32 s16, s16, 1
	v_cmp_lt_f64_e32 vcc, v[146:147], v[148:149]
	v_add_u32_e32 v134, 16, v134
	s_cmp_eq_u32 s20, s16
	v_cndmask_b32_e32 v125, v125, v143, vcc
	v_cndmask_b32_e32 v124, v124, v142, vcc
	;; [unrolled: 1-line block ×5, first 2 shown]
	s_cbranch_scc0 .LBB60_5
.LBB60_6:
	s_waitcnt lgkmcnt(0)
	v_cmp_neq_f64_e32 vcc, 0, v[124:125]
	v_cmp_neq_f64_e64 s[0:1], 0, v[126:127]
	s_or_b64 s[16:17], vcc, s[0:1]
	v_mov_b32_e32 v138, 1
	v_mov_b32_e32 v141, 1
	s_and_saveexec_b64 s[0:1], s[16:17]
	s_cbranch_execz .LBB60_12
; %bb.7:
	v_cmp_ngt_f64_e64 s[16:17], |v[124:125]|, |v[126:127]|
	s_and_saveexec_b64 s[18:19], s[16:17]
	s_xor_b64 s[16:17], exec, s[18:19]
	s_cbranch_execz .LBB60_9
; %bb.8:
	v_div_scale_f64 v[142:143], s[18:19], v[126:127], v[126:127], v[124:125]
	v_rcp_f64_e32 v[144:145], v[142:143]
	v_div_scale_f64 v[146:147], vcc, v[124:125], v[126:127], v[124:125]
	v_fma_f64 v[148:149], -v[142:143], v[144:145], 1.0
	v_fmac_f64_e32 v[144:145], v[144:145], v[148:149]
	v_fma_f64 v[148:149], -v[142:143], v[144:145], 1.0
	v_fmac_f64_e32 v[144:145], v[144:145], v[148:149]
	v_mul_f64 v[148:149], v[146:147], v[144:145]
	v_fma_f64 v[142:143], -v[142:143], v[148:149], v[146:147]
	v_div_fmas_f64 v[142:143], v[142:143], v[144:145], v[148:149]
	v_div_fixup_f64 v[142:143], v[142:143], v[126:127], v[124:125]
	v_fmac_f64_e32 v[126:127], v[124:125], v[142:143]
	v_div_scale_f64 v[124:125], s[18:19], v[126:127], v[126:127], 1.0
	v_rcp_f64_e32 v[144:145], v[124:125]
	s_nop 0
	v_fma_f64 v[146:147], -v[124:125], v[144:145], 1.0
	v_fmac_f64_e32 v[144:145], v[144:145], v[146:147]
	v_fma_f64 v[146:147], -v[124:125], v[144:145], 1.0
	v_fmac_f64_e32 v[144:145], v[144:145], v[146:147]
	v_div_scale_f64 v[146:147], vcc, 1.0, v[126:127], 1.0
	v_mul_f64 v[148:149], v[146:147], v[144:145]
	v_fma_f64 v[124:125], -v[124:125], v[148:149], v[146:147]
	s_nop 1
	v_div_fmas_f64 v[124:125], v[124:125], v[144:145], v[148:149]
	v_div_fixup_f64 v[126:127], v[124:125], v[126:127], 1.0
	v_mul_f64 v[124:125], v[142:143], v[126:127]
	v_xor_b32_e32 v127, 0x80000000, v127
.LBB60_9:
	s_andn2_saveexec_b64 s[16:17], s[16:17]
	s_cbranch_execz .LBB60_11
; %bb.10:
	v_div_scale_f64 v[142:143], s[18:19], v[124:125], v[124:125], v[126:127]
	v_rcp_f64_e32 v[144:145], v[142:143]
	v_div_scale_f64 v[146:147], vcc, v[126:127], v[124:125], v[126:127]
	v_fma_f64 v[148:149], -v[142:143], v[144:145], 1.0
	v_fmac_f64_e32 v[144:145], v[144:145], v[148:149]
	v_fma_f64 v[148:149], -v[142:143], v[144:145], 1.0
	v_fmac_f64_e32 v[144:145], v[144:145], v[148:149]
	v_mul_f64 v[148:149], v[146:147], v[144:145]
	v_fma_f64 v[142:143], -v[142:143], v[148:149], v[146:147]
	v_div_fmas_f64 v[142:143], v[142:143], v[144:145], v[148:149]
	v_div_fixup_f64 v[142:143], v[142:143], v[124:125], v[126:127]
	v_fmac_f64_e32 v[124:125], v[126:127], v[142:143]
	v_div_scale_f64 v[126:127], s[18:19], v[124:125], v[124:125], 1.0
	v_rcp_f64_e32 v[144:145], v[126:127]
	s_nop 0
	v_fma_f64 v[146:147], -v[126:127], v[144:145], 1.0
	v_fmac_f64_e32 v[144:145], v[144:145], v[146:147]
	v_fma_f64 v[146:147], -v[126:127], v[144:145], 1.0
	v_fmac_f64_e32 v[144:145], v[144:145], v[146:147]
	v_div_scale_f64 v[146:147], vcc, 1.0, v[124:125], 1.0
	v_mul_f64 v[148:149], v[146:147], v[144:145]
	v_fma_f64 v[126:127], -v[126:127], v[148:149], v[146:147]
	s_nop 1
	v_div_fmas_f64 v[126:127], v[126:127], v[144:145], v[148:149]
	v_div_fixup_f64 v[124:125], v[126:127], v[124:125], 1.0
	v_mul_f64 v[126:127], v[142:143], -v[124:125]
.LBB60_11:
	s_or_b64 exec, exec, s[16:17]
	v_mov_b32_e32 v141, 0
	v_mov_b32_e32 v138, 2
.LBB60_12:
	s_or_b64 exec, exec, s[0:1]
	v_cmp_ne_u32_e32 vcc, v139, v135
	s_and_saveexec_b64 s[0:1], vcc
	s_xor_b64 s[0:1], exec, s[0:1]
	s_cbranch_execz .LBB60_18
; %bb.13:
	v_cmp_eq_u32_e32 vcc, 0, v139
	s_and_saveexec_b64 s[16:17], vcc
	s_cbranch_execz .LBB60_17
; %bb.14:
	v_cmp_ne_u32_e32 vcc, 0, v135
	s_xor_b64 s[18:19], s[14:15], -1
	s_and_b64 s[22:23], s[18:19], vcc
	s_and_saveexec_b64 s[18:19], s[22:23]
	s_cbranch_execz .LBB60_16
; %bb.15:
	v_ashrrev_i32_e32 v143, 31, v135
	v_mov_b32_e32 v142, v135
	v_lshl_add_u64 v[142:143], v[142:143], 2, v[132:133]
	global_load_dword v134, v[142:143], off
	global_load_dword v137, v[132:133], off
	s_waitcnt vmcnt(1)
	global_store_dword v[132:133], v134, off
	s_waitcnt vmcnt(1)
	global_store_dword v[142:143], v137, off
.LBB60_16:
	s_or_b64 exec, exec, s[18:19]
	v_mov_b32_e32 v139, v135
.LBB60_17:
	s_or_b64 exec, exec, s[16:17]
.LBB60_18:
	s_or_saveexec_b64 s[0:1], s[0:1]
	v_mov_b32_e32 v137, v139
	s_xor_b64 exec, exec, s[0:1]
	s_cbranch_execz .LBB60_20
; %bb.19:
	v_mov_b32_e32 v137, 0
	s_waitcnt vmcnt(29)
	ds_write2_b64 v136, v[80:81], v[82:83] offset0:2 offset1:3
	s_waitcnt vmcnt(28)
	ds_write2_b64 v136, v[116:117], v[118:119] offset0:4 offset1:5
	;; [unrolled: 2-line block ×30, first 2 shown]
.LBB60_20:
	s_or_b64 exec, exec, s[0:1]
	v_cmp_lt_i32_e32 vcc, 0, v137
	s_waitcnt lgkmcnt(0)
	s_barrier
	s_and_saveexec_b64 s[0:1], vcc
	s_cbranch_execz .LBB60_22
; %bb.21:
	ds_read2_b64 v[142:145], v136 offset0:2 offset1:3
	v_mul_f64 v[134:135], v[126:127], v[86:87]
	v_mul_f64 v[86:87], v[124:125], v[86:87]
	v_fma_f64 v[134:135], v[124:125], v[84:85], -v[134:135]
	v_fmac_f64_e32 v[86:87], v[126:127], v[84:85]
	ds_read2_b64 v[124:127], v136 offset0:4 offset1:5
	s_waitcnt lgkmcnt(1)
	v_mul_f64 v[84:85], v[144:145], v[86:87]
	v_fma_f64 v[84:85], v[142:143], v[134:135], -v[84:85]
	v_mul_f64 v[142:143], v[142:143], v[86:87]
	v_fmac_f64_e32 v[142:143], v[144:145], v[134:135]
	s_waitcnt vmcnt(29)
	v_add_f64 v[80:81], v[80:81], -v[84:85]
	s_waitcnt lgkmcnt(0)
	v_mul_f64 v[84:85], v[126:127], v[86:87]
	v_add_f64 v[82:83], v[82:83], -v[142:143]
	v_fma_f64 v[84:85], v[124:125], v[134:135], -v[84:85]
	v_mul_f64 v[124:125], v[124:125], v[86:87]
	ds_read2_b64 v[142:145], v136 offset0:6 offset1:7
	v_fmac_f64_e32 v[124:125], v[126:127], v[134:135]
	s_waitcnt vmcnt(28)
	v_add_f64 v[118:119], v[118:119], -v[124:125]
	ds_read2_b64 v[124:127], v136 offset0:8 offset1:9
	v_add_f64 v[116:117], v[116:117], -v[84:85]
	s_waitcnt lgkmcnt(1)
	v_mul_f64 v[84:85], v[144:145], v[86:87]
	v_fma_f64 v[84:85], v[142:143], v[134:135], -v[84:85]
	v_mul_f64 v[142:143], v[142:143], v[86:87]
	v_fmac_f64_e32 v[142:143], v[144:145], v[134:135]
	s_waitcnt vmcnt(27)
	v_add_f64 v[112:113], v[112:113], -v[84:85]
	s_waitcnt lgkmcnt(0)
	v_mul_f64 v[84:85], v[126:127], v[86:87]
	v_add_f64 v[114:115], v[114:115], -v[142:143]
	v_fma_f64 v[84:85], v[124:125], v[134:135], -v[84:85]
	v_mul_f64 v[124:125], v[124:125], v[86:87]
	ds_read2_b64 v[142:145], v136 offset0:10 offset1:11
	v_fmac_f64_e32 v[124:125], v[126:127], v[134:135]
	s_waitcnt vmcnt(26)
	v_add_f64 v[110:111], v[110:111], -v[124:125]
	ds_read2_b64 v[124:127], v136 offset0:12 offset1:13
	v_add_f64 v[108:109], v[108:109], -v[84:85]
	s_waitcnt lgkmcnt(1)
	v_mul_f64 v[84:85], v[144:145], v[86:87]
	v_fma_f64 v[84:85], v[142:143], v[134:135], -v[84:85]
	v_mul_f64 v[142:143], v[142:143], v[86:87]
	v_fmac_f64_e32 v[142:143], v[144:145], v[134:135]
	s_waitcnt vmcnt(25)
	v_add_f64 v[104:105], v[104:105], -v[84:85]
	s_waitcnt lgkmcnt(0)
	v_mul_f64 v[84:85], v[126:127], v[86:87]
	v_add_f64 v[106:107], v[106:107], -v[142:143]
	v_fma_f64 v[84:85], v[124:125], v[134:135], -v[84:85]
	v_mul_f64 v[124:125], v[124:125], v[86:87]
	ds_read2_b64 v[142:145], v136 offset0:14 offset1:15
	v_fmac_f64_e32 v[124:125], v[126:127], v[134:135]
	s_waitcnt vmcnt(24)
	v_add_f64 v[102:103], v[102:103], -v[124:125]
	ds_read2_b64 v[124:127], v136 offset0:16 offset1:17
	v_add_f64 v[100:101], v[100:101], -v[84:85]
	s_waitcnt lgkmcnt(1)
	v_mul_f64 v[84:85], v[144:145], v[86:87]
	v_fma_f64 v[84:85], v[142:143], v[134:135], -v[84:85]
	v_mul_f64 v[142:143], v[142:143], v[86:87]
	v_fmac_f64_e32 v[142:143], v[144:145], v[134:135]
	s_waitcnt vmcnt(23)
	v_add_f64 v[96:97], v[96:97], -v[84:85]
	s_waitcnt lgkmcnt(0)
	v_mul_f64 v[84:85], v[126:127], v[86:87]
	v_add_f64 v[98:99], v[98:99], -v[142:143]
	v_fma_f64 v[84:85], v[124:125], v[134:135], -v[84:85]
	v_mul_f64 v[124:125], v[124:125], v[86:87]
	ds_read2_b64 v[142:145], v136 offset0:18 offset1:19
	v_fmac_f64_e32 v[124:125], v[126:127], v[134:135]
	s_waitcnt vmcnt(22)
	v_add_f64 v[94:95], v[94:95], -v[124:125]
	ds_read2_b64 v[124:127], v136 offset0:20 offset1:21
	v_add_f64 v[92:93], v[92:93], -v[84:85]
	s_waitcnt lgkmcnt(1)
	v_mul_f64 v[84:85], v[144:145], v[86:87]
	v_fma_f64 v[84:85], v[142:143], v[134:135], -v[84:85]
	v_mul_f64 v[142:143], v[142:143], v[86:87]
	v_fmac_f64_e32 v[142:143], v[144:145], v[134:135]
	s_waitcnt vmcnt(21)
	v_add_f64 v[88:89], v[88:89], -v[84:85]
	s_waitcnt lgkmcnt(0)
	v_mul_f64 v[84:85], v[126:127], v[86:87]
	v_add_f64 v[90:91], v[90:91], -v[142:143]
	v_fma_f64 v[84:85], v[124:125], v[134:135], -v[84:85]
	v_mul_f64 v[124:125], v[124:125], v[86:87]
	ds_read2_b64 v[142:145], v136 offset0:22 offset1:23
	v_fmac_f64_e32 v[124:125], v[126:127], v[134:135]
	s_waitcnt vmcnt(20)
	v_add_f64 v[78:79], v[78:79], -v[124:125]
	ds_read2_b64 v[124:127], v136 offset0:24 offset1:25
	v_add_f64 v[76:77], v[76:77], -v[84:85]
	s_waitcnt lgkmcnt(1)
	v_mul_f64 v[84:85], v[144:145], v[86:87]
	v_fma_f64 v[84:85], v[142:143], v[134:135], -v[84:85]
	v_mul_f64 v[142:143], v[142:143], v[86:87]
	v_fmac_f64_e32 v[142:143], v[144:145], v[134:135]
	s_waitcnt vmcnt(19)
	v_add_f64 v[72:73], v[72:73], -v[84:85]
	s_waitcnt lgkmcnt(0)
	v_mul_f64 v[84:85], v[126:127], v[86:87]
	v_add_f64 v[74:75], v[74:75], -v[142:143]
	v_fma_f64 v[84:85], v[124:125], v[134:135], -v[84:85]
	v_mul_f64 v[124:125], v[124:125], v[86:87]
	ds_read2_b64 v[142:145], v136 offset0:26 offset1:27
	v_fmac_f64_e32 v[124:125], v[126:127], v[134:135]
	s_waitcnt vmcnt(18)
	v_add_f64 v[70:71], v[70:71], -v[124:125]
	ds_read2_b64 v[124:127], v136 offset0:28 offset1:29
	v_add_f64 v[68:69], v[68:69], -v[84:85]
	s_waitcnt lgkmcnt(1)
	v_mul_f64 v[84:85], v[144:145], v[86:87]
	v_fma_f64 v[84:85], v[142:143], v[134:135], -v[84:85]
	v_mul_f64 v[142:143], v[142:143], v[86:87]
	v_fmac_f64_e32 v[142:143], v[144:145], v[134:135]
	s_waitcnt vmcnt(17)
	v_add_f64 v[64:65], v[64:65], -v[84:85]
	s_waitcnt lgkmcnt(0)
	v_mul_f64 v[84:85], v[126:127], v[86:87]
	v_add_f64 v[66:67], v[66:67], -v[142:143]
	v_fma_f64 v[84:85], v[124:125], v[134:135], -v[84:85]
	v_mul_f64 v[124:125], v[124:125], v[86:87]
	ds_read2_b64 v[142:145], v136 offset0:30 offset1:31
	v_fmac_f64_e32 v[124:125], v[126:127], v[134:135]
	s_waitcnt vmcnt(16)
	v_add_f64 v[58:59], v[58:59], -v[124:125]
	ds_read2_b64 v[124:127], v136 offset0:32 offset1:33
	v_add_f64 v[56:57], v[56:57], -v[84:85]
	s_waitcnt lgkmcnt(1)
	v_mul_f64 v[84:85], v[144:145], v[86:87]
	v_fma_f64 v[84:85], v[142:143], v[134:135], -v[84:85]
	v_mul_f64 v[142:143], v[142:143], v[86:87]
	v_fmac_f64_e32 v[142:143], v[144:145], v[134:135]
	s_waitcnt vmcnt(15)
	v_add_f64 v[60:61], v[60:61], -v[84:85]
	s_waitcnt lgkmcnt(0)
	v_mul_f64 v[84:85], v[126:127], v[86:87]
	v_add_f64 v[62:63], v[62:63], -v[142:143]
	v_fma_f64 v[84:85], v[124:125], v[134:135], -v[84:85]
	v_mul_f64 v[124:125], v[124:125], v[86:87]
	ds_read2_b64 v[142:145], v136 offset0:34 offset1:35
	v_fmac_f64_e32 v[124:125], v[126:127], v[134:135]
	s_waitcnt vmcnt(14)
	v_add_f64 v[54:55], v[54:55], -v[124:125]
	ds_read2_b64 v[124:127], v136 offset0:36 offset1:37
	v_add_f64 v[52:53], v[52:53], -v[84:85]
	s_waitcnt lgkmcnt(1)
	v_mul_f64 v[84:85], v[144:145], v[86:87]
	v_fma_f64 v[84:85], v[142:143], v[134:135], -v[84:85]
	v_mul_f64 v[142:143], v[142:143], v[86:87]
	v_fmac_f64_e32 v[142:143], v[144:145], v[134:135]
	s_waitcnt vmcnt(13)
	v_add_f64 v[48:49], v[48:49], -v[84:85]
	s_waitcnt lgkmcnt(0)
	v_mul_f64 v[84:85], v[126:127], v[86:87]
	v_add_f64 v[50:51], v[50:51], -v[142:143]
	v_fma_f64 v[84:85], v[124:125], v[134:135], -v[84:85]
	v_mul_f64 v[124:125], v[124:125], v[86:87]
	ds_read2_b64 v[142:145], v136 offset0:38 offset1:39
	v_fmac_f64_e32 v[124:125], v[126:127], v[134:135]
	s_waitcnt vmcnt(12)
	v_add_f64 v[46:47], v[46:47], -v[124:125]
	ds_read2_b64 v[124:127], v136 offset0:40 offset1:41
	v_add_f64 v[44:45], v[44:45], -v[84:85]
	s_waitcnt lgkmcnt(1)
	v_mul_f64 v[84:85], v[144:145], v[86:87]
	v_fma_f64 v[84:85], v[142:143], v[134:135], -v[84:85]
	v_mul_f64 v[142:143], v[142:143], v[86:87]
	v_fmac_f64_e32 v[142:143], v[144:145], v[134:135]
	s_waitcnt vmcnt(11)
	v_add_f64 v[40:41], v[40:41], -v[84:85]
	s_waitcnt lgkmcnt(0)
	v_mul_f64 v[84:85], v[126:127], v[86:87]
	v_add_f64 v[42:43], v[42:43], -v[142:143]
	v_fma_f64 v[84:85], v[124:125], v[134:135], -v[84:85]
	v_mul_f64 v[124:125], v[124:125], v[86:87]
	ds_read2_b64 v[142:145], v136 offset0:42 offset1:43
	v_fmac_f64_e32 v[124:125], v[126:127], v[134:135]
	s_waitcnt vmcnt(10)
	v_add_f64 v[38:39], v[38:39], -v[124:125]
	ds_read2_b64 v[124:127], v136 offset0:44 offset1:45
	v_add_f64 v[36:37], v[36:37], -v[84:85]
	s_waitcnt lgkmcnt(1)
	v_mul_f64 v[84:85], v[144:145], v[86:87]
	v_fma_f64 v[84:85], v[142:143], v[134:135], -v[84:85]
	v_mul_f64 v[142:143], v[142:143], v[86:87]
	v_fmac_f64_e32 v[142:143], v[144:145], v[134:135]
	s_waitcnt vmcnt(9)
	v_add_f64 v[32:33], v[32:33], -v[84:85]
	s_waitcnt lgkmcnt(0)
	v_mul_f64 v[84:85], v[126:127], v[86:87]
	v_add_f64 v[34:35], v[34:35], -v[142:143]
	v_fma_f64 v[84:85], v[124:125], v[134:135], -v[84:85]
	v_mul_f64 v[124:125], v[124:125], v[86:87]
	ds_read2_b64 v[142:145], v136 offset0:46 offset1:47
	v_fmac_f64_e32 v[124:125], v[126:127], v[134:135]
	s_waitcnt vmcnt(8)
	v_add_f64 v[30:31], v[30:31], -v[124:125]
	ds_read2_b64 v[124:127], v136 offset0:48 offset1:49
	v_add_f64 v[28:29], v[28:29], -v[84:85]
	s_waitcnt lgkmcnt(1)
	v_mul_f64 v[84:85], v[144:145], v[86:87]
	v_fma_f64 v[84:85], v[142:143], v[134:135], -v[84:85]
	v_mul_f64 v[142:143], v[142:143], v[86:87]
	v_fmac_f64_e32 v[142:143], v[144:145], v[134:135]
	s_waitcnt vmcnt(7)
	v_add_f64 v[24:25], v[24:25], -v[84:85]
	s_waitcnt lgkmcnt(0)
	v_mul_f64 v[84:85], v[126:127], v[86:87]
	v_add_f64 v[26:27], v[26:27], -v[142:143]
	v_fma_f64 v[84:85], v[124:125], v[134:135], -v[84:85]
	v_mul_f64 v[124:125], v[124:125], v[86:87]
	ds_read2_b64 v[142:145], v136 offset0:50 offset1:51
	v_fmac_f64_e32 v[124:125], v[126:127], v[134:135]
	s_waitcnt vmcnt(6)
	v_add_f64 v[22:23], v[22:23], -v[124:125]
	ds_read2_b64 v[124:127], v136 offset0:52 offset1:53
	v_add_f64 v[20:21], v[20:21], -v[84:85]
	s_waitcnt lgkmcnt(1)
	v_mul_f64 v[84:85], v[144:145], v[86:87]
	v_fma_f64 v[84:85], v[142:143], v[134:135], -v[84:85]
	v_mul_f64 v[142:143], v[142:143], v[86:87]
	v_fmac_f64_e32 v[142:143], v[144:145], v[134:135]
	s_waitcnt vmcnt(5)
	v_add_f64 v[16:17], v[16:17], -v[84:85]
	s_waitcnt lgkmcnt(0)
	v_mul_f64 v[84:85], v[126:127], v[86:87]
	v_add_f64 v[18:19], v[18:19], -v[142:143]
	v_fma_f64 v[84:85], v[124:125], v[134:135], -v[84:85]
	v_mul_f64 v[124:125], v[124:125], v[86:87]
	ds_read2_b64 v[142:145], v136 offset0:54 offset1:55
	v_fmac_f64_e32 v[124:125], v[126:127], v[134:135]
	s_waitcnt vmcnt(4)
	v_add_f64 v[14:15], v[14:15], -v[124:125]
	ds_read2_b64 v[124:127], v136 offset0:56 offset1:57
	v_add_f64 v[12:13], v[12:13], -v[84:85]
	s_waitcnt lgkmcnt(1)
	v_mul_f64 v[84:85], v[144:145], v[86:87]
	v_fma_f64 v[84:85], v[142:143], v[134:135], -v[84:85]
	v_mul_f64 v[142:143], v[142:143], v[86:87]
	v_fmac_f64_e32 v[142:143], v[144:145], v[134:135]
	s_waitcnt vmcnt(3)
	v_add_f64 v[8:9], v[8:9], -v[84:85]
	s_waitcnt lgkmcnt(0)
	v_mul_f64 v[84:85], v[126:127], v[86:87]
	v_add_f64 v[10:11], v[10:11], -v[142:143]
	v_fma_f64 v[84:85], v[124:125], v[134:135], -v[84:85]
	v_mul_f64 v[124:125], v[124:125], v[86:87]
	ds_read2_b64 v[142:145], v136 offset0:58 offset1:59
	v_fmac_f64_e32 v[124:125], v[126:127], v[134:135]
	s_waitcnt vmcnt(2)
	v_add_f64 v[6:7], v[6:7], -v[124:125]
	ds_read2_b64 v[124:127], v136 offset0:60 offset1:61
	v_add_f64 v[4:5], v[4:5], -v[84:85]
	s_waitcnt lgkmcnt(1)
	v_mul_f64 v[84:85], v[144:145], v[86:87]
	v_fma_f64 v[84:85], v[142:143], v[134:135], -v[84:85]
	s_waitcnt vmcnt(1)
	v_add_f64 v[0:1], v[0:1], -v[84:85]
	s_waitcnt lgkmcnt(0)
	v_mul_f64 v[84:85], v[126:127], v[86:87]
	v_mul_f64 v[142:143], v[142:143], v[86:87]
	v_fma_f64 v[84:85], v[124:125], v[134:135], -v[84:85]
	v_mul_f64 v[124:125], v[124:125], v[86:87]
	v_fmac_f64_e32 v[142:143], v[144:145], v[134:135]
	v_fmac_f64_e32 v[124:125], v[126:127], v[134:135]
	v_add_f64 v[2:3], v[2:3], -v[142:143]
	s_waitcnt vmcnt(0)
	v_add_f64 v[120:121], v[120:121], -v[84:85]
	v_add_f64 v[122:123], v[122:123], -v[124:125]
	v_mov_b64_e32 v[84:85], v[134:135]
.LBB60_22:
	s_or_b64 exec, exec, s[0:1]
	v_lshl_add_u32 v124, v137, 4, v136
	s_barrier
	s_waitcnt vmcnt(29)
	ds_write2_b64 v124, v[80:81], v[82:83] offset1:1
	s_waitcnt lgkmcnt(0)
	s_barrier
	ds_read2_b64 v[124:127], v136 offset0:2 offset1:3
	s_cmp_lt_i32 s20, 3
	v_mov_b32_e32 v134, 1
	s_cbranch_scc1 .LBB60_25
; %bb.23:
	v_add3_u32 v135, v140, 0, 32
	s_mov_b32 s16, 2
	v_mov_b32_e32 v134, 1
.LBB60_24:                              ; =>This Inner Loop Header: Depth=1
	ds_read2_b64 v[142:145], v135 offset1:1
	s_waitcnt lgkmcnt(1)
	v_xor_b32_e32 v147, 0x80000000, v125
	v_xor_b32_e32 v149, 0x80000000, v127
	v_cmp_gt_f64_e32 vcc, 0, v[126:127]
	v_cmp_gt_f64_e64 s[0:1], 0, v[124:125]
	v_mov_b32_e32 v146, v124
	v_mov_b32_e32 v148, v126
	v_cndmask_b32_e64 v147, v125, v147, s[0:1]
	v_cndmask_b32_e32 v149, v127, v149, vcc
	v_add_f64 v[146:147], v[146:147], v[148:149]
	s_waitcnt lgkmcnt(0)
	v_xor_b32_e32 v149, 0x80000000, v143
	v_xor_b32_e32 v151, 0x80000000, v145
	v_cmp_gt_f64_e32 vcc, 0, v[144:145]
	v_cmp_gt_f64_e64 s[0:1], 0, v[142:143]
	v_mov_b32_e32 v148, v142
	v_mov_b32_e32 v150, v144
	v_cndmask_b32_e64 v149, v143, v149, s[0:1]
	v_cndmask_b32_e32 v151, v145, v151, vcc
	v_add_f64 v[148:149], v[148:149], v[150:151]
	v_mov_b32_e32 v152, s16
	s_add_i32 s16, s16, 1
	v_cmp_lt_f64_e32 vcc, v[146:147], v[148:149]
	v_add_u32_e32 v135, 16, v135
	s_cmp_lg_u32 s20, s16
	v_cndmask_b32_e32 v125, v125, v143, vcc
	v_cndmask_b32_e32 v124, v124, v142, vcc
	;; [unrolled: 1-line block ×5, first 2 shown]
	s_cbranch_scc1 .LBB60_24
.LBB60_25:
	s_waitcnt lgkmcnt(0)
	v_cmp_neq_f64_e32 vcc, 0, v[124:125]
	v_cmp_neq_f64_e64 s[0:1], 0, v[126:127]
	s_or_b64 s[16:17], vcc, s[0:1]
	s_and_saveexec_b64 s[0:1], s[16:17]
	s_cbranch_execz .LBB60_31
; %bb.26:
	v_cmp_ngt_f64_e64 s[16:17], |v[124:125]|, |v[126:127]|
	s_and_saveexec_b64 s[18:19], s[16:17]
	s_xor_b64 s[16:17], exec, s[18:19]
	s_cbranch_execz .LBB60_28
; %bb.27:
	v_div_scale_f64 v[142:143], s[18:19], v[126:127], v[126:127], v[124:125]
	v_rcp_f64_e32 v[144:145], v[142:143]
	v_div_scale_f64 v[146:147], vcc, v[124:125], v[126:127], v[124:125]
	v_fma_f64 v[148:149], -v[142:143], v[144:145], 1.0
	v_fmac_f64_e32 v[144:145], v[144:145], v[148:149]
	v_fma_f64 v[148:149], -v[142:143], v[144:145], 1.0
	v_fmac_f64_e32 v[144:145], v[144:145], v[148:149]
	v_mul_f64 v[148:149], v[146:147], v[144:145]
	v_fma_f64 v[142:143], -v[142:143], v[148:149], v[146:147]
	v_div_fmas_f64 v[142:143], v[142:143], v[144:145], v[148:149]
	v_div_fixup_f64 v[142:143], v[142:143], v[126:127], v[124:125]
	v_fmac_f64_e32 v[126:127], v[124:125], v[142:143]
	v_div_scale_f64 v[124:125], s[18:19], v[126:127], v[126:127], 1.0
	v_rcp_f64_e32 v[144:145], v[124:125]
	s_nop 0
	v_fma_f64 v[146:147], -v[124:125], v[144:145], 1.0
	v_fmac_f64_e32 v[144:145], v[144:145], v[146:147]
	v_fma_f64 v[146:147], -v[124:125], v[144:145], 1.0
	v_fmac_f64_e32 v[144:145], v[144:145], v[146:147]
	v_div_scale_f64 v[146:147], vcc, 1.0, v[126:127], 1.0
	v_mul_f64 v[148:149], v[146:147], v[144:145]
	v_fma_f64 v[124:125], -v[124:125], v[148:149], v[146:147]
	s_nop 1
	v_div_fmas_f64 v[124:125], v[124:125], v[144:145], v[148:149]
	v_div_fixup_f64 v[126:127], v[124:125], v[126:127], 1.0
	v_mul_f64 v[124:125], v[142:143], v[126:127]
	v_xor_b32_e32 v127, 0x80000000, v127
.LBB60_28:
	s_andn2_saveexec_b64 s[16:17], s[16:17]
	s_cbranch_execz .LBB60_30
; %bb.29:
	v_div_scale_f64 v[142:143], s[18:19], v[124:125], v[124:125], v[126:127]
	v_rcp_f64_e32 v[144:145], v[142:143]
	v_div_scale_f64 v[146:147], vcc, v[126:127], v[124:125], v[126:127]
	v_fma_f64 v[148:149], -v[142:143], v[144:145], 1.0
	v_fmac_f64_e32 v[144:145], v[144:145], v[148:149]
	v_fma_f64 v[148:149], -v[142:143], v[144:145], 1.0
	v_fmac_f64_e32 v[144:145], v[144:145], v[148:149]
	v_mul_f64 v[148:149], v[146:147], v[144:145]
	v_fma_f64 v[142:143], -v[142:143], v[148:149], v[146:147]
	v_div_fmas_f64 v[142:143], v[142:143], v[144:145], v[148:149]
	v_div_fixup_f64 v[142:143], v[142:143], v[124:125], v[126:127]
	v_fmac_f64_e32 v[124:125], v[126:127], v[142:143]
	v_div_scale_f64 v[126:127], s[18:19], v[124:125], v[124:125], 1.0
	v_rcp_f64_e32 v[144:145], v[126:127]
	s_nop 0
	v_fma_f64 v[146:147], -v[126:127], v[144:145], 1.0
	v_fmac_f64_e32 v[144:145], v[144:145], v[146:147]
	v_fma_f64 v[146:147], -v[126:127], v[144:145], 1.0
	v_fmac_f64_e32 v[144:145], v[144:145], v[146:147]
	v_div_scale_f64 v[146:147], vcc, 1.0, v[124:125], 1.0
	v_mul_f64 v[148:149], v[146:147], v[144:145]
	v_fma_f64 v[126:127], -v[126:127], v[148:149], v[146:147]
	s_nop 1
	v_div_fmas_f64 v[126:127], v[126:127], v[144:145], v[148:149]
	v_div_fixup_f64 v[124:125], v[126:127], v[124:125], 1.0
	v_mul_f64 v[126:127], v[142:143], -v[124:125]
.LBB60_30:
	s_or_b64 exec, exec, s[16:17]
	v_mov_b32_e32 v138, v141
.LBB60_31:
	s_or_b64 exec, exec, s[0:1]
	v_cmp_ne_u32_e32 vcc, v137, v134
	s_and_saveexec_b64 s[0:1], vcc
	s_xor_b64 s[0:1], exec, s[0:1]
	s_cbranch_execz .LBB60_37
; %bb.32:
	v_cmp_eq_u32_e32 vcc, 1, v137
	s_and_saveexec_b64 s[16:17], vcc
	s_cbranch_execz .LBB60_36
; %bb.33:
	v_cmp_ne_u32_e32 vcc, 1, v134
	s_xor_b64 s[18:19], s[14:15], -1
	s_and_b64 s[22:23], s[18:19], vcc
	s_and_saveexec_b64 s[18:19], s[22:23]
	s_cbranch_execz .LBB60_35
; %bb.34:
	v_ashrrev_i32_e32 v135, 31, v134
	v_lshl_add_u64 v[142:143], v[134:135], 2, v[132:133]
	global_load_dword v135, v[142:143], off
	global_load_dword v137, v[132:133], off offset:4
	s_waitcnt vmcnt(1)
	global_store_dword v[132:133], v135, off offset:4
	s_waitcnt vmcnt(1)
	global_store_dword v[142:143], v137, off
.LBB60_35:
	s_or_b64 exec, exec, s[18:19]
	v_mov_b32_e32 v137, v134
	v_mov_b32_e32 v139, v134
.LBB60_36:
	s_or_b64 exec, exec, s[16:17]
.LBB60_37:
	s_andn2_saveexec_b64 s[0:1], s[0:1]
	s_cbranch_execz .LBB60_39
; %bb.38:
	v_mov_b32_e32 v137, 1
	s_waitcnt vmcnt(28)
	ds_write2_b64 v136, v[116:117], v[118:119] offset0:4 offset1:5
	s_waitcnt vmcnt(27)
	ds_write2_b64 v136, v[112:113], v[114:115] offset0:6 offset1:7
	;; [unrolled: 2-line block ×29, first 2 shown]
.LBB60_39:
	s_or_b64 exec, exec, s[0:1]
	v_cmp_lt_i32_e32 vcc, 1, v137
	s_waitcnt lgkmcnt(0)
	s_barrier
	s_and_saveexec_b64 s[0:1], vcc
	s_cbranch_execz .LBB60_41
; %bb.40:
	ds_read2_b64 v[142:145], v136 offset0:4 offset1:5
	v_mul_f64 v[134:135], v[126:127], v[82:83]
	v_mul_f64 v[82:83], v[124:125], v[82:83]
	v_fmac_f64_e32 v[82:83], v[126:127], v[80:81]
	v_fma_f64 v[134:135], v[124:125], v[80:81], -v[134:135]
	ds_read2_b64 v[124:127], v136 offset0:6 offset1:7
	s_waitcnt lgkmcnt(1)
	v_mul_f64 v[80:81], v[144:145], v[82:83]
	v_fma_f64 v[80:81], v[142:143], v[134:135], -v[80:81]
	v_mul_f64 v[142:143], v[142:143], v[82:83]
	v_fmac_f64_e32 v[142:143], v[144:145], v[134:135]
	s_waitcnt vmcnt(28)
	v_add_f64 v[118:119], v[118:119], -v[142:143]
	ds_read2_b64 v[142:145], v136 offset0:8 offset1:9
	v_add_f64 v[116:117], v[116:117], -v[80:81]
	s_waitcnt lgkmcnt(1)
	v_mul_f64 v[80:81], v[126:127], v[82:83]
	v_fma_f64 v[80:81], v[124:125], v[134:135], -v[80:81]
	v_mul_f64 v[124:125], v[124:125], v[82:83]
	v_fmac_f64_e32 v[124:125], v[126:127], v[134:135]
	s_waitcnt vmcnt(27)
	v_add_f64 v[112:113], v[112:113], -v[80:81]
	v_add_f64 v[114:115], v[114:115], -v[124:125]
	ds_read2_b64 v[124:127], v136 offset0:10 offset1:11
	s_waitcnt lgkmcnt(1)
	v_mul_f64 v[80:81], v[144:145], v[82:83]
	v_fma_f64 v[80:81], v[142:143], v[134:135], -v[80:81]
	v_mul_f64 v[142:143], v[142:143], v[82:83]
	v_fmac_f64_e32 v[142:143], v[144:145], v[134:135]
	s_waitcnt vmcnt(26)
	v_add_f64 v[110:111], v[110:111], -v[142:143]
	ds_read2_b64 v[142:145], v136 offset0:12 offset1:13
	v_add_f64 v[108:109], v[108:109], -v[80:81]
	s_waitcnt lgkmcnt(1)
	v_mul_f64 v[80:81], v[126:127], v[82:83]
	v_fma_f64 v[80:81], v[124:125], v[134:135], -v[80:81]
	v_mul_f64 v[124:125], v[124:125], v[82:83]
	v_fmac_f64_e32 v[124:125], v[126:127], v[134:135]
	s_waitcnt vmcnt(25)
	v_add_f64 v[104:105], v[104:105], -v[80:81]
	v_add_f64 v[106:107], v[106:107], -v[124:125]
	;; [unrolled: 18-line block ×14, first 2 shown]
	s_waitcnt lgkmcnt(0)
	v_mul_f64 v[80:81], v[144:145], v[82:83]
	v_mul_f64 v[124:125], v[142:143], v[82:83]
	v_fma_f64 v[80:81], v[142:143], v[134:135], -v[80:81]
	v_fmac_f64_e32 v[124:125], v[144:145], v[134:135]
	s_waitcnt vmcnt(0)
	v_add_f64 v[120:121], v[120:121], -v[80:81]
	v_add_f64 v[122:123], v[122:123], -v[124:125]
	v_mov_b64_e32 v[80:81], v[134:135]
.LBB60_41:
	s_or_b64 exec, exec, s[0:1]
	v_lshl_add_u32 v124, v137, 4, v136
	s_barrier
	s_waitcnt vmcnt(28)
	ds_write2_b64 v124, v[116:117], v[118:119] offset1:1
	s_waitcnt lgkmcnt(0)
	s_barrier
	ds_read2_b64 v[124:127], v136 offset0:4 offset1:5
	s_cmp_lt_i32 s20, 4
	v_mov_b32_e32 v134, 2
	s_cbranch_scc1 .LBB60_44
; %bb.42:
	v_add3_u32 v135, v140, 0, 48
	s_mov_b32 s16, 3
	v_mov_b32_e32 v134, 2
.LBB60_43:                              ; =>This Inner Loop Header: Depth=1
	ds_read2_b64 v[142:145], v135 offset1:1
	s_waitcnt lgkmcnt(1)
	v_xor_b32_e32 v141, 0x80000000, v125
	v_xor_b32_e32 v149, 0x80000000, v127
	v_cmp_gt_f64_e32 vcc, 0, v[126:127]
	v_cmp_gt_f64_e64 s[0:1], 0, v[124:125]
	v_mov_b32_e32 v146, v124
	v_mov_b32_e32 v148, v126
	v_cndmask_b32_e64 v147, v125, v141, s[0:1]
	v_cndmask_b32_e32 v149, v127, v149, vcc
	s_waitcnt lgkmcnt(0)
	v_xor_b32_e32 v141, 0x80000000, v143
	v_xor_b32_e32 v151, 0x80000000, v145
	v_cmp_gt_f64_e32 vcc, 0, v[144:145]
	v_cmp_gt_f64_e64 s[0:1], 0, v[142:143]
	v_add_f64 v[146:147], v[146:147], v[148:149]
	v_mov_b32_e32 v148, v142
	v_mov_b32_e32 v150, v144
	v_cndmask_b32_e64 v149, v143, v141, s[0:1]
	v_cndmask_b32_e32 v151, v145, v151, vcc
	v_add_f64 v[148:149], v[148:149], v[150:151]
	v_mov_b32_e32 v152, s16
	s_add_i32 s16, s16, 1
	v_cmp_lt_f64_e32 vcc, v[146:147], v[148:149]
	v_add_u32_e32 v135, 16, v135
	s_cmp_lg_u32 s20, s16
	v_cndmask_b32_e32 v125, v125, v143, vcc
	v_cndmask_b32_e32 v124, v124, v142, vcc
	;; [unrolled: 1-line block ×5, first 2 shown]
	s_cbranch_scc1 .LBB60_43
.LBB60_44:
	s_waitcnt lgkmcnt(0)
	v_cmp_eq_f64_e32 vcc, 0, v[124:125]
	v_cmp_eq_f64_e64 s[0:1], 0, v[126:127]
	s_and_b64 s[0:1], vcc, s[0:1]
	s_and_saveexec_b64 s[16:17], s[0:1]
	s_xor_b64 s[0:1], exec, s[16:17]
; %bb.45:
	v_cmp_ne_u32_e32 vcc, 0, v138
	s_nop 1
	v_cndmask_b32_e32 v138, 3, v138, vcc
; %bb.46:
	s_andn2_saveexec_b64 s[0:1], s[0:1]
	s_cbranch_execz .LBB60_52
; %bb.47:
	v_cmp_ngt_f64_e64 s[16:17], |v[124:125]|, |v[126:127]|
	s_and_saveexec_b64 s[18:19], s[16:17]
	s_xor_b64 s[16:17], exec, s[18:19]
	s_cbranch_execz .LBB60_49
; %bb.48:
	v_div_scale_f64 v[142:143], s[18:19], v[126:127], v[126:127], v[124:125]
	v_rcp_f64_e32 v[144:145], v[142:143]
	v_div_scale_f64 v[146:147], vcc, v[124:125], v[126:127], v[124:125]
	v_fma_f64 v[148:149], -v[142:143], v[144:145], 1.0
	v_fmac_f64_e32 v[144:145], v[144:145], v[148:149]
	v_fma_f64 v[148:149], -v[142:143], v[144:145], 1.0
	v_fmac_f64_e32 v[144:145], v[144:145], v[148:149]
	v_mul_f64 v[148:149], v[146:147], v[144:145]
	v_fma_f64 v[142:143], -v[142:143], v[148:149], v[146:147]
	v_div_fmas_f64 v[142:143], v[142:143], v[144:145], v[148:149]
	v_div_fixup_f64 v[142:143], v[142:143], v[126:127], v[124:125]
	v_fmac_f64_e32 v[126:127], v[124:125], v[142:143]
	v_div_scale_f64 v[124:125], s[18:19], v[126:127], v[126:127], 1.0
	v_rcp_f64_e32 v[144:145], v[124:125]
	s_nop 0
	v_fma_f64 v[146:147], -v[124:125], v[144:145], 1.0
	v_fmac_f64_e32 v[144:145], v[144:145], v[146:147]
	v_fma_f64 v[146:147], -v[124:125], v[144:145], 1.0
	v_fmac_f64_e32 v[144:145], v[144:145], v[146:147]
	v_div_scale_f64 v[146:147], vcc, 1.0, v[126:127], 1.0
	v_mul_f64 v[148:149], v[146:147], v[144:145]
	v_fma_f64 v[124:125], -v[124:125], v[148:149], v[146:147]
	s_nop 1
	v_div_fmas_f64 v[124:125], v[124:125], v[144:145], v[148:149]
	v_div_fixup_f64 v[126:127], v[124:125], v[126:127], 1.0
	v_mul_f64 v[124:125], v[142:143], v[126:127]
	v_xor_b32_e32 v127, 0x80000000, v127
.LBB60_49:
	s_andn2_saveexec_b64 s[16:17], s[16:17]
	s_cbranch_execz .LBB60_51
; %bb.50:
	v_div_scale_f64 v[142:143], s[18:19], v[124:125], v[124:125], v[126:127]
	v_rcp_f64_e32 v[144:145], v[142:143]
	v_div_scale_f64 v[146:147], vcc, v[126:127], v[124:125], v[126:127]
	v_fma_f64 v[148:149], -v[142:143], v[144:145], 1.0
	v_fmac_f64_e32 v[144:145], v[144:145], v[148:149]
	v_fma_f64 v[148:149], -v[142:143], v[144:145], 1.0
	v_fmac_f64_e32 v[144:145], v[144:145], v[148:149]
	v_mul_f64 v[148:149], v[146:147], v[144:145]
	v_fma_f64 v[142:143], -v[142:143], v[148:149], v[146:147]
	v_div_fmas_f64 v[142:143], v[142:143], v[144:145], v[148:149]
	v_div_fixup_f64 v[142:143], v[142:143], v[124:125], v[126:127]
	v_fmac_f64_e32 v[124:125], v[126:127], v[142:143]
	v_div_scale_f64 v[126:127], s[18:19], v[124:125], v[124:125], 1.0
	v_rcp_f64_e32 v[144:145], v[126:127]
	s_nop 0
	v_fma_f64 v[146:147], -v[126:127], v[144:145], 1.0
	v_fmac_f64_e32 v[144:145], v[144:145], v[146:147]
	v_fma_f64 v[146:147], -v[126:127], v[144:145], 1.0
	v_fmac_f64_e32 v[144:145], v[144:145], v[146:147]
	v_div_scale_f64 v[146:147], vcc, 1.0, v[124:125], 1.0
	v_mul_f64 v[148:149], v[146:147], v[144:145]
	v_fma_f64 v[126:127], -v[126:127], v[148:149], v[146:147]
	s_nop 1
	v_div_fmas_f64 v[126:127], v[126:127], v[144:145], v[148:149]
	v_div_fixup_f64 v[124:125], v[126:127], v[124:125], 1.0
	v_mul_f64 v[126:127], v[142:143], -v[124:125]
.LBB60_51:
	s_or_b64 exec, exec, s[16:17]
.LBB60_52:
	s_or_b64 exec, exec, s[0:1]
	v_cmp_ne_u32_e32 vcc, v137, v134
	s_and_saveexec_b64 s[0:1], vcc
	s_xor_b64 s[0:1], exec, s[0:1]
	s_cbranch_execz .LBB60_58
; %bb.53:
	v_cmp_eq_u32_e32 vcc, 2, v137
	s_and_saveexec_b64 s[16:17], vcc
	s_cbranch_execz .LBB60_57
; %bb.54:
	v_cmp_ne_u32_e32 vcc, 2, v134
	s_xor_b64 s[18:19], s[14:15], -1
	s_and_b64 s[22:23], s[18:19], vcc
	s_and_saveexec_b64 s[18:19], s[22:23]
	s_cbranch_execz .LBB60_56
; %bb.55:
	v_ashrrev_i32_e32 v135, 31, v134
	v_lshl_add_u64 v[142:143], v[134:135], 2, v[132:133]
	global_load_dword v135, v[142:143], off
	global_load_dword v137, v[132:133], off offset:8
	s_waitcnt vmcnt(1)
	global_store_dword v[132:133], v135, off offset:8
	s_waitcnt vmcnt(1)
	global_store_dword v[142:143], v137, off
.LBB60_56:
	s_or_b64 exec, exec, s[18:19]
	v_mov_b32_e32 v137, v134
	v_mov_b32_e32 v139, v134
.LBB60_57:
	s_or_b64 exec, exec, s[16:17]
.LBB60_58:
	s_andn2_saveexec_b64 s[0:1], s[0:1]
	s_cbranch_execz .LBB60_60
; %bb.59:
	v_mov_b32_e32 v137, 2
	s_waitcnt vmcnt(27)
	ds_write2_b64 v136, v[112:113], v[114:115] offset0:6 offset1:7
	s_waitcnt vmcnt(26)
	ds_write2_b64 v136, v[108:109], v[110:111] offset0:8 offset1:9
	;; [unrolled: 2-line block ×28, first 2 shown]
.LBB60_60:
	s_or_b64 exec, exec, s[0:1]
	v_cmp_lt_i32_e32 vcc, 2, v137
	s_waitcnt lgkmcnt(0)
	s_barrier
	s_and_saveexec_b64 s[0:1], vcc
	s_cbranch_execz .LBB60_62
; %bb.61:
	ds_read2_b64 v[142:145], v136 offset0:6 offset1:7
	v_mul_f64 v[134:135], v[126:127], v[118:119]
	v_mul_f64 v[118:119], v[124:125], v[118:119]
	v_fma_f64 v[134:135], v[124:125], v[116:117], -v[134:135]
	v_fmac_f64_e32 v[118:119], v[126:127], v[116:117]
	ds_read2_b64 v[124:127], v136 offset0:8 offset1:9
	s_waitcnt lgkmcnt(1)
	v_mul_f64 v[116:117], v[144:145], v[118:119]
	v_fma_f64 v[116:117], v[142:143], v[134:135], -v[116:117]
	v_mul_f64 v[142:143], v[142:143], v[118:119]
	v_fmac_f64_e32 v[142:143], v[144:145], v[134:135]
	s_waitcnt vmcnt(27)
	v_add_f64 v[112:113], v[112:113], -v[116:117]
	s_waitcnt lgkmcnt(0)
	v_mul_f64 v[116:117], v[126:127], v[118:119]
	v_add_f64 v[114:115], v[114:115], -v[142:143]
	v_fma_f64 v[116:117], v[124:125], v[134:135], -v[116:117]
	v_mul_f64 v[124:125], v[124:125], v[118:119]
	ds_read2_b64 v[142:145], v136 offset0:10 offset1:11
	v_fmac_f64_e32 v[124:125], v[126:127], v[134:135]
	s_waitcnt vmcnt(26)
	v_add_f64 v[110:111], v[110:111], -v[124:125]
	ds_read2_b64 v[124:127], v136 offset0:12 offset1:13
	v_add_f64 v[108:109], v[108:109], -v[116:117]
	s_waitcnt lgkmcnt(1)
	v_mul_f64 v[116:117], v[144:145], v[118:119]
	v_fma_f64 v[116:117], v[142:143], v[134:135], -v[116:117]
	v_mul_f64 v[142:143], v[142:143], v[118:119]
	v_fmac_f64_e32 v[142:143], v[144:145], v[134:135]
	s_waitcnt vmcnt(25)
	v_add_f64 v[104:105], v[104:105], -v[116:117]
	s_waitcnt lgkmcnt(0)
	v_mul_f64 v[116:117], v[126:127], v[118:119]
	v_add_f64 v[106:107], v[106:107], -v[142:143]
	v_fma_f64 v[116:117], v[124:125], v[134:135], -v[116:117]
	v_mul_f64 v[124:125], v[124:125], v[118:119]
	ds_read2_b64 v[142:145], v136 offset0:14 offset1:15
	v_fmac_f64_e32 v[124:125], v[126:127], v[134:135]
	s_waitcnt vmcnt(24)
	v_add_f64 v[102:103], v[102:103], -v[124:125]
	ds_read2_b64 v[124:127], v136 offset0:16 offset1:17
	v_add_f64 v[100:101], v[100:101], -v[116:117]
	s_waitcnt lgkmcnt(1)
	v_mul_f64 v[116:117], v[144:145], v[118:119]
	v_fma_f64 v[116:117], v[142:143], v[134:135], -v[116:117]
	v_mul_f64 v[142:143], v[142:143], v[118:119]
	v_fmac_f64_e32 v[142:143], v[144:145], v[134:135]
	s_waitcnt vmcnt(23)
	v_add_f64 v[96:97], v[96:97], -v[116:117]
	s_waitcnt lgkmcnt(0)
	v_mul_f64 v[116:117], v[126:127], v[118:119]
	v_add_f64 v[98:99], v[98:99], -v[142:143]
	v_fma_f64 v[116:117], v[124:125], v[134:135], -v[116:117]
	v_mul_f64 v[124:125], v[124:125], v[118:119]
	ds_read2_b64 v[142:145], v136 offset0:18 offset1:19
	v_fmac_f64_e32 v[124:125], v[126:127], v[134:135]
	s_waitcnt vmcnt(22)
	v_add_f64 v[94:95], v[94:95], -v[124:125]
	ds_read2_b64 v[124:127], v136 offset0:20 offset1:21
	v_add_f64 v[92:93], v[92:93], -v[116:117]
	s_waitcnt lgkmcnt(1)
	v_mul_f64 v[116:117], v[144:145], v[118:119]
	v_fma_f64 v[116:117], v[142:143], v[134:135], -v[116:117]
	v_mul_f64 v[142:143], v[142:143], v[118:119]
	v_fmac_f64_e32 v[142:143], v[144:145], v[134:135]
	s_waitcnt vmcnt(21)
	v_add_f64 v[88:89], v[88:89], -v[116:117]
	s_waitcnt lgkmcnt(0)
	v_mul_f64 v[116:117], v[126:127], v[118:119]
	v_add_f64 v[90:91], v[90:91], -v[142:143]
	v_fma_f64 v[116:117], v[124:125], v[134:135], -v[116:117]
	v_mul_f64 v[124:125], v[124:125], v[118:119]
	ds_read2_b64 v[142:145], v136 offset0:22 offset1:23
	v_fmac_f64_e32 v[124:125], v[126:127], v[134:135]
	s_waitcnt vmcnt(20)
	v_add_f64 v[78:79], v[78:79], -v[124:125]
	ds_read2_b64 v[124:127], v136 offset0:24 offset1:25
	v_add_f64 v[76:77], v[76:77], -v[116:117]
	s_waitcnt lgkmcnt(1)
	v_mul_f64 v[116:117], v[144:145], v[118:119]
	v_fma_f64 v[116:117], v[142:143], v[134:135], -v[116:117]
	v_mul_f64 v[142:143], v[142:143], v[118:119]
	v_fmac_f64_e32 v[142:143], v[144:145], v[134:135]
	s_waitcnt vmcnt(19)
	v_add_f64 v[72:73], v[72:73], -v[116:117]
	s_waitcnt lgkmcnt(0)
	v_mul_f64 v[116:117], v[126:127], v[118:119]
	v_add_f64 v[74:75], v[74:75], -v[142:143]
	v_fma_f64 v[116:117], v[124:125], v[134:135], -v[116:117]
	v_mul_f64 v[124:125], v[124:125], v[118:119]
	ds_read2_b64 v[142:145], v136 offset0:26 offset1:27
	v_fmac_f64_e32 v[124:125], v[126:127], v[134:135]
	s_waitcnt vmcnt(18)
	v_add_f64 v[70:71], v[70:71], -v[124:125]
	ds_read2_b64 v[124:127], v136 offset0:28 offset1:29
	v_add_f64 v[68:69], v[68:69], -v[116:117]
	s_waitcnt lgkmcnt(1)
	v_mul_f64 v[116:117], v[144:145], v[118:119]
	v_fma_f64 v[116:117], v[142:143], v[134:135], -v[116:117]
	v_mul_f64 v[142:143], v[142:143], v[118:119]
	v_fmac_f64_e32 v[142:143], v[144:145], v[134:135]
	s_waitcnt vmcnt(17)
	v_add_f64 v[64:65], v[64:65], -v[116:117]
	s_waitcnt lgkmcnt(0)
	v_mul_f64 v[116:117], v[126:127], v[118:119]
	v_add_f64 v[66:67], v[66:67], -v[142:143]
	v_fma_f64 v[116:117], v[124:125], v[134:135], -v[116:117]
	v_mul_f64 v[124:125], v[124:125], v[118:119]
	ds_read2_b64 v[142:145], v136 offset0:30 offset1:31
	v_fmac_f64_e32 v[124:125], v[126:127], v[134:135]
	s_waitcnt vmcnt(16)
	v_add_f64 v[58:59], v[58:59], -v[124:125]
	ds_read2_b64 v[124:127], v136 offset0:32 offset1:33
	v_add_f64 v[56:57], v[56:57], -v[116:117]
	s_waitcnt lgkmcnt(1)
	v_mul_f64 v[116:117], v[144:145], v[118:119]
	v_fma_f64 v[116:117], v[142:143], v[134:135], -v[116:117]
	v_mul_f64 v[142:143], v[142:143], v[118:119]
	v_fmac_f64_e32 v[142:143], v[144:145], v[134:135]
	s_waitcnt vmcnt(15)
	v_add_f64 v[60:61], v[60:61], -v[116:117]
	s_waitcnt lgkmcnt(0)
	v_mul_f64 v[116:117], v[126:127], v[118:119]
	v_add_f64 v[62:63], v[62:63], -v[142:143]
	v_fma_f64 v[116:117], v[124:125], v[134:135], -v[116:117]
	v_mul_f64 v[124:125], v[124:125], v[118:119]
	ds_read2_b64 v[142:145], v136 offset0:34 offset1:35
	v_fmac_f64_e32 v[124:125], v[126:127], v[134:135]
	s_waitcnt vmcnt(14)
	v_add_f64 v[54:55], v[54:55], -v[124:125]
	ds_read2_b64 v[124:127], v136 offset0:36 offset1:37
	v_add_f64 v[52:53], v[52:53], -v[116:117]
	s_waitcnt lgkmcnt(1)
	v_mul_f64 v[116:117], v[144:145], v[118:119]
	v_fma_f64 v[116:117], v[142:143], v[134:135], -v[116:117]
	v_mul_f64 v[142:143], v[142:143], v[118:119]
	v_fmac_f64_e32 v[142:143], v[144:145], v[134:135]
	s_waitcnt vmcnt(13)
	v_add_f64 v[48:49], v[48:49], -v[116:117]
	s_waitcnt lgkmcnt(0)
	v_mul_f64 v[116:117], v[126:127], v[118:119]
	v_add_f64 v[50:51], v[50:51], -v[142:143]
	v_fma_f64 v[116:117], v[124:125], v[134:135], -v[116:117]
	v_mul_f64 v[124:125], v[124:125], v[118:119]
	ds_read2_b64 v[142:145], v136 offset0:38 offset1:39
	v_fmac_f64_e32 v[124:125], v[126:127], v[134:135]
	s_waitcnt vmcnt(12)
	v_add_f64 v[46:47], v[46:47], -v[124:125]
	ds_read2_b64 v[124:127], v136 offset0:40 offset1:41
	v_add_f64 v[44:45], v[44:45], -v[116:117]
	s_waitcnt lgkmcnt(1)
	v_mul_f64 v[116:117], v[144:145], v[118:119]
	v_fma_f64 v[116:117], v[142:143], v[134:135], -v[116:117]
	v_mul_f64 v[142:143], v[142:143], v[118:119]
	v_fmac_f64_e32 v[142:143], v[144:145], v[134:135]
	s_waitcnt vmcnt(11)
	v_add_f64 v[40:41], v[40:41], -v[116:117]
	s_waitcnt lgkmcnt(0)
	v_mul_f64 v[116:117], v[126:127], v[118:119]
	v_add_f64 v[42:43], v[42:43], -v[142:143]
	v_fma_f64 v[116:117], v[124:125], v[134:135], -v[116:117]
	v_mul_f64 v[124:125], v[124:125], v[118:119]
	ds_read2_b64 v[142:145], v136 offset0:42 offset1:43
	v_fmac_f64_e32 v[124:125], v[126:127], v[134:135]
	s_waitcnt vmcnt(10)
	v_add_f64 v[38:39], v[38:39], -v[124:125]
	ds_read2_b64 v[124:127], v136 offset0:44 offset1:45
	v_add_f64 v[36:37], v[36:37], -v[116:117]
	s_waitcnt lgkmcnt(1)
	v_mul_f64 v[116:117], v[144:145], v[118:119]
	v_fma_f64 v[116:117], v[142:143], v[134:135], -v[116:117]
	v_mul_f64 v[142:143], v[142:143], v[118:119]
	v_fmac_f64_e32 v[142:143], v[144:145], v[134:135]
	s_waitcnt vmcnt(9)
	v_add_f64 v[32:33], v[32:33], -v[116:117]
	s_waitcnt lgkmcnt(0)
	v_mul_f64 v[116:117], v[126:127], v[118:119]
	v_add_f64 v[34:35], v[34:35], -v[142:143]
	v_fma_f64 v[116:117], v[124:125], v[134:135], -v[116:117]
	v_mul_f64 v[124:125], v[124:125], v[118:119]
	ds_read2_b64 v[142:145], v136 offset0:46 offset1:47
	v_fmac_f64_e32 v[124:125], v[126:127], v[134:135]
	s_waitcnt vmcnt(8)
	v_add_f64 v[30:31], v[30:31], -v[124:125]
	ds_read2_b64 v[124:127], v136 offset0:48 offset1:49
	v_add_f64 v[28:29], v[28:29], -v[116:117]
	s_waitcnt lgkmcnt(1)
	v_mul_f64 v[116:117], v[144:145], v[118:119]
	v_fma_f64 v[116:117], v[142:143], v[134:135], -v[116:117]
	v_mul_f64 v[142:143], v[142:143], v[118:119]
	v_fmac_f64_e32 v[142:143], v[144:145], v[134:135]
	s_waitcnt vmcnt(7)
	v_add_f64 v[24:25], v[24:25], -v[116:117]
	s_waitcnt lgkmcnt(0)
	v_mul_f64 v[116:117], v[126:127], v[118:119]
	v_add_f64 v[26:27], v[26:27], -v[142:143]
	v_fma_f64 v[116:117], v[124:125], v[134:135], -v[116:117]
	v_mul_f64 v[124:125], v[124:125], v[118:119]
	ds_read2_b64 v[142:145], v136 offset0:50 offset1:51
	v_fmac_f64_e32 v[124:125], v[126:127], v[134:135]
	s_waitcnt vmcnt(6)
	v_add_f64 v[22:23], v[22:23], -v[124:125]
	ds_read2_b64 v[124:127], v136 offset0:52 offset1:53
	v_add_f64 v[20:21], v[20:21], -v[116:117]
	s_waitcnt lgkmcnt(1)
	v_mul_f64 v[116:117], v[144:145], v[118:119]
	v_fma_f64 v[116:117], v[142:143], v[134:135], -v[116:117]
	v_mul_f64 v[142:143], v[142:143], v[118:119]
	v_fmac_f64_e32 v[142:143], v[144:145], v[134:135]
	s_waitcnt vmcnt(5)
	v_add_f64 v[16:17], v[16:17], -v[116:117]
	s_waitcnt lgkmcnt(0)
	v_mul_f64 v[116:117], v[126:127], v[118:119]
	v_add_f64 v[18:19], v[18:19], -v[142:143]
	v_fma_f64 v[116:117], v[124:125], v[134:135], -v[116:117]
	v_mul_f64 v[124:125], v[124:125], v[118:119]
	ds_read2_b64 v[142:145], v136 offset0:54 offset1:55
	v_fmac_f64_e32 v[124:125], v[126:127], v[134:135]
	s_waitcnt vmcnt(4)
	v_add_f64 v[14:15], v[14:15], -v[124:125]
	ds_read2_b64 v[124:127], v136 offset0:56 offset1:57
	v_add_f64 v[12:13], v[12:13], -v[116:117]
	s_waitcnt lgkmcnt(1)
	v_mul_f64 v[116:117], v[144:145], v[118:119]
	v_fma_f64 v[116:117], v[142:143], v[134:135], -v[116:117]
	v_mul_f64 v[142:143], v[142:143], v[118:119]
	v_fmac_f64_e32 v[142:143], v[144:145], v[134:135]
	s_waitcnt vmcnt(3)
	v_add_f64 v[8:9], v[8:9], -v[116:117]
	s_waitcnt lgkmcnt(0)
	v_mul_f64 v[116:117], v[126:127], v[118:119]
	v_add_f64 v[10:11], v[10:11], -v[142:143]
	v_fma_f64 v[116:117], v[124:125], v[134:135], -v[116:117]
	v_mul_f64 v[124:125], v[124:125], v[118:119]
	ds_read2_b64 v[142:145], v136 offset0:58 offset1:59
	v_fmac_f64_e32 v[124:125], v[126:127], v[134:135]
	s_waitcnt vmcnt(2)
	v_add_f64 v[6:7], v[6:7], -v[124:125]
	ds_read2_b64 v[124:127], v136 offset0:60 offset1:61
	v_add_f64 v[4:5], v[4:5], -v[116:117]
	s_waitcnt lgkmcnt(1)
	v_mul_f64 v[116:117], v[144:145], v[118:119]
	v_fma_f64 v[116:117], v[142:143], v[134:135], -v[116:117]
	s_waitcnt vmcnt(1)
	v_add_f64 v[0:1], v[0:1], -v[116:117]
	s_waitcnt lgkmcnt(0)
	v_mul_f64 v[116:117], v[126:127], v[118:119]
	v_mul_f64 v[142:143], v[142:143], v[118:119]
	v_fma_f64 v[116:117], v[124:125], v[134:135], -v[116:117]
	v_mul_f64 v[124:125], v[124:125], v[118:119]
	v_fmac_f64_e32 v[142:143], v[144:145], v[134:135]
	v_fmac_f64_e32 v[124:125], v[126:127], v[134:135]
	v_add_f64 v[2:3], v[2:3], -v[142:143]
	s_waitcnt vmcnt(0)
	v_add_f64 v[120:121], v[120:121], -v[116:117]
	v_add_f64 v[122:123], v[122:123], -v[124:125]
	v_mov_b64_e32 v[116:117], v[134:135]
.LBB60_62:
	s_or_b64 exec, exec, s[0:1]
	v_lshl_add_u32 v124, v137, 4, v136
	s_barrier
	s_waitcnt vmcnt(27)
	ds_write2_b64 v124, v[112:113], v[114:115] offset1:1
	s_waitcnt lgkmcnt(0)
	s_barrier
	ds_read2_b64 v[124:127], v136 offset0:6 offset1:7
	s_mov_b32 s16, 4
	s_cmp_lt_i32 s20, 5
	v_mov_b32_e32 v134, 3
	s_cbranch_scc1 .LBB60_65
; %bb.63:
	v_add3_u32 v135, v140, 0, 64
	v_mov_b32_e32 v134, 3
.LBB60_64:                              ; =>This Inner Loop Header: Depth=1
	ds_read2_b64 v[140:143], v135 offset1:1
	s_waitcnt lgkmcnt(1)
	v_xor_b32_e32 v145, 0x80000000, v125
	v_xor_b32_e32 v147, 0x80000000, v127
	v_cmp_gt_f64_e32 vcc, 0, v[126:127]
	v_cmp_gt_f64_e64 s[0:1], 0, v[124:125]
	v_mov_b32_e32 v144, v124
	v_mov_b32_e32 v146, v126
	v_cndmask_b32_e64 v145, v125, v145, s[0:1]
	v_cndmask_b32_e32 v147, v127, v147, vcc
	v_add_f64 v[144:145], v[144:145], v[146:147]
	s_waitcnt lgkmcnt(0)
	v_xor_b32_e32 v147, 0x80000000, v141
	v_xor_b32_e32 v149, 0x80000000, v143
	v_cmp_gt_f64_e32 vcc, 0, v[142:143]
	v_cmp_gt_f64_e64 s[0:1], 0, v[140:141]
	v_mov_b32_e32 v146, v140
	v_mov_b32_e32 v148, v142
	v_cndmask_b32_e64 v147, v141, v147, s[0:1]
	v_cndmask_b32_e32 v149, v143, v149, vcc
	v_add_f64 v[146:147], v[146:147], v[148:149]
	v_mov_b32_e32 v150, s16
	s_add_i32 s16, s16, 1
	v_cmp_lt_f64_e32 vcc, v[144:145], v[146:147]
	v_add_u32_e32 v135, 16, v135
	s_cmp_lg_u32 s20, s16
	v_cndmask_b32_e32 v125, v125, v141, vcc
	v_cndmask_b32_e32 v124, v124, v140, vcc
	;; [unrolled: 1-line block ×5, first 2 shown]
	s_cbranch_scc1 .LBB60_64
.LBB60_65:
	s_waitcnt lgkmcnt(0)
	v_cmp_eq_f64_e32 vcc, 0, v[124:125]
	v_cmp_eq_f64_e64 s[0:1], 0, v[126:127]
	s_and_b64 s[0:1], vcc, s[0:1]
	s_and_saveexec_b64 s[16:17], s[0:1]
	s_xor_b64 s[0:1], exec, s[16:17]
; %bb.66:
	v_cmp_ne_u32_e32 vcc, 0, v138
	s_nop 1
	v_cndmask_b32_e32 v138, 4, v138, vcc
; %bb.67:
	s_andn2_saveexec_b64 s[0:1], s[0:1]
	s_cbranch_execz .LBB60_73
; %bb.68:
	v_cmp_ngt_f64_e64 s[16:17], |v[124:125]|, |v[126:127]|
	s_and_saveexec_b64 s[18:19], s[16:17]
	s_xor_b64 s[16:17], exec, s[18:19]
	s_cbranch_execz .LBB60_70
; %bb.69:
	v_div_scale_f64 v[140:141], s[18:19], v[126:127], v[126:127], v[124:125]
	v_rcp_f64_e32 v[142:143], v[140:141]
	v_div_scale_f64 v[144:145], vcc, v[124:125], v[126:127], v[124:125]
	v_fma_f64 v[146:147], -v[140:141], v[142:143], 1.0
	v_fmac_f64_e32 v[142:143], v[142:143], v[146:147]
	v_fma_f64 v[146:147], -v[140:141], v[142:143], 1.0
	v_fmac_f64_e32 v[142:143], v[142:143], v[146:147]
	v_mul_f64 v[146:147], v[144:145], v[142:143]
	v_fma_f64 v[140:141], -v[140:141], v[146:147], v[144:145]
	v_div_fmas_f64 v[140:141], v[140:141], v[142:143], v[146:147]
	v_div_fixup_f64 v[140:141], v[140:141], v[126:127], v[124:125]
	v_fmac_f64_e32 v[126:127], v[124:125], v[140:141]
	v_div_scale_f64 v[124:125], s[18:19], v[126:127], v[126:127], 1.0
	v_rcp_f64_e32 v[142:143], v[124:125]
	s_nop 0
	v_fma_f64 v[144:145], -v[124:125], v[142:143], 1.0
	v_fmac_f64_e32 v[142:143], v[142:143], v[144:145]
	v_fma_f64 v[144:145], -v[124:125], v[142:143], 1.0
	v_fmac_f64_e32 v[142:143], v[142:143], v[144:145]
	v_div_scale_f64 v[144:145], vcc, 1.0, v[126:127], 1.0
	v_mul_f64 v[146:147], v[144:145], v[142:143]
	v_fma_f64 v[124:125], -v[124:125], v[146:147], v[144:145]
	s_nop 1
	v_div_fmas_f64 v[124:125], v[124:125], v[142:143], v[146:147]
	v_div_fixup_f64 v[126:127], v[124:125], v[126:127], 1.0
	v_mul_f64 v[124:125], v[140:141], v[126:127]
	v_xor_b32_e32 v127, 0x80000000, v127
.LBB60_70:
	s_andn2_saveexec_b64 s[16:17], s[16:17]
	s_cbranch_execz .LBB60_72
; %bb.71:
	v_div_scale_f64 v[140:141], s[18:19], v[124:125], v[124:125], v[126:127]
	v_rcp_f64_e32 v[142:143], v[140:141]
	v_div_scale_f64 v[144:145], vcc, v[126:127], v[124:125], v[126:127]
	v_fma_f64 v[146:147], -v[140:141], v[142:143], 1.0
	v_fmac_f64_e32 v[142:143], v[142:143], v[146:147]
	v_fma_f64 v[146:147], -v[140:141], v[142:143], 1.0
	v_fmac_f64_e32 v[142:143], v[142:143], v[146:147]
	v_mul_f64 v[146:147], v[144:145], v[142:143]
	v_fma_f64 v[140:141], -v[140:141], v[146:147], v[144:145]
	v_div_fmas_f64 v[140:141], v[140:141], v[142:143], v[146:147]
	v_div_fixup_f64 v[140:141], v[140:141], v[124:125], v[126:127]
	v_fmac_f64_e32 v[124:125], v[126:127], v[140:141]
	v_div_scale_f64 v[126:127], s[18:19], v[124:125], v[124:125], 1.0
	v_rcp_f64_e32 v[142:143], v[126:127]
	s_nop 0
	v_fma_f64 v[144:145], -v[126:127], v[142:143], 1.0
	v_fmac_f64_e32 v[142:143], v[142:143], v[144:145]
	v_fma_f64 v[144:145], -v[126:127], v[142:143], 1.0
	v_fmac_f64_e32 v[142:143], v[142:143], v[144:145]
	v_div_scale_f64 v[144:145], vcc, 1.0, v[124:125], 1.0
	v_mul_f64 v[146:147], v[144:145], v[142:143]
	v_fma_f64 v[126:127], -v[126:127], v[146:147], v[144:145]
	s_nop 1
	v_div_fmas_f64 v[126:127], v[126:127], v[142:143], v[146:147]
	v_div_fixup_f64 v[124:125], v[126:127], v[124:125], 1.0
	v_mul_f64 v[126:127], v[140:141], -v[124:125]
.LBB60_72:
	s_or_b64 exec, exec, s[16:17]
.LBB60_73:
	s_or_b64 exec, exec, s[0:1]
	v_cmp_ne_u32_e32 vcc, v137, v134
	s_and_saveexec_b64 s[0:1], vcc
	s_xor_b64 s[0:1], exec, s[0:1]
	s_cbranch_execz .LBB60_79
; %bb.74:
	v_cmp_eq_u32_e32 vcc, 3, v137
	s_and_saveexec_b64 s[16:17], vcc
	s_cbranch_execz .LBB60_78
; %bb.75:
	v_cmp_ne_u32_e32 vcc, 3, v134
	s_xor_b64 s[18:19], s[14:15], -1
	s_and_b64 s[22:23], s[18:19], vcc
	s_and_saveexec_b64 s[18:19], s[22:23]
	s_cbranch_execz .LBB60_77
; %bb.76:
	v_ashrrev_i32_e32 v135, 31, v134
	v_lshl_add_u64 v[140:141], v[134:135], 2, v[132:133]
	global_load_dword v135, v[140:141], off
	global_load_dword v137, v[132:133], off offset:12
	s_waitcnt vmcnt(1)
	global_store_dword v[132:133], v135, off offset:12
	s_waitcnt vmcnt(1)
	global_store_dword v[140:141], v137, off
.LBB60_77:
	s_or_b64 exec, exec, s[18:19]
	v_mov_b32_e32 v137, v134
	v_mov_b32_e32 v139, v134
.LBB60_78:
	s_or_b64 exec, exec, s[16:17]
.LBB60_79:
	s_andn2_saveexec_b64 s[0:1], s[0:1]
	s_cbranch_execz .LBB60_81
; %bb.80:
	v_mov_b32_e32 v137, 3
	s_waitcnt vmcnt(26)
	ds_write2_b64 v136, v[108:109], v[110:111] offset0:8 offset1:9
	s_waitcnt vmcnt(25)
	ds_write2_b64 v136, v[104:105], v[106:107] offset0:10 offset1:11
	s_waitcnt vmcnt(24)
	ds_write2_b64 v136, v[100:101], v[102:103] offset0:12 offset1:13
	s_waitcnt vmcnt(23)
	ds_write2_b64 v136, v[96:97], v[98:99] offset0:14 offset1:15
	s_waitcnt vmcnt(22)
	ds_write2_b64 v136, v[92:93], v[94:95] offset0:16 offset1:17
	s_waitcnt vmcnt(21)
	ds_write2_b64 v136, v[88:89], v[90:91] offset0:18 offset1:19
	s_waitcnt vmcnt(20)
	ds_write2_b64 v136, v[76:77], v[78:79] offset0:20 offset1:21
	s_waitcnt vmcnt(19)
	ds_write2_b64 v136, v[72:73], v[74:75] offset0:22 offset1:23
	s_waitcnt vmcnt(18)
	ds_write2_b64 v136, v[68:69], v[70:71] offset0:24 offset1:25
	s_waitcnt vmcnt(17)
	ds_write2_b64 v136, v[64:65], v[66:67] offset0:26 offset1:27
	s_waitcnt vmcnt(16)
	ds_write2_b64 v136, v[56:57], v[58:59] offset0:28 offset1:29
	s_waitcnt vmcnt(15)
	ds_write2_b64 v136, v[60:61], v[62:63] offset0:30 offset1:31
	s_waitcnt vmcnt(14)
	ds_write2_b64 v136, v[52:53], v[54:55] offset0:32 offset1:33
	s_waitcnt vmcnt(13)
	ds_write2_b64 v136, v[48:49], v[50:51] offset0:34 offset1:35
	s_waitcnt vmcnt(12)
	ds_write2_b64 v136, v[44:45], v[46:47] offset0:36 offset1:37
	s_waitcnt vmcnt(11)
	ds_write2_b64 v136, v[40:41], v[42:43] offset0:38 offset1:39
	s_waitcnt vmcnt(10)
	ds_write2_b64 v136, v[36:37], v[38:39] offset0:40 offset1:41
	s_waitcnt vmcnt(9)
	ds_write2_b64 v136, v[32:33], v[34:35] offset0:42 offset1:43
	s_waitcnt vmcnt(8)
	ds_write2_b64 v136, v[28:29], v[30:31] offset0:44 offset1:45
	s_waitcnt vmcnt(7)
	ds_write2_b64 v136, v[24:25], v[26:27] offset0:46 offset1:47
	s_waitcnt vmcnt(6)
	ds_write2_b64 v136, v[20:21], v[22:23] offset0:48 offset1:49
	s_waitcnt vmcnt(5)
	ds_write2_b64 v136, v[16:17], v[18:19] offset0:50 offset1:51
	s_waitcnt vmcnt(4)
	ds_write2_b64 v136, v[12:13], v[14:15] offset0:52 offset1:53
	s_waitcnt vmcnt(3)
	ds_write2_b64 v136, v[8:9], v[10:11] offset0:54 offset1:55
	s_waitcnt vmcnt(2)
	ds_write2_b64 v136, v[4:5], v[6:7] offset0:56 offset1:57
	s_waitcnt vmcnt(1)
	ds_write2_b64 v136, v[0:1], v[2:3] offset0:58 offset1:59
	s_waitcnt vmcnt(0)
	ds_write2_b64 v136, v[120:121], v[122:123] offset0:60 offset1:61
.LBB60_81:
	s_or_b64 exec, exec, s[0:1]
	v_cmp_lt_i32_e32 vcc, 3, v137
	s_waitcnt lgkmcnt(0)
	s_barrier
	s_and_saveexec_b64 s[0:1], vcc
	s_cbranch_execz .LBB60_83
; %bb.82:
	ds_read2_b64 v[140:143], v136 offset0:8 offset1:9
	v_mul_f64 v[134:135], v[126:127], v[114:115]
	v_mul_f64 v[114:115], v[124:125], v[114:115]
	v_fmac_f64_e32 v[114:115], v[126:127], v[112:113]
	v_fma_f64 v[134:135], v[124:125], v[112:113], -v[134:135]
	ds_read2_b64 v[124:127], v136 offset0:10 offset1:11
	s_waitcnt lgkmcnt(1)
	v_mul_f64 v[112:113], v[142:143], v[114:115]
	v_fma_f64 v[112:113], v[140:141], v[134:135], -v[112:113]
	v_mul_f64 v[140:141], v[140:141], v[114:115]
	v_fmac_f64_e32 v[140:141], v[142:143], v[134:135]
	s_waitcnt vmcnt(26)
	v_add_f64 v[110:111], v[110:111], -v[140:141]
	ds_read2_b64 v[140:143], v136 offset0:12 offset1:13
	v_add_f64 v[108:109], v[108:109], -v[112:113]
	s_waitcnt lgkmcnt(1)
	v_mul_f64 v[112:113], v[126:127], v[114:115]
	v_fma_f64 v[112:113], v[124:125], v[134:135], -v[112:113]
	v_mul_f64 v[124:125], v[124:125], v[114:115]
	v_fmac_f64_e32 v[124:125], v[126:127], v[134:135]
	s_waitcnt vmcnt(25)
	v_add_f64 v[104:105], v[104:105], -v[112:113]
	v_add_f64 v[106:107], v[106:107], -v[124:125]
	ds_read2_b64 v[124:127], v136 offset0:14 offset1:15
	s_waitcnt lgkmcnt(1)
	v_mul_f64 v[112:113], v[142:143], v[114:115]
	v_fma_f64 v[112:113], v[140:141], v[134:135], -v[112:113]
	v_mul_f64 v[140:141], v[140:141], v[114:115]
	v_fmac_f64_e32 v[140:141], v[142:143], v[134:135]
	s_waitcnt vmcnt(24)
	v_add_f64 v[102:103], v[102:103], -v[140:141]
	ds_read2_b64 v[140:143], v136 offset0:16 offset1:17
	v_add_f64 v[100:101], v[100:101], -v[112:113]
	s_waitcnt lgkmcnt(1)
	v_mul_f64 v[112:113], v[126:127], v[114:115]
	v_fma_f64 v[112:113], v[124:125], v[134:135], -v[112:113]
	v_mul_f64 v[124:125], v[124:125], v[114:115]
	v_fmac_f64_e32 v[124:125], v[126:127], v[134:135]
	s_waitcnt vmcnt(23)
	v_add_f64 v[96:97], v[96:97], -v[112:113]
	v_add_f64 v[98:99], v[98:99], -v[124:125]
	;; [unrolled: 18-line block ×13, first 2 shown]
	s_waitcnt lgkmcnt(0)
	v_mul_f64 v[112:113], v[142:143], v[114:115]
	v_mul_f64 v[124:125], v[140:141], v[114:115]
	v_fma_f64 v[112:113], v[140:141], v[134:135], -v[112:113]
	v_fmac_f64_e32 v[124:125], v[142:143], v[134:135]
	s_waitcnt vmcnt(0)
	v_add_f64 v[120:121], v[120:121], -v[112:113]
	v_add_f64 v[122:123], v[122:123], -v[124:125]
	v_mov_b64_e32 v[112:113], v[134:135]
.LBB60_83:
	s_or_b64 exec, exec, s[0:1]
	v_lshl_add_u32 v124, v137, 4, v136
	s_barrier
	s_waitcnt vmcnt(26)
	ds_write2_b64 v124, v[108:109], v[110:111] offset1:1
	s_waitcnt lgkmcnt(0)
	s_barrier
	ds_read2_b64 v[124:127], v136 offset0:8 offset1:9
	s_cmp_lt_i32 s20, 6
	v_mov_b32_e32 v134, 4
	s_cbranch_scc1 .LBB60_86
; %bb.84:
	v_mov_b32_e32 v134, 4
	v_add_u32_e32 v135, 0x50, v136
	s_mov_b32 s16, 5
.LBB60_85:                              ; =>This Inner Loop Header: Depth=1
	ds_read2_b64 v[140:143], v135 offset1:1
	s_waitcnt lgkmcnt(1)
	v_xor_b32_e32 v145, 0x80000000, v125
	v_xor_b32_e32 v147, 0x80000000, v127
	v_cmp_gt_f64_e32 vcc, 0, v[126:127]
	v_cmp_gt_f64_e64 s[0:1], 0, v[124:125]
	v_mov_b32_e32 v144, v124
	v_mov_b32_e32 v146, v126
	v_cndmask_b32_e64 v145, v125, v145, s[0:1]
	v_cndmask_b32_e32 v147, v127, v147, vcc
	v_add_f64 v[144:145], v[144:145], v[146:147]
	s_waitcnt lgkmcnt(0)
	v_xor_b32_e32 v147, 0x80000000, v141
	v_xor_b32_e32 v149, 0x80000000, v143
	v_cmp_gt_f64_e32 vcc, 0, v[142:143]
	v_cmp_gt_f64_e64 s[0:1], 0, v[140:141]
	v_mov_b32_e32 v146, v140
	v_mov_b32_e32 v148, v142
	v_cndmask_b32_e64 v147, v141, v147, s[0:1]
	v_cndmask_b32_e32 v149, v143, v149, vcc
	v_add_f64 v[146:147], v[146:147], v[148:149]
	v_mov_b32_e32 v150, s16
	s_add_i32 s16, s16, 1
	v_cmp_lt_f64_e32 vcc, v[144:145], v[146:147]
	v_add_u32_e32 v135, 16, v135
	s_cmp_lg_u32 s20, s16
	v_cndmask_b32_e32 v125, v125, v141, vcc
	v_cndmask_b32_e32 v124, v124, v140, vcc
	;; [unrolled: 1-line block ×5, first 2 shown]
	s_cbranch_scc1 .LBB60_85
.LBB60_86:
	s_waitcnt lgkmcnt(0)
	v_cmp_eq_f64_e32 vcc, 0, v[124:125]
	v_cmp_eq_f64_e64 s[0:1], 0, v[126:127]
	s_and_b64 s[0:1], vcc, s[0:1]
	s_and_saveexec_b64 s[16:17], s[0:1]
	s_xor_b64 s[0:1], exec, s[16:17]
; %bb.87:
	v_cmp_ne_u32_e32 vcc, 0, v138
	s_nop 1
	v_cndmask_b32_e32 v138, 5, v138, vcc
; %bb.88:
	s_andn2_saveexec_b64 s[0:1], s[0:1]
	s_cbranch_execz .LBB60_94
; %bb.89:
	v_cmp_ngt_f64_e64 s[16:17], |v[124:125]|, |v[126:127]|
	s_and_saveexec_b64 s[18:19], s[16:17]
	s_xor_b64 s[16:17], exec, s[18:19]
	s_cbranch_execz .LBB60_91
; %bb.90:
	v_div_scale_f64 v[140:141], s[18:19], v[126:127], v[126:127], v[124:125]
	v_rcp_f64_e32 v[142:143], v[140:141]
	v_div_scale_f64 v[144:145], vcc, v[124:125], v[126:127], v[124:125]
	v_fma_f64 v[146:147], -v[140:141], v[142:143], 1.0
	v_fmac_f64_e32 v[142:143], v[142:143], v[146:147]
	v_fma_f64 v[146:147], -v[140:141], v[142:143], 1.0
	v_fmac_f64_e32 v[142:143], v[142:143], v[146:147]
	v_mul_f64 v[146:147], v[144:145], v[142:143]
	v_fma_f64 v[140:141], -v[140:141], v[146:147], v[144:145]
	v_div_fmas_f64 v[140:141], v[140:141], v[142:143], v[146:147]
	v_div_fixup_f64 v[140:141], v[140:141], v[126:127], v[124:125]
	v_fmac_f64_e32 v[126:127], v[124:125], v[140:141]
	v_div_scale_f64 v[124:125], s[18:19], v[126:127], v[126:127], 1.0
	v_rcp_f64_e32 v[142:143], v[124:125]
	s_nop 0
	v_fma_f64 v[144:145], -v[124:125], v[142:143], 1.0
	v_fmac_f64_e32 v[142:143], v[142:143], v[144:145]
	v_fma_f64 v[144:145], -v[124:125], v[142:143], 1.0
	v_fmac_f64_e32 v[142:143], v[142:143], v[144:145]
	v_div_scale_f64 v[144:145], vcc, 1.0, v[126:127], 1.0
	v_mul_f64 v[146:147], v[144:145], v[142:143]
	v_fma_f64 v[124:125], -v[124:125], v[146:147], v[144:145]
	s_nop 1
	v_div_fmas_f64 v[124:125], v[124:125], v[142:143], v[146:147]
	v_div_fixup_f64 v[126:127], v[124:125], v[126:127], 1.0
	v_mul_f64 v[124:125], v[140:141], v[126:127]
	v_xor_b32_e32 v127, 0x80000000, v127
.LBB60_91:
	s_andn2_saveexec_b64 s[16:17], s[16:17]
	s_cbranch_execz .LBB60_93
; %bb.92:
	v_div_scale_f64 v[140:141], s[18:19], v[124:125], v[124:125], v[126:127]
	v_rcp_f64_e32 v[142:143], v[140:141]
	v_div_scale_f64 v[144:145], vcc, v[126:127], v[124:125], v[126:127]
	v_fma_f64 v[146:147], -v[140:141], v[142:143], 1.0
	v_fmac_f64_e32 v[142:143], v[142:143], v[146:147]
	v_fma_f64 v[146:147], -v[140:141], v[142:143], 1.0
	v_fmac_f64_e32 v[142:143], v[142:143], v[146:147]
	v_mul_f64 v[146:147], v[144:145], v[142:143]
	v_fma_f64 v[140:141], -v[140:141], v[146:147], v[144:145]
	v_div_fmas_f64 v[140:141], v[140:141], v[142:143], v[146:147]
	v_div_fixup_f64 v[140:141], v[140:141], v[124:125], v[126:127]
	v_fmac_f64_e32 v[124:125], v[126:127], v[140:141]
	v_div_scale_f64 v[126:127], s[18:19], v[124:125], v[124:125], 1.0
	v_rcp_f64_e32 v[142:143], v[126:127]
	s_nop 0
	v_fma_f64 v[144:145], -v[126:127], v[142:143], 1.0
	v_fmac_f64_e32 v[142:143], v[142:143], v[144:145]
	v_fma_f64 v[144:145], -v[126:127], v[142:143], 1.0
	v_fmac_f64_e32 v[142:143], v[142:143], v[144:145]
	v_div_scale_f64 v[144:145], vcc, 1.0, v[124:125], 1.0
	v_mul_f64 v[146:147], v[144:145], v[142:143]
	v_fma_f64 v[126:127], -v[126:127], v[146:147], v[144:145]
	s_nop 1
	v_div_fmas_f64 v[126:127], v[126:127], v[142:143], v[146:147]
	v_div_fixup_f64 v[124:125], v[126:127], v[124:125], 1.0
	v_mul_f64 v[126:127], v[140:141], -v[124:125]
.LBB60_93:
	s_or_b64 exec, exec, s[16:17]
.LBB60_94:
	s_or_b64 exec, exec, s[0:1]
	v_cmp_ne_u32_e32 vcc, v137, v134
	s_and_saveexec_b64 s[0:1], vcc
	s_xor_b64 s[0:1], exec, s[0:1]
	s_cbranch_execz .LBB60_100
; %bb.95:
	v_cmp_eq_u32_e32 vcc, 4, v137
	s_and_saveexec_b64 s[16:17], vcc
	s_cbranch_execz .LBB60_99
; %bb.96:
	v_cmp_ne_u32_e32 vcc, 4, v134
	s_xor_b64 s[18:19], s[14:15], -1
	s_and_b64 s[22:23], s[18:19], vcc
	s_and_saveexec_b64 s[18:19], s[22:23]
	s_cbranch_execz .LBB60_98
; %bb.97:
	v_ashrrev_i32_e32 v135, 31, v134
	v_lshl_add_u64 v[140:141], v[134:135], 2, v[132:133]
	global_load_dword v135, v[140:141], off
	global_load_dword v137, v[132:133], off offset:16
	s_waitcnt vmcnt(1)
	global_store_dword v[132:133], v135, off offset:16
	s_waitcnt vmcnt(1)
	global_store_dword v[140:141], v137, off
.LBB60_98:
	s_or_b64 exec, exec, s[18:19]
	v_mov_b32_e32 v137, v134
	v_mov_b32_e32 v139, v134
.LBB60_99:
	s_or_b64 exec, exec, s[16:17]
.LBB60_100:
	s_andn2_saveexec_b64 s[0:1], s[0:1]
	s_cbranch_execz .LBB60_102
; %bb.101:
	v_mov_b32_e32 v137, 4
	s_waitcnt vmcnt(25)
	ds_write2_b64 v136, v[104:105], v[106:107] offset0:10 offset1:11
	s_waitcnt vmcnt(24)
	ds_write2_b64 v136, v[100:101], v[102:103] offset0:12 offset1:13
	;; [unrolled: 2-line block ×26, first 2 shown]
.LBB60_102:
	s_or_b64 exec, exec, s[0:1]
	v_cmp_lt_i32_e32 vcc, 4, v137
	s_waitcnt lgkmcnt(0)
	s_barrier
	s_and_saveexec_b64 s[0:1], vcc
	s_cbranch_execz .LBB60_104
; %bb.103:
	ds_read2_b64 v[140:143], v136 offset0:10 offset1:11
	v_mul_f64 v[134:135], v[126:127], v[110:111]
	v_mul_f64 v[110:111], v[124:125], v[110:111]
	v_fma_f64 v[134:135], v[124:125], v[108:109], -v[134:135]
	v_fmac_f64_e32 v[110:111], v[126:127], v[108:109]
	ds_read2_b64 v[124:127], v136 offset0:12 offset1:13
	s_waitcnt lgkmcnt(1)
	v_mul_f64 v[108:109], v[142:143], v[110:111]
	v_fma_f64 v[108:109], v[140:141], v[134:135], -v[108:109]
	v_mul_f64 v[140:141], v[140:141], v[110:111]
	v_fmac_f64_e32 v[140:141], v[142:143], v[134:135]
	s_waitcnt vmcnt(25)
	v_add_f64 v[104:105], v[104:105], -v[108:109]
	s_waitcnt lgkmcnt(0)
	v_mul_f64 v[108:109], v[126:127], v[110:111]
	v_add_f64 v[106:107], v[106:107], -v[140:141]
	v_fma_f64 v[108:109], v[124:125], v[134:135], -v[108:109]
	v_mul_f64 v[124:125], v[124:125], v[110:111]
	ds_read2_b64 v[140:143], v136 offset0:14 offset1:15
	v_fmac_f64_e32 v[124:125], v[126:127], v[134:135]
	s_waitcnt vmcnt(24)
	v_add_f64 v[102:103], v[102:103], -v[124:125]
	ds_read2_b64 v[124:127], v136 offset0:16 offset1:17
	v_add_f64 v[100:101], v[100:101], -v[108:109]
	s_waitcnt lgkmcnt(1)
	v_mul_f64 v[108:109], v[142:143], v[110:111]
	v_fma_f64 v[108:109], v[140:141], v[134:135], -v[108:109]
	v_mul_f64 v[140:141], v[140:141], v[110:111]
	v_fmac_f64_e32 v[140:141], v[142:143], v[134:135]
	s_waitcnt vmcnt(23)
	v_add_f64 v[96:97], v[96:97], -v[108:109]
	s_waitcnt lgkmcnt(0)
	v_mul_f64 v[108:109], v[126:127], v[110:111]
	v_add_f64 v[98:99], v[98:99], -v[140:141]
	v_fma_f64 v[108:109], v[124:125], v[134:135], -v[108:109]
	v_mul_f64 v[124:125], v[124:125], v[110:111]
	ds_read2_b64 v[140:143], v136 offset0:18 offset1:19
	v_fmac_f64_e32 v[124:125], v[126:127], v[134:135]
	s_waitcnt vmcnt(22)
	v_add_f64 v[94:95], v[94:95], -v[124:125]
	ds_read2_b64 v[124:127], v136 offset0:20 offset1:21
	v_add_f64 v[92:93], v[92:93], -v[108:109]
	;; [unrolled: 18-line block ×12, first 2 shown]
	s_waitcnt lgkmcnt(1)
	v_mul_f64 v[108:109], v[142:143], v[110:111]
	v_fma_f64 v[108:109], v[140:141], v[134:135], -v[108:109]
	s_waitcnt vmcnt(1)
	v_add_f64 v[0:1], v[0:1], -v[108:109]
	s_waitcnt lgkmcnt(0)
	v_mul_f64 v[108:109], v[126:127], v[110:111]
	v_mul_f64 v[140:141], v[140:141], v[110:111]
	v_fma_f64 v[108:109], v[124:125], v[134:135], -v[108:109]
	v_mul_f64 v[124:125], v[124:125], v[110:111]
	v_fmac_f64_e32 v[140:141], v[142:143], v[134:135]
	v_fmac_f64_e32 v[124:125], v[126:127], v[134:135]
	v_add_f64 v[2:3], v[2:3], -v[140:141]
	s_waitcnt vmcnt(0)
	v_add_f64 v[120:121], v[120:121], -v[108:109]
	v_add_f64 v[122:123], v[122:123], -v[124:125]
	v_mov_b64_e32 v[108:109], v[134:135]
.LBB60_104:
	s_or_b64 exec, exec, s[0:1]
	v_lshl_add_u32 v124, v137, 4, v136
	s_barrier
	s_waitcnt vmcnt(25)
	ds_write2_b64 v124, v[104:105], v[106:107] offset1:1
	s_waitcnt lgkmcnt(0)
	s_barrier
	ds_read2_b64 v[124:127], v136 offset0:10 offset1:11
	s_cmp_lt_i32 s20, 7
	v_mov_b32_e32 v134, 5
	s_cbranch_scc1 .LBB60_107
; %bb.105:
	v_add_u32_e32 v135, 0x60, v136
	s_mov_b32 s16, 6
	v_mov_b32_e32 v134, 5
.LBB60_106:                             ; =>This Inner Loop Header: Depth=1
	ds_read2_b64 v[140:143], v135 offset1:1
	s_waitcnt lgkmcnt(1)
	v_xor_b32_e32 v145, 0x80000000, v125
	v_xor_b32_e32 v147, 0x80000000, v127
	v_cmp_gt_f64_e32 vcc, 0, v[126:127]
	v_cmp_gt_f64_e64 s[0:1], 0, v[124:125]
	v_mov_b32_e32 v144, v124
	v_mov_b32_e32 v146, v126
	v_cndmask_b32_e64 v145, v125, v145, s[0:1]
	v_cndmask_b32_e32 v147, v127, v147, vcc
	v_add_f64 v[144:145], v[144:145], v[146:147]
	s_waitcnt lgkmcnt(0)
	v_xor_b32_e32 v147, 0x80000000, v141
	v_xor_b32_e32 v149, 0x80000000, v143
	v_cmp_gt_f64_e32 vcc, 0, v[142:143]
	v_cmp_gt_f64_e64 s[0:1], 0, v[140:141]
	v_mov_b32_e32 v146, v140
	v_mov_b32_e32 v148, v142
	v_cndmask_b32_e64 v147, v141, v147, s[0:1]
	v_cndmask_b32_e32 v149, v143, v149, vcc
	v_add_f64 v[146:147], v[146:147], v[148:149]
	v_mov_b32_e32 v150, s16
	s_add_i32 s16, s16, 1
	v_cmp_lt_f64_e32 vcc, v[144:145], v[146:147]
	v_add_u32_e32 v135, 16, v135
	s_cmp_lg_u32 s20, s16
	v_cndmask_b32_e32 v125, v125, v141, vcc
	v_cndmask_b32_e32 v124, v124, v140, vcc
	;; [unrolled: 1-line block ×5, first 2 shown]
	s_cbranch_scc1 .LBB60_106
.LBB60_107:
	s_waitcnt lgkmcnt(0)
	v_cmp_eq_f64_e32 vcc, 0, v[124:125]
	v_cmp_eq_f64_e64 s[0:1], 0, v[126:127]
	s_and_b64 s[0:1], vcc, s[0:1]
	s_and_saveexec_b64 s[16:17], s[0:1]
	s_xor_b64 s[0:1], exec, s[16:17]
; %bb.108:
	v_cmp_ne_u32_e32 vcc, 0, v138
	s_nop 1
	v_cndmask_b32_e32 v138, 6, v138, vcc
; %bb.109:
	s_andn2_saveexec_b64 s[0:1], s[0:1]
	s_cbranch_execz .LBB60_115
; %bb.110:
	v_cmp_ngt_f64_e64 s[16:17], |v[124:125]|, |v[126:127]|
	s_and_saveexec_b64 s[18:19], s[16:17]
	s_xor_b64 s[16:17], exec, s[18:19]
	s_cbranch_execz .LBB60_112
; %bb.111:
	v_div_scale_f64 v[140:141], s[18:19], v[126:127], v[126:127], v[124:125]
	v_rcp_f64_e32 v[142:143], v[140:141]
	v_div_scale_f64 v[144:145], vcc, v[124:125], v[126:127], v[124:125]
	v_fma_f64 v[146:147], -v[140:141], v[142:143], 1.0
	v_fmac_f64_e32 v[142:143], v[142:143], v[146:147]
	v_fma_f64 v[146:147], -v[140:141], v[142:143], 1.0
	v_fmac_f64_e32 v[142:143], v[142:143], v[146:147]
	v_mul_f64 v[146:147], v[144:145], v[142:143]
	v_fma_f64 v[140:141], -v[140:141], v[146:147], v[144:145]
	v_div_fmas_f64 v[140:141], v[140:141], v[142:143], v[146:147]
	v_div_fixup_f64 v[140:141], v[140:141], v[126:127], v[124:125]
	v_fmac_f64_e32 v[126:127], v[124:125], v[140:141]
	v_div_scale_f64 v[124:125], s[18:19], v[126:127], v[126:127], 1.0
	v_rcp_f64_e32 v[142:143], v[124:125]
	s_nop 0
	v_fma_f64 v[144:145], -v[124:125], v[142:143], 1.0
	v_fmac_f64_e32 v[142:143], v[142:143], v[144:145]
	v_fma_f64 v[144:145], -v[124:125], v[142:143], 1.0
	v_fmac_f64_e32 v[142:143], v[142:143], v[144:145]
	v_div_scale_f64 v[144:145], vcc, 1.0, v[126:127], 1.0
	v_mul_f64 v[146:147], v[144:145], v[142:143]
	v_fma_f64 v[124:125], -v[124:125], v[146:147], v[144:145]
	s_nop 1
	v_div_fmas_f64 v[124:125], v[124:125], v[142:143], v[146:147]
	v_div_fixup_f64 v[126:127], v[124:125], v[126:127], 1.0
	v_mul_f64 v[124:125], v[140:141], v[126:127]
	v_xor_b32_e32 v127, 0x80000000, v127
.LBB60_112:
	s_andn2_saveexec_b64 s[16:17], s[16:17]
	s_cbranch_execz .LBB60_114
; %bb.113:
	v_div_scale_f64 v[140:141], s[18:19], v[124:125], v[124:125], v[126:127]
	v_rcp_f64_e32 v[142:143], v[140:141]
	v_div_scale_f64 v[144:145], vcc, v[126:127], v[124:125], v[126:127]
	v_fma_f64 v[146:147], -v[140:141], v[142:143], 1.0
	v_fmac_f64_e32 v[142:143], v[142:143], v[146:147]
	v_fma_f64 v[146:147], -v[140:141], v[142:143], 1.0
	v_fmac_f64_e32 v[142:143], v[142:143], v[146:147]
	v_mul_f64 v[146:147], v[144:145], v[142:143]
	v_fma_f64 v[140:141], -v[140:141], v[146:147], v[144:145]
	v_div_fmas_f64 v[140:141], v[140:141], v[142:143], v[146:147]
	v_div_fixup_f64 v[140:141], v[140:141], v[124:125], v[126:127]
	v_fmac_f64_e32 v[124:125], v[126:127], v[140:141]
	v_div_scale_f64 v[126:127], s[18:19], v[124:125], v[124:125], 1.0
	v_rcp_f64_e32 v[142:143], v[126:127]
	s_nop 0
	v_fma_f64 v[144:145], -v[126:127], v[142:143], 1.0
	v_fmac_f64_e32 v[142:143], v[142:143], v[144:145]
	v_fma_f64 v[144:145], -v[126:127], v[142:143], 1.0
	v_fmac_f64_e32 v[142:143], v[142:143], v[144:145]
	v_div_scale_f64 v[144:145], vcc, 1.0, v[124:125], 1.0
	v_mul_f64 v[146:147], v[144:145], v[142:143]
	v_fma_f64 v[126:127], -v[126:127], v[146:147], v[144:145]
	s_nop 1
	v_div_fmas_f64 v[126:127], v[126:127], v[142:143], v[146:147]
	v_div_fixup_f64 v[124:125], v[126:127], v[124:125], 1.0
	v_mul_f64 v[126:127], v[140:141], -v[124:125]
.LBB60_114:
	s_or_b64 exec, exec, s[16:17]
.LBB60_115:
	s_or_b64 exec, exec, s[0:1]
	v_cmp_ne_u32_e32 vcc, v137, v134
	s_and_saveexec_b64 s[0:1], vcc
	s_xor_b64 s[0:1], exec, s[0:1]
	s_cbranch_execz .LBB60_121
; %bb.116:
	v_cmp_eq_u32_e32 vcc, 5, v137
	s_and_saveexec_b64 s[16:17], vcc
	s_cbranch_execz .LBB60_120
; %bb.117:
	v_cmp_ne_u32_e32 vcc, 5, v134
	s_xor_b64 s[18:19], s[14:15], -1
	s_and_b64 s[22:23], s[18:19], vcc
	s_and_saveexec_b64 s[18:19], s[22:23]
	s_cbranch_execz .LBB60_119
; %bb.118:
	v_ashrrev_i32_e32 v135, 31, v134
	v_lshl_add_u64 v[140:141], v[134:135], 2, v[132:133]
	global_load_dword v135, v[140:141], off
	global_load_dword v137, v[132:133], off offset:20
	s_waitcnt vmcnt(1)
	global_store_dword v[132:133], v135, off offset:20
	s_waitcnt vmcnt(1)
	global_store_dword v[140:141], v137, off
.LBB60_119:
	s_or_b64 exec, exec, s[18:19]
	v_mov_b32_e32 v137, v134
	v_mov_b32_e32 v139, v134
.LBB60_120:
	s_or_b64 exec, exec, s[16:17]
.LBB60_121:
	s_andn2_saveexec_b64 s[0:1], s[0:1]
	s_cbranch_execz .LBB60_123
; %bb.122:
	v_mov_b32_e32 v137, 5
	s_waitcnt vmcnt(24)
	ds_write2_b64 v136, v[100:101], v[102:103] offset0:12 offset1:13
	s_waitcnt vmcnt(23)
	ds_write2_b64 v136, v[96:97], v[98:99] offset0:14 offset1:15
	;; [unrolled: 2-line block ×25, first 2 shown]
.LBB60_123:
	s_or_b64 exec, exec, s[0:1]
	v_cmp_lt_i32_e32 vcc, 5, v137
	s_waitcnt lgkmcnt(0)
	s_barrier
	s_and_saveexec_b64 s[0:1], vcc
	s_cbranch_execz .LBB60_125
; %bb.124:
	ds_read2_b64 v[140:143], v136 offset0:12 offset1:13
	v_mul_f64 v[134:135], v[126:127], v[106:107]
	v_mul_f64 v[106:107], v[124:125], v[106:107]
	v_fmac_f64_e32 v[106:107], v[126:127], v[104:105]
	v_fma_f64 v[134:135], v[124:125], v[104:105], -v[134:135]
	ds_read2_b64 v[124:127], v136 offset0:14 offset1:15
	s_waitcnt lgkmcnt(1)
	v_mul_f64 v[104:105], v[142:143], v[106:107]
	v_fma_f64 v[104:105], v[140:141], v[134:135], -v[104:105]
	v_mul_f64 v[140:141], v[140:141], v[106:107]
	v_fmac_f64_e32 v[140:141], v[142:143], v[134:135]
	s_waitcnt vmcnt(24)
	v_add_f64 v[102:103], v[102:103], -v[140:141]
	ds_read2_b64 v[140:143], v136 offset0:16 offset1:17
	v_add_f64 v[100:101], v[100:101], -v[104:105]
	s_waitcnt lgkmcnt(1)
	v_mul_f64 v[104:105], v[126:127], v[106:107]
	v_fma_f64 v[104:105], v[124:125], v[134:135], -v[104:105]
	v_mul_f64 v[124:125], v[124:125], v[106:107]
	v_fmac_f64_e32 v[124:125], v[126:127], v[134:135]
	s_waitcnt vmcnt(23)
	v_add_f64 v[96:97], v[96:97], -v[104:105]
	v_add_f64 v[98:99], v[98:99], -v[124:125]
	ds_read2_b64 v[124:127], v136 offset0:18 offset1:19
	s_waitcnt lgkmcnt(1)
	v_mul_f64 v[104:105], v[142:143], v[106:107]
	v_fma_f64 v[104:105], v[140:141], v[134:135], -v[104:105]
	v_mul_f64 v[140:141], v[140:141], v[106:107]
	v_fmac_f64_e32 v[140:141], v[142:143], v[134:135]
	s_waitcnt vmcnt(22)
	v_add_f64 v[94:95], v[94:95], -v[140:141]
	ds_read2_b64 v[140:143], v136 offset0:20 offset1:21
	v_add_f64 v[92:93], v[92:93], -v[104:105]
	s_waitcnt lgkmcnt(1)
	v_mul_f64 v[104:105], v[126:127], v[106:107]
	v_fma_f64 v[104:105], v[124:125], v[134:135], -v[104:105]
	v_mul_f64 v[124:125], v[124:125], v[106:107]
	v_fmac_f64_e32 v[124:125], v[126:127], v[134:135]
	s_waitcnt vmcnt(21)
	v_add_f64 v[88:89], v[88:89], -v[104:105]
	v_add_f64 v[90:91], v[90:91], -v[124:125]
	;; [unrolled: 18-line block ×12, first 2 shown]
	s_waitcnt lgkmcnt(0)
	v_mul_f64 v[104:105], v[142:143], v[106:107]
	v_mul_f64 v[124:125], v[140:141], v[106:107]
	v_fma_f64 v[104:105], v[140:141], v[134:135], -v[104:105]
	v_fmac_f64_e32 v[124:125], v[142:143], v[134:135]
	s_waitcnt vmcnt(0)
	v_add_f64 v[120:121], v[120:121], -v[104:105]
	v_add_f64 v[122:123], v[122:123], -v[124:125]
	v_mov_b64_e32 v[104:105], v[134:135]
.LBB60_125:
	s_or_b64 exec, exec, s[0:1]
	v_lshl_add_u32 v124, v137, 4, v136
	s_barrier
	s_waitcnt vmcnt(24)
	ds_write2_b64 v124, v[100:101], v[102:103] offset1:1
	s_waitcnt lgkmcnt(0)
	s_barrier
	ds_read2_b64 v[124:127], v136 offset0:12 offset1:13
	s_cmp_lt_i32 s20, 8
	v_mov_b32_e32 v134, 6
	s_cbranch_scc1 .LBB60_128
; %bb.126:
	v_add_u32_e32 v135, 0x70, v136
	s_mov_b32 s16, 7
	v_mov_b32_e32 v134, 6
.LBB60_127:                             ; =>This Inner Loop Header: Depth=1
	ds_read2_b64 v[140:143], v135 offset1:1
	s_waitcnt lgkmcnt(1)
	v_xor_b32_e32 v145, 0x80000000, v125
	v_xor_b32_e32 v147, 0x80000000, v127
	v_cmp_gt_f64_e32 vcc, 0, v[126:127]
	v_cmp_gt_f64_e64 s[0:1], 0, v[124:125]
	v_mov_b32_e32 v144, v124
	v_mov_b32_e32 v146, v126
	v_cndmask_b32_e64 v145, v125, v145, s[0:1]
	v_cndmask_b32_e32 v147, v127, v147, vcc
	v_add_f64 v[144:145], v[144:145], v[146:147]
	s_waitcnt lgkmcnt(0)
	v_xor_b32_e32 v147, 0x80000000, v141
	v_xor_b32_e32 v149, 0x80000000, v143
	v_cmp_gt_f64_e32 vcc, 0, v[142:143]
	v_cmp_gt_f64_e64 s[0:1], 0, v[140:141]
	v_mov_b32_e32 v146, v140
	v_mov_b32_e32 v148, v142
	v_cndmask_b32_e64 v147, v141, v147, s[0:1]
	v_cndmask_b32_e32 v149, v143, v149, vcc
	v_add_f64 v[146:147], v[146:147], v[148:149]
	v_mov_b32_e32 v150, s16
	s_add_i32 s16, s16, 1
	v_cmp_lt_f64_e32 vcc, v[144:145], v[146:147]
	v_add_u32_e32 v135, 16, v135
	s_cmp_lg_u32 s20, s16
	v_cndmask_b32_e32 v125, v125, v141, vcc
	v_cndmask_b32_e32 v124, v124, v140, vcc
	;; [unrolled: 1-line block ×5, first 2 shown]
	s_cbranch_scc1 .LBB60_127
.LBB60_128:
	s_waitcnt lgkmcnt(0)
	v_cmp_eq_f64_e32 vcc, 0, v[124:125]
	v_cmp_eq_f64_e64 s[0:1], 0, v[126:127]
	s_and_b64 s[0:1], vcc, s[0:1]
	s_and_saveexec_b64 s[16:17], s[0:1]
	s_xor_b64 s[0:1], exec, s[16:17]
; %bb.129:
	v_cmp_ne_u32_e32 vcc, 0, v138
	s_nop 1
	v_cndmask_b32_e32 v138, 7, v138, vcc
; %bb.130:
	s_andn2_saveexec_b64 s[0:1], s[0:1]
	s_cbranch_execz .LBB60_136
; %bb.131:
	v_cmp_ngt_f64_e64 s[16:17], |v[124:125]|, |v[126:127]|
	s_and_saveexec_b64 s[18:19], s[16:17]
	s_xor_b64 s[16:17], exec, s[18:19]
	s_cbranch_execz .LBB60_133
; %bb.132:
	v_div_scale_f64 v[140:141], s[18:19], v[126:127], v[126:127], v[124:125]
	v_rcp_f64_e32 v[142:143], v[140:141]
	v_div_scale_f64 v[144:145], vcc, v[124:125], v[126:127], v[124:125]
	v_fma_f64 v[146:147], -v[140:141], v[142:143], 1.0
	v_fmac_f64_e32 v[142:143], v[142:143], v[146:147]
	v_fma_f64 v[146:147], -v[140:141], v[142:143], 1.0
	v_fmac_f64_e32 v[142:143], v[142:143], v[146:147]
	v_mul_f64 v[146:147], v[144:145], v[142:143]
	v_fma_f64 v[140:141], -v[140:141], v[146:147], v[144:145]
	v_div_fmas_f64 v[140:141], v[140:141], v[142:143], v[146:147]
	v_div_fixup_f64 v[140:141], v[140:141], v[126:127], v[124:125]
	v_fmac_f64_e32 v[126:127], v[124:125], v[140:141]
	v_div_scale_f64 v[124:125], s[18:19], v[126:127], v[126:127], 1.0
	v_rcp_f64_e32 v[142:143], v[124:125]
	s_nop 0
	v_fma_f64 v[144:145], -v[124:125], v[142:143], 1.0
	v_fmac_f64_e32 v[142:143], v[142:143], v[144:145]
	v_fma_f64 v[144:145], -v[124:125], v[142:143], 1.0
	v_fmac_f64_e32 v[142:143], v[142:143], v[144:145]
	v_div_scale_f64 v[144:145], vcc, 1.0, v[126:127], 1.0
	v_mul_f64 v[146:147], v[144:145], v[142:143]
	v_fma_f64 v[124:125], -v[124:125], v[146:147], v[144:145]
	s_nop 1
	v_div_fmas_f64 v[124:125], v[124:125], v[142:143], v[146:147]
	v_div_fixup_f64 v[126:127], v[124:125], v[126:127], 1.0
	v_mul_f64 v[124:125], v[140:141], v[126:127]
	v_xor_b32_e32 v127, 0x80000000, v127
.LBB60_133:
	s_andn2_saveexec_b64 s[16:17], s[16:17]
	s_cbranch_execz .LBB60_135
; %bb.134:
	v_div_scale_f64 v[140:141], s[18:19], v[124:125], v[124:125], v[126:127]
	v_rcp_f64_e32 v[142:143], v[140:141]
	v_div_scale_f64 v[144:145], vcc, v[126:127], v[124:125], v[126:127]
	v_fma_f64 v[146:147], -v[140:141], v[142:143], 1.0
	v_fmac_f64_e32 v[142:143], v[142:143], v[146:147]
	v_fma_f64 v[146:147], -v[140:141], v[142:143], 1.0
	v_fmac_f64_e32 v[142:143], v[142:143], v[146:147]
	v_mul_f64 v[146:147], v[144:145], v[142:143]
	v_fma_f64 v[140:141], -v[140:141], v[146:147], v[144:145]
	v_div_fmas_f64 v[140:141], v[140:141], v[142:143], v[146:147]
	v_div_fixup_f64 v[140:141], v[140:141], v[124:125], v[126:127]
	v_fmac_f64_e32 v[124:125], v[126:127], v[140:141]
	v_div_scale_f64 v[126:127], s[18:19], v[124:125], v[124:125], 1.0
	v_rcp_f64_e32 v[142:143], v[126:127]
	s_nop 0
	v_fma_f64 v[144:145], -v[126:127], v[142:143], 1.0
	v_fmac_f64_e32 v[142:143], v[142:143], v[144:145]
	v_fma_f64 v[144:145], -v[126:127], v[142:143], 1.0
	v_fmac_f64_e32 v[142:143], v[142:143], v[144:145]
	v_div_scale_f64 v[144:145], vcc, 1.0, v[124:125], 1.0
	v_mul_f64 v[146:147], v[144:145], v[142:143]
	v_fma_f64 v[126:127], -v[126:127], v[146:147], v[144:145]
	s_nop 1
	v_div_fmas_f64 v[126:127], v[126:127], v[142:143], v[146:147]
	v_div_fixup_f64 v[124:125], v[126:127], v[124:125], 1.0
	v_mul_f64 v[126:127], v[140:141], -v[124:125]
.LBB60_135:
	s_or_b64 exec, exec, s[16:17]
.LBB60_136:
	s_or_b64 exec, exec, s[0:1]
	v_cmp_ne_u32_e32 vcc, v137, v134
	s_and_saveexec_b64 s[0:1], vcc
	s_xor_b64 s[0:1], exec, s[0:1]
	s_cbranch_execz .LBB60_142
; %bb.137:
	v_cmp_eq_u32_e32 vcc, 6, v137
	s_and_saveexec_b64 s[16:17], vcc
	s_cbranch_execz .LBB60_141
; %bb.138:
	v_cmp_ne_u32_e32 vcc, 6, v134
	s_xor_b64 s[18:19], s[14:15], -1
	s_and_b64 s[22:23], s[18:19], vcc
	s_and_saveexec_b64 s[18:19], s[22:23]
	s_cbranch_execz .LBB60_140
; %bb.139:
	v_ashrrev_i32_e32 v135, 31, v134
	v_lshl_add_u64 v[140:141], v[134:135], 2, v[132:133]
	global_load_dword v135, v[140:141], off
	global_load_dword v137, v[132:133], off offset:24
	s_waitcnt vmcnt(1)
	global_store_dword v[132:133], v135, off offset:24
	s_waitcnt vmcnt(1)
	global_store_dword v[140:141], v137, off
.LBB60_140:
	s_or_b64 exec, exec, s[18:19]
	v_mov_b32_e32 v137, v134
	v_mov_b32_e32 v139, v134
.LBB60_141:
	s_or_b64 exec, exec, s[16:17]
.LBB60_142:
	s_andn2_saveexec_b64 s[0:1], s[0:1]
	s_cbranch_execz .LBB60_144
; %bb.143:
	v_mov_b32_e32 v137, 6
	s_waitcnt vmcnt(23)
	ds_write2_b64 v136, v[96:97], v[98:99] offset0:14 offset1:15
	s_waitcnt vmcnt(22)
	ds_write2_b64 v136, v[92:93], v[94:95] offset0:16 offset1:17
	;; [unrolled: 2-line block ×24, first 2 shown]
.LBB60_144:
	s_or_b64 exec, exec, s[0:1]
	v_cmp_lt_i32_e32 vcc, 6, v137
	s_waitcnt lgkmcnt(0)
	s_barrier
	s_and_saveexec_b64 s[0:1], vcc
	s_cbranch_execz .LBB60_146
; %bb.145:
	ds_read2_b64 v[140:143], v136 offset0:14 offset1:15
	v_mul_f64 v[134:135], v[126:127], v[102:103]
	v_mul_f64 v[102:103], v[124:125], v[102:103]
	v_fma_f64 v[134:135], v[124:125], v[100:101], -v[134:135]
	v_fmac_f64_e32 v[102:103], v[126:127], v[100:101]
	ds_read2_b64 v[124:127], v136 offset0:16 offset1:17
	s_waitcnt lgkmcnt(1)
	v_mul_f64 v[100:101], v[142:143], v[102:103]
	v_fma_f64 v[100:101], v[140:141], v[134:135], -v[100:101]
	v_mul_f64 v[140:141], v[140:141], v[102:103]
	v_fmac_f64_e32 v[140:141], v[142:143], v[134:135]
	s_waitcnt vmcnt(23)
	v_add_f64 v[96:97], v[96:97], -v[100:101]
	s_waitcnt lgkmcnt(0)
	v_mul_f64 v[100:101], v[126:127], v[102:103]
	v_add_f64 v[98:99], v[98:99], -v[140:141]
	v_fma_f64 v[100:101], v[124:125], v[134:135], -v[100:101]
	v_mul_f64 v[124:125], v[124:125], v[102:103]
	ds_read2_b64 v[140:143], v136 offset0:18 offset1:19
	v_fmac_f64_e32 v[124:125], v[126:127], v[134:135]
	s_waitcnt vmcnt(22)
	v_add_f64 v[94:95], v[94:95], -v[124:125]
	ds_read2_b64 v[124:127], v136 offset0:20 offset1:21
	v_add_f64 v[92:93], v[92:93], -v[100:101]
	s_waitcnt lgkmcnt(1)
	v_mul_f64 v[100:101], v[142:143], v[102:103]
	v_fma_f64 v[100:101], v[140:141], v[134:135], -v[100:101]
	v_mul_f64 v[140:141], v[140:141], v[102:103]
	v_fmac_f64_e32 v[140:141], v[142:143], v[134:135]
	s_waitcnt vmcnt(21)
	v_add_f64 v[88:89], v[88:89], -v[100:101]
	s_waitcnt lgkmcnt(0)
	v_mul_f64 v[100:101], v[126:127], v[102:103]
	v_add_f64 v[90:91], v[90:91], -v[140:141]
	v_fma_f64 v[100:101], v[124:125], v[134:135], -v[100:101]
	v_mul_f64 v[124:125], v[124:125], v[102:103]
	ds_read2_b64 v[140:143], v136 offset0:22 offset1:23
	v_fmac_f64_e32 v[124:125], v[126:127], v[134:135]
	s_waitcnt vmcnt(20)
	v_add_f64 v[78:79], v[78:79], -v[124:125]
	ds_read2_b64 v[124:127], v136 offset0:24 offset1:25
	v_add_f64 v[76:77], v[76:77], -v[100:101]
	;; [unrolled: 18-line block ×11, first 2 shown]
	s_waitcnt lgkmcnt(1)
	v_mul_f64 v[100:101], v[142:143], v[102:103]
	v_fma_f64 v[100:101], v[140:141], v[134:135], -v[100:101]
	s_waitcnt vmcnt(1)
	v_add_f64 v[0:1], v[0:1], -v[100:101]
	s_waitcnt lgkmcnt(0)
	v_mul_f64 v[100:101], v[126:127], v[102:103]
	v_mul_f64 v[140:141], v[140:141], v[102:103]
	v_fma_f64 v[100:101], v[124:125], v[134:135], -v[100:101]
	v_mul_f64 v[124:125], v[124:125], v[102:103]
	v_fmac_f64_e32 v[140:141], v[142:143], v[134:135]
	v_fmac_f64_e32 v[124:125], v[126:127], v[134:135]
	v_add_f64 v[2:3], v[2:3], -v[140:141]
	s_waitcnt vmcnt(0)
	v_add_f64 v[120:121], v[120:121], -v[100:101]
	v_add_f64 v[122:123], v[122:123], -v[124:125]
	v_mov_b64_e32 v[100:101], v[134:135]
.LBB60_146:
	s_or_b64 exec, exec, s[0:1]
	v_lshl_add_u32 v124, v137, 4, v136
	s_barrier
	s_waitcnt vmcnt(23)
	ds_write2_b64 v124, v[96:97], v[98:99] offset1:1
	s_waitcnt lgkmcnt(0)
	s_barrier
	ds_read2_b64 v[124:127], v136 offset0:14 offset1:15
	s_cmp_lt_i32 s20, 9
	v_mov_b32_e32 v134, 7
	s_cbranch_scc1 .LBB60_149
; %bb.147:
	v_add_u32_e32 v135, 0x80, v136
	s_mov_b32 s16, 8
	v_mov_b32_e32 v134, 7
.LBB60_148:                             ; =>This Inner Loop Header: Depth=1
	ds_read2_b64 v[140:143], v135 offset1:1
	s_waitcnt lgkmcnt(1)
	v_xor_b32_e32 v145, 0x80000000, v125
	v_xor_b32_e32 v147, 0x80000000, v127
	v_cmp_gt_f64_e32 vcc, 0, v[126:127]
	v_cmp_gt_f64_e64 s[0:1], 0, v[124:125]
	v_mov_b32_e32 v144, v124
	v_mov_b32_e32 v146, v126
	v_cndmask_b32_e64 v145, v125, v145, s[0:1]
	v_cndmask_b32_e32 v147, v127, v147, vcc
	v_add_f64 v[144:145], v[144:145], v[146:147]
	s_waitcnt lgkmcnt(0)
	v_xor_b32_e32 v147, 0x80000000, v141
	v_xor_b32_e32 v149, 0x80000000, v143
	v_cmp_gt_f64_e32 vcc, 0, v[142:143]
	v_cmp_gt_f64_e64 s[0:1], 0, v[140:141]
	v_mov_b32_e32 v146, v140
	v_mov_b32_e32 v148, v142
	v_cndmask_b32_e64 v147, v141, v147, s[0:1]
	v_cndmask_b32_e32 v149, v143, v149, vcc
	v_add_f64 v[146:147], v[146:147], v[148:149]
	v_mov_b32_e32 v150, s16
	s_add_i32 s16, s16, 1
	v_cmp_lt_f64_e32 vcc, v[144:145], v[146:147]
	v_add_u32_e32 v135, 16, v135
	s_cmp_lg_u32 s20, s16
	v_cndmask_b32_e32 v125, v125, v141, vcc
	v_cndmask_b32_e32 v124, v124, v140, vcc
	;; [unrolled: 1-line block ×5, first 2 shown]
	s_cbranch_scc1 .LBB60_148
.LBB60_149:
	s_waitcnt lgkmcnt(0)
	v_cmp_eq_f64_e32 vcc, 0, v[124:125]
	v_cmp_eq_f64_e64 s[0:1], 0, v[126:127]
	s_and_b64 s[0:1], vcc, s[0:1]
	s_and_saveexec_b64 s[16:17], s[0:1]
	s_xor_b64 s[0:1], exec, s[16:17]
; %bb.150:
	v_cmp_ne_u32_e32 vcc, 0, v138
	s_nop 1
	v_cndmask_b32_e32 v138, 8, v138, vcc
; %bb.151:
	s_andn2_saveexec_b64 s[0:1], s[0:1]
	s_cbranch_execz .LBB60_157
; %bb.152:
	v_cmp_ngt_f64_e64 s[16:17], |v[124:125]|, |v[126:127]|
	s_and_saveexec_b64 s[18:19], s[16:17]
	s_xor_b64 s[16:17], exec, s[18:19]
	s_cbranch_execz .LBB60_154
; %bb.153:
	v_div_scale_f64 v[140:141], s[18:19], v[126:127], v[126:127], v[124:125]
	v_rcp_f64_e32 v[142:143], v[140:141]
	v_div_scale_f64 v[144:145], vcc, v[124:125], v[126:127], v[124:125]
	v_fma_f64 v[146:147], -v[140:141], v[142:143], 1.0
	v_fmac_f64_e32 v[142:143], v[142:143], v[146:147]
	v_fma_f64 v[146:147], -v[140:141], v[142:143], 1.0
	v_fmac_f64_e32 v[142:143], v[142:143], v[146:147]
	v_mul_f64 v[146:147], v[144:145], v[142:143]
	v_fma_f64 v[140:141], -v[140:141], v[146:147], v[144:145]
	v_div_fmas_f64 v[140:141], v[140:141], v[142:143], v[146:147]
	v_div_fixup_f64 v[140:141], v[140:141], v[126:127], v[124:125]
	v_fmac_f64_e32 v[126:127], v[124:125], v[140:141]
	v_div_scale_f64 v[124:125], s[18:19], v[126:127], v[126:127], 1.0
	v_rcp_f64_e32 v[142:143], v[124:125]
	s_nop 0
	v_fma_f64 v[144:145], -v[124:125], v[142:143], 1.0
	v_fmac_f64_e32 v[142:143], v[142:143], v[144:145]
	v_fma_f64 v[144:145], -v[124:125], v[142:143], 1.0
	v_fmac_f64_e32 v[142:143], v[142:143], v[144:145]
	v_div_scale_f64 v[144:145], vcc, 1.0, v[126:127], 1.0
	v_mul_f64 v[146:147], v[144:145], v[142:143]
	v_fma_f64 v[124:125], -v[124:125], v[146:147], v[144:145]
	s_nop 1
	v_div_fmas_f64 v[124:125], v[124:125], v[142:143], v[146:147]
	v_div_fixup_f64 v[126:127], v[124:125], v[126:127], 1.0
	v_mul_f64 v[124:125], v[140:141], v[126:127]
	v_xor_b32_e32 v127, 0x80000000, v127
.LBB60_154:
	s_andn2_saveexec_b64 s[16:17], s[16:17]
	s_cbranch_execz .LBB60_156
; %bb.155:
	v_div_scale_f64 v[140:141], s[18:19], v[124:125], v[124:125], v[126:127]
	v_rcp_f64_e32 v[142:143], v[140:141]
	v_div_scale_f64 v[144:145], vcc, v[126:127], v[124:125], v[126:127]
	v_fma_f64 v[146:147], -v[140:141], v[142:143], 1.0
	v_fmac_f64_e32 v[142:143], v[142:143], v[146:147]
	v_fma_f64 v[146:147], -v[140:141], v[142:143], 1.0
	v_fmac_f64_e32 v[142:143], v[142:143], v[146:147]
	v_mul_f64 v[146:147], v[144:145], v[142:143]
	v_fma_f64 v[140:141], -v[140:141], v[146:147], v[144:145]
	v_div_fmas_f64 v[140:141], v[140:141], v[142:143], v[146:147]
	v_div_fixup_f64 v[140:141], v[140:141], v[124:125], v[126:127]
	v_fmac_f64_e32 v[124:125], v[126:127], v[140:141]
	v_div_scale_f64 v[126:127], s[18:19], v[124:125], v[124:125], 1.0
	v_rcp_f64_e32 v[142:143], v[126:127]
	s_nop 0
	v_fma_f64 v[144:145], -v[126:127], v[142:143], 1.0
	v_fmac_f64_e32 v[142:143], v[142:143], v[144:145]
	v_fma_f64 v[144:145], -v[126:127], v[142:143], 1.0
	v_fmac_f64_e32 v[142:143], v[142:143], v[144:145]
	v_div_scale_f64 v[144:145], vcc, 1.0, v[124:125], 1.0
	v_mul_f64 v[146:147], v[144:145], v[142:143]
	v_fma_f64 v[126:127], -v[126:127], v[146:147], v[144:145]
	s_nop 1
	v_div_fmas_f64 v[126:127], v[126:127], v[142:143], v[146:147]
	v_div_fixup_f64 v[124:125], v[126:127], v[124:125], 1.0
	v_mul_f64 v[126:127], v[140:141], -v[124:125]
.LBB60_156:
	s_or_b64 exec, exec, s[16:17]
.LBB60_157:
	s_or_b64 exec, exec, s[0:1]
	v_cmp_ne_u32_e32 vcc, v137, v134
	s_and_saveexec_b64 s[0:1], vcc
	s_xor_b64 s[0:1], exec, s[0:1]
	s_cbranch_execz .LBB60_163
; %bb.158:
	v_cmp_eq_u32_e32 vcc, 7, v137
	s_and_saveexec_b64 s[16:17], vcc
	s_cbranch_execz .LBB60_162
; %bb.159:
	v_cmp_ne_u32_e32 vcc, 7, v134
	s_xor_b64 s[18:19], s[14:15], -1
	s_and_b64 s[22:23], s[18:19], vcc
	s_and_saveexec_b64 s[18:19], s[22:23]
	s_cbranch_execz .LBB60_161
; %bb.160:
	v_ashrrev_i32_e32 v135, 31, v134
	v_lshl_add_u64 v[140:141], v[134:135], 2, v[132:133]
	global_load_dword v135, v[140:141], off
	global_load_dword v137, v[132:133], off offset:28
	s_waitcnt vmcnt(1)
	global_store_dword v[132:133], v135, off offset:28
	s_waitcnt vmcnt(1)
	global_store_dword v[140:141], v137, off
.LBB60_161:
	s_or_b64 exec, exec, s[18:19]
	v_mov_b32_e32 v137, v134
	v_mov_b32_e32 v139, v134
.LBB60_162:
	s_or_b64 exec, exec, s[16:17]
.LBB60_163:
	s_andn2_saveexec_b64 s[0:1], s[0:1]
	s_cbranch_execz .LBB60_165
; %bb.164:
	v_mov_b32_e32 v137, 7
	s_waitcnt vmcnt(22)
	ds_write2_b64 v136, v[92:93], v[94:95] offset0:16 offset1:17
	s_waitcnt vmcnt(21)
	ds_write2_b64 v136, v[88:89], v[90:91] offset0:18 offset1:19
	;; [unrolled: 2-line block ×23, first 2 shown]
.LBB60_165:
	s_or_b64 exec, exec, s[0:1]
	v_cmp_lt_i32_e32 vcc, 7, v137
	s_waitcnt lgkmcnt(0)
	s_barrier
	s_and_saveexec_b64 s[0:1], vcc
	s_cbranch_execz .LBB60_167
; %bb.166:
	ds_read2_b64 v[140:143], v136 offset0:16 offset1:17
	v_mul_f64 v[134:135], v[126:127], v[98:99]
	v_mul_f64 v[98:99], v[124:125], v[98:99]
	v_fmac_f64_e32 v[98:99], v[126:127], v[96:97]
	v_fma_f64 v[134:135], v[124:125], v[96:97], -v[134:135]
	ds_read2_b64 v[124:127], v136 offset0:18 offset1:19
	s_waitcnt lgkmcnt(1)
	v_mul_f64 v[96:97], v[142:143], v[98:99]
	v_fma_f64 v[96:97], v[140:141], v[134:135], -v[96:97]
	v_mul_f64 v[140:141], v[140:141], v[98:99]
	v_fmac_f64_e32 v[140:141], v[142:143], v[134:135]
	s_waitcnt vmcnt(22)
	v_add_f64 v[94:95], v[94:95], -v[140:141]
	ds_read2_b64 v[140:143], v136 offset0:20 offset1:21
	v_add_f64 v[92:93], v[92:93], -v[96:97]
	s_waitcnt lgkmcnt(1)
	v_mul_f64 v[96:97], v[126:127], v[98:99]
	v_fma_f64 v[96:97], v[124:125], v[134:135], -v[96:97]
	v_mul_f64 v[124:125], v[124:125], v[98:99]
	v_fmac_f64_e32 v[124:125], v[126:127], v[134:135]
	s_waitcnt vmcnt(21)
	v_add_f64 v[88:89], v[88:89], -v[96:97]
	v_add_f64 v[90:91], v[90:91], -v[124:125]
	ds_read2_b64 v[124:127], v136 offset0:22 offset1:23
	s_waitcnt lgkmcnt(1)
	v_mul_f64 v[96:97], v[142:143], v[98:99]
	v_fma_f64 v[96:97], v[140:141], v[134:135], -v[96:97]
	v_mul_f64 v[140:141], v[140:141], v[98:99]
	v_fmac_f64_e32 v[140:141], v[142:143], v[134:135]
	s_waitcnt vmcnt(20)
	v_add_f64 v[78:79], v[78:79], -v[140:141]
	ds_read2_b64 v[140:143], v136 offset0:24 offset1:25
	v_add_f64 v[76:77], v[76:77], -v[96:97]
	s_waitcnt lgkmcnt(1)
	v_mul_f64 v[96:97], v[126:127], v[98:99]
	v_fma_f64 v[96:97], v[124:125], v[134:135], -v[96:97]
	v_mul_f64 v[124:125], v[124:125], v[98:99]
	v_fmac_f64_e32 v[124:125], v[126:127], v[134:135]
	s_waitcnt vmcnt(19)
	v_add_f64 v[72:73], v[72:73], -v[96:97]
	v_add_f64 v[74:75], v[74:75], -v[124:125]
	;; [unrolled: 18-line block ×11, first 2 shown]
	s_waitcnt lgkmcnt(0)
	v_mul_f64 v[96:97], v[142:143], v[98:99]
	v_mul_f64 v[124:125], v[140:141], v[98:99]
	v_fma_f64 v[96:97], v[140:141], v[134:135], -v[96:97]
	v_fmac_f64_e32 v[124:125], v[142:143], v[134:135]
	s_waitcnt vmcnt(0)
	v_add_f64 v[120:121], v[120:121], -v[96:97]
	v_add_f64 v[122:123], v[122:123], -v[124:125]
	v_mov_b64_e32 v[96:97], v[134:135]
.LBB60_167:
	s_or_b64 exec, exec, s[0:1]
	v_lshl_add_u32 v124, v137, 4, v136
	s_barrier
	s_waitcnt vmcnt(22)
	ds_write2_b64 v124, v[92:93], v[94:95] offset1:1
	s_waitcnt lgkmcnt(0)
	s_barrier
	ds_read2_b64 v[124:127], v136 offset0:16 offset1:17
	s_cmp_lt_i32 s20, 10
	v_mov_b32_e32 v134, 8
	s_cbranch_scc1 .LBB60_170
; %bb.168:
	v_add_u32_e32 v135, 0x90, v136
	s_mov_b32 s16, 9
	v_mov_b32_e32 v134, 8
.LBB60_169:                             ; =>This Inner Loop Header: Depth=1
	ds_read2_b64 v[140:143], v135 offset1:1
	s_waitcnt lgkmcnt(1)
	v_xor_b32_e32 v145, 0x80000000, v125
	v_xor_b32_e32 v147, 0x80000000, v127
	v_cmp_gt_f64_e32 vcc, 0, v[126:127]
	v_cmp_gt_f64_e64 s[0:1], 0, v[124:125]
	v_mov_b32_e32 v144, v124
	v_mov_b32_e32 v146, v126
	v_cndmask_b32_e64 v145, v125, v145, s[0:1]
	v_cndmask_b32_e32 v147, v127, v147, vcc
	v_add_f64 v[144:145], v[144:145], v[146:147]
	s_waitcnt lgkmcnt(0)
	v_xor_b32_e32 v147, 0x80000000, v141
	v_xor_b32_e32 v149, 0x80000000, v143
	v_cmp_gt_f64_e32 vcc, 0, v[142:143]
	v_cmp_gt_f64_e64 s[0:1], 0, v[140:141]
	v_mov_b32_e32 v146, v140
	v_mov_b32_e32 v148, v142
	v_cndmask_b32_e64 v147, v141, v147, s[0:1]
	v_cndmask_b32_e32 v149, v143, v149, vcc
	v_add_f64 v[146:147], v[146:147], v[148:149]
	v_mov_b32_e32 v150, s16
	s_add_i32 s16, s16, 1
	v_cmp_lt_f64_e32 vcc, v[144:145], v[146:147]
	v_add_u32_e32 v135, 16, v135
	s_cmp_lg_u32 s20, s16
	v_cndmask_b32_e32 v125, v125, v141, vcc
	v_cndmask_b32_e32 v124, v124, v140, vcc
	;; [unrolled: 1-line block ×5, first 2 shown]
	s_cbranch_scc1 .LBB60_169
.LBB60_170:
	s_waitcnt lgkmcnt(0)
	v_cmp_eq_f64_e32 vcc, 0, v[124:125]
	v_cmp_eq_f64_e64 s[0:1], 0, v[126:127]
	s_and_b64 s[0:1], vcc, s[0:1]
	s_and_saveexec_b64 s[16:17], s[0:1]
	s_xor_b64 s[0:1], exec, s[16:17]
; %bb.171:
	v_cmp_ne_u32_e32 vcc, 0, v138
	s_nop 1
	v_cndmask_b32_e32 v138, 9, v138, vcc
; %bb.172:
	s_andn2_saveexec_b64 s[0:1], s[0:1]
	s_cbranch_execz .LBB60_178
; %bb.173:
	v_cmp_ngt_f64_e64 s[16:17], |v[124:125]|, |v[126:127]|
	s_and_saveexec_b64 s[18:19], s[16:17]
	s_xor_b64 s[16:17], exec, s[18:19]
	s_cbranch_execz .LBB60_175
; %bb.174:
	v_div_scale_f64 v[140:141], s[18:19], v[126:127], v[126:127], v[124:125]
	v_rcp_f64_e32 v[142:143], v[140:141]
	v_div_scale_f64 v[144:145], vcc, v[124:125], v[126:127], v[124:125]
	v_fma_f64 v[146:147], -v[140:141], v[142:143], 1.0
	v_fmac_f64_e32 v[142:143], v[142:143], v[146:147]
	v_fma_f64 v[146:147], -v[140:141], v[142:143], 1.0
	v_fmac_f64_e32 v[142:143], v[142:143], v[146:147]
	v_mul_f64 v[146:147], v[144:145], v[142:143]
	v_fma_f64 v[140:141], -v[140:141], v[146:147], v[144:145]
	v_div_fmas_f64 v[140:141], v[140:141], v[142:143], v[146:147]
	v_div_fixup_f64 v[140:141], v[140:141], v[126:127], v[124:125]
	v_fmac_f64_e32 v[126:127], v[124:125], v[140:141]
	v_div_scale_f64 v[124:125], s[18:19], v[126:127], v[126:127], 1.0
	v_rcp_f64_e32 v[142:143], v[124:125]
	s_nop 0
	v_fma_f64 v[144:145], -v[124:125], v[142:143], 1.0
	v_fmac_f64_e32 v[142:143], v[142:143], v[144:145]
	v_fma_f64 v[144:145], -v[124:125], v[142:143], 1.0
	v_fmac_f64_e32 v[142:143], v[142:143], v[144:145]
	v_div_scale_f64 v[144:145], vcc, 1.0, v[126:127], 1.0
	v_mul_f64 v[146:147], v[144:145], v[142:143]
	v_fma_f64 v[124:125], -v[124:125], v[146:147], v[144:145]
	s_nop 1
	v_div_fmas_f64 v[124:125], v[124:125], v[142:143], v[146:147]
	v_div_fixup_f64 v[126:127], v[124:125], v[126:127], 1.0
	v_mul_f64 v[124:125], v[140:141], v[126:127]
	v_xor_b32_e32 v127, 0x80000000, v127
.LBB60_175:
	s_andn2_saveexec_b64 s[16:17], s[16:17]
	s_cbranch_execz .LBB60_177
; %bb.176:
	v_div_scale_f64 v[140:141], s[18:19], v[124:125], v[124:125], v[126:127]
	v_rcp_f64_e32 v[142:143], v[140:141]
	v_div_scale_f64 v[144:145], vcc, v[126:127], v[124:125], v[126:127]
	v_fma_f64 v[146:147], -v[140:141], v[142:143], 1.0
	v_fmac_f64_e32 v[142:143], v[142:143], v[146:147]
	v_fma_f64 v[146:147], -v[140:141], v[142:143], 1.0
	v_fmac_f64_e32 v[142:143], v[142:143], v[146:147]
	v_mul_f64 v[146:147], v[144:145], v[142:143]
	v_fma_f64 v[140:141], -v[140:141], v[146:147], v[144:145]
	v_div_fmas_f64 v[140:141], v[140:141], v[142:143], v[146:147]
	v_div_fixup_f64 v[140:141], v[140:141], v[124:125], v[126:127]
	v_fmac_f64_e32 v[124:125], v[126:127], v[140:141]
	v_div_scale_f64 v[126:127], s[18:19], v[124:125], v[124:125], 1.0
	v_rcp_f64_e32 v[142:143], v[126:127]
	s_nop 0
	v_fma_f64 v[144:145], -v[126:127], v[142:143], 1.0
	v_fmac_f64_e32 v[142:143], v[142:143], v[144:145]
	v_fma_f64 v[144:145], -v[126:127], v[142:143], 1.0
	v_fmac_f64_e32 v[142:143], v[142:143], v[144:145]
	v_div_scale_f64 v[144:145], vcc, 1.0, v[124:125], 1.0
	v_mul_f64 v[146:147], v[144:145], v[142:143]
	v_fma_f64 v[126:127], -v[126:127], v[146:147], v[144:145]
	s_nop 1
	v_div_fmas_f64 v[126:127], v[126:127], v[142:143], v[146:147]
	v_div_fixup_f64 v[124:125], v[126:127], v[124:125], 1.0
	v_mul_f64 v[126:127], v[140:141], -v[124:125]
.LBB60_177:
	s_or_b64 exec, exec, s[16:17]
.LBB60_178:
	s_or_b64 exec, exec, s[0:1]
	v_cmp_ne_u32_e32 vcc, v137, v134
	s_and_saveexec_b64 s[0:1], vcc
	s_xor_b64 s[0:1], exec, s[0:1]
	s_cbranch_execz .LBB60_184
; %bb.179:
	v_cmp_eq_u32_e32 vcc, 8, v137
	s_and_saveexec_b64 s[16:17], vcc
	s_cbranch_execz .LBB60_183
; %bb.180:
	v_cmp_ne_u32_e32 vcc, 8, v134
	s_xor_b64 s[18:19], s[14:15], -1
	s_and_b64 s[22:23], s[18:19], vcc
	s_and_saveexec_b64 s[18:19], s[22:23]
	s_cbranch_execz .LBB60_182
; %bb.181:
	v_ashrrev_i32_e32 v135, 31, v134
	v_lshl_add_u64 v[140:141], v[134:135], 2, v[132:133]
	global_load_dword v135, v[140:141], off
	global_load_dword v137, v[132:133], off offset:32
	s_waitcnt vmcnt(1)
	global_store_dword v[132:133], v135, off offset:32
	s_waitcnt vmcnt(1)
	global_store_dword v[140:141], v137, off
.LBB60_182:
	s_or_b64 exec, exec, s[18:19]
	v_mov_b32_e32 v137, v134
	v_mov_b32_e32 v139, v134
.LBB60_183:
	s_or_b64 exec, exec, s[16:17]
.LBB60_184:
	s_andn2_saveexec_b64 s[0:1], s[0:1]
	s_cbranch_execz .LBB60_186
; %bb.185:
	v_mov_b32_e32 v137, 8
	s_waitcnt vmcnt(21)
	ds_write2_b64 v136, v[88:89], v[90:91] offset0:18 offset1:19
	s_waitcnt vmcnt(20)
	ds_write2_b64 v136, v[76:77], v[78:79] offset0:20 offset1:21
	;; [unrolled: 2-line block ×22, first 2 shown]
.LBB60_186:
	s_or_b64 exec, exec, s[0:1]
	v_cmp_lt_i32_e32 vcc, 8, v137
	s_waitcnt lgkmcnt(0)
	s_barrier
	s_and_saveexec_b64 s[0:1], vcc
	s_cbranch_execz .LBB60_188
; %bb.187:
	ds_read2_b64 v[140:143], v136 offset0:18 offset1:19
	v_mul_f64 v[134:135], v[126:127], v[94:95]
	v_mul_f64 v[94:95], v[124:125], v[94:95]
	v_fma_f64 v[134:135], v[124:125], v[92:93], -v[134:135]
	v_fmac_f64_e32 v[94:95], v[126:127], v[92:93]
	ds_read2_b64 v[124:127], v136 offset0:20 offset1:21
	s_waitcnt lgkmcnt(1)
	v_mul_f64 v[92:93], v[142:143], v[94:95]
	v_fma_f64 v[92:93], v[140:141], v[134:135], -v[92:93]
	v_mul_f64 v[140:141], v[140:141], v[94:95]
	v_fmac_f64_e32 v[140:141], v[142:143], v[134:135]
	s_waitcnt vmcnt(21)
	v_add_f64 v[88:89], v[88:89], -v[92:93]
	s_waitcnt lgkmcnt(0)
	v_mul_f64 v[92:93], v[126:127], v[94:95]
	v_add_f64 v[90:91], v[90:91], -v[140:141]
	v_fma_f64 v[92:93], v[124:125], v[134:135], -v[92:93]
	v_mul_f64 v[124:125], v[124:125], v[94:95]
	ds_read2_b64 v[140:143], v136 offset0:22 offset1:23
	v_fmac_f64_e32 v[124:125], v[126:127], v[134:135]
	s_waitcnt vmcnt(20)
	v_add_f64 v[78:79], v[78:79], -v[124:125]
	ds_read2_b64 v[124:127], v136 offset0:24 offset1:25
	v_add_f64 v[76:77], v[76:77], -v[92:93]
	s_waitcnt lgkmcnt(1)
	v_mul_f64 v[92:93], v[142:143], v[94:95]
	v_fma_f64 v[92:93], v[140:141], v[134:135], -v[92:93]
	v_mul_f64 v[140:141], v[140:141], v[94:95]
	v_fmac_f64_e32 v[140:141], v[142:143], v[134:135]
	s_waitcnt vmcnt(19)
	v_add_f64 v[72:73], v[72:73], -v[92:93]
	s_waitcnt lgkmcnt(0)
	v_mul_f64 v[92:93], v[126:127], v[94:95]
	v_add_f64 v[74:75], v[74:75], -v[140:141]
	v_fma_f64 v[92:93], v[124:125], v[134:135], -v[92:93]
	v_mul_f64 v[124:125], v[124:125], v[94:95]
	ds_read2_b64 v[140:143], v136 offset0:26 offset1:27
	v_fmac_f64_e32 v[124:125], v[126:127], v[134:135]
	s_waitcnt vmcnt(18)
	v_add_f64 v[70:71], v[70:71], -v[124:125]
	ds_read2_b64 v[124:127], v136 offset0:28 offset1:29
	v_add_f64 v[68:69], v[68:69], -v[92:93]
	;; [unrolled: 18-line block ×10, first 2 shown]
	s_waitcnt lgkmcnt(1)
	v_mul_f64 v[92:93], v[142:143], v[94:95]
	v_fma_f64 v[92:93], v[140:141], v[134:135], -v[92:93]
	s_waitcnt vmcnt(1)
	v_add_f64 v[0:1], v[0:1], -v[92:93]
	s_waitcnt lgkmcnt(0)
	v_mul_f64 v[92:93], v[126:127], v[94:95]
	v_mul_f64 v[140:141], v[140:141], v[94:95]
	v_fma_f64 v[92:93], v[124:125], v[134:135], -v[92:93]
	v_mul_f64 v[124:125], v[124:125], v[94:95]
	v_fmac_f64_e32 v[140:141], v[142:143], v[134:135]
	v_fmac_f64_e32 v[124:125], v[126:127], v[134:135]
	v_add_f64 v[2:3], v[2:3], -v[140:141]
	s_waitcnt vmcnt(0)
	v_add_f64 v[120:121], v[120:121], -v[92:93]
	v_add_f64 v[122:123], v[122:123], -v[124:125]
	v_mov_b64_e32 v[92:93], v[134:135]
.LBB60_188:
	s_or_b64 exec, exec, s[0:1]
	v_lshl_add_u32 v124, v137, 4, v136
	s_barrier
	s_waitcnt vmcnt(21)
	ds_write2_b64 v124, v[88:89], v[90:91] offset1:1
	s_waitcnt lgkmcnt(0)
	s_barrier
	ds_read2_b64 v[124:127], v136 offset0:18 offset1:19
	s_cmp_lt_i32 s20, 11
	v_mov_b32_e32 v134, 9
	s_cbranch_scc1 .LBB60_191
; %bb.189:
	v_add_u32_e32 v135, 0xa0, v136
	s_mov_b32 s16, 10
	v_mov_b32_e32 v134, 9
.LBB60_190:                             ; =>This Inner Loop Header: Depth=1
	ds_read2_b64 v[140:143], v135 offset1:1
	s_waitcnt lgkmcnt(1)
	v_xor_b32_e32 v145, 0x80000000, v125
	v_xor_b32_e32 v147, 0x80000000, v127
	v_cmp_gt_f64_e32 vcc, 0, v[126:127]
	v_cmp_gt_f64_e64 s[0:1], 0, v[124:125]
	v_mov_b32_e32 v144, v124
	v_mov_b32_e32 v146, v126
	v_cndmask_b32_e64 v145, v125, v145, s[0:1]
	v_cndmask_b32_e32 v147, v127, v147, vcc
	v_add_f64 v[144:145], v[144:145], v[146:147]
	s_waitcnt lgkmcnt(0)
	v_xor_b32_e32 v147, 0x80000000, v141
	v_xor_b32_e32 v149, 0x80000000, v143
	v_cmp_gt_f64_e32 vcc, 0, v[142:143]
	v_cmp_gt_f64_e64 s[0:1], 0, v[140:141]
	v_mov_b32_e32 v146, v140
	v_mov_b32_e32 v148, v142
	v_cndmask_b32_e64 v147, v141, v147, s[0:1]
	v_cndmask_b32_e32 v149, v143, v149, vcc
	v_add_f64 v[146:147], v[146:147], v[148:149]
	v_mov_b32_e32 v150, s16
	s_add_i32 s16, s16, 1
	v_cmp_lt_f64_e32 vcc, v[144:145], v[146:147]
	v_add_u32_e32 v135, 16, v135
	s_cmp_lg_u32 s20, s16
	v_cndmask_b32_e32 v125, v125, v141, vcc
	v_cndmask_b32_e32 v124, v124, v140, vcc
	;; [unrolled: 1-line block ×5, first 2 shown]
	s_cbranch_scc1 .LBB60_190
.LBB60_191:
	s_waitcnt lgkmcnt(0)
	v_cmp_eq_f64_e32 vcc, 0, v[124:125]
	v_cmp_eq_f64_e64 s[0:1], 0, v[126:127]
	s_and_b64 s[0:1], vcc, s[0:1]
	s_and_saveexec_b64 s[16:17], s[0:1]
	s_xor_b64 s[0:1], exec, s[16:17]
; %bb.192:
	v_cmp_ne_u32_e32 vcc, 0, v138
	s_nop 1
	v_cndmask_b32_e32 v138, 10, v138, vcc
; %bb.193:
	s_andn2_saveexec_b64 s[0:1], s[0:1]
	s_cbranch_execz .LBB60_199
; %bb.194:
	v_cmp_ngt_f64_e64 s[16:17], |v[124:125]|, |v[126:127]|
	s_and_saveexec_b64 s[18:19], s[16:17]
	s_xor_b64 s[16:17], exec, s[18:19]
	s_cbranch_execz .LBB60_196
; %bb.195:
	v_div_scale_f64 v[140:141], s[18:19], v[126:127], v[126:127], v[124:125]
	v_rcp_f64_e32 v[142:143], v[140:141]
	v_div_scale_f64 v[144:145], vcc, v[124:125], v[126:127], v[124:125]
	v_fma_f64 v[146:147], -v[140:141], v[142:143], 1.0
	v_fmac_f64_e32 v[142:143], v[142:143], v[146:147]
	v_fma_f64 v[146:147], -v[140:141], v[142:143], 1.0
	v_fmac_f64_e32 v[142:143], v[142:143], v[146:147]
	v_mul_f64 v[146:147], v[144:145], v[142:143]
	v_fma_f64 v[140:141], -v[140:141], v[146:147], v[144:145]
	v_div_fmas_f64 v[140:141], v[140:141], v[142:143], v[146:147]
	v_div_fixup_f64 v[140:141], v[140:141], v[126:127], v[124:125]
	v_fmac_f64_e32 v[126:127], v[124:125], v[140:141]
	v_div_scale_f64 v[124:125], s[18:19], v[126:127], v[126:127], 1.0
	v_rcp_f64_e32 v[142:143], v[124:125]
	s_nop 0
	v_fma_f64 v[144:145], -v[124:125], v[142:143], 1.0
	v_fmac_f64_e32 v[142:143], v[142:143], v[144:145]
	v_fma_f64 v[144:145], -v[124:125], v[142:143], 1.0
	v_fmac_f64_e32 v[142:143], v[142:143], v[144:145]
	v_div_scale_f64 v[144:145], vcc, 1.0, v[126:127], 1.0
	v_mul_f64 v[146:147], v[144:145], v[142:143]
	v_fma_f64 v[124:125], -v[124:125], v[146:147], v[144:145]
	s_nop 1
	v_div_fmas_f64 v[124:125], v[124:125], v[142:143], v[146:147]
	v_div_fixup_f64 v[126:127], v[124:125], v[126:127], 1.0
	v_mul_f64 v[124:125], v[140:141], v[126:127]
	v_xor_b32_e32 v127, 0x80000000, v127
.LBB60_196:
	s_andn2_saveexec_b64 s[16:17], s[16:17]
	s_cbranch_execz .LBB60_198
; %bb.197:
	v_div_scale_f64 v[140:141], s[18:19], v[124:125], v[124:125], v[126:127]
	v_rcp_f64_e32 v[142:143], v[140:141]
	v_div_scale_f64 v[144:145], vcc, v[126:127], v[124:125], v[126:127]
	v_fma_f64 v[146:147], -v[140:141], v[142:143], 1.0
	v_fmac_f64_e32 v[142:143], v[142:143], v[146:147]
	v_fma_f64 v[146:147], -v[140:141], v[142:143], 1.0
	v_fmac_f64_e32 v[142:143], v[142:143], v[146:147]
	v_mul_f64 v[146:147], v[144:145], v[142:143]
	v_fma_f64 v[140:141], -v[140:141], v[146:147], v[144:145]
	v_div_fmas_f64 v[140:141], v[140:141], v[142:143], v[146:147]
	v_div_fixup_f64 v[140:141], v[140:141], v[124:125], v[126:127]
	v_fmac_f64_e32 v[124:125], v[126:127], v[140:141]
	v_div_scale_f64 v[126:127], s[18:19], v[124:125], v[124:125], 1.0
	v_rcp_f64_e32 v[142:143], v[126:127]
	s_nop 0
	v_fma_f64 v[144:145], -v[126:127], v[142:143], 1.0
	v_fmac_f64_e32 v[142:143], v[142:143], v[144:145]
	v_fma_f64 v[144:145], -v[126:127], v[142:143], 1.0
	v_fmac_f64_e32 v[142:143], v[142:143], v[144:145]
	v_div_scale_f64 v[144:145], vcc, 1.0, v[124:125], 1.0
	v_mul_f64 v[146:147], v[144:145], v[142:143]
	v_fma_f64 v[126:127], -v[126:127], v[146:147], v[144:145]
	s_nop 1
	v_div_fmas_f64 v[126:127], v[126:127], v[142:143], v[146:147]
	v_div_fixup_f64 v[124:125], v[126:127], v[124:125], 1.0
	v_mul_f64 v[126:127], v[140:141], -v[124:125]
.LBB60_198:
	s_or_b64 exec, exec, s[16:17]
.LBB60_199:
	s_or_b64 exec, exec, s[0:1]
	v_cmp_ne_u32_e32 vcc, v137, v134
	s_and_saveexec_b64 s[0:1], vcc
	s_xor_b64 s[0:1], exec, s[0:1]
	s_cbranch_execz .LBB60_205
; %bb.200:
	v_cmp_eq_u32_e32 vcc, 9, v137
	s_and_saveexec_b64 s[16:17], vcc
	s_cbranch_execz .LBB60_204
; %bb.201:
	v_cmp_ne_u32_e32 vcc, 9, v134
	s_xor_b64 s[18:19], s[14:15], -1
	s_and_b64 s[22:23], s[18:19], vcc
	s_and_saveexec_b64 s[18:19], s[22:23]
	s_cbranch_execz .LBB60_203
; %bb.202:
	v_ashrrev_i32_e32 v135, 31, v134
	v_lshl_add_u64 v[140:141], v[134:135], 2, v[132:133]
	global_load_dword v135, v[140:141], off
	global_load_dword v137, v[132:133], off offset:36
	s_waitcnt vmcnt(1)
	global_store_dword v[132:133], v135, off offset:36
	s_waitcnt vmcnt(1)
	global_store_dword v[140:141], v137, off
.LBB60_203:
	s_or_b64 exec, exec, s[18:19]
	v_mov_b32_e32 v137, v134
	v_mov_b32_e32 v139, v134
.LBB60_204:
	s_or_b64 exec, exec, s[16:17]
.LBB60_205:
	s_andn2_saveexec_b64 s[0:1], s[0:1]
	s_cbranch_execz .LBB60_207
; %bb.206:
	v_mov_b32_e32 v137, 9
	s_waitcnt vmcnt(20)
	ds_write2_b64 v136, v[76:77], v[78:79] offset0:20 offset1:21
	s_waitcnt vmcnt(19)
	ds_write2_b64 v136, v[72:73], v[74:75] offset0:22 offset1:23
	;; [unrolled: 2-line block ×21, first 2 shown]
.LBB60_207:
	s_or_b64 exec, exec, s[0:1]
	v_cmp_lt_i32_e32 vcc, 9, v137
	s_waitcnt lgkmcnt(0)
	s_barrier
	s_and_saveexec_b64 s[0:1], vcc
	s_cbranch_execz .LBB60_209
; %bb.208:
	ds_read2_b64 v[140:143], v136 offset0:20 offset1:21
	v_mul_f64 v[134:135], v[126:127], v[90:91]
	v_mul_f64 v[90:91], v[124:125], v[90:91]
	v_fmac_f64_e32 v[90:91], v[126:127], v[88:89]
	v_fma_f64 v[134:135], v[124:125], v[88:89], -v[134:135]
	ds_read2_b64 v[124:127], v136 offset0:22 offset1:23
	s_waitcnt lgkmcnt(1)
	v_mul_f64 v[88:89], v[142:143], v[90:91]
	v_fma_f64 v[88:89], v[140:141], v[134:135], -v[88:89]
	v_mul_f64 v[140:141], v[140:141], v[90:91]
	v_fmac_f64_e32 v[140:141], v[142:143], v[134:135]
	s_waitcnt vmcnt(20)
	v_add_f64 v[78:79], v[78:79], -v[140:141]
	ds_read2_b64 v[140:143], v136 offset0:24 offset1:25
	v_add_f64 v[76:77], v[76:77], -v[88:89]
	s_waitcnt lgkmcnt(1)
	v_mul_f64 v[88:89], v[126:127], v[90:91]
	v_fma_f64 v[88:89], v[124:125], v[134:135], -v[88:89]
	v_mul_f64 v[124:125], v[124:125], v[90:91]
	v_fmac_f64_e32 v[124:125], v[126:127], v[134:135]
	s_waitcnt vmcnt(19)
	v_add_f64 v[72:73], v[72:73], -v[88:89]
	v_add_f64 v[74:75], v[74:75], -v[124:125]
	ds_read2_b64 v[124:127], v136 offset0:26 offset1:27
	s_waitcnt lgkmcnt(1)
	v_mul_f64 v[88:89], v[142:143], v[90:91]
	v_fma_f64 v[88:89], v[140:141], v[134:135], -v[88:89]
	v_mul_f64 v[140:141], v[140:141], v[90:91]
	v_fmac_f64_e32 v[140:141], v[142:143], v[134:135]
	s_waitcnt vmcnt(18)
	v_add_f64 v[70:71], v[70:71], -v[140:141]
	ds_read2_b64 v[140:143], v136 offset0:28 offset1:29
	v_add_f64 v[68:69], v[68:69], -v[88:89]
	s_waitcnt lgkmcnt(1)
	v_mul_f64 v[88:89], v[126:127], v[90:91]
	v_fma_f64 v[88:89], v[124:125], v[134:135], -v[88:89]
	v_mul_f64 v[124:125], v[124:125], v[90:91]
	v_fmac_f64_e32 v[124:125], v[126:127], v[134:135]
	s_waitcnt vmcnt(17)
	v_add_f64 v[64:65], v[64:65], -v[88:89]
	v_add_f64 v[66:67], v[66:67], -v[124:125]
	;; [unrolled: 18-line block ×10, first 2 shown]
	s_waitcnt lgkmcnt(0)
	v_mul_f64 v[88:89], v[142:143], v[90:91]
	v_mul_f64 v[124:125], v[140:141], v[90:91]
	v_fma_f64 v[88:89], v[140:141], v[134:135], -v[88:89]
	v_fmac_f64_e32 v[124:125], v[142:143], v[134:135]
	s_waitcnt vmcnt(0)
	v_add_f64 v[120:121], v[120:121], -v[88:89]
	v_add_f64 v[122:123], v[122:123], -v[124:125]
	v_mov_b64_e32 v[88:89], v[134:135]
.LBB60_209:
	s_or_b64 exec, exec, s[0:1]
	v_lshl_add_u32 v124, v137, 4, v136
	s_barrier
	s_waitcnt vmcnt(20)
	ds_write2_b64 v124, v[76:77], v[78:79] offset1:1
	s_waitcnt lgkmcnt(0)
	s_barrier
	ds_read2_b64 v[124:127], v136 offset0:20 offset1:21
	s_cmp_lt_i32 s20, 12
	v_mov_b32_e32 v134, 10
	s_cbranch_scc1 .LBB60_212
; %bb.210:
	v_add_u32_e32 v135, 0xb0, v136
	s_mov_b32 s16, 11
	v_mov_b32_e32 v134, 10
.LBB60_211:                             ; =>This Inner Loop Header: Depth=1
	ds_read2_b64 v[140:143], v135 offset1:1
	s_waitcnt lgkmcnt(1)
	v_xor_b32_e32 v145, 0x80000000, v125
	v_xor_b32_e32 v147, 0x80000000, v127
	v_cmp_gt_f64_e32 vcc, 0, v[126:127]
	v_cmp_gt_f64_e64 s[0:1], 0, v[124:125]
	v_mov_b32_e32 v144, v124
	v_mov_b32_e32 v146, v126
	v_cndmask_b32_e64 v145, v125, v145, s[0:1]
	v_cndmask_b32_e32 v147, v127, v147, vcc
	v_add_f64 v[144:145], v[144:145], v[146:147]
	s_waitcnt lgkmcnt(0)
	v_xor_b32_e32 v147, 0x80000000, v141
	v_xor_b32_e32 v149, 0x80000000, v143
	v_cmp_gt_f64_e32 vcc, 0, v[142:143]
	v_cmp_gt_f64_e64 s[0:1], 0, v[140:141]
	v_mov_b32_e32 v146, v140
	v_mov_b32_e32 v148, v142
	v_cndmask_b32_e64 v147, v141, v147, s[0:1]
	v_cndmask_b32_e32 v149, v143, v149, vcc
	v_add_f64 v[146:147], v[146:147], v[148:149]
	v_mov_b32_e32 v150, s16
	s_add_i32 s16, s16, 1
	v_cmp_lt_f64_e32 vcc, v[144:145], v[146:147]
	v_add_u32_e32 v135, 16, v135
	s_cmp_lg_u32 s20, s16
	v_cndmask_b32_e32 v125, v125, v141, vcc
	v_cndmask_b32_e32 v124, v124, v140, vcc
	;; [unrolled: 1-line block ×5, first 2 shown]
	s_cbranch_scc1 .LBB60_211
.LBB60_212:
	s_waitcnt lgkmcnt(0)
	v_cmp_eq_f64_e32 vcc, 0, v[124:125]
	v_cmp_eq_f64_e64 s[0:1], 0, v[126:127]
	s_and_b64 s[0:1], vcc, s[0:1]
	s_and_saveexec_b64 s[16:17], s[0:1]
	s_xor_b64 s[0:1], exec, s[16:17]
; %bb.213:
	v_cmp_ne_u32_e32 vcc, 0, v138
	s_nop 1
	v_cndmask_b32_e32 v138, 11, v138, vcc
; %bb.214:
	s_andn2_saveexec_b64 s[0:1], s[0:1]
	s_cbranch_execz .LBB60_220
; %bb.215:
	v_cmp_ngt_f64_e64 s[16:17], |v[124:125]|, |v[126:127]|
	s_and_saveexec_b64 s[18:19], s[16:17]
	s_xor_b64 s[16:17], exec, s[18:19]
	s_cbranch_execz .LBB60_217
; %bb.216:
	v_div_scale_f64 v[140:141], s[18:19], v[126:127], v[126:127], v[124:125]
	v_rcp_f64_e32 v[142:143], v[140:141]
	v_div_scale_f64 v[144:145], vcc, v[124:125], v[126:127], v[124:125]
	v_fma_f64 v[146:147], -v[140:141], v[142:143], 1.0
	v_fmac_f64_e32 v[142:143], v[142:143], v[146:147]
	v_fma_f64 v[146:147], -v[140:141], v[142:143], 1.0
	v_fmac_f64_e32 v[142:143], v[142:143], v[146:147]
	v_mul_f64 v[146:147], v[144:145], v[142:143]
	v_fma_f64 v[140:141], -v[140:141], v[146:147], v[144:145]
	v_div_fmas_f64 v[140:141], v[140:141], v[142:143], v[146:147]
	v_div_fixup_f64 v[140:141], v[140:141], v[126:127], v[124:125]
	v_fmac_f64_e32 v[126:127], v[124:125], v[140:141]
	v_div_scale_f64 v[124:125], s[18:19], v[126:127], v[126:127], 1.0
	v_rcp_f64_e32 v[142:143], v[124:125]
	s_nop 0
	v_fma_f64 v[144:145], -v[124:125], v[142:143], 1.0
	v_fmac_f64_e32 v[142:143], v[142:143], v[144:145]
	v_fma_f64 v[144:145], -v[124:125], v[142:143], 1.0
	v_fmac_f64_e32 v[142:143], v[142:143], v[144:145]
	v_div_scale_f64 v[144:145], vcc, 1.0, v[126:127], 1.0
	v_mul_f64 v[146:147], v[144:145], v[142:143]
	v_fma_f64 v[124:125], -v[124:125], v[146:147], v[144:145]
	s_nop 1
	v_div_fmas_f64 v[124:125], v[124:125], v[142:143], v[146:147]
	v_div_fixup_f64 v[126:127], v[124:125], v[126:127], 1.0
	v_mul_f64 v[124:125], v[140:141], v[126:127]
	v_xor_b32_e32 v127, 0x80000000, v127
.LBB60_217:
	s_andn2_saveexec_b64 s[16:17], s[16:17]
	s_cbranch_execz .LBB60_219
; %bb.218:
	v_div_scale_f64 v[140:141], s[18:19], v[124:125], v[124:125], v[126:127]
	v_rcp_f64_e32 v[142:143], v[140:141]
	v_div_scale_f64 v[144:145], vcc, v[126:127], v[124:125], v[126:127]
	v_fma_f64 v[146:147], -v[140:141], v[142:143], 1.0
	v_fmac_f64_e32 v[142:143], v[142:143], v[146:147]
	v_fma_f64 v[146:147], -v[140:141], v[142:143], 1.0
	v_fmac_f64_e32 v[142:143], v[142:143], v[146:147]
	v_mul_f64 v[146:147], v[144:145], v[142:143]
	v_fma_f64 v[140:141], -v[140:141], v[146:147], v[144:145]
	v_div_fmas_f64 v[140:141], v[140:141], v[142:143], v[146:147]
	v_div_fixup_f64 v[140:141], v[140:141], v[124:125], v[126:127]
	v_fmac_f64_e32 v[124:125], v[126:127], v[140:141]
	v_div_scale_f64 v[126:127], s[18:19], v[124:125], v[124:125], 1.0
	v_rcp_f64_e32 v[142:143], v[126:127]
	s_nop 0
	v_fma_f64 v[144:145], -v[126:127], v[142:143], 1.0
	v_fmac_f64_e32 v[142:143], v[142:143], v[144:145]
	v_fma_f64 v[144:145], -v[126:127], v[142:143], 1.0
	v_fmac_f64_e32 v[142:143], v[142:143], v[144:145]
	v_div_scale_f64 v[144:145], vcc, 1.0, v[124:125], 1.0
	v_mul_f64 v[146:147], v[144:145], v[142:143]
	v_fma_f64 v[126:127], -v[126:127], v[146:147], v[144:145]
	s_nop 1
	v_div_fmas_f64 v[126:127], v[126:127], v[142:143], v[146:147]
	v_div_fixup_f64 v[124:125], v[126:127], v[124:125], 1.0
	v_mul_f64 v[126:127], v[140:141], -v[124:125]
.LBB60_219:
	s_or_b64 exec, exec, s[16:17]
.LBB60_220:
	s_or_b64 exec, exec, s[0:1]
	v_cmp_ne_u32_e32 vcc, v137, v134
	s_and_saveexec_b64 s[0:1], vcc
	s_xor_b64 s[0:1], exec, s[0:1]
	s_cbranch_execz .LBB60_226
; %bb.221:
	v_cmp_eq_u32_e32 vcc, 10, v137
	s_and_saveexec_b64 s[16:17], vcc
	s_cbranch_execz .LBB60_225
; %bb.222:
	v_cmp_ne_u32_e32 vcc, 10, v134
	s_xor_b64 s[18:19], s[14:15], -1
	s_and_b64 s[22:23], s[18:19], vcc
	s_and_saveexec_b64 s[18:19], s[22:23]
	s_cbranch_execz .LBB60_224
; %bb.223:
	v_ashrrev_i32_e32 v135, 31, v134
	v_lshl_add_u64 v[140:141], v[134:135], 2, v[132:133]
	global_load_dword v135, v[140:141], off
	global_load_dword v137, v[132:133], off offset:40
	s_waitcnt vmcnt(1)
	global_store_dword v[132:133], v135, off offset:40
	s_waitcnt vmcnt(1)
	global_store_dword v[140:141], v137, off
.LBB60_224:
	s_or_b64 exec, exec, s[18:19]
	v_mov_b32_e32 v137, v134
	v_mov_b32_e32 v139, v134
.LBB60_225:
	s_or_b64 exec, exec, s[16:17]
.LBB60_226:
	s_andn2_saveexec_b64 s[0:1], s[0:1]
	s_cbranch_execz .LBB60_228
; %bb.227:
	v_mov_b32_e32 v137, 10
	s_waitcnt vmcnt(19)
	ds_write2_b64 v136, v[72:73], v[74:75] offset0:22 offset1:23
	s_waitcnt vmcnt(18)
	ds_write2_b64 v136, v[68:69], v[70:71] offset0:24 offset1:25
	;; [unrolled: 2-line block ×20, first 2 shown]
.LBB60_228:
	s_or_b64 exec, exec, s[0:1]
	v_cmp_lt_i32_e32 vcc, 10, v137
	s_waitcnt lgkmcnt(0)
	s_barrier
	s_and_saveexec_b64 s[0:1], vcc
	s_cbranch_execz .LBB60_230
; %bb.229:
	ds_read2_b64 v[140:143], v136 offset0:22 offset1:23
	v_mul_f64 v[134:135], v[126:127], v[78:79]
	v_mul_f64 v[78:79], v[124:125], v[78:79]
	v_fma_f64 v[134:135], v[124:125], v[76:77], -v[134:135]
	v_fmac_f64_e32 v[78:79], v[126:127], v[76:77]
	ds_read2_b64 v[124:127], v136 offset0:24 offset1:25
	s_waitcnt lgkmcnt(1)
	v_mul_f64 v[76:77], v[142:143], v[78:79]
	v_fma_f64 v[76:77], v[140:141], v[134:135], -v[76:77]
	v_mul_f64 v[140:141], v[140:141], v[78:79]
	v_fmac_f64_e32 v[140:141], v[142:143], v[134:135]
	s_waitcnt vmcnt(19)
	v_add_f64 v[72:73], v[72:73], -v[76:77]
	s_waitcnt lgkmcnt(0)
	v_mul_f64 v[76:77], v[126:127], v[78:79]
	v_add_f64 v[74:75], v[74:75], -v[140:141]
	v_fma_f64 v[76:77], v[124:125], v[134:135], -v[76:77]
	v_mul_f64 v[124:125], v[124:125], v[78:79]
	ds_read2_b64 v[140:143], v136 offset0:26 offset1:27
	v_fmac_f64_e32 v[124:125], v[126:127], v[134:135]
	s_waitcnt vmcnt(18)
	v_add_f64 v[70:71], v[70:71], -v[124:125]
	ds_read2_b64 v[124:127], v136 offset0:28 offset1:29
	v_add_f64 v[68:69], v[68:69], -v[76:77]
	s_waitcnt lgkmcnt(1)
	v_mul_f64 v[76:77], v[142:143], v[78:79]
	v_fma_f64 v[76:77], v[140:141], v[134:135], -v[76:77]
	v_mul_f64 v[140:141], v[140:141], v[78:79]
	v_fmac_f64_e32 v[140:141], v[142:143], v[134:135]
	s_waitcnt vmcnt(17)
	v_add_f64 v[64:65], v[64:65], -v[76:77]
	s_waitcnt lgkmcnt(0)
	v_mul_f64 v[76:77], v[126:127], v[78:79]
	v_add_f64 v[66:67], v[66:67], -v[140:141]
	v_fma_f64 v[76:77], v[124:125], v[134:135], -v[76:77]
	v_mul_f64 v[124:125], v[124:125], v[78:79]
	ds_read2_b64 v[140:143], v136 offset0:30 offset1:31
	v_fmac_f64_e32 v[124:125], v[126:127], v[134:135]
	s_waitcnt vmcnt(16)
	v_add_f64 v[58:59], v[58:59], -v[124:125]
	ds_read2_b64 v[124:127], v136 offset0:32 offset1:33
	v_add_f64 v[56:57], v[56:57], -v[76:77]
	;; [unrolled: 18-line block ×9, first 2 shown]
	s_waitcnt lgkmcnt(1)
	v_mul_f64 v[76:77], v[142:143], v[78:79]
	v_fma_f64 v[76:77], v[140:141], v[134:135], -v[76:77]
	s_waitcnt vmcnt(1)
	v_add_f64 v[0:1], v[0:1], -v[76:77]
	s_waitcnt lgkmcnt(0)
	v_mul_f64 v[76:77], v[126:127], v[78:79]
	v_mul_f64 v[140:141], v[140:141], v[78:79]
	v_fma_f64 v[76:77], v[124:125], v[134:135], -v[76:77]
	v_mul_f64 v[124:125], v[124:125], v[78:79]
	v_fmac_f64_e32 v[140:141], v[142:143], v[134:135]
	v_fmac_f64_e32 v[124:125], v[126:127], v[134:135]
	v_add_f64 v[2:3], v[2:3], -v[140:141]
	s_waitcnt vmcnt(0)
	v_add_f64 v[120:121], v[120:121], -v[76:77]
	v_add_f64 v[122:123], v[122:123], -v[124:125]
	v_mov_b64_e32 v[76:77], v[134:135]
.LBB60_230:
	s_or_b64 exec, exec, s[0:1]
	v_lshl_add_u32 v124, v137, 4, v136
	s_barrier
	s_waitcnt vmcnt(19)
	ds_write2_b64 v124, v[72:73], v[74:75] offset1:1
	s_waitcnt lgkmcnt(0)
	s_barrier
	ds_read2_b64 v[124:127], v136 offset0:22 offset1:23
	s_cmp_lt_i32 s20, 13
	v_mov_b32_e32 v134, 11
	s_cbranch_scc1 .LBB60_233
; %bb.231:
	v_add_u32_e32 v135, 0xc0, v136
	s_mov_b32 s16, 12
	v_mov_b32_e32 v134, 11
.LBB60_232:                             ; =>This Inner Loop Header: Depth=1
	ds_read2_b64 v[140:143], v135 offset1:1
	s_waitcnt lgkmcnt(1)
	v_xor_b32_e32 v145, 0x80000000, v125
	v_xor_b32_e32 v147, 0x80000000, v127
	v_cmp_gt_f64_e32 vcc, 0, v[126:127]
	v_cmp_gt_f64_e64 s[0:1], 0, v[124:125]
	v_mov_b32_e32 v144, v124
	v_mov_b32_e32 v146, v126
	v_cndmask_b32_e64 v145, v125, v145, s[0:1]
	v_cndmask_b32_e32 v147, v127, v147, vcc
	v_add_f64 v[144:145], v[144:145], v[146:147]
	s_waitcnt lgkmcnt(0)
	v_xor_b32_e32 v147, 0x80000000, v141
	v_xor_b32_e32 v149, 0x80000000, v143
	v_cmp_gt_f64_e32 vcc, 0, v[142:143]
	v_cmp_gt_f64_e64 s[0:1], 0, v[140:141]
	v_mov_b32_e32 v146, v140
	v_mov_b32_e32 v148, v142
	v_cndmask_b32_e64 v147, v141, v147, s[0:1]
	v_cndmask_b32_e32 v149, v143, v149, vcc
	v_add_f64 v[146:147], v[146:147], v[148:149]
	v_mov_b32_e32 v150, s16
	s_add_i32 s16, s16, 1
	v_cmp_lt_f64_e32 vcc, v[144:145], v[146:147]
	v_add_u32_e32 v135, 16, v135
	s_cmp_lg_u32 s20, s16
	v_cndmask_b32_e32 v125, v125, v141, vcc
	v_cndmask_b32_e32 v124, v124, v140, vcc
	;; [unrolled: 1-line block ×5, first 2 shown]
	s_cbranch_scc1 .LBB60_232
.LBB60_233:
	s_waitcnt lgkmcnt(0)
	v_cmp_eq_f64_e32 vcc, 0, v[124:125]
	v_cmp_eq_f64_e64 s[0:1], 0, v[126:127]
	s_and_b64 s[0:1], vcc, s[0:1]
	s_and_saveexec_b64 s[16:17], s[0:1]
	s_xor_b64 s[0:1], exec, s[16:17]
; %bb.234:
	v_cmp_ne_u32_e32 vcc, 0, v138
	s_nop 1
	v_cndmask_b32_e32 v138, 12, v138, vcc
; %bb.235:
	s_andn2_saveexec_b64 s[0:1], s[0:1]
	s_cbranch_execz .LBB60_241
; %bb.236:
	v_cmp_ngt_f64_e64 s[16:17], |v[124:125]|, |v[126:127]|
	s_and_saveexec_b64 s[18:19], s[16:17]
	s_xor_b64 s[16:17], exec, s[18:19]
	s_cbranch_execz .LBB60_238
; %bb.237:
	v_div_scale_f64 v[140:141], s[18:19], v[126:127], v[126:127], v[124:125]
	v_rcp_f64_e32 v[142:143], v[140:141]
	v_div_scale_f64 v[144:145], vcc, v[124:125], v[126:127], v[124:125]
	v_fma_f64 v[146:147], -v[140:141], v[142:143], 1.0
	v_fmac_f64_e32 v[142:143], v[142:143], v[146:147]
	v_fma_f64 v[146:147], -v[140:141], v[142:143], 1.0
	v_fmac_f64_e32 v[142:143], v[142:143], v[146:147]
	v_mul_f64 v[146:147], v[144:145], v[142:143]
	v_fma_f64 v[140:141], -v[140:141], v[146:147], v[144:145]
	v_div_fmas_f64 v[140:141], v[140:141], v[142:143], v[146:147]
	v_div_fixup_f64 v[140:141], v[140:141], v[126:127], v[124:125]
	v_fmac_f64_e32 v[126:127], v[124:125], v[140:141]
	v_div_scale_f64 v[124:125], s[18:19], v[126:127], v[126:127], 1.0
	v_rcp_f64_e32 v[142:143], v[124:125]
	s_nop 0
	v_fma_f64 v[144:145], -v[124:125], v[142:143], 1.0
	v_fmac_f64_e32 v[142:143], v[142:143], v[144:145]
	v_fma_f64 v[144:145], -v[124:125], v[142:143], 1.0
	v_fmac_f64_e32 v[142:143], v[142:143], v[144:145]
	v_div_scale_f64 v[144:145], vcc, 1.0, v[126:127], 1.0
	v_mul_f64 v[146:147], v[144:145], v[142:143]
	v_fma_f64 v[124:125], -v[124:125], v[146:147], v[144:145]
	s_nop 1
	v_div_fmas_f64 v[124:125], v[124:125], v[142:143], v[146:147]
	v_div_fixup_f64 v[126:127], v[124:125], v[126:127], 1.0
	v_mul_f64 v[124:125], v[140:141], v[126:127]
	v_xor_b32_e32 v127, 0x80000000, v127
.LBB60_238:
	s_andn2_saveexec_b64 s[16:17], s[16:17]
	s_cbranch_execz .LBB60_240
; %bb.239:
	v_div_scale_f64 v[140:141], s[18:19], v[124:125], v[124:125], v[126:127]
	v_rcp_f64_e32 v[142:143], v[140:141]
	v_div_scale_f64 v[144:145], vcc, v[126:127], v[124:125], v[126:127]
	v_fma_f64 v[146:147], -v[140:141], v[142:143], 1.0
	v_fmac_f64_e32 v[142:143], v[142:143], v[146:147]
	v_fma_f64 v[146:147], -v[140:141], v[142:143], 1.0
	v_fmac_f64_e32 v[142:143], v[142:143], v[146:147]
	v_mul_f64 v[146:147], v[144:145], v[142:143]
	v_fma_f64 v[140:141], -v[140:141], v[146:147], v[144:145]
	v_div_fmas_f64 v[140:141], v[140:141], v[142:143], v[146:147]
	v_div_fixup_f64 v[140:141], v[140:141], v[124:125], v[126:127]
	v_fmac_f64_e32 v[124:125], v[126:127], v[140:141]
	v_div_scale_f64 v[126:127], s[18:19], v[124:125], v[124:125], 1.0
	v_rcp_f64_e32 v[142:143], v[126:127]
	s_nop 0
	v_fma_f64 v[144:145], -v[126:127], v[142:143], 1.0
	v_fmac_f64_e32 v[142:143], v[142:143], v[144:145]
	v_fma_f64 v[144:145], -v[126:127], v[142:143], 1.0
	v_fmac_f64_e32 v[142:143], v[142:143], v[144:145]
	v_div_scale_f64 v[144:145], vcc, 1.0, v[124:125], 1.0
	v_mul_f64 v[146:147], v[144:145], v[142:143]
	v_fma_f64 v[126:127], -v[126:127], v[146:147], v[144:145]
	s_nop 1
	v_div_fmas_f64 v[126:127], v[126:127], v[142:143], v[146:147]
	v_div_fixup_f64 v[124:125], v[126:127], v[124:125], 1.0
	v_mul_f64 v[126:127], v[140:141], -v[124:125]
.LBB60_240:
	s_or_b64 exec, exec, s[16:17]
.LBB60_241:
	s_or_b64 exec, exec, s[0:1]
	v_cmp_ne_u32_e32 vcc, v137, v134
	s_and_saveexec_b64 s[0:1], vcc
	s_xor_b64 s[0:1], exec, s[0:1]
	s_cbranch_execz .LBB60_247
; %bb.242:
	v_cmp_eq_u32_e32 vcc, 11, v137
	s_and_saveexec_b64 s[16:17], vcc
	s_cbranch_execz .LBB60_246
; %bb.243:
	v_cmp_ne_u32_e32 vcc, 11, v134
	s_xor_b64 s[18:19], s[14:15], -1
	s_and_b64 s[22:23], s[18:19], vcc
	s_and_saveexec_b64 s[18:19], s[22:23]
	s_cbranch_execz .LBB60_245
; %bb.244:
	v_ashrrev_i32_e32 v135, 31, v134
	v_lshl_add_u64 v[140:141], v[134:135], 2, v[132:133]
	global_load_dword v135, v[140:141], off
	global_load_dword v137, v[132:133], off offset:44
	s_waitcnt vmcnt(1)
	global_store_dword v[132:133], v135, off offset:44
	s_waitcnt vmcnt(1)
	global_store_dword v[140:141], v137, off
.LBB60_245:
	s_or_b64 exec, exec, s[18:19]
	v_mov_b32_e32 v137, v134
	v_mov_b32_e32 v139, v134
.LBB60_246:
	s_or_b64 exec, exec, s[16:17]
.LBB60_247:
	s_andn2_saveexec_b64 s[0:1], s[0:1]
	s_cbranch_execz .LBB60_249
; %bb.248:
	v_mov_b32_e32 v137, 11
	s_waitcnt vmcnt(18)
	ds_write2_b64 v136, v[68:69], v[70:71] offset0:24 offset1:25
	s_waitcnt vmcnt(17)
	ds_write2_b64 v136, v[64:65], v[66:67] offset0:26 offset1:27
	s_waitcnt vmcnt(16)
	ds_write2_b64 v136, v[56:57], v[58:59] offset0:28 offset1:29
	s_waitcnt vmcnt(15)
	ds_write2_b64 v136, v[60:61], v[62:63] offset0:30 offset1:31
	s_waitcnt vmcnt(14)
	ds_write2_b64 v136, v[52:53], v[54:55] offset0:32 offset1:33
	s_waitcnt vmcnt(13)
	ds_write2_b64 v136, v[48:49], v[50:51] offset0:34 offset1:35
	s_waitcnt vmcnt(12)
	ds_write2_b64 v136, v[44:45], v[46:47] offset0:36 offset1:37
	s_waitcnt vmcnt(11)
	ds_write2_b64 v136, v[40:41], v[42:43] offset0:38 offset1:39
	s_waitcnt vmcnt(10)
	ds_write2_b64 v136, v[36:37], v[38:39] offset0:40 offset1:41
	s_waitcnt vmcnt(9)
	ds_write2_b64 v136, v[32:33], v[34:35] offset0:42 offset1:43
	s_waitcnt vmcnt(8)
	ds_write2_b64 v136, v[28:29], v[30:31] offset0:44 offset1:45
	s_waitcnt vmcnt(7)
	ds_write2_b64 v136, v[24:25], v[26:27] offset0:46 offset1:47
	s_waitcnt vmcnt(6)
	ds_write2_b64 v136, v[20:21], v[22:23] offset0:48 offset1:49
	s_waitcnt vmcnt(5)
	ds_write2_b64 v136, v[16:17], v[18:19] offset0:50 offset1:51
	s_waitcnt vmcnt(4)
	ds_write2_b64 v136, v[12:13], v[14:15] offset0:52 offset1:53
	s_waitcnt vmcnt(3)
	ds_write2_b64 v136, v[8:9], v[10:11] offset0:54 offset1:55
	s_waitcnt vmcnt(2)
	ds_write2_b64 v136, v[4:5], v[6:7] offset0:56 offset1:57
	s_waitcnt vmcnt(1)
	ds_write2_b64 v136, v[0:1], v[2:3] offset0:58 offset1:59
	s_waitcnt vmcnt(0)
	ds_write2_b64 v136, v[120:121], v[122:123] offset0:60 offset1:61
.LBB60_249:
	s_or_b64 exec, exec, s[0:1]
	v_cmp_lt_i32_e32 vcc, 11, v137
	s_waitcnt lgkmcnt(0)
	s_barrier
	s_and_saveexec_b64 s[0:1], vcc
	s_cbranch_execz .LBB60_251
; %bb.250:
	ds_read2_b64 v[140:143], v136 offset0:24 offset1:25
	v_mul_f64 v[134:135], v[126:127], v[74:75]
	v_mul_f64 v[74:75], v[124:125], v[74:75]
	v_fmac_f64_e32 v[74:75], v[126:127], v[72:73]
	v_fma_f64 v[134:135], v[124:125], v[72:73], -v[134:135]
	ds_read2_b64 v[124:127], v136 offset0:26 offset1:27
	s_waitcnt lgkmcnt(1)
	v_mul_f64 v[72:73], v[142:143], v[74:75]
	v_fma_f64 v[72:73], v[140:141], v[134:135], -v[72:73]
	v_mul_f64 v[140:141], v[140:141], v[74:75]
	v_fmac_f64_e32 v[140:141], v[142:143], v[134:135]
	s_waitcnt vmcnt(18)
	v_add_f64 v[70:71], v[70:71], -v[140:141]
	ds_read2_b64 v[140:143], v136 offset0:28 offset1:29
	v_add_f64 v[68:69], v[68:69], -v[72:73]
	s_waitcnt lgkmcnt(1)
	v_mul_f64 v[72:73], v[126:127], v[74:75]
	v_fma_f64 v[72:73], v[124:125], v[134:135], -v[72:73]
	v_mul_f64 v[124:125], v[124:125], v[74:75]
	v_fmac_f64_e32 v[124:125], v[126:127], v[134:135]
	s_waitcnt vmcnt(17)
	v_add_f64 v[64:65], v[64:65], -v[72:73]
	v_add_f64 v[66:67], v[66:67], -v[124:125]
	ds_read2_b64 v[124:127], v136 offset0:30 offset1:31
	s_waitcnt lgkmcnt(1)
	v_mul_f64 v[72:73], v[142:143], v[74:75]
	v_fma_f64 v[72:73], v[140:141], v[134:135], -v[72:73]
	v_mul_f64 v[140:141], v[140:141], v[74:75]
	v_fmac_f64_e32 v[140:141], v[142:143], v[134:135]
	s_waitcnt vmcnt(16)
	v_add_f64 v[58:59], v[58:59], -v[140:141]
	ds_read2_b64 v[140:143], v136 offset0:32 offset1:33
	v_add_f64 v[56:57], v[56:57], -v[72:73]
	s_waitcnt lgkmcnt(1)
	v_mul_f64 v[72:73], v[126:127], v[74:75]
	v_fma_f64 v[72:73], v[124:125], v[134:135], -v[72:73]
	v_mul_f64 v[124:125], v[124:125], v[74:75]
	v_fmac_f64_e32 v[124:125], v[126:127], v[134:135]
	s_waitcnt vmcnt(15)
	v_add_f64 v[60:61], v[60:61], -v[72:73]
	v_add_f64 v[62:63], v[62:63], -v[124:125]
	;; [unrolled: 18-line block ×9, first 2 shown]
	s_waitcnt lgkmcnt(0)
	v_mul_f64 v[72:73], v[142:143], v[74:75]
	v_mul_f64 v[124:125], v[140:141], v[74:75]
	v_fma_f64 v[72:73], v[140:141], v[134:135], -v[72:73]
	v_fmac_f64_e32 v[124:125], v[142:143], v[134:135]
	s_waitcnt vmcnt(0)
	v_add_f64 v[120:121], v[120:121], -v[72:73]
	v_add_f64 v[122:123], v[122:123], -v[124:125]
	v_mov_b64_e32 v[72:73], v[134:135]
.LBB60_251:
	s_or_b64 exec, exec, s[0:1]
	v_lshl_add_u32 v124, v137, 4, v136
	s_barrier
	s_waitcnt vmcnt(18)
	ds_write2_b64 v124, v[68:69], v[70:71] offset1:1
	s_waitcnt lgkmcnt(0)
	s_barrier
	ds_read2_b64 v[124:127], v136 offset0:24 offset1:25
	s_cmp_lt_i32 s20, 14
	v_mov_b32_e32 v134, 12
	s_cbranch_scc1 .LBB60_254
; %bb.252:
	v_add_u32_e32 v135, 0xd0, v136
	s_mov_b32 s16, 13
	v_mov_b32_e32 v134, 12
.LBB60_253:                             ; =>This Inner Loop Header: Depth=1
	ds_read2_b64 v[140:143], v135 offset1:1
	s_waitcnt lgkmcnt(1)
	v_xor_b32_e32 v145, 0x80000000, v125
	v_xor_b32_e32 v147, 0x80000000, v127
	v_cmp_gt_f64_e32 vcc, 0, v[126:127]
	v_cmp_gt_f64_e64 s[0:1], 0, v[124:125]
	v_mov_b32_e32 v144, v124
	v_mov_b32_e32 v146, v126
	v_cndmask_b32_e64 v145, v125, v145, s[0:1]
	v_cndmask_b32_e32 v147, v127, v147, vcc
	v_add_f64 v[144:145], v[144:145], v[146:147]
	s_waitcnt lgkmcnt(0)
	v_xor_b32_e32 v147, 0x80000000, v141
	v_xor_b32_e32 v149, 0x80000000, v143
	v_cmp_gt_f64_e32 vcc, 0, v[142:143]
	v_cmp_gt_f64_e64 s[0:1], 0, v[140:141]
	v_mov_b32_e32 v146, v140
	v_mov_b32_e32 v148, v142
	v_cndmask_b32_e64 v147, v141, v147, s[0:1]
	v_cndmask_b32_e32 v149, v143, v149, vcc
	v_add_f64 v[146:147], v[146:147], v[148:149]
	v_mov_b32_e32 v150, s16
	s_add_i32 s16, s16, 1
	v_cmp_lt_f64_e32 vcc, v[144:145], v[146:147]
	v_add_u32_e32 v135, 16, v135
	s_cmp_lg_u32 s20, s16
	v_cndmask_b32_e32 v125, v125, v141, vcc
	v_cndmask_b32_e32 v124, v124, v140, vcc
	;; [unrolled: 1-line block ×5, first 2 shown]
	s_cbranch_scc1 .LBB60_253
.LBB60_254:
	s_waitcnt lgkmcnt(0)
	v_cmp_eq_f64_e32 vcc, 0, v[124:125]
	v_cmp_eq_f64_e64 s[0:1], 0, v[126:127]
	s_and_b64 s[0:1], vcc, s[0:1]
	s_and_saveexec_b64 s[16:17], s[0:1]
	s_xor_b64 s[0:1], exec, s[16:17]
; %bb.255:
	v_cmp_ne_u32_e32 vcc, 0, v138
	s_nop 1
	v_cndmask_b32_e32 v138, 13, v138, vcc
; %bb.256:
	s_andn2_saveexec_b64 s[0:1], s[0:1]
	s_cbranch_execz .LBB60_262
; %bb.257:
	v_cmp_ngt_f64_e64 s[16:17], |v[124:125]|, |v[126:127]|
	s_and_saveexec_b64 s[18:19], s[16:17]
	s_xor_b64 s[16:17], exec, s[18:19]
	s_cbranch_execz .LBB60_259
; %bb.258:
	v_div_scale_f64 v[140:141], s[18:19], v[126:127], v[126:127], v[124:125]
	v_rcp_f64_e32 v[142:143], v[140:141]
	v_div_scale_f64 v[144:145], vcc, v[124:125], v[126:127], v[124:125]
	v_fma_f64 v[146:147], -v[140:141], v[142:143], 1.0
	v_fmac_f64_e32 v[142:143], v[142:143], v[146:147]
	v_fma_f64 v[146:147], -v[140:141], v[142:143], 1.0
	v_fmac_f64_e32 v[142:143], v[142:143], v[146:147]
	v_mul_f64 v[146:147], v[144:145], v[142:143]
	v_fma_f64 v[140:141], -v[140:141], v[146:147], v[144:145]
	v_div_fmas_f64 v[140:141], v[140:141], v[142:143], v[146:147]
	v_div_fixup_f64 v[140:141], v[140:141], v[126:127], v[124:125]
	v_fmac_f64_e32 v[126:127], v[124:125], v[140:141]
	v_div_scale_f64 v[124:125], s[18:19], v[126:127], v[126:127], 1.0
	v_rcp_f64_e32 v[142:143], v[124:125]
	s_nop 0
	v_fma_f64 v[144:145], -v[124:125], v[142:143], 1.0
	v_fmac_f64_e32 v[142:143], v[142:143], v[144:145]
	v_fma_f64 v[144:145], -v[124:125], v[142:143], 1.0
	v_fmac_f64_e32 v[142:143], v[142:143], v[144:145]
	v_div_scale_f64 v[144:145], vcc, 1.0, v[126:127], 1.0
	v_mul_f64 v[146:147], v[144:145], v[142:143]
	v_fma_f64 v[124:125], -v[124:125], v[146:147], v[144:145]
	s_nop 1
	v_div_fmas_f64 v[124:125], v[124:125], v[142:143], v[146:147]
	v_div_fixup_f64 v[126:127], v[124:125], v[126:127], 1.0
	v_mul_f64 v[124:125], v[140:141], v[126:127]
	v_xor_b32_e32 v127, 0x80000000, v127
.LBB60_259:
	s_andn2_saveexec_b64 s[16:17], s[16:17]
	s_cbranch_execz .LBB60_261
; %bb.260:
	v_div_scale_f64 v[140:141], s[18:19], v[124:125], v[124:125], v[126:127]
	v_rcp_f64_e32 v[142:143], v[140:141]
	v_div_scale_f64 v[144:145], vcc, v[126:127], v[124:125], v[126:127]
	v_fma_f64 v[146:147], -v[140:141], v[142:143], 1.0
	v_fmac_f64_e32 v[142:143], v[142:143], v[146:147]
	v_fma_f64 v[146:147], -v[140:141], v[142:143], 1.0
	v_fmac_f64_e32 v[142:143], v[142:143], v[146:147]
	v_mul_f64 v[146:147], v[144:145], v[142:143]
	v_fma_f64 v[140:141], -v[140:141], v[146:147], v[144:145]
	v_div_fmas_f64 v[140:141], v[140:141], v[142:143], v[146:147]
	v_div_fixup_f64 v[140:141], v[140:141], v[124:125], v[126:127]
	v_fmac_f64_e32 v[124:125], v[126:127], v[140:141]
	v_div_scale_f64 v[126:127], s[18:19], v[124:125], v[124:125], 1.0
	v_rcp_f64_e32 v[142:143], v[126:127]
	s_nop 0
	v_fma_f64 v[144:145], -v[126:127], v[142:143], 1.0
	v_fmac_f64_e32 v[142:143], v[142:143], v[144:145]
	v_fma_f64 v[144:145], -v[126:127], v[142:143], 1.0
	v_fmac_f64_e32 v[142:143], v[142:143], v[144:145]
	v_div_scale_f64 v[144:145], vcc, 1.0, v[124:125], 1.0
	v_mul_f64 v[146:147], v[144:145], v[142:143]
	v_fma_f64 v[126:127], -v[126:127], v[146:147], v[144:145]
	s_nop 1
	v_div_fmas_f64 v[126:127], v[126:127], v[142:143], v[146:147]
	v_div_fixup_f64 v[124:125], v[126:127], v[124:125], 1.0
	v_mul_f64 v[126:127], v[140:141], -v[124:125]
.LBB60_261:
	s_or_b64 exec, exec, s[16:17]
.LBB60_262:
	s_or_b64 exec, exec, s[0:1]
	v_cmp_ne_u32_e32 vcc, v137, v134
	s_and_saveexec_b64 s[0:1], vcc
	s_xor_b64 s[0:1], exec, s[0:1]
	s_cbranch_execz .LBB60_268
; %bb.263:
	v_cmp_eq_u32_e32 vcc, 12, v137
	s_and_saveexec_b64 s[16:17], vcc
	s_cbranch_execz .LBB60_267
; %bb.264:
	v_cmp_ne_u32_e32 vcc, 12, v134
	s_xor_b64 s[18:19], s[14:15], -1
	s_and_b64 s[22:23], s[18:19], vcc
	s_and_saveexec_b64 s[18:19], s[22:23]
	s_cbranch_execz .LBB60_266
; %bb.265:
	v_ashrrev_i32_e32 v135, 31, v134
	v_lshl_add_u64 v[140:141], v[134:135], 2, v[132:133]
	global_load_dword v135, v[140:141], off
	global_load_dword v137, v[132:133], off offset:48
	s_waitcnt vmcnt(1)
	global_store_dword v[132:133], v135, off offset:48
	s_waitcnt vmcnt(1)
	global_store_dword v[140:141], v137, off
.LBB60_266:
	s_or_b64 exec, exec, s[18:19]
	v_mov_b32_e32 v137, v134
	v_mov_b32_e32 v139, v134
.LBB60_267:
	s_or_b64 exec, exec, s[16:17]
.LBB60_268:
	s_andn2_saveexec_b64 s[0:1], s[0:1]
	s_cbranch_execz .LBB60_270
; %bb.269:
	v_mov_b32_e32 v137, 12
	s_waitcnt vmcnt(17)
	ds_write2_b64 v136, v[64:65], v[66:67] offset0:26 offset1:27
	s_waitcnt vmcnt(16)
	ds_write2_b64 v136, v[56:57], v[58:59] offset0:28 offset1:29
	;; [unrolled: 2-line block ×18, first 2 shown]
.LBB60_270:
	s_or_b64 exec, exec, s[0:1]
	v_cmp_lt_i32_e32 vcc, 12, v137
	s_waitcnt lgkmcnt(0)
	s_barrier
	s_and_saveexec_b64 s[0:1], vcc
	s_cbranch_execz .LBB60_272
; %bb.271:
	ds_read2_b64 v[140:143], v136 offset0:26 offset1:27
	v_mul_f64 v[134:135], v[126:127], v[70:71]
	v_mul_f64 v[70:71], v[124:125], v[70:71]
	v_fma_f64 v[134:135], v[124:125], v[68:69], -v[134:135]
	v_fmac_f64_e32 v[70:71], v[126:127], v[68:69]
	ds_read2_b64 v[124:127], v136 offset0:28 offset1:29
	s_waitcnt lgkmcnt(1)
	v_mul_f64 v[68:69], v[142:143], v[70:71]
	v_fma_f64 v[68:69], v[140:141], v[134:135], -v[68:69]
	v_mul_f64 v[140:141], v[140:141], v[70:71]
	v_fmac_f64_e32 v[140:141], v[142:143], v[134:135]
	s_waitcnt vmcnt(17)
	v_add_f64 v[64:65], v[64:65], -v[68:69]
	s_waitcnt lgkmcnt(0)
	v_mul_f64 v[68:69], v[126:127], v[70:71]
	v_add_f64 v[66:67], v[66:67], -v[140:141]
	v_fma_f64 v[68:69], v[124:125], v[134:135], -v[68:69]
	v_mul_f64 v[124:125], v[124:125], v[70:71]
	ds_read2_b64 v[140:143], v136 offset0:30 offset1:31
	v_fmac_f64_e32 v[124:125], v[126:127], v[134:135]
	s_waitcnt vmcnt(16)
	v_add_f64 v[58:59], v[58:59], -v[124:125]
	ds_read2_b64 v[124:127], v136 offset0:32 offset1:33
	v_add_f64 v[56:57], v[56:57], -v[68:69]
	s_waitcnt lgkmcnt(1)
	v_mul_f64 v[68:69], v[142:143], v[70:71]
	v_fma_f64 v[68:69], v[140:141], v[134:135], -v[68:69]
	v_mul_f64 v[140:141], v[140:141], v[70:71]
	v_fmac_f64_e32 v[140:141], v[142:143], v[134:135]
	s_waitcnt vmcnt(15)
	v_add_f64 v[60:61], v[60:61], -v[68:69]
	s_waitcnt lgkmcnt(0)
	v_mul_f64 v[68:69], v[126:127], v[70:71]
	v_add_f64 v[62:63], v[62:63], -v[140:141]
	v_fma_f64 v[68:69], v[124:125], v[134:135], -v[68:69]
	v_mul_f64 v[124:125], v[124:125], v[70:71]
	ds_read2_b64 v[140:143], v136 offset0:34 offset1:35
	v_fmac_f64_e32 v[124:125], v[126:127], v[134:135]
	s_waitcnt vmcnt(14)
	v_add_f64 v[54:55], v[54:55], -v[124:125]
	ds_read2_b64 v[124:127], v136 offset0:36 offset1:37
	v_add_f64 v[52:53], v[52:53], -v[68:69]
	;; [unrolled: 18-line block ×8, first 2 shown]
	s_waitcnt lgkmcnt(1)
	v_mul_f64 v[68:69], v[142:143], v[70:71]
	v_fma_f64 v[68:69], v[140:141], v[134:135], -v[68:69]
	s_waitcnt vmcnt(1)
	v_add_f64 v[0:1], v[0:1], -v[68:69]
	s_waitcnt lgkmcnt(0)
	v_mul_f64 v[68:69], v[126:127], v[70:71]
	v_mul_f64 v[140:141], v[140:141], v[70:71]
	v_fma_f64 v[68:69], v[124:125], v[134:135], -v[68:69]
	v_mul_f64 v[124:125], v[124:125], v[70:71]
	v_fmac_f64_e32 v[140:141], v[142:143], v[134:135]
	v_fmac_f64_e32 v[124:125], v[126:127], v[134:135]
	v_add_f64 v[2:3], v[2:3], -v[140:141]
	s_waitcnt vmcnt(0)
	v_add_f64 v[120:121], v[120:121], -v[68:69]
	v_add_f64 v[122:123], v[122:123], -v[124:125]
	v_mov_b64_e32 v[68:69], v[134:135]
.LBB60_272:
	s_or_b64 exec, exec, s[0:1]
	v_lshl_add_u32 v124, v137, 4, v136
	s_barrier
	s_waitcnt vmcnt(17)
	ds_write2_b64 v124, v[64:65], v[66:67] offset1:1
	s_waitcnt lgkmcnt(0)
	s_barrier
	ds_read2_b64 v[124:127], v136 offset0:26 offset1:27
	s_cmp_lt_i32 s20, 15
	v_mov_b32_e32 v134, 13
	s_cbranch_scc1 .LBB60_275
; %bb.273:
	v_add_u32_e32 v135, 0xe0, v136
	s_mov_b32 s16, 14
	v_mov_b32_e32 v134, 13
.LBB60_274:                             ; =>This Inner Loop Header: Depth=1
	ds_read2_b64 v[140:143], v135 offset1:1
	s_waitcnt lgkmcnt(1)
	v_xor_b32_e32 v145, 0x80000000, v125
	v_xor_b32_e32 v147, 0x80000000, v127
	v_cmp_gt_f64_e32 vcc, 0, v[126:127]
	v_cmp_gt_f64_e64 s[0:1], 0, v[124:125]
	v_mov_b32_e32 v144, v124
	v_mov_b32_e32 v146, v126
	v_cndmask_b32_e64 v145, v125, v145, s[0:1]
	v_cndmask_b32_e32 v147, v127, v147, vcc
	v_add_f64 v[144:145], v[144:145], v[146:147]
	s_waitcnt lgkmcnt(0)
	v_xor_b32_e32 v147, 0x80000000, v141
	v_xor_b32_e32 v149, 0x80000000, v143
	v_cmp_gt_f64_e32 vcc, 0, v[142:143]
	v_cmp_gt_f64_e64 s[0:1], 0, v[140:141]
	v_mov_b32_e32 v146, v140
	v_mov_b32_e32 v148, v142
	v_cndmask_b32_e64 v147, v141, v147, s[0:1]
	v_cndmask_b32_e32 v149, v143, v149, vcc
	v_add_f64 v[146:147], v[146:147], v[148:149]
	v_mov_b32_e32 v150, s16
	s_add_i32 s16, s16, 1
	v_cmp_lt_f64_e32 vcc, v[144:145], v[146:147]
	v_add_u32_e32 v135, 16, v135
	s_cmp_lg_u32 s20, s16
	v_cndmask_b32_e32 v125, v125, v141, vcc
	v_cndmask_b32_e32 v124, v124, v140, vcc
	;; [unrolled: 1-line block ×5, first 2 shown]
	s_cbranch_scc1 .LBB60_274
.LBB60_275:
	s_waitcnt lgkmcnt(0)
	v_cmp_eq_f64_e32 vcc, 0, v[124:125]
	v_cmp_eq_f64_e64 s[0:1], 0, v[126:127]
	s_and_b64 s[0:1], vcc, s[0:1]
	s_and_saveexec_b64 s[16:17], s[0:1]
	s_xor_b64 s[0:1], exec, s[16:17]
; %bb.276:
	v_cmp_ne_u32_e32 vcc, 0, v138
	s_nop 1
	v_cndmask_b32_e32 v138, 14, v138, vcc
; %bb.277:
	s_andn2_saveexec_b64 s[0:1], s[0:1]
	s_cbranch_execz .LBB60_283
; %bb.278:
	v_cmp_ngt_f64_e64 s[16:17], |v[124:125]|, |v[126:127]|
	s_and_saveexec_b64 s[18:19], s[16:17]
	s_xor_b64 s[16:17], exec, s[18:19]
	s_cbranch_execz .LBB60_280
; %bb.279:
	v_div_scale_f64 v[140:141], s[18:19], v[126:127], v[126:127], v[124:125]
	v_rcp_f64_e32 v[142:143], v[140:141]
	v_div_scale_f64 v[144:145], vcc, v[124:125], v[126:127], v[124:125]
	v_fma_f64 v[146:147], -v[140:141], v[142:143], 1.0
	v_fmac_f64_e32 v[142:143], v[142:143], v[146:147]
	v_fma_f64 v[146:147], -v[140:141], v[142:143], 1.0
	v_fmac_f64_e32 v[142:143], v[142:143], v[146:147]
	v_mul_f64 v[146:147], v[144:145], v[142:143]
	v_fma_f64 v[140:141], -v[140:141], v[146:147], v[144:145]
	v_div_fmas_f64 v[140:141], v[140:141], v[142:143], v[146:147]
	v_div_fixup_f64 v[140:141], v[140:141], v[126:127], v[124:125]
	v_fmac_f64_e32 v[126:127], v[124:125], v[140:141]
	v_div_scale_f64 v[124:125], s[18:19], v[126:127], v[126:127], 1.0
	v_rcp_f64_e32 v[142:143], v[124:125]
	s_nop 0
	v_fma_f64 v[144:145], -v[124:125], v[142:143], 1.0
	v_fmac_f64_e32 v[142:143], v[142:143], v[144:145]
	v_fma_f64 v[144:145], -v[124:125], v[142:143], 1.0
	v_fmac_f64_e32 v[142:143], v[142:143], v[144:145]
	v_div_scale_f64 v[144:145], vcc, 1.0, v[126:127], 1.0
	v_mul_f64 v[146:147], v[144:145], v[142:143]
	v_fma_f64 v[124:125], -v[124:125], v[146:147], v[144:145]
	s_nop 1
	v_div_fmas_f64 v[124:125], v[124:125], v[142:143], v[146:147]
	v_div_fixup_f64 v[126:127], v[124:125], v[126:127], 1.0
	v_mul_f64 v[124:125], v[140:141], v[126:127]
	v_xor_b32_e32 v127, 0x80000000, v127
.LBB60_280:
	s_andn2_saveexec_b64 s[16:17], s[16:17]
	s_cbranch_execz .LBB60_282
; %bb.281:
	v_div_scale_f64 v[140:141], s[18:19], v[124:125], v[124:125], v[126:127]
	v_rcp_f64_e32 v[142:143], v[140:141]
	v_div_scale_f64 v[144:145], vcc, v[126:127], v[124:125], v[126:127]
	v_fma_f64 v[146:147], -v[140:141], v[142:143], 1.0
	v_fmac_f64_e32 v[142:143], v[142:143], v[146:147]
	v_fma_f64 v[146:147], -v[140:141], v[142:143], 1.0
	v_fmac_f64_e32 v[142:143], v[142:143], v[146:147]
	v_mul_f64 v[146:147], v[144:145], v[142:143]
	v_fma_f64 v[140:141], -v[140:141], v[146:147], v[144:145]
	v_div_fmas_f64 v[140:141], v[140:141], v[142:143], v[146:147]
	v_div_fixup_f64 v[140:141], v[140:141], v[124:125], v[126:127]
	v_fmac_f64_e32 v[124:125], v[126:127], v[140:141]
	v_div_scale_f64 v[126:127], s[18:19], v[124:125], v[124:125], 1.0
	v_rcp_f64_e32 v[142:143], v[126:127]
	s_nop 0
	v_fma_f64 v[144:145], -v[126:127], v[142:143], 1.0
	v_fmac_f64_e32 v[142:143], v[142:143], v[144:145]
	v_fma_f64 v[144:145], -v[126:127], v[142:143], 1.0
	v_fmac_f64_e32 v[142:143], v[142:143], v[144:145]
	v_div_scale_f64 v[144:145], vcc, 1.0, v[124:125], 1.0
	v_mul_f64 v[146:147], v[144:145], v[142:143]
	v_fma_f64 v[126:127], -v[126:127], v[146:147], v[144:145]
	s_nop 1
	v_div_fmas_f64 v[126:127], v[126:127], v[142:143], v[146:147]
	v_div_fixup_f64 v[124:125], v[126:127], v[124:125], 1.0
	v_mul_f64 v[126:127], v[140:141], -v[124:125]
.LBB60_282:
	s_or_b64 exec, exec, s[16:17]
.LBB60_283:
	s_or_b64 exec, exec, s[0:1]
	v_cmp_ne_u32_e32 vcc, v137, v134
	s_and_saveexec_b64 s[0:1], vcc
	s_xor_b64 s[0:1], exec, s[0:1]
	s_cbranch_execz .LBB60_289
; %bb.284:
	v_cmp_eq_u32_e32 vcc, 13, v137
	s_and_saveexec_b64 s[16:17], vcc
	s_cbranch_execz .LBB60_288
; %bb.285:
	v_cmp_ne_u32_e32 vcc, 13, v134
	s_xor_b64 s[18:19], s[14:15], -1
	s_and_b64 s[22:23], s[18:19], vcc
	s_and_saveexec_b64 s[18:19], s[22:23]
	s_cbranch_execz .LBB60_287
; %bb.286:
	v_ashrrev_i32_e32 v135, 31, v134
	v_lshl_add_u64 v[140:141], v[134:135], 2, v[132:133]
	global_load_dword v135, v[140:141], off
	global_load_dword v137, v[132:133], off offset:52
	s_waitcnt vmcnt(1)
	global_store_dword v[132:133], v135, off offset:52
	s_waitcnt vmcnt(1)
	global_store_dword v[140:141], v137, off
.LBB60_287:
	s_or_b64 exec, exec, s[18:19]
	v_mov_b32_e32 v137, v134
	v_mov_b32_e32 v139, v134
.LBB60_288:
	s_or_b64 exec, exec, s[16:17]
.LBB60_289:
	s_andn2_saveexec_b64 s[0:1], s[0:1]
	s_cbranch_execz .LBB60_291
; %bb.290:
	v_mov_b32_e32 v137, 13
	s_waitcnt vmcnt(16)
	ds_write2_b64 v136, v[56:57], v[58:59] offset0:28 offset1:29
	s_waitcnt vmcnt(15)
	ds_write2_b64 v136, v[60:61], v[62:63] offset0:30 offset1:31
	;; [unrolled: 2-line block ×17, first 2 shown]
.LBB60_291:
	s_or_b64 exec, exec, s[0:1]
	v_cmp_lt_i32_e32 vcc, 13, v137
	s_waitcnt lgkmcnt(0)
	s_barrier
	s_and_saveexec_b64 s[0:1], vcc
	s_cbranch_execz .LBB60_293
; %bb.292:
	ds_read2_b64 v[140:143], v136 offset0:28 offset1:29
	v_mul_f64 v[134:135], v[126:127], v[66:67]
	v_mul_f64 v[66:67], v[124:125], v[66:67]
	v_fmac_f64_e32 v[66:67], v[126:127], v[64:65]
	v_fma_f64 v[134:135], v[124:125], v[64:65], -v[134:135]
	ds_read2_b64 v[124:127], v136 offset0:30 offset1:31
	s_waitcnt lgkmcnt(1)
	v_mul_f64 v[64:65], v[142:143], v[66:67]
	v_fma_f64 v[64:65], v[140:141], v[134:135], -v[64:65]
	v_mul_f64 v[140:141], v[140:141], v[66:67]
	v_fmac_f64_e32 v[140:141], v[142:143], v[134:135]
	s_waitcnt vmcnt(16)
	v_add_f64 v[58:59], v[58:59], -v[140:141]
	ds_read2_b64 v[140:143], v136 offset0:32 offset1:33
	v_add_f64 v[56:57], v[56:57], -v[64:65]
	s_waitcnt lgkmcnt(1)
	v_mul_f64 v[64:65], v[126:127], v[66:67]
	v_fma_f64 v[64:65], v[124:125], v[134:135], -v[64:65]
	v_mul_f64 v[124:125], v[124:125], v[66:67]
	v_fmac_f64_e32 v[124:125], v[126:127], v[134:135]
	s_waitcnt vmcnt(15)
	v_add_f64 v[60:61], v[60:61], -v[64:65]
	v_add_f64 v[62:63], v[62:63], -v[124:125]
	ds_read2_b64 v[124:127], v136 offset0:34 offset1:35
	s_waitcnt lgkmcnt(1)
	v_mul_f64 v[64:65], v[142:143], v[66:67]
	v_fma_f64 v[64:65], v[140:141], v[134:135], -v[64:65]
	v_mul_f64 v[140:141], v[140:141], v[66:67]
	v_fmac_f64_e32 v[140:141], v[142:143], v[134:135]
	s_waitcnt vmcnt(14)
	v_add_f64 v[54:55], v[54:55], -v[140:141]
	ds_read2_b64 v[140:143], v136 offset0:36 offset1:37
	v_add_f64 v[52:53], v[52:53], -v[64:65]
	s_waitcnt lgkmcnt(1)
	v_mul_f64 v[64:65], v[126:127], v[66:67]
	v_fma_f64 v[64:65], v[124:125], v[134:135], -v[64:65]
	v_mul_f64 v[124:125], v[124:125], v[66:67]
	v_fmac_f64_e32 v[124:125], v[126:127], v[134:135]
	s_waitcnt vmcnt(13)
	v_add_f64 v[48:49], v[48:49], -v[64:65]
	v_add_f64 v[50:51], v[50:51], -v[124:125]
	;; [unrolled: 18-line block ×8, first 2 shown]
	s_waitcnt lgkmcnt(0)
	v_mul_f64 v[64:65], v[142:143], v[66:67]
	v_mul_f64 v[124:125], v[140:141], v[66:67]
	v_fma_f64 v[64:65], v[140:141], v[134:135], -v[64:65]
	v_fmac_f64_e32 v[124:125], v[142:143], v[134:135]
	s_waitcnt vmcnt(0)
	v_add_f64 v[120:121], v[120:121], -v[64:65]
	v_add_f64 v[122:123], v[122:123], -v[124:125]
	v_mov_b64_e32 v[64:65], v[134:135]
.LBB60_293:
	s_or_b64 exec, exec, s[0:1]
	v_lshl_add_u32 v124, v137, 4, v136
	s_barrier
	s_waitcnt vmcnt(16)
	ds_write2_b64 v124, v[56:57], v[58:59] offset1:1
	s_waitcnt lgkmcnt(0)
	s_barrier
	ds_read2_b64 v[124:127], v136 offset0:28 offset1:29
	s_cmp_lt_i32 s20, 16
	v_mov_b32_e32 v134, 14
	s_cbranch_scc1 .LBB60_296
; %bb.294:
	v_add_u32_e32 v135, 0xf0, v136
	s_mov_b32 s16, 15
	v_mov_b32_e32 v134, 14
.LBB60_295:                             ; =>This Inner Loop Header: Depth=1
	ds_read2_b64 v[140:143], v135 offset1:1
	s_waitcnt lgkmcnt(1)
	v_xor_b32_e32 v145, 0x80000000, v125
	v_xor_b32_e32 v147, 0x80000000, v127
	v_cmp_gt_f64_e32 vcc, 0, v[126:127]
	v_cmp_gt_f64_e64 s[0:1], 0, v[124:125]
	v_mov_b32_e32 v144, v124
	v_mov_b32_e32 v146, v126
	v_cndmask_b32_e64 v145, v125, v145, s[0:1]
	v_cndmask_b32_e32 v147, v127, v147, vcc
	v_add_f64 v[144:145], v[144:145], v[146:147]
	s_waitcnt lgkmcnt(0)
	v_xor_b32_e32 v147, 0x80000000, v141
	v_xor_b32_e32 v149, 0x80000000, v143
	v_cmp_gt_f64_e32 vcc, 0, v[142:143]
	v_cmp_gt_f64_e64 s[0:1], 0, v[140:141]
	v_mov_b32_e32 v146, v140
	v_mov_b32_e32 v148, v142
	v_cndmask_b32_e64 v147, v141, v147, s[0:1]
	v_cndmask_b32_e32 v149, v143, v149, vcc
	v_add_f64 v[146:147], v[146:147], v[148:149]
	v_mov_b32_e32 v150, s16
	s_add_i32 s16, s16, 1
	v_cmp_lt_f64_e32 vcc, v[144:145], v[146:147]
	v_add_u32_e32 v135, 16, v135
	s_cmp_lg_u32 s20, s16
	v_cndmask_b32_e32 v125, v125, v141, vcc
	v_cndmask_b32_e32 v124, v124, v140, vcc
	;; [unrolled: 1-line block ×5, first 2 shown]
	s_cbranch_scc1 .LBB60_295
.LBB60_296:
	s_waitcnt lgkmcnt(0)
	v_cmp_eq_f64_e32 vcc, 0, v[124:125]
	v_cmp_eq_f64_e64 s[0:1], 0, v[126:127]
	s_and_b64 s[0:1], vcc, s[0:1]
	s_and_saveexec_b64 s[16:17], s[0:1]
	s_xor_b64 s[0:1], exec, s[16:17]
; %bb.297:
	v_cmp_ne_u32_e32 vcc, 0, v138
	s_nop 1
	v_cndmask_b32_e32 v138, 15, v138, vcc
; %bb.298:
	s_andn2_saveexec_b64 s[0:1], s[0:1]
	s_cbranch_execz .LBB60_304
; %bb.299:
	v_cmp_ngt_f64_e64 s[16:17], |v[124:125]|, |v[126:127]|
	s_and_saveexec_b64 s[18:19], s[16:17]
	s_xor_b64 s[16:17], exec, s[18:19]
	s_cbranch_execz .LBB60_301
; %bb.300:
	v_div_scale_f64 v[140:141], s[18:19], v[126:127], v[126:127], v[124:125]
	v_rcp_f64_e32 v[142:143], v[140:141]
	v_div_scale_f64 v[144:145], vcc, v[124:125], v[126:127], v[124:125]
	v_fma_f64 v[146:147], -v[140:141], v[142:143], 1.0
	v_fmac_f64_e32 v[142:143], v[142:143], v[146:147]
	v_fma_f64 v[146:147], -v[140:141], v[142:143], 1.0
	v_fmac_f64_e32 v[142:143], v[142:143], v[146:147]
	v_mul_f64 v[146:147], v[144:145], v[142:143]
	v_fma_f64 v[140:141], -v[140:141], v[146:147], v[144:145]
	v_div_fmas_f64 v[140:141], v[140:141], v[142:143], v[146:147]
	v_div_fixup_f64 v[140:141], v[140:141], v[126:127], v[124:125]
	v_fmac_f64_e32 v[126:127], v[124:125], v[140:141]
	v_div_scale_f64 v[124:125], s[18:19], v[126:127], v[126:127], 1.0
	v_rcp_f64_e32 v[142:143], v[124:125]
	s_nop 0
	v_fma_f64 v[144:145], -v[124:125], v[142:143], 1.0
	v_fmac_f64_e32 v[142:143], v[142:143], v[144:145]
	v_fma_f64 v[144:145], -v[124:125], v[142:143], 1.0
	v_fmac_f64_e32 v[142:143], v[142:143], v[144:145]
	v_div_scale_f64 v[144:145], vcc, 1.0, v[126:127], 1.0
	v_mul_f64 v[146:147], v[144:145], v[142:143]
	v_fma_f64 v[124:125], -v[124:125], v[146:147], v[144:145]
	s_nop 1
	v_div_fmas_f64 v[124:125], v[124:125], v[142:143], v[146:147]
	v_div_fixup_f64 v[126:127], v[124:125], v[126:127], 1.0
	v_mul_f64 v[124:125], v[140:141], v[126:127]
	v_xor_b32_e32 v127, 0x80000000, v127
.LBB60_301:
	s_andn2_saveexec_b64 s[16:17], s[16:17]
	s_cbranch_execz .LBB60_303
; %bb.302:
	v_div_scale_f64 v[140:141], s[18:19], v[124:125], v[124:125], v[126:127]
	v_rcp_f64_e32 v[142:143], v[140:141]
	v_div_scale_f64 v[144:145], vcc, v[126:127], v[124:125], v[126:127]
	v_fma_f64 v[146:147], -v[140:141], v[142:143], 1.0
	v_fmac_f64_e32 v[142:143], v[142:143], v[146:147]
	v_fma_f64 v[146:147], -v[140:141], v[142:143], 1.0
	v_fmac_f64_e32 v[142:143], v[142:143], v[146:147]
	v_mul_f64 v[146:147], v[144:145], v[142:143]
	v_fma_f64 v[140:141], -v[140:141], v[146:147], v[144:145]
	v_div_fmas_f64 v[140:141], v[140:141], v[142:143], v[146:147]
	v_div_fixup_f64 v[140:141], v[140:141], v[124:125], v[126:127]
	v_fmac_f64_e32 v[124:125], v[126:127], v[140:141]
	v_div_scale_f64 v[126:127], s[18:19], v[124:125], v[124:125], 1.0
	v_rcp_f64_e32 v[142:143], v[126:127]
	s_nop 0
	v_fma_f64 v[144:145], -v[126:127], v[142:143], 1.0
	v_fmac_f64_e32 v[142:143], v[142:143], v[144:145]
	v_fma_f64 v[144:145], -v[126:127], v[142:143], 1.0
	v_fmac_f64_e32 v[142:143], v[142:143], v[144:145]
	v_div_scale_f64 v[144:145], vcc, 1.0, v[124:125], 1.0
	v_mul_f64 v[146:147], v[144:145], v[142:143]
	v_fma_f64 v[126:127], -v[126:127], v[146:147], v[144:145]
	s_nop 1
	v_div_fmas_f64 v[126:127], v[126:127], v[142:143], v[146:147]
	v_div_fixup_f64 v[124:125], v[126:127], v[124:125], 1.0
	v_mul_f64 v[126:127], v[140:141], -v[124:125]
.LBB60_303:
	s_or_b64 exec, exec, s[16:17]
.LBB60_304:
	s_or_b64 exec, exec, s[0:1]
	v_cmp_ne_u32_e32 vcc, v137, v134
	s_and_saveexec_b64 s[0:1], vcc
	s_xor_b64 s[0:1], exec, s[0:1]
	s_cbranch_execz .LBB60_310
; %bb.305:
	v_cmp_eq_u32_e32 vcc, 14, v137
	s_and_saveexec_b64 s[16:17], vcc
	s_cbranch_execz .LBB60_309
; %bb.306:
	v_cmp_ne_u32_e32 vcc, 14, v134
	s_xor_b64 s[18:19], s[14:15], -1
	s_and_b64 s[22:23], s[18:19], vcc
	s_and_saveexec_b64 s[18:19], s[22:23]
	s_cbranch_execz .LBB60_308
; %bb.307:
	v_ashrrev_i32_e32 v135, 31, v134
	v_lshl_add_u64 v[140:141], v[134:135], 2, v[132:133]
	global_load_dword v135, v[140:141], off
	global_load_dword v137, v[132:133], off offset:56
	s_waitcnt vmcnt(1)
	global_store_dword v[132:133], v135, off offset:56
	s_waitcnt vmcnt(1)
	global_store_dword v[140:141], v137, off
.LBB60_308:
	s_or_b64 exec, exec, s[18:19]
	v_mov_b32_e32 v137, v134
	v_mov_b32_e32 v139, v134
.LBB60_309:
	s_or_b64 exec, exec, s[16:17]
.LBB60_310:
	s_andn2_saveexec_b64 s[0:1], s[0:1]
	s_cbranch_execz .LBB60_312
; %bb.311:
	v_mov_b32_e32 v137, 14
	s_waitcnt vmcnt(15)
	ds_write2_b64 v136, v[60:61], v[62:63] offset0:30 offset1:31
	s_waitcnt vmcnt(14)
	ds_write2_b64 v136, v[52:53], v[54:55] offset0:32 offset1:33
	;; [unrolled: 2-line block ×16, first 2 shown]
.LBB60_312:
	s_or_b64 exec, exec, s[0:1]
	v_cmp_lt_i32_e32 vcc, 14, v137
	s_waitcnt lgkmcnt(0)
	s_barrier
	s_and_saveexec_b64 s[0:1], vcc
	s_cbranch_execz .LBB60_314
; %bb.313:
	ds_read2_b64 v[140:143], v136 offset0:30 offset1:31
	v_mul_f64 v[134:135], v[124:125], v[58:59]
	v_mul_f64 v[58:59], v[126:127], v[58:59]
	v_fmac_f64_e32 v[134:135], v[126:127], v[56:57]
	v_fma_f64 v[56:57], v[124:125], v[56:57], -v[58:59]
	ds_read2_b64 v[124:127], v136 offset0:32 offset1:33
	s_waitcnt lgkmcnt(1)
	v_mul_f64 v[58:59], v[142:143], v[134:135]
	v_fma_f64 v[58:59], v[140:141], v[56:57], -v[58:59]
	v_mul_f64 v[140:141], v[140:141], v[134:135]
	v_fmac_f64_e32 v[140:141], v[142:143], v[56:57]
	s_waitcnt vmcnt(15)
	v_add_f64 v[60:61], v[60:61], -v[58:59]
	s_waitcnt lgkmcnt(0)
	v_mul_f64 v[58:59], v[126:127], v[134:135]
	v_add_f64 v[62:63], v[62:63], -v[140:141]
	v_fma_f64 v[58:59], v[124:125], v[56:57], -v[58:59]
	v_mul_f64 v[124:125], v[124:125], v[134:135]
	ds_read2_b64 v[140:143], v136 offset0:34 offset1:35
	v_fmac_f64_e32 v[124:125], v[126:127], v[56:57]
	s_waitcnt vmcnt(14)
	v_add_f64 v[54:55], v[54:55], -v[124:125]
	ds_read2_b64 v[124:127], v136 offset0:36 offset1:37
	v_add_f64 v[52:53], v[52:53], -v[58:59]
	s_waitcnt lgkmcnt(1)
	v_mul_f64 v[58:59], v[142:143], v[134:135]
	v_fma_f64 v[58:59], v[140:141], v[56:57], -v[58:59]
	v_mul_f64 v[140:141], v[140:141], v[134:135]
	v_fmac_f64_e32 v[140:141], v[142:143], v[56:57]
	s_waitcnt vmcnt(13)
	v_add_f64 v[48:49], v[48:49], -v[58:59]
	s_waitcnt lgkmcnt(0)
	v_mul_f64 v[58:59], v[126:127], v[134:135]
	v_add_f64 v[50:51], v[50:51], -v[140:141]
	v_fma_f64 v[58:59], v[124:125], v[56:57], -v[58:59]
	v_mul_f64 v[124:125], v[124:125], v[134:135]
	ds_read2_b64 v[140:143], v136 offset0:38 offset1:39
	v_fmac_f64_e32 v[124:125], v[126:127], v[56:57]
	s_waitcnt vmcnt(12)
	v_add_f64 v[46:47], v[46:47], -v[124:125]
	ds_read2_b64 v[124:127], v136 offset0:40 offset1:41
	v_add_f64 v[44:45], v[44:45], -v[58:59]
	;; [unrolled: 18-line block ×7, first 2 shown]
	s_waitcnt lgkmcnt(1)
	v_mul_f64 v[58:59], v[142:143], v[134:135]
	v_fma_f64 v[58:59], v[140:141], v[56:57], -v[58:59]
	s_waitcnt vmcnt(1)
	v_add_f64 v[0:1], v[0:1], -v[58:59]
	s_waitcnt lgkmcnt(0)
	v_mul_f64 v[58:59], v[126:127], v[134:135]
	v_mul_f64 v[140:141], v[140:141], v[134:135]
	v_fma_f64 v[58:59], v[124:125], v[56:57], -v[58:59]
	v_mul_f64 v[124:125], v[124:125], v[134:135]
	v_fmac_f64_e32 v[140:141], v[142:143], v[56:57]
	v_fmac_f64_e32 v[124:125], v[126:127], v[56:57]
	v_add_f64 v[2:3], v[2:3], -v[140:141]
	s_waitcnt vmcnt(0)
	v_add_f64 v[120:121], v[120:121], -v[58:59]
	v_add_f64 v[122:123], v[122:123], -v[124:125]
	v_mov_b64_e32 v[58:59], v[134:135]
.LBB60_314:
	s_or_b64 exec, exec, s[0:1]
	v_lshl_add_u32 v124, v137, 4, v136
	s_barrier
	s_waitcnt vmcnt(15)
	ds_write2_b64 v124, v[60:61], v[62:63] offset1:1
	s_waitcnt lgkmcnt(0)
	s_barrier
	ds_read2_b64 v[124:127], v136 offset0:30 offset1:31
	s_cmp_lt_i32 s20, 17
	v_mov_b32_e32 v134, 15
	s_cbranch_scc1 .LBB60_317
; %bb.315:
	v_add_u32_e32 v135, 0x100, v136
	s_mov_b32 s16, 16
	v_mov_b32_e32 v134, 15
.LBB60_316:                             ; =>This Inner Loop Header: Depth=1
	ds_read2_b64 v[140:143], v135 offset1:1
	s_waitcnt lgkmcnt(1)
	v_xor_b32_e32 v145, 0x80000000, v125
	v_xor_b32_e32 v147, 0x80000000, v127
	v_cmp_gt_f64_e32 vcc, 0, v[126:127]
	v_cmp_gt_f64_e64 s[0:1], 0, v[124:125]
	v_mov_b32_e32 v144, v124
	v_mov_b32_e32 v146, v126
	v_cndmask_b32_e64 v145, v125, v145, s[0:1]
	v_cndmask_b32_e32 v147, v127, v147, vcc
	v_add_f64 v[144:145], v[144:145], v[146:147]
	s_waitcnt lgkmcnt(0)
	v_xor_b32_e32 v147, 0x80000000, v141
	v_xor_b32_e32 v149, 0x80000000, v143
	v_cmp_gt_f64_e32 vcc, 0, v[142:143]
	v_cmp_gt_f64_e64 s[0:1], 0, v[140:141]
	v_mov_b32_e32 v146, v140
	v_mov_b32_e32 v148, v142
	v_cndmask_b32_e64 v147, v141, v147, s[0:1]
	v_cndmask_b32_e32 v149, v143, v149, vcc
	v_add_f64 v[146:147], v[146:147], v[148:149]
	v_mov_b32_e32 v150, s16
	s_add_i32 s16, s16, 1
	v_cmp_lt_f64_e32 vcc, v[144:145], v[146:147]
	v_add_u32_e32 v135, 16, v135
	s_cmp_lg_u32 s20, s16
	v_cndmask_b32_e32 v125, v125, v141, vcc
	v_cndmask_b32_e32 v124, v124, v140, vcc
	;; [unrolled: 1-line block ×5, first 2 shown]
	s_cbranch_scc1 .LBB60_316
.LBB60_317:
	s_waitcnt lgkmcnt(0)
	v_cmp_eq_f64_e32 vcc, 0, v[124:125]
	v_cmp_eq_f64_e64 s[0:1], 0, v[126:127]
	s_and_b64 s[0:1], vcc, s[0:1]
	s_and_saveexec_b64 s[16:17], s[0:1]
	s_xor_b64 s[0:1], exec, s[16:17]
; %bb.318:
	v_cmp_ne_u32_e32 vcc, 0, v138
	s_nop 1
	v_cndmask_b32_e32 v138, 16, v138, vcc
; %bb.319:
	s_andn2_saveexec_b64 s[0:1], s[0:1]
	s_cbranch_execz .LBB60_325
; %bb.320:
	v_cmp_ngt_f64_e64 s[16:17], |v[124:125]|, |v[126:127]|
	s_and_saveexec_b64 s[18:19], s[16:17]
	s_xor_b64 s[16:17], exec, s[18:19]
	s_cbranch_execz .LBB60_322
; %bb.321:
	v_div_scale_f64 v[140:141], s[18:19], v[126:127], v[126:127], v[124:125]
	v_rcp_f64_e32 v[142:143], v[140:141]
	v_div_scale_f64 v[144:145], vcc, v[124:125], v[126:127], v[124:125]
	v_fma_f64 v[146:147], -v[140:141], v[142:143], 1.0
	v_fmac_f64_e32 v[142:143], v[142:143], v[146:147]
	v_fma_f64 v[146:147], -v[140:141], v[142:143], 1.0
	v_fmac_f64_e32 v[142:143], v[142:143], v[146:147]
	v_mul_f64 v[146:147], v[144:145], v[142:143]
	v_fma_f64 v[140:141], -v[140:141], v[146:147], v[144:145]
	v_div_fmas_f64 v[140:141], v[140:141], v[142:143], v[146:147]
	v_div_fixup_f64 v[140:141], v[140:141], v[126:127], v[124:125]
	v_fmac_f64_e32 v[126:127], v[124:125], v[140:141]
	v_div_scale_f64 v[124:125], s[18:19], v[126:127], v[126:127], 1.0
	v_rcp_f64_e32 v[142:143], v[124:125]
	s_nop 0
	v_fma_f64 v[144:145], -v[124:125], v[142:143], 1.0
	v_fmac_f64_e32 v[142:143], v[142:143], v[144:145]
	v_fma_f64 v[144:145], -v[124:125], v[142:143], 1.0
	v_fmac_f64_e32 v[142:143], v[142:143], v[144:145]
	v_div_scale_f64 v[144:145], vcc, 1.0, v[126:127], 1.0
	v_mul_f64 v[146:147], v[144:145], v[142:143]
	v_fma_f64 v[124:125], -v[124:125], v[146:147], v[144:145]
	s_nop 1
	v_div_fmas_f64 v[124:125], v[124:125], v[142:143], v[146:147]
	v_div_fixup_f64 v[126:127], v[124:125], v[126:127], 1.0
	v_mul_f64 v[124:125], v[140:141], v[126:127]
	v_xor_b32_e32 v127, 0x80000000, v127
.LBB60_322:
	s_andn2_saveexec_b64 s[16:17], s[16:17]
	s_cbranch_execz .LBB60_324
; %bb.323:
	v_div_scale_f64 v[140:141], s[18:19], v[124:125], v[124:125], v[126:127]
	v_rcp_f64_e32 v[142:143], v[140:141]
	v_div_scale_f64 v[144:145], vcc, v[126:127], v[124:125], v[126:127]
	v_fma_f64 v[146:147], -v[140:141], v[142:143], 1.0
	v_fmac_f64_e32 v[142:143], v[142:143], v[146:147]
	v_fma_f64 v[146:147], -v[140:141], v[142:143], 1.0
	v_fmac_f64_e32 v[142:143], v[142:143], v[146:147]
	v_mul_f64 v[146:147], v[144:145], v[142:143]
	v_fma_f64 v[140:141], -v[140:141], v[146:147], v[144:145]
	v_div_fmas_f64 v[140:141], v[140:141], v[142:143], v[146:147]
	v_div_fixup_f64 v[140:141], v[140:141], v[124:125], v[126:127]
	v_fmac_f64_e32 v[124:125], v[126:127], v[140:141]
	v_div_scale_f64 v[126:127], s[18:19], v[124:125], v[124:125], 1.0
	v_rcp_f64_e32 v[142:143], v[126:127]
	s_nop 0
	v_fma_f64 v[144:145], -v[126:127], v[142:143], 1.0
	v_fmac_f64_e32 v[142:143], v[142:143], v[144:145]
	v_fma_f64 v[144:145], -v[126:127], v[142:143], 1.0
	v_fmac_f64_e32 v[142:143], v[142:143], v[144:145]
	v_div_scale_f64 v[144:145], vcc, 1.0, v[124:125], 1.0
	v_mul_f64 v[146:147], v[144:145], v[142:143]
	v_fma_f64 v[126:127], -v[126:127], v[146:147], v[144:145]
	s_nop 1
	v_div_fmas_f64 v[126:127], v[126:127], v[142:143], v[146:147]
	v_div_fixup_f64 v[124:125], v[126:127], v[124:125], 1.0
	v_mul_f64 v[126:127], v[140:141], -v[124:125]
.LBB60_324:
	s_or_b64 exec, exec, s[16:17]
.LBB60_325:
	s_or_b64 exec, exec, s[0:1]
	v_cmp_ne_u32_e32 vcc, v137, v134
	s_and_saveexec_b64 s[0:1], vcc
	s_xor_b64 s[0:1], exec, s[0:1]
	s_cbranch_execz .LBB60_331
; %bb.326:
	v_cmp_eq_u32_e32 vcc, 15, v137
	s_and_saveexec_b64 s[16:17], vcc
	s_cbranch_execz .LBB60_330
; %bb.327:
	v_cmp_ne_u32_e32 vcc, 15, v134
	s_xor_b64 s[18:19], s[14:15], -1
	s_and_b64 s[22:23], s[18:19], vcc
	s_and_saveexec_b64 s[18:19], s[22:23]
	s_cbranch_execz .LBB60_329
; %bb.328:
	v_ashrrev_i32_e32 v135, 31, v134
	v_lshl_add_u64 v[140:141], v[134:135], 2, v[132:133]
	global_load_dword v135, v[140:141], off
	global_load_dword v137, v[132:133], off offset:60
	s_waitcnt vmcnt(1)
	global_store_dword v[132:133], v135, off offset:60
	s_waitcnt vmcnt(1)
	global_store_dword v[140:141], v137, off
.LBB60_329:
	s_or_b64 exec, exec, s[18:19]
	v_mov_b32_e32 v137, v134
	v_mov_b32_e32 v139, v134
.LBB60_330:
	s_or_b64 exec, exec, s[16:17]
.LBB60_331:
	s_andn2_saveexec_b64 s[0:1], s[0:1]
	s_cbranch_execz .LBB60_333
; %bb.332:
	v_mov_b32_e32 v137, 15
	s_waitcnt vmcnt(14)
	ds_write2_b64 v136, v[52:53], v[54:55] offset0:32 offset1:33
	s_waitcnt vmcnt(13)
	ds_write2_b64 v136, v[48:49], v[50:51] offset0:34 offset1:35
	;; [unrolled: 2-line block ×15, first 2 shown]
.LBB60_333:
	s_or_b64 exec, exec, s[0:1]
	v_cmp_lt_i32_e32 vcc, 15, v137
	s_waitcnt lgkmcnt(0)
	s_barrier
	s_and_saveexec_b64 s[0:1], vcc
	s_cbranch_execz .LBB60_335
; %bb.334:
	ds_read2_b64 v[140:143], v136 offset0:32 offset1:33
	v_mul_f64 v[134:135], v[124:125], v[62:63]
	v_fmac_f64_e32 v[134:135], v[126:127], v[60:61]
	v_mul_f64 v[62:63], v[126:127], v[62:63]
	v_fma_f64 v[60:61], v[124:125], v[60:61], -v[62:63]
	ds_read2_b64 v[124:127], v136 offset0:34 offset1:35
	s_waitcnt lgkmcnt(1)
	v_mul_f64 v[62:63], v[142:143], v[134:135]
	v_fma_f64 v[62:63], v[140:141], v[60:61], -v[62:63]
	v_mul_f64 v[140:141], v[140:141], v[134:135]
	v_fmac_f64_e32 v[140:141], v[142:143], v[60:61]
	s_waitcnt vmcnt(14)
	v_add_f64 v[54:55], v[54:55], -v[140:141]
	ds_read2_b64 v[140:143], v136 offset0:36 offset1:37
	v_add_f64 v[52:53], v[52:53], -v[62:63]
	s_waitcnt lgkmcnt(1)
	v_mul_f64 v[62:63], v[126:127], v[134:135]
	v_fma_f64 v[62:63], v[124:125], v[60:61], -v[62:63]
	v_mul_f64 v[124:125], v[124:125], v[134:135]
	v_fmac_f64_e32 v[124:125], v[126:127], v[60:61]
	s_waitcnt vmcnt(13)
	v_add_f64 v[48:49], v[48:49], -v[62:63]
	v_add_f64 v[50:51], v[50:51], -v[124:125]
	ds_read2_b64 v[124:127], v136 offset0:38 offset1:39
	s_waitcnt lgkmcnt(1)
	v_mul_f64 v[62:63], v[142:143], v[134:135]
	v_fma_f64 v[62:63], v[140:141], v[60:61], -v[62:63]
	v_mul_f64 v[140:141], v[140:141], v[134:135]
	v_fmac_f64_e32 v[140:141], v[142:143], v[60:61]
	s_waitcnt vmcnt(12)
	v_add_f64 v[46:47], v[46:47], -v[140:141]
	ds_read2_b64 v[140:143], v136 offset0:40 offset1:41
	v_add_f64 v[44:45], v[44:45], -v[62:63]
	s_waitcnt lgkmcnt(1)
	v_mul_f64 v[62:63], v[126:127], v[134:135]
	v_fma_f64 v[62:63], v[124:125], v[60:61], -v[62:63]
	v_mul_f64 v[124:125], v[124:125], v[134:135]
	v_fmac_f64_e32 v[124:125], v[126:127], v[60:61]
	s_waitcnt vmcnt(11)
	v_add_f64 v[40:41], v[40:41], -v[62:63]
	v_add_f64 v[42:43], v[42:43], -v[124:125]
	;; [unrolled: 18-line block ×7, first 2 shown]
	s_waitcnt lgkmcnt(0)
	v_mul_f64 v[62:63], v[142:143], v[134:135]
	v_mul_f64 v[124:125], v[140:141], v[134:135]
	v_fma_f64 v[62:63], v[140:141], v[60:61], -v[62:63]
	v_fmac_f64_e32 v[124:125], v[142:143], v[60:61]
	s_waitcnt vmcnt(0)
	v_add_f64 v[120:121], v[120:121], -v[62:63]
	v_add_f64 v[122:123], v[122:123], -v[124:125]
	v_mov_b64_e32 v[62:63], v[134:135]
.LBB60_335:
	s_or_b64 exec, exec, s[0:1]
	v_lshl_add_u32 v124, v137, 4, v136
	s_barrier
	s_waitcnt vmcnt(14)
	ds_write2_b64 v124, v[52:53], v[54:55] offset1:1
	s_waitcnt lgkmcnt(0)
	s_barrier
	ds_read2_b64 v[124:127], v136 offset0:32 offset1:33
	s_cmp_lt_i32 s20, 18
	v_mov_b32_e32 v134, 16
	s_cbranch_scc1 .LBB60_338
; %bb.336:
	v_add_u32_e32 v135, 0x110, v136
	s_mov_b32 s16, 17
	v_mov_b32_e32 v134, 16
.LBB60_337:                             ; =>This Inner Loop Header: Depth=1
	ds_read2_b64 v[140:143], v135 offset1:1
	s_waitcnt lgkmcnt(1)
	v_xor_b32_e32 v145, 0x80000000, v125
	v_xor_b32_e32 v147, 0x80000000, v127
	v_cmp_gt_f64_e32 vcc, 0, v[126:127]
	v_cmp_gt_f64_e64 s[0:1], 0, v[124:125]
	v_mov_b32_e32 v144, v124
	v_mov_b32_e32 v146, v126
	v_cndmask_b32_e64 v145, v125, v145, s[0:1]
	v_cndmask_b32_e32 v147, v127, v147, vcc
	v_add_f64 v[144:145], v[144:145], v[146:147]
	s_waitcnt lgkmcnt(0)
	v_xor_b32_e32 v147, 0x80000000, v141
	v_xor_b32_e32 v149, 0x80000000, v143
	v_cmp_gt_f64_e32 vcc, 0, v[142:143]
	v_cmp_gt_f64_e64 s[0:1], 0, v[140:141]
	v_mov_b32_e32 v146, v140
	v_mov_b32_e32 v148, v142
	v_cndmask_b32_e64 v147, v141, v147, s[0:1]
	v_cndmask_b32_e32 v149, v143, v149, vcc
	v_add_f64 v[146:147], v[146:147], v[148:149]
	v_mov_b32_e32 v150, s16
	s_add_i32 s16, s16, 1
	v_cmp_lt_f64_e32 vcc, v[144:145], v[146:147]
	v_add_u32_e32 v135, 16, v135
	s_cmp_lg_u32 s20, s16
	v_cndmask_b32_e32 v125, v125, v141, vcc
	v_cndmask_b32_e32 v124, v124, v140, vcc
	;; [unrolled: 1-line block ×5, first 2 shown]
	s_cbranch_scc1 .LBB60_337
.LBB60_338:
	s_waitcnt lgkmcnt(0)
	v_cmp_eq_f64_e32 vcc, 0, v[124:125]
	v_cmp_eq_f64_e64 s[0:1], 0, v[126:127]
	s_and_b64 s[0:1], vcc, s[0:1]
	s_and_saveexec_b64 s[16:17], s[0:1]
	s_xor_b64 s[0:1], exec, s[16:17]
; %bb.339:
	v_cmp_ne_u32_e32 vcc, 0, v138
	s_nop 1
	v_cndmask_b32_e32 v138, 17, v138, vcc
; %bb.340:
	s_andn2_saveexec_b64 s[0:1], s[0:1]
	s_cbranch_execz .LBB60_346
; %bb.341:
	v_cmp_ngt_f64_e64 s[16:17], |v[124:125]|, |v[126:127]|
	s_and_saveexec_b64 s[18:19], s[16:17]
	s_xor_b64 s[16:17], exec, s[18:19]
	s_cbranch_execz .LBB60_343
; %bb.342:
	v_div_scale_f64 v[140:141], s[18:19], v[126:127], v[126:127], v[124:125]
	v_rcp_f64_e32 v[142:143], v[140:141]
	v_div_scale_f64 v[144:145], vcc, v[124:125], v[126:127], v[124:125]
	v_fma_f64 v[146:147], -v[140:141], v[142:143], 1.0
	v_fmac_f64_e32 v[142:143], v[142:143], v[146:147]
	v_fma_f64 v[146:147], -v[140:141], v[142:143], 1.0
	v_fmac_f64_e32 v[142:143], v[142:143], v[146:147]
	v_mul_f64 v[146:147], v[144:145], v[142:143]
	v_fma_f64 v[140:141], -v[140:141], v[146:147], v[144:145]
	v_div_fmas_f64 v[140:141], v[140:141], v[142:143], v[146:147]
	v_div_fixup_f64 v[140:141], v[140:141], v[126:127], v[124:125]
	v_fmac_f64_e32 v[126:127], v[124:125], v[140:141]
	v_div_scale_f64 v[124:125], s[18:19], v[126:127], v[126:127], 1.0
	v_rcp_f64_e32 v[142:143], v[124:125]
	s_nop 0
	v_fma_f64 v[144:145], -v[124:125], v[142:143], 1.0
	v_fmac_f64_e32 v[142:143], v[142:143], v[144:145]
	v_fma_f64 v[144:145], -v[124:125], v[142:143], 1.0
	v_fmac_f64_e32 v[142:143], v[142:143], v[144:145]
	v_div_scale_f64 v[144:145], vcc, 1.0, v[126:127], 1.0
	v_mul_f64 v[146:147], v[144:145], v[142:143]
	v_fma_f64 v[124:125], -v[124:125], v[146:147], v[144:145]
	s_nop 1
	v_div_fmas_f64 v[124:125], v[124:125], v[142:143], v[146:147]
	v_div_fixup_f64 v[126:127], v[124:125], v[126:127], 1.0
	v_mul_f64 v[124:125], v[140:141], v[126:127]
	v_xor_b32_e32 v127, 0x80000000, v127
.LBB60_343:
	s_andn2_saveexec_b64 s[16:17], s[16:17]
	s_cbranch_execz .LBB60_345
; %bb.344:
	v_div_scale_f64 v[140:141], s[18:19], v[124:125], v[124:125], v[126:127]
	v_rcp_f64_e32 v[142:143], v[140:141]
	v_div_scale_f64 v[144:145], vcc, v[126:127], v[124:125], v[126:127]
	v_fma_f64 v[146:147], -v[140:141], v[142:143], 1.0
	v_fmac_f64_e32 v[142:143], v[142:143], v[146:147]
	v_fma_f64 v[146:147], -v[140:141], v[142:143], 1.0
	v_fmac_f64_e32 v[142:143], v[142:143], v[146:147]
	v_mul_f64 v[146:147], v[144:145], v[142:143]
	v_fma_f64 v[140:141], -v[140:141], v[146:147], v[144:145]
	v_div_fmas_f64 v[140:141], v[140:141], v[142:143], v[146:147]
	v_div_fixup_f64 v[140:141], v[140:141], v[124:125], v[126:127]
	v_fmac_f64_e32 v[124:125], v[126:127], v[140:141]
	v_div_scale_f64 v[126:127], s[18:19], v[124:125], v[124:125], 1.0
	v_rcp_f64_e32 v[142:143], v[126:127]
	s_nop 0
	v_fma_f64 v[144:145], -v[126:127], v[142:143], 1.0
	v_fmac_f64_e32 v[142:143], v[142:143], v[144:145]
	v_fma_f64 v[144:145], -v[126:127], v[142:143], 1.0
	v_fmac_f64_e32 v[142:143], v[142:143], v[144:145]
	v_div_scale_f64 v[144:145], vcc, 1.0, v[124:125], 1.0
	v_mul_f64 v[146:147], v[144:145], v[142:143]
	v_fma_f64 v[126:127], -v[126:127], v[146:147], v[144:145]
	s_nop 1
	v_div_fmas_f64 v[126:127], v[126:127], v[142:143], v[146:147]
	v_div_fixup_f64 v[124:125], v[126:127], v[124:125], 1.0
	v_mul_f64 v[126:127], v[140:141], -v[124:125]
.LBB60_345:
	s_or_b64 exec, exec, s[16:17]
.LBB60_346:
	s_or_b64 exec, exec, s[0:1]
	v_cmp_ne_u32_e32 vcc, v137, v134
	s_and_saveexec_b64 s[0:1], vcc
	s_xor_b64 s[0:1], exec, s[0:1]
	s_cbranch_execz .LBB60_352
; %bb.347:
	v_cmp_eq_u32_e32 vcc, 16, v137
	s_and_saveexec_b64 s[16:17], vcc
	s_cbranch_execz .LBB60_351
; %bb.348:
	v_cmp_ne_u32_e32 vcc, 16, v134
	s_xor_b64 s[18:19], s[14:15], -1
	s_and_b64 s[22:23], s[18:19], vcc
	s_and_saveexec_b64 s[18:19], s[22:23]
	s_cbranch_execz .LBB60_350
; %bb.349:
	v_ashrrev_i32_e32 v135, 31, v134
	v_lshl_add_u64 v[140:141], v[134:135], 2, v[132:133]
	global_load_dword v135, v[140:141], off
	global_load_dword v137, v[132:133], off offset:64
	s_waitcnt vmcnt(1)
	global_store_dword v[132:133], v135, off offset:64
	s_waitcnt vmcnt(1)
	global_store_dword v[140:141], v137, off
.LBB60_350:
	s_or_b64 exec, exec, s[18:19]
	v_mov_b32_e32 v137, v134
	v_mov_b32_e32 v139, v134
.LBB60_351:
	s_or_b64 exec, exec, s[16:17]
.LBB60_352:
	s_andn2_saveexec_b64 s[0:1], s[0:1]
	s_cbranch_execz .LBB60_354
; %bb.353:
	v_mov_b32_e32 v137, 16
	s_waitcnt vmcnt(13)
	ds_write2_b64 v136, v[48:49], v[50:51] offset0:34 offset1:35
	s_waitcnt vmcnt(12)
	ds_write2_b64 v136, v[44:45], v[46:47] offset0:36 offset1:37
	;; [unrolled: 2-line block ×14, first 2 shown]
.LBB60_354:
	s_or_b64 exec, exec, s[0:1]
	v_cmp_lt_i32_e32 vcc, 16, v137
	s_waitcnt lgkmcnt(0)
	s_barrier
	s_and_saveexec_b64 s[0:1], vcc
	s_cbranch_execz .LBB60_356
; %bb.355:
	ds_read2_b64 v[140:143], v136 offset0:34 offset1:35
	v_mul_f64 v[134:135], v[124:125], v[54:55]
	v_mul_f64 v[54:55], v[126:127], v[54:55]
	v_fmac_f64_e32 v[134:135], v[126:127], v[52:53]
	v_fma_f64 v[52:53], v[124:125], v[52:53], -v[54:55]
	ds_read2_b64 v[124:127], v136 offset0:36 offset1:37
	s_waitcnt lgkmcnt(1)
	v_mul_f64 v[54:55], v[142:143], v[134:135]
	v_fma_f64 v[54:55], v[140:141], v[52:53], -v[54:55]
	v_mul_f64 v[140:141], v[140:141], v[134:135]
	v_fmac_f64_e32 v[140:141], v[142:143], v[52:53]
	s_waitcnt vmcnt(13)
	v_add_f64 v[48:49], v[48:49], -v[54:55]
	s_waitcnt lgkmcnt(0)
	v_mul_f64 v[54:55], v[126:127], v[134:135]
	v_add_f64 v[50:51], v[50:51], -v[140:141]
	v_fma_f64 v[54:55], v[124:125], v[52:53], -v[54:55]
	v_mul_f64 v[124:125], v[124:125], v[134:135]
	ds_read2_b64 v[140:143], v136 offset0:38 offset1:39
	v_fmac_f64_e32 v[124:125], v[126:127], v[52:53]
	s_waitcnt vmcnt(12)
	v_add_f64 v[46:47], v[46:47], -v[124:125]
	ds_read2_b64 v[124:127], v136 offset0:40 offset1:41
	v_add_f64 v[44:45], v[44:45], -v[54:55]
	s_waitcnt lgkmcnt(1)
	v_mul_f64 v[54:55], v[142:143], v[134:135]
	v_fma_f64 v[54:55], v[140:141], v[52:53], -v[54:55]
	v_mul_f64 v[140:141], v[140:141], v[134:135]
	v_fmac_f64_e32 v[140:141], v[142:143], v[52:53]
	s_waitcnt vmcnt(11)
	v_add_f64 v[40:41], v[40:41], -v[54:55]
	s_waitcnt lgkmcnt(0)
	v_mul_f64 v[54:55], v[126:127], v[134:135]
	v_add_f64 v[42:43], v[42:43], -v[140:141]
	v_fma_f64 v[54:55], v[124:125], v[52:53], -v[54:55]
	v_mul_f64 v[124:125], v[124:125], v[134:135]
	ds_read2_b64 v[140:143], v136 offset0:42 offset1:43
	v_fmac_f64_e32 v[124:125], v[126:127], v[52:53]
	s_waitcnt vmcnt(10)
	v_add_f64 v[38:39], v[38:39], -v[124:125]
	ds_read2_b64 v[124:127], v136 offset0:44 offset1:45
	v_add_f64 v[36:37], v[36:37], -v[54:55]
	;; [unrolled: 18-line block ×6, first 2 shown]
	s_waitcnt lgkmcnt(1)
	v_mul_f64 v[54:55], v[142:143], v[134:135]
	v_fma_f64 v[54:55], v[140:141], v[52:53], -v[54:55]
	s_waitcnt vmcnt(1)
	v_add_f64 v[0:1], v[0:1], -v[54:55]
	s_waitcnt lgkmcnt(0)
	v_mul_f64 v[54:55], v[126:127], v[134:135]
	v_mul_f64 v[140:141], v[140:141], v[134:135]
	v_fma_f64 v[54:55], v[124:125], v[52:53], -v[54:55]
	v_mul_f64 v[124:125], v[124:125], v[134:135]
	v_fmac_f64_e32 v[140:141], v[142:143], v[52:53]
	v_fmac_f64_e32 v[124:125], v[126:127], v[52:53]
	v_add_f64 v[2:3], v[2:3], -v[140:141]
	s_waitcnt vmcnt(0)
	v_add_f64 v[120:121], v[120:121], -v[54:55]
	v_add_f64 v[122:123], v[122:123], -v[124:125]
	v_mov_b64_e32 v[54:55], v[134:135]
.LBB60_356:
	s_or_b64 exec, exec, s[0:1]
	v_lshl_add_u32 v124, v137, 4, v136
	s_barrier
	s_waitcnt vmcnt(13)
	ds_write2_b64 v124, v[48:49], v[50:51] offset1:1
	s_waitcnt lgkmcnt(0)
	s_barrier
	ds_read2_b64 v[124:127], v136 offset0:34 offset1:35
	s_cmp_lt_i32 s20, 19
	v_mov_b32_e32 v134, 17
	s_cbranch_scc1 .LBB60_359
; %bb.357:
	v_add_u32_e32 v135, 0x120, v136
	s_mov_b32 s16, 18
	v_mov_b32_e32 v134, 17
.LBB60_358:                             ; =>This Inner Loop Header: Depth=1
	ds_read2_b64 v[140:143], v135 offset1:1
	s_waitcnt lgkmcnt(1)
	v_xor_b32_e32 v145, 0x80000000, v125
	v_xor_b32_e32 v147, 0x80000000, v127
	v_cmp_gt_f64_e32 vcc, 0, v[126:127]
	v_cmp_gt_f64_e64 s[0:1], 0, v[124:125]
	v_mov_b32_e32 v144, v124
	v_mov_b32_e32 v146, v126
	v_cndmask_b32_e64 v145, v125, v145, s[0:1]
	v_cndmask_b32_e32 v147, v127, v147, vcc
	v_add_f64 v[144:145], v[144:145], v[146:147]
	s_waitcnt lgkmcnt(0)
	v_xor_b32_e32 v147, 0x80000000, v141
	v_xor_b32_e32 v149, 0x80000000, v143
	v_cmp_gt_f64_e32 vcc, 0, v[142:143]
	v_cmp_gt_f64_e64 s[0:1], 0, v[140:141]
	v_mov_b32_e32 v146, v140
	v_mov_b32_e32 v148, v142
	v_cndmask_b32_e64 v147, v141, v147, s[0:1]
	v_cndmask_b32_e32 v149, v143, v149, vcc
	v_add_f64 v[146:147], v[146:147], v[148:149]
	v_mov_b32_e32 v150, s16
	s_add_i32 s16, s16, 1
	v_cmp_lt_f64_e32 vcc, v[144:145], v[146:147]
	v_add_u32_e32 v135, 16, v135
	s_cmp_lg_u32 s20, s16
	v_cndmask_b32_e32 v125, v125, v141, vcc
	v_cndmask_b32_e32 v124, v124, v140, vcc
	;; [unrolled: 1-line block ×5, first 2 shown]
	s_cbranch_scc1 .LBB60_358
.LBB60_359:
	s_waitcnt lgkmcnt(0)
	v_cmp_eq_f64_e32 vcc, 0, v[124:125]
	v_cmp_eq_f64_e64 s[0:1], 0, v[126:127]
	s_and_b64 s[0:1], vcc, s[0:1]
	s_and_saveexec_b64 s[16:17], s[0:1]
	s_xor_b64 s[0:1], exec, s[16:17]
; %bb.360:
	v_cmp_ne_u32_e32 vcc, 0, v138
	s_nop 1
	v_cndmask_b32_e32 v138, 18, v138, vcc
; %bb.361:
	s_andn2_saveexec_b64 s[0:1], s[0:1]
	s_cbranch_execz .LBB60_367
; %bb.362:
	v_cmp_ngt_f64_e64 s[16:17], |v[124:125]|, |v[126:127]|
	s_and_saveexec_b64 s[18:19], s[16:17]
	s_xor_b64 s[16:17], exec, s[18:19]
	s_cbranch_execz .LBB60_364
; %bb.363:
	v_div_scale_f64 v[140:141], s[18:19], v[126:127], v[126:127], v[124:125]
	v_rcp_f64_e32 v[142:143], v[140:141]
	v_div_scale_f64 v[144:145], vcc, v[124:125], v[126:127], v[124:125]
	v_fma_f64 v[146:147], -v[140:141], v[142:143], 1.0
	v_fmac_f64_e32 v[142:143], v[142:143], v[146:147]
	v_fma_f64 v[146:147], -v[140:141], v[142:143], 1.0
	v_fmac_f64_e32 v[142:143], v[142:143], v[146:147]
	v_mul_f64 v[146:147], v[144:145], v[142:143]
	v_fma_f64 v[140:141], -v[140:141], v[146:147], v[144:145]
	v_div_fmas_f64 v[140:141], v[140:141], v[142:143], v[146:147]
	v_div_fixup_f64 v[140:141], v[140:141], v[126:127], v[124:125]
	v_fmac_f64_e32 v[126:127], v[124:125], v[140:141]
	v_div_scale_f64 v[124:125], s[18:19], v[126:127], v[126:127], 1.0
	v_rcp_f64_e32 v[142:143], v[124:125]
	s_nop 0
	v_fma_f64 v[144:145], -v[124:125], v[142:143], 1.0
	v_fmac_f64_e32 v[142:143], v[142:143], v[144:145]
	v_fma_f64 v[144:145], -v[124:125], v[142:143], 1.0
	v_fmac_f64_e32 v[142:143], v[142:143], v[144:145]
	v_div_scale_f64 v[144:145], vcc, 1.0, v[126:127], 1.0
	v_mul_f64 v[146:147], v[144:145], v[142:143]
	v_fma_f64 v[124:125], -v[124:125], v[146:147], v[144:145]
	s_nop 1
	v_div_fmas_f64 v[124:125], v[124:125], v[142:143], v[146:147]
	v_div_fixup_f64 v[126:127], v[124:125], v[126:127], 1.0
	v_mul_f64 v[124:125], v[140:141], v[126:127]
	v_xor_b32_e32 v127, 0x80000000, v127
.LBB60_364:
	s_andn2_saveexec_b64 s[16:17], s[16:17]
	s_cbranch_execz .LBB60_366
; %bb.365:
	v_div_scale_f64 v[140:141], s[18:19], v[124:125], v[124:125], v[126:127]
	v_rcp_f64_e32 v[142:143], v[140:141]
	v_div_scale_f64 v[144:145], vcc, v[126:127], v[124:125], v[126:127]
	v_fma_f64 v[146:147], -v[140:141], v[142:143], 1.0
	v_fmac_f64_e32 v[142:143], v[142:143], v[146:147]
	v_fma_f64 v[146:147], -v[140:141], v[142:143], 1.0
	v_fmac_f64_e32 v[142:143], v[142:143], v[146:147]
	v_mul_f64 v[146:147], v[144:145], v[142:143]
	v_fma_f64 v[140:141], -v[140:141], v[146:147], v[144:145]
	v_div_fmas_f64 v[140:141], v[140:141], v[142:143], v[146:147]
	v_div_fixup_f64 v[140:141], v[140:141], v[124:125], v[126:127]
	v_fmac_f64_e32 v[124:125], v[126:127], v[140:141]
	v_div_scale_f64 v[126:127], s[18:19], v[124:125], v[124:125], 1.0
	v_rcp_f64_e32 v[142:143], v[126:127]
	s_nop 0
	v_fma_f64 v[144:145], -v[126:127], v[142:143], 1.0
	v_fmac_f64_e32 v[142:143], v[142:143], v[144:145]
	v_fma_f64 v[144:145], -v[126:127], v[142:143], 1.0
	v_fmac_f64_e32 v[142:143], v[142:143], v[144:145]
	v_div_scale_f64 v[144:145], vcc, 1.0, v[124:125], 1.0
	v_mul_f64 v[146:147], v[144:145], v[142:143]
	v_fma_f64 v[126:127], -v[126:127], v[146:147], v[144:145]
	s_nop 1
	v_div_fmas_f64 v[126:127], v[126:127], v[142:143], v[146:147]
	v_div_fixup_f64 v[124:125], v[126:127], v[124:125], 1.0
	v_mul_f64 v[126:127], v[140:141], -v[124:125]
.LBB60_366:
	s_or_b64 exec, exec, s[16:17]
.LBB60_367:
	s_or_b64 exec, exec, s[0:1]
	v_cmp_ne_u32_e32 vcc, v137, v134
	s_and_saveexec_b64 s[0:1], vcc
	s_xor_b64 s[0:1], exec, s[0:1]
	s_cbranch_execz .LBB60_373
; %bb.368:
	v_cmp_eq_u32_e32 vcc, 17, v137
	s_and_saveexec_b64 s[16:17], vcc
	s_cbranch_execz .LBB60_372
; %bb.369:
	v_cmp_ne_u32_e32 vcc, 17, v134
	s_xor_b64 s[18:19], s[14:15], -1
	s_and_b64 s[22:23], s[18:19], vcc
	s_and_saveexec_b64 s[18:19], s[22:23]
	s_cbranch_execz .LBB60_371
; %bb.370:
	v_ashrrev_i32_e32 v135, 31, v134
	v_lshl_add_u64 v[140:141], v[134:135], 2, v[132:133]
	global_load_dword v135, v[140:141], off
	global_load_dword v137, v[132:133], off offset:68
	s_waitcnt vmcnt(1)
	global_store_dword v[132:133], v135, off offset:68
	s_waitcnt vmcnt(1)
	global_store_dword v[140:141], v137, off
.LBB60_371:
	s_or_b64 exec, exec, s[18:19]
	v_mov_b32_e32 v137, v134
	v_mov_b32_e32 v139, v134
.LBB60_372:
	s_or_b64 exec, exec, s[16:17]
.LBB60_373:
	s_andn2_saveexec_b64 s[0:1], s[0:1]
	s_cbranch_execz .LBB60_375
; %bb.374:
	v_mov_b32_e32 v137, 17
	s_waitcnt vmcnt(12)
	ds_write2_b64 v136, v[44:45], v[46:47] offset0:36 offset1:37
	s_waitcnt vmcnt(11)
	ds_write2_b64 v136, v[40:41], v[42:43] offset0:38 offset1:39
	;; [unrolled: 2-line block ×13, first 2 shown]
.LBB60_375:
	s_or_b64 exec, exec, s[0:1]
	v_cmp_lt_i32_e32 vcc, 17, v137
	s_waitcnt lgkmcnt(0)
	s_barrier
	s_and_saveexec_b64 s[0:1], vcc
	s_cbranch_execz .LBB60_377
; %bb.376:
	ds_read2_b64 v[140:143], v136 offset0:36 offset1:37
	v_mul_f64 v[134:135], v[124:125], v[50:51]
	v_fmac_f64_e32 v[134:135], v[126:127], v[48:49]
	v_mul_f64 v[50:51], v[126:127], v[50:51]
	v_fma_f64 v[48:49], v[124:125], v[48:49], -v[50:51]
	ds_read2_b64 v[124:127], v136 offset0:38 offset1:39
	s_waitcnt lgkmcnt(1)
	v_mul_f64 v[50:51], v[142:143], v[134:135]
	v_fma_f64 v[50:51], v[140:141], v[48:49], -v[50:51]
	v_mul_f64 v[140:141], v[140:141], v[134:135]
	v_fmac_f64_e32 v[140:141], v[142:143], v[48:49]
	s_waitcnt vmcnt(12)
	v_add_f64 v[46:47], v[46:47], -v[140:141]
	ds_read2_b64 v[140:143], v136 offset0:40 offset1:41
	v_add_f64 v[44:45], v[44:45], -v[50:51]
	s_waitcnt lgkmcnt(1)
	v_mul_f64 v[50:51], v[126:127], v[134:135]
	v_fma_f64 v[50:51], v[124:125], v[48:49], -v[50:51]
	v_mul_f64 v[124:125], v[124:125], v[134:135]
	v_fmac_f64_e32 v[124:125], v[126:127], v[48:49]
	s_waitcnt vmcnt(11)
	v_add_f64 v[40:41], v[40:41], -v[50:51]
	v_add_f64 v[42:43], v[42:43], -v[124:125]
	ds_read2_b64 v[124:127], v136 offset0:42 offset1:43
	s_waitcnt lgkmcnt(1)
	v_mul_f64 v[50:51], v[142:143], v[134:135]
	v_fma_f64 v[50:51], v[140:141], v[48:49], -v[50:51]
	v_mul_f64 v[140:141], v[140:141], v[134:135]
	v_fmac_f64_e32 v[140:141], v[142:143], v[48:49]
	s_waitcnt vmcnt(10)
	v_add_f64 v[38:39], v[38:39], -v[140:141]
	ds_read2_b64 v[140:143], v136 offset0:44 offset1:45
	v_add_f64 v[36:37], v[36:37], -v[50:51]
	s_waitcnt lgkmcnt(1)
	v_mul_f64 v[50:51], v[126:127], v[134:135]
	v_fma_f64 v[50:51], v[124:125], v[48:49], -v[50:51]
	v_mul_f64 v[124:125], v[124:125], v[134:135]
	v_fmac_f64_e32 v[124:125], v[126:127], v[48:49]
	s_waitcnt vmcnt(9)
	v_add_f64 v[32:33], v[32:33], -v[50:51]
	v_add_f64 v[34:35], v[34:35], -v[124:125]
	;; [unrolled: 18-line block ×6, first 2 shown]
	s_waitcnt lgkmcnt(0)
	v_mul_f64 v[50:51], v[142:143], v[134:135]
	v_mul_f64 v[124:125], v[140:141], v[134:135]
	v_fma_f64 v[50:51], v[140:141], v[48:49], -v[50:51]
	v_fmac_f64_e32 v[124:125], v[142:143], v[48:49]
	s_waitcnt vmcnt(0)
	v_add_f64 v[120:121], v[120:121], -v[50:51]
	v_add_f64 v[122:123], v[122:123], -v[124:125]
	v_mov_b64_e32 v[50:51], v[134:135]
.LBB60_377:
	s_or_b64 exec, exec, s[0:1]
	v_lshl_add_u32 v124, v137, 4, v136
	s_barrier
	s_waitcnt vmcnt(12)
	ds_write2_b64 v124, v[44:45], v[46:47] offset1:1
	s_waitcnt lgkmcnt(0)
	s_barrier
	ds_read2_b64 v[124:127], v136 offset0:36 offset1:37
	s_cmp_lt_i32 s20, 20
	v_mov_b32_e32 v134, 18
	s_cbranch_scc1 .LBB60_380
; %bb.378:
	v_add_u32_e32 v135, 0x130, v136
	s_mov_b32 s16, 19
	v_mov_b32_e32 v134, 18
.LBB60_379:                             ; =>This Inner Loop Header: Depth=1
	ds_read2_b64 v[140:143], v135 offset1:1
	s_waitcnt lgkmcnt(1)
	v_xor_b32_e32 v145, 0x80000000, v125
	v_xor_b32_e32 v147, 0x80000000, v127
	v_cmp_gt_f64_e32 vcc, 0, v[126:127]
	v_cmp_gt_f64_e64 s[0:1], 0, v[124:125]
	v_mov_b32_e32 v144, v124
	v_mov_b32_e32 v146, v126
	v_cndmask_b32_e64 v145, v125, v145, s[0:1]
	v_cndmask_b32_e32 v147, v127, v147, vcc
	v_add_f64 v[144:145], v[144:145], v[146:147]
	s_waitcnt lgkmcnt(0)
	v_xor_b32_e32 v147, 0x80000000, v141
	v_xor_b32_e32 v149, 0x80000000, v143
	v_cmp_gt_f64_e32 vcc, 0, v[142:143]
	v_cmp_gt_f64_e64 s[0:1], 0, v[140:141]
	v_mov_b32_e32 v146, v140
	v_mov_b32_e32 v148, v142
	v_cndmask_b32_e64 v147, v141, v147, s[0:1]
	v_cndmask_b32_e32 v149, v143, v149, vcc
	v_add_f64 v[146:147], v[146:147], v[148:149]
	v_mov_b32_e32 v150, s16
	s_add_i32 s16, s16, 1
	v_cmp_lt_f64_e32 vcc, v[144:145], v[146:147]
	v_add_u32_e32 v135, 16, v135
	s_cmp_lg_u32 s20, s16
	v_cndmask_b32_e32 v125, v125, v141, vcc
	v_cndmask_b32_e32 v124, v124, v140, vcc
	;; [unrolled: 1-line block ×5, first 2 shown]
	s_cbranch_scc1 .LBB60_379
.LBB60_380:
	s_waitcnt lgkmcnt(0)
	v_cmp_eq_f64_e32 vcc, 0, v[124:125]
	v_cmp_eq_f64_e64 s[0:1], 0, v[126:127]
	s_and_b64 s[0:1], vcc, s[0:1]
	s_and_saveexec_b64 s[16:17], s[0:1]
	s_xor_b64 s[0:1], exec, s[16:17]
; %bb.381:
	v_cmp_ne_u32_e32 vcc, 0, v138
	s_nop 1
	v_cndmask_b32_e32 v138, 19, v138, vcc
; %bb.382:
	s_andn2_saveexec_b64 s[0:1], s[0:1]
	s_cbranch_execz .LBB60_388
; %bb.383:
	v_cmp_ngt_f64_e64 s[16:17], |v[124:125]|, |v[126:127]|
	s_and_saveexec_b64 s[18:19], s[16:17]
	s_xor_b64 s[16:17], exec, s[18:19]
	s_cbranch_execz .LBB60_385
; %bb.384:
	v_div_scale_f64 v[140:141], s[18:19], v[126:127], v[126:127], v[124:125]
	v_rcp_f64_e32 v[142:143], v[140:141]
	v_div_scale_f64 v[144:145], vcc, v[124:125], v[126:127], v[124:125]
	v_fma_f64 v[146:147], -v[140:141], v[142:143], 1.0
	v_fmac_f64_e32 v[142:143], v[142:143], v[146:147]
	v_fma_f64 v[146:147], -v[140:141], v[142:143], 1.0
	v_fmac_f64_e32 v[142:143], v[142:143], v[146:147]
	v_mul_f64 v[146:147], v[144:145], v[142:143]
	v_fma_f64 v[140:141], -v[140:141], v[146:147], v[144:145]
	v_div_fmas_f64 v[140:141], v[140:141], v[142:143], v[146:147]
	v_div_fixup_f64 v[140:141], v[140:141], v[126:127], v[124:125]
	v_fmac_f64_e32 v[126:127], v[124:125], v[140:141]
	v_div_scale_f64 v[124:125], s[18:19], v[126:127], v[126:127], 1.0
	v_rcp_f64_e32 v[142:143], v[124:125]
	s_nop 0
	v_fma_f64 v[144:145], -v[124:125], v[142:143], 1.0
	v_fmac_f64_e32 v[142:143], v[142:143], v[144:145]
	v_fma_f64 v[144:145], -v[124:125], v[142:143], 1.0
	v_fmac_f64_e32 v[142:143], v[142:143], v[144:145]
	v_div_scale_f64 v[144:145], vcc, 1.0, v[126:127], 1.0
	v_mul_f64 v[146:147], v[144:145], v[142:143]
	v_fma_f64 v[124:125], -v[124:125], v[146:147], v[144:145]
	s_nop 1
	v_div_fmas_f64 v[124:125], v[124:125], v[142:143], v[146:147]
	v_div_fixup_f64 v[126:127], v[124:125], v[126:127], 1.0
	v_mul_f64 v[124:125], v[140:141], v[126:127]
	v_xor_b32_e32 v127, 0x80000000, v127
.LBB60_385:
	s_andn2_saveexec_b64 s[16:17], s[16:17]
	s_cbranch_execz .LBB60_387
; %bb.386:
	v_div_scale_f64 v[140:141], s[18:19], v[124:125], v[124:125], v[126:127]
	v_rcp_f64_e32 v[142:143], v[140:141]
	v_div_scale_f64 v[144:145], vcc, v[126:127], v[124:125], v[126:127]
	v_fma_f64 v[146:147], -v[140:141], v[142:143], 1.0
	v_fmac_f64_e32 v[142:143], v[142:143], v[146:147]
	v_fma_f64 v[146:147], -v[140:141], v[142:143], 1.0
	v_fmac_f64_e32 v[142:143], v[142:143], v[146:147]
	v_mul_f64 v[146:147], v[144:145], v[142:143]
	v_fma_f64 v[140:141], -v[140:141], v[146:147], v[144:145]
	v_div_fmas_f64 v[140:141], v[140:141], v[142:143], v[146:147]
	v_div_fixup_f64 v[140:141], v[140:141], v[124:125], v[126:127]
	v_fmac_f64_e32 v[124:125], v[126:127], v[140:141]
	v_div_scale_f64 v[126:127], s[18:19], v[124:125], v[124:125], 1.0
	v_rcp_f64_e32 v[142:143], v[126:127]
	s_nop 0
	v_fma_f64 v[144:145], -v[126:127], v[142:143], 1.0
	v_fmac_f64_e32 v[142:143], v[142:143], v[144:145]
	v_fma_f64 v[144:145], -v[126:127], v[142:143], 1.0
	v_fmac_f64_e32 v[142:143], v[142:143], v[144:145]
	v_div_scale_f64 v[144:145], vcc, 1.0, v[124:125], 1.0
	v_mul_f64 v[146:147], v[144:145], v[142:143]
	v_fma_f64 v[126:127], -v[126:127], v[146:147], v[144:145]
	s_nop 1
	v_div_fmas_f64 v[126:127], v[126:127], v[142:143], v[146:147]
	v_div_fixup_f64 v[124:125], v[126:127], v[124:125], 1.0
	v_mul_f64 v[126:127], v[140:141], -v[124:125]
.LBB60_387:
	s_or_b64 exec, exec, s[16:17]
.LBB60_388:
	s_or_b64 exec, exec, s[0:1]
	v_cmp_ne_u32_e32 vcc, v137, v134
	s_and_saveexec_b64 s[0:1], vcc
	s_xor_b64 s[0:1], exec, s[0:1]
	s_cbranch_execz .LBB60_394
; %bb.389:
	v_cmp_eq_u32_e32 vcc, 18, v137
	s_and_saveexec_b64 s[16:17], vcc
	s_cbranch_execz .LBB60_393
; %bb.390:
	v_cmp_ne_u32_e32 vcc, 18, v134
	s_xor_b64 s[18:19], s[14:15], -1
	s_and_b64 s[22:23], s[18:19], vcc
	s_and_saveexec_b64 s[18:19], s[22:23]
	s_cbranch_execz .LBB60_392
; %bb.391:
	v_ashrrev_i32_e32 v135, 31, v134
	v_lshl_add_u64 v[140:141], v[134:135], 2, v[132:133]
	global_load_dword v135, v[140:141], off
	global_load_dword v137, v[132:133], off offset:72
	s_waitcnt vmcnt(1)
	global_store_dword v[132:133], v135, off offset:72
	s_waitcnt vmcnt(1)
	global_store_dword v[140:141], v137, off
.LBB60_392:
	s_or_b64 exec, exec, s[18:19]
	v_mov_b32_e32 v137, v134
	v_mov_b32_e32 v139, v134
.LBB60_393:
	s_or_b64 exec, exec, s[16:17]
.LBB60_394:
	s_andn2_saveexec_b64 s[0:1], s[0:1]
	s_cbranch_execz .LBB60_396
; %bb.395:
	v_mov_b32_e32 v137, 18
	s_waitcnt vmcnt(11)
	ds_write2_b64 v136, v[40:41], v[42:43] offset0:38 offset1:39
	s_waitcnt vmcnt(10)
	ds_write2_b64 v136, v[36:37], v[38:39] offset0:40 offset1:41
	;; [unrolled: 2-line block ×12, first 2 shown]
.LBB60_396:
	s_or_b64 exec, exec, s[0:1]
	v_cmp_lt_i32_e32 vcc, 18, v137
	s_waitcnt lgkmcnt(0)
	s_barrier
	s_and_saveexec_b64 s[0:1], vcc
	s_cbranch_execz .LBB60_398
; %bb.397:
	ds_read2_b64 v[140:143], v136 offset0:38 offset1:39
	v_mul_f64 v[134:135], v[124:125], v[46:47]
	v_mul_f64 v[46:47], v[126:127], v[46:47]
	v_fmac_f64_e32 v[134:135], v[126:127], v[44:45]
	v_fma_f64 v[44:45], v[124:125], v[44:45], -v[46:47]
	ds_read2_b64 v[124:127], v136 offset0:40 offset1:41
	s_waitcnt lgkmcnt(1)
	v_mul_f64 v[46:47], v[142:143], v[134:135]
	v_fma_f64 v[46:47], v[140:141], v[44:45], -v[46:47]
	v_mul_f64 v[140:141], v[140:141], v[134:135]
	v_fmac_f64_e32 v[140:141], v[142:143], v[44:45]
	s_waitcnt vmcnt(11)
	v_add_f64 v[40:41], v[40:41], -v[46:47]
	s_waitcnt lgkmcnt(0)
	v_mul_f64 v[46:47], v[126:127], v[134:135]
	v_add_f64 v[42:43], v[42:43], -v[140:141]
	v_fma_f64 v[46:47], v[124:125], v[44:45], -v[46:47]
	v_mul_f64 v[124:125], v[124:125], v[134:135]
	ds_read2_b64 v[140:143], v136 offset0:42 offset1:43
	v_fmac_f64_e32 v[124:125], v[126:127], v[44:45]
	s_waitcnt vmcnt(10)
	v_add_f64 v[38:39], v[38:39], -v[124:125]
	ds_read2_b64 v[124:127], v136 offset0:44 offset1:45
	v_add_f64 v[36:37], v[36:37], -v[46:47]
	s_waitcnt lgkmcnt(1)
	v_mul_f64 v[46:47], v[142:143], v[134:135]
	v_fma_f64 v[46:47], v[140:141], v[44:45], -v[46:47]
	v_mul_f64 v[140:141], v[140:141], v[134:135]
	v_fmac_f64_e32 v[140:141], v[142:143], v[44:45]
	s_waitcnt vmcnt(9)
	v_add_f64 v[32:33], v[32:33], -v[46:47]
	s_waitcnt lgkmcnt(0)
	v_mul_f64 v[46:47], v[126:127], v[134:135]
	v_add_f64 v[34:35], v[34:35], -v[140:141]
	v_fma_f64 v[46:47], v[124:125], v[44:45], -v[46:47]
	v_mul_f64 v[124:125], v[124:125], v[134:135]
	ds_read2_b64 v[140:143], v136 offset0:46 offset1:47
	v_fmac_f64_e32 v[124:125], v[126:127], v[44:45]
	s_waitcnt vmcnt(8)
	v_add_f64 v[30:31], v[30:31], -v[124:125]
	ds_read2_b64 v[124:127], v136 offset0:48 offset1:49
	v_add_f64 v[28:29], v[28:29], -v[46:47]
	;; [unrolled: 18-line block ×5, first 2 shown]
	s_waitcnt lgkmcnt(1)
	v_mul_f64 v[46:47], v[142:143], v[134:135]
	v_fma_f64 v[46:47], v[140:141], v[44:45], -v[46:47]
	s_waitcnt vmcnt(1)
	v_add_f64 v[0:1], v[0:1], -v[46:47]
	s_waitcnt lgkmcnt(0)
	v_mul_f64 v[46:47], v[126:127], v[134:135]
	v_mul_f64 v[140:141], v[140:141], v[134:135]
	v_fma_f64 v[46:47], v[124:125], v[44:45], -v[46:47]
	v_mul_f64 v[124:125], v[124:125], v[134:135]
	v_fmac_f64_e32 v[140:141], v[142:143], v[44:45]
	v_fmac_f64_e32 v[124:125], v[126:127], v[44:45]
	v_add_f64 v[2:3], v[2:3], -v[140:141]
	s_waitcnt vmcnt(0)
	v_add_f64 v[120:121], v[120:121], -v[46:47]
	v_add_f64 v[122:123], v[122:123], -v[124:125]
	v_mov_b64_e32 v[46:47], v[134:135]
.LBB60_398:
	s_or_b64 exec, exec, s[0:1]
	v_lshl_add_u32 v124, v137, 4, v136
	s_barrier
	s_waitcnt vmcnt(11)
	ds_write2_b64 v124, v[40:41], v[42:43] offset1:1
	s_waitcnt lgkmcnt(0)
	s_barrier
	ds_read2_b64 v[124:127], v136 offset0:38 offset1:39
	s_cmp_lt_i32 s20, 21
	v_mov_b32_e32 v134, 19
	s_cbranch_scc1 .LBB60_401
; %bb.399:
	v_add_u32_e32 v135, 0x140, v136
	s_mov_b32 s16, 20
	v_mov_b32_e32 v134, 19
.LBB60_400:                             ; =>This Inner Loop Header: Depth=1
	ds_read2_b64 v[140:143], v135 offset1:1
	s_waitcnt lgkmcnt(1)
	v_xor_b32_e32 v145, 0x80000000, v125
	v_xor_b32_e32 v147, 0x80000000, v127
	v_cmp_gt_f64_e32 vcc, 0, v[126:127]
	v_cmp_gt_f64_e64 s[0:1], 0, v[124:125]
	v_mov_b32_e32 v144, v124
	v_mov_b32_e32 v146, v126
	v_cndmask_b32_e64 v145, v125, v145, s[0:1]
	v_cndmask_b32_e32 v147, v127, v147, vcc
	v_add_f64 v[144:145], v[144:145], v[146:147]
	s_waitcnt lgkmcnt(0)
	v_xor_b32_e32 v147, 0x80000000, v141
	v_xor_b32_e32 v149, 0x80000000, v143
	v_cmp_gt_f64_e32 vcc, 0, v[142:143]
	v_cmp_gt_f64_e64 s[0:1], 0, v[140:141]
	v_mov_b32_e32 v146, v140
	v_mov_b32_e32 v148, v142
	v_cndmask_b32_e64 v147, v141, v147, s[0:1]
	v_cndmask_b32_e32 v149, v143, v149, vcc
	v_add_f64 v[146:147], v[146:147], v[148:149]
	v_mov_b32_e32 v150, s16
	s_add_i32 s16, s16, 1
	v_cmp_lt_f64_e32 vcc, v[144:145], v[146:147]
	v_add_u32_e32 v135, 16, v135
	s_cmp_lg_u32 s20, s16
	v_cndmask_b32_e32 v125, v125, v141, vcc
	v_cndmask_b32_e32 v124, v124, v140, vcc
	;; [unrolled: 1-line block ×5, first 2 shown]
	s_cbranch_scc1 .LBB60_400
.LBB60_401:
	s_waitcnt lgkmcnt(0)
	v_cmp_eq_f64_e32 vcc, 0, v[124:125]
	v_cmp_eq_f64_e64 s[0:1], 0, v[126:127]
	s_and_b64 s[0:1], vcc, s[0:1]
	s_and_saveexec_b64 s[16:17], s[0:1]
	s_xor_b64 s[0:1], exec, s[16:17]
; %bb.402:
	v_cmp_ne_u32_e32 vcc, 0, v138
	s_nop 1
	v_cndmask_b32_e32 v138, 20, v138, vcc
; %bb.403:
	s_andn2_saveexec_b64 s[0:1], s[0:1]
	s_cbranch_execz .LBB60_409
; %bb.404:
	v_cmp_ngt_f64_e64 s[16:17], |v[124:125]|, |v[126:127]|
	s_and_saveexec_b64 s[18:19], s[16:17]
	s_xor_b64 s[16:17], exec, s[18:19]
	s_cbranch_execz .LBB60_406
; %bb.405:
	v_div_scale_f64 v[140:141], s[18:19], v[126:127], v[126:127], v[124:125]
	v_rcp_f64_e32 v[142:143], v[140:141]
	v_div_scale_f64 v[144:145], vcc, v[124:125], v[126:127], v[124:125]
	v_fma_f64 v[146:147], -v[140:141], v[142:143], 1.0
	v_fmac_f64_e32 v[142:143], v[142:143], v[146:147]
	v_fma_f64 v[146:147], -v[140:141], v[142:143], 1.0
	v_fmac_f64_e32 v[142:143], v[142:143], v[146:147]
	v_mul_f64 v[146:147], v[144:145], v[142:143]
	v_fma_f64 v[140:141], -v[140:141], v[146:147], v[144:145]
	v_div_fmas_f64 v[140:141], v[140:141], v[142:143], v[146:147]
	v_div_fixup_f64 v[140:141], v[140:141], v[126:127], v[124:125]
	v_fmac_f64_e32 v[126:127], v[124:125], v[140:141]
	v_div_scale_f64 v[124:125], s[18:19], v[126:127], v[126:127], 1.0
	v_rcp_f64_e32 v[142:143], v[124:125]
	s_nop 0
	v_fma_f64 v[144:145], -v[124:125], v[142:143], 1.0
	v_fmac_f64_e32 v[142:143], v[142:143], v[144:145]
	v_fma_f64 v[144:145], -v[124:125], v[142:143], 1.0
	v_fmac_f64_e32 v[142:143], v[142:143], v[144:145]
	v_div_scale_f64 v[144:145], vcc, 1.0, v[126:127], 1.0
	v_mul_f64 v[146:147], v[144:145], v[142:143]
	v_fma_f64 v[124:125], -v[124:125], v[146:147], v[144:145]
	s_nop 1
	v_div_fmas_f64 v[124:125], v[124:125], v[142:143], v[146:147]
	v_div_fixup_f64 v[126:127], v[124:125], v[126:127], 1.0
	v_mul_f64 v[124:125], v[140:141], v[126:127]
	v_xor_b32_e32 v127, 0x80000000, v127
.LBB60_406:
	s_andn2_saveexec_b64 s[16:17], s[16:17]
	s_cbranch_execz .LBB60_408
; %bb.407:
	v_div_scale_f64 v[140:141], s[18:19], v[124:125], v[124:125], v[126:127]
	v_rcp_f64_e32 v[142:143], v[140:141]
	v_div_scale_f64 v[144:145], vcc, v[126:127], v[124:125], v[126:127]
	v_fma_f64 v[146:147], -v[140:141], v[142:143], 1.0
	v_fmac_f64_e32 v[142:143], v[142:143], v[146:147]
	v_fma_f64 v[146:147], -v[140:141], v[142:143], 1.0
	v_fmac_f64_e32 v[142:143], v[142:143], v[146:147]
	v_mul_f64 v[146:147], v[144:145], v[142:143]
	v_fma_f64 v[140:141], -v[140:141], v[146:147], v[144:145]
	v_div_fmas_f64 v[140:141], v[140:141], v[142:143], v[146:147]
	v_div_fixup_f64 v[140:141], v[140:141], v[124:125], v[126:127]
	v_fmac_f64_e32 v[124:125], v[126:127], v[140:141]
	v_div_scale_f64 v[126:127], s[18:19], v[124:125], v[124:125], 1.0
	v_rcp_f64_e32 v[142:143], v[126:127]
	s_nop 0
	v_fma_f64 v[144:145], -v[126:127], v[142:143], 1.0
	v_fmac_f64_e32 v[142:143], v[142:143], v[144:145]
	v_fma_f64 v[144:145], -v[126:127], v[142:143], 1.0
	v_fmac_f64_e32 v[142:143], v[142:143], v[144:145]
	v_div_scale_f64 v[144:145], vcc, 1.0, v[124:125], 1.0
	v_mul_f64 v[146:147], v[144:145], v[142:143]
	v_fma_f64 v[126:127], -v[126:127], v[146:147], v[144:145]
	s_nop 1
	v_div_fmas_f64 v[126:127], v[126:127], v[142:143], v[146:147]
	v_div_fixup_f64 v[124:125], v[126:127], v[124:125], 1.0
	v_mul_f64 v[126:127], v[140:141], -v[124:125]
.LBB60_408:
	s_or_b64 exec, exec, s[16:17]
.LBB60_409:
	s_or_b64 exec, exec, s[0:1]
	v_cmp_ne_u32_e32 vcc, v137, v134
	s_and_saveexec_b64 s[0:1], vcc
	s_xor_b64 s[0:1], exec, s[0:1]
	s_cbranch_execz .LBB60_415
; %bb.410:
	v_cmp_eq_u32_e32 vcc, 19, v137
	s_and_saveexec_b64 s[16:17], vcc
	s_cbranch_execz .LBB60_414
; %bb.411:
	v_cmp_ne_u32_e32 vcc, 19, v134
	s_xor_b64 s[18:19], s[14:15], -1
	s_and_b64 s[22:23], s[18:19], vcc
	s_and_saveexec_b64 s[18:19], s[22:23]
	s_cbranch_execz .LBB60_413
; %bb.412:
	v_ashrrev_i32_e32 v135, 31, v134
	v_lshl_add_u64 v[140:141], v[134:135], 2, v[132:133]
	global_load_dword v135, v[140:141], off
	global_load_dword v137, v[132:133], off offset:76
	s_waitcnt vmcnt(1)
	global_store_dword v[132:133], v135, off offset:76
	s_waitcnt vmcnt(1)
	global_store_dword v[140:141], v137, off
.LBB60_413:
	s_or_b64 exec, exec, s[18:19]
	v_mov_b32_e32 v137, v134
	v_mov_b32_e32 v139, v134
.LBB60_414:
	s_or_b64 exec, exec, s[16:17]
.LBB60_415:
	s_andn2_saveexec_b64 s[0:1], s[0:1]
	s_cbranch_execz .LBB60_417
; %bb.416:
	v_mov_b32_e32 v137, 19
	s_waitcnt vmcnt(10)
	ds_write2_b64 v136, v[36:37], v[38:39] offset0:40 offset1:41
	s_waitcnt vmcnt(9)
	ds_write2_b64 v136, v[32:33], v[34:35] offset0:42 offset1:43
	;; [unrolled: 2-line block ×11, first 2 shown]
.LBB60_417:
	s_or_b64 exec, exec, s[0:1]
	v_cmp_lt_i32_e32 vcc, 19, v137
	s_waitcnt lgkmcnt(0)
	s_barrier
	s_and_saveexec_b64 s[0:1], vcc
	s_cbranch_execz .LBB60_419
; %bb.418:
	ds_read2_b64 v[140:143], v136 offset0:40 offset1:41
	v_mul_f64 v[134:135], v[124:125], v[42:43]
	v_fmac_f64_e32 v[134:135], v[126:127], v[40:41]
	v_mul_f64 v[42:43], v[126:127], v[42:43]
	v_fma_f64 v[40:41], v[124:125], v[40:41], -v[42:43]
	ds_read2_b64 v[124:127], v136 offset0:42 offset1:43
	s_waitcnt lgkmcnt(1)
	v_mul_f64 v[42:43], v[142:143], v[134:135]
	v_fma_f64 v[42:43], v[140:141], v[40:41], -v[42:43]
	v_mul_f64 v[140:141], v[140:141], v[134:135]
	v_fmac_f64_e32 v[140:141], v[142:143], v[40:41]
	s_waitcnt vmcnt(10)
	v_add_f64 v[38:39], v[38:39], -v[140:141]
	ds_read2_b64 v[140:143], v136 offset0:44 offset1:45
	v_add_f64 v[36:37], v[36:37], -v[42:43]
	s_waitcnt lgkmcnt(1)
	v_mul_f64 v[42:43], v[126:127], v[134:135]
	v_fma_f64 v[42:43], v[124:125], v[40:41], -v[42:43]
	v_mul_f64 v[124:125], v[124:125], v[134:135]
	v_fmac_f64_e32 v[124:125], v[126:127], v[40:41]
	s_waitcnt vmcnt(9)
	v_add_f64 v[32:33], v[32:33], -v[42:43]
	v_add_f64 v[34:35], v[34:35], -v[124:125]
	ds_read2_b64 v[124:127], v136 offset0:46 offset1:47
	s_waitcnt lgkmcnt(1)
	v_mul_f64 v[42:43], v[142:143], v[134:135]
	v_fma_f64 v[42:43], v[140:141], v[40:41], -v[42:43]
	v_mul_f64 v[140:141], v[140:141], v[134:135]
	v_fmac_f64_e32 v[140:141], v[142:143], v[40:41]
	s_waitcnt vmcnt(8)
	v_add_f64 v[30:31], v[30:31], -v[140:141]
	ds_read2_b64 v[140:143], v136 offset0:48 offset1:49
	v_add_f64 v[28:29], v[28:29], -v[42:43]
	s_waitcnt lgkmcnt(1)
	v_mul_f64 v[42:43], v[126:127], v[134:135]
	v_fma_f64 v[42:43], v[124:125], v[40:41], -v[42:43]
	v_mul_f64 v[124:125], v[124:125], v[134:135]
	v_fmac_f64_e32 v[124:125], v[126:127], v[40:41]
	s_waitcnt vmcnt(7)
	v_add_f64 v[24:25], v[24:25], -v[42:43]
	v_add_f64 v[26:27], v[26:27], -v[124:125]
	;; [unrolled: 18-line block ×5, first 2 shown]
	s_waitcnt lgkmcnt(0)
	v_mul_f64 v[42:43], v[142:143], v[134:135]
	v_mul_f64 v[124:125], v[140:141], v[134:135]
	v_fma_f64 v[42:43], v[140:141], v[40:41], -v[42:43]
	v_fmac_f64_e32 v[124:125], v[142:143], v[40:41]
	s_waitcnt vmcnt(0)
	v_add_f64 v[120:121], v[120:121], -v[42:43]
	v_add_f64 v[122:123], v[122:123], -v[124:125]
	v_mov_b64_e32 v[42:43], v[134:135]
.LBB60_419:
	s_or_b64 exec, exec, s[0:1]
	v_lshl_add_u32 v124, v137, 4, v136
	s_barrier
	s_waitcnt vmcnt(10)
	ds_write2_b64 v124, v[36:37], v[38:39] offset1:1
	s_waitcnt lgkmcnt(0)
	s_barrier
	ds_read2_b64 v[124:127], v136 offset0:40 offset1:41
	s_cmp_lt_i32 s20, 22
	v_mov_b32_e32 v134, 20
	s_cbranch_scc1 .LBB60_422
; %bb.420:
	v_add_u32_e32 v135, 0x150, v136
	s_mov_b32 s16, 21
	v_mov_b32_e32 v134, 20
.LBB60_421:                             ; =>This Inner Loop Header: Depth=1
	ds_read2_b64 v[140:143], v135 offset1:1
	s_waitcnt lgkmcnt(1)
	v_xor_b32_e32 v145, 0x80000000, v125
	v_xor_b32_e32 v147, 0x80000000, v127
	v_cmp_gt_f64_e32 vcc, 0, v[126:127]
	v_cmp_gt_f64_e64 s[0:1], 0, v[124:125]
	v_mov_b32_e32 v144, v124
	v_mov_b32_e32 v146, v126
	v_cndmask_b32_e64 v145, v125, v145, s[0:1]
	v_cndmask_b32_e32 v147, v127, v147, vcc
	v_add_f64 v[144:145], v[144:145], v[146:147]
	s_waitcnt lgkmcnt(0)
	v_xor_b32_e32 v147, 0x80000000, v141
	v_xor_b32_e32 v149, 0x80000000, v143
	v_cmp_gt_f64_e32 vcc, 0, v[142:143]
	v_cmp_gt_f64_e64 s[0:1], 0, v[140:141]
	v_mov_b32_e32 v146, v140
	v_mov_b32_e32 v148, v142
	v_cndmask_b32_e64 v147, v141, v147, s[0:1]
	v_cndmask_b32_e32 v149, v143, v149, vcc
	v_add_f64 v[146:147], v[146:147], v[148:149]
	v_mov_b32_e32 v150, s16
	s_add_i32 s16, s16, 1
	v_cmp_lt_f64_e32 vcc, v[144:145], v[146:147]
	v_add_u32_e32 v135, 16, v135
	s_cmp_lg_u32 s20, s16
	v_cndmask_b32_e32 v125, v125, v141, vcc
	v_cndmask_b32_e32 v124, v124, v140, vcc
	;; [unrolled: 1-line block ×5, first 2 shown]
	s_cbranch_scc1 .LBB60_421
.LBB60_422:
	s_waitcnt lgkmcnt(0)
	v_cmp_eq_f64_e32 vcc, 0, v[124:125]
	v_cmp_eq_f64_e64 s[0:1], 0, v[126:127]
	s_and_b64 s[0:1], vcc, s[0:1]
	s_and_saveexec_b64 s[16:17], s[0:1]
	s_xor_b64 s[0:1], exec, s[16:17]
; %bb.423:
	v_cmp_ne_u32_e32 vcc, 0, v138
	s_nop 1
	v_cndmask_b32_e32 v138, 21, v138, vcc
; %bb.424:
	s_andn2_saveexec_b64 s[0:1], s[0:1]
	s_cbranch_execz .LBB60_430
; %bb.425:
	v_cmp_ngt_f64_e64 s[16:17], |v[124:125]|, |v[126:127]|
	s_and_saveexec_b64 s[18:19], s[16:17]
	s_xor_b64 s[16:17], exec, s[18:19]
	s_cbranch_execz .LBB60_427
; %bb.426:
	v_div_scale_f64 v[140:141], s[18:19], v[126:127], v[126:127], v[124:125]
	v_rcp_f64_e32 v[142:143], v[140:141]
	v_div_scale_f64 v[144:145], vcc, v[124:125], v[126:127], v[124:125]
	v_fma_f64 v[146:147], -v[140:141], v[142:143], 1.0
	v_fmac_f64_e32 v[142:143], v[142:143], v[146:147]
	v_fma_f64 v[146:147], -v[140:141], v[142:143], 1.0
	v_fmac_f64_e32 v[142:143], v[142:143], v[146:147]
	v_mul_f64 v[146:147], v[144:145], v[142:143]
	v_fma_f64 v[140:141], -v[140:141], v[146:147], v[144:145]
	v_div_fmas_f64 v[140:141], v[140:141], v[142:143], v[146:147]
	v_div_fixup_f64 v[140:141], v[140:141], v[126:127], v[124:125]
	v_fmac_f64_e32 v[126:127], v[124:125], v[140:141]
	v_div_scale_f64 v[124:125], s[18:19], v[126:127], v[126:127], 1.0
	v_rcp_f64_e32 v[142:143], v[124:125]
	s_nop 0
	v_fma_f64 v[144:145], -v[124:125], v[142:143], 1.0
	v_fmac_f64_e32 v[142:143], v[142:143], v[144:145]
	v_fma_f64 v[144:145], -v[124:125], v[142:143], 1.0
	v_fmac_f64_e32 v[142:143], v[142:143], v[144:145]
	v_div_scale_f64 v[144:145], vcc, 1.0, v[126:127], 1.0
	v_mul_f64 v[146:147], v[144:145], v[142:143]
	v_fma_f64 v[124:125], -v[124:125], v[146:147], v[144:145]
	s_nop 1
	v_div_fmas_f64 v[124:125], v[124:125], v[142:143], v[146:147]
	v_div_fixup_f64 v[126:127], v[124:125], v[126:127], 1.0
	v_mul_f64 v[124:125], v[140:141], v[126:127]
	v_xor_b32_e32 v127, 0x80000000, v127
.LBB60_427:
	s_andn2_saveexec_b64 s[16:17], s[16:17]
	s_cbranch_execz .LBB60_429
; %bb.428:
	v_div_scale_f64 v[140:141], s[18:19], v[124:125], v[124:125], v[126:127]
	v_rcp_f64_e32 v[142:143], v[140:141]
	v_div_scale_f64 v[144:145], vcc, v[126:127], v[124:125], v[126:127]
	v_fma_f64 v[146:147], -v[140:141], v[142:143], 1.0
	v_fmac_f64_e32 v[142:143], v[142:143], v[146:147]
	v_fma_f64 v[146:147], -v[140:141], v[142:143], 1.0
	v_fmac_f64_e32 v[142:143], v[142:143], v[146:147]
	v_mul_f64 v[146:147], v[144:145], v[142:143]
	v_fma_f64 v[140:141], -v[140:141], v[146:147], v[144:145]
	v_div_fmas_f64 v[140:141], v[140:141], v[142:143], v[146:147]
	v_div_fixup_f64 v[140:141], v[140:141], v[124:125], v[126:127]
	v_fmac_f64_e32 v[124:125], v[126:127], v[140:141]
	v_div_scale_f64 v[126:127], s[18:19], v[124:125], v[124:125], 1.0
	v_rcp_f64_e32 v[142:143], v[126:127]
	s_nop 0
	v_fma_f64 v[144:145], -v[126:127], v[142:143], 1.0
	v_fmac_f64_e32 v[142:143], v[142:143], v[144:145]
	v_fma_f64 v[144:145], -v[126:127], v[142:143], 1.0
	v_fmac_f64_e32 v[142:143], v[142:143], v[144:145]
	v_div_scale_f64 v[144:145], vcc, 1.0, v[124:125], 1.0
	v_mul_f64 v[146:147], v[144:145], v[142:143]
	v_fma_f64 v[126:127], -v[126:127], v[146:147], v[144:145]
	s_nop 1
	v_div_fmas_f64 v[126:127], v[126:127], v[142:143], v[146:147]
	v_div_fixup_f64 v[124:125], v[126:127], v[124:125], 1.0
	v_mul_f64 v[126:127], v[140:141], -v[124:125]
.LBB60_429:
	s_or_b64 exec, exec, s[16:17]
.LBB60_430:
	s_or_b64 exec, exec, s[0:1]
	v_cmp_ne_u32_e32 vcc, v137, v134
	s_and_saveexec_b64 s[0:1], vcc
	s_xor_b64 s[0:1], exec, s[0:1]
	s_cbranch_execz .LBB60_436
; %bb.431:
	v_cmp_eq_u32_e32 vcc, 20, v137
	s_and_saveexec_b64 s[16:17], vcc
	s_cbranch_execz .LBB60_435
; %bb.432:
	v_cmp_ne_u32_e32 vcc, 20, v134
	s_xor_b64 s[18:19], s[14:15], -1
	s_and_b64 s[22:23], s[18:19], vcc
	s_and_saveexec_b64 s[18:19], s[22:23]
	s_cbranch_execz .LBB60_434
; %bb.433:
	v_ashrrev_i32_e32 v135, 31, v134
	v_lshl_add_u64 v[140:141], v[134:135], 2, v[132:133]
	global_load_dword v135, v[140:141], off
	global_load_dword v137, v[132:133], off offset:80
	s_waitcnt vmcnt(1)
	global_store_dword v[132:133], v135, off offset:80
	s_waitcnt vmcnt(1)
	global_store_dword v[140:141], v137, off
.LBB60_434:
	s_or_b64 exec, exec, s[18:19]
	v_mov_b32_e32 v137, v134
	v_mov_b32_e32 v139, v134
.LBB60_435:
	s_or_b64 exec, exec, s[16:17]
.LBB60_436:
	s_andn2_saveexec_b64 s[0:1], s[0:1]
	s_cbranch_execz .LBB60_438
; %bb.437:
	v_mov_b32_e32 v137, 20
	s_waitcnt vmcnt(9)
	ds_write2_b64 v136, v[32:33], v[34:35] offset0:42 offset1:43
	s_waitcnt vmcnt(8)
	ds_write2_b64 v136, v[28:29], v[30:31] offset0:44 offset1:45
	;; [unrolled: 2-line block ×10, first 2 shown]
.LBB60_438:
	s_or_b64 exec, exec, s[0:1]
	v_cmp_lt_i32_e32 vcc, 20, v137
	s_waitcnt lgkmcnt(0)
	s_barrier
	s_and_saveexec_b64 s[0:1], vcc
	s_cbranch_execz .LBB60_440
; %bb.439:
	ds_read2_b64 v[140:143], v136 offset0:42 offset1:43
	v_mul_f64 v[134:135], v[124:125], v[38:39]
	v_mul_f64 v[38:39], v[126:127], v[38:39]
	v_fmac_f64_e32 v[134:135], v[126:127], v[36:37]
	v_fma_f64 v[36:37], v[124:125], v[36:37], -v[38:39]
	ds_read2_b64 v[124:127], v136 offset0:44 offset1:45
	s_waitcnt lgkmcnt(1)
	v_mul_f64 v[38:39], v[142:143], v[134:135]
	v_fma_f64 v[38:39], v[140:141], v[36:37], -v[38:39]
	v_mul_f64 v[140:141], v[140:141], v[134:135]
	v_fmac_f64_e32 v[140:141], v[142:143], v[36:37]
	s_waitcnt vmcnt(9)
	v_add_f64 v[32:33], v[32:33], -v[38:39]
	s_waitcnt lgkmcnt(0)
	v_mul_f64 v[38:39], v[126:127], v[134:135]
	v_add_f64 v[34:35], v[34:35], -v[140:141]
	v_fma_f64 v[38:39], v[124:125], v[36:37], -v[38:39]
	v_mul_f64 v[124:125], v[124:125], v[134:135]
	ds_read2_b64 v[140:143], v136 offset0:46 offset1:47
	v_fmac_f64_e32 v[124:125], v[126:127], v[36:37]
	s_waitcnt vmcnt(8)
	v_add_f64 v[30:31], v[30:31], -v[124:125]
	ds_read2_b64 v[124:127], v136 offset0:48 offset1:49
	v_add_f64 v[28:29], v[28:29], -v[38:39]
	s_waitcnt lgkmcnt(1)
	v_mul_f64 v[38:39], v[142:143], v[134:135]
	v_fma_f64 v[38:39], v[140:141], v[36:37], -v[38:39]
	v_mul_f64 v[140:141], v[140:141], v[134:135]
	v_fmac_f64_e32 v[140:141], v[142:143], v[36:37]
	s_waitcnt vmcnt(7)
	v_add_f64 v[24:25], v[24:25], -v[38:39]
	s_waitcnt lgkmcnt(0)
	v_mul_f64 v[38:39], v[126:127], v[134:135]
	v_add_f64 v[26:27], v[26:27], -v[140:141]
	v_fma_f64 v[38:39], v[124:125], v[36:37], -v[38:39]
	v_mul_f64 v[124:125], v[124:125], v[134:135]
	ds_read2_b64 v[140:143], v136 offset0:50 offset1:51
	v_fmac_f64_e32 v[124:125], v[126:127], v[36:37]
	s_waitcnt vmcnt(6)
	v_add_f64 v[22:23], v[22:23], -v[124:125]
	ds_read2_b64 v[124:127], v136 offset0:52 offset1:53
	v_add_f64 v[20:21], v[20:21], -v[38:39]
	;; [unrolled: 18-line block ×4, first 2 shown]
	s_waitcnt lgkmcnt(1)
	v_mul_f64 v[38:39], v[142:143], v[134:135]
	v_fma_f64 v[38:39], v[140:141], v[36:37], -v[38:39]
	s_waitcnt vmcnt(1)
	v_add_f64 v[0:1], v[0:1], -v[38:39]
	s_waitcnt lgkmcnt(0)
	v_mul_f64 v[38:39], v[126:127], v[134:135]
	v_mul_f64 v[140:141], v[140:141], v[134:135]
	v_fma_f64 v[38:39], v[124:125], v[36:37], -v[38:39]
	v_mul_f64 v[124:125], v[124:125], v[134:135]
	v_fmac_f64_e32 v[140:141], v[142:143], v[36:37]
	v_fmac_f64_e32 v[124:125], v[126:127], v[36:37]
	v_add_f64 v[2:3], v[2:3], -v[140:141]
	s_waitcnt vmcnt(0)
	v_add_f64 v[120:121], v[120:121], -v[38:39]
	v_add_f64 v[122:123], v[122:123], -v[124:125]
	v_mov_b64_e32 v[38:39], v[134:135]
.LBB60_440:
	s_or_b64 exec, exec, s[0:1]
	v_lshl_add_u32 v124, v137, 4, v136
	s_barrier
	s_waitcnt vmcnt(9)
	ds_write2_b64 v124, v[32:33], v[34:35] offset1:1
	s_waitcnt lgkmcnt(0)
	s_barrier
	ds_read2_b64 v[124:127], v136 offset0:42 offset1:43
	s_cmp_lt_i32 s20, 23
	v_mov_b32_e32 v134, 21
	s_cbranch_scc1 .LBB60_443
; %bb.441:
	v_add_u32_e32 v135, 0x160, v136
	s_mov_b32 s16, 22
	v_mov_b32_e32 v134, 21
.LBB60_442:                             ; =>This Inner Loop Header: Depth=1
	ds_read2_b64 v[140:143], v135 offset1:1
	s_waitcnt lgkmcnt(1)
	v_xor_b32_e32 v145, 0x80000000, v125
	v_xor_b32_e32 v147, 0x80000000, v127
	v_cmp_gt_f64_e32 vcc, 0, v[126:127]
	v_cmp_gt_f64_e64 s[0:1], 0, v[124:125]
	v_mov_b32_e32 v144, v124
	v_mov_b32_e32 v146, v126
	v_cndmask_b32_e64 v145, v125, v145, s[0:1]
	v_cndmask_b32_e32 v147, v127, v147, vcc
	v_add_f64 v[144:145], v[144:145], v[146:147]
	s_waitcnt lgkmcnt(0)
	v_xor_b32_e32 v147, 0x80000000, v141
	v_xor_b32_e32 v149, 0x80000000, v143
	v_cmp_gt_f64_e32 vcc, 0, v[142:143]
	v_cmp_gt_f64_e64 s[0:1], 0, v[140:141]
	v_mov_b32_e32 v146, v140
	v_mov_b32_e32 v148, v142
	v_cndmask_b32_e64 v147, v141, v147, s[0:1]
	v_cndmask_b32_e32 v149, v143, v149, vcc
	v_add_f64 v[146:147], v[146:147], v[148:149]
	v_mov_b32_e32 v150, s16
	s_add_i32 s16, s16, 1
	v_cmp_lt_f64_e32 vcc, v[144:145], v[146:147]
	v_add_u32_e32 v135, 16, v135
	s_cmp_lg_u32 s20, s16
	v_cndmask_b32_e32 v125, v125, v141, vcc
	v_cndmask_b32_e32 v124, v124, v140, vcc
	;; [unrolled: 1-line block ×5, first 2 shown]
	s_cbranch_scc1 .LBB60_442
.LBB60_443:
	s_waitcnt lgkmcnt(0)
	v_cmp_eq_f64_e32 vcc, 0, v[124:125]
	v_cmp_eq_f64_e64 s[0:1], 0, v[126:127]
	s_and_b64 s[0:1], vcc, s[0:1]
	s_and_saveexec_b64 s[16:17], s[0:1]
	s_xor_b64 s[0:1], exec, s[16:17]
; %bb.444:
	v_cmp_ne_u32_e32 vcc, 0, v138
	s_nop 1
	v_cndmask_b32_e32 v138, 22, v138, vcc
; %bb.445:
	s_andn2_saveexec_b64 s[0:1], s[0:1]
	s_cbranch_execz .LBB60_451
; %bb.446:
	v_cmp_ngt_f64_e64 s[16:17], |v[124:125]|, |v[126:127]|
	s_and_saveexec_b64 s[18:19], s[16:17]
	s_xor_b64 s[16:17], exec, s[18:19]
	s_cbranch_execz .LBB60_448
; %bb.447:
	v_div_scale_f64 v[140:141], s[18:19], v[126:127], v[126:127], v[124:125]
	v_rcp_f64_e32 v[142:143], v[140:141]
	v_div_scale_f64 v[144:145], vcc, v[124:125], v[126:127], v[124:125]
	v_fma_f64 v[146:147], -v[140:141], v[142:143], 1.0
	v_fmac_f64_e32 v[142:143], v[142:143], v[146:147]
	v_fma_f64 v[146:147], -v[140:141], v[142:143], 1.0
	v_fmac_f64_e32 v[142:143], v[142:143], v[146:147]
	v_mul_f64 v[146:147], v[144:145], v[142:143]
	v_fma_f64 v[140:141], -v[140:141], v[146:147], v[144:145]
	v_div_fmas_f64 v[140:141], v[140:141], v[142:143], v[146:147]
	v_div_fixup_f64 v[140:141], v[140:141], v[126:127], v[124:125]
	v_fmac_f64_e32 v[126:127], v[124:125], v[140:141]
	v_div_scale_f64 v[124:125], s[18:19], v[126:127], v[126:127], 1.0
	v_rcp_f64_e32 v[142:143], v[124:125]
	s_nop 0
	v_fma_f64 v[144:145], -v[124:125], v[142:143], 1.0
	v_fmac_f64_e32 v[142:143], v[142:143], v[144:145]
	v_fma_f64 v[144:145], -v[124:125], v[142:143], 1.0
	v_fmac_f64_e32 v[142:143], v[142:143], v[144:145]
	v_div_scale_f64 v[144:145], vcc, 1.0, v[126:127], 1.0
	v_mul_f64 v[146:147], v[144:145], v[142:143]
	v_fma_f64 v[124:125], -v[124:125], v[146:147], v[144:145]
	s_nop 1
	v_div_fmas_f64 v[124:125], v[124:125], v[142:143], v[146:147]
	v_div_fixup_f64 v[126:127], v[124:125], v[126:127], 1.0
	v_mul_f64 v[124:125], v[140:141], v[126:127]
	v_xor_b32_e32 v127, 0x80000000, v127
.LBB60_448:
	s_andn2_saveexec_b64 s[16:17], s[16:17]
	s_cbranch_execz .LBB60_450
; %bb.449:
	v_div_scale_f64 v[140:141], s[18:19], v[124:125], v[124:125], v[126:127]
	v_rcp_f64_e32 v[142:143], v[140:141]
	v_div_scale_f64 v[144:145], vcc, v[126:127], v[124:125], v[126:127]
	v_fma_f64 v[146:147], -v[140:141], v[142:143], 1.0
	v_fmac_f64_e32 v[142:143], v[142:143], v[146:147]
	v_fma_f64 v[146:147], -v[140:141], v[142:143], 1.0
	v_fmac_f64_e32 v[142:143], v[142:143], v[146:147]
	v_mul_f64 v[146:147], v[144:145], v[142:143]
	v_fma_f64 v[140:141], -v[140:141], v[146:147], v[144:145]
	v_div_fmas_f64 v[140:141], v[140:141], v[142:143], v[146:147]
	v_div_fixup_f64 v[140:141], v[140:141], v[124:125], v[126:127]
	v_fmac_f64_e32 v[124:125], v[126:127], v[140:141]
	v_div_scale_f64 v[126:127], s[18:19], v[124:125], v[124:125], 1.0
	v_rcp_f64_e32 v[142:143], v[126:127]
	s_nop 0
	v_fma_f64 v[144:145], -v[126:127], v[142:143], 1.0
	v_fmac_f64_e32 v[142:143], v[142:143], v[144:145]
	v_fma_f64 v[144:145], -v[126:127], v[142:143], 1.0
	v_fmac_f64_e32 v[142:143], v[142:143], v[144:145]
	v_div_scale_f64 v[144:145], vcc, 1.0, v[124:125], 1.0
	v_mul_f64 v[146:147], v[144:145], v[142:143]
	v_fma_f64 v[126:127], -v[126:127], v[146:147], v[144:145]
	s_nop 1
	v_div_fmas_f64 v[126:127], v[126:127], v[142:143], v[146:147]
	v_div_fixup_f64 v[124:125], v[126:127], v[124:125], 1.0
	v_mul_f64 v[126:127], v[140:141], -v[124:125]
.LBB60_450:
	s_or_b64 exec, exec, s[16:17]
.LBB60_451:
	s_or_b64 exec, exec, s[0:1]
	v_cmp_ne_u32_e32 vcc, v137, v134
	s_and_saveexec_b64 s[0:1], vcc
	s_xor_b64 s[0:1], exec, s[0:1]
	s_cbranch_execz .LBB60_457
; %bb.452:
	v_cmp_eq_u32_e32 vcc, 21, v137
	s_and_saveexec_b64 s[16:17], vcc
	s_cbranch_execz .LBB60_456
; %bb.453:
	v_cmp_ne_u32_e32 vcc, 21, v134
	s_xor_b64 s[18:19], s[14:15], -1
	s_and_b64 s[22:23], s[18:19], vcc
	s_and_saveexec_b64 s[18:19], s[22:23]
	s_cbranch_execz .LBB60_455
; %bb.454:
	v_ashrrev_i32_e32 v135, 31, v134
	v_lshl_add_u64 v[140:141], v[134:135], 2, v[132:133]
	global_load_dword v135, v[140:141], off
	global_load_dword v137, v[132:133], off offset:84
	s_waitcnt vmcnt(1)
	global_store_dword v[132:133], v135, off offset:84
	s_waitcnt vmcnt(1)
	global_store_dword v[140:141], v137, off
.LBB60_455:
	s_or_b64 exec, exec, s[18:19]
	v_mov_b32_e32 v137, v134
	v_mov_b32_e32 v139, v134
.LBB60_456:
	s_or_b64 exec, exec, s[16:17]
.LBB60_457:
	s_andn2_saveexec_b64 s[0:1], s[0:1]
	s_cbranch_execz .LBB60_459
; %bb.458:
	v_mov_b32_e32 v137, 21
	s_waitcnt vmcnt(8)
	ds_write2_b64 v136, v[28:29], v[30:31] offset0:44 offset1:45
	s_waitcnt vmcnt(7)
	ds_write2_b64 v136, v[24:25], v[26:27] offset0:46 offset1:47
	;; [unrolled: 2-line block ×9, first 2 shown]
.LBB60_459:
	s_or_b64 exec, exec, s[0:1]
	v_cmp_lt_i32_e32 vcc, 21, v137
	s_waitcnt lgkmcnt(0)
	s_barrier
	s_and_saveexec_b64 s[0:1], vcc
	s_cbranch_execz .LBB60_461
; %bb.460:
	ds_read2_b64 v[140:143], v136 offset0:44 offset1:45
	v_mul_f64 v[134:135], v[124:125], v[34:35]
	v_fmac_f64_e32 v[134:135], v[126:127], v[32:33]
	v_mul_f64 v[34:35], v[126:127], v[34:35]
	v_fma_f64 v[32:33], v[124:125], v[32:33], -v[34:35]
	ds_read2_b64 v[124:127], v136 offset0:46 offset1:47
	s_waitcnt lgkmcnt(1)
	v_mul_f64 v[34:35], v[142:143], v[134:135]
	v_fma_f64 v[34:35], v[140:141], v[32:33], -v[34:35]
	v_mul_f64 v[140:141], v[140:141], v[134:135]
	v_fmac_f64_e32 v[140:141], v[142:143], v[32:33]
	s_waitcnt vmcnt(8)
	v_add_f64 v[30:31], v[30:31], -v[140:141]
	ds_read2_b64 v[140:143], v136 offset0:48 offset1:49
	v_add_f64 v[28:29], v[28:29], -v[34:35]
	s_waitcnt lgkmcnt(1)
	v_mul_f64 v[34:35], v[126:127], v[134:135]
	v_fma_f64 v[34:35], v[124:125], v[32:33], -v[34:35]
	v_mul_f64 v[124:125], v[124:125], v[134:135]
	v_fmac_f64_e32 v[124:125], v[126:127], v[32:33]
	s_waitcnt vmcnt(7)
	v_add_f64 v[24:25], v[24:25], -v[34:35]
	v_add_f64 v[26:27], v[26:27], -v[124:125]
	ds_read2_b64 v[124:127], v136 offset0:50 offset1:51
	s_waitcnt lgkmcnt(1)
	v_mul_f64 v[34:35], v[142:143], v[134:135]
	v_fma_f64 v[34:35], v[140:141], v[32:33], -v[34:35]
	v_mul_f64 v[140:141], v[140:141], v[134:135]
	v_fmac_f64_e32 v[140:141], v[142:143], v[32:33]
	s_waitcnt vmcnt(6)
	v_add_f64 v[22:23], v[22:23], -v[140:141]
	ds_read2_b64 v[140:143], v136 offset0:52 offset1:53
	v_add_f64 v[20:21], v[20:21], -v[34:35]
	s_waitcnt lgkmcnt(1)
	v_mul_f64 v[34:35], v[126:127], v[134:135]
	v_fma_f64 v[34:35], v[124:125], v[32:33], -v[34:35]
	v_mul_f64 v[124:125], v[124:125], v[134:135]
	v_fmac_f64_e32 v[124:125], v[126:127], v[32:33]
	s_waitcnt vmcnt(5)
	v_add_f64 v[16:17], v[16:17], -v[34:35]
	v_add_f64 v[18:19], v[18:19], -v[124:125]
	;; [unrolled: 18-line block ×4, first 2 shown]
	s_waitcnt lgkmcnt(0)
	v_mul_f64 v[34:35], v[142:143], v[134:135]
	v_mul_f64 v[124:125], v[140:141], v[134:135]
	v_fma_f64 v[34:35], v[140:141], v[32:33], -v[34:35]
	v_fmac_f64_e32 v[124:125], v[142:143], v[32:33]
	s_waitcnt vmcnt(0)
	v_add_f64 v[120:121], v[120:121], -v[34:35]
	v_add_f64 v[122:123], v[122:123], -v[124:125]
	v_mov_b64_e32 v[34:35], v[134:135]
.LBB60_461:
	s_or_b64 exec, exec, s[0:1]
	v_lshl_add_u32 v124, v137, 4, v136
	s_barrier
	s_waitcnt vmcnt(8)
	ds_write2_b64 v124, v[28:29], v[30:31] offset1:1
	s_waitcnt lgkmcnt(0)
	s_barrier
	ds_read2_b64 v[124:127], v136 offset0:44 offset1:45
	s_cmp_lt_i32 s20, 24
	v_mov_b32_e32 v134, 22
	s_cbranch_scc1 .LBB60_464
; %bb.462:
	v_add_u32_e32 v135, 0x170, v136
	s_mov_b32 s16, 23
	v_mov_b32_e32 v134, 22
.LBB60_463:                             ; =>This Inner Loop Header: Depth=1
	ds_read2_b64 v[140:143], v135 offset1:1
	s_waitcnt lgkmcnt(1)
	v_xor_b32_e32 v145, 0x80000000, v125
	v_xor_b32_e32 v147, 0x80000000, v127
	v_cmp_gt_f64_e32 vcc, 0, v[126:127]
	v_cmp_gt_f64_e64 s[0:1], 0, v[124:125]
	v_mov_b32_e32 v144, v124
	v_mov_b32_e32 v146, v126
	v_cndmask_b32_e64 v145, v125, v145, s[0:1]
	v_cndmask_b32_e32 v147, v127, v147, vcc
	v_add_f64 v[144:145], v[144:145], v[146:147]
	s_waitcnt lgkmcnt(0)
	v_xor_b32_e32 v147, 0x80000000, v141
	v_xor_b32_e32 v149, 0x80000000, v143
	v_cmp_gt_f64_e32 vcc, 0, v[142:143]
	v_cmp_gt_f64_e64 s[0:1], 0, v[140:141]
	v_mov_b32_e32 v146, v140
	v_mov_b32_e32 v148, v142
	v_cndmask_b32_e64 v147, v141, v147, s[0:1]
	v_cndmask_b32_e32 v149, v143, v149, vcc
	v_add_f64 v[146:147], v[146:147], v[148:149]
	v_mov_b32_e32 v150, s16
	s_add_i32 s16, s16, 1
	v_cmp_lt_f64_e32 vcc, v[144:145], v[146:147]
	v_add_u32_e32 v135, 16, v135
	s_cmp_lg_u32 s20, s16
	v_cndmask_b32_e32 v125, v125, v141, vcc
	v_cndmask_b32_e32 v124, v124, v140, vcc
	;; [unrolled: 1-line block ×5, first 2 shown]
	s_cbranch_scc1 .LBB60_463
.LBB60_464:
	s_waitcnt lgkmcnt(0)
	v_cmp_eq_f64_e32 vcc, 0, v[124:125]
	v_cmp_eq_f64_e64 s[0:1], 0, v[126:127]
	s_and_b64 s[0:1], vcc, s[0:1]
	s_and_saveexec_b64 s[16:17], s[0:1]
	s_xor_b64 s[0:1], exec, s[16:17]
; %bb.465:
	v_cmp_ne_u32_e32 vcc, 0, v138
	s_nop 1
	v_cndmask_b32_e32 v138, 23, v138, vcc
; %bb.466:
	s_andn2_saveexec_b64 s[0:1], s[0:1]
	s_cbranch_execz .LBB60_472
; %bb.467:
	v_cmp_ngt_f64_e64 s[16:17], |v[124:125]|, |v[126:127]|
	s_and_saveexec_b64 s[18:19], s[16:17]
	s_xor_b64 s[16:17], exec, s[18:19]
	s_cbranch_execz .LBB60_469
; %bb.468:
	v_div_scale_f64 v[140:141], s[18:19], v[126:127], v[126:127], v[124:125]
	v_rcp_f64_e32 v[142:143], v[140:141]
	v_div_scale_f64 v[144:145], vcc, v[124:125], v[126:127], v[124:125]
	v_fma_f64 v[146:147], -v[140:141], v[142:143], 1.0
	v_fmac_f64_e32 v[142:143], v[142:143], v[146:147]
	v_fma_f64 v[146:147], -v[140:141], v[142:143], 1.0
	v_fmac_f64_e32 v[142:143], v[142:143], v[146:147]
	v_mul_f64 v[146:147], v[144:145], v[142:143]
	v_fma_f64 v[140:141], -v[140:141], v[146:147], v[144:145]
	v_div_fmas_f64 v[140:141], v[140:141], v[142:143], v[146:147]
	v_div_fixup_f64 v[140:141], v[140:141], v[126:127], v[124:125]
	v_fmac_f64_e32 v[126:127], v[124:125], v[140:141]
	v_div_scale_f64 v[124:125], s[18:19], v[126:127], v[126:127], 1.0
	v_rcp_f64_e32 v[142:143], v[124:125]
	s_nop 0
	v_fma_f64 v[144:145], -v[124:125], v[142:143], 1.0
	v_fmac_f64_e32 v[142:143], v[142:143], v[144:145]
	v_fma_f64 v[144:145], -v[124:125], v[142:143], 1.0
	v_fmac_f64_e32 v[142:143], v[142:143], v[144:145]
	v_div_scale_f64 v[144:145], vcc, 1.0, v[126:127], 1.0
	v_mul_f64 v[146:147], v[144:145], v[142:143]
	v_fma_f64 v[124:125], -v[124:125], v[146:147], v[144:145]
	s_nop 1
	v_div_fmas_f64 v[124:125], v[124:125], v[142:143], v[146:147]
	v_div_fixup_f64 v[126:127], v[124:125], v[126:127], 1.0
	v_mul_f64 v[124:125], v[140:141], v[126:127]
	v_xor_b32_e32 v127, 0x80000000, v127
.LBB60_469:
	s_andn2_saveexec_b64 s[16:17], s[16:17]
	s_cbranch_execz .LBB60_471
; %bb.470:
	v_div_scale_f64 v[140:141], s[18:19], v[124:125], v[124:125], v[126:127]
	v_rcp_f64_e32 v[142:143], v[140:141]
	v_div_scale_f64 v[144:145], vcc, v[126:127], v[124:125], v[126:127]
	v_fma_f64 v[146:147], -v[140:141], v[142:143], 1.0
	v_fmac_f64_e32 v[142:143], v[142:143], v[146:147]
	v_fma_f64 v[146:147], -v[140:141], v[142:143], 1.0
	v_fmac_f64_e32 v[142:143], v[142:143], v[146:147]
	v_mul_f64 v[146:147], v[144:145], v[142:143]
	v_fma_f64 v[140:141], -v[140:141], v[146:147], v[144:145]
	v_div_fmas_f64 v[140:141], v[140:141], v[142:143], v[146:147]
	v_div_fixup_f64 v[140:141], v[140:141], v[124:125], v[126:127]
	v_fmac_f64_e32 v[124:125], v[126:127], v[140:141]
	v_div_scale_f64 v[126:127], s[18:19], v[124:125], v[124:125], 1.0
	v_rcp_f64_e32 v[142:143], v[126:127]
	s_nop 0
	v_fma_f64 v[144:145], -v[126:127], v[142:143], 1.0
	v_fmac_f64_e32 v[142:143], v[142:143], v[144:145]
	v_fma_f64 v[144:145], -v[126:127], v[142:143], 1.0
	v_fmac_f64_e32 v[142:143], v[142:143], v[144:145]
	v_div_scale_f64 v[144:145], vcc, 1.0, v[124:125], 1.0
	v_mul_f64 v[146:147], v[144:145], v[142:143]
	v_fma_f64 v[126:127], -v[126:127], v[146:147], v[144:145]
	s_nop 1
	v_div_fmas_f64 v[126:127], v[126:127], v[142:143], v[146:147]
	v_div_fixup_f64 v[124:125], v[126:127], v[124:125], 1.0
	v_mul_f64 v[126:127], v[140:141], -v[124:125]
.LBB60_471:
	s_or_b64 exec, exec, s[16:17]
.LBB60_472:
	s_or_b64 exec, exec, s[0:1]
	v_cmp_ne_u32_e32 vcc, v137, v134
	s_and_saveexec_b64 s[0:1], vcc
	s_xor_b64 s[0:1], exec, s[0:1]
	s_cbranch_execz .LBB60_478
; %bb.473:
	v_cmp_eq_u32_e32 vcc, 22, v137
	s_and_saveexec_b64 s[16:17], vcc
	s_cbranch_execz .LBB60_477
; %bb.474:
	v_cmp_ne_u32_e32 vcc, 22, v134
	s_xor_b64 s[18:19], s[14:15], -1
	s_and_b64 s[22:23], s[18:19], vcc
	s_and_saveexec_b64 s[18:19], s[22:23]
	s_cbranch_execz .LBB60_476
; %bb.475:
	v_ashrrev_i32_e32 v135, 31, v134
	v_lshl_add_u64 v[140:141], v[134:135], 2, v[132:133]
	global_load_dword v135, v[140:141], off
	global_load_dword v137, v[132:133], off offset:88
	s_waitcnt vmcnt(1)
	global_store_dword v[132:133], v135, off offset:88
	s_waitcnt vmcnt(1)
	global_store_dword v[140:141], v137, off
.LBB60_476:
	s_or_b64 exec, exec, s[18:19]
	v_mov_b32_e32 v137, v134
	v_mov_b32_e32 v139, v134
.LBB60_477:
	s_or_b64 exec, exec, s[16:17]
.LBB60_478:
	s_andn2_saveexec_b64 s[0:1], s[0:1]
	s_cbranch_execz .LBB60_480
; %bb.479:
	v_mov_b32_e32 v137, 22
	s_waitcnt vmcnt(7)
	ds_write2_b64 v136, v[24:25], v[26:27] offset0:46 offset1:47
	s_waitcnt vmcnt(6)
	ds_write2_b64 v136, v[20:21], v[22:23] offset0:48 offset1:49
	s_waitcnt vmcnt(5)
	ds_write2_b64 v136, v[16:17], v[18:19] offset0:50 offset1:51
	s_waitcnt vmcnt(4)
	ds_write2_b64 v136, v[12:13], v[14:15] offset0:52 offset1:53
	s_waitcnt vmcnt(3)
	ds_write2_b64 v136, v[8:9], v[10:11] offset0:54 offset1:55
	s_waitcnt vmcnt(2)
	ds_write2_b64 v136, v[4:5], v[6:7] offset0:56 offset1:57
	s_waitcnt vmcnt(1)
	ds_write2_b64 v136, v[0:1], v[2:3] offset0:58 offset1:59
	s_waitcnt vmcnt(0)
	ds_write2_b64 v136, v[120:121], v[122:123] offset0:60 offset1:61
.LBB60_480:
	s_or_b64 exec, exec, s[0:1]
	v_cmp_lt_i32_e32 vcc, 22, v137
	s_waitcnt lgkmcnt(0)
	s_barrier
	s_and_saveexec_b64 s[0:1], vcc
	s_cbranch_execz .LBB60_482
; %bb.481:
	ds_read2_b64 v[140:143], v136 offset0:46 offset1:47
	v_mul_f64 v[134:135], v[124:125], v[30:31]
	v_mul_f64 v[30:31], v[126:127], v[30:31]
	v_fmac_f64_e32 v[134:135], v[126:127], v[28:29]
	v_fma_f64 v[28:29], v[124:125], v[28:29], -v[30:31]
	ds_read2_b64 v[124:127], v136 offset0:48 offset1:49
	s_waitcnt lgkmcnt(1)
	v_mul_f64 v[30:31], v[142:143], v[134:135]
	v_fma_f64 v[30:31], v[140:141], v[28:29], -v[30:31]
	v_mul_f64 v[140:141], v[140:141], v[134:135]
	v_fmac_f64_e32 v[140:141], v[142:143], v[28:29]
	s_waitcnt vmcnt(7)
	v_add_f64 v[24:25], v[24:25], -v[30:31]
	s_waitcnt lgkmcnt(0)
	v_mul_f64 v[30:31], v[126:127], v[134:135]
	v_add_f64 v[26:27], v[26:27], -v[140:141]
	v_fma_f64 v[30:31], v[124:125], v[28:29], -v[30:31]
	v_mul_f64 v[124:125], v[124:125], v[134:135]
	ds_read2_b64 v[140:143], v136 offset0:50 offset1:51
	v_fmac_f64_e32 v[124:125], v[126:127], v[28:29]
	s_waitcnt vmcnt(6)
	v_add_f64 v[22:23], v[22:23], -v[124:125]
	ds_read2_b64 v[124:127], v136 offset0:52 offset1:53
	v_add_f64 v[20:21], v[20:21], -v[30:31]
	s_waitcnt lgkmcnt(1)
	v_mul_f64 v[30:31], v[142:143], v[134:135]
	v_fma_f64 v[30:31], v[140:141], v[28:29], -v[30:31]
	v_mul_f64 v[140:141], v[140:141], v[134:135]
	v_fmac_f64_e32 v[140:141], v[142:143], v[28:29]
	s_waitcnt vmcnt(5)
	v_add_f64 v[16:17], v[16:17], -v[30:31]
	s_waitcnt lgkmcnt(0)
	v_mul_f64 v[30:31], v[126:127], v[134:135]
	v_add_f64 v[18:19], v[18:19], -v[140:141]
	v_fma_f64 v[30:31], v[124:125], v[28:29], -v[30:31]
	v_mul_f64 v[124:125], v[124:125], v[134:135]
	ds_read2_b64 v[140:143], v136 offset0:54 offset1:55
	v_fmac_f64_e32 v[124:125], v[126:127], v[28:29]
	s_waitcnt vmcnt(4)
	v_add_f64 v[14:15], v[14:15], -v[124:125]
	ds_read2_b64 v[124:127], v136 offset0:56 offset1:57
	v_add_f64 v[12:13], v[12:13], -v[30:31]
	s_waitcnt lgkmcnt(1)
	v_mul_f64 v[30:31], v[142:143], v[134:135]
	v_fma_f64 v[30:31], v[140:141], v[28:29], -v[30:31]
	v_mul_f64 v[140:141], v[140:141], v[134:135]
	v_fmac_f64_e32 v[140:141], v[142:143], v[28:29]
	s_waitcnt vmcnt(3)
	v_add_f64 v[8:9], v[8:9], -v[30:31]
	s_waitcnt lgkmcnt(0)
	v_mul_f64 v[30:31], v[126:127], v[134:135]
	v_add_f64 v[10:11], v[10:11], -v[140:141]
	v_fma_f64 v[30:31], v[124:125], v[28:29], -v[30:31]
	v_mul_f64 v[124:125], v[124:125], v[134:135]
	ds_read2_b64 v[140:143], v136 offset0:58 offset1:59
	v_fmac_f64_e32 v[124:125], v[126:127], v[28:29]
	s_waitcnt vmcnt(2)
	v_add_f64 v[6:7], v[6:7], -v[124:125]
	ds_read2_b64 v[124:127], v136 offset0:60 offset1:61
	v_add_f64 v[4:5], v[4:5], -v[30:31]
	s_waitcnt lgkmcnt(1)
	v_mul_f64 v[30:31], v[142:143], v[134:135]
	v_fma_f64 v[30:31], v[140:141], v[28:29], -v[30:31]
	s_waitcnt vmcnt(1)
	v_add_f64 v[0:1], v[0:1], -v[30:31]
	s_waitcnt lgkmcnt(0)
	v_mul_f64 v[30:31], v[126:127], v[134:135]
	v_mul_f64 v[140:141], v[140:141], v[134:135]
	v_fma_f64 v[30:31], v[124:125], v[28:29], -v[30:31]
	v_mul_f64 v[124:125], v[124:125], v[134:135]
	v_fmac_f64_e32 v[140:141], v[142:143], v[28:29]
	v_fmac_f64_e32 v[124:125], v[126:127], v[28:29]
	v_add_f64 v[2:3], v[2:3], -v[140:141]
	s_waitcnt vmcnt(0)
	v_add_f64 v[120:121], v[120:121], -v[30:31]
	v_add_f64 v[122:123], v[122:123], -v[124:125]
	v_mov_b64_e32 v[30:31], v[134:135]
.LBB60_482:
	s_or_b64 exec, exec, s[0:1]
	v_lshl_add_u32 v124, v137, 4, v136
	s_barrier
	s_waitcnt vmcnt(7)
	ds_write2_b64 v124, v[24:25], v[26:27] offset1:1
	s_waitcnt lgkmcnt(0)
	s_barrier
	ds_read2_b64 v[124:127], v136 offset0:46 offset1:47
	s_cmp_lt_i32 s20, 25
	v_mov_b32_e32 v134, 23
	s_cbranch_scc1 .LBB60_485
; %bb.483:
	v_add_u32_e32 v135, 0x180, v136
	s_mov_b32 s16, 24
	v_mov_b32_e32 v134, 23
.LBB60_484:                             ; =>This Inner Loop Header: Depth=1
	ds_read2_b64 v[140:143], v135 offset1:1
	s_waitcnt lgkmcnt(1)
	v_xor_b32_e32 v145, 0x80000000, v125
	v_xor_b32_e32 v147, 0x80000000, v127
	v_cmp_gt_f64_e32 vcc, 0, v[126:127]
	v_cmp_gt_f64_e64 s[0:1], 0, v[124:125]
	v_mov_b32_e32 v144, v124
	v_mov_b32_e32 v146, v126
	v_cndmask_b32_e64 v145, v125, v145, s[0:1]
	v_cndmask_b32_e32 v147, v127, v147, vcc
	v_add_f64 v[144:145], v[144:145], v[146:147]
	s_waitcnt lgkmcnt(0)
	v_xor_b32_e32 v147, 0x80000000, v141
	v_xor_b32_e32 v149, 0x80000000, v143
	v_cmp_gt_f64_e32 vcc, 0, v[142:143]
	v_cmp_gt_f64_e64 s[0:1], 0, v[140:141]
	v_mov_b32_e32 v146, v140
	v_mov_b32_e32 v148, v142
	v_cndmask_b32_e64 v147, v141, v147, s[0:1]
	v_cndmask_b32_e32 v149, v143, v149, vcc
	v_add_f64 v[146:147], v[146:147], v[148:149]
	v_mov_b32_e32 v150, s16
	s_add_i32 s16, s16, 1
	v_cmp_lt_f64_e32 vcc, v[144:145], v[146:147]
	v_add_u32_e32 v135, 16, v135
	s_cmp_lg_u32 s20, s16
	v_cndmask_b32_e32 v125, v125, v141, vcc
	v_cndmask_b32_e32 v124, v124, v140, vcc
	v_cndmask_b32_e32 v127, v127, v143, vcc
	v_cndmask_b32_e32 v126, v126, v142, vcc
	v_cndmask_b32_e32 v134, v134, v150, vcc
	s_cbranch_scc1 .LBB60_484
.LBB60_485:
	s_waitcnt lgkmcnt(0)
	v_cmp_eq_f64_e32 vcc, 0, v[124:125]
	v_cmp_eq_f64_e64 s[0:1], 0, v[126:127]
	s_and_b64 s[0:1], vcc, s[0:1]
	s_and_saveexec_b64 s[16:17], s[0:1]
	s_xor_b64 s[0:1], exec, s[16:17]
; %bb.486:
	v_cmp_ne_u32_e32 vcc, 0, v138
	s_nop 1
	v_cndmask_b32_e32 v138, 24, v138, vcc
; %bb.487:
	s_andn2_saveexec_b64 s[0:1], s[0:1]
	s_cbranch_execz .LBB60_493
; %bb.488:
	v_cmp_ngt_f64_e64 s[16:17], |v[124:125]|, |v[126:127]|
	s_and_saveexec_b64 s[18:19], s[16:17]
	s_xor_b64 s[16:17], exec, s[18:19]
	s_cbranch_execz .LBB60_490
; %bb.489:
	v_div_scale_f64 v[140:141], s[18:19], v[126:127], v[126:127], v[124:125]
	v_rcp_f64_e32 v[142:143], v[140:141]
	v_div_scale_f64 v[144:145], vcc, v[124:125], v[126:127], v[124:125]
	v_fma_f64 v[146:147], -v[140:141], v[142:143], 1.0
	v_fmac_f64_e32 v[142:143], v[142:143], v[146:147]
	v_fma_f64 v[146:147], -v[140:141], v[142:143], 1.0
	v_fmac_f64_e32 v[142:143], v[142:143], v[146:147]
	v_mul_f64 v[146:147], v[144:145], v[142:143]
	v_fma_f64 v[140:141], -v[140:141], v[146:147], v[144:145]
	v_div_fmas_f64 v[140:141], v[140:141], v[142:143], v[146:147]
	v_div_fixup_f64 v[140:141], v[140:141], v[126:127], v[124:125]
	v_fmac_f64_e32 v[126:127], v[124:125], v[140:141]
	v_div_scale_f64 v[124:125], s[18:19], v[126:127], v[126:127], 1.0
	v_rcp_f64_e32 v[142:143], v[124:125]
	s_nop 0
	v_fma_f64 v[144:145], -v[124:125], v[142:143], 1.0
	v_fmac_f64_e32 v[142:143], v[142:143], v[144:145]
	v_fma_f64 v[144:145], -v[124:125], v[142:143], 1.0
	v_fmac_f64_e32 v[142:143], v[142:143], v[144:145]
	v_div_scale_f64 v[144:145], vcc, 1.0, v[126:127], 1.0
	v_mul_f64 v[146:147], v[144:145], v[142:143]
	v_fma_f64 v[124:125], -v[124:125], v[146:147], v[144:145]
	s_nop 1
	v_div_fmas_f64 v[124:125], v[124:125], v[142:143], v[146:147]
	v_div_fixup_f64 v[126:127], v[124:125], v[126:127], 1.0
	v_mul_f64 v[124:125], v[140:141], v[126:127]
	v_xor_b32_e32 v127, 0x80000000, v127
.LBB60_490:
	s_andn2_saveexec_b64 s[16:17], s[16:17]
	s_cbranch_execz .LBB60_492
; %bb.491:
	v_div_scale_f64 v[140:141], s[18:19], v[124:125], v[124:125], v[126:127]
	v_rcp_f64_e32 v[142:143], v[140:141]
	v_div_scale_f64 v[144:145], vcc, v[126:127], v[124:125], v[126:127]
	v_fma_f64 v[146:147], -v[140:141], v[142:143], 1.0
	v_fmac_f64_e32 v[142:143], v[142:143], v[146:147]
	v_fma_f64 v[146:147], -v[140:141], v[142:143], 1.0
	v_fmac_f64_e32 v[142:143], v[142:143], v[146:147]
	v_mul_f64 v[146:147], v[144:145], v[142:143]
	v_fma_f64 v[140:141], -v[140:141], v[146:147], v[144:145]
	v_div_fmas_f64 v[140:141], v[140:141], v[142:143], v[146:147]
	v_div_fixup_f64 v[140:141], v[140:141], v[124:125], v[126:127]
	v_fmac_f64_e32 v[124:125], v[126:127], v[140:141]
	v_div_scale_f64 v[126:127], s[18:19], v[124:125], v[124:125], 1.0
	v_rcp_f64_e32 v[142:143], v[126:127]
	s_nop 0
	v_fma_f64 v[144:145], -v[126:127], v[142:143], 1.0
	v_fmac_f64_e32 v[142:143], v[142:143], v[144:145]
	v_fma_f64 v[144:145], -v[126:127], v[142:143], 1.0
	v_fmac_f64_e32 v[142:143], v[142:143], v[144:145]
	v_div_scale_f64 v[144:145], vcc, 1.0, v[124:125], 1.0
	v_mul_f64 v[146:147], v[144:145], v[142:143]
	v_fma_f64 v[126:127], -v[126:127], v[146:147], v[144:145]
	s_nop 1
	v_div_fmas_f64 v[126:127], v[126:127], v[142:143], v[146:147]
	v_div_fixup_f64 v[124:125], v[126:127], v[124:125], 1.0
	v_mul_f64 v[126:127], v[140:141], -v[124:125]
.LBB60_492:
	s_or_b64 exec, exec, s[16:17]
.LBB60_493:
	s_or_b64 exec, exec, s[0:1]
	v_cmp_ne_u32_e32 vcc, v137, v134
	s_and_saveexec_b64 s[0:1], vcc
	s_xor_b64 s[0:1], exec, s[0:1]
	s_cbranch_execz .LBB60_499
; %bb.494:
	v_cmp_eq_u32_e32 vcc, 23, v137
	s_and_saveexec_b64 s[16:17], vcc
	s_cbranch_execz .LBB60_498
; %bb.495:
	v_cmp_ne_u32_e32 vcc, 23, v134
	s_xor_b64 s[18:19], s[14:15], -1
	s_and_b64 s[22:23], s[18:19], vcc
	s_and_saveexec_b64 s[18:19], s[22:23]
	s_cbranch_execz .LBB60_497
; %bb.496:
	v_ashrrev_i32_e32 v135, 31, v134
	v_lshl_add_u64 v[140:141], v[134:135], 2, v[132:133]
	global_load_dword v135, v[140:141], off
	global_load_dword v137, v[132:133], off offset:92
	s_waitcnt vmcnt(1)
	global_store_dword v[132:133], v135, off offset:92
	s_waitcnt vmcnt(1)
	global_store_dword v[140:141], v137, off
.LBB60_497:
	s_or_b64 exec, exec, s[18:19]
	v_mov_b32_e32 v137, v134
	v_mov_b32_e32 v139, v134
.LBB60_498:
	s_or_b64 exec, exec, s[16:17]
.LBB60_499:
	s_andn2_saveexec_b64 s[0:1], s[0:1]
	s_cbranch_execz .LBB60_501
; %bb.500:
	v_mov_b32_e32 v137, 23
	s_waitcnt vmcnt(6)
	ds_write2_b64 v136, v[20:21], v[22:23] offset0:48 offset1:49
	s_waitcnt vmcnt(5)
	ds_write2_b64 v136, v[16:17], v[18:19] offset0:50 offset1:51
	;; [unrolled: 2-line block ×7, first 2 shown]
.LBB60_501:
	s_or_b64 exec, exec, s[0:1]
	v_cmp_lt_i32_e32 vcc, 23, v137
	s_waitcnt lgkmcnt(0)
	s_barrier
	s_and_saveexec_b64 s[0:1], vcc
	s_cbranch_execz .LBB60_503
; %bb.502:
	ds_read2_b64 v[140:143], v136 offset0:48 offset1:49
	v_mul_f64 v[134:135], v[124:125], v[26:27]
	v_fmac_f64_e32 v[134:135], v[126:127], v[24:25]
	v_mul_f64 v[26:27], v[126:127], v[26:27]
	v_fma_f64 v[24:25], v[124:125], v[24:25], -v[26:27]
	ds_read2_b64 v[124:127], v136 offset0:50 offset1:51
	s_waitcnt lgkmcnt(1)
	v_mul_f64 v[26:27], v[142:143], v[134:135]
	v_fma_f64 v[26:27], v[140:141], v[24:25], -v[26:27]
	v_mul_f64 v[140:141], v[140:141], v[134:135]
	v_fmac_f64_e32 v[140:141], v[142:143], v[24:25]
	s_waitcnt vmcnt(6)
	v_add_f64 v[22:23], v[22:23], -v[140:141]
	ds_read2_b64 v[140:143], v136 offset0:52 offset1:53
	v_add_f64 v[20:21], v[20:21], -v[26:27]
	s_waitcnt lgkmcnt(1)
	v_mul_f64 v[26:27], v[126:127], v[134:135]
	v_fma_f64 v[26:27], v[124:125], v[24:25], -v[26:27]
	v_mul_f64 v[124:125], v[124:125], v[134:135]
	v_fmac_f64_e32 v[124:125], v[126:127], v[24:25]
	s_waitcnt vmcnt(5)
	v_add_f64 v[16:17], v[16:17], -v[26:27]
	v_add_f64 v[18:19], v[18:19], -v[124:125]
	ds_read2_b64 v[124:127], v136 offset0:54 offset1:55
	s_waitcnt lgkmcnt(1)
	v_mul_f64 v[26:27], v[142:143], v[134:135]
	v_fma_f64 v[26:27], v[140:141], v[24:25], -v[26:27]
	v_mul_f64 v[140:141], v[140:141], v[134:135]
	v_fmac_f64_e32 v[140:141], v[142:143], v[24:25]
	s_waitcnt vmcnt(4)
	v_add_f64 v[14:15], v[14:15], -v[140:141]
	ds_read2_b64 v[140:143], v136 offset0:56 offset1:57
	v_add_f64 v[12:13], v[12:13], -v[26:27]
	s_waitcnt lgkmcnt(1)
	v_mul_f64 v[26:27], v[126:127], v[134:135]
	v_fma_f64 v[26:27], v[124:125], v[24:25], -v[26:27]
	v_mul_f64 v[124:125], v[124:125], v[134:135]
	v_fmac_f64_e32 v[124:125], v[126:127], v[24:25]
	s_waitcnt vmcnt(3)
	v_add_f64 v[8:9], v[8:9], -v[26:27]
	v_add_f64 v[10:11], v[10:11], -v[124:125]
	ds_read2_b64 v[124:127], v136 offset0:58 offset1:59
	s_waitcnt lgkmcnt(1)
	v_mul_f64 v[26:27], v[142:143], v[134:135]
	v_fma_f64 v[26:27], v[140:141], v[24:25], -v[26:27]
	v_mul_f64 v[140:141], v[140:141], v[134:135]
	v_fmac_f64_e32 v[140:141], v[142:143], v[24:25]
	s_waitcnt vmcnt(2)
	v_add_f64 v[6:7], v[6:7], -v[140:141]
	ds_read2_b64 v[140:143], v136 offset0:60 offset1:61
	v_add_f64 v[4:5], v[4:5], -v[26:27]
	s_waitcnt lgkmcnt(1)
	v_mul_f64 v[26:27], v[126:127], v[134:135]
	v_fma_f64 v[26:27], v[124:125], v[24:25], -v[26:27]
	v_mul_f64 v[124:125], v[124:125], v[134:135]
	v_fmac_f64_e32 v[124:125], v[126:127], v[24:25]
	s_waitcnt vmcnt(1)
	v_add_f64 v[0:1], v[0:1], -v[26:27]
	v_add_f64 v[2:3], v[2:3], -v[124:125]
	s_waitcnt lgkmcnt(0)
	v_mul_f64 v[26:27], v[142:143], v[134:135]
	v_mul_f64 v[124:125], v[140:141], v[134:135]
	v_fma_f64 v[26:27], v[140:141], v[24:25], -v[26:27]
	v_fmac_f64_e32 v[124:125], v[142:143], v[24:25]
	s_waitcnt vmcnt(0)
	v_add_f64 v[120:121], v[120:121], -v[26:27]
	v_add_f64 v[122:123], v[122:123], -v[124:125]
	v_mov_b64_e32 v[26:27], v[134:135]
.LBB60_503:
	s_or_b64 exec, exec, s[0:1]
	v_lshl_add_u32 v124, v137, 4, v136
	s_barrier
	s_waitcnt vmcnt(6)
	ds_write2_b64 v124, v[20:21], v[22:23] offset1:1
	s_waitcnt lgkmcnt(0)
	s_barrier
	ds_read2_b64 v[124:127], v136 offset0:48 offset1:49
	s_cmp_lt_i32 s20, 26
	v_mov_b32_e32 v134, 24
	s_cbranch_scc1 .LBB60_506
; %bb.504:
	v_add_u32_e32 v135, 0x190, v136
	s_mov_b32 s16, 25
	v_mov_b32_e32 v134, 24
.LBB60_505:                             ; =>This Inner Loop Header: Depth=1
	ds_read2_b64 v[140:143], v135 offset1:1
	s_waitcnt lgkmcnt(1)
	v_xor_b32_e32 v145, 0x80000000, v125
	v_xor_b32_e32 v147, 0x80000000, v127
	v_cmp_gt_f64_e32 vcc, 0, v[126:127]
	v_cmp_gt_f64_e64 s[0:1], 0, v[124:125]
	v_mov_b32_e32 v144, v124
	v_mov_b32_e32 v146, v126
	v_cndmask_b32_e64 v145, v125, v145, s[0:1]
	v_cndmask_b32_e32 v147, v127, v147, vcc
	v_add_f64 v[144:145], v[144:145], v[146:147]
	s_waitcnt lgkmcnt(0)
	v_xor_b32_e32 v147, 0x80000000, v141
	v_xor_b32_e32 v149, 0x80000000, v143
	v_cmp_gt_f64_e32 vcc, 0, v[142:143]
	v_cmp_gt_f64_e64 s[0:1], 0, v[140:141]
	v_mov_b32_e32 v146, v140
	v_mov_b32_e32 v148, v142
	v_cndmask_b32_e64 v147, v141, v147, s[0:1]
	v_cndmask_b32_e32 v149, v143, v149, vcc
	v_add_f64 v[146:147], v[146:147], v[148:149]
	v_mov_b32_e32 v150, s16
	s_add_i32 s16, s16, 1
	v_cmp_lt_f64_e32 vcc, v[144:145], v[146:147]
	v_add_u32_e32 v135, 16, v135
	s_cmp_lg_u32 s20, s16
	v_cndmask_b32_e32 v125, v125, v141, vcc
	v_cndmask_b32_e32 v124, v124, v140, vcc
	;; [unrolled: 1-line block ×5, first 2 shown]
	s_cbranch_scc1 .LBB60_505
.LBB60_506:
	s_waitcnt lgkmcnt(0)
	v_cmp_eq_f64_e32 vcc, 0, v[124:125]
	v_cmp_eq_f64_e64 s[0:1], 0, v[126:127]
	s_and_b64 s[0:1], vcc, s[0:1]
	s_and_saveexec_b64 s[16:17], s[0:1]
	s_xor_b64 s[0:1], exec, s[16:17]
; %bb.507:
	v_cmp_ne_u32_e32 vcc, 0, v138
	s_nop 1
	v_cndmask_b32_e32 v138, 25, v138, vcc
; %bb.508:
	s_andn2_saveexec_b64 s[0:1], s[0:1]
	s_cbranch_execz .LBB60_514
; %bb.509:
	v_cmp_ngt_f64_e64 s[16:17], |v[124:125]|, |v[126:127]|
	s_and_saveexec_b64 s[18:19], s[16:17]
	s_xor_b64 s[16:17], exec, s[18:19]
	s_cbranch_execz .LBB60_511
; %bb.510:
	v_div_scale_f64 v[140:141], s[18:19], v[126:127], v[126:127], v[124:125]
	v_rcp_f64_e32 v[142:143], v[140:141]
	v_div_scale_f64 v[144:145], vcc, v[124:125], v[126:127], v[124:125]
	v_fma_f64 v[146:147], -v[140:141], v[142:143], 1.0
	v_fmac_f64_e32 v[142:143], v[142:143], v[146:147]
	v_fma_f64 v[146:147], -v[140:141], v[142:143], 1.0
	v_fmac_f64_e32 v[142:143], v[142:143], v[146:147]
	v_mul_f64 v[146:147], v[144:145], v[142:143]
	v_fma_f64 v[140:141], -v[140:141], v[146:147], v[144:145]
	v_div_fmas_f64 v[140:141], v[140:141], v[142:143], v[146:147]
	v_div_fixup_f64 v[140:141], v[140:141], v[126:127], v[124:125]
	v_fmac_f64_e32 v[126:127], v[124:125], v[140:141]
	v_div_scale_f64 v[124:125], s[18:19], v[126:127], v[126:127], 1.0
	v_rcp_f64_e32 v[142:143], v[124:125]
	s_nop 0
	v_fma_f64 v[144:145], -v[124:125], v[142:143], 1.0
	v_fmac_f64_e32 v[142:143], v[142:143], v[144:145]
	v_fma_f64 v[144:145], -v[124:125], v[142:143], 1.0
	v_fmac_f64_e32 v[142:143], v[142:143], v[144:145]
	v_div_scale_f64 v[144:145], vcc, 1.0, v[126:127], 1.0
	v_mul_f64 v[146:147], v[144:145], v[142:143]
	v_fma_f64 v[124:125], -v[124:125], v[146:147], v[144:145]
	s_nop 1
	v_div_fmas_f64 v[124:125], v[124:125], v[142:143], v[146:147]
	v_div_fixup_f64 v[126:127], v[124:125], v[126:127], 1.0
	v_mul_f64 v[124:125], v[140:141], v[126:127]
	v_xor_b32_e32 v127, 0x80000000, v127
.LBB60_511:
	s_andn2_saveexec_b64 s[16:17], s[16:17]
	s_cbranch_execz .LBB60_513
; %bb.512:
	v_div_scale_f64 v[140:141], s[18:19], v[124:125], v[124:125], v[126:127]
	v_rcp_f64_e32 v[142:143], v[140:141]
	v_div_scale_f64 v[144:145], vcc, v[126:127], v[124:125], v[126:127]
	v_fma_f64 v[146:147], -v[140:141], v[142:143], 1.0
	v_fmac_f64_e32 v[142:143], v[142:143], v[146:147]
	v_fma_f64 v[146:147], -v[140:141], v[142:143], 1.0
	v_fmac_f64_e32 v[142:143], v[142:143], v[146:147]
	v_mul_f64 v[146:147], v[144:145], v[142:143]
	v_fma_f64 v[140:141], -v[140:141], v[146:147], v[144:145]
	v_div_fmas_f64 v[140:141], v[140:141], v[142:143], v[146:147]
	v_div_fixup_f64 v[140:141], v[140:141], v[124:125], v[126:127]
	v_fmac_f64_e32 v[124:125], v[126:127], v[140:141]
	v_div_scale_f64 v[126:127], s[18:19], v[124:125], v[124:125], 1.0
	v_rcp_f64_e32 v[142:143], v[126:127]
	s_nop 0
	v_fma_f64 v[144:145], -v[126:127], v[142:143], 1.0
	v_fmac_f64_e32 v[142:143], v[142:143], v[144:145]
	v_fma_f64 v[144:145], -v[126:127], v[142:143], 1.0
	v_fmac_f64_e32 v[142:143], v[142:143], v[144:145]
	v_div_scale_f64 v[144:145], vcc, 1.0, v[124:125], 1.0
	v_mul_f64 v[146:147], v[144:145], v[142:143]
	v_fma_f64 v[126:127], -v[126:127], v[146:147], v[144:145]
	s_nop 1
	v_div_fmas_f64 v[126:127], v[126:127], v[142:143], v[146:147]
	v_div_fixup_f64 v[124:125], v[126:127], v[124:125], 1.0
	v_mul_f64 v[126:127], v[140:141], -v[124:125]
.LBB60_513:
	s_or_b64 exec, exec, s[16:17]
.LBB60_514:
	s_or_b64 exec, exec, s[0:1]
	v_cmp_ne_u32_e32 vcc, v137, v134
	s_and_saveexec_b64 s[0:1], vcc
	s_xor_b64 s[0:1], exec, s[0:1]
	s_cbranch_execz .LBB60_520
; %bb.515:
	v_cmp_eq_u32_e32 vcc, 24, v137
	s_and_saveexec_b64 s[16:17], vcc
	s_cbranch_execz .LBB60_519
; %bb.516:
	v_cmp_ne_u32_e32 vcc, 24, v134
	s_xor_b64 s[18:19], s[14:15], -1
	s_and_b64 s[22:23], s[18:19], vcc
	s_and_saveexec_b64 s[18:19], s[22:23]
	s_cbranch_execz .LBB60_518
; %bb.517:
	v_ashrrev_i32_e32 v135, 31, v134
	v_lshl_add_u64 v[140:141], v[134:135], 2, v[132:133]
	global_load_dword v135, v[140:141], off
	global_load_dword v137, v[132:133], off offset:96
	s_waitcnt vmcnt(1)
	global_store_dword v[132:133], v135, off offset:96
	s_waitcnt vmcnt(1)
	global_store_dword v[140:141], v137, off
.LBB60_518:
	s_or_b64 exec, exec, s[18:19]
	v_mov_b32_e32 v137, v134
	v_mov_b32_e32 v139, v134
.LBB60_519:
	s_or_b64 exec, exec, s[16:17]
.LBB60_520:
	s_andn2_saveexec_b64 s[0:1], s[0:1]
	s_cbranch_execz .LBB60_522
; %bb.521:
	v_mov_b32_e32 v137, 24
	s_waitcnt vmcnt(5)
	ds_write2_b64 v136, v[16:17], v[18:19] offset0:50 offset1:51
	s_waitcnt vmcnt(4)
	ds_write2_b64 v136, v[12:13], v[14:15] offset0:52 offset1:53
	;; [unrolled: 2-line block ×6, first 2 shown]
.LBB60_522:
	s_or_b64 exec, exec, s[0:1]
	v_cmp_lt_i32_e32 vcc, 24, v137
	s_waitcnt lgkmcnt(0)
	s_barrier
	s_and_saveexec_b64 s[0:1], vcc
	s_cbranch_execz .LBB60_524
; %bb.523:
	ds_read2_b64 v[140:143], v136 offset0:50 offset1:51
	v_mul_f64 v[134:135], v[124:125], v[22:23]
	v_mul_f64 v[22:23], v[126:127], v[22:23]
	v_fmac_f64_e32 v[134:135], v[126:127], v[20:21]
	v_fma_f64 v[20:21], v[124:125], v[20:21], -v[22:23]
	ds_read2_b64 v[124:127], v136 offset0:52 offset1:53
	s_waitcnt lgkmcnt(1)
	v_mul_f64 v[22:23], v[142:143], v[134:135]
	v_fma_f64 v[22:23], v[140:141], v[20:21], -v[22:23]
	v_mul_f64 v[140:141], v[140:141], v[134:135]
	v_fmac_f64_e32 v[140:141], v[142:143], v[20:21]
	s_waitcnt vmcnt(5)
	v_add_f64 v[16:17], v[16:17], -v[22:23]
	s_waitcnt lgkmcnt(0)
	v_mul_f64 v[22:23], v[126:127], v[134:135]
	v_add_f64 v[18:19], v[18:19], -v[140:141]
	v_fma_f64 v[22:23], v[124:125], v[20:21], -v[22:23]
	v_mul_f64 v[124:125], v[124:125], v[134:135]
	ds_read2_b64 v[140:143], v136 offset0:54 offset1:55
	v_fmac_f64_e32 v[124:125], v[126:127], v[20:21]
	s_waitcnt vmcnt(4)
	v_add_f64 v[14:15], v[14:15], -v[124:125]
	ds_read2_b64 v[124:127], v136 offset0:56 offset1:57
	v_add_f64 v[12:13], v[12:13], -v[22:23]
	s_waitcnt lgkmcnt(1)
	v_mul_f64 v[22:23], v[142:143], v[134:135]
	v_fma_f64 v[22:23], v[140:141], v[20:21], -v[22:23]
	v_mul_f64 v[140:141], v[140:141], v[134:135]
	v_fmac_f64_e32 v[140:141], v[142:143], v[20:21]
	s_waitcnt vmcnt(3)
	v_add_f64 v[8:9], v[8:9], -v[22:23]
	s_waitcnt lgkmcnt(0)
	v_mul_f64 v[22:23], v[126:127], v[134:135]
	v_add_f64 v[10:11], v[10:11], -v[140:141]
	v_fma_f64 v[22:23], v[124:125], v[20:21], -v[22:23]
	v_mul_f64 v[124:125], v[124:125], v[134:135]
	ds_read2_b64 v[140:143], v136 offset0:58 offset1:59
	v_fmac_f64_e32 v[124:125], v[126:127], v[20:21]
	s_waitcnt vmcnt(2)
	v_add_f64 v[6:7], v[6:7], -v[124:125]
	ds_read2_b64 v[124:127], v136 offset0:60 offset1:61
	v_add_f64 v[4:5], v[4:5], -v[22:23]
	s_waitcnt lgkmcnt(1)
	v_mul_f64 v[22:23], v[142:143], v[134:135]
	v_fma_f64 v[22:23], v[140:141], v[20:21], -v[22:23]
	s_waitcnt vmcnt(1)
	v_add_f64 v[0:1], v[0:1], -v[22:23]
	s_waitcnt lgkmcnt(0)
	v_mul_f64 v[22:23], v[126:127], v[134:135]
	v_mul_f64 v[140:141], v[140:141], v[134:135]
	v_fma_f64 v[22:23], v[124:125], v[20:21], -v[22:23]
	v_mul_f64 v[124:125], v[124:125], v[134:135]
	v_fmac_f64_e32 v[140:141], v[142:143], v[20:21]
	v_fmac_f64_e32 v[124:125], v[126:127], v[20:21]
	v_add_f64 v[2:3], v[2:3], -v[140:141]
	s_waitcnt vmcnt(0)
	v_add_f64 v[120:121], v[120:121], -v[22:23]
	v_add_f64 v[122:123], v[122:123], -v[124:125]
	v_mov_b64_e32 v[22:23], v[134:135]
.LBB60_524:
	s_or_b64 exec, exec, s[0:1]
	v_lshl_add_u32 v124, v137, 4, v136
	s_barrier
	s_waitcnt vmcnt(5)
	ds_write2_b64 v124, v[16:17], v[18:19] offset1:1
	s_waitcnt lgkmcnt(0)
	s_barrier
	ds_read2_b64 v[124:127], v136 offset0:50 offset1:51
	s_cmp_lt_i32 s20, 27
	v_mov_b32_e32 v134, 25
	s_cbranch_scc1 .LBB60_527
; %bb.525:
	v_add_u32_e32 v135, 0x1a0, v136
	s_mov_b32 s16, 26
	v_mov_b32_e32 v134, 25
.LBB60_526:                             ; =>This Inner Loop Header: Depth=1
	ds_read2_b64 v[140:143], v135 offset1:1
	s_waitcnt lgkmcnt(1)
	v_xor_b32_e32 v145, 0x80000000, v125
	v_xor_b32_e32 v147, 0x80000000, v127
	v_cmp_gt_f64_e32 vcc, 0, v[126:127]
	v_cmp_gt_f64_e64 s[0:1], 0, v[124:125]
	v_mov_b32_e32 v144, v124
	v_mov_b32_e32 v146, v126
	v_cndmask_b32_e64 v145, v125, v145, s[0:1]
	v_cndmask_b32_e32 v147, v127, v147, vcc
	v_add_f64 v[144:145], v[144:145], v[146:147]
	s_waitcnt lgkmcnt(0)
	v_xor_b32_e32 v147, 0x80000000, v141
	v_xor_b32_e32 v149, 0x80000000, v143
	v_cmp_gt_f64_e32 vcc, 0, v[142:143]
	v_cmp_gt_f64_e64 s[0:1], 0, v[140:141]
	v_mov_b32_e32 v146, v140
	v_mov_b32_e32 v148, v142
	v_cndmask_b32_e64 v147, v141, v147, s[0:1]
	v_cndmask_b32_e32 v149, v143, v149, vcc
	v_add_f64 v[146:147], v[146:147], v[148:149]
	v_mov_b32_e32 v150, s16
	s_add_i32 s16, s16, 1
	v_cmp_lt_f64_e32 vcc, v[144:145], v[146:147]
	v_add_u32_e32 v135, 16, v135
	s_cmp_lg_u32 s20, s16
	v_cndmask_b32_e32 v125, v125, v141, vcc
	v_cndmask_b32_e32 v124, v124, v140, vcc
	;; [unrolled: 1-line block ×5, first 2 shown]
	s_cbranch_scc1 .LBB60_526
.LBB60_527:
	s_waitcnt lgkmcnt(0)
	v_cmp_eq_f64_e32 vcc, 0, v[124:125]
	v_cmp_eq_f64_e64 s[0:1], 0, v[126:127]
	s_and_b64 s[0:1], vcc, s[0:1]
	s_and_saveexec_b64 s[16:17], s[0:1]
	s_xor_b64 s[0:1], exec, s[16:17]
; %bb.528:
	v_cmp_ne_u32_e32 vcc, 0, v138
	s_nop 1
	v_cndmask_b32_e32 v138, 26, v138, vcc
; %bb.529:
	s_andn2_saveexec_b64 s[0:1], s[0:1]
	s_cbranch_execz .LBB60_535
; %bb.530:
	v_cmp_ngt_f64_e64 s[16:17], |v[124:125]|, |v[126:127]|
	s_and_saveexec_b64 s[18:19], s[16:17]
	s_xor_b64 s[16:17], exec, s[18:19]
	s_cbranch_execz .LBB60_532
; %bb.531:
	v_div_scale_f64 v[140:141], s[18:19], v[126:127], v[126:127], v[124:125]
	v_rcp_f64_e32 v[142:143], v[140:141]
	v_div_scale_f64 v[144:145], vcc, v[124:125], v[126:127], v[124:125]
	v_fma_f64 v[146:147], -v[140:141], v[142:143], 1.0
	v_fmac_f64_e32 v[142:143], v[142:143], v[146:147]
	v_fma_f64 v[146:147], -v[140:141], v[142:143], 1.0
	v_fmac_f64_e32 v[142:143], v[142:143], v[146:147]
	v_mul_f64 v[146:147], v[144:145], v[142:143]
	v_fma_f64 v[140:141], -v[140:141], v[146:147], v[144:145]
	v_div_fmas_f64 v[140:141], v[140:141], v[142:143], v[146:147]
	v_div_fixup_f64 v[140:141], v[140:141], v[126:127], v[124:125]
	v_fmac_f64_e32 v[126:127], v[124:125], v[140:141]
	v_div_scale_f64 v[124:125], s[18:19], v[126:127], v[126:127], 1.0
	v_rcp_f64_e32 v[142:143], v[124:125]
	s_nop 0
	v_fma_f64 v[144:145], -v[124:125], v[142:143], 1.0
	v_fmac_f64_e32 v[142:143], v[142:143], v[144:145]
	v_fma_f64 v[144:145], -v[124:125], v[142:143], 1.0
	v_fmac_f64_e32 v[142:143], v[142:143], v[144:145]
	v_div_scale_f64 v[144:145], vcc, 1.0, v[126:127], 1.0
	v_mul_f64 v[146:147], v[144:145], v[142:143]
	v_fma_f64 v[124:125], -v[124:125], v[146:147], v[144:145]
	s_nop 1
	v_div_fmas_f64 v[124:125], v[124:125], v[142:143], v[146:147]
	v_div_fixup_f64 v[126:127], v[124:125], v[126:127], 1.0
	v_mul_f64 v[124:125], v[140:141], v[126:127]
	v_xor_b32_e32 v127, 0x80000000, v127
.LBB60_532:
	s_andn2_saveexec_b64 s[16:17], s[16:17]
	s_cbranch_execz .LBB60_534
; %bb.533:
	v_div_scale_f64 v[140:141], s[18:19], v[124:125], v[124:125], v[126:127]
	v_rcp_f64_e32 v[142:143], v[140:141]
	v_div_scale_f64 v[144:145], vcc, v[126:127], v[124:125], v[126:127]
	v_fma_f64 v[146:147], -v[140:141], v[142:143], 1.0
	v_fmac_f64_e32 v[142:143], v[142:143], v[146:147]
	v_fma_f64 v[146:147], -v[140:141], v[142:143], 1.0
	v_fmac_f64_e32 v[142:143], v[142:143], v[146:147]
	v_mul_f64 v[146:147], v[144:145], v[142:143]
	v_fma_f64 v[140:141], -v[140:141], v[146:147], v[144:145]
	v_div_fmas_f64 v[140:141], v[140:141], v[142:143], v[146:147]
	v_div_fixup_f64 v[140:141], v[140:141], v[124:125], v[126:127]
	v_fmac_f64_e32 v[124:125], v[126:127], v[140:141]
	v_div_scale_f64 v[126:127], s[18:19], v[124:125], v[124:125], 1.0
	v_rcp_f64_e32 v[142:143], v[126:127]
	s_nop 0
	v_fma_f64 v[144:145], -v[126:127], v[142:143], 1.0
	v_fmac_f64_e32 v[142:143], v[142:143], v[144:145]
	v_fma_f64 v[144:145], -v[126:127], v[142:143], 1.0
	v_fmac_f64_e32 v[142:143], v[142:143], v[144:145]
	v_div_scale_f64 v[144:145], vcc, 1.0, v[124:125], 1.0
	v_mul_f64 v[146:147], v[144:145], v[142:143]
	v_fma_f64 v[126:127], -v[126:127], v[146:147], v[144:145]
	s_nop 1
	v_div_fmas_f64 v[126:127], v[126:127], v[142:143], v[146:147]
	v_div_fixup_f64 v[124:125], v[126:127], v[124:125], 1.0
	v_mul_f64 v[126:127], v[140:141], -v[124:125]
.LBB60_534:
	s_or_b64 exec, exec, s[16:17]
.LBB60_535:
	s_or_b64 exec, exec, s[0:1]
	v_cmp_ne_u32_e32 vcc, v137, v134
	s_and_saveexec_b64 s[0:1], vcc
	s_xor_b64 s[0:1], exec, s[0:1]
	s_cbranch_execz .LBB60_541
; %bb.536:
	v_cmp_eq_u32_e32 vcc, 25, v137
	s_and_saveexec_b64 s[16:17], vcc
	s_cbranch_execz .LBB60_540
; %bb.537:
	v_cmp_ne_u32_e32 vcc, 25, v134
	s_xor_b64 s[18:19], s[14:15], -1
	s_and_b64 s[22:23], s[18:19], vcc
	s_and_saveexec_b64 s[18:19], s[22:23]
	s_cbranch_execz .LBB60_539
; %bb.538:
	v_ashrrev_i32_e32 v135, 31, v134
	v_lshl_add_u64 v[140:141], v[134:135], 2, v[132:133]
	global_load_dword v135, v[140:141], off
	global_load_dword v137, v[132:133], off offset:100
	s_waitcnt vmcnt(1)
	global_store_dword v[132:133], v135, off offset:100
	s_waitcnt vmcnt(1)
	global_store_dword v[140:141], v137, off
.LBB60_539:
	s_or_b64 exec, exec, s[18:19]
	v_mov_b32_e32 v137, v134
	v_mov_b32_e32 v139, v134
.LBB60_540:
	s_or_b64 exec, exec, s[16:17]
.LBB60_541:
	s_andn2_saveexec_b64 s[0:1], s[0:1]
	s_cbranch_execz .LBB60_543
; %bb.542:
	v_mov_b32_e32 v137, 25
	s_waitcnt vmcnt(4)
	ds_write2_b64 v136, v[12:13], v[14:15] offset0:52 offset1:53
	s_waitcnt vmcnt(3)
	ds_write2_b64 v136, v[8:9], v[10:11] offset0:54 offset1:55
	;; [unrolled: 2-line block ×5, first 2 shown]
.LBB60_543:
	s_or_b64 exec, exec, s[0:1]
	v_cmp_lt_i32_e32 vcc, 25, v137
	s_waitcnt lgkmcnt(0)
	s_barrier
	s_and_saveexec_b64 s[0:1], vcc
	s_cbranch_execz .LBB60_545
; %bb.544:
	ds_read2_b64 v[140:143], v136 offset0:52 offset1:53
	v_mul_f64 v[134:135], v[124:125], v[18:19]
	v_fmac_f64_e32 v[134:135], v[126:127], v[16:17]
	v_mul_f64 v[18:19], v[126:127], v[18:19]
	v_fma_f64 v[16:17], v[124:125], v[16:17], -v[18:19]
	ds_read2_b64 v[124:127], v136 offset0:54 offset1:55
	s_waitcnt lgkmcnt(1)
	v_mul_f64 v[18:19], v[142:143], v[134:135]
	v_fma_f64 v[18:19], v[140:141], v[16:17], -v[18:19]
	v_mul_f64 v[140:141], v[140:141], v[134:135]
	v_fmac_f64_e32 v[140:141], v[142:143], v[16:17]
	s_waitcnt vmcnt(4)
	v_add_f64 v[14:15], v[14:15], -v[140:141]
	ds_read2_b64 v[140:143], v136 offset0:56 offset1:57
	v_add_f64 v[12:13], v[12:13], -v[18:19]
	s_waitcnt lgkmcnt(1)
	v_mul_f64 v[18:19], v[126:127], v[134:135]
	v_fma_f64 v[18:19], v[124:125], v[16:17], -v[18:19]
	v_mul_f64 v[124:125], v[124:125], v[134:135]
	v_fmac_f64_e32 v[124:125], v[126:127], v[16:17]
	s_waitcnt vmcnt(3)
	v_add_f64 v[8:9], v[8:9], -v[18:19]
	v_add_f64 v[10:11], v[10:11], -v[124:125]
	ds_read2_b64 v[124:127], v136 offset0:58 offset1:59
	s_waitcnt lgkmcnt(1)
	v_mul_f64 v[18:19], v[142:143], v[134:135]
	v_fma_f64 v[18:19], v[140:141], v[16:17], -v[18:19]
	v_mul_f64 v[140:141], v[140:141], v[134:135]
	v_fmac_f64_e32 v[140:141], v[142:143], v[16:17]
	s_waitcnt vmcnt(2)
	v_add_f64 v[6:7], v[6:7], -v[140:141]
	ds_read2_b64 v[140:143], v136 offset0:60 offset1:61
	v_add_f64 v[4:5], v[4:5], -v[18:19]
	s_waitcnt lgkmcnt(1)
	v_mul_f64 v[18:19], v[126:127], v[134:135]
	v_fma_f64 v[18:19], v[124:125], v[16:17], -v[18:19]
	v_mul_f64 v[124:125], v[124:125], v[134:135]
	v_fmac_f64_e32 v[124:125], v[126:127], v[16:17]
	s_waitcnt vmcnt(1)
	v_add_f64 v[0:1], v[0:1], -v[18:19]
	v_add_f64 v[2:3], v[2:3], -v[124:125]
	s_waitcnt lgkmcnt(0)
	v_mul_f64 v[18:19], v[142:143], v[134:135]
	v_mul_f64 v[124:125], v[140:141], v[134:135]
	v_fma_f64 v[18:19], v[140:141], v[16:17], -v[18:19]
	v_fmac_f64_e32 v[124:125], v[142:143], v[16:17]
	s_waitcnt vmcnt(0)
	v_add_f64 v[120:121], v[120:121], -v[18:19]
	v_add_f64 v[122:123], v[122:123], -v[124:125]
	v_mov_b64_e32 v[18:19], v[134:135]
.LBB60_545:
	s_or_b64 exec, exec, s[0:1]
	v_lshl_add_u32 v124, v137, 4, v136
	s_barrier
	s_waitcnt vmcnt(4)
	ds_write2_b64 v124, v[12:13], v[14:15] offset1:1
	s_waitcnt lgkmcnt(0)
	s_barrier
	ds_read2_b64 v[124:127], v136 offset0:52 offset1:53
	s_cmp_lt_i32 s20, 28
	v_mov_b32_e32 v134, 26
	s_cbranch_scc1 .LBB60_548
; %bb.546:
	v_add_u32_e32 v135, 0x1b0, v136
	s_mov_b32 s16, 27
	v_mov_b32_e32 v134, 26
.LBB60_547:                             ; =>This Inner Loop Header: Depth=1
	ds_read2_b64 v[140:143], v135 offset1:1
	s_waitcnt lgkmcnt(1)
	v_xor_b32_e32 v145, 0x80000000, v125
	v_xor_b32_e32 v147, 0x80000000, v127
	v_cmp_gt_f64_e32 vcc, 0, v[126:127]
	v_cmp_gt_f64_e64 s[0:1], 0, v[124:125]
	v_mov_b32_e32 v144, v124
	v_mov_b32_e32 v146, v126
	v_cndmask_b32_e64 v145, v125, v145, s[0:1]
	v_cndmask_b32_e32 v147, v127, v147, vcc
	v_add_f64 v[144:145], v[144:145], v[146:147]
	s_waitcnt lgkmcnt(0)
	v_xor_b32_e32 v147, 0x80000000, v141
	v_xor_b32_e32 v149, 0x80000000, v143
	v_cmp_gt_f64_e32 vcc, 0, v[142:143]
	v_cmp_gt_f64_e64 s[0:1], 0, v[140:141]
	v_mov_b32_e32 v146, v140
	v_mov_b32_e32 v148, v142
	v_cndmask_b32_e64 v147, v141, v147, s[0:1]
	v_cndmask_b32_e32 v149, v143, v149, vcc
	v_add_f64 v[146:147], v[146:147], v[148:149]
	v_mov_b32_e32 v150, s16
	s_add_i32 s16, s16, 1
	v_cmp_lt_f64_e32 vcc, v[144:145], v[146:147]
	v_add_u32_e32 v135, 16, v135
	s_cmp_lg_u32 s20, s16
	v_cndmask_b32_e32 v125, v125, v141, vcc
	v_cndmask_b32_e32 v124, v124, v140, vcc
	;; [unrolled: 1-line block ×5, first 2 shown]
	s_cbranch_scc1 .LBB60_547
.LBB60_548:
	s_waitcnt lgkmcnt(0)
	v_cmp_eq_f64_e32 vcc, 0, v[124:125]
	v_cmp_eq_f64_e64 s[0:1], 0, v[126:127]
	s_and_b64 s[0:1], vcc, s[0:1]
	s_and_saveexec_b64 s[16:17], s[0:1]
	s_xor_b64 s[0:1], exec, s[16:17]
; %bb.549:
	v_cmp_ne_u32_e32 vcc, 0, v138
	s_nop 1
	v_cndmask_b32_e32 v138, 27, v138, vcc
; %bb.550:
	s_andn2_saveexec_b64 s[0:1], s[0:1]
	s_cbranch_execz .LBB60_556
; %bb.551:
	v_cmp_ngt_f64_e64 s[16:17], |v[124:125]|, |v[126:127]|
	s_and_saveexec_b64 s[18:19], s[16:17]
	s_xor_b64 s[16:17], exec, s[18:19]
	s_cbranch_execz .LBB60_553
; %bb.552:
	v_div_scale_f64 v[140:141], s[18:19], v[126:127], v[126:127], v[124:125]
	v_rcp_f64_e32 v[142:143], v[140:141]
	v_div_scale_f64 v[144:145], vcc, v[124:125], v[126:127], v[124:125]
	v_fma_f64 v[146:147], -v[140:141], v[142:143], 1.0
	v_fmac_f64_e32 v[142:143], v[142:143], v[146:147]
	v_fma_f64 v[146:147], -v[140:141], v[142:143], 1.0
	v_fmac_f64_e32 v[142:143], v[142:143], v[146:147]
	v_mul_f64 v[146:147], v[144:145], v[142:143]
	v_fma_f64 v[140:141], -v[140:141], v[146:147], v[144:145]
	v_div_fmas_f64 v[140:141], v[140:141], v[142:143], v[146:147]
	v_div_fixup_f64 v[140:141], v[140:141], v[126:127], v[124:125]
	v_fmac_f64_e32 v[126:127], v[124:125], v[140:141]
	v_div_scale_f64 v[124:125], s[18:19], v[126:127], v[126:127], 1.0
	v_rcp_f64_e32 v[142:143], v[124:125]
	s_nop 0
	v_fma_f64 v[144:145], -v[124:125], v[142:143], 1.0
	v_fmac_f64_e32 v[142:143], v[142:143], v[144:145]
	v_fma_f64 v[144:145], -v[124:125], v[142:143], 1.0
	v_fmac_f64_e32 v[142:143], v[142:143], v[144:145]
	v_div_scale_f64 v[144:145], vcc, 1.0, v[126:127], 1.0
	v_mul_f64 v[146:147], v[144:145], v[142:143]
	v_fma_f64 v[124:125], -v[124:125], v[146:147], v[144:145]
	s_nop 1
	v_div_fmas_f64 v[124:125], v[124:125], v[142:143], v[146:147]
	v_div_fixup_f64 v[126:127], v[124:125], v[126:127], 1.0
	v_mul_f64 v[124:125], v[140:141], v[126:127]
	v_xor_b32_e32 v127, 0x80000000, v127
.LBB60_553:
	s_andn2_saveexec_b64 s[16:17], s[16:17]
	s_cbranch_execz .LBB60_555
; %bb.554:
	v_div_scale_f64 v[140:141], s[18:19], v[124:125], v[124:125], v[126:127]
	v_rcp_f64_e32 v[142:143], v[140:141]
	v_div_scale_f64 v[144:145], vcc, v[126:127], v[124:125], v[126:127]
	v_fma_f64 v[146:147], -v[140:141], v[142:143], 1.0
	v_fmac_f64_e32 v[142:143], v[142:143], v[146:147]
	v_fma_f64 v[146:147], -v[140:141], v[142:143], 1.0
	v_fmac_f64_e32 v[142:143], v[142:143], v[146:147]
	v_mul_f64 v[146:147], v[144:145], v[142:143]
	v_fma_f64 v[140:141], -v[140:141], v[146:147], v[144:145]
	v_div_fmas_f64 v[140:141], v[140:141], v[142:143], v[146:147]
	v_div_fixup_f64 v[140:141], v[140:141], v[124:125], v[126:127]
	v_fmac_f64_e32 v[124:125], v[126:127], v[140:141]
	v_div_scale_f64 v[126:127], s[18:19], v[124:125], v[124:125], 1.0
	v_rcp_f64_e32 v[142:143], v[126:127]
	s_nop 0
	v_fma_f64 v[144:145], -v[126:127], v[142:143], 1.0
	v_fmac_f64_e32 v[142:143], v[142:143], v[144:145]
	v_fma_f64 v[144:145], -v[126:127], v[142:143], 1.0
	v_fmac_f64_e32 v[142:143], v[142:143], v[144:145]
	v_div_scale_f64 v[144:145], vcc, 1.0, v[124:125], 1.0
	v_mul_f64 v[146:147], v[144:145], v[142:143]
	v_fma_f64 v[126:127], -v[126:127], v[146:147], v[144:145]
	s_nop 1
	v_div_fmas_f64 v[126:127], v[126:127], v[142:143], v[146:147]
	v_div_fixup_f64 v[124:125], v[126:127], v[124:125], 1.0
	v_mul_f64 v[126:127], v[140:141], -v[124:125]
.LBB60_555:
	s_or_b64 exec, exec, s[16:17]
.LBB60_556:
	s_or_b64 exec, exec, s[0:1]
	v_cmp_ne_u32_e32 vcc, v137, v134
	s_and_saveexec_b64 s[0:1], vcc
	s_xor_b64 s[0:1], exec, s[0:1]
	s_cbranch_execz .LBB60_562
; %bb.557:
	v_cmp_eq_u32_e32 vcc, 26, v137
	s_and_saveexec_b64 s[16:17], vcc
	s_cbranch_execz .LBB60_561
; %bb.558:
	v_cmp_ne_u32_e32 vcc, 26, v134
	s_xor_b64 s[18:19], s[14:15], -1
	s_and_b64 s[22:23], s[18:19], vcc
	s_and_saveexec_b64 s[18:19], s[22:23]
	s_cbranch_execz .LBB60_560
; %bb.559:
	v_ashrrev_i32_e32 v135, 31, v134
	v_lshl_add_u64 v[140:141], v[134:135], 2, v[132:133]
	global_load_dword v135, v[140:141], off
	global_load_dword v137, v[132:133], off offset:104
	s_waitcnt vmcnt(1)
	global_store_dword v[132:133], v135, off offset:104
	s_waitcnt vmcnt(1)
	global_store_dword v[140:141], v137, off
.LBB60_560:
	s_or_b64 exec, exec, s[18:19]
	v_mov_b32_e32 v137, v134
	v_mov_b32_e32 v139, v134
.LBB60_561:
	s_or_b64 exec, exec, s[16:17]
.LBB60_562:
	s_andn2_saveexec_b64 s[0:1], s[0:1]
	s_cbranch_execz .LBB60_564
; %bb.563:
	v_mov_b32_e32 v137, 26
	s_waitcnt vmcnt(3)
	ds_write2_b64 v136, v[8:9], v[10:11] offset0:54 offset1:55
	s_waitcnt vmcnt(2)
	ds_write2_b64 v136, v[4:5], v[6:7] offset0:56 offset1:57
	;; [unrolled: 2-line block ×4, first 2 shown]
.LBB60_564:
	s_or_b64 exec, exec, s[0:1]
	v_cmp_lt_i32_e32 vcc, 26, v137
	s_waitcnt lgkmcnt(0)
	s_barrier
	s_and_saveexec_b64 s[0:1], vcc
	s_cbranch_execz .LBB60_566
; %bb.565:
	ds_read2_b64 v[140:143], v136 offset0:54 offset1:55
	v_mul_f64 v[134:135], v[124:125], v[14:15]
	v_mul_f64 v[14:15], v[126:127], v[14:15]
	v_fmac_f64_e32 v[134:135], v[126:127], v[12:13]
	v_fma_f64 v[12:13], v[124:125], v[12:13], -v[14:15]
	ds_read2_b64 v[124:127], v136 offset0:56 offset1:57
	s_waitcnt lgkmcnt(1)
	v_mul_f64 v[14:15], v[142:143], v[134:135]
	v_fma_f64 v[14:15], v[140:141], v[12:13], -v[14:15]
	v_mul_f64 v[140:141], v[140:141], v[134:135]
	v_fmac_f64_e32 v[140:141], v[142:143], v[12:13]
	s_waitcnt vmcnt(3)
	v_add_f64 v[8:9], v[8:9], -v[14:15]
	s_waitcnt lgkmcnt(0)
	v_mul_f64 v[14:15], v[126:127], v[134:135]
	v_add_f64 v[10:11], v[10:11], -v[140:141]
	v_fma_f64 v[14:15], v[124:125], v[12:13], -v[14:15]
	v_mul_f64 v[124:125], v[124:125], v[134:135]
	ds_read2_b64 v[140:143], v136 offset0:58 offset1:59
	v_fmac_f64_e32 v[124:125], v[126:127], v[12:13]
	s_waitcnt vmcnt(2)
	v_add_f64 v[6:7], v[6:7], -v[124:125]
	ds_read2_b64 v[124:127], v136 offset0:60 offset1:61
	v_add_f64 v[4:5], v[4:5], -v[14:15]
	s_waitcnt lgkmcnt(1)
	v_mul_f64 v[14:15], v[142:143], v[134:135]
	v_fma_f64 v[14:15], v[140:141], v[12:13], -v[14:15]
	s_waitcnt vmcnt(1)
	v_add_f64 v[0:1], v[0:1], -v[14:15]
	s_waitcnt lgkmcnt(0)
	v_mul_f64 v[14:15], v[126:127], v[134:135]
	v_mul_f64 v[140:141], v[140:141], v[134:135]
	v_fma_f64 v[14:15], v[124:125], v[12:13], -v[14:15]
	v_mul_f64 v[124:125], v[124:125], v[134:135]
	v_fmac_f64_e32 v[140:141], v[142:143], v[12:13]
	v_fmac_f64_e32 v[124:125], v[126:127], v[12:13]
	v_add_f64 v[2:3], v[2:3], -v[140:141]
	s_waitcnt vmcnt(0)
	v_add_f64 v[120:121], v[120:121], -v[14:15]
	v_add_f64 v[122:123], v[122:123], -v[124:125]
	v_mov_b64_e32 v[14:15], v[134:135]
.LBB60_566:
	s_or_b64 exec, exec, s[0:1]
	v_lshl_add_u32 v124, v137, 4, v136
	s_barrier
	s_waitcnt vmcnt(3)
	ds_write2_b64 v124, v[8:9], v[10:11] offset1:1
	s_waitcnt lgkmcnt(0)
	s_barrier
	ds_read2_b64 v[124:127], v136 offset0:54 offset1:55
	s_cmp_lt_i32 s20, 29
	v_mov_b32_e32 v134, 27
	s_cbranch_scc1 .LBB60_569
; %bb.567:
	v_add_u32_e32 v135, 0x1c0, v136
	s_mov_b32 s16, 28
	v_mov_b32_e32 v134, 27
.LBB60_568:                             ; =>This Inner Loop Header: Depth=1
	ds_read2_b64 v[140:143], v135 offset1:1
	s_waitcnt lgkmcnt(1)
	v_xor_b32_e32 v145, 0x80000000, v125
	v_xor_b32_e32 v147, 0x80000000, v127
	v_cmp_gt_f64_e32 vcc, 0, v[126:127]
	v_cmp_gt_f64_e64 s[0:1], 0, v[124:125]
	v_mov_b32_e32 v144, v124
	v_mov_b32_e32 v146, v126
	v_cndmask_b32_e64 v145, v125, v145, s[0:1]
	v_cndmask_b32_e32 v147, v127, v147, vcc
	v_add_f64 v[144:145], v[144:145], v[146:147]
	s_waitcnt lgkmcnt(0)
	v_xor_b32_e32 v147, 0x80000000, v141
	v_xor_b32_e32 v149, 0x80000000, v143
	v_cmp_gt_f64_e32 vcc, 0, v[142:143]
	v_cmp_gt_f64_e64 s[0:1], 0, v[140:141]
	v_mov_b32_e32 v146, v140
	v_mov_b32_e32 v148, v142
	v_cndmask_b32_e64 v147, v141, v147, s[0:1]
	v_cndmask_b32_e32 v149, v143, v149, vcc
	v_add_f64 v[146:147], v[146:147], v[148:149]
	v_mov_b32_e32 v150, s16
	s_add_i32 s16, s16, 1
	v_cmp_lt_f64_e32 vcc, v[144:145], v[146:147]
	v_add_u32_e32 v135, 16, v135
	s_cmp_lg_u32 s20, s16
	v_cndmask_b32_e32 v125, v125, v141, vcc
	v_cndmask_b32_e32 v124, v124, v140, vcc
	;; [unrolled: 1-line block ×5, first 2 shown]
	s_cbranch_scc1 .LBB60_568
.LBB60_569:
	s_waitcnt lgkmcnt(0)
	v_cmp_eq_f64_e32 vcc, 0, v[124:125]
	v_cmp_eq_f64_e64 s[0:1], 0, v[126:127]
	s_and_b64 s[0:1], vcc, s[0:1]
	s_and_saveexec_b64 s[16:17], s[0:1]
	s_xor_b64 s[0:1], exec, s[16:17]
; %bb.570:
	v_cmp_ne_u32_e32 vcc, 0, v138
	s_nop 1
	v_cndmask_b32_e32 v138, 28, v138, vcc
; %bb.571:
	s_andn2_saveexec_b64 s[0:1], s[0:1]
	s_cbranch_execz .LBB60_577
; %bb.572:
	v_cmp_ngt_f64_e64 s[16:17], |v[124:125]|, |v[126:127]|
	s_and_saveexec_b64 s[18:19], s[16:17]
	s_xor_b64 s[16:17], exec, s[18:19]
	s_cbranch_execz .LBB60_574
; %bb.573:
	v_div_scale_f64 v[140:141], s[18:19], v[126:127], v[126:127], v[124:125]
	v_rcp_f64_e32 v[142:143], v[140:141]
	v_div_scale_f64 v[144:145], vcc, v[124:125], v[126:127], v[124:125]
	v_fma_f64 v[146:147], -v[140:141], v[142:143], 1.0
	v_fmac_f64_e32 v[142:143], v[142:143], v[146:147]
	v_fma_f64 v[146:147], -v[140:141], v[142:143], 1.0
	v_fmac_f64_e32 v[142:143], v[142:143], v[146:147]
	v_mul_f64 v[146:147], v[144:145], v[142:143]
	v_fma_f64 v[140:141], -v[140:141], v[146:147], v[144:145]
	v_div_fmas_f64 v[140:141], v[140:141], v[142:143], v[146:147]
	v_div_fixup_f64 v[140:141], v[140:141], v[126:127], v[124:125]
	v_fmac_f64_e32 v[126:127], v[124:125], v[140:141]
	v_div_scale_f64 v[124:125], s[18:19], v[126:127], v[126:127], 1.0
	v_rcp_f64_e32 v[142:143], v[124:125]
	s_nop 0
	v_fma_f64 v[144:145], -v[124:125], v[142:143], 1.0
	v_fmac_f64_e32 v[142:143], v[142:143], v[144:145]
	v_fma_f64 v[144:145], -v[124:125], v[142:143], 1.0
	v_fmac_f64_e32 v[142:143], v[142:143], v[144:145]
	v_div_scale_f64 v[144:145], vcc, 1.0, v[126:127], 1.0
	v_mul_f64 v[146:147], v[144:145], v[142:143]
	v_fma_f64 v[124:125], -v[124:125], v[146:147], v[144:145]
	s_nop 1
	v_div_fmas_f64 v[124:125], v[124:125], v[142:143], v[146:147]
	v_div_fixup_f64 v[126:127], v[124:125], v[126:127], 1.0
	v_mul_f64 v[124:125], v[140:141], v[126:127]
	v_xor_b32_e32 v127, 0x80000000, v127
.LBB60_574:
	s_andn2_saveexec_b64 s[16:17], s[16:17]
	s_cbranch_execz .LBB60_576
; %bb.575:
	v_div_scale_f64 v[140:141], s[18:19], v[124:125], v[124:125], v[126:127]
	v_rcp_f64_e32 v[142:143], v[140:141]
	v_div_scale_f64 v[144:145], vcc, v[126:127], v[124:125], v[126:127]
	v_fma_f64 v[146:147], -v[140:141], v[142:143], 1.0
	v_fmac_f64_e32 v[142:143], v[142:143], v[146:147]
	v_fma_f64 v[146:147], -v[140:141], v[142:143], 1.0
	v_fmac_f64_e32 v[142:143], v[142:143], v[146:147]
	v_mul_f64 v[146:147], v[144:145], v[142:143]
	v_fma_f64 v[140:141], -v[140:141], v[146:147], v[144:145]
	v_div_fmas_f64 v[140:141], v[140:141], v[142:143], v[146:147]
	v_div_fixup_f64 v[140:141], v[140:141], v[124:125], v[126:127]
	v_fmac_f64_e32 v[124:125], v[126:127], v[140:141]
	v_div_scale_f64 v[126:127], s[18:19], v[124:125], v[124:125], 1.0
	v_rcp_f64_e32 v[142:143], v[126:127]
	s_nop 0
	v_fma_f64 v[144:145], -v[126:127], v[142:143], 1.0
	v_fmac_f64_e32 v[142:143], v[142:143], v[144:145]
	v_fma_f64 v[144:145], -v[126:127], v[142:143], 1.0
	v_fmac_f64_e32 v[142:143], v[142:143], v[144:145]
	v_div_scale_f64 v[144:145], vcc, 1.0, v[124:125], 1.0
	v_mul_f64 v[146:147], v[144:145], v[142:143]
	v_fma_f64 v[126:127], -v[126:127], v[146:147], v[144:145]
	s_nop 1
	v_div_fmas_f64 v[126:127], v[126:127], v[142:143], v[146:147]
	v_div_fixup_f64 v[124:125], v[126:127], v[124:125], 1.0
	v_mul_f64 v[126:127], v[140:141], -v[124:125]
.LBB60_576:
	s_or_b64 exec, exec, s[16:17]
.LBB60_577:
	s_or_b64 exec, exec, s[0:1]
	v_cmp_ne_u32_e32 vcc, v137, v134
	s_and_saveexec_b64 s[0:1], vcc
	s_xor_b64 s[0:1], exec, s[0:1]
	s_cbranch_execz .LBB60_583
; %bb.578:
	v_cmp_eq_u32_e32 vcc, 27, v137
	s_and_saveexec_b64 s[16:17], vcc
	s_cbranch_execz .LBB60_582
; %bb.579:
	v_cmp_ne_u32_e32 vcc, 27, v134
	s_xor_b64 s[18:19], s[14:15], -1
	s_and_b64 s[22:23], s[18:19], vcc
	s_and_saveexec_b64 s[18:19], s[22:23]
	s_cbranch_execz .LBB60_581
; %bb.580:
	v_ashrrev_i32_e32 v135, 31, v134
	v_lshl_add_u64 v[140:141], v[134:135], 2, v[132:133]
	global_load_dword v135, v[140:141], off
	global_load_dword v137, v[132:133], off offset:108
	s_waitcnt vmcnt(1)
	global_store_dword v[132:133], v135, off offset:108
	s_waitcnt vmcnt(1)
	global_store_dword v[140:141], v137, off
.LBB60_581:
	s_or_b64 exec, exec, s[18:19]
	v_mov_b32_e32 v137, v134
	v_mov_b32_e32 v139, v134
.LBB60_582:
	s_or_b64 exec, exec, s[16:17]
.LBB60_583:
	s_andn2_saveexec_b64 s[0:1], s[0:1]
	s_cbranch_execz .LBB60_585
; %bb.584:
	v_mov_b32_e32 v137, 27
	s_waitcnt vmcnt(2)
	ds_write2_b64 v136, v[4:5], v[6:7] offset0:56 offset1:57
	s_waitcnt vmcnt(1)
	ds_write2_b64 v136, v[0:1], v[2:3] offset0:58 offset1:59
	;; [unrolled: 2-line block ×3, first 2 shown]
.LBB60_585:
	s_or_b64 exec, exec, s[0:1]
	v_cmp_lt_i32_e32 vcc, 27, v137
	s_waitcnt lgkmcnt(0)
	s_barrier
	s_and_saveexec_b64 s[0:1], vcc
	s_cbranch_execz .LBB60_587
; %bb.586:
	ds_read2_b64 v[140:143], v136 offset0:56 offset1:57
	v_mul_f64 v[134:135], v[124:125], v[10:11]
	v_fmac_f64_e32 v[134:135], v[126:127], v[8:9]
	v_mul_f64 v[10:11], v[126:127], v[10:11]
	v_fma_f64 v[8:9], v[124:125], v[8:9], -v[10:11]
	ds_read2_b64 v[124:127], v136 offset0:58 offset1:59
	s_waitcnt lgkmcnt(1)
	v_mul_f64 v[10:11], v[142:143], v[134:135]
	v_fma_f64 v[10:11], v[140:141], v[8:9], -v[10:11]
	v_mul_f64 v[140:141], v[140:141], v[134:135]
	v_fmac_f64_e32 v[140:141], v[142:143], v[8:9]
	s_waitcnt vmcnt(2)
	v_add_f64 v[6:7], v[6:7], -v[140:141]
	ds_read2_b64 v[140:143], v136 offset0:60 offset1:61
	v_add_f64 v[4:5], v[4:5], -v[10:11]
	s_waitcnt lgkmcnt(1)
	v_mul_f64 v[10:11], v[126:127], v[134:135]
	v_fma_f64 v[10:11], v[124:125], v[8:9], -v[10:11]
	v_mul_f64 v[124:125], v[124:125], v[134:135]
	v_fmac_f64_e32 v[124:125], v[126:127], v[8:9]
	s_waitcnt vmcnt(1)
	v_add_f64 v[0:1], v[0:1], -v[10:11]
	v_add_f64 v[2:3], v[2:3], -v[124:125]
	s_waitcnt lgkmcnt(0)
	v_mul_f64 v[10:11], v[142:143], v[134:135]
	v_mul_f64 v[124:125], v[140:141], v[134:135]
	v_fma_f64 v[10:11], v[140:141], v[8:9], -v[10:11]
	v_fmac_f64_e32 v[124:125], v[142:143], v[8:9]
	s_waitcnt vmcnt(0)
	v_add_f64 v[120:121], v[120:121], -v[10:11]
	v_add_f64 v[122:123], v[122:123], -v[124:125]
	v_mov_b64_e32 v[10:11], v[134:135]
.LBB60_587:
	s_or_b64 exec, exec, s[0:1]
	v_lshl_add_u32 v124, v137, 4, v136
	s_barrier
	s_waitcnt vmcnt(2)
	ds_write2_b64 v124, v[4:5], v[6:7] offset1:1
	s_waitcnt lgkmcnt(0)
	s_barrier
	ds_read2_b64 v[124:127], v136 offset0:56 offset1:57
	s_cmp_lt_i32 s20, 30
	v_mov_b32_e32 v134, 28
	s_cbranch_scc1 .LBB60_590
; %bb.588:
	v_add_u32_e32 v135, 0x1d0, v136
	s_mov_b32 s16, 29
	v_mov_b32_e32 v134, 28
.LBB60_589:                             ; =>This Inner Loop Header: Depth=1
	ds_read2_b64 v[140:143], v135 offset1:1
	s_waitcnt lgkmcnt(1)
	v_xor_b32_e32 v145, 0x80000000, v125
	v_xor_b32_e32 v147, 0x80000000, v127
	v_cmp_gt_f64_e32 vcc, 0, v[126:127]
	v_cmp_gt_f64_e64 s[0:1], 0, v[124:125]
	v_mov_b32_e32 v144, v124
	v_mov_b32_e32 v146, v126
	v_cndmask_b32_e64 v145, v125, v145, s[0:1]
	v_cndmask_b32_e32 v147, v127, v147, vcc
	v_add_f64 v[144:145], v[144:145], v[146:147]
	s_waitcnt lgkmcnt(0)
	v_xor_b32_e32 v147, 0x80000000, v141
	v_xor_b32_e32 v149, 0x80000000, v143
	v_cmp_gt_f64_e32 vcc, 0, v[142:143]
	v_cmp_gt_f64_e64 s[0:1], 0, v[140:141]
	v_mov_b32_e32 v146, v140
	v_mov_b32_e32 v148, v142
	v_cndmask_b32_e64 v147, v141, v147, s[0:1]
	v_cndmask_b32_e32 v149, v143, v149, vcc
	v_add_f64 v[146:147], v[146:147], v[148:149]
	v_mov_b32_e32 v150, s16
	s_add_i32 s16, s16, 1
	v_cmp_lt_f64_e32 vcc, v[144:145], v[146:147]
	v_add_u32_e32 v135, 16, v135
	s_cmp_lg_u32 s20, s16
	v_cndmask_b32_e32 v125, v125, v141, vcc
	v_cndmask_b32_e32 v124, v124, v140, vcc
	;; [unrolled: 1-line block ×5, first 2 shown]
	s_cbranch_scc1 .LBB60_589
.LBB60_590:
	s_waitcnt lgkmcnt(0)
	v_cmp_eq_f64_e32 vcc, 0, v[124:125]
	v_cmp_eq_f64_e64 s[0:1], 0, v[126:127]
	s_and_b64 s[0:1], vcc, s[0:1]
	s_and_saveexec_b64 s[16:17], s[0:1]
	s_xor_b64 s[0:1], exec, s[16:17]
; %bb.591:
	v_cmp_ne_u32_e32 vcc, 0, v138
	s_nop 1
	v_cndmask_b32_e32 v138, 29, v138, vcc
; %bb.592:
	s_andn2_saveexec_b64 s[0:1], s[0:1]
	s_cbranch_execz .LBB60_598
; %bb.593:
	v_cmp_ngt_f64_e64 s[16:17], |v[124:125]|, |v[126:127]|
	s_and_saveexec_b64 s[18:19], s[16:17]
	s_xor_b64 s[16:17], exec, s[18:19]
	s_cbranch_execz .LBB60_595
; %bb.594:
	v_div_scale_f64 v[140:141], s[18:19], v[126:127], v[126:127], v[124:125]
	v_rcp_f64_e32 v[142:143], v[140:141]
	v_div_scale_f64 v[144:145], vcc, v[124:125], v[126:127], v[124:125]
	v_fma_f64 v[146:147], -v[140:141], v[142:143], 1.0
	v_fmac_f64_e32 v[142:143], v[142:143], v[146:147]
	v_fma_f64 v[146:147], -v[140:141], v[142:143], 1.0
	v_fmac_f64_e32 v[142:143], v[142:143], v[146:147]
	v_mul_f64 v[146:147], v[144:145], v[142:143]
	v_fma_f64 v[140:141], -v[140:141], v[146:147], v[144:145]
	v_div_fmas_f64 v[140:141], v[140:141], v[142:143], v[146:147]
	v_div_fixup_f64 v[140:141], v[140:141], v[126:127], v[124:125]
	v_fmac_f64_e32 v[126:127], v[124:125], v[140:141]
	v_div_scale_f64 v[124:125], s[18:19], v[126:127], v[126:127], 1.0
	v_rcp_f64_e32 v[142:143], v[124:125]
	s_nop 0
	v_fma_f64 v[144:145], -v[124:125], v[142:143], 1.0
	v_fmac_f64_e32 v[142:143], v[142:143], v[144:145]
	v_fma_f64 v[144:145], -v[124:125], v[142:143], 1.0
	v_fmac_f64_e32 v[142:143], v[142:143], v[144:145]
	v_div_scale_f64 v[144:145], vcc, 1.0, v[126:127], 1.0
	v_mul_f64 v[146:147], v[144:145], v[142:143]
	v_fma_f64 v[124:125], -v[124:125], v[146:147], v[144:145]
	s_nop 1
	v_div_fmas_f64 v[124:125], v[124:125], v[142:143], v[146:147]
	v_div_fixup_f64 v[126:127], v[124:125], v[126:127], 1.0
	v_mul_f64 v[124:125], v[140:141], v[126:127]
	v_xor_b32_e32 v127, 0x80000000, v127
.LBB60_595:
	s_andn2_saveexec_b64 s[16:17], s[16:17]
	s_cbranch_execz .LBB60_597
; %bb.596:
	v_div_scale_f64 v[140:141], s[18:19], v[124:125], v[124:125], v[126:127]
	v_rcp_f64_e32 v[142:143], v[140:141]
	v_div_scale_f64 v[144:145], vcc, v[126:127], v[124:125], v[126:127]
	v_fma_f64 v[146:147], -v[140:141], v[142:143], 1.0
	v_fmac_f64_e32 v[142:143], v[142:143], v[146:147]
	v_fma_f64 v[146:147], -v[140:141], v[142:143], 1.0
	v_fmac_f64_e32 v[142:143], v[142:143], v[146:147]
	v_mul_f64 v[146:147], v[144:145], v[142:143]
	v_fma_f64 v[140:141], -v[140:141], v[146:147], v[144:145]
	v_div_fmas_f64 v[140:141], v[140:141], v[142:143], v[146:147]
	v_div_fixup_f64 v[140:141], v[140:141], v[124:125], v[126:127]
	v_fmac_f64_e32 v[124:125], v[126:127], v[140:141]
	v_div_scale_f64 v[126:127], s[18:19], v[124:125], v[124:125], 1.0
	v_rcp_f64_e32 v[142:143], v[126:127]
	s_nop 0
	v_fma_f64 v[144:145], -v[126:127], v[142:143], 1.0
	v_fmac_f64_e32 v[142:143], v[142:143], v[144:145]
	v_fma_f64 v[144:145], -v[126:127], v[142:143], 1.0
	v_fmac_f64_e32 v[142:143], v[142:143], v[144:145]
	v_div_scale_f64 v[144:145], vcc, 1.0, v[124:125], 1.0
	v_mul_f64 v[146:147], v[144:145], v[142:143]
	v_fma_f64 v[126:127], -v[126:127], v[146:147], v[144:145]
	s_nop 1
	v_div_fmas_f64 v[126:127], v[126:127], v[142:143], v[146:147]
	v_div_fixup_f64 v[124:125], v[126:127], v[124:125], 1.0
	v_mul_f64 v[126:127], v[140:141], -v[124:125]
.LBB60_597:
	s_or_b64 exec, exec, s[16:17]
.LBB60_598:
	s_or_b64 exec, exec, s[0:1]
	v_cmp_ne_u32_e32 vcc, v137, v134
	s_and_saveexec_b64 s[0:1], vcc
	s_xor_b64 s[0:1], exec, s[0:1]
	s_cbranch_execz .LBB60_604
; %bb.599:
	v_cmp_eq_u32_e32 vcc, 28, v137
	s_and_saveexec_b64 s[16:17], vcc
	s_cbranch_execz .LBB60_603
; %bb.600:
	v_cmp_ne_u32_e32 vcc, 28, v134
	s_xor_b64 s[18:19], s[14:15], -1
	s_and_b64 s[22:23], s[18:19], vcc
	s_and_saveexec_b64 s[18:19], s[22:23]
	s_cbranch_execz .LBB60_602
; %bb.601:
	v_ashrrev_i32_e32 v135, 31, v134
	v_lshl_add_u64 v[140:141], v[134:135], 2, v[132:133]
	global_load_dword v135, v[140:141], off
	global_load_dword v137, v[132:133], off offset:112
	s_waitcnt vmcnt(1)
	global_store_dword v[132:133], v135, off offset:112
	s_waitcnt vmcnt(1)
	global_store_dword v[140:141], v137, off
.LBB60_602:
	s_or_b64 exec, exec, s[18:19]
	v_mov_b32_e32 v137, v134
	v_mov_b32_e32 v139, v134
.LBB60_603:
	s_or_b64 exec, exec, s[16:17]
.LBB60_604:
	s_andn2_saveexec_b64 s[0:1], s[0:1]
	s_cbranch_execz .LBB60_606
; %bb.605:
	v_mov_b32_e32 v137, 28
	s_waitcnt vmcnt(1)
	ds_write2_b64 v136, v[0:1], v[2:3] offset0:58 offset1:59
	s_waitcnt vmcnt(0)
	ds_write2_b64 v136, v[120:121], v[122:123] offset0:60 offset1:61
.LBB60_606:
	s_or_b64 exec, exec, s[0:1]
	v_cmp_lt_i32_e32 vcc, 28, v137
	s_waitcnt lgkmcnt(0)
	s_barrier
	s_and_saveexec_b64 s[0:1], vcc
	s_cbranch_execz .LBB60_608
; %bb.607:
	ds_read2_b64 v[140:143], v136 offset0:58 offset1:59
	v_mul_f64 v[134:135], v[124:125], v[6:7]
	v_mul_f64 v[6:7], v[126:127], v[6:7]
	v_fmac_f64_e32 v[134:135], v[126:127], v[4:5]
	v_fma_f64 v[4:5], v[124:125], v[4:5], -v[6:7]
	ds_read2_b64 v[124:127], v136 offset0:60 offset1:61
	s_waitcnt lgkmcnt(1)
	v_mul_f64 v[6:7], v[142:143], v[134:135]
	v_fma_f64 v[6:7], v[140:141], v[4:5], -v[6:7]
	s_waitcnt vmcnt(1)
	v_add_f64 v[0:1], v[0:1], -v[6:7]
	v_mul_f64 v[140:141], v[140:141], v[134:135]
	s_waitcnt lgkmcnt(0)
	v_mul_f64 v[6:7], v[126:127], v[134:135]
	v_fma_f64 v[6:7], v[124:125], v[4:5], -v[6:7]
	v_mul_f64 v[124:125], v[124:125], v[134:135]
	v_fmac_f64_e32 v[140:141], v[142:143], v[4:5]
	v_fmac_f64_e32 v[124:125], v[126:127], v[4:5]
	v_add_f64 v[2:3], v[2:3], -v[140:141]
	s_waitcnt vmcnt(0)
	v_add_f64 v[120:121], v[120:121], -v[6:7]
	v_add_f64 v[122:123], v[122:123], -v[124:125]
	v_mov_b64_e32 v[6:7], v[134:135]
.LBB60_608:
	s_or_b64 exec, exec, s[0:1]
	v_lshl_add_u32 v124, v137, 4, v136
	s_barrier
	s_waitcnt vmcnt(1)
	ds_write2_b64 v124, v[0:1], v[2:3] offset1:1
	s_waitcnt lgkmcnt(0)
	s_barrier
	ds_read2_b64 v[124:127], v136 offset0:58 offset1:59
	s_cmp_lt_i32 s20, 31
	v_mov_b32_e32 v134, 29
	s_cbranch_scc1 .LBB60_611
; %bb.609:
	v_add_u32_e32 v135, 0x1e0, v136
	s_mov_b32 s16, 30
	v_mov_b32_e32 v134, 29
.LBB60_610:                             ; =>This Inner Loop Header: Depth=1
	ds_read2_b64 v[140:143], v135 offset1:1
	s_waitcnt lgkmcnt(1)
	v_xor_b32_e32 v145, 0x80000000, v125
	v_xor_b32_e32 v147, 0x80000000, v127
	v_cmp_gt_f64_e32 vcc, 0, v[126:127]
	v_cmp_gt_f64_e64 s[0:1], 0, v[124:125]
	v_mov_b32_e32 v144, v124
	v_mov_b32_e32 v146, v126
	v_cndmask_b32_e64 v145, v125, v145, s[0:1]
	v_cndmask_b32_e32 v147, v127, v147, vcc
	v_add_f64 v[144:145], v[144:145], v[146:147]
	s_waitcnt lgkmcnt(0)
	v_xor_b32_e32 v147, 0x80000000, v141
	v_xor_b32_e32 v149, 0x80000000, v143
	v_cmp_gt_f64_e32 vcc, 0, v[142:143]
	v_cmp_gt_f64_e64 s[0:1], 0, v[140:141]
	v_mov_b32_e32 v146, v140
	v_mov_b32_e32 v148, v142
	v_cndmask_b32_e64 v147, v141, v147, s[0:1]
	v_cndmask_b32_e32 v149, v143, v149, vcc
	v_add_f64 v[146:147], v[146:147], v[148:149]
	v_mov_b32_e32 v150, s16
	s_add_i32 s16, s16, 1
	v_cmp_lt_f64_e32 vcc, v[144:145], v[146:147]
	v_add_u32_e32 v135, 16, v135
	s_cmp_lg_u32 s20, s16
	v_cndmask_b32_e32 v125, v125, v141, vcc
	v_cndmask_b32_e32 v124, v124, v140, vcc
	v_cndmask_b32_e32 v127, v127, v143, vcc
	v_cndmask_b32_e32 v126, v126, v142, vcc
	v_cndmask_b32_e32 v134, v134, v150, vcc
	s_cbranch_scc1 .LBB60_610
.LBB60_611:
	s_waitcnt lgkmcnt(0)
	v_cmp_eq_f64_e32 vcc, 0, v[124:125]
	v_cmp_eq_f64_e64 s[0:1], 0, v[126:127]
	s_and_b64 s[0:1], vcc, s[0:1]
	s_and_saveexec_b64 s[16:17], s[0:1]
	s_xor_b64 s[0:1], exec, s[16:17]
; %bb.612:
	v_cmp_ne_u32_e32 vcc, 0, v138
	s_nop 1
	v_cndmask_b32_e32 v138, 30, v138, vcc
; %bb.613:
	s_andn2_saveexec_b64 s[0:1], s[0:1]
	s_cbranch_execz .LBB60_619
; %bb.614:
	v_cmp_ngt_f64_e64 s[16:17], |v[124:125]|, |v[126:127]|
	s_and_saveexec_b64 s[18:19], s[16:17]
	s_xor_b64 s[16:17], exec, s[18:19]
	s_cbranch_execz .LBB60_616
; %bb.615:
	v_div_scale_f64 v[140:141], s[18:19], v[126:127], v[126:127], v[124:125]
	v_rcp_f64_e32 v[142:143], v[140:141]
	v_div_scale_f64 v[144:145], vcc, v[124:125], v[126:127], v[124:125]
	v_fma_f64 v[146:147], -v[140:141], v[142:143], 1.0
	v_fmac_f64_e32 v[142:143], v[142:143], v[146:147]
	v_fma_f64 v[146:147], -v[140:141], v[142:143], 1.0
	v_fmac_f64_e32 v[142:143], v[142:143], v[146:147]
	v_mul_f64 v[146:147], v[144:145], v[142:143]
	v_fma_f64 v[140:141], -v[140:141], v[146:147], v[144:145]
	v_div_fmas_f64 v[140:141], v[140:141], v[142:143], v[146:147]
	v_div_fixup_f64 v[140:141], v[140:141], v[126:127], v[124:125]
	v_fmac_f64_e32 v[126:127], v[124:125], v[140:141]
	v_div_scale_f64 v[124:125], s[18:19], v[126:127], v[126:127], 1.0
	v_rcp_f64_e32 v[142:143], v[124:125]
	s_nop 0
	v_fma_f64 v[144:145], -v[124:125], v[142:143], 1.0
	v_fmac_f64_e32 v[142:143], v[142:143], v[144:145]
	v_fma_f64 v[144:145], -v[124:125], v[142:143], 1.0
	v_fmac_f64_e32 v[142:143], v[142:143], v[144:145]
	v_div_scale_f64 v[144:145], vcc, 1.0, v[126:127], 1.0
	v_mul_f64 v[146:147], v[144:145], v[142:143]
	v_fma_f64 v[124:125], -v[124:125], v[146:147], v[144:145]
	s_nop 1
	v_div_fmas_f64 v[124:125], v[124:125], v[142:143], v[146:147]
	v_div_fixup_f64 v[126:127], v[124:125], v[126:127], 1.0
	v_mul_f64 v[124:125], v[140:141], v[126:127]
	v_xor_b32_e32 v127, 0x80000000, v127
.LBB60_616:
	s_andn2_saveexec_b64 s[16:17], s[16:17]
	s_cbranch_execz .LBB60_618
; %bb.617:
	v_div_scale_f64 v[140:141], s[18:19], v[124:125], v[124:125], v[126:127]
	v_rcp_f64_e32 v[142:143], v[140:141]
	v_div_scale_f64 v[144:145], vcc, v[126:127], v[124:125], v[126:127]
	v_fma_f64 v[146:147], -v[140:141], v[142:143], 1.0
	v_fmac_f64_e32 v[142:143], v[142:143], v[146:147]
	v_fma_f64 v[146:147], -v[140:141], v[142:143], 1.0
	v_fmac_f64_e32 v[142:143], v[142:143], v[146:147]
	v_mul_f64 v[146:147], v[144:145], v[142:143]
	v_fma_f64 v[140:141], -v[140:141], v[146:147], v[144:145]
	v_div_fmas_f64 v[140:141], v[140:141], v[142:143], v[146:147]
	v_div_fixup_f64 v[140:141], v[140:141], v[124:125], v[126:127]
	v_fmac_f64_e32 v[124:125], v[126:127], v[140:141]
	v_div_scale_f64 v[126:127], s[18:19], v[124:125], v[124:125], 1.0
	v_rcp_f64_e32 v[142:143], v[126:127]
	s_nop 0
	v_fma_f64 v[144:145], -v[126:127], v[142:143], 1.0
	v_fmac_f64_e32 v[142:143], v[142:143], v[144:145]
	v_fma_f64 v[144:145], -v[126:127], v[142:143], 1.0
	v_fmac_f64_e32 v[142:143], v[142:143], v[144:145]
	v_div_scale_f64 v[144:145], vcc, 1.0, v[124:125], 1.0
	v_mul_f64 v[146:147], v[144:145], v[142:143]
	v_fma_f64 v[126:127], -v[126:127], v[146:147], v[144:145]
	s_nop 1
	v_div_fmas_f64 v[126:127], v[126:127], v[142:143], v[146:147]
	v_div_fixup_f64 v[124:125], v[126:127], v[124:125], 1.0
	v_mul_f64 v[126:127], v[140:141], -v[124:125]
.LBB60_618:
	s_or_b64 exec, exec, s[16:17]
.LBB60_619:
	s_or_b64 exec, exec, s[0:1]
	v_cmp_ne_u32_e32 vcc, v137, v134
	s_and_saveexec_b64 s[0:1], vcc
	s_xor_b64 s[0:1], exec, s[0:1]
	s_cbranch_execz .LBB60_625
; %bb.620:
	v_cmp_eq_u32_e32 vcc, 29, v137
	s_and_saveexec_b64 s[16:17], vcc
	s_cbranch_execz .LBB60_624
; %bb.621:
	v_cmp_ne_u32_e32 vcc, 29, v134
	s_xor_b64 s[18:19], s[14:15], -1
	s_and_b64 s[22:23], s[18:19], vcc
	s_and_saveexec_b64 s[18:19], s[22:23]
	s_cbranch_execz .LBB60_623
; %bb.622:
	v_ashrrev_i32_e32 v135, 31, v134
	v_lshl_add_u64 v[140:141], v[134:135], 2, v[132:133]
	global_load_dword v135, v[140:141], off
	global_load_dword v137, v[132:133], off offset:116
	s_waitcnt vmcnt(1)
	global_store_dword v[132:133], v135, off offset:116
	s_waitcnt vmcnt(1)
	global_store_dword v[140:141], v137, off
.LBB60_623:
	s_or_b64 exec, exec, s[18:19]
	v_mov_b32_e32 v137, v134
	v_mov_b32_e32 v139, v134
.LBB60_624:
	s_or_b64 exec, exec, s[16:17]
.LBB60_625:
	s_andn2_saveexec_b64 s[0:1], s[0:1]
	s_cbranch_execz .LBB60_627
; %bb.626:
	v_mov_b32_e32 v137, 29
	s_waitcnt vmcnt(0)
	ds_write2_b64 v136, v[120:121], v[122:123] offset0:60 offset1:61
.LBB60_627:
	s_or_b64 exec, exec, s[0:1]
	v_cmp_lt_i32_e32 vcc, 29, v137
	s_waitcnt lgkmcnt(0)
	s_barrier
	s_and_saveexec_b64 s[0:1], vcc
	s_cbranch_execz .LBB60_629
; %bb.628:
	ds_read2_b64 v[140:143], v136 offset0:60 offset1:61
	v_mul_f64 v[134:135], v[124:125], v[2:3]
	v_mul_f64 v[2:3], v[126:127], v[2:3]
	v_fmac_f64_e32 v[134:135], v[126:127], v[0:1]
	v_fma_f64 v[0:1], v[124:125], v[0:1], -v[2:3]
	s_waitcnt lgkmcnt(0)
	v_mul_f64 v[2:3], v[142:143], v[134:135]
	v_mul_f64 v[124:125], v[140:141], v[134:135]
	v_fma_f64 v[2:3], v[140:141], v[0:1], -v[2:3]
	v_fmac_f64_e32 v[124:125], v[142:143], v[0:1]
	s_waitcnt vmcnt(0)
	v_add_f64 v[120:121], v[120:121], -v[2:3]
	v_add_f64 v[122:123], v[122:123], -v[124:125]
	v_mov_b64_e32 v[2:3], v[134:135]
.LBB60_629:
	s_or_b64 exec, exec, s[0:1]
	v_lshl_add_u32 v124, v137, 4, v136
	s_barrier
	s_waitcnt vmcnt(0)
	ds_write2_b64 v124, v[120:121], v[122:123] offset1:1
	s_waitcnt lgkmcnt(0)
	s_barrier
	ds_read2_b64 v[124:127], v136 offset0:60 offset1:61
	s_cmp_lt_i32 s20, 32
	v_mov_b32_e32 v134, 30
	s_cbranch_scc1 .LBB60_632
; %bb.630:
	v_add_u32_e32 v135, 0x1f0, v136
	s_mov_b32 s16, 31
	v_mov_b32_e32 v134, 30
.LBB60_631:                             ; =>This Inner Loop Header: Depth=1
	ds_read2_b64 v[140:143], v135 offset1:1
	s_waitcnt lgkmcnt(1)
	v_xor_b32_e32 v136, 0x80000000, v125
	v_xor_b32_e32 v147, 0x80000000, v127
	v_cmp_gt_f64_e32 vcc, 0, v[126:127]
	v_cmp_gt_f64_e64 s[0:1], 0, v[124:125]
	v_mov_b32_e32 v144, v124
	v_mov_b32_e32 v146, v126
	v_cndmask_b32_e64 v145, v125, v136, s[0:1]
	v_cndmask_b32_e32 v147, v127, v147, vcc
	s_waitcnt lgkmcnt(0)
	v_xor_b32_e32 v136, 0x80000000, v141
	v_xor_b32_e32 v149, 0x80000000, v143
	v_cmp_gt_f64_e32 vcc, 0, v[142:143]
	v_cmp_gt_f64_e64 s[0:1], 0, v[140:141]
	v_add_f64 v[144:145], v[144:145], v[146:147]
	v_mov_b32_e32 v146, v140
	v_mov_b32_e32 v148, v142
	v_cndmask_b32_e64 v147, v141, v136, s[0:1]
	v_cndmask_b32_e32 v149, v143, v149, vcc
	v_add_f64 v[146:147], v[146:147], v[148:149]
	v_mov_b32_e32 v150, s16
	s_add_i32 s16, s16, 1
	v_cmp_lt_f64_e32 vcc, v[144:145], v[146:147]
	v_add_u32_e32 v135, 16, v135
	s_cmp_lg_u32 s20, s16
	v_cndmask_b32_e32 v125, v125, v141, vcc
	v_cndmask_b32_e32 v124, v124, v140, vcc
	;; [unrolled: 1-line block ×5, first 2 shown]
	s_cbranch_scc1 .LBB60_631
.LBB60_632:
	s_waitcnt lgkmcnt(0)
	v_cmp_eq_f64_e32 vcc, 0, v[124:125]
	v_cmp_eq_f64_e64 s[0:1], 0, v[126:127]
	s_and_b64 s[0:1], vcc, s[0:1]
	s_and_saveexec_b64 s[16:17], s[0:1]
	s_xor_b64 s[0:1], exec, s[16:17]
; %bb.633:
	v_cmp_ne_u32_e32 vcc, 0, v138
	s_nop 1
	v_cndmask_b32_e32 v138, 31, v138, vcc
; %bb.634:
	s_andn2_saveexec_b64 s[0:1], s[0:1]
	s_cbranch_execz .LBB60_640
; %bb.635:
	v_cmp_ngt_f64_e64 s[16:17], |v[124:125]|, |v[126:127]|
	s_and_saveexec_b64 s[18:19], s[16:17]
	s_xor_b64 s[16:17], exec, s[18:19]
	s_cbranch_execz .LBB60_637
; %bb.636:
	v_div_scale_f64 v[140:141], s[18:19], v[126:127], v[126:127], v[124:125]
	v_rcp_f64_e32 v[142:143], v[140:141]
	v_div_scale_f64 v[144:145], vcc, v[124:125], v[126:127], v[124:125]
	v_fma_f64 v[146:147], -v[140:141], v[142:143], 1.0
	v_fmac_f64_e32 v[142:143], v[142:143], v[146:147]
	v_fma_f64 v[146:147], -v[140:141], v[142:143], 1.0
	v_fmac_f64_e32 v[142:143], v[142:143], v[146:147]
	v_mul_f64 v[146:147], v[144:145], v[142:143]
	v_fma_f64 v[140:141], -v[140:141], v[146:147], v[144:145]
	v_div_fmas_f64 v[140:141], v[140:141], v[142:143], v[146:147]
	v_div_fixup_f64 v[140:141], v[140:141], v[126:127], v[124:125]
	v_fmac_f64_e32 v[126:127], v[124:125], v[140:141]
	v_div_scale_f64 v[124:125], s[18:19], v[126:127], v[126:127], 1.0
	v_rcp_f64_e32 v[142:143], v[124:125]
	s_nop 0
	v_fma_f64 v[144:145], -v[124:125], v[142:143], 1.0
	v_fmac_f64_e32 v[142:143], v[142:143], v[144:145]
	v_fma_f64 v[144:145], -v[124:125], v[142:143], 1.0
	v_fmac_f64_e32 v[142:143], v[142:143], v[144:145]
	v_div_scale_f64 v[144:145], vcc, 1.0, v[126:127], 1.0
	v_mul_f64 v[146:147], v[144:145], v[142:143]
	v_fma_f64 v[124:125], -v[124:125], v[146:147], v[144:145]
	s_nop 1
	v_div_fmas_f64 v[124:125], v[124:125], v[142:143], v[146:147]
	v_div_fixup_f64 v[126:127], v[124:125], v[126:127], 1.0
	v_mul_f64 v[124:125], v[140:141], v[126:127]
	v_xor_b32_e32 v127, 0x80000000, v127
.LBB60_637:
	s_andn2_saveexec_b64 s[16:17], s[16:17]
	s_cbranch_execz .LBB60_639
; %bb.638:
	v_div_scale_f64 v[140:141], s[18:19], v[124:125], v[124:125], v[126:127]
	v_rcp_f64_e32 v[142:143], v[140:141]
	v_div_scale_f64 v[144:145], vcc, v[126:127], v[124:125], v[126:127]
	v_fma_f64 v[146:147], -v[140:141], v[142:143], 1.0
	v_fmac_f64_e32 v[142:143], v[142:143], v[146:147]
	v_fma_f64 v[146:147], -v[140:141], v[142:143], 1.0
	v_fmac_f64_e32 v[142:143], v[142:143], v[146:147]
	v_mul_f64 v[146:147], v[144:145], v[142:143]
	v_fma_f64 v[140:141], -v[140:141], v[146:147], v[144:145]
	v_div_fmas_f64 v[140:141], v[140:141], v[142:143], v[146:147]
	v_div_fixup_f64 v[140:141], v[140:141], v[124:125], v[126:127]
	v_fmac_f64_e32 v[124:125], v[126:127], v[140:141]
	v_div_scale_f64 v[126:127], s[18:19], v[124:125], v[124:125], 1.0
	v_rcp_f64_e32 v[142:143], v[126:127]
	s_nop 0
	v_fma_f64 v[144:145], -v[126:127], v[142:143], 1.0
	v_fmac_f64_e32 v[142:143], v[142:143], v[144:145]
	v_fma_f64 v[144:145], -v[126:127], v[142:143], 1.0
	v_fmac_f64_e32 v[142:143], v[142:143], v[144:145]
	v_div_scale_f64 v[144:145], vcc, 1.0, v[124:125], 1.0
	v_mul_f64 v[146:147], v[144:145], v[142:143]
	v_fma_f64 v[126:127], -v[126:127], v[146:147], v[144:145]
	s_nop 1
	v_div_fmas_f64 v[126:127], v[126:127], v[142:143], v[146:147]
	v_div_fixup_f64 v[124:125], v[126:127], v[124:125], 1.0
	v_mul_f64 v[126:127], v[140:141], -v[124:125]
.LBB60_639:
	s_or_b64 exec, exec, s[16:17]
.LBB60_640:
	s_or_b64 exec, exec, s[0:1]
	v_cmp_ne_u32_e32 vcc, v137, v134
	v_mov_b32_e32 v136, 30
	s_and_saveexec_b64 s[0:1], vcc
	s_cbranch_execz .LBB60_646
; %bb.641:
	v_cmp_eq_u32_e32 vcc, 30, v137
	s_and_saveexec_b64 s[16:17], vcc
	s_cbranch_execz .LBB60_645
; %bb.642:
	v_cmp_ne_u32_e32 vcc, 30, v134
	s_xor_b64 s[14:15], s[14:15], -1
	s_and_b64 s[18:19], s[14:15], vcc
	s_and_saveexec_b64 s[14:15], s[18:19]
	s_cbranch_execz .LBB60_644
; %bb.643:
	v_ashrrev_i32_e32 v135, 31, v134
	v_lshl_add_u64 v[136:137], v[134:135], 2, v[132:133]
	global_load_dword v135, v[136:137], off
	global_load_dword v139, v[132:133], off offset:120
	s_waitcnt vmcnt(1)
	global_store_dword v[132:133], v135, off offset:120
	s_waitcnt vmcnt(1)
	global_store_dword v[136:137], v139, off
.LBB60_644:
	s_or_b64 exec, exec, s[14:15]
	v_mov_b32_e32 v137, v134
	v_mov_b32_e32 v139, v134
.LBB60_645:
	s_or_b64 exec, exec, s[16:17]
	v_mov_b32_e32 v136, v137
.LBB60_646:
	s_or_b64 exec, exec, s[0:1]
	v_cmp_gt_i32_e32 vcc, 31, v136
	v_ashrrev_i32_e32 v137, 31, v136
	s_barrier
	s_barrier
	s_and_saveexec_b64 s[0:1], vcc
	s_cbranch_execz .LBB60_648
; %bb.647:
	v_mov_b32_e32 v132, s6
	v_mov_b32_e32 v133, s7
	v_mul_lo_u32 v140, s11, v130
	v_mul_lo_u32 v141, s10, v131
	v_mad_u64_u32 v[134:135], s[6:7], s10, v130, 0
	v_add3_u32 v135, v135, v141, v140
	v_lshl_add_u64 v[132:133], v[134:135], 2, v[132:133]
	v_lshl_add_u64 v[132:133], s[8:9], 2, v[132:133]
	;; [unrolled: 1-line block ×3, first 2 shown]
	v_add3_u32 v134, v139, s13, 1
	global_store_dword v[132:133], v134, off
.LBB60_648:
	s_or_b64 exec, exec, s[0:1]
	v_cmp_eq_u32_e32 vcc, 0, v136
	s_and_saveexec_b64 s[6:7], vcc
	s_cbranch_execz .LBB60_651
; %bb.649:
	v_mov_b32_e32 v132, s4
	v_mov_b32_e32 v133, s5
	v_lshl_add_u64 v[130:131], v[130:131], 2, v[132:133]
	global_load_dword v132, v[130:131], off
	v_cmp_ne_u32_e64 s[0:1], 0, v138
	s_waitcnt vmcnt(0)
	v_cmp_eq_u32_e32 vcc, 0, v132
	s_and_b64 s[0:1], vcc, s[0:1]
	s_and_b64 exec, exec, s[0:1]
	s_cbranch_execz .LBB60_651
; %bb.650:
	v_add_u32_e32 v132, s13, v138
	global_store_dword v[130:131], v132, off
.LBB60_651:
	s_or_b64 exec, exec, s[6:7]
	v_mul_f64 v[130:131], v[126:127], v[122:123]
	v_fma_f64 v[130:131], v[124:125], v[120:121], -v[130:131]
	v_mul_f64 v[124:125], v[124:125], v[122:123]
	v_fmac_f64_e32 v[124:125], v[126:127], v[120:121]
	v_cmp_lt_i32_e32 vcc, 30, v136
	s_nop 1
	v_cndmask_b32_e32 v123, v123, v125, vcc
	v_cndmask_b32_e32 v122, v122, v124, vcc
	v_lshl_add_u64 v[124:125], v[136:137], 4, v[128:129]
	global_store_dwordx4 v[124:125], v[84:87], off
	v_cndmask_b32_e32 v121, v121, v131, vcc
	v_cndmask_b32_e32 v120, v120, v130, vcc
	v_lshl_add_u64 v[84:85], s[2:3], 4, v[124:125]
	global_store_dwordx4 v[84:85], v[80:83], off
	s_nop 1
	v_add_u32_e32 v80, s12, v136
	v_ashrrev_i32_e32 v81, 31, v80
	v_lshl_add_u64 v[82:83], v[80:81], 4, v[128:129]
	v_add_u32_e32 v80, s2, v80
	v_ashrrev_i32_e32 v81, 31, v80
	global_store_dwordx4 v[82:83], v[116:119], off
	v_lshl_add_u64 v[82:83], v[80:81], 4, v[128:129]
	v_add_u32_e32 v80, s2, v80
	v_ashrrev_i32_e32 v81, 31, v80
	global_store_dwordx4 v[82:83], v[112:115], off
	;; [unrolled: 4-line block ×8, first 2 shown]
	v_lshl_add_u64 v[82:83], v[80:81], 4, v[128:129]
	global_store_dwordx4 v[82:83], v[76:79], off
	s_nop 1
	v_add_u32_e32 v76, s2, v80
	v_ashrrev_i32_e32 v77, 31, v76
	v_lshl_add_u64 v[78:79], v[76:77], 4, v[128:129]
	global_store_dwordx4 v[78:79], v[72:75], off
	s_nop 1
	v_add_u32_e32 v72, s2, v76
	v_ashrrev_i32_e32 v73, 31, v72
	;; [unrolled: 5-line block ×5, first 2 shown]
	v_lshl_add_u64 v[58:59], v[56:57], 4, v[128:129]
	v_add_u32_e32 v56, s2, v56
	v_ashrrev_i32_e32 v57, 31, v56
	global_store_dwordx4 v[58:59], v[60:63], off
	v_lshl_add_u64 v[58:59], v[56:57], 4, v[128:129]
	global_store_dwordx4 v[58:59], v[52:55], off
	s_nop 1
	v_add_u32_e32 v52, s2, v56
	v_ashrrev_i32_e32 v53, 31, v52
	v_lshl_add_u64 v[54:55], v[52:53], 4, v[128:129]
	global_store_dwordx4 v[54:55], v[48:51], off
	s_nop 1
	v_add_u32_e32 v48, s2, v52
	v_ashrrev_i32_e32 v49, 31, v48
	;; [unrolled: 5-line block ×14, first 2 shown]
	v_lshl_add_u64 v[0:1], v[0:1], 4, v[128:129]
	global_store_dwordx4 v[0:1], v[120:123], off
.LBB60_652:
	s_endpgm
	.section	.rodata,"a",@progbits
	.p2align	6, 0x0
	.amdhsa_kernel _ZN9rocsolver6v33100L18getf2_small_kernelILi31E19rocblas_complex_numIdEiiPS3_EEvT1_T3_lS5_lPS5_llPT2_S5_S5_S7_l
		.amdhsa_group_segment_fixed_size 0
		.amdhsa_private_segment_fixed_size 0
		.amdhsa_kernarg_size 352
		.amdhsa_user_sgpr_count 2
		.amdhsa_user_sgpr_dispatch_ptr 0
		.amdhsa_user_sgpr_queue_ptr 0
		.amdhsa_user_sgpr_kernarg_segment_ptr 1
		.amdhsa_user_sgpr_dispatch_id 0
		.amdhsa_user_sgpr_kernarg_preload_length 0
		.amdhsa_user_sgpr_kernarg_preload_offset 0
		.amdhsa_user_sgpr_private_segment_size 0
		.amdhsa_uses_dynamic_stack 0
		.amdhsa_enable_private_segment 0
		.amdhsa_system_sgpr_workgroup_id_x 1
		.amdhsa_system_sgpr_workgroup_id_y 1
		.amdhsa_system_sgpr_workgroup_id_z 0
		.amdhsa_system_sgpr_workgroup_info 0
		.amdhsa_system_vgpr_workitem_id 1
		.amdhsa_next_free_vgpr 154
		.amdhsa_next_free_sgpr 24
		.amdhsa_accum_offset 156
		.amdhsa_reserve_vcc 1
		.amdhsa_float_round_mode_32 0
		.amdhsa_float_round_mode_16_64 0
		.amdhsa_float_denorm_mode_32 3
		.amdhsa_float_denorm_mode_16_64 3
		.amdhsa_dx10_clamp 1
		.amdhsa_ieee_mode 1
		.amdhsa_fp16_overflow 0
		.amdhsa_tg_split 0
		.amdhsa_exception_fp_ieee_invalid_op 0
		.amdhsa_exception_fp_denorm_src 0
		.amdhsa_exception_fp_ieee_div_zero 0
		.amdhsa_exception_fp_ieee_overflow 0
		.amdhsa_exception_fp_ieee_underflow 0
		.amdhsa_exception_fp_ieee_inexact 0
		.amdhsa_exception_int_div_zero 0
	.end_amdhsa_kernel
	.section	.text._ZN9rocsolver6v33100L18getf2_small_kernelILi31E19rocblas_complex_numIdEiiPS3_EEvT1_T3_lS5_lPS5_llPT2_S5_S5_S7_l,"axG",@progbits,_ZN9rocsolver6v33100L18getf2_small_kernelILi31E19rocblas_complex_numIdEiiPS3_EEvT1_T3_lS5_lPS5_llPT2_S5_S5_S7_l,comdat
.Lfunc_end60:
	.size	_ZN9rocsolver6v33100L18getf2_small_kernelILi31E19rocblas_complex_numIdEiiPS3_EEvT1_T3_lS5_lPS5_llPT2_S5_S5_S7_l, .Lfunc_end60-_ZN9rocsolver6v33100L18getf2_small_kernelILi31E19rocblas_complex_numIdEiiPS3_EEvT1_T3_lS5_lPS5_llPT2_S5_S5_S7_l
                                        ; -- End function
	.set _ZN9rocsolver6v33100L18getf2_small_kernelILi31E19rocblas_complex_numIdEiiPS3_EEvT1_T3_lS5_lPS5_llPT2_S5_S5_S7_l.num_vgpr, 154
	.set _ZN9rocsolver6v33100L18getf2_small_kernelILi31E19rocblas_complex_numIdEiiPS3_EEvT1_T3_lS5_lPS5_llPT2_S5_S5_S7_l.num_agpr, 0
	.set _ZN9rocsolver6v33100L18getf2_small_kernelILi31E19rocblas_complex_numIdEiiPS3_EEvT1_T3_lS5_lPS5_llPT2_S5_S5_S7_l.numbered_sgpr, 24
	.set _ZN9rocsolver6v33100L18getf2_small_kernelILi31E19rocblas_complex_numIdEiiPS3_EEvT1_T3_lS5_lPS5_llPT2_S5_S5_S7_l.num_named_barrier, 0
	.set _ZN9rocsolver6v33100L18getf2_small_kernelILi31E19rocblas_complex_numIdEiiPS3_EEvT1_T3_lS5_lPS5_llPT2_S5_S5_S7_l.private_seg_size, 0
	.set _ZN9rocsolver6v33100L18getf2_small_kernelILi31E19rocblas_complex_numIdEiiPS3_EEvT1_T3_lS5_lPS5_llPT2_S5_S5_S7_l.uses_vcc, 1
	.set _ZN9rocsolver6v33100L18getf2_small_kernelILi31E19rocblas_complex_numIdEiiPS3_EEvT1_T3_lS5_lPS5_llPT2_S5_S5_S7_l.uses_flat_scratch, 0
	.set _ZN9rocsolver6v33100L18getf2_small_kernelILi31E19rocblas_complex_numIdEiiPS3_EEvT1_T3_lS5_lPS5_llPT2_S5_S5_S7_l.has_dyn_sized_stack, 0
	.set _ZN9rocsolver6v33100L18getf2_small_kernelILi31E19rocblas_complex_numIdEiiPS3_EEvT1_T3_lS5_lPS5_llPT2_S5_S5_S7_l.has_recursion, 0
	.set _ZN9rocsolver6v33100L18getf2_small_kernelILi31E19rocblas_complex_numIdEiiPS3_EEvT1_T3_lS5_lPS5_llPT2_S5_S5_S7_l.has_indirect_call, 0
	.section	.AMDGPU.csdata,"",@progbits
; Kernel info:
; codeLenInByte = 62236
; TotalNumSgprs: 30
; NumVgprs: 154
; NumAgprs: 0
; TotalNumVgprs: 154
; ScratchSize: 0
; MemoryBound: 0
; FloatMode: 240
; IeeeMode: 1
; LDSByteSize: 0 bytes/workgroup (compile time only)
; SGPRBlocks: 3
; VGPRBlocks: 19
; NumSGPRsForWavesPerEU: 30
; NumVGPRsForWavesPerEU: 154
; AccumOffset: 156
; Occupancy: 3
; WaveLimiterHint : 0
; COMPUTE_PGM_RSRC2:SCRATCH_EN: 0
; COMPUTE_PGM_RSRC2:USER_SGPR: 2
; COMPUTE_PGM_RSRC2:TRAP_HANDLER: 0
; COMPUTE_PGM_RSRC2:TGID_X_EN: 1
; COMPUTE_PGM_RSRC2:TGID_Y_EN: 1
; COMPUTE_PGM_RSRC2:TGID_Z_EN: 0
; COMPUTE_PGM_RSRC2:TIDIG_COMP_CNT: 1
; COMPUTE_PGM_RSRC3_GFX90A:ACCUM_OFFSET: 38
; COMPUTE_PGM_RSRC3_GFX90A:TG_SPLIT: 0
	.section	.text._ZN9rocsolver6v33100L23getf2_npvt_small_kernelILi31E19rocblas_complex_numIdEiiPS3_EEvT1_T3_lS5_lPT2_S5_S5_,"axG",@progbits,_ZN9rocsolver6v33100L23getf2_npvt_small_kernelILi31E19rocblas_complex_numIdEiiPS3_EEvT1_T3_lS5_lPT2_S5_S5_,comdat
	.globl	_ZN9rocsolver6v33100L23getf2_npvt_small_kernelILi31E19rocblas_complex_numIdEiiPS3_EEvT1_T3_lS5_lPT2_S5_S5_ ; -- Begin function _ZN9rocsolver6v33100L23getf2_npvt_small_kernelILi31E19rocblas_complex_numIdEiiPS3_EEvT1_T3_lS5_lPT2_S5_S5_
	.p2align	8
	.type	_ZN9rocsolver6v33100L23getf2_npvt_small_kernelILi31E19rocblas_complex_numIdEiiPS3_EEvT1_T3_lS5_lPT2_S5_S5_,@function
_ZN9rocsolver6v33100L23getf2_npvt_small_kernelILi31E19rocblas_complex_numIdEiiPS3_EEvT1_T3_lS5_lPT2_S5_S5_: ; @_ZN9rocsolver6v33100L23getf2_npvt_small_kernelILi31E19rocblas_complex_numIdEiiPS3_EEvT1_T3_lS5_lPT2_S5_S5_
; %bb.0:
	s_load_dword s2, s[0:1], 0x44
	s_load_dwordx2 s[8:9], s[0:1], 0x30
	v_bfe_u32 v124, v0, 10, 10
	s_waitcnt lgkmcnt(0)
	s_lshr_b32 s10, s2, 16
	s_mul_i32 s3, s3, s10
	v_add_u32_e32 v250, s3, v124
	v_cmp_gt_i32_e32 vcc, s8, v250
	s_and_saveexec_b64 s[2:3], vcc
	s_cbranch_execz .LBB61_282
; %bb.1:
	s_load_dwordx4 s[12:15], s[0:1], 0x8
	s_load_dword s2, s[0:1], 0x18
	s_load_dwordx4 s[4:7], s[0:1], 0x20
	v_ashrrev_i32_e32 v251, 31, v250
	v_and_b32_e32 v254, 0x3ff, v0
	s_waitcnt lgkmcnt(0)
	v_mov_b32_e32 v0, s12
	v_mov_b32_e32 v1, s13
	v_mul_lo_u32 v4, s5, v250
	v_mul_lo_u32 v5, s4, v251
	v_mad_u64_u32 v[2:3], s[0:1], s4, v250, 0
	v_add3_u32 v3, v3, v5, v4
	v_lshl_add_u64 v[0:1], v[2:3], 4, v[0:1]
	v_lshl_add_u64 v[0:1], s[14:15], 4, v[0:1]
	v_lshlrev_b32_e32 v2, 4, v254
	v_mov_b32_e32 v3, 0
	s_add_i32 s0, s2, s2
	v_lshl_add_u64 v[248:249], v[0:1], 0, v[2:3]
	v_add_u32_e32 v2, s0, v254
	v_ashrrev_i32_e32 v3, 31, v2
	v_lshl_add_u64 v[4:5], v[2:3], 4, v[0:1]
	v_add_u32_e32 v2, s2, v2
	v_ashrrev_i32_e32 v3, 31, v2
	v_lshl_add_u64 v[6:7], v[2:3], 4, v[0:1]
	v_add_u32_e32 v2, s2, v2
	v_ashrrev_i32_e32 v3, 31, v2
	v_lshl_add_u64 v[8:9], v[2:3], 4, v[0:1]
	v_add_u32_e32 v2, s2, v2
	v_ashrrev_i32_e32 v3, 31, v2
	v_lshl_add_u64 v[10:11], v[2:3], 4, v[0:1]
	v_add_u32_e32 v2, s2, v2
	v_ashrrev_i32_e32 v3, 31, v2
	v_lshl_add_u64 v[12:13], v[2:3], 4, v[0:1]
	v_add_u32_e32 v2, s2, v2
	v_ashrrev_i32_e32 v3, 31, v2
	v_lshl_add_u64 v[14:15], v[2:3], 4, v[0:1]
	v_add_u32_e32 v2, s2, v2
	v_ashrrev_i32_e32 v3, 31, v2
	v_lshl_add_u64 v[16:17], v[2:3], 4, v[0:1]
	v_add_u32_e32 v2, s2, v2
	v_ashrrev_i32_e32 v3, 31, v2
	v_lshl_add_u64 v[18:19], v[2:3], 4, v[0:1]
	v_add_u32_e32 v2, s2, v2
	v_ashrrev_i32_e32 v3, 31, v2
	v_lshl_add_u64 v[20:21], v[2:3], 4, v[0:1]
	v_add_u32_e32 v2, s2, v2
	v_ashrrev_i32_e32 v3, 31, v2
	v_lshl_add_u64 v[22:23], v[2:3], 4, v[0:1]
	v_add_u32_e32 v2, s2, v2
	v_ashrrev_i32_e32 v3, 31, v2
	v_lshl_add_u64 v[24:25], v[2:3], 4, v[0:1]
	v_add_u32_e32 v2, s2, v2
	v_ashrrev_i32_e32 v3, 31, v2
	v_lshl_add_u64 v[26:27], v[2:3], 4, v[0:1]
	v_add_u32_e32 v2, s2, v2
	v_ashrrev_i32_e32 v3, 31, v2
	v_lshl_add_u64 v[28:29], v[2:3], 4, v[0:1]
	v_add_u32_e32 v2, s2, v2
	v_ashrrev_i32_e32 v3, 31, v2
	v_lshl_add_u64 v[30:31], v[2:3], 4, v[0:1]
	v_add_u32_e32 v2, s2, v2
	v_ashrrev_i32_e32 v3, 31, v2
	v_lshl_add_u64 v[32:33], v[2:3], 4, v[0:1]
	v_add_u32_e32 v2, s2, v2
	v_ashrrev_i32_e32 v3, 31, v2
	v_lshl_add_u64 v[34:35], v[2:3], 4, v[0:1]
	v_add_u32_e32 v2, s2, v2
	v_ashrrev_i32_e32 v3, 31, v2
	v_lshl_add_u64 v[36:37], v[2:3], 4, v[0:1]
	v_add_u32_e32 v2, s2, v2
	v_ashrrev_i32_e32 v3, 31, v2
	v_lshl_add_u64 v[38:39], v[2:3], 4, v[0:1]
	v_add_u32_e32 v2, s2, v2
	v_ashrrev_i32_e32 v3, 31, v2
	v_lshl_add_u64 v[120:121], v[2:3], 4, v[0:1]
	v_add_u32_e32 v2, s2, v2
	v_ashrrev_i32_e32 v3, 31, v2
	v_lshl_add_u64 v[122:123], v[2:3], 4, v[0:1]
	v_add_u32_e32 v2, s2, v2
	v_ashrrev_i32_e32 v3, 31, v2
	v_lshl_add_u64 v[126:127], v[2:3], 4, v[0:1]
	v_add_u32_e32 v2, s2, v2
	v_ashrrev_i32_e32 v3, 31, v2
	v_lshl_add_u64 v[128:129], v[2:3], 4, v[0:1]
	v_add_u32_e32 v2, s2, v2
	v_ashrrev_i32_e32 v3, 31, v2
	v_lshl_add_u64 v[130:131], v[2:3], 4, v[0:1]
	v_add_u32_e32 v2, s2, v2
	v_ashrrev_i32_e32 v3, 31, v2
	v_lshl_add_u64 v[132:133], v[2:3], 4, v[0:1]
	v_add_u32_e32 v2, s2, v2
	v_ashrrev_i32_e32 v3, 31, v2
	v_lshl_add_u64 v[134:135], v[2:3], 4, v[0:1]
	v_add_u32_e32 v2, s2, v2
	v_ashrrev_i32_e32 v3, 31, v2
	v_lshl_add_u64 v[136:137], v[2:3], 4, v[0:1]
	v_add_u32_e32 v2, s2, v2
	v_ashrrev_i32_e32 v3, 31, v2
	v_lshl_add_u64 v[138:139], v[2:3], 4, v[0:1]
	v_add_u32_e32 v2, s2, v2
	v_ashrrev_i32_e32 v3, 31, v2
	v_lshl_add_u64 v[140:141], v[2:3], 4, v[0:1]
	v_add_u32_e32 v2, s2, v2
	v_ashrrev_i32_e32 v3, 31, v2
	s_ashr_i32 s3, s2, 31
	v_lshl_add_u64 v[142:143], v[2:3], 4, v[0:1]
	v_lshl_add_u64 v[0:1], s[2:3], 4, v[248:249]
	global_load_dwordx4 v[116:119], v[248:249], off
	global_load_dwordx4 v[112:115], v[0:1], off
	;; [unrolled: 1-line block ×20, first 2 shown]
	s_mulk_i32 s10, 0x1f0
	scratch_store_dwordx2 off, v[0:1], off offset:232 ; 8-byte Folded Spill
	scratch_store_dwordx2 off, v[4:5], off  ; 8-byte Folded Spill
	scratch_store_dwordx2 off, v[6:7], off offset:8 ; 8-byte Folded Spill
	scratch_store_dwordx2 off, v[8:9], off offset:16 ; 8-byte Folded Spill
	;; [unrolled: 1-line block ×19, first 2 shown]
	global_load_dwordx4 v[32:35], v[122:123], off
	global_load_dwordx4 v[28:31], v[126:127], off
	;; [unrolled: 1-line block ×11, first 2 shown]
	s_movk_i32 s0, 0x1f0
	s_add_i32 s1, s10, 0
	v_mad_u32_u24 v252, v124, s0, 0
	v_lshl_add_u32 v255, v124, 4, s1
	v_cmp_ne_u32_e64 s[2:3], 0, v254
	v_cmp_eq_u32_e64 s[0:1], 0, v254
	scratch_store_dwordx2 off, v[126:127], off offset:160 ; 8-byte Folded Spill
	scratch_store_dwordx2 off, v[128:129], off offset:168 ; 8-byte Folded Spill
	;; [unrolled: 1-line block ×9, first 2 shown]
	s_and_saveexec_b64 s[10:11], s[0:1]
	s_cbranch_execz .LBB61_8
; %bb.2:
	s_waitcnt vmcnt(60)
	ds_write2_b64 v255, v[116:117], v[118:119] offset1:1
	s_waitcnt vmcnt(59)
	ds_write2_b64 v252, v[112:113], v[114:115] offset0:2 offset1:3
	s_waitcnt vmcnt(58)
	ds_write2_b64 v252, v[108:109], v[110:111] offset0:4 offset1:5
	;; [unrolled: 2-line block ×20, first 2 shown]
	ds_write2_b64 v252, v[32:33], v[34:35] offset0:42 offset1:43
	ds_write2_b64 v252, v[28:29], v[30:31] offset0:44 offset1:45
	;; [unrolled: 1-line block ×4, first 2 shown]
	s_waitcnt vmcnt(14)
	ds_write2_b64 v252, v[16:17], v[18:19] offset0:50 offset1:51
	s_waitcnt vmcnt(13)
	ds_write2_b64 v252, v[12:13], v[14:15] offset0:52 offset1:53
	;; [unrolled: 2-line block ×6, first 2 shown]
	ds_read2_b64 v[124:127], v255 offset1:1
	s_waitcnt lgkmcnt(0)
	v_cmp_neq_f64_e32 vcc, 0, v[124:125]
	v_cmp_neq_f64_e64 s[4:5], 0, v[126:127]
	s_or_b64 s[4:5], vcc, s[4:5]
	s_and_b64 exec, exec, s[4:5]
	s_cbranch_execz .LBB61_8
; %bb.3:
	v_cmp_ngt_f64_e64 s[4:5], |v[124:125]|, |v[126:127]|
                                        ; implicit-def: $vgpr128_vgpr129
	s_and_saveexec_b64 s[12:13], s[4:5]
	s_xor_b64 s[4:5], exec, s[12:13]
                                        ; implicit-def: $vgpr130_vgpr131
	s_cbranch_execz .LBB61_5
; %bb.4:
	v_div_scale_f64 v[128:129], s[12:13], v[126:127], v[126:127], v[124:125]
	v_rcp_f64_e32 v[130:131], v[128:129]
	v_div_scale_f64 v[132:133], vcc, v[124:125], v[126:127], v[124:125]
	v_fma_f64 v[134:135], -v[128:129], v[130:131], 1.0
	v_fmac_f64_e32 v[130:131], v[130:131], v[134:135]
	v_fma_f64 v[134:135], -v[128:129], v[130:131], 1.0
	v_fmac_f64_e32 v[130:131], v[130:131], v[134:135]
	v_mul_f64 v[134:135], v[132:133], v[130:131]
	v_fma_f64 v[128:129], -v[128:129], v[134:135], v[132:133]
	v_div_fmas_f64 v[128:129], v[128:129], v[130:131], v[134:135]
	v_div_fixup_f64 v[128:129], v[128:129], v[126:127], v[124:125]
	v_fmac_f64_e32 v[126:127], v[124:125], v[128:129]
	v_div_scale_f64 v[124:125], s[12:13], v[126:127], v[126:127], 1.0
	v_rcp_f64_e32 v[130:131], v[124:125]
	s_nop 0
	v_fma_f64 v[132:133], -v[124:125], v[130:131], 1.0
	v_fmac_f64_e32 v[130:131], v[130:131], v[132:133]
	v_fma_f64 v[132:133], -v[124:125], v[130:131], 1.0
	v_fmac_f64_e32 v[130:131], v[130:131], v[132:133]
	v_div_scale_f64 v[132:133], vcc, 1.0, v[126:127], 1.0
	v_mul_f64 v[134:135], v[132:133], v[130:131]
	v_fma_f64 v[124:125], -v[124:125], v[134:135], v[132:133]
	s_nop 1
	v_div_fmas_f64 v[124:125], v[124:125], v[130:131], v[134:135]
	v_div_fixup_f64 v[130:131], v[124:125], v[126:127], 1.0
	v_mul_f64 v[128:129], v[128:129], v[130:131]
	v_xor_b32_e32 v131, 0x80000000, v131
                                        ; implicit-def: $vgpr124_vgpr125
.LBB61_5:
	s_andn2_saveexec_b64 s[4:5], s[4:5]
	s_cbranch_execz .LBB61_7
; %bb.6:
	v_div_scale_f64 v[128:129], s[12:13], v[124:125], v[124:125], v[126:127]
	v_rcp_f64_e32 v[130:131], v[128:129]
	v_div_scale_f64 v[132:133], vcc, v[126:127], v[124:125], v[126:127]
	v_fma_f64 v[134:135], -v[128:129], v[130:131], 1.0
	v_fmac_f64_e32 v[130:131], v[130:131], v[134:135]
	v_fma_f64 v[134:135], -v[128:129], v[130:131], 1.0
	v_fmac_f64_e32 v[130:131], v[130:131], v[134:135]
	v_mul_f64 v[134:135], v[132:133], v[130:131]
	v_fma_f64 v[128:129], -v[128:129], v[134:135], v[132:133]
	v_div_fmas_f64 v[128:129], v[128:129], v[130:131], v[134:135]
	v_div_fixup_f64 v[130:131], v[128:129], v[124:125], v[126:127]
	v_fmac_f64_e32 v[124:125], v[126:127], v[130:131]
	v_div_scale_f64 v[126:127], s[12:13], v[124:125], v[124:125], 1.0
	v_rcp_f64_e32 v[128:129], v[126:127]
	s_nop 0
	v_fma_f64 v[132:133], -v[126:127], v[128:129], 1.0
	v_fmac_f64_e32 v[128:129], v[128:129], v[132:133]
	v_fma_f64 v[132:133], -v[126:127], v[128:129], 1.0
	v_fmac_f64_e32 v[128:129], v[128:129], v[132:133]
	v_div_scale_f64 v[132:133], vcc, 1.0, v[124:125], 1.0
	v_mul_f64 v[134:135], v[132:133], v[128:129]
	v_fma_f64 v[126:127], -v[126:127], v[134:135], v[132:133]
	s_nop 1
	v_div_fmas_f64 v[126:127], v[126:127], v[128:129], v[134:135]
	v_div_fixup_f64 v[128:129], v[126:127], v[124:125], 1.0
	v_mul_f64 v[130:131], v[130:131], -v[128:129]
.LBB61_7:
	s_or_b64 exec, exec, s[4:5]
	ds_write2_b64 v255, v[128:129], v[130:131] offset1:1
.LBB61_8:
	s_or_b64 exec, exec, s[10:11]
	s_waitcnt lgkmcnt(0)
	s_barrier
	ds_read2_b64 v[124:127], v255 offset1:1
	s_waitcnt lgkmcnt(0)
	scratch_store_dwordx4 off, v[124:127], off offset:240 ; 16-byte Folded Spill
	s_and_saveexec_b64 s[4:5], s[2:3]
	s_cbranch_execz .LBB61_10
; %bb.9:
	scratch_load_dwordx4 v[124:127], off, off offset:240 ; 16-byte Folded Reload
	ds_read2_b64 v[130:133], v252 offset0:2 offset1:3
	ds_read2_b64 v[134:137], v252 offset0:4 offset1:5
	s_waitcnt vmcnt(0)
	v_mul_f64 v[128:129], v[126:127], v[118:119]
	v_mul_f64 v[118:119], v[124:125], v[118:119]
	v_fmac_f64_e32 v[118:119], v[126:127], v[116:117]
	v_fma_f64 v[128:129], v[124:125], v[116:117], -v[128:129]
	s_waitcnt lgkmcnt(1)
	v_mul_f64 v[116:117], v[132:133], v[118:119]
	v_fma_f64 v[116:117], v[130:131], v[128:129], -v[116:117]
	v_mul_f64 v[130:131], v[130:131], v[118:119]
	v_fmac_f64_e32 v[130:131], v[132:133], v[128:129]
	v_add_f64 v[112:113], v[112:113], -v[116:117]
	v_add_f64 v[114:115], v[114:115], -v[130:131]
	s_waitcnt lgkmcnt(0)
	v_mul_f64 v[116:117], v[136:137], v[118:119]
	ds_read2_b64 v[130:133], v252 offset0:6 offset1:7
	v_fma_f64 v[116:117], v[134:135], v[128:129], -v[116:117]
	v_mul_f64 v[134:135], v[134:135], v[118:119]
	v_fmac_f64_e32 v[134:135], v[136:137], v[128:129]
	v_add_f64 v[110:111], v[110:111], -v[134:135]
	ds_read2_b64 v[134:137], v252 offset0:8 offset1:9
	v_add_f64 v[108:109], v[108:109], -v[116:117]
	s_waitcnt lgkmcnt(1)
	v_mul_f64 v[116:117], v[132:133], v[118:119]
	v_fma_f64 v[116:117], v[130:131], v[128:129], -v[116:117]
	v_mul_f64 v[130:131], v[130:131], v[118:119]
	v_fmac_f64_e32 v[130:131], v[132:133], v[128:129]
	v_add_f64 v[104:105], v[104:105], -v[116:117]
	v_add_f64 v[106:107], v[106:107], -v[130:131]
	s_waitcnt lgkmcnt(0)
	v_mul_f64 v[116:117], v[136:137], v[118:119]
	ds_read2_b64 v[130:133], v252 offset0:10 offset1:11
	v_fma_f64 v[116:117], v[134:135], v[128:129], -v[116:117]
	v_mul_f64 v[134:135], v[134:135], v[118:119]
	v_fmac_f64_e32 v[134:135], v[136:137], v[128:129]
	v_add_f64 v[102:103], v[102:103], -v[134:135]
	ds_read2_b64 v[134:137], v252 offset0:12 offset1:13
	v_add_f64 v[100:101], v[100:101], -v[116:117]
	;; [unrolled: 16-line block ×14, first 2 shown]
	s_waitcnt lgkmcnt(1)
	v_mul_f64 v[116:117], v[132:133], v[118:119]
	v_fma_f64 v[116:117], v[130:131], v[128:129], -v[116:117]
	v_mul_f64 v[130:131], v[130:131], v[118:119]
	v_fmac_f64_e32 v[130:131], v[132:133], v[128:129]
	v_add_f64 v[0:1], v[0:1], -v[116:117]
	v_add_f64 v[2:3], v[2:3], -v[130:131]
	s_waitcnt lgkmcnt(0)
	v_mul_f64 v[116:117], v[136:137], v[118:119]
	v_mul_f64 v[130:131], v[134:135], v[118:119]
	v_fma_f64 v[116:117], v[134:135], v[128:129], -v[116:117]
	v_fmac_f64_e32 v[130:131], v[136:137], v[128:129]
	v_add_f64 v[120:121], v[120:121], -v[116:117]
	v_add_f64 v[122:123], v[122:123], -v[130:131]
	v_mov_b64_e32 v[116:117], v[128:129]
.LBB61_10:
	s_or_b64 exec, exec, s[4:5]
	v_cmp_eq_u32_e32 vcc, 1, v254
	s_barrier
	s_and_saveexec_b64 s[4:5], vcc
	s_cbranch_execz .LBB61_17
; %bb.11:
	s_waitcnt vmcnt(60)
	ds_write2_b64 v255, v[112:113], v[114:115] offset1:1
	s_waitcnt vmcnt(59)
	ds_write2_b64 v252, v[108:109], v[110:111] offset0:4 offset1:5
	s_waitcnt vmcnt(58)
	ds_write2_b64 v252, v[104:105], v[106:107] offset0:6 offset1:7
	;; [unrolled: 2-line block ×19, first 2 shown]
	ds_write2_b64 v252, v[32:33], v[34:35] offset0:42 offset1:43
	ds_write2_b64 v252, v[28:29], v[30:31] offset0:44 offset1:45
	;; [unrolled: 1-line block ×4, first 2 shown]
	s_waitcnt vmcnt(15)
	ds_write2_b64 v252, v[16:17], v[18:19] offset0:50 offset1:51
	s_waitcnt vmcnt(14)
	ds_write2_b64 v252, v[12:13], v[14:15] offset0:52 offset1:53
	;; [unrolled: 2-line block ×6, first 2 shown]
	ds_read2_b64 v[128:131], v255 offset1:1
	s_waitcnt lgkmcnt(0)
	v_cmp_neq_f64_e32 vcc, 0, v[128:129]
	v_cmp_neq_f64_e64 s[2:3], 0, v[130:131]
	s_or_b64 s[2:3], vcc, s[2:3]
	s_and_b64 exec, exec, s[2:3]
	s_cbranch_execz .LBB61_17
; %bb.12:
	v_cmp_ngt_f64_e64 s[2:3], |v[128:129]|, |v[130:131]|
                                        ; implicit-def: $vgpr132_vgpr133
	s_and_saveexec_b64 s[10:11], s[2:3]
	s_xor_b64 s[2:3], exec, s[10:11]
                                        ; implicit-def: $vgpr134_vgpr135
	s_cbranch_execz .LBB61_14
; %bb.13:
	v_div_scale_f64 v[132:133], s[10:11], v[130:131], v[130:131], v[128:129]
	v_rcp_f64_e32 v[134:135], v[132:133]
	v_div_scale_f64 v[136:137], vcc, v[128:129], v[130:131], v[128:129]
	v_fma_f64 v[138:139], -v[132:133], v[134:135], 1.0
	v_fmac_f64_e32 v[134:135], v[134:135], v[138:139]
	v_fma_f64 v[138:139], -v[132:133], v[134:135], 1.0
	v_fmac_f64_e32 v[134:135], v[134:135], v[138:139]
	v_mul_f64 v[138:139], v[136:137], v[134:135]
	v_fma_f64 v[132:133], -v[132:133], v[138:139], v[136:137]
	v_div_fmas_f64 v[132:133], v[132:133], v[134:135], v[138:139]
	v_div_fixup_f64 v[132:133], v[132:133], v[130:131], v[128:129]
	v_fmac_f64_e32 v[130:131], v[128:129], v[132:133]
	v_div_scale_f64 v[128:129], s[10:11], v[130:131], v[130:131], 1.0
	v_rcp_f64_e32 v[134:135], v[128:129]
	s_nop 0
	v_fma_f64 v[136:137], -v[128:129], v[134:135], 1.0
	v_fmac_f64_e32 v[134:135], v[134:135], v[136:137]
	v_fma_f64 v[136:137], -v[128:129], v[134:135], 1.0
	v_fmac_f64_e32 v[134:135], v[134:135], v[136:137]
	v_div_scale_f64 v[136:137], vcc, 1.0, v[130:131], 1.0
	v_mul_f64 v[138:139], v[136:137], v[134:135]
	v_fma_f64 v[128:129], -v[128:129], v[138:139], v[136:137]
	s_nop 1
	v_div_fmas_f64 v[128:129], v[128:129], v[134:135], v[138:139]
	v_div_fixup_f64 v[134:135], v[128:129], v[130:131], 1.0
	v_mul_f64 v[132:133], v[132:133], v[134:135]
	v_xor_b32_e32 v135, 0x80000000, v135
                                        ; implicit-def: $vgpr128_vgpr129
.LBB61_14:
	s_andn2_saveexec_b64 s[2:3], s[2:3]
	s_cbranch_execz .LBB61_16
; %bb.15:
	v_div_scale_f64 v[132:133], s[10:11], v[128:129], v[128:129], v[130:131]
	v_rcp_f64_e32 v[134:135], v[132:133]
	v_div_scale_f64 v[136:137], vcc, v[130:131], v[128:129], v[130:131]
	v_fma_f64 v[138:139], -v[132:133], v[134:135], 1.0
	v_fmac_f64_e32 v[134:135], v[134:135], v[138:139]
	v_fma_f64 v[138:139], -v[132:133], v[134:135], 1.0
	v_fmac_f64_e32 v[134:135], v[134:135], v[138:139]
	v_mul_f64 v[138:139], v[136:137], v[134:135]
	v_fma_f64 v[132:133], -v[132:133], v[138:139], v[136:137]
	v_div_fmas_f64 v[132:133], v[132:133], v[134:135], v[138:139]
	v_div_fixup_f64 v[134:135], v[132:133], v[128:129], v[130:131]
	v_fmac_f64_e32 v[128:129], v[130:131], v[134:135]
	v_div_scale_f64 v[130:131], s[10:11], v[128:129], v[128:129], 1.0
	v_rcp_f64_e32 v[132:133], v[130:131]
	s_nop 0
	v_fma_f64 v[136:137], -v[130:131], v[132:133], 1.0
	v_fmac_f64_e32 v[132:133], v[132:133], v[136:137]
	v_fma_f64 v[136:137], -v[130:131], v[132:133], 1.0
	v_fmac_f64_e32 v[132:133], v[132:133], v[136:137]
	v_div_scale_f64 v[136:137], vcc, 1.0, v[128:129], 1.0
	v_mul_f64 v[138:139], v[136:137], v[132:133]
	v_fma_f64 v[130:131], -v[130:131], v[138:139], v[136:137]
	s_nop 1
	v_div_fmas_f64 v[130:131], v[130:131], v[132:133], v[138:139]
	v_div_fixup_f64 v[132:133], v[130:131], v[128:129], 1.0
	v_mul_f64 v[134:135], v[134:135], -v[132:133]
.LBB61_16:
	s_or_b64 exec, exec, s[2:3]
	ds_write2_b64 v255, v[132:133], v[134:135] offset1:1
.LBB61_17:
	s_or_b64 exec, exec, s[4:5]
	s_waitcnt lgkmcnt(0)
	s_barrier
	ds_read2_b64 v[128:131], v255 offset1:1
	v_cmp_lt_u32_e32 vcc, 1, v254
	s_and_saveexec_b64 s[2:3], vcc
	s_cbranch_execz .LBB61_19
; %bb.18:
	ds_read2_b64 v[134:137], v252 offset0:4 offset1:5
	ds_read2_b64 v[138:141], v252 offset0:6 offset1:7
	s_waitcnt vmcnt(60) lgkmcnt(2)
	v_mul_f64 v[132:133], v[130:131], v[114:115]
	v_mul_f64 v[114:115], v[128:129], v[114:115]
	v_fmac_f64_e32 v[114:115], v[130:131], v[112:113]
	v_fma_f64 v[132:133], v[128:129], v[112:113], -v[132:133]
	s_waitcnt lgkmcnt(1)
	v_mul_f64 v[112:113], v[136:137], v[114:115]
	v_fma_f64 v[112:113], v[134:135], v[132:133], -v[112:113]
	v_mul_f64 v[134:135], v[134:135], v[114:115]
	v_fmac_f64_e32 v[134:135], v[136:137], v[132:133]
	s_waitcnt vmcnt(59)
	v_add_f64 v[110:111], v[110:111], -v[134:135]
	ds_read2_b64 v[134:137], v252 offset0:8 offset1:9
	v_add_f64 v[108:109], v[108:109], -v[112:113]
	s_waitcnt lgkmcnt(1)
	v_mul_f64 v[112:113], v[140:141], v[114:115]
	v_fma_f64 v[112:113], v[138:139], v[132:133], -v[112:113]
	v_mul_f64 v[138:139], v[138:139], v[114:115]
	v_fmac_f64_e32 v[138:139], v[140:141], v[132:133]
	s_waitcnt vmcnt(58)
	v_add_f64 v[104:105], v[104:105], -v[112:113]
	v_add_f64 v[106:107], v[106:107], -v[138:139]
	ds_read2_b64 v[138:141], v252 offset0:10 offset1:11
	s_waitcnt lgkmcnt(1)
	v_mul_f64 v[112:113], v[136:137], v[114:115]
	v_fma_f64 v[112:113], v[134:135], v[132:133], -v[112:113]
	v_mul_f64 v[134:135], v[134:135], v[114:115]
	v_fmac_f64_e32 v[134:135], v[136:137], v[132:133]
	s_waitcnt vmcnt(57)
	v_add_f64 v[102:103], v[102:103], -v[134:135]
	ds_read2_b64 v[134:137], v252 offset0:12 offset1:13
	v_add_f64 v[100:101], v[100:101], -v[112:113]
	s_waitcnt lgkmcnt(1)
	v_mul_f64 v[112:113], v[140:141], v[114:115]
	v_fma_f64 v[112:113], v[138:139], v[132:133], -v[112:113]
	v_mul_f64 v[138:139], v[138:139], v[114:115]
	v_fmac_f64_e32 v[138:139], v[140:141], v[132:133]
	s_waitcnt vmcnt(56)
	v_add_f64 v[96:97], v[96:97], -v[112:113]
	v_add_f64 v[98:99], v[98:99], -v[138:139]
	ds_read2_b64 v[138:141], v252 offset0:14 offset1:15
	;; [unrolled: 18-line block ×9, first 2 shown]
	s_waitcnt lgkmcnt(1)
	v_mul_f64 v[112:113], v[136:137], v[114:115]
	v_fma_f64 v[112:113], v[134:135], v[132:133], -v[112:113]
	v_mul_f64 v[134:135], v[134:135], v[114:115]
	v_fmac_f64_e32 v[134:135], v[136:137], v[132:133]
	s_waitcnt vmcnt(16)
	v_add_f64 v[38:39], v[38:39], -v[134:135]
	ds_read2_b64 v[134:137], v252 offset0:44 offset1:45
	v_add_f64 v[36:37], v[36:37], -v[112:113]
	s_waitcnt lgkmcnt(1)
	v_mul_f64 v[112:113], v[140:141], v[114:115]
	v_fma_f64 v[112:113], v[138:139], v[132:133], -v[112:113]
	v_mul_f64 v[138:139], v[138:139], v[114:115]
	v_fmac_f64_e32 v[138:139], v[140:141], v[132:133]
	v_add_f64 v[32:33], v[32:33], -v[112:113]
	v_add_f64 v[34:35], v[34:35], -v[138:139]
	ds_read2_b64 v[138:141], v252 offset0:46 offset1:47
	s_waitcnt lgkmcnt(1)
	v_mul_f64 v[112:113], v[136:137], v[114:115]
	v_fma_f64 v[112:113], v[134:135], v[132:133], -v[112:113]
	v_mul_f64 v[134:135], v[134:135], v[114:115]
	v_fmac_f64_e32 v[134:135], v[136:137], v[132:133]
	v_add_f64 v[30:31], v[30:31], -v[134:135]
	ds_read2_b64 v[134:137], v252 offset0:48 offset1:49
	v_add_f64 v[28:29], v[28:29], -v[112:113]
	s_waitcnt lgkmcnt(1)
	v_mul_f64 v[112:113], v[140:141], v[114:115]
	v_fma_f64 v[112:113], v[138:139], v[132:133], -v[112:113]
	v_mul_f64 v[138:139], v[138:139], v[114:115]
	v_fmac_f64_e32 v[138:139], v[140:141], v[132:133]
	v_add_f64 v[24:25], v[24:25], -v[112:113]
	v_add_f64 v[26:27], v[26:27], -v[138:139]
	ds_read2_b64 v[138:141], v252 offset0:50 offset1:51
	s_waitcnt lgkmcnt(1)
	v_mul_f64 v[112:113], v[136:137], v[114:115]
	v_fma_f64 v[112:113], v[134:135], v[132:133], -v[112:113]
	v_mul_f64 v[134:135], v[134:135], v[114:115]
	v_fmac_f64_e32 v[134:135], v[136:137], v[132:133]
	v_add_f64 v[22:23], v[22:23], -v[134:135]
	ds_read2_b64 v[134:137], v252 offset0:52 offset1:53
	v_add_f64 v[20:21], v[20:21], -v[112:113]
	s_waitcnt lgkmcnt(1)
	v_mul_f64 v[112:113], v[140:141], v[114:115]
	v_fma_f64 v[112:113], v[138:139], v[132:133], -v[112:113]
	v_mul_f64 v[138:139], v[138:139], v[114:115]
	v_fmac_f64_e32 v[138:139], v[140:141], v[132:133]
	s_waitcnt vmcnt(15)
	v_add_f64 v[16:17], v[16:17], -v[112:113]
	v_add_f64 v[18:19], v[18:19], -v[138:139]
	ds_read2_b64 v[138:141], v252 offset0:54 offset1:55
	s_waitcnt lgkmcnt(1)
	v_mul_f64 v[112:113], v[136:137], v[114:115]
	v_fma_f64 v[112:113], v[134:135], v[132:133], -v[112:113]
	v_mul_f64 v[134:135], v[134:135], v[114:115]
	v_fmac_f64_e32 v[134:135], v[136:137], v[132:133]
	s_waitcnt vmcnt(14)
	v_add_f64 v[14:15], v[14:15], -v[134:135]
	ds_read2_b64 v[134:137], v252 offset0:56 offset1:57
	v_add_f64 v[12:13], v[12:13], -v[112:113]
	s_waitcnt lgkmcnt(1)
	v_mul_f64 v[112:113], v[140:141], v[114:115]
	v_fma_f64 v[112:113], v[138:139], v[132:133], -v[112:113]
	v_mul_f64 v[138:139], v[138:139], v[114:115]
	v_fmac_f64_e32 v[138:139], v[140:141], v[132:133]
	s_waitcnt vmcnt(13)
	v_add_f64 v[8:9], v[8:9], -v[112:113]
	v_add_f64 v[10:11], v[10:11], -v[138:139]
	ds_read2_b64 v[138:141], v252 offset0:58 offset1:59
	s_waitcnt lgkmcnt(1)
	v_mul_f64 v[112:113], v[136:137], v[114:115]
	v_fma_f64 v[112:113], v[134:135], v[132:133], -v[112:113]
	v_mul_f64 v[134:135], v[134:135], v[114:115]
	v_fmac_f64_e32 v[134:135], v[136:137], v[132:133]
	s_waitcnt vmcnt(12)
	v_add_f64 v[6:7], v[6:7], -v[134:135]
	ds_read2_b64 v[134:137], v252 offset0:60 offset1:61
	v_add_f64 v[4:5], v[4:5], -v[112:113]
	s_waitcnt lgkmcnt(1)
	v_mul_f64 v[112:113], v[140:141], v[114:115]
	v_fma_f64 v[112:113], v[138:139], v[132:133], -v[112:113]
	s_waitcnt vmcnt(11)
	v_add_f64 v[0:1], v[0:1], -v[112:113]
	s_waitcnt lgkmcnt(0)
	v_mul_f64 v[112:113], v[136:137], v[114:115]
	v_mul_f64 v[138:139], v[138:139], v[114:115]
	v_fma_f64 v[112:113], v[134:135], v[132:133], -v[112:113]
	v_mul_f64 v[134:135], v[134:135], v[114:115]
	v_fmac_f64_e32 v[138:139], v[140:141], v[132:133]
	v_fmac_f64_e32 v[134:135], v[136:137], v[132:133]
	v_add_f64 v[2:3], v[2:3], -v[138:139]
	s_waitcnt vmcnt(10)
	v_add_f64 v[120:121], v[120:121], -v[112:113]
	v_add_f64 v[122:123], v[122:123], -v[134:135]
	v_mov_b64_e32 v[112:113], v[132:133]
.LBB61_19:
	s_or_b64 exec, exec, s[2:3]
	v_cmp_eq_u32_e32 vcc, 2, v254
	s_waitcnt lgkmcnt(0)
	s_barrier
	s_and_saveexec_b64 s[4:5], vcc
	s_cbranch_execz .LBB61_26
; %bb.20:
	s_waitcnt vmcnt(59)
	ds_write2_b64 v255, v[108:109], v[110:111] offset1:1
	s_waitcnt vmcnt(58)
	ds_write2_b64 v252, v[104:105], v[106:107] offset0:6 offset1:7
	s_waitcnt vmcnt(57)
	ds_write2_b64 v252, v[100:101], v[102:103] offset0:8 offset1:9
	;; [unrolled: 2-line block ×18, first 2 shown]
	ds_write2_b64 v252, v[32:33], v[34:35] offset0:42 offset1:43
	ds_write2_b64 v252, v[28:29], v[30:31] offset0:44 offset1:45
	;; [unrolled: 1-line block ×4, first 2 shown]
	s_waitcnt vmcnt(15)
	ds_write2_b64 v252, v[16:17], v[18:19] offset0:50 offset1:51
	s_waitcnt vmcnt(14)
	ds_write2_b64 v252, v[12:13], v[14:15] offset0:52 offset1:53
	;; [unrolled: 2-line block ×6, first 2 shown]
	ds_read2_b64 v[132:135], v255 offset1:1
	s_waitcnt lgkmcnt(0)
	v_cmp_neq_f64_e32 vcc, 0, v[132:133]
	v_cmp_neq_f64_e64 s[2:3], 0, v[134:135]
	s_or_b64 s[2:3], vcc, s[2:3]
	s_and_b64 exec, exec, s[2:3]
	s_cbranch_execz .LBB61_26
; %bb.21:
	v_cmp_ngt_f64_e64 s[2:3], |v[132:133]|, |v[134:135]|
                                        ; implicit-def: $vgpr136_vgpr137
	s_and_saveexec_b64 s[10:11], s[2:3]
	s_xor_b64 s[2:3], exec, s[10:11]
                                        ; implicit-def: $vgpr138_vgpr139
	s_cbranch_execz .LBB61_23
; %bb.22:
	v_div_scale_f64 v[136:137], s[10:11], v[134:135], v[134:135], v[132:133]
	v_rcp_f64_e32 v[138:139], v[136:137]
	v_div_scale_f64 v[140:141], vcc, v[132:133], v[134:135], v[132:133]
	v_fma_f64 v[142:143], -v[136:137], v[138:139], 1.0
	v_fmac_f64_e32 v[138:139], v[138:139], v[142:143]
	v_fma_f64 v[142:143], -v[136:137], v[138:139], 1.0
	v_fmac_f64_e32 v[138:139], v[138:139], v[142:143]
	v_mul_f64 v[142:143], v[140:141], v[138:139]
	v_fma_f64 v[136:137], -v[136:137], v[142:143], v[140:141]
	v_div_fmas_f64 v[136:137], v[136:137], v[138:139], v[142:143]
	v_div_fixup_f64 v[136:137], v[136:137], v[134:135], v[132:133]
	v_fmac_f64_e32 v[134:135], v[132:133], v[136:137]
	v_div_scale_f64 v[132:133], s[10:11], v[134:135], v[134:135], 1.0
	v_rcp_f64_e32 v[138:139], v[132:133]
	s_nop 0
	v_fma_f64 v[140:141], -v[132:133], v[138:139], 1.0
	v_fmac_f64_e32 v[138:139], v[138:139], v[140:141]
	v_fma_f64 v[140:141], -v[132:133], v[138:139], 1.0
	v_fmac_f64_e32 v[138:139], v[138:139], v[140:141]
	v_div_scale_f64 v[140:141], vcc, 1.0, v[134:135], 1.0
	v_mul_f64 v[142:143], v[140:141], v[138:139]
	v_fma_f64 v[132:133], -v[132:133], v[142:143], v[140:141]
	s_nop 1
	v_div_fmas_f64 v[132:133], v[132:133], v[138:139], v[142:143]
	v_div_fixup_f64 v[138:139], v[132:133], v[134:135], 1.0
	v_mul_f64 v[136:137], v[136:137], v[138:139]
	v_xor_b32_e32 v139, 0x80000000, v139
                                        ; implicit-def: $vgpr132_vgpr133
.LBB61_23:
	s_andn2_saveexec_b64 s[2:3], s[2:3]
	s_cbranch_execz .LBB61_25
; %bb.24:
	v_div_scale_f64 v[136:137], s[10:11], v[132:133], v[132:133], v[134:135]
	v_rcp_f64_e32 v[138:139], v[136:137]
	v_div_scale_f64 v[140:141], vcc, v[134:135], v[132:133], v[134:135]
	v_fma_f64 v[142:143], -v[136:137], v[138:139], 1.0
	v_fmac_f64_e32 v[138:139], v[138:139], v[142:143]
	v_fma_f64 v[142:143], -v[136:137], v[138:139], 1.0
	v_fmac_f64_e32 v[138:139], v[138:139], v[142:143]
	v_mul_f64 v[142:143], v[140:141], v[138:139]
	v_fma_f64 v[136:137], -v[136:137], v[142:143], v[140:141]
	v_div_fmas_f64 v[136:137], v[136:137], v[138:139], v[142:143]
	v_div_fixup_f64 v[138:139], v[136:137], v[132:133], v[134:135]
	v_fmac_f64_e32 v[132:133], v[134:135], v[138:139]
	v_div_scale_f64 v[134:135], s[10:11], v[132:133], v[132:133], 1.0
	v_rcp_f64_e32 v[136:137], v[134:135]
	s_nop 0
	v_fma_f64 v[140:141], -v[134:135], v[136:137], 1.0
	v_fmac_f64_e32 v[136:137], v[136:137], v[140:141]
	v_fma_f64 v[140:141], -v[134:135], v[136:137], 1.0
	v_fmac_f64_e32 v[136:137], v[136:137], v[140:141]
	v_div_scale_f64 v[140:141], vcc, 1.0, v[132:133], 1.0
	v_mul_f64 v[142:143], v[140:141], v[136:137]
	v_fma_f64 v[134:135], -v[134:135], v[142:143], v[140:141]
	s_nop 1
	v_div_fmas_f64 v[134:135], v[134:135], v[136:137], v[142:143]
	v_div_fixup_f64 v[136:137], v[134:135], v[132:133], 1.0
	v_mul_f64 v[138:139], v[138:139], -v[136:137]
.LBB61_25:
	s_or_b64 exec, exec, s[2:3]
	ds_write2_b64 v255, v[136:137], v[138:139] offset1:1
.LBB61_26:
	s_or_b64 exec, exec, s[4:5]
	s_waitcnt lgkmcnt(0)
	s_barrier
	ds_read2_b64 v[132:135], v255 offset1:1
	v_cmp_lt_u32_e32 vcc, 2, v254
	s_and_saveexec_b64 s[2:3], vcc
	s_cbranch_execz .LBB61_28
; %bb.27:
	ds_read2_b64 v[138:141], v252 offset0:6 offset1:7
	ds_read2_b64 v[142:145], v252 offset0:8 offset1:9
	s_waitcnt vmcnt(59) lgkmcnt(2)
	v_mul_f64 v[136:137], v[134:135], v[110:111]
	v_mul_f64 v[110:111], v[132:133], v[110:111]
	v_fmac_f64_e32 v[110:111], v[134:135], v[108:109]
	v_fma_f64 v[136:137], v[132:133], v[108:109], -v[136:137]
	s_waitcnt lgkmcnt(1)
	v_mul_f64 v[108:109], v[140:141], v[110:111]
	v_fma_f64 v[108:109], v[138:139], v[136:137], -v[108:109]
	v_mul_f64 v[138:139], v[138:139], v[110:111]
	v_fmac_f64_e32 v[138:139], v[140:141], v[136:137]
	s_waitcnt vmcnt(58)
	v_add_f64 v[104:105], v[104:105], -v[108:109]
	v_add_f64 v[106:107], v[106:107], -v[138:139]
	s_waitcnt lgkmcnt(0)
	v_mul_f64 v[108:109], v[144:145], v[110:111]
	ds_read2_b64 v[138:141], v252 offset0:10 offset1:11
	v_fma_f64 v[108:109], v[142:143], v[136:137], -v[108:109]
	v_mul_f64 v[142:143], v[142:143], v[110:111]
	v_fmac_f64_e32 v[142:143], v[144:145], v[136:137]
	s_waitcnt vmcnt(57)
	v_add_f64 v[102:103], v[102:103], -v[142:143]
	ds_read2_b64 v[142:145], v252 offset0:12 offset1:13
	v_add_f64 v[100:101], v[100:101], -v[108:109]
	s_waitcnt lgkmcnt(1)
	v_mul_f64 v[108:109], v[140:141], v[110:111]
	v_fma_f64 v[108:109], v[138:139], v[136:137], -v[108:109]
	v_mul_f64 v[138:139], v[138:139], v[110:111]
	v_fmac_f64_e32 v[138:139], v[140:141], v[136:137]
	s_waitcnt vmcnt(56)
	v_add_f64 v[96:97], v[96:97], -v[108:109]
	v_add_f64 v[98:99], v[98:99], -v[138:139]
	s_waitcnt lgkmcnt(0)
	v_mul_f64 v[108:109], v[144:145], v[110:111]
	ds_read2_b64 v[138:141], v252 offset0:14 offset1:15
	v_fma_f64 v[108:109], v[142:143], v[136:137], -v[108:109]
	v_mul_f64 v[142:143], v[142:143], v[110:111]
	v_fmac_f64_e32 v[142:143], v[144:145], v[136:137]
	s_waitcnt vmcnt(55)
	v_add_f64 v[94:95], v[94:95], -v[142:143]
	ds_read2_b64 v[142:145], v252 offset0:16 offset1:17
	v_add_f64 v[92:93], v[92:93], -v[108:109]
	;; [unrolled: 18-line block ×9, first 2 shown]
	s_waitcnt lgkmcnt(1)
	v_mul_f64 v[108:109], v[140:141], v[110:111]
	v_fma_f64 v[108:109], v[138:139], v[136:137], -v[108:109]
	v_mul_f64 v[138:139], v[138:139], v[110:111]
	v_fmac_f64_e32 v[138:139], v[140:141], v[136:137]
	v_add_f64 v[32:33], v[32:33], -v[108:109]
	v_add_f64 v[34:35], v[34:35], -v[138:139]
	s_waitcnt lgkmcnt(0)
	v_mul_f64 v[108:109], v[144:145], v[110:111]
	ds_read2_b64 v[138:141], v252 offset0:46 offset1:47
	v_fma_f64 v[108:109], v[142:143], v[136:137], -v[108:109]
	v_mul_f64 v[142:143], v[142:143], v[110:111]
	v_fmac_f64_e32 v[142:143], v[144:145], v[136:137]
	v_add_f64 v[30:31], v[30:31], -v[142:143]
	ds_read2_b64 v[142:145], v252 offset0:48 offset1:49
	v_add_f64 v[28:29], v[28:29], -v[108:109]
	s_waitcnt lgkmcnt(1)
	v_mul_f64 v[108:109], v[140:141], v[110:111]
	v_fma_f64 v[108:109], v[138:139], v[136:137], -v[108:109]
	v_mul_f64 v[138:139], v[138:139], v[110:111]
	v_fmac_f64_e32 v[138:139], v[140:141], v[136:137]
	v_add_f64 v[24:25], v[24:25], -v[108:109]
	v_add_f64 v[26:27], v[26:27], -v[138:139]
	s_waitcnt lgkmcnt(0)
	v_mul_f64 v[108:109], v[144:145], v[110:111]
	ds_read2_b64 v[138:141], v252 offset0:50 offset1:51
	v_fma_f64 v[108:109], v[142:143], v[136:137], -v[108:109]
	v_mul_f64 v[142:143], v[142:143], v[110:111]
	v_fmac_f64_e32 v[142:143], v[144:145], v[136:137]
	v_add_f64 v[22:23], v[22:23], -v[142:143]
	ds_read2_b64 v[142:145], v252 offset0:52 offset1:53
	v_add_f64 v[20:21], v[20:21], -v[108:109]
	s_waitcnt lgkmcnt(1)
	v_mul_f64 v[108:109], v[140:141], v[110:111]
	v_fma_f64 v[108:109], v[138:139], v[136:137], -v[108:109]
	v_mul_f64 v[138:139], v[138:139], v[110:111]
	v_fmac_f64_e32 v[138:139], v[140:141], v[136:137]
	s_waitcnt vmcnt(15)
	v_add_f64 v[16:17], v[16:17], -v[108:109]
	v_add_f64 v[18:19], v[18:19], -v[138:139]
	s_waitcnt lgkmcnt(0)
	v_mul_f64 v[108:109], v[144:145], v[110:111]
	ds_read2_b64 v[138:141], v252 offset0:54 offset1:55
	v_fma_f64 v[108:109], v[142:143], v[136:137], -v[108:109]
	v_mul_f64 v[142:143], v[142:143], v[110:111]
	v_fmac_f64_e32 v[142:143], v[144:145], v[136:137]
	s_waitcnt vmcnt(14)
	v_add_f64 v[14:15], v[14:15], -v[142:143]
	ds_read2_b64 v[142:145], v252 offset0:56 offset1:57
	v_add_f64 v[12:13], v[12:13], -v[108:109]
	s_waitcnt lgkmcnt(1)
	v_mul_f64 v[108:109], v[140:141], v[110:111]
	v_fma_f64 v[108:109], v[138:139], v[136:137], -v[108:109]
	v_mul_f64 v[138:139], v[138:139], v[110:111]
	v_fmac_f64_e32 v[138:139], v[140:141], v[136:137]
	s_waitcnt vmcnt(13)
	v_add_f64 v[8:9], v[8:9], -v[108:109]
	v_add_f64 v[10:11], v[10:11], -v[138:139]
	s_waitcnt lgkmcnt(0)
	v_mul_f64 v[108:109], v[144:145], v[110:111]
	ds_read2_b64 v[138:141], v252 offset0:58 offset1:59
	v_fma_f64 v[108:109], v[142:143], v[136:137], -v[108:109]
	v_mul_f64 v[142:143], v[142:143], v[110:111]
	v_fmac_f64_e32 v[142:143], v[144:145], v[136:137]
	s_waitcnt vmcnt(12)
	v_add_f64 v[6:7], v[6:7], -v[142:143]
	ds_read2_b64 v[142:145], v252 offset0:60 offset1:61
	v_add_f64 v[4:5], v[4:5], -v[108:109]
	s_waitcnt lgkmcnt(1)
	v_mul_f64 v[108:109], v[140:141], v[110:111]
	v_fma_f64 v[108:109], v[138:139], v[136:137], -v[108:109]
	v_mul_f64 v[138:139], v[138:139], v[110:111]
	v_fmac_f64_e32 v[138:139], v[140:141], v[136:137]
	s_waitcnt vmcnt(11)
	v_add_f64 v[0:1], v[0:1], -v[108:109]
	v_add_f64 v[2:3], v[2:3], -v[138:139]
	s_waitcnt lgkmcnt(0)
	v_mul_f64 v[108:109], v[144:145], v[110:111]
	v_mul_f64 v[138:139], v[142:143], v[110:111]
	v_fma_f64 v[108:109], v[142:143], v[136:137], -v[108:109]
	v_fmac_f64_e32 v[138:139], v[144:145], v[136:137]
	s_waitcnt vmcnt(10)
	v_add_f64 v[120:121], v[120:121], -v[108:109]
	v_add_f64 v[122:123], v[122:123], -v[138:139]
	v_mov_b64_e32 v[108:109], v[136:137]
.LBB61_28:
	s_or_b64 exec, exec, s[2:3]
	v_cmp_eq_u32_e32 vcc, 3, v254
	s_waitcnt lgkmcnt(0)
	s_barrier
	s_and_saveexec_b64 s[4:5], vcc
	s_cbranch_execz .LBB61_35
; %bb.29:
	s_waitcnt vmcnt(58)
	ds_write2_b64 v255, v[104:105], v[106:107] offset1:1
	s_waitcnt vmcnt(57)
	ds_write2_b64 v252, v[100:101], v[102:103] offset0:8 offset1:9
	s_waitcnt vmcnt(56)
	ds_write2_b64 v252, v[96:97], v[98:99] offset0:10 offset1:11
	;; [unrolled: 2-line block ×17, first 2 shown]
	ds_write2_b64 v252, v[32:33], v[34:35] offset0:42 offset1:43
	ds_write2_b64 v252, v[28:29], v[30:31] offset0:44 offset1:45
	;; [unrolled: 1-line block ×4, first 2 shown]
	s_waitcnt vmcnt(15)
	ds_write2_b64 v252, v[16:17], v[18:19] offset0:50 offset1:51
	s_waitcnt vmcnt(14)
	ds_write2_b64 v252, v[12:13], v[14:15] offset0:52 offset1:53
	;; [unrolled: 2-line block ×6, first 2 shown]
	ds_read2_b64 v[136:139], v255 offset1:1
	s_waitcnt lgkmcnt(0)
	v_cmp_neq_f64_e32 vcc, 0, v[136:137]
	v_cmp_neq_f64_e64 s[2:3], 0, v[138:139]
	s_or_b64 s[2:3], vcc, s[2:3]
	s_and_b64 exec, exec, s[2:3]
	s_cbranch_execz .LBB61_35
; %bb.30:
	v_cmp_ngt_f64_e64 s[2:3], |v[136:137]|, |v[138:139]|
                                        ; implicit-def: $vgpr140_vgpr141
	s_and_saveexec_b64 s[10:11], s[2:3]
	s_xor_b64 s[2:3], exec, s[10:11]
                                        ; implicit-def: $vgpr142_vgpr143
	s_cbranch_execz .LBB61_32
; %bb.31:
	v_div_scale_f64 v[140:141], s[10:11], v[138:139], v[138:139], v[136:137]
	v_rcp_f64_e32 v[142:143], v[140:141]
	v_div_scale_f64 v[144:145], vcc, v[136:137], v[138:139], v[136:137]
	v_fma_f64 v[146:147], -v[140:141], v[142:143], 1.0
	v_fmac_f64_e32 v[142:143], v[142:143], v[146:147]
	v_fma_f64 v[146:147], -v[140:141], v[142:143], 1.0
	v_fmac_f64_e32 v[142:143], v[142:143], v[146:147]
	v_mul_f64 v[146:147], v[144:145], v[142:143]
	v_fma_f64 v[140:141], -v[140:141], v[146:147], v[144:145]
	v_div_fmas_f64 v[140:141], v[140:141], v[142:143], v[146:147]
	v_div_fixup_f64 v[140:141], v[140:141], v[138:139], v[136:137]
	v_fmac_f64_e32 v[138:139], v[136:137], v[140:141]
	v_div_scale_f64 v[136:137], s[10:11], v[138:139], v[138:139], 1.0
	v_rcp_f64_e32 v[142:143], v[136:137]
	s_nop 0
	v_fma_f64 v[144:145], -v[136:137], v[142:143], 1.0
	v_fmac_f64_e32 v[142:143], v[142:143], v[144:145]
	v_fma_f64 v[144:145], -v[136:137], v[142:143], 1.0
	v_fmac_f64_e32 v[142:143], v[142:143], v[144:145]
	v_div_scale_f64 v[144:145], vcc, 1.0, v[138:139], 1.0
	v_mul_f64 v[146:147], v[144:145], v[142:143]
	v_fma_f64 v[136:137], -v[136:137], v[146:147], v[144:145]
	s_nop 1
	v_div_fmas_f64 v[136:137], v[136:137], v[142:143], v[146:147]
	v_div_fixup_f64 v[142:143], v[136:137], v[138:139], 1.0
	v_mul_f64 v[140:141], v[140:141], v[142:143]
	v_xor_b32_e32 v143, 0x80000000, v143
                                        ; implicit-def: $vgpr136_vgpr137
.LBB61_32:
	s_andn2_saveexec_b64 s[2:3], s[2:3]
	s_cbranch_execz .LBB61_34
; %bb.33:
	v_div_scale_f64 v[140:141], s[10:11], v[136:137], v[136:137], v[138:139]
	v_rcp_f64_e32 v[142:143], v[140:141]
	v_div_scale_f64 v[144:145], vcc, v[138:139], v[136:137], v[138:139]
	v_fma_f64 v[146:147], -v[140:141], v[142:143], 1.0
	v_fmac_f64_e32 v[142:143], v[142:143], v[146:147]
	v_fma_f64 v[146:147], -v[140:141], v[142:143], 1.0
	v_fmac_f64_e32 v[142:143], v[142:143], v[146:147]
	v_mul_f64 v[146:147], v[144:145], v[142:143]
	v_fma_f64 v[140:141], -v[140:141], v[146:147], v[144:145]
	v_div_fmas_f64 v[140:141], v[140:141], v[142:143], v[146:147]
	v_div_fixup_f64 v[142:143], v[140:141], v[136:137], v[138:139]
	v_fmac_f64_e32 v[136:137], v[138:139], v[142:143]
	v_div_scale_f64 v[138:139], s[10:11], v[136:137], v[136:137], 1.0
	v_rcp_f64_e32 v[140:141], v[138:139]
	s_nop 0
	v_fma_f64 v[144:145], -v[138:139], v[140:141], 1.0
	v_fmac_f64_e32 v[140:141], v[140:141], v[144:145]
	v_fma_f64 v[144:145], -v[138:139], v[140:141], 1.0
	v_fmac_f64_e32 v[140:141], v[140:141], v[144:145]
	v_div_scale_f64 v[144:145], vcc, 1.0, v[136:137], 1.0
	v_mul_f64 v[146:147], v[144:145], v[140:141]
	v_fma_f64 v[138:139], -v[138:139], v[146:147], v[144:145]
	s_nop 1
	v_div_fmas_f64 v[138:139], v[138:139], v[140:141], v[146:147]
	v_div_fixup_f64 v[140:141], v[138:139], v[136:137], 1.0
	v_mul_f64 v[142:143], v[142:143], -v[140:141]
.LBB61_34:
	s_or_b64 exec, exec, s[2:3]
	ds_write2_b64 v255, v[140:141], v[142:143] offset1:1
.LBB61_35:
	s_or_b64 exec, exec, s[4:5]
	s_waitcnt lgkmcnt(0)
	s_barrier
	ds_read2_b64 v[136:139], v255 offset1:1
	v_cmp_lt_u32_e32 vcc, 3, v254
	s_and_saveexec_b64 s[2:3], vcc
	s_cbranch_execz .LBB61_37
; %bb.36:
	ds_read2_b64 v[142:145], v252 offset0:8 offset1:9
	ds_read2_b64 v[146:149], v252 offset0:10 offset1:11
	s_waitcnt vmcnt(58) lgkmcnt(2)
	v_mul_f64 v[140:141], v[138:139], v[106:107]
	v_mul_f64 v[106:107], v[136:137], v[106:107]
	v_fmac_f64_e32 v[106:107], v[138:139], v[104:105]
	v_fma_f64 v[140:141], v[136:137], v[104:105], -v[140:141]
	s_waitcnt lgkmcnt(1)
	v_mul_f64 v[104:105], v[144:145], v[106:107]
	v_fma_f64 v[104:105], v[142:143], v[140:141], -v[104:105]
	v_mul_f64 v[142:143], v[142:143], v[106:107]
	v_fmac_f64_e32 v[142:143], v[144:145], v[140:141]
	s_waitcnt vmcnt(57)
	v_add_f64 v[102:103], v[102:103], -v[142:143]
	ds_read2_b64 v[142:145], v252 offset0:12 offset1:13
	v_add_f64 v[100:101], v[100:101], -v[104:105]
	s_waitcnt lgkmcnt(1)
	v_mul_f64 v[104:105], v[148:149], v[106:107]
	v_fma_f64 v[104:105], v[146:147], v[140:141], -v[104:105]
	v_mul_f64 v[146:147], v[146:147], v[106:107]
	v_fmac_f64_e32 v[146:147], v[148:149], v[140:141]
	s_waitcnt vmcnt(56)
	v_add_f64 v[96:97], v[96:97], -v[104:105]
	v_add_f64 v[98:99], v[98:99], -v[146:147]
	ds_read2_b64 v[146:149], v252 offset0:14 offset1:15
	s_waitcnt lgkmcnt(1)
	v_mul_f64 v[104:105], v[144:145], v[106:107]
	v_fma_f64 v[104:105], v[142:143], v[140:141], -v[104:105]
	v_mul_f64 v[142:143], v[142:143], v[106:107]
	v_fmac_f64_e32 v[142:143], v[144:145], v[140:141]
	s_waitcnt vmcnt(55)
	v_add_f64 v[94:95], v[94:95], -v[142:143]
	ds_read2_b64 v[142:145], v252 offset0:16 offset1:17
	v_add_f64 v[92:93], v[92:93], -v[104:105]
	s_waitcnt lgkmcnt(1)
	v_mul_f64 v[104:105], v[148:149], v[106:107]
	v_fma_f64 v[104:105], v[146:147], v[140:141], -v[104:105]
	v_mul_f64 v[146:147], v[146:147], v[106:107]
	v_fmac_f64_e32 v[146:147], v[148:149], v[140:141]
	s_waitcnt vmcnt(54)
	v_add_f64 v[88:89], v[88:89], -v[104:105]
	v_add_f64 v[90:91], v[90:91], -v[146:147]
	ds_read2_b64 v[146:149], v252 offset0:18 offset1:19
	;; [unrolled: 18-line block ×8, first 2 shown]
	s_waitcnt lgkmcnt(1)
	v_mul_f64 v[104:105], v[144:145], v[106:107]
	v_fma_f64 v[104:105], v[142:143], v[140:141], -v[104:105]
	v_mul_f64 v[142:143], v[142:143], v[106:107]
	v_fmac_f64_e32 v[142:143], v[144:145], v[140:141]
	s_waitcnt vmcnt(16)
	v_add_f64 v[38:39], v[38:39], -v[142:143]
	ds_read2_b64 v[142:145], v252 offset0:44 offset1:45
	v_add_f64 v[36:37], v[36:37], -v[104:105]
	s_waitcnt lgkmcnt(1)
	v_mul_f64 v[104:105], v[148:149], v[106:107]
	v_fma_f64 v[104:105], v[146:147], v[140:141], -v[104:105]
	v_mul_f64 v[146:147], v[146:147], v[106:107]
	v_fmac_f64_e32 v[146:147], v[148:149], v[140:141]
	v_add_f64 v[32:33], v[32:33], -v[104:105]
	v_add_f64 v[34:35], v[34:35], -v[146:147]
	ds_read2_b64 v[146:149], v252 offset0:46 offset1:47
	s_waitcnt lgkmcnt(1)
	v_mul_f64 v[104:105], v[144:145], v[106:107]
	v_fma_f64 v[104:105], v[142:143], v[140:141], -v[104:105]
	v_mul_f64 v[142:143], v[142:143], v[106:107]
	v_fmac_f64_e32 v[142:143], v[144:145], v[140:141]
	v_add_f64 v[30:31], v[30:31], -v[142:143]
	ds_read2_b64 v[142:145], v252 offset0:48 offset1:49
	v_add_f64 v[28:29], v[28:29], -v[104:105]
	s_waitcnt lgkmcnt(1)
	v_mul_f64 v[104:105], v[148:149], v[106:107]
	v_fma_f64 v[104:105], v[146:147], v[140:141], -v[104:105]
	v_mul_f64 v[146:147], v[146:147], v[106:107]
	v_fmac_f64_e32 v[146:147], v[148:149], v[140:141]
	v_add_f64 v[24:25], v[24:25], -v[104:105]
	v_add_f64 v[26:27], v[26:27], -v[146:147]
	ds_read2_b64 v[146:149], v252 offset0:50 offset1:51
	s_waitcnt lgkmcnt(1)
	v_mul_f64 v[104:105], v[144:145], v[106:107]
	v_fma_f64 v[104:105], v[142:143], v[140:141], -v[104:105]
	v_mul_f64 v[142:143], v[142:143], v[106:107]
	v_fmac_f64_e32 v[142:143], v[144:145], v[140:141]
	v_add_f64 v[22:23], v[22:23], -v[142:143]
	ds_read2_b64 v[142:145], v252 offset0:52 offset1:53
	v_add_f64 v[20:21], v[20:21], -v[104:105]
	s_waitcnt lgkmcnt(1)
	v_mul_f64 v[104:105], v[148:149], v[106:107]
	v_fma_f64 v[104:105], v[146:147], v[140:141], -v[104:105]
	v_mul_f64 v[146:147], v[146:147], v[106:107]
	v_fmac_f64_e32 v[146:147], v[148:149], v[140:141]
	s_waitcnt vmcnt(15)
	v_add_f64 v[16:17], v[16:17], -v[104:105]
	v_add_f64 v[18:19], v[18:19], -v[146:147]
	ds_read2_b64 v[146:149], v252 offset0:54 offset1:55
	s_waitcnt lgkmcnt(1)
	v_mul_f64 v[104:105], v[144:145], v[106:107]
	v_fma_f64 v[104:105], v[142:143], v[140:141], -v[104:105]
	v_mul_f64 v[142:143], v[142:143], v[106:107]
	v_fmac_f64_e32 v[142:143], v[144:145], v[140:141]
	s_waitcnt vmcnt(14)
	v_add_f64 v[14:15], v[14:15], -v[142:143]
	ds_read2_b64 v[142:145], v252 offset0:56 offset1:57
	v_add_f64 v[12:13], v[12:13], -v[104:105]
	s_waitcnt lgkmcnt(1)
	v_mul_f64 v[104:105], v[148:149], v[106:107]
	v_fma_f64 v[104:105], v[146:147], v[140:141], -v[104:105]
	v_mul_f64 v[146:147], v[146:147], v[106:107]
	v_fmac_f64_e32 v[146:147], v[148:149], v[140:141]
	s_waitcnt vmcnt(13)
	v_add_f64 v[8:9], v[8:9], -v[104:105]
	v_add_f64 v[10:11], v[10:11], -v[146:147]
	ds_read2_b64 v[146:149], v252 offset0:58 offset1:59
	s_waitcnt lgkmcnt(1)
	v_mul_f64 v[104:105], v[144:145], v[106:107]
	v_fma_f64 v[104:105], v[142:143], v[140:141], -v[104:105]
	v_mul_f64 v[142:143], v[142:143], v[106:107]
	v_fmac_f64_e32 v[142:143], v[144:145], v[140:141]
	s_waitcnt vmcnt(12)
	v_add_f64 v[6:7], v[6:7], -v[142:143]
	ds_read2_b64 v[142:145], v252 offset0:60 offset1:61
	v_add_f64 v[4:5], v[4:5], -v[104:105]
	s_waitcnt lgkmcnt(1)
	v_mul_f64 v[104:105], v[148:149], v[106:107]
	v_fma_f64 v[104:105], v[146:147], v[140:141], -v[104:105]
	s_waitcnt vmcnt(11)
	v_add_f64 v[0:1], v[0:1], -v[104:105]
	s_waitcnt lgkmcnt(0)
	v_mul_f64 v[104:105], v[144:145], v[106:107]
	v_mul_f64 v[146:147], v[146:147], v[106:107]
	v_fma_f64 v[104:105], v[142:143], v[140:141], -v[104:105]
	v_mul_f64 v[142:143], v[142:143], v[106:107]
	v_fmac_f64_e32 v[146:147], v[148:149], v[140:141]
	v_fmac_f64_e32 v[142:143], v[144:145], v[140:141]
	v_add_f64 v[2:3], v[2:3], -v[146:147]
	s_waitcnt vmcnt(10)
	v_add_f64 v[120:121], v[120:121], -v[104:105]
	v_add_f64 v[122:123], v[122:123], -v[142:143]
	v_mov_b64_e32 v[104:105], v[140:141]
.LBB61_37:
	s_or_b64 exec, exec, s[2:3]
	v_cmp_eq_u32_e32 vcc, 4, v254
	s_waitcnt lgkmcnt(0)
	s_barrier
	s_and_saveexec_b64 s[4:5], vcc
	s_cbranch_execz .LBB61_44
; %bb.38:
	s_waitcnt vmcnt(57)
	ds_write2_b64 v255, v[100:101], v[102:103] offset1:1
	s_waitcnt vmcnt(56)
	ds_write2_b64 v252, v[96:97], v[98:99] offset0:10 offset1:11
	s_waitcnt vmcnt(55)
	ds_write2_b64 v252, v[92:93], v[94:95] offset0:12 offset1:13
	;; [unrolled: 2-line block ×16, first 2 shown]
	ds_write2_b64 v252, v[32:33], v[34:35] offset0:42 offset1:43
	ds_write2_b64 v252, v[28:29], v[30:31] offset0:44 offset1:45
	;; [unrolled: 1-line block ×4, first 2 shown]
	s_waitcnt vmcnt(15)
	ds_write2_b64 v252, v[16:17], v[18:19] offset0:50 offset1:51
	s_waitcnt vmcnt(14)
	ds_write2_b64 v252, v[12:13], v[14:15] offset0:52 offset1:53
	;; [unrolled: 2-line block ×6, first 2 shown]
	ds_read2_b64 v[140:143], v255 offset1:1
	s_waitcnt lgkmcnt(0)
	v_cmp_neq_f64_e32 vcc, 0, v[140:141]
	v_cmp_neq_f64_e64 s[2:3], 0, v[142:143]
	s_or_b64 s[2:3], vcc, s[2:3]
	s_and_b64 exec, exec, s[2:3]
	s_cbranch_execz .LBB61_44
; %bb.39:
	v_cmp_ngt_f64_e64 s[2:3], |v[140:141]|, |v[142:143]|
                                        ; implicit-def: $vgpr144_vgpr145
	s_and_saveexec_b64 s[10:11], s[2:3]
	s_xor_b64 s[2:3], exec, s[10:11]
                                        ; implicit-def: $vgpr146_vgpr147
	s_cbranch_execz .LBB61_41
; %bb.40:
	v_div_scale_f64 v[144:145], s[10:11], v[142:143], v[142:143], v[140:141]
	v_rcp_f64_e32 v[146:147], v[144:145]
	v_div_scale_f64 v[148:149], vcc, v[140:141], v[142:143], v[140:141]
	v_fma_f64 v[150:151], -v[144:145], v[146:147], 1.0
	v_fmac_f64_e32 v[146:147], v[146:147], v[150:151]
	v_fma_f64 v[150:151], -v[144:145], v[146:147], 1.0
	v_fmac_f64_e32 v[146:147], v[146:147], v[150:151]
	v_mul_f64 v[150:151], v[148:149], v[146:147]
	v_fma_f64 v[144:145], -v[144:145], v[150:151], v[148:149]
	v_div_fmas_f64 v[144:145], v[144:145], v[146:147], v[150:151]
	v_div_fixup_f64 v[144:145], v[144:145], v[142:143], v[140:141]
	v_fmac_f64_e32 v[142:143], v[140:141], v[144:145]
	v_div_scale_f64 v[140:141], s[10:11], v[142:143], v[142:143], 1.0
	v_rcp_f64_e32 v[146:147], v[140:141]
	s_nop 0
	v_fma_f64 v[148:149], -v[140:141], v[146:147], 1.0
	v_fmac_f64_e32 v[146:147], v[146:147], v[148:149]
	v_fma_f64 v[148:149], -v[140:141], v[146:147], 1.0
	v_fmac_f64_e32 v[146:147], v[146:147], v[148:149]
	v_div_scale_f64 v[148:149], vcc, 1.0, v[142:143], 1.0
	v_mul_f64 v[150:151], v[148:149], v[146:147]
	v_fma_f64 v[140:141], -v[140:141], v[150:151], v[148:149]
	s_nop 1
	v_div_fmas_f64 v[140:141], v[140:141], v[146:147], v[150:151]
	v_div_fixup_f64 v[146:147], v[140:141], v[142:143], 1.0
	v_mul_f64 v[144:145], v[144:145], v[146:147]
	v_xor_b32_e32 v147, 0x80000000, v147
                                        ; implicit-def: $vgpr140_vgpr141
.LBB61_41:
	s_andn2_saveexec_b64 s[2:3], s[2:3]
	s_cbranch_execz .LBB61_43
; %bb.42:
	v_div_scale_f64 v[144:145], s[10:11], v[140:141], v[140:141], v[142:143]
	v_rcp_f64_e32 v[146:147], v[144:145]
	v_div_scale_f64 v[148:149], vcc, v[142:143], v[140:141], v[142:143]
	v_fma_f64 v[150:151], -v[144:145], v[146:147], 1.0
	v_fmac_f64_e32 v[146:147], v[146:147], v[150:151]
	v_fma_f64 v[150:151], -v[144:145], v[146:147], 1.0
	v_fmac_f64_e32 v[146:147], v[146:147], v[150:151]
	v_mul_f64 v[150:151], v[148:149], v[146:147]
	v_fma_f64 v[144:145], -v[144:145], v[150:151], v[148:149]
	v_div_fmas_f64 v[144:145], v[144:145], v[146:147], v[150:151]
	v_div_fixup_f64 v[146:147], v[144:145], v[140:141], v[142:143]
	v_fmac_f64_e32 v[140:141], v[142:143], v[146:147]
	v_div_scale_f64 v[142:143], s[10:11], v[140:141], v[140:141], 1.0
	v_rcp_f64_e32 v[144:145], v[142:143]
	s_nop 0
	v_fma_f64 v[148:149], -v[142:143], v[144:145], 1.0
	v_fmac_f64_e32 v[144:145], v[144:145], v[148:149]
	v_fma_f64 v[148:149], -v[142:143], v[144:145], 1.0
	v_fmac_f64_e32 v[144:145], v[144:145], v[148:149]
	v_div_scale_f64 v[148:149], vcc, 1.0, v[140:141], 1.0
	v_mul_f64 v[150:151], v[148:149], v[144:145]
	v_fma_f64 v[142:143], -v[142:143], v[150:151], v[148:149]
	s_nop 1
	v_div_fmas_f64 v[142:143], v[142:143], v[144:145], v[150:151]
	v_div_fixup_f64 v[144:145], v[142:143], v[140:141], 1.0
	v_mul_f64 v[146:147], v[146:147], -v[144:145]
.LBB61_43:
	s_or_b64 exec, exec, s[2:3]
	ds_write2_b64 v255, v[144:145], v[146:147] offset1:1
.LBB61_44:
	s_or_b64 exec, exec, s[4:5]
	s_waitcnt lgkmcnt(0)
	s_barrier
	ds_read2_b64 v[140:143], v255 offset1:1
	v_cmp_lt_u32_e32 vcc, 4, v254
	s_and_saveexec_b64 s[2:3], vcc
	s_cbranch_execz .LBB61_46
; %bb.45:
	ds_read2_b64 v[146:149], v252 offset0:10 offset1:11
	ds_read2_b64 v[150:153], v252 offset0:12 offset1:13
	s_waitcnt vmcnt(57) lgkmcnt(2)
	v_mul_f64 v[144:145], v[142:143], v[102:103]
	v_mul_f64 v[102:103], v[140:141], v[102:103]
	v_fmac_f64_e32 v[102:103], v[142:143], v[100:101]
	v_fma_f64 v[144:145], v[140:141], v[100:101], -v[144:145]
	s_waitcnt lgkmcnt(1)
	v_mul_f64 v[100:101], v[148:149], v[102:103]
	v_fma_f64 v[100:101], v[146:147], v[144:145], -v[100:101]
	v_mul_f64 v[146:147], v[146:147], v[102:103]
	v_fmac_f64_e32 v[146:147], v[148:149], v[144:145]
	s_waitcnt vmcnt(56)
	v_add_f64 v[96:97], v[96:97], -v[100:101]
	v_add_f64 v[98:99], v[98:99], -v[146:147]
	s_waitcnt lgkmcnt(0)
	v_mul_f64 v[100:101], v[152:153], v[102:103]
	ds_read2_b64 v[146:149], v252 offset0:14 offset1:15
	v_fma_f64 v[100:101], v[150:151], v[144:145], -v[100:101]
	v_mul_f64 v[150:151], v[150:151], v[102:103]
	v_fmac_f64_e32 v[150:151], v[152:153], v[144:145]
	s_waitcnt vmcnt(55)
	v_add_f64 v[94:95], v[94:95], -v[150:151]
	ds_read2_b64 v[150:153], v252 offset0:16 offset1:17
	v_add_f64 v[92:93], v[92:93], -v[100:101]
	s_waitcnt lgkmcnt(1)
	v_mul_f64 v[100:101], v[148:149], v[102:103]
	v_fma_f64 v[100:101], v[146:147], v[144:145], -v[100:101]
	v_mul_f64 v[146:147], v[146:147], v[102:103]
	v_fmac_f64_e32 v[146:147], v[148:149], v[144:145]
	s_waitcnt vmcnt(54)
	v_add_f64 v[88:89], v[88:89], -v[100:101]
	v_add_f64 v[90:91], v[90:91], -v[146:147]
	s_waitcnt lgkmcnt(0)
	v_mul_f64 v[100:101], v[152:153], v[102:103]
	ds_read2_b64 v[146:149], v252 offset0:18 offset1:19
	v_fma_f64 v[100:101], v[150:151], v[144:145], -v[100:101]
	v_mul_f64 v[150:151], v[150:151], v[102:103]
	v_fmac_f64_e32 v[150:151], v[152:153], v[144:145]
	s_waitcnt vmcnt(53)
	v_add_f64 v[86:87], v[86:87], -v[150:151]
	ds_read2_b64 v[150:153], v252 offset0:20 offset1:21
	v_add_f64 v[84:85], v[84:85], -v[100:101]
	;; [unrolled: 18-line block ×8, first 2 shown]
	s_waitcnt lgkmcnt(1)
	v_mul_f64 v[100:101], v[148:149], v[102:103]
	v_fma_f64 v[100:101], v[146:147], v[144:145], -v[100:101]
	v_mul_f64 v[146:147], v[146:147], v[102:103]
	v_fmac_f64_e32 v[146:147], v[148:149], v[144:145]
	v_add_f64 v[32:33], v[32:33], -v[100:101]
	v_add_f64 v[34:35], v[34:35], -v[146:147]
	s_waitcnt lgkmcnt(0)
	v_mul_f64 v[100:101], v[152:153], v[102:103]
	ds_read2_b64 v[146:149], v252 offset0:46 offset1:47
	v_fma_f64 v[100:101], v[150:151], v[144:145], -v[100:101]
	v_mul_f64 v[150:151], v[150:151], v[102:103]
	v_fmac_f64_e32 v[150:151], v[152:153], v[144:145]
	v_add_f64 v[30:31], v[30:31], -v[150:151]
	ds_read2_b64 v[150:153], v252 offset0:48 offset1:49
	v_add_f64 v[28:29], v[28:29], -v[100:101]
	s_waitcnt lgkmcnt(1)
	v_mul_f64 v[100:101], v[148:149], v[102:103]
	v_fma_f64 v[100:101], v[146:147], v[144:145], -v[100:101]
	v_mul_f64 v[146:147], v[146:147], v[102:103]
	v_fmac_f64_e32 v[146:147], v[148:149], v[144:145]
	v_add_f64 v[24:25], v[24:25], -v[100:101]
	v_add_f64 v[26:27], v[26:27], -v[146:147]
	s_waitcnt lgkmcnt(0)
	v_mul_f64 v[100:101], v[152:153], v[102:103]
	ds_read2_b64 v[146:149], v252 offset0:50 offset1:51
	v_fma_f64 v[100:101], v[150:151], v[144:145], -v[100:101]
	v_mul_f64 v[150:151], v[150:151], v[102:103]
	v_fmac_f64_e32 v[150:151], v[152:153], v[144:145]
	v_add_f64 v[22:23], v[22:23], -v[150:151]
	ds_read2_b64 v[150:153], v252 offset0:52 offset1:53
	v_add_f64 v[20:21], v[20:21], -v[100:101]
	s_waitcnt lgkmcnt(1)
	v_mul_f64 v[100:101], v[148:149], v[102:103]
	v_fma_f64 v[100:101], v[146:147], v[144:145], -v[100:101]
	v_mul_f64 v[146:147], v[146:147], v[102:103]
	v_fmac_f64_e32 v[146:147], v[148:149], v[144:145]
	s_waitcnt vmcnt(15)
	v_add_f64 v[16:17], v[16:17], -v[100:101]
	v_add_f64 v[18:19], v[18:19], -v[146:147]
	s_waitcnt lgkmcnt(0)
	v_mul_f64 v[100:101], v[152:153], v[102:103]
	ds_read2_b64 v[146:149], v252 offset0:54 offset1:55
	v_fma_f64 v[100:101], v[150:151], v[144:145], -v[100:101]
	v_mul_f64 v[150:151], v[150:151], v[102:103]
	v_fmac_f64_e32 v[150:151], v[152:153], v[144:145]
	s_waitcnt vmcnt(14)
	v_add_f64 v[14:15], v[14:15], -v[150:151]
	ds_read2_b64 v[150:153], v252 offset0:56 offset1:57
	v_add_f64 v[12:13], v[12:13], -v[100:101]
	s_waitcnt lgkmcnt(1)
	v_mul_f64 v[100:101], v[148:149], v[102:103]
	v_fma_f64 v[100:101], v[146:147], v[144:145], -v[100:101]
	v_mul_f64 v[146:147], v[146:147], v[102:103]
	v_fmac_f64_e32 v[146:147], v[148:149], v[144:145]
	s_waitcnt vmcnt(13)
	v_add_f64 v[8:9], v[8:9], -v[100:101]
	v_add_f64 v[10:11], v[10:11], -v[146:147]
	s_waitcnt lgkmcnt(0)
	v_mul_f64 v[100:101], v[152:153], v[102:103]
	ds_read2_b64 v[146:149], v252 offset0:58 offset1:59
	v_fma_f64 v[100:101], v[150:151], v[144:145], -v[100:101]
	v_mul_f64 v[150:151], v[150:151], v[102:103]
	v_fmac_f64_e32 v[150:151], v[152:153], v[144:145]
	s_waitcnt vmcnt(12)
	v_add_f64 v[6:7], v[6:7], -v[150:151]
	ds_read2_b64 v[150:153], v252 offset0:60 offset1:61
	v_add_f64 v[4:5], v[4:5], -v[100:101]
	s_waitcnt lgkmcnt(1)
	v_mul_f64 v[100:101], v[148:149], v[102:103]
	v_fma_f64 v[100:101], v[146:147], v[144:145], -v[100:101]
	v_mul_f64 v[146:147], v[146:147], v[102:103]
	v_fmac_f64_e32 v[146:147], v[148:149], v[144:145]
	s_waitcnt vmcnt(11)
	v_add_f64 v[0:1], v[0:1], -v[100:101]
	v_add_f64 v[2:3], v[2:3], -v[146:147]
	s_waitcnt lgkmcnt(0)
	v_mul_f64 v[100:101], v[152:153], v[102:103]
	v_mul_f64 v[146:147], v[150:151], v[102:103]
	v_fma_f64 v[100:101], v[150:151], v[144:145], -v[100:101]
	v_fmac_f64_e32 v[146:147], v[152:153], v[144:145]
	s_waitcnt vmcnt(10)
	v_add_f64 v[120:121], v[120:121], -v[100:101]
	v_add_f64 v[122:123], v[122:123], -v[146:147]
	v_mov_b64_e32 v[100:101], v[144:145]
.LBB61_46:
	s_or_b64 exec, exec, s[2:3]
	v_cmp_eq_u32_e32 vcc, 5, v254
	s_waitcnt lgkmcnt(0)
	s_barrier
	s_and_saveexec_b64 s[4:5], vcc
	s_cbranch_execz .LBB61_53
; %bb.47:
	s_waitcnt vmcnt(56)
	ds_write2_b64 v255, v[96:97], v[98:99] offset1:1
	s_waitcnt vmcnt(55)
	ds_write2_b64 v252, v[92:93], v[94:95] offset0:12 offset1:13
	s_waitcnt vmcnt(54)
	ds_write2_b64 v252, v[88:89], v[90:91] offset0:14 offset1:15
	;; [unrolled: 2-line block ×15, first 2 shown]
	ds_write2_b64 v252, v[32:33], v[34:35] offset0:42 offset1:43
	ds_write2_b64 v252, v[28:29], v[30:31] offset0:44 offset1:45
	;; [unrolled: 1-line block ×4, first 2 shown]
	s_waitcnt vmcnt(15)
	ds_write2_b64 v252, v[16:17], v[18:19] offset0:50 offset1:51
	s_waitcnt vmcnt(14)
	ds_write2_b64 v252, v[12:13], v[14:15] offset0:52 offset1:53
	s_waitcnt vmcnt(13)
	ds_write2_b64 v252, v[8:9], v[10:11] offset0:54 offset1:55
	s_waitcnt vmcnt(12)
	ds_write2_b64 v252, v[4:5], v[6:7] offset0:56 offset1:57
	s_waitcnt vmcnt(11)
	ds_write2_b64 v252, v[0:1], v[2:3] offset0:58 offset1:59
	s_waitcnt vmcnt(10)
	ds_write2_b64 v252, v[120:121], v[122:123] offset0:60 offset1:61
	ds_read2_b64 v[144:147], v255 offset1:1
	s_waitcnt lgkmcnt(0)
	v_cmp_neq_f64_e32 vcc, 0, v[144:145]
	v_cmp_neq_f64_e64 s[2:3], 0, v[146:147]
	s_or_b64 s[2:3], vcc, s[2:3]
	s_and_b64 exec, exec, s[2:3]
	s_cbranch_execz .LBB61_53
; %bb.48:
	v_cmp_ngt_f64_e64 s[2:3], |v[144:145]|, |v[146:147]|
                                        ; implicit-def: $vgpr148_vgpr149
	s_and_saveexec_b64 s[10:11], s[2:3]
	s_xor_b64 s[2:3], exec, s[10:11]
                                        ; implicit-def: $vgpr150_vgpr151
	s_cbranch_execz .LBB61_50
; %bb.49:
	v_div_scale_f64 v[148:149], s[10:11], v[146:147], v[146:147], v[144:145]
	v_rcp_f64_e32 v[150:151], v[148:149]
	v_div_scale_f64 v[152:153], vcc, v[144:145], v[146:147], v[144:145]
	v_fma_f64 v[154:155], -v[148:149], v[150:151], 1.0
	v_fmac_f64_e32 v[150:151], v[150:151], v[154:155]
	v_fma_f64 v[154:155], -v[148:149], v[150:151], 1.0
	v_fmac_f64_e32 v[150:151], v[150:151], v[154:155]
	v_mul_f64 v[154:155], v[152:153], v[150:151]
	v_fma_f64 v[148:149], -v[148:149], v[154:155], v[152:153]
	v_div_fmas_f64 v[148:149], v[148:149], v[150:151], v[154:155]
	v_div_fixup_f64 v[148:149], v[148:149], v[146:147], v[144:145]
	v_fmac_f64_e32 v[146:147], v[144:145], v[148:149]
	v_div_scale_f64 v[144:145], s[10:11], v[146:147], v[146:147], 1.0
	v_rcp_f64_e32 v[150:151], v[144:145]
	s_nop 0
	v_fma_f64 v[152:153], -v[144:145], v[150:151], 1.0
	v_fmac_f64_e32 v[150:151], v[150:151], v[152:153]
	v_fma_f64 v[152:153], -v[144:145], v[150:151], 1.0
	v_fmac_f64_e32 v[150:151], v[150:151], v[152:153]
	v_div_scale_f64 v[152:153], vcc, 1.0, v[146:147], 1.0
	v_mul_f64 v[154:155], v[152:153], v[150:151]
	v_fma_f64 v[144:145], -v[144:145], v[154:155], v[152:153]
	s_nop 1
	v_div_fmas_f64 v[144:145], v[144:145], v[150:151], v[154:155]
	v_div_fixup_f64 v[150:151], v[144:145], v[146:147], 1.0
	v_mul_f64 v[148:149], v[148:149], v[150:151]
	v_xor_b32_e32 v151, 0x80000000, v151
                                        ; implicit-def: $vgpr144_vgpr145
.LBB61_50:
	s_andn2_saveexec_b64 s[2:3], s[2:3]
	s_cbranch_execz .LBB61_52
; %bb.51:
	v_div_scale_f64 v[148:149], s[10:11], v[144:145], v[144:145], v[146:147]
	v_rcp_f64_e32 v[150:151], v[148:149]
	v_div_scale_f64 v[152:153], vcc, v[146:147], v[144:145], v[146:147]
	v_fma_f64 v[154:155], -v[148:149], v[150:151], 1.0
	v_fmac_f64_e32 v[150:151], v[150:151], v[154:155]
	v_fma_f64 v[154:155], -v[148:149], v[150:151], 1.0
	v_fmac_f64_e32 v[150:151], v[150:151], v[154:155]
	v_mul_f64 v[154:155], v[152:153], v[150:151]
	v_fma_f64 v[148:149], -v[148:149], v[154:155], v[152:153]
	v_div_fmas_f64 v[148:149], v[148:149], v[150:151], v[154:155]
	v_div_fixup_f64 v[150:151], v[148:149], v[144:145], v[146:147]
	v_fmac_f64_e32 v[144:145], v[146:147], v[150:151]
	v_div_scale_f64 v[146:147], s[10:11], v[144:145], v[144:145], 1.0
	v_rcp_f64_e32 v[148:149], v[146:147]
	s_nop 0
	v_fma_f64 v[152:153], -v[146:147], v[148:149], 1.0
	v_fmac_f64_e32 v[148:149], v[148:149], v[152:153]
	v_fma_f64 v[152:153], -v[146:147], v[148:149], 1.0
	v_fmac_f64_e32 v[148:149], v[148:149], v[152:153]
	v_div_scale_f64 v[152:153], vcc, 1.0, v[144:145], 1.0
	v_mul_f64 v[154:155], v[152:153], v[148:149]
	v_fma_f64 v[146:147], -v[146:147], v[154:155], v[152:153]
	s_nop 1
	v_div_fmas_f64 v[146:147], v[146:147], v[148:149], v[154:155]
	v_div_fixup_f64 v[148:149], v[146:147], v[144:145], 1.0
	v_mul_f64 v[150:151], v[150:151], -v[148:149]
.LBB61_52:
	s_or_b64 exec, exec, s[2:3]
	ds_write2_b64 v255, v[148:149], v[150:151] offset1:1
.LBB61_53:
	s_or_b64 exec, exec, s[4:5]
	s_waitcnt lgkmcnt(0)
	s_barrier
	ds_read2_b64 v[144:147], v255 offset1:1
	v_cmp_lt_u32_e32 vcc, 5, v254
	s_and_saveexec_b64 s[2:3], vcc
	s_cbranch_execz .LBB61_55
; %bb.54:
	ds_read2_b64 v[150:153], v252 offset0:12 offset1:13
	ds_read2_b64 v[154:157], v252 offset0:14 offset1:15
	s_waitcnt vmcnt(56) lgkmcnt(2)
	v_mul_f64 v[148:149], v[146:147], v[98:99]
	v_mul_f64 v[98:99], v[144:145], v[98:99]
	v_fmac_f64_e32 v[98:99], v[146:147], v[96:97]
	v_fma_f64 v[148:149], v[144:145], v[96:97], -v[148:149]
	s_waitcnt lgkmcnt(1)
	v_mul_f64 v[96:97], v[152:153], v[98:99]
	v_fma_f64 v[96:97], v[150:151], v[148:149], -v[96:97]
	v_mul_f64 v[150:151], v[150:151], v[98:99]
	v_fmac_f64_e32 v[150:151], v[152:153], v[148:149]
	s_waitcnt vmcnt(55)
	v_add_f64 v[94:95], v[94:95], -v[150:151]
	ds_read2_b64 v[150:153], v252 offset0:16 offset1:17
	v_add_f64 v[92:93], v[92:93], -v[96:97]
	s_waitcnt lgkmcnt(1)
	v_mul_f64 v[96:97], v[156:157], v[98:99]
	v_fma_f64 v[96:97], v[154:155], v[148:149], -v[96:97]
	v_mul_f64 v[154:155], v[154:155], v[98:99]
	v_fmac_f64_e32 v[154:155], v[156:157], v[148:149]
	s_waitcnt vmcnt(54)
	v_add_f64 v[88:89], v[88:89], -v[96:97]
	v_add_f64 v[90:91], v[90:91], -v[154:155]
	ds_read2_b64 v[154:157], v252 offset0:18 offset1:19
	s_waitcnt lgkmcnt(1)
	v_mul_f64 v[96:97], v[152:153], v[98:99]
	v_fma_f64 v[96:97], v[150:151], v[148:149], -v[96:97]
	v_mul_f64 v[150:151], v[150:151], v[98:99]
	v_fmac_f64_e32 v[150:151], v[152:153], v[148:149]
	s_waitcnt vmcnt(53)
	v_add_f64 v[86:87], v[86:87], -v[150:151]
	ds_read2_b64 v[150:153], v252 offset0:20 offset1:21
	v_add_f64 v[84:85], v[84:85], -v[96:97]
	s_waitcnt lgkmcnt(1)
	v_mul_f64 v[96:97], v[156:157], v[98:99]
	v_fma_f64 v[96:97], v[154:155], v[148:149], -v[96:97]
	v_mul_f64 v[154:155], v[154:155], v[98:99]
	v_fmac_f64_e32 v[154:155], v[156:157], v[148:149]
	s_waitcnt vmcnt(52)
	v_add_f64 v[80:81], v[80:81], -v[96:97]
	v_add_f64 v[82:83], v[82:83], -v[154:155]
	ds_read2_b64 v[154:157], v252 offset0:22 offset1:23
	;; [unrolled: 18-line block ×7, first 2 shown]
	s_waitcnt lgkmcnt(1)
	v_mul_f64 v[96:97], v[152:153], v[98:99]
	v_fma_f64 v[96:97], v[150:151], v[148:149], -v[96:97]
	v_mul_f64 v[150:151], v[150:151], v[98:99]
	v_fmac_f64_e32 v[150:151], v[152:153], v[148:149]
	s_waitcnt vmcnt(16)
	v_add_f64 v[38:39], v[38:39], -v[150:151]
	ds_read2_b64 v[150:153], v252 offset0:44 offset1:45
	v_add_f64 v[36:37], v[36:37], -v[96:97]
	s_waitcnt lgkmcnt(1)
	v_mul_f64 v[96:97], v[156:157], v[98:99]
	v_fma_f64 v[96:97], v[154:155], v[148:149], -v[96:97]
	v_mul_f64 v[154:155], v[154:155], v[98:99]
	v_fmac_f64_e32 v[154:155], v[156:157], v[148:149]
	v_add_f64 v[32:33], v[32:33], -v[96:97]
	v_add_f64 v[34:35], v[34:35], -v[154:155]
	ds_read2_b64 v[154:157], v252 offset0:46 offset1:47
	s_waitcnt lgkmcnt(1)
	v_mul_f64 v[96:97], v[152:153], v[98:99]
	v_fma_f64 v[96:97], v[150:151], v[148:149], -v[96:97]
	v_mul_f64 v[150:151], v[150:151], v[98:99]
	v_fmac_f64_e32 v[150:151], v[152:153], v[148:149]
	v_add_f64 v[30:31], v[30:31], -v[150:151]
	ds_read2_b64 v[150:153], v252 offset0:48 offset1:49
	v_add_f64 v[28:29], v[28:29], -v[96:97]
	s_waitcnt lgkmcnt(1)
	v_mul_f64 v[96:97], v[156:157], v[98:99]
	v_fma_f64 v[96:97], v[154:155], v[148:149], -v[96:97]
	v_mul_f64 v[154:155], v[154:155], v[98:99]
	v_fmac_f64_e32 v[154:155], v[156:157], v[148:149]
	v_add_f64 v[24:25], v[24:25], -v[96:97]
	v_add_f64 v[26:27], v[26:27], -v[154:155]
	ds_read2_b64 v[154:157], v252 offset0:50 offset1:51
	s_waitcnt lgkmcnt(1)
	v_mul_f64 v[96:97], v[152:153], v[98:99]
	v_fma_f64 v[96:97], v[150:151], v[148:149], -v[96:97]
	v_mul_f64 v[150:151], v[150:151], v[98:99]
	v_fmac_f64_e32 v[150:151], v[152:153], v[148:149]
	v_add_f64 v[22:23], v[22:23], -v[150:151]
	ds_read2_b64 v[150:153], v252 offset0:52 offset1:53
	v_add_f64 v[20:21], v[20:21], -v[96:97]
	s_waitcnt lgkmcnt(1)
	v_mul_f64 v[96:97], v[156:157], v[98:99]
	v_fma_f64 v[96:97], v[154:155], v[148:149], -v[96:97]
	v_mul_f64 v[154:155], v[154:155], v[98:99]
	v_fmac_f64_e32 v[154:155], v[156:157], v[148:149]
	s_waitcnt vmcnt(15)
	v_add_f64 v[16:17], v[16:17], -v[96:97]
	v_add_f64 v[18:19], v[18:19], -v[154:155]
	ds_read2_b64 v[154:157], v252 offset0:54 offset1:55
	s_waitcnt lgkmcnt(1)
	v_mul_f64 v[96:97], v[152:153], v[98:99]
	v_fma_f64 v[96:97], v[150:151], v[148:149], -v[96:97]
	v_mul_f64 v[150:151], v[150:151], v[98:99]
	v_fmac_f64_e32 v[150:151], v[152:153], v[148:149]
	s_waitcnt vmcnt(14)
	v_add_f64 v[14:15], v[14:15], -v[150:151]
	ds_read2_b64 v[150:153], v252 offset0:56 offset1:57
	v_add_f64 v[12:13], v[12:13], -v[96:97]
	s_waitcnt lgkmcnt(1)
	v_mul_f64 v[96:97], v[156:157], v[98:99]
	v_fma_f64 v[96:97], v[154:155], v[148:149], -v[96:97]
	v_mul_f64 v[154:155], v[154:155], v[98:99]
	v_fmac_f64_e32 v[154:155], v[156:157], v[148:149]
	s_waitcnt vmcnt(13)
	v_add_f64 v[8:9], v[8:9], -v[96:97]
	v_add_f64 v[10:11], v[10:11], -v[154:155]
	ds_read2_b64 v[154:157], v252 offset0:58 offset1:59
	s_waitcnt lgkmcnt(1)
	v_mul_f64 v[96:97], v[152:153], v[98:99]
	v_fma_f64 v[96:97], v[150:151], v[148:149], -v[96:97]
	v_mul_f64 v[150:151], v[150:151], v[98:99]
	v_fmac_f64_e32 v[150:151], v[152:153], v[148:149]
	s_waitcnt vmcnt(12)
	v_add_f64 v[6:7], v[6:7], -v[150:151]
	ds_read2_b64 v[150:153], v252 offset0:60 offset1:61
	v_add_f64 v[4:5], v[4:5], -v[96:97]
	s_waitcnt lgkmcnt(1)
	v_mul_f64 v[96:97], v[156:157], v[98:99]
	v_fma_f64 v[96:97], v[154:155], v[148:149], -v[96:97]
	s_waitcnt vmcnt(11)
	v_add_f64 v[0:1], v[0:1], -v[96:97]
	s_waitcnt lgkmcnt(0)
	v_mul_f64 v[96:97], v[152:153], v[98:99]
	v_mul_f64 v[154:155], v[154:155], v[98:99]
	v_fma_f64 v[96:97], v[150:151], v[148:149], -v[96:97]
	v_mul_f64 v[150:151], v[150:151], v[98:99]
	v_fmac_f64_e32 v[154:155], v[156:157], v[148:149]
	v_fmac_f64_e32 v[150:151], v[152:153], v[148:149]
	v_add_f64 v[2:3], v[2:3], -v[154:155]
	s_waitcnt vmcnt(10)
	v_add_f64 v[120:121], v[120:121], -v[96:97]
	v_add_f64 v[122:123], v[122:123], -v[150:151]
	v_mov_b64_e32 v[96:97], v[148:149]
.LBB61_55:
	s_or_b64 exec, exec, s[2:3]
	v_cmp_eq_u32_e32 vcc, 6, v254
	s_waitcnt lgkmcnt(0)
	s_barrier
	s_and_saveexec_b64 s[4:5], vcc
	s_cbranch_execz .LBB61_62
; %bb.56:
	s_waitcnt vmcnt(55)
	ds_write2_b64 v255, v[92:93], v[94:95] offset1:1
	s_waitcnt vmcnt(54)
	ds_write2_b64 v252, v[88:89], v[90:91] offset0:14 offset1:15
	s_waitcnt vmcnt(53)
	ds_write2_b64 v252, v[84:85], v[86:87] offset0:16 offset1:17
	;; [unrolled: 2-line block ×14, first 2 shown]
	ds_write2_b64 v252, v[32:33], v[34:35] offset0:42 offset1:43
	ds_write2_b64 v252, v[28:29], v[30:31] offset0:44 offset1:45
	;; [unrolled: 1-line block ×4, first 2 shown]
	s_waitcnt vmcnt(15)
	ds_write2_b64 v252, v[16:17], v[18:19] offset0:50 offset1:51
	s_waitcnt vmcnt(14)
	ds_write2_b64 v252, v[12:13], v[14:15] offset0:52 offset1:53
	;; [unrolled: 2-line block ×6, first 2 shown]
	ds_read2_b64 v[148:151], v255 offset1:1
	s_waitcnt lgkmcnt(0)
	v_cmp_neq_f64_e32 vcc, 0, v[148:149]
	v_cmp_neq_f64_e64 s[2:3], 0, v[150:151]
	s_or_b64 s[2:3], vcc, s[2:3]
	s_and_b64 exec, exec, s[2:3]
	s_cbranch_execz .LBB61_62
; %bb.57:
	v_cmp_ngt_f64_e64 s[2:3], |v[148:149]|, |v[150:151]|
                                        ; implicit-def: $vgpr152_vgpr153
	s_and_saveexec_b64 s[10:11], s[2:3]
	s_xor_b64 s[2:3], exec, s[10:11]
                                        ; implicit-def: $vgpr154_vgpr155
	s_cbranch_execz .LBB61_59
; %bb.58:
	v_div_scale_f64 v[152:153], s[10:11], v[150:151], v[150:151], v[148:149]
	v_rcp_f64_e32 v[154:155], v[152:153]
	v_div_scale_f64 v[156:157], vcc, v[148:149], v[150:151], v[148:149]
	v_fma_f64 v[158:159], -v[152:153], v[154:155], 1.0
	v_fmac_f64_e32 v[154:155], v[154:155], v[158:159]
	v_fma_f64 v[158:159], -v[152:153], v[154:155], 1.0
	v_fmac_f64_e32 v[154:155], v[154:155], v[158:159]
	v_mul_f64 v[158:159], v[156:157], v[154:155]
	v_fma_f64 v[152:153], -v[152:153], v[158:159], v[156:157]
	v_div_fmas_f64 v[152:153], v[152:153], v[154:155], v[158:159]
	v_div_fixup_f64 v[152:153], v[152:153], v[150:151], v[148:149]
	v_fmac_f64_e32 v[150:151], v[148:149], v[152:153]
	v_div_scale_f64 v[148:149], s[10:11], v[150:151], v[150:151], 1.0
	v_rcp_f64_e32 v[154:155], v[148:149]
	s_nop 0
	v_fma_f64 v[156:157], -v[148:149], v[154:155], 1.0
	v_fmac_f64_e32 v[154:155], v[154:155], v[156:157]
	v_fma_f64 v[156:157], -v[148:149], v[154:155], 1.0
	v_fmac_f64_e32 v[154:155], v[154:155], v[156:157]
	v_div_scale_f64 v[156:157], vcc, 1.0, v[150:151], 1.0
	v_mul_f64 v[158:159], v[156:157], v[154:155]
	v_fma_f64 v[148:149], -v[148:149], v[158:159], v[156:157]
	s_nop 1
	v_div_fmas_f64 v[148:149], v[148:149], v[154:155], v[158:159]
	v_div_fixup_f64 v[154:155], v[148:149], v[150:151], 1.0
	v_mul_f64 v[152:153], v[152:153], v[154:155]
	v_xor_b32_e32 v155, 0x80000000, v155
                                        ; implicit-def: $vgpr148_vgpr149
.LBB61_59:
	s_andn2_saveexec_b64 s[2:3], s[2:3]
	s_cbranch_execz .LBB61_61
; %bb.60:
	v_div_scale_f64 v[152:153], s[10:11], v[148:149], v[148:149], v[150:151]
	v_rcp_f64_e32 v[154:155], v[152:153]
	v_div_scale_f64 v[156:157], vcc, v[150:151], v[148:149], v[150:151]
	v_fma_f64 v[158:159], -v[152:153], v[154:155], 1.0
	v_fmac_f64_e32 v[154:155], v[154:155], v[158:159]
	v_fma_f64 v[158:159], -v[152:153], v[154:155], 1.0
	v_fmac_f64_e32 v[154:155], v[154:155], v[158:159]
	v_mul_f64 v[158:159], v[156:157], v[154:155]
	v_fma_f64 v[152:153], -v[152:153], v[158:159], v[156:157]
	v_div_fmas_f64 v[152:153], v[152:153], v[154:155], v[158:159]
	v_div_fixup_f64 v[154:155], v[152:153], v[148:149], v[150:151]
	v_fmac_f64_e32 v[148:149], v[150:151], v[154:155]
	v_div_scale_f64 v[150:151], s[10:11], v[148:149], v[148:149], 1.0
	v_rcp_f64_e32 v[152:153], v[150:151]
	s_nop 0
	v_fma_f64 v[156:157], -v[150:151], v[152:153], 1.0
	v_fmac_f64_e32 v[152:153], v[152:153], v[156:157]
	v_fma_f64 v[156:157], -v[150:151], v[152:153], 1.0
	v_fmac_f64_e32 v[152:153], v[152:153], v[156:157]
	v_div_scale_f64 v[156:157], vcc, 1.0, v[148:149], 1.0
	v_mul_f64 v[158:159], v[156:157], v[152:153]
	v_fma_f64 v[150:151], -v[150:151], v[158:159], v[156:157]
	s_nop 1
	v_div_fmas_f64 v[150:151], v[150:151], v[152:153], v[158:159]
	v_div_fixup_f64 v[152:153], v[150:151], v[148:149], 1.0
	v_mul_f64 v[154:155], v[154:155], -v[152:153]
.LBB61_61:
	s_or_b64 exec, exec, s[2:3]
	ds_write2_b64 v255, v[152:153], v[154:155] offset1:1
.LBB61_62:
	s_or_b64 exec, exec, s[4:5]
	s_waitcnt lgkmcnt(0)
	s_barrier
	ds_read2_b64 v[148:151], v255 offset1:1
	v_cmp_lt_u32_e32 vcc, 6, v254
	s_and_saveexec_b64 s[2:3], vcc
	s_cbranch_execz .LBB61_64
; %bb.63:
	ds_read2_b64 v[154:157], v252 offset0:14 offset1:15
	ds_read2_b64 v[158:161], v252 offset0:16 offset1:17
	s_waitcnt vmcnt(55) lgkmcnt(2)
	v_mul_f64 v[152:153], v[150:151], v[94:95]
	v_mul_f64 v[94:95], v[148:149], v[94:95]
	v_fmac_f64_e32 v[94:95], v[150:151], v[92:93]
	v_fma_f64 v[152:153], v[148:149], v[92:93], -v[152:153]
	s_waitcnt lgkmcnt(1)
	v_mul_f64 v[92:93], v[156:157], v[94:95]
	v_fma_f64 v[92:93], v[154:155], v[152:153], -v[92:93]
	v_mul_f64 v[154:155], v[154:155], v[94:95]
	v_fmac_f64_e32 v[154:155], v[156:157], v[152:153]
	s_waitcnt vmcnt(54)
	v_add_f64 v[88:89], v[88:89], -v[92:93]
	v_add_f64 v[90:91], v[90:91], -v[154:155]
	s_waitcnt lgkmcnt(0)
	v_mul_f64 v[92:93], v[160:161], v[94:95]
	ds_read2_b64 v[154:157], v252 offset0:18 offset1:19
	v_fma_f64 v[92:93], v[158:159], v[152:153], -v[92:93]
	v_mul_f64 v[158:159], v[158:159], v[94:95]
	v_fmac_f64_e32 v[158:159], v[160:161], v[152:153]
	s_waitcnt vmcnt(53)
	v_add_f64 v[86:87], v[86:87], -v[158:159]
	ds_read2_b64 v[158:161], v252 offset0:20 offset1:21
	v_add_f64 v[84:85], v[84:85], -v[92:93]
	s_waitcnt lgkmcnt(1)
	v_mul_f64 v[92:93], v[156:157], v[94:95]
	v_fma_f64 v[92:93], v[154:155], v[152:153], -v[92:93]
	v_mul_f64 v[154:155], v[154:155], v[94:95]
	v_fmac_f64_e32 v[154:155], v[156:157], v[152:153]
	s_waitcnt vmcnt(52)
	v_add_f64 v[80:81], v[80:81], -v[92:93]
	v_add_f64 v[82:83], v[82:83], -v[154:155]
	s_waitcnt lgkmcnt(0)
	v_mul_f64 v[92:93], v[160:161], v[94:95]
	ds_read2_b64 v[154:157], v252 offset0:22 offset1:23
	v_fma_f64 v[92:93], v[158:159], v[152:153], -v[92:93]
	v_mul_f64 v[158:159], v[158:159], v[94:95]
	v_fmac_f64_e32 v[158:159], v[160:161], v[152:153]
	s_waitcnt vmcnt(51)
	v_add_f64 v[78:79], v[78:79], -v[158:159]
	ds_read2_b64 v[158:161], v252 offset0:24 offset1:25
	v_add_f64 v[76:77], v[76:77], -v[92:93]
	;; [unrolled: 18-line block ×7, first 2 shown]
	s_waitcnt lgkmcnt(1)
	v_mul_f64 v[92:93], v[156:157], v[94:95]
	v_fma_f64 v[92:93], v[154:155], v[152:153], -v[92:93]
	v_mul_f64 v[154:155], v[154:155], v[94:95]
	v_fmac_f64_e32 v[154:155], v[156:157], v[152:153]
	v_add_f64 v[32:33], v[32:33], -v[92:93]
	v_add_f64 v[34:35], v[34:35], -v[154:155]
	s_waitcnt lgkmcnt(0)
	v_mul_f64 v[92:93], v[160:161], v[94:95]
	ds_read2_b64 v[154:157], v252 offset0:46 offset1:47
	v_fma_f64 v[92:93], v[158:159], v[152:153], -v[92:93]
	v_mul_f64 v[158:159], v[158:159], v[94:95]
	v_fmac_f64_e32 v[158:159], v[160:161], v[152:153]
	v_add_f64 v[30:31], v[30:31], -v[158:159]
	ds_read2_b64 v[158:161], v252 offset0:48 offset1:49
	v_add_f64 v[28:29], v[28:29], -v[92:93]
	s_waitcnt lgkmcnt(1)
	v_mul_f64 v[92:93], v[156:157], v[94:95]
	v_fma_f64 v[92:93], v[154:155], v[152:153], -v[92:93]
	v_mul_f64 v[154:155], v[154:155], v[94:95]
	v_fmac_f64_e32 v[154:155], v[156:157], v[152:153]
	v_add_f64 v[24:25], v[24:25], -v[92:93]
	v_add_f64 v[26:27], v[26:27], -v[154:155]
	s_waitcnt lgkmcnt(0)
	v_mul_f64 v[92:93], v[160:161], v[94:95]
	ds_read2_b64 v[154:157], v252 offset0:50 offset1:51
	v_fma_f64 v[92:93], v[158:159], v[152:153], -v[92:93]
	v_mul_f64 v[158:159], v[158:159], v[94:95]
	v_fmac_f64_e32 v[158:159], v[160:161], v[152:153]
	v_add_f64 v[22:23], v[22:23], -v[158:159]
	ds_read2_b64 v[158:161], v252 offset0:52 offset1:53
	v_add_f64 v[20:21], v[20:21], -v[92:93]
	s_waitcnt lgkmcnt(1)
	v_mul_f64 v[92:93], v[156:157], v[94:95]
	v_fma_f64 v[92:93], v[154:155], v[152:153], -v[92:93]
	v_mul_f64 v[154:155], v[154:155], v[94:95]
	v_fmac_f64_e32 v[154:155], v[156:157], v[152:153]
	s_waitcnt vmcnt(15)
	v_add_f64 v[16:17], v[16:17], -v[92:93]
	v_add_f64 v[18:19], v[18:19], -v[154:155]
	s_waitcnt lgkmcnt(0)
	v_mul_f64 v[92:93], v[160:161], v[94:95]
	ds_read2_b64 v[154:157], v252 offset0:54 offset1:55
	v_fma_f64 v[92:93], v[158:159], v[152:153], -v[92:93]
	v_mul_f64 v[158:159], v[158:159], v[94:95]
	v_fmac_f64_e32 v[158:159], v[160:161], v[152:153]
	s_waitcnt vmcnt(14)
	v_add_f64 v[14:15], v[14:15], -v[158:159]
	ds_read2_b64 v[158:161], v252 offset0:56 offset1:57
	v_add_f64 v[12:13], v[12:13], -v[92:93]
	s_waitcnt lgkmcnt(1)
	v_mul_f64 v[92:93], v[156:157], v[94:95]
	v_fma_f64 v[92:93], v[154:155], v[152:153], -v[92:93]
	v_mul_f64 v[154:155], v[154:155], v[94:95]
	v_fmac_f64_e32 v[154:155], v[156:157], v[152:153]
	s_waitcnt vmcnt(13)
	v_add_f64 v[8:9], v[8:9], -v[92:93]
	v_add_f64 v[10:11], v[10:11], -v[154:155]
	s_waitcnt lgkmcnt(0)
	v_mul_f64 v[92:93], v[160:161], v[94:95]
	ds_read2_b64 v[154:157], v252 offset0:58 offset1:59
	v_fma_f64 v[92:93], v[158:159], v[152:153], -v[92:93]
	v_mul_f64 v[158:159], v[158:159], v[94:95]
	v_fmac_f64_e32 v[158:159], v[160:161], v[152:153]
	s_waitcnt vmcnt(12)
	v_add_f64 v[6:7], v[6:7], -v[158:159]
	ds_read2_b64 v[158:161], v252 offset0:60 offset1:61
	v_add_f64 v[4:5], v[4:5], -v[92:93]
	s_waitcnt lgkmcnt(1)
	v_mul_f64 v[92:93], v[156:157], v[94:95]
	v_fma_f64 v[92:93], v[154:155], v[152:153], -v[92:93]
	v_mul_f64 v[154:155], v[154:155], v[94:95]
	v_fmac_f64_e32 v[154:155], v[156:157], v[152:153]
	s_waitcnt vmcnt(11)
	v_add_f64 v[0:1], v[0:1], -v[92:93]
	v_add_f64 v[2:3], v[2:3], -v[154:155]
	s_waitcnt lgkmcnt(0)
	v_mul_f64 v[92:93], v[160:161], v[94:95]
	v_mul_f64 v[154:155], v[158:159], v[94:95]
	v_fma_f64 v[92:93], v[158:159], v[152:153], -v[92:93]
	v_fmac_f64_e32 v[154:155], v[160:161], v[152:153]
	s_waitcnt vmcnt(10)
	v_add_f64 v[120:121], v[120:121], -v[92:93]
	v_add_f64 v[122:123], v[122:123], -v[154:155]
	v_mov_b64_e32 v[92:93], v[152:153]
.LBB61_64:
	s_or_b64 exec, exec, s[2:3]
	v_cmp_eq_u32_e32 vcc, 7, v254
	s_waitcnt lgkmcnt(0)
	s_barrier
	s_and_saveexec_b64 s[4:5], vcc
	s_cbranch_execz .LBB61_71
; %bb.65:
	s_waitcnt vmcnt(54)
	ds_write2_b64 v255, v[88:89], v[90:91] offset1:1
	s_waitcnt vmcnt(53)
	ds_write2_b64 v252, v[84:85], v[86:87] offset0:16 offset1:17
	s_waitcnt vmcnt(52)
	ds_write2_b64 v252, v[80:81], v[82:83] offset0:18 offset1:19
	;; [unrolled: 2-line block ×13, first 2 shown]
	ds_write2_b64 v252, v[32:33], v[34:35] offset0:42 offset1:43
	ds_write2_b64 v252, v[28:29], v[30:31] offset0:44 offset1:45
	ds_write2_b64 v252, v[24:25], v[26:27] offset0:46 offset1:47
	ds_write2_b64 v252, v[20:21], v[22:23] offset0:48 offset1:49
	s_waitcnt vmcnt(15)
	ds_write2_b64 v252, v[16:17], v[18:19] offset0:50 offset1:51
	s_waitcnt vmcnt(14)
	ds_write2_b64 v252, v[12:13], v[14:15] offset0:52 offset1:53
	;; [unrolled: 2-line block ×6, first 2 shown]
	ds_read2_b64 v[152:155], v255 offset1:1
	s_waitcnt lgkmcnt(0)
	v_cmp_neq_f64_e32 vcc, 0, v[152:153]
	v_cmp_neq_f64_e64 s[2:3], 0, v[154:155]
	s_or_b64 s[2:3], vcc, s[2:3]
	s_and_b64 exec, exec, s[2:3]
	s_cbranch_execz .LBB61_71
; %bb.66:
	v_cmp_ngt_f64_e64 s[2:3], |v[152:153]|, |v[154:155]|
                                        ; implicit-def: $vgpr156_vgpr157
	s_and_saveexec_b64 s[10:11], s[2:3]
	s_xor_b64 s[2:3], exec, s[10:11]
                                        ; implicit-def: $vgpr158_vgpr159
	s_cbranch_execz .LBB61_68
; %bb.67:
	v_div_scale_f64 v[156:157], s[10:11], v[154:155], v[154:155], v[152:153]
	v_rcp_f64_e32 v[158:159], v[156:157]
	v_div_scale_f64 v[160:161], vcc, v[152:153], v[154:155], v[152:153]
	v_fma_f64 v[162:163], -v[156:157], v[158:159], 1.0
	v_fmac_f64_e32 v[158:159], v[158:159], v[162:163]
	v_fma_f64 v[162:163], -v[156:157], v[158:159], 1.0
	v_fmac_f64_e32 v[158:159], v[158:159], v[162:163]
	v_mul_f64 v[162:163], v[160:161], v[158:159]
	v_fma_f64 v[156:157], -v[156:157], v[162:163], v[160:161]
	v_div_fmas_f64 v[156:157], v[156:157], v[158:159], v[162:163]
	v_div_fixup_f64 v[156:157], v[156:157], v[154:155], v[152:153]
	v_fmac_f64_e32 v[154:155], v[152:153], v[156:157]
	v_div_scale_f64 v[152:153], s[10:11], v[154:155], v[154:155], 1.0
	v_rcp_f64_e32 v[158:159], v[152:153]
	s_nop 0
	v_fma_f64 v[160:161], -v[152:153], v[158:159], 1.0
	v_fmac_f64_e32 v[158:159], v[158:159], v[160:161]
	v_fma_f64 v[160:161], -v[152:153], v[158:159], 1.0
	v_fmac_f64_e32 v[158:159], v[158:159], v[160:161]
	v_div_scale_f64 v[160:161], vcc, 1.0, v[154:155], 1.0
	v_mul_f64 v[162:163], v[160:161], v[158:159]
	v_fma_f64 v[152:153], -v[152:153], v[162:163], v[160:161]
	s_nop 1
	v_div_fmas_f64 v[152:153], v[152:153], v[158:159], v[162:163]
	v_div_fixup_f64 v[158:159], v[152:153], v[154:155], 1.0
	v_mul_f64 v[156:157], v[156:157], v[158:159]
	v_xor_b32_e32 v159, 0x80000000, v159
                                        ; implicit-def: $vgpr152_vgpr153
.LBB61_68:
	s_andn2_saveexec_b64 s[2:3], s[2:3]
	s_cbranch_execz .LBB61_70
; %bb.69:
	v_div_scale_f64 v[156:157], s[10:11], v[152:153], v[152:153], v[154:155]
	v_rcp_f64_e32 v[158:159], v[156:157]
	v_div_scale_f64 v[160:161], vcc, v[154:155], v[152:153], v[154:155]
	v_fma_f64 v[162:163], -v[156:157], v[158:159], 1.0
	v_fmac_f64_e32 v[158:159], v[158:159], v[162:163]
	v_fma_f64 v[162:163], -v[156:157], v[158:159], 1.0
	v_fmac_f64_e32 v[158:159], v[158:159], v[162:163]
	v_mul_f64 v[162:163], v[160:161], v[158:159]
	v_fma_f64 v[156:157], -v[156:157], v[162:163], v[160:161]
	v_div_fmas_f64 v[156:157], v[156:157], v[158:159], v[162:163]
	v_div_fixup_f64 v[158:159], v[156:157], v[152:153], v[154:155]
	v_fmac_f64_e32 v[152:153], v[154:155], v[158:159]
	v_div_scale_f64 v[154:155], s[10:11], v[152:153], v[152:153], 1.0
	v_rcp_f64_e32 v[156:157], v[154:155]
	s_nop 0
	v_fma_f64 v[160:161], -v[154:155], v[156:157], 1.0
	v_fmac_f64_e32 v[156:157], v[156:157], v[160:161]
	v_fma_f64 v[160:161], -v[154:155], v[156:157], 1.0
	v_fmac_f64_e32 v[156:157], v[156:157], v[160:161]
	v_div_scale_f64 v[160:161], vcc, 1.0, v[152:153], 1.0
	v_mul_f64 v[162:163], v[160:161], v[156:157]
	v_fma_f64 v[154:155], -v[154:155], v[162:163], v[160:161]
	s_nop 1
	v_div_fmas_f64 v[154:155], v[154:155], v[156:157], v[162:163]
	v_div_fixup_f64 v[156:157], v[154:155], v[152:153], 1.0
	v_mul_f64 v[158:159], v[158:159], -v[156:157]
.LBB61_70:
	s_or_b64 exec, exec, s[2:3]
	ds_write2_b64 v255, v[156:157], v[158:159] offset1:1
.LBB61_71:
	s_or_b64 exec, exec, s[4:5]
	s_waitcnt lgkmcnt(0)
	s_barrier
	ds_read2_b64 v[152:155], v255 offset1:1
	v_cmp_lt_u32_e32 vcc, 7, v254
	s_and_saveexec_b64 s[2:3], vcc
	s_cbranch_execz .LBB61_73
; %bb.72:
	ds_read2_b64 v[158:161], v252 offset0:16 offset1:17
	ds_read2_b64 v[162:165], v252 offset0:18 offset1:19
	s_waitcnt vmcnt(54) lgkmcnt(2)
	v_mul_f64 v[156:157], v[154:155], v[90:91]
	v_mul_f64 v[90:91], v[152:153], v[90:91]
	v_fmac_f64_e32 v[90:91], v[154:155], v[88:89]
	v_fma_f64 v[156:157], v[152:153], v[88:89], -v[156:157]
	s_waitcnt lgkmcnt(1)
	v_mul_f64 v[88:89], v[160:161], v[90:91]
	v_fma_f64 v[88:89], v[158:159], v[156:157], -v[88:89]
	v_mul_f64 v[158:159], v[158:159], v[90:91]
	v_fmac_f64_e32 v[158:159], v[160:161], v[156:157]
	s_waitcnt vmcnt(53)
	v_add_f64 v[86:87], v[86:87], -v[158:159]
	ds_read2_b64 v[158:161], v252 offset0:20 offset1:21
	v_add_f64 v[84:85], v[84:85], -v[88:89]
	s_waitcnt lgkmcnt(1)
	v_mul_f64 v[88:89], v[164:165], v[90:91]
	v_fma_f64 v[88:89], v[162:163], v[156:157], -v[88:89]
	v_mul_f64 v[162:163], v[162:163], v[90:91]
	v_fmac_f64_e32 v[162:163], v[164:165], v[156:157]
	s_waitcnt vmcnt(52)
	v_add_f64 v[80:81], v[80:81], -v[88:89]
	v_add_f64 v[82:83], v[82:83], -v[162:163]
	ds_read2_b64 v[162:165], v252 offset0:22 offset1:23
	s_waitcnt lgkmcnt(1)
	v_mul_f64 v[88:89], v[160:161], v[90:91]
	v_fma_f64 v[88:89], v[158:159], v[156:157], -v[88:89]
	v_mul_f64 v[158:159], v[158:159], v[90:91]
	v_fmac_f64_e32 v[158:159], v[160:161], v[156:157]
	s_waitcnt vmcnt(51)
	v_add_f64 v[78:79], v[78:79], -v[158:159]
	ds_read2_b64 v[158:161], v252 offset0:24 offset1:25
	v_add_f64 v[76:77], v[76:77], -v[88:89]
	s_waitcnt lgkmcnt(1)
	v_mul_f64 v[88:89], v[164:165], v[90:91]
	v_fma_f64 v[88:89], v[162:163], v[156:157], -v[88:89]
	v_mul_f64 v[162:163], v[162:163], v[90:91]
	v_fmac_f64_e32 v[162:163], v[164:165], v[156:157]
	s_waitcnt vmcnt(50)
	v_add_f64 v[72:73], v[72:73], -v[88:89]
	v_add_f64 v[74:75], v[74:75], -v[162:163]
	ds_read2_b64 v[162:165], v252 offset0:26 offset1:27
	;; [unrolled: 18-line block ×6, first 2 shown]
	s_waitcnt lgkmcnt(1)
	v_mul_f64 v[88:89], v[160:161], v[90:91]
	v_fma_f64 v[88:89], v[158:159], v[156:157], -v[88:89]
	v_mul_f64 v[158:159], v[158:159], v[90:91]
	v_fmac_f64_e32 v[158:159], v[160:161], v[156:157]
	s_waitcnt vmcnt(16)
	v_add_f64 v[38:39], v[38:39], -v[158:159]
	ds_read2_b64 v[158:161], v252 offset0:44 offset1:45
	v_add_f64 v[36:37], v[36:37], -v[88:89]
	s_waitcnt lgkmcnt(1)
	v_mul_f64 v[88:89], v[164:165], v[90:91]
	v_fma_f64 v[88:89], v[162:163], v[156:157], -v[88:89]
	v_mul_f64 v[162:163], v[162:163], v[90:91]
	v_fmac_f64_e32 v[162:163], v[164:165], v[156:157]
	v_add_f64 v[32:33], v[32:33], -v[88:89]
	v_add_f64 v[34:35], v[34:35], -v[162:163]
	ds_read2_b64 v[162:165], v252 offset0:46 offset1:47
	s_waitcnt lgkmcnt(1)
	v_mul_f64 v[88:89], v[160:161], v[90:91]
	v_fma_f64 v[88:89], v[158:159], v[156:157], -v[88:89]
	v_mul_f64 v[158:159], v[158:159], v[90:91]
	v_fmac_f64_e32 v[158:159], v[160:161], v[156:157]
	v_add_f64 v[30:31], v[30:31], -v[158:159]
	ds_read2_b64 v[158:161], v252 offset0:48 offset1:49
	v_add_f64 v[28:29], v[28:29], -v[88:89]
	s_waitcnt lgkmcnt(1)
	v_mul_f64 v[88:89], v[164:165], v[90:91]
	v_fma_f64 v[88:89], v[162:163], v[156:157], -v[88:89]
	v_mul_f64 v[162:163], v[162:163], v[90:91]
	v_fmac_f64_e32 v[162:163], v[164:165], v[156:157]
	v_add_f64 v[24:25], v[24:25], -v[88:89]
	v_add_f64 v[26:27], v[26:27], -v[162:163]
	ds_read2_b64 v[162:165], v252 offset0:50 offset1:51
	s_waitcnt lgkmcnt(1)
	v_mul_f64 v[88:89], v[160:161], v[90:91]
	v_fma_f64 v[88:89], v[158:159], v[156:157], -v[88:89]
	v_mul_f64 v[158:159], v[158:159], v[90:91]
	v_fmac_f64_e32 v[158:159], v[160:161], v[156:157]
	v_add_f64 v[22:23], v[22:23], -v[158:159]
	ds_read2_b64 v[158:161], v252 offset0:52 offset1:53
	v_add_f64 v[20:21], v[20:21], -v[88:89]
	s_waitcnt lgkmcnt(1)
	v_mul_f64 v[88:89], v[164:165], v[90:91]
	v_fma_f64 v[88:89], v[162:163], v[156:157], -v[88:89]
	v_mul_f64 v[162:163], v[162:163], v[90:91]
	v_fmac_f64_e32 v[162:163], v[164:165], v[156:157]
	s_waitcnt vmcnt(15)
	v_add_f64 v[16:17], v[16:17], -v[88:89]
	v_add_f64 v[18:19], v[18:19], -v[162:163]
	ds_read2_b64 v[162:165], v252 offset0:54 offset1:55
	s_waitcnt lgkmcnt(1)
	v_mul_f64 v[88:89], v[160:161], v[90:91]
	v_fma_f64 v[88:89], v[158:159], v[156:157], -v[88:89]
	v_mul_f64 v[158:159], v[158:159], v[90:91]
	v_fmac_f64_e32 v[158:159], v[160:161], v[156:157]
	s_waitcnt vmcnt(14)
	v_add_f64 v[14:15], v[14:15], -v[158:159]
	ds_read2_b64 v[158:161], v252 offset0:56 offset1:57
	v_add_f64 v[12:13], v[12:13], -v[88:89]
	s_waitcnt lgkmcnt(1)
	v_mul_f64 v[88:89], v[164:165], v[90:91]
	v_fma_f64 v[88:89], v[162:163], v[156:157], -v[88:89]
	v_mul_f64 v[162:163], v[162:163], v[90:91]
	v_fmac_f64_e32 v[162:163], v[164:165], v[156:157]
	s_waitcnt vmcnt(13)
	v_add_f64 v[8:9], v[8:9], -v[88:89]
	v_add_f64 v[10:11], v[10:11], -v[162:163]
	ds_read2_b64 v[162:165], v252 offset0:58 offset1:59
	s_waitcnt lgkmcnt(1)
	v_mul_f64 v[88:89], v[160:161], v[90:91]
	v_fma_f64 v[88:89], v[158:159], v[156:157], -v[88:89]
	v_mul_f64 v[158:159], v[158:159], v[90:91]
	v_fmac_f64_e32 v[158:159], v[160:161], v[156:157]
	s_waitcnt vmcnt(12)
	v_add_f64 v[6:7], v[6:7], -v[158:159]
	ds_read2_b64 v[158:161], v252 offset0:60 offset1:61
	v_add_f64 v[4:5], v[4:5], -v[88:89]
	s_waitcnt lgkmcnt(1)
	v_mul_f64 v[88:89], v[164:165], v[90:91]
	v_fma_f64 v[88:89], v[162:163], v[156:157], -v[88:89]
	s_waitcnt vmcnt(11)
	v_add_f64 v[0:1], v[0:1], -v[88:89]
	s_waitcnt lgkmcnt(0)
	v_mul_f64 v[88:89], v[160:161], v[90:91]
	v_mul_f64 v[162:163], v[162:163], v[90:91]
	v_fma_f64 v[88:89], v[158:159], v[156:157], -v[88:89]
	v_mul_f64 v[158:159], v[158:159], v[90:91]
	v_fmac_f64_e32 v[162:163], v[164:165], v[156:157]
	v_fmac_f64_e32 v[158:159], v[160:161], v[156:157]
	v_add_f64 v[2:3], v[2:3], -v[162:163]
	s_waitcnt vmcnt(10)
	v_add_f64 v[120:121], v[120:121], -v[88:89]
	v_add_f64 v[122:123], v[122:123], -v[158:159]
	v_mov_b64_e32 v[88:89], v[156:157]
.LBB61_73:
	s_or_b64 exec, exec, s[2:3]
	v_cmp_eq_u32_e32 vcc, 8, v254
	s_waitcnt lgkmcnt(0)
	s_barrier
	s_and_saveexec_b64 s[4:5], vcc
	s_cbranch_execz .LBB61_80
; %bb.74:
	s_waitcnt vmcnt(53)
	ds_write2_b64 v255, v[84:85], v[86:87] offset1:1
	s_waitcnt vmcnt(52)
	ds_write2_b64 v252, v[80:81], v[82:83] offset0:18 offset1:19
	s_waitcnt vmcnt(51)
	ds_write2_b64 v252, v[76:77], v[78:79] offset0:20 offset1:21
	;; [unrolled: 2-line block ×12, first 2 shown]
	ds_write2_b64 v252, v[32:33], v[34:35] offset0:42 offset1:43
	ds_write2_b64 v252, v[28:29], v[30:31] offset0:44 offset1:45
	;; [unrolled: 1-line block ×4, first 2 shown]
	s_waitcnt vmcnt(15)
	ds_write2_b64 v252, v[16:17], v[18:19] offset0:50 offset1:51
	s_waitcnt vmcnt(14)
	ds_write2_b64 v252, v[12:13], v[14:15] offset0:52 offset1:53
	;; [unrolled: 2-line block ×6, first 2 shown]
	ds_read2_b64 v[156:159], v255 offset1:1
	s_waitcnt lgkmcnt(0)
	v_cmp_neq_f64_e32 vcc, 0, v[156:157]
	v_cmp_neq_f64_e64 s[2:3], 0, v[158:159]
	s_or_b64 s[2:3], vcc, s[2:3]
	s_and_b64 exec, exec, s[2:3]
	s_cbranch_execz .LBB61_80
; %bb.75:
	v_cmp_ngt_f64_e64 s[2:3], |v[156:157]|, |v[158:159]|
                                        ; implicit-def: $vgpr160_vgpr161
	s_and_saveexec_b64 s[10:11], s[2:3]
	s_xor_b64 s[2:3], exec, s[10:11]
                                        ; implicit-def: $vgpr162_vgpr163
	s_cbranch_execz .LBB61_77
; %bb.76:
	v_div_scale_f64 v[160:161], s[10:11], v[158:159], v[158:159], v[156:157]
	v_rcp_f64_e32 v[162:163], v[160:161]
	v_div_scale_f64 v[164:165], vcc, v[156:157], v[158:159], v[156:157]
	v_fma_f64 v[166:167], -v[160:161], v[162:163], 1.0
	v_fmac_f64_e32 v[162:163], v[162:163], v[166:167]
	v_fma_f64 v[166:167], -v[160:161], v[162:163], 1.0
	v_fmac_f64_e32 v[162:163], v[162:163], v[166:167]
	v_mul_f64 v[166:167], v[164:165], v[162:163]
	v_fma_f64 v[160:161], -v[160:161], v[166:167], v[164:165]
	v_div_fmas_f64 v[160:161], v[160:161], v[162:163], v[166:167]
	v_div_fixup_f64 v[160:161], v[160:161], v[158:159], v[156:157]
	v_fmac_f64_e32 v[158:159], v[156:157], v[160:161]
	v_div_scale_f64 v[156:157], s[10:11], v[158:159], v[158:159], 1.0
	v_rcp_f64_e32 v[162:163], v[156:157]
	s_nop 0
	v_fma_f64 v[164:165], -v[156:157], v[162:163], 1.0
	v_fmac_f64_e32 v[162:163], v[162:163], v[164:165]
	v_fma_f64 v[164:165], -v[156:157], v[162:163], 1.0
	v_fmac_f64_e32 v[162:163], v[162:163], v[164:165]
	v_div_scale_f64 v[164:165], vcc, 1.0, v[158:159], 1.0
	v_mul_f64 v[166:167], v[164:165], v[162:163]
	v_fma_f64 v[156:157], -v[156:157], v[166:167], v[164:165]
	s_nop 1
	v_div_fmas_f64 v[156:157], v[156:157], v[162:163], v[166:167]
	v_div_fixup_f64 v[162:163], v[156:157], v[158:159], 1.0
	v_mul_f64 v[160:161], v[160:161], v[162:163]
	v_xor_b32_e32 v163, 0x80000000, v163
                                        ; implicit-def: $vgpr156_vgpr157
.LBB61_77:
	s_andn2_saveexec_b64 s[2:3], s[2:3]
	s_cbranch_execz .LBB61_79
; %bb.78:
	v_div_scale_f64 v[160:161], s[10:11], v[156:157], v[156:157], v[158:159]
	v_rcp_f64_e32 v[162:163], v[160:161]
	v_div_scale_f64 v[164:165], vcc, v[158:159], v[156:157], v[158:159]
	v_fma_f64 v[166:167], -v[160:161], v[162:163], 1.0
	v_fmac_f64_e32 v[162:163], v[162:163], v[166:167]
	v_fma_f64 v[166:167], -v[160:161], v[162:163], 1.0
	v_fmac_f64_e32 v[162:163], v[162:163], v[166:167]
	v_mul_f64 v[166:167], v[164:165], v[162:163]
	v_fma_f64 v[160:161], -v[160:161], v[166:167], v[164:165]
	v_div_fmas_f64 v[160:161], v[160:161], v[162:163], v[166:167]
	v_div_fixup_f64 v[162:163], v[160:161], v[156:157], v[158:159]
	v_fmac_f64_e32 v[156:157], v[158:159], v[162:163]
	v_div_scale_f64 v[158:159], s[10:11], v[156:157], v[156:157], 1.0
	v_rcp_f64_e32 v[160:161], v[158:159]
	s_nop 0
	v_fma_f64 v[164:165], -v[158:159], v[160:161], 1.0
	v_fmac_f64_e32 v[160:161], v[160:161], v[164:165]
	v_fma_f64 v[164:165], -v[158:159], v[160:161], 1.0
	v_fmac_f64_e32 v[160:161], v[160:161], v[164:165]
	v_div_scale_f64 v[164:165], vcc, 1.0, v[156:157], 1.0
	v_mul_f64 v[166:167], v[164:165], v[160:161]
	v_fma_f64 v[158:159], -v[158:159], v[166:167], v[164:165]
	s_nop 1
	v_div_fmas_f64 v[158:159], v[158:159], v[160:161], v[166:167]
	v_div_fixup_f64 v[160:161], v[158:159], v[156:157], 1.0
	v_mul_f64 v[162:163], v[162:163], -v[160:161]
.LBB61_79:
	s_or_b64 exec, exec, s[2:3]
	ds_write2_b64 v255, v[160:161], v[162:163] offset1:1
.LBB61_80:
	s_or_b64 exec, exec, s[4:5]
	s_waitcnt lgkmcnt(0)
	s_barrier
	ds_read2_b64 v[156:159], v255 offset1:1
	v_cmp_lt_u32_e32 vcc, 8, v254
	s_and_saveexec_b64 s[2:3], vcc
	s_cbranch_execz .LBB61_82
; %bb.81:
	ds_read2_b64 v[162:165], v252 offset0:18 offset1:19
	ds_read2_b64 v[166:169], v252 offset0:20 offset1:21
	s_waitcnt vmcnt(53) lgkmcnt(2)
	v_mul_f64 v[160:161], v[158:159], v[86:87]
	v_mul_f64 v[86:87], v[156:157], v[86:87]
	v_fmac_f64_e32 v[86:87], v[158:159], v[84:85]
	v_fma_f64 v[160:161], v[156:157], v[84:85], -v[160:161]
	s_waitcnt lgkmcnt(1)
	v_mul_f64 v[84:85], v[164:165], v[86:87]
	v_fma_f64 v[84:85], v[162:163], v[160:161], -v[84:85]
	v_mul_f64 v[162:163], v[162:163], v[86:87]
	v_fmac_f64_e32 v[162:163], v[164:165], v[160:161]
	s_waitcnt vmcnt(52)
	v_add_f64 v[80:81], v[80:81], -v[84:85]
	v_add_f64 v[82:83], v[82:83], -v[162:163]
	s_waitcnt lgkmcnt(0)
	v_mul_f64 v[84:85], v[168:169], v[86:87]
	ds_read2_b64 v[162:165], v252 offset0:22 offset1:23
	v_fma_f64 v[84:85], v[166:167], v[160:161], -v[84:85]
	v_mul_f64 v[166:167], v[166:167], v[86:87]
	v_fmac_f64_e32 v[166:167], v[168:169], v[160:161]
	s_waitcnt vmcnt(51)
	v_add_f64 v[78:79], v[78:79], -v[166:167]
	ds_read2_b64 v[166:169], v252 offset0:24 offset1:25
	v_add_f64 v[76:77], v[76:77], -v[84:85]
	s_waitcnt lgkmcnt(1)
	v_mul_f64 v[84:85], v[164:165], v[86:87]
	v_fma_f64 v[84:85], v[162:163], v[160:161], -v[84:85]
	v_mul_f64 v[162:163], v[162:163], v[86:87]
	v_fmac_f64_e32 v[162:163], v[164:165], v[160:161]
	s_waitcnt vmcnt(50)
	v_add_f64 v[72:73], v[72:73], -v[84:85]
	v_add_f64 v[74:75], v[74:75], -v[162:163]
	s_waitcnt lgkmcnt(0)
	v_mul_f64 v[84:85], v[168:169], v[86:87]
	ds_read2_b64 v[162:165], v252 offset0:26 offset1:27
	v_fma_f64 v[84:85], v[166:167], v[160:161], -v[84:85]
	v_mul_f64 v[166:167], v[166:167], v[86:87]
	v_fmac_f64_e32 v[166:167], v[168:169], v[160:161]
	s_waitcnt vmcnt(49)
	v_add_f64 v[70:71], v[70:71], -v[166:167]
	ds_read2_b64 v[166:169], v252 offset0:28 offset1:29
	v_add_f64 v[68:69], v[68:69], -v[84:85]
	;; [unrolled: 18-line block ×6, first 2 shown]
	s_waitcnt lgkmcnt(1)
	v_mul_f64 v[84:85], v[164:165], v[86:87]
	v_fma_f64 v[84:85], v[162:163], v[160:161], -v[84:85]
	v_mul_f64 v[162:163], v[162:163], v[86:87]
	v_fmac_f64_e32 v[162:163], v[164:165], v[160:161]
	v_add_f64 v[32:33], v[32:33], -v[84:85]
	v_add_f64 v[34:35], v[34:35], -v[162:163]
	s_waitcnt lgkmcnt(0)
	v_mul_f64 v[84:85], v[168:169], v[86:87]
	ds_read2_b64 v[162:165], v252 offset0:46 offset1:47
	v_fma_f64 v[84:85], v[166:167], v[160:161], -v[84:85]
	v_mul_f64 v[166:167], v[166:167], v[86:87]
	v_fmac_f64_e32 v[166:167], v[168:169], v[160:161]
	v_add_f64 v[30:31], v[30:31], -v[166:167]
	ds_read2_b64 v[166:169], v252 offset0:48 offset1:49
	v_add_f64 v[28:29], v[28:29], -v[84:85]
	s_waitcnt lgkmcnt(1)
	v_mul_f64 v[84:85], v[164:165], v[86:87]
	v_fma_f64 v[84:85], v[162:163], v[160:161], -v[84:85]
	v_mul_f64 v[162:163], v[162:163], v[86:87]
	v_fmac_f64_e32 v[162:163], v[164:165], v[160:161]
	v_add_f64 v[24:25], v[24:25], -v[84:85]
	v_add_f64 v[26:27], v[26:27], -v[162:163]
	s_waitcnt lgkmcnt(0)
	v_mul_f64 v[84:85], v[168:169], v[86:87]
	ds_read2_b64 v[162:165], v252 offset0:50 offset1:51
	v_fma_f64 v[84:85], v[166:167], v[160:161], -v[84:85]
	v_mul_f64 v[166:167], v[166:167], v[86:87]
	v_fmac_f64_e32 v[166:167], v[168:169], v[160:161]
	v_add_f64 v[22:23], v[22:23], -v[166:167]
	ds_read2_b64 v[166:169], v252 offset0:52 offset1:53
	v_add_f64 v[20:21], v[20:21], -v[84:85]
	s_waitcnt lgkmcnt(1)
	v_mul_f64 v[84:85], v[164:165], v[86:87]
	v_fma_f64 v[84:85], v[162:163], v[160:161], -v[84:85]
	v_mul_f64 v[162:163], v[162:163], v[86:87]
	v_fmac_f64_e32 v[162:163], v[164:165], v[160:161]
	s_waitcnt vmcnt(15)
	v_add_f64 v[16:17], v[16:17], -v[84:85]
	v_add_f64 v[18:19], v[18:19], -v[162:163]
	s_waitcnt lgkmcnt(0)
	v_mul_f64 v[84:85], v[168:169], v[86:87]
	ds_read2_b64 v[162:165], v252 offset0:54 offset1:55
	v_fma_f64 v[84:85], v[166:167], v[160:161], -v[84:85]
	v_mul_f64 v[166:167], v[166:167], v[86:87]
	v_fmac_f64_e32 v[166:167], v[168:169], v[160:161]
	s_waitcnt vmcnt(14)
	v_add_f64 v[14:15], v[14:15], -v[166:167]
	ds_read2_b64 v[166:169], v252 offset0:56 offset1:57
	v_add_f64 v[12:13], v[12:13], -v[84:85]
	s_waitcnt lgkmcnt(1)
	v_mul_f64 v[84:85], v[164:165], v[86:87]
	v_fma_f64 v[84:85], v[162:163], v[160:161], -v[84:85]
	v_mul_f64 v[162:163], v[162:163], v[86:87]
	v_fmac_f64_e32 v[162:163], v[164:165], v[160:161]
	s_waitcnt vmcnt(13)
	v_add_f64 v[8:9], v[8:9], -v[84:85]
	v_add_f64 v[10:11], v[10:11], -v[162:163]
	s_waitcnt lgkmcnt(0)
	v_mul_f64 v[84:85], v[168:169], v[86:87]
	ds_read2_b64 v[162:165], v252 offset0:58 offset1:59
	v_fma_f64 v[84:85], v[166:167], v[160:161], -v[84:85]
	v_mul_f64 v[166:167], v[166:167], v[86:87]
	v_fmac_f64_e32 v[166:167], v[168:169], v[160:161]
	s_waitcnt vmcnt(12)
	v_add_f64 v[6:7], v[6:7], -v[166:167]
	ds_read2_b64 v[166:169], v252 offset0:60 offset1:61
	v_add_f64 v[4:5], v[4:5], -v[84:85]
	s_waitcnt lgkmcnt(1)
	v_mul_f64 v[84:85], v[164:165], v[86:87]
	v_fma_f64 v[84:85], v[162:163], v[160:161], -v[84:85]
	v_mul_f64 v[162:163], v[162:163], v[86:87]
	v_fmac_f64_e32 v[162:163], v[164:165], v[160:161]
	s_waitcnt vmcnt(11)
	v_add_f64 v[0:1], v[0:1], -v[84:85]
	v_add_f64 v[2:3], v[2:3], -v[162:163]
	s_waitcnt lgkmcnt(0)
	v_mul_f64 v[84:85], v[168:169], v[86:87]
	v_mul_f64 v[162:163], v[166:167], v[86:87]
	v_fma_f64 v[84:85], v[166:167], v[160:161], -v[84:85]
	v_fmac_f64_e32 v[162:163], v[168:169], v[160:161]
	s_waitcnt vmcnt(10)
	v_add_f64 v[120:121], v[120:121], -v[84:85]
	v_add_f64 v[122:123], v[122:123], -v[162:163]
	v_mov_b64_e32 v[84:85], v[160:161]
.LBB61_82:
	s_or_b64 exec, exec, s[2:3]
	v_cmp_eq_u32_e32 vcc, 9, v254
	s_waitcnt lgkmcnt(0)
	s_barrier
	s_and_saveexec_b64 s[4:5], vcc
	s_cbranch_execz .LBB61_89
; %bb.83:
	s_waitcnt vmcnt(52)
	ds_write2_b64 v255, v[80:81], v[82:83] offset1:1
	s_waitcnt vmcnt(51)
	ds_write2_b64 v252, v[76:77], v[78:79] offset0:20 offset1:21
	s_waitcnt vmcnt(50)
	ds_write2_b64 v252, v[72:73], v[74:75] offset0:22 offset1:23
	;; [unrolled: 2-line block ×11, first 2 shown]
	ds_write2_b64 v252, v[32:33], v[34:35] offset0:42 offset1:43
	ds_write2_b64 v252, v[28:29], v[30:31] offset0:44 offset1:45
	;; [unrolled: 1-line block ×4, first 2 shown]
	s_waitcnt vmcnt(15)
	ds_write2_b64 v252, v[16:17], v[18:19] offset0:50 offset1:51
	s_waitcnt vmcnt(14)
	ds_write2_b64 v252, v[12:13], v[14:15] offset0:52 offset1:53
	;; [unrolled: 2-line block ×6, first 2 shown]
	ds_read2_b64 v[160:163], v255 offset1:1
	s_waitcnt lgkmcnt(0)
	v_cmp_neq_f64_e32 vcc, 0, v[160:161]
	v_cmp_neq_f64_e64 s[2:3], 0, v[162:163]
	s_or_b64 s[2:3], vcc, s[2:3]
	s_and_b64 exec, exec, s[2:3]
	s_cbranch_execz .LBB61_89
; %bb.84:
	v_cmp_ngt_f64_e64 s[2:3], |v[160:161]|, |v[162:163]|
                                        ; implicit-def: $vgpr164_vgpr165
	s_and_saveexec_b64 s[10:11], s[2:3]
	s_xor_b64 s[2:3], exec, s[10:11]
                                        ; implicit-def: $vgpr166_vgpr167
	s_cbranch_execz .LBB61_86
; %bb.85:
	v_div_scale_f64 v[164:165], s[10:11], v[162:163], v[162:163], v[160:161]
	v_rcp_f64_e32 v[166:167], v[164:165]
	v_div_scale_f64 v[168:169], vcc, v[160:161], v[162:163], v[160:161]
	v_fma_f64 v[170:171], -v[164:165], v[166:167], 1.0
	v_fmac_f64_e32 v[166:167], v[166:167], v[170:171]
	v_fma_f64 v[170:171], -v[164:165], v[166:167], 1.0
	v_fmac_f64_e32 v[166:167], v[166:167], v[170:171]
	v_mul_f64 v[170:171], v[168:169], v[166:167]
	v_fma_f64 v[164:165], -v[164:165], v[170:171], v[168:169]
	v_div_fmas_f64 v[164:165], v[164:165], v[166:167], v[170:171]
	v_div_fixup_f64 v[164:165], v[164:165], v[162:163], v[160:161]
	v_fmac_f64_e32 v[162:163], v[160:161], v[164:165]
	v_div_scale_f64 v[160:161], s[10:11], v[162:163], v[162:163], 1.0
	v_rcp_f64_e32 v[166:167], v[160:161]
	s_nop 0
	v_fma_f64 v[168:169], -v[160:161], v[166:167], 1.0
	v_fmac_f64_e32 v[166:167], v[166:167], v[168:169]
	v_fma_f64 v[168:169], -v[160:161], v[166:167], 1.0
	v_fmac_f64_e32 v[166:167], v[166:167], v[168:169]
	v_div_scale_f64 v[168:169], vcc, 1.0, v[162:163], 1.0
	v_mul_f64 v[170:171], v[168:169], v[166:167]
	v_fma_f64 v[160:161], -v[160:161], v[170:171], v[168:169]
	s_nop 1
	v_div_fmas_f64 v[160:161], v[160:161], v[166:167], v[170:171]
	v_div_fixup_f64 v[166:167], v[160:161], v[162:163], 1.0
	v_mul_f64 v[164:165], v[164:165], v[166:167]
	v_xor_b32_e32 v167, 0x80000000, v167
                                        ; implicit-def: $vgpr160_vgpr161
.LBB61_86:
	s_andn2_saveexec_b64 s[2:3], s[2:3]
	s_cbranch_execz .LBB61_88
; %bb.87:
	v_div_scale_f64 v[164:165], s[10:11], v[160:161], v[160:161], v[162:163]
	v_rcp_f64_e32 v[166:167], v[164:165]
	v_div_scale_f64 v[168:169], vcc, v[162:163], v[160:161], v[162:163]
	v_fma_f64 v[170:171], -v[164:165], v[166:167], 1.0
	v_fmac_f64_e32 v[166:167], v[166:167], v[170:171]
	v_fma_f64 v[170:171], -v[164:165], v[166:167], 1.0
	v_fmac_f64_e32 v[166:167], v[166:167], v[170:171]
	v_mul_f64 v[170:171], v[168:169], v[166:167]
	v_fma_f64 v[164:165], -v[164:165], v[170:171], v[168:169]
	v_div_fmas_f64 v[164:165], v[164:165], v[166:167], v[170:171]
	v_div_fixup_f64 v[166:167], v[164:165], v[160:161], v[162:163]
	v_fmac_f64_e32 v[160:161], v[162:163], v[166:167]
	v_div_scale_f64 v[162:163], s[10:11], v[160:161], v[160:161], 1.0
	v_rcp_f64_e32 v[164:165], v[162:163]
	s_nop 0
	v_fma_f64 v[168:169], -v[162:163], v[164:165], 1.0
	v_fmac_f64_e32 v[164:165], v[164:165], v[168:169]
	v_fma_f64 v[168:169], -v[162:163], v[164:165], 1.0
	v_fmac_f64_e32 v[164:165], v[164:165], v[168:169]
	v_div_scale_f64 v[168:169], vcc, 1.0, v[160:161], 1.0
	v_mul_f64 v[170:171], v[168:169], v[164:165]
	v_fma_f64 v[162:163], -v[162:163], v[170:171], v[168:169]
	s_nop 1
	v_div_fmas_f64 v[162:163], v[162:163], v[164:165], v[170:171]
	v_div_fixup_f64 v[164:165], v[162:163], v[160:161], 1.0
	v_mul_f64 v[166:167], v[166:167], -v[164:165]
.LBB61_88:
	s_or_b64 exec, exec, s[2:3]
	ds_write2_b64 v255, v[164:165], v[166:167] offset1:1
.LBB61_89:
	s_or_b64 exec, exec, s[4:5]
	s_waitcnt lgkmcnt(0)
	s_barrier
	ds_read2_b64 v[160:163], v255 offset1:1
	v_cmp_lt_u32_e32 vcc, 9, v254
	s_and_saveexec_b64 s[2:3], vcc
	s_cbranch_execz .LBB61_91
; %bb.90:
	ds_read2_b64 v[166:169], v252 offset0:20 offset1:21
	ds_read2_b64 v[170:173], v252 offset0:22 offset1:23
	s_waitcnt vmcnt(52) lgkmcnt(2)
	v_mul_f64 v[164:165], v[162:163], v[82:83]
	v_mul_f64 v[82:83], v[160:161], v[82:83]
	v_fmac_f64_e32 v[82:83], v[162:163], v[80:81]
	v_fma_f64 v[164:165], v[160:161], v[80:81], -v[164:165]
	s_waitcnt lgkmcnt(1)
	v_mul_f64 v[80:81], v[168:169], v[82:83]
	v_fma_f64 v[80:81], v[166:167], v[164:165], -v[80:81]
	v_mul_f64 v[166:167], v[166:167], v[82:83]
	v_fmac_f64_e32 v[166:167], v[168:169], v[164:165]
	s_waitcnt vmcnt(51)
	v_add_f64 v[78:79], v[78:79], -v[166:167]
	ds_read2_b64 v[166:169], v252 offset0:24 offset1:25
	v_add_f64 v[76:77], v[76:77], -v[80:81]
	s_waitcnt lgkmcnt(1)
	v_mul_f64 v[80:81], v[172:173], v[82:83]
	v_fma_f64 v[80:81], v[170:171], v[164:165], -v[80:81]
	v_mul_f64 v[170:171], v[170:171], v[82:83]
	v_fmac_f64_e32 v[170:171], v[172:173], v[164:165]
	s_waitcnt vmcnt(50)
	v_add_f64 v[72:73], v[72:73], -v[80:81]
	v_add_f64 v[74:75], v[74:75], -v[170:171]
	ds_read2_b64 v[170:173], v252 offset0:26 offset1:27
	s_waitcnt lgkmcnt(1)
	v_mul_f64 v[80:81], v[168:169], v[82:83]
	v_fma_f64 v[80:81], v[166:167], v[164:165], -v[80:81]
	v_mul_f64 v[166:167], v[166:167], v[82:83]
	v_fmac_f64_e32 v[166:167], v[168:169], v[164:165]
	s_waitcnt vmcnt(49)
	v_add_f64 v[70:71], v[70:71], -v[166:167]
	ds_read2_b64 v[166:169], v252 offset0:28 offset1:29
	v_add_f64 v[68:69], v[68:69], -v[80:81]
	s_waitcnt lgkmcnt(1)
	v_mul_f64 v[80:81], v[172:173], v[82:83]
	v_fma_f64 v[80:81], v[170:171], v[164:165], -v[80:81]
	v_mul_f64 v[170:171], v[170:171], v[82:83]
	v_fmac_f64_e32 v[170:171], v[172:173], v[164:165]
	s_waitcnt vmcnt(48)
	v_add_f64 v[64:65], v[64:65], -v[80:81]
	v_add_f64 v[66:67], v[66:67], -v[170:171]
	ds_read2_b64 v[170:173], v252 offset0:30 offset1:31
	;; [unrolled: 18-line block ×5, first 2 shown]
	s_waitcnt lgkmcnt(1)
	v_mul_f64 v[80:81], v[168:169], v[82:83]
	v_fma_f64 v[80:81], v[166:167], v[164:165], -v[80:81]
	v_mul_f64 v[166:167], v[166:167], v[82:83]
	v_fmac_f64_e32 v[166:167], v[168:169], v[164:165]
	s_waitcnt vmcnt(16)
	v_add_f64 v[38:39], v[38:39], -v[166:167]
	ds_read2_b64 v[166:169], v252 offset0:44 offset1:45
	v_add_f64 v[36:37], v[36:37], -v[80:81]
	s_waitcnt lgkmcnt(1)
	v_mul_f64 v[80:81], v[172:173], v[82:83]
	v_fma_f64 v[80:81], v[170:171], v[164:165], -v[80:81]
	v_mul_f64 v[170:171], v[170:171], v[82:83]
	v_fmac_f64_e32 v[170:171], v[172:173], v[164:165]
	v_add_f64 v[32:33], v[32:33], -v[80:81]
	v_add_f64 v[34:35], v[34:35], -v[170:171]
	ds_read2_b64 v[170:173], v252 offset0:46 offset1:47
	s_waitcnt lgkmcnt(1)
	v_mul_f64 v[80:81], v[168:169], v[82:83]
	v_fma_f64 v[80:81], v[166:167], v[164:165], -v[80:81]
	v_mul_f64 v[166:167], v[166:167], v[82:83]
	v_fmac_f64_e32 v[166:167], v[168:169], v[164:165]
	v_add_f64 v[30:31], v[30:31], -v[166:167]
	ds_read2_b64 v[166:169], v252 offset0:48 offset1:49
	v_add_f64 v[28:29], v[28:29], -v[80:81]
	s_waitcnt lgkmcnt(1)
	v_mul_f64 v[80:81], v[172:173], v[82:83]
	v_fma_f64 v[80:81], v[170:171], v[164:165], -v[80:81]
	v_mul_f64 v[170:171], v[170:171], v[82:83]
	v_fmac_f64_e32 v[170:171], v[172:173], v[164:165]
	v_add_f64 v[24:25], v[24:25], -v[80:81]
	v_add_f64 v[26:27], v[26:27], -v[170:171]
	ds_read2_b64 v[170:173], v252 offset0:50 offset1:51
	s_waitcnt lgkmcnt(1)
	v_mul_f64 v[80:81], v[168:169], v[82:83]
	v_fma_f64 v[80:81], v[166:167], v[164:165], -v[80:81]
	v_mul_f64 v[166:167], v[166:167], v[82:83]
	v_fmac_f64_e32 v[166:167], v[168:169], v[164:165]
	v_add_f64 v[22:23], v[22:23], -v[166:167]
	ds_read2_b64 v[166:169], v252 offset0:52 offset1:53
	v_add_f64 v[20:21], v[20:21], -v[80:81]
	s_waitcnt lgkmcnt(1)
	v_mul_f64 v[80:81], v[172:173], v[82:83]
	v_fma_f64 v[80:81], v[170:171], v[164:165], -v[80:81]
	v_mul_f64 v[170:171], v[170:171], v[82:83]
	v_fmac_f64_e32 v[170:171], v[172:173], v[164:165]
	s_waitcnt vmcnt(15)
	v_add_f64 v[16:17], v[16:17], -v[80:81]
	v_add_f64 v[18:19], v[18:19], -v[170:171]
	ds_read2_b64 v[170:173], v252 offset0:54 offset1:55
	s_waitcnt lgkmcnt(1)
	v_mul_f64 v[80:81], v[168:169], v[82:83]
	v_fma_f64 v[80:81], v[166:167], v[164:165], -v[80:81]
	v_mul_f64 v[166:167], v[166:167], v[82:83]
	v_fmac_f64_e32 v[166:167], v[168:169], v[164:165]
	s_waitcnt vmcnt(14)
	v_add_f64 v[14:15], v[14:15], -v[166:167]
	ds_read2_b64 v[166:169], v252 offset0:56 offset1:57
	v_add_f64 v[12:13], v[12:13], -v[80:81]
	s_waitcnt lgkmcnt(1)
	v_mul_f64 v[80:81], v[172:173], v[82:83]
	v_fma_f64 v[80:81], v[170:171], v[164:165], -v[80:81]
	v_mul_f64 v[170:171], v[170:171], v[82:83]
	v_fmac_f64_e32 v[170:171], v[172:173], v[164:165]
	s_waitcnt vmcnt(13)
	v_add_f64 v[8:9], v[8:9], -v[80:81]
	v_add_f64 v[10:11], v[10:11], -v[170:171]
	ds_read2_b64 v[170:173], v252 offset0:58 offset1:59
	s_waitcnt lgkmcnt(1)
	v_mul_f64 v[80:81], v[168:169], v[82:83]
	v_fma_f64 v[80:81], v[166:167], v[164:165], -v[80:81]
	v_mul_f64 v[166:167], v[166:167], v[82:83]
	v_fmac_f64_e32 v[166:167], v[168:169], v[164:165]
	s_waitcnt vmcnt(12)
	v_add_f64 v[6:7], v[6:7], -v[166:167]
	ds_read2_b64 v[166:169], v252 offset0:60 offset1:61
	v_add_f64 v[4:5], v[4:5], -v[80:81]
	s_waitcnt lgkmcnt(1)
	v_mul_f64 v[80:81], v[172:173], v[82:83]
	v_fma_f64 v[80:81], v[170:171], v[164:165], -v[80:81]
	s_waitcnt vmcnt(11)
	v_add_f64 v[0:1], v[0:1], -v[80:81]
	s_waitcnt lgkmcnt(0)
	v_mul_f64 v[80:81], v[168:169], v[82:83]
	v_mul_f64 v[170:171], v[170:171], v[82:83]
	v_fma_f64 v[80:81], v[166:167], v[164:165], -v[80:81]
	v_mul_f64 v[166:167], v[166:167], v[82:83]
	v_fmac_f64_e32 v[170:171], v[172:173], v[164:165]
	v_fmac_f64_e32 v[166:167], v[168:169], v[164:165]
	v_add_f64 v[2:3], v[2:3], -v[170:171]
	s_waitcnt vmcnt(10)
	v_add_f64 v[120:121], v[120:121], -v[80:81]
	v_add_f64 v[122:123], v[122:123], -v[166:167]
	v_mov_b64_e32 v[80:81], v[164:165]
.LBB61_91:
	s_or_b64 exec, exec, s[2:3]
	v_cmp_eq_u32_e32 vcc, 10, v254
	s_waitcnt lgkmcnt(0)
	s_barrier
	s_and_saveexec_b64 s[4:5], vcc
	s_cbranch_execz .LBB61_98
; %bb.92:
	s_waitcnt vmcnt(51)
	ds_write2_b64 v255, v[76:77], v[78:79] offset1:1
	s_waitcnt vmcnt(50)
	ds_write2_b64 v252, v[72:73], v[74:75] offset0:22 offset1:23
	s_waitcnt vmcnt(49)
	ds_write2_b64 v252, v[68:69], v[70:71] offset0:24 offset1:25
	;; [unrolled: 2-line block ×10, first 2 shown]
	ds_write2_b64 v252, v[32:33], v[34:35] offset0:42 offset1:43
	ds_write2_b64 v252, v[28:29], v[30:31] offset0:44 offset1:45
	ds_write2_b64 v252, v[24:25], v[26:27] offset0:46 offset1:47
	ds_write2_b64 v252, v[20:21], v[22:23] offset0:48 offset1:49
	s_waitcnt vmcnt(15)
	ds_write2_b64 v252, v[16:17], v[18:19] offset0:50 offset1:51
	s_waitcnt vmcnt(14)
	ds_write2_b64 v252, v[12:13], v[14:15] offset0:52 offset1:53
	;; [unrolled: 2-line block ×6, first 2 shown]
	ds_read2_b64 v[164:167], v255 offset1:1
	s_waitcnt lgkmcnt(0)
	v_cmp_neq_f64_e32 vcc, 0, v[164:165]
	v_cmp_neq_f64_e64 s[2:3], 0, v[166:167]
	s_or_b64 s[2:3], vcc, s[2:3]
	s_and_b64 exec, exec, s[2:3]
	s_cbranch_execz .LBB61_98
; %bb.93:
	v_cmp_ngt_f64_e64 s[2:3], |v[164:165]|, |v[166:167]|
                                        ; implicit-def: $vgpr168_vgpr169
	s_and_saveexec_b64 s[10:11], s[2:3]
	s_xor_b64 s[2:3], exec, s[10:11]
                                        ; implicit-def: $vgpr170_vgpr171
	s_cbranch_execz .LBB61_95
; %bb.94:
	v_div_scale_f64 v[168:169], s[10:11], v[166:167], v[166:167], v[164:165]
	v_rcp_f64_e32 v[170:171], v[168:169]
	v_div_scale_f64 v[172:173], vcc, v[164:165], v[166:167], v[164:165]
	v_fma_f64 v[174:175], -v[168:169], v[170:171], 1.0
	v_fmac_f64_e32 v[170:171], v[170:171], v[174:175]
	v_fma_f64 v[174:175], -v[168:169], v[170:171], 1.0
	v_fmac_f64_e32 v[170:171], v[170:171], v[174:175]
	v_mul_f64 v[174:175], v[172:173], v[170:171]
	v_fma_f64 v[168:169], -v[168:169], v[174:175], v[172:173]
	v_div_fmas_f64 v[168:169], v[168:169], v[170:171], v[174:175]
	v_div_fixup_f64 v[168:169], v[168:169], v[166:167], v[164:165]
	v_fmac_f64_e32 v[166:167], v[164:165], v[168:169]
	v_div_scale_f64 v[164:165], s[10:11], v[166:167], v[166:167], 1.0
	v_rcp_f64_e32 v[170:171], v[164:165]
	s_nop 0
	v_fma_f64 v[172:173], -v[164:165], v[170:171], 1.0
	v_fmac_f64_e32 v[170:171], v[170:171], v[172:173]
	v_fma_f64 v[172:173], -v[164:165], v[170:171], 1.0
	v_fmac_f64_e32 v[170:171], v[170:171], v[172:173]
	v_div_scale_f64 v[172:173], vcc, 1.0, v[166:167], 1.0
	v_mul_f64 v[174:175], v[172:173], v[170:171]
	v_fma_f64 v[164:165], -v[164:165], v[174:175], v[172:173]
	s_nop 1
	v_div_fmas_f64 v[164:165], v[164:165], v[170:171], v[174:175]
	v_div_fixup_f64 v[170:171], v[164:165], v[166:167], 1.0
	v_mul_f64 v[168:169], v[168:169], v[170:171]
	v_xor_b32_e32 v171, 0x80000000, v171
                                        ; implicit-def: $vgpr164_vgpr165
.LBB61_95:
	s_andn2_saveexec_b64 s[2:3], s[2:3]
	s_cbranch_execz .LBB61_97
; %bb.96:
	v_div_scale_f64 v[168:169], s[10:11], v[164:165], v[164:165], v[166:167]
	v_rcp_f64_e32 v[170:171], v[168:169]
	v_div_scale_f64 v[172:173], vcc, v[166:167], v[164:165], v[166:167]
	v_fma_f64 v[174:175], -v[168:169], v[170:171], 1.0
	v_fmac_f64_e32 v[170:171], v[170:171], v[174:175]
	v_fma_f64 v[174:175], -v[168:169], v[170:171], 1.0
	v_fmac_f64_e32 v[170:171], v[170:171], v[174:175]
	v_mul_f64 v[174:175], v[172:173], v[170:171]
	v_fma_f64 v[168:169], -v[168:169], v[174:175], v[172:173]
	v_div_fmas_f64 v[168:169], v[168:169], v[170:171], v[174:175]
	v_div_fixup_f64 v[170:171], v[168:169], v[164:165], v[166:167]
	v_fmac_f64_e32 v[164:165], v[166:167], v[170:171]
	v_div_scale_f64 v[166:167], s[10:11], v[164:165], v[164:165], 1.0
	v_rcp_f64_e32 v[168:169], v[166:167]
	s_nop 0
	v_fma_f64 v[172:173], -v[166:167], v[168:169], 1.0
	v_fmac_f64_e32 v[168:169], v[168:169], v[172:173]
	v_fma_f64 v[172:173], -v[166:167], v[168:169], 1.0
	v_fmac_f64_e32 v[168:169], v[168:169], v[172:173]
	v_div_scale_f64 v[172:173], vcc, 1.0, v[164:165], 1.0
	v_mul_f64 v[174:175], v[172:173], v[168:169]
	v_fma_f64 v[166:167], -v[166:167], v[174:175], v[172:173]
	s_nop 1
	v_div_fmas_f64 v[166:167], v[166:167], v[168:169], v[174:175]
	v_div_fixup_f64 v[168:169], v[166:167], v[164:165], 1.0
	v_mul_f64 v[170:171], v[170:171], -v[168:169]
.LBB61_97:
	s_or_b64 exec, exec, s[2:3]
	ds_write2_b64 v255, v[168:169], v[170:171] offset1:1
.LBB61_98:
	s_or_b64 exec, exec, s[4:5]
	s_waitcnt lgkmcnt(0)
	s_barrier
	ds_read2_b64 v[164:167], v255 offset1:1
	v_cmp_lt_u32_e32 vcc, 10, v254
	s_and_saveexec_b64 s[2:3], vcc
	s_cbranch_execz .LBB61_100
; %bb.99:
	ds_read2_b64 v[170:173], v252 offset0:22 offset1:23
	ds_read2_b64 v[174:177], v252 offset0:24 offset1:25
	s_waitcnt vmcnt(51) lgkmcnt(2)
	v_mul_f64 v[168:169], v[166:167], v[78:79]
	v_mul_f64 v[78:79], v[164:165], v[78:79]
	v_fmac_f64_e32 v[78:79], v[166:167], v[76:77]
	v_fma_f64 v[168:169], v[164:165], v[76:77], -v[168:169]
	s_waitcnt lgkmcnt(1)
	v_mul_f64 v[76:77], v[172:173], v[78:79]
	v_fma_f64 v[76:77], v[170:171], v[168:169], -v[76:77]
	v_mul_f64 v[170:171], v[170:171], v[78:79]
	v_fmac_f64_e32 v[170:171], v[172:173], v[168:169]
	s_waitcnt vmcnt(50)
	v_add_f64 v[72:73], v[72:73], -v[76:77]
	v_add_f64 v[74:75], v[74:75], -v[170:171]
	s_waitcnt lgkmcnt(0)
	v_mul_f64 v[76:77], v[176:177], v[78:79]
	ds_read2_b64 v[170:173], v252 offset0:26 offset1:27
	v_fma_f64 v[76:77], v[174:175], v[168:169], -v[76:77]
	v_mul_f64 v[174:175], v[174:175], v[78:79]
	v_fmac_f64_e32 v[174:175], v[176:177], v[168:169]
	s_waitcnt vmcnt(49)
	v_add_f64 v[70:71], v[70:71], -v[174:175]
	ds_read2_b64 v[174:177], v252 offset0:28 offset1:29
	v_add_f64 v[68:69], v[68:69], -v[76:77]
	s_waitcnt lgkmcnt(1)
	v_mul_f64 v[76:77], v[172:173], v[78:79]
	v_fma_f64 v[76:77], v[170:171], v[168:169], -v[76:77]
	v_mul_f64 v[170:171], v[170:171], v[78:79]
	v_fmac_f64_e32 v[170:171], v[172:173], v[168:169]
	s_waitcnt vmcnt(48)
	v_add_f64 v[64:65], v[64:65], -v[76:77]
	v_add_f64 v[66:67], v[66:67], -v[170:171]
	s_waitcnt lgkmcnt(0)
	v_mul_f64 v[76:77], v[176:177], v[78:79]
	ds_read2_b64 v[170:173], v252 offset0:30 offset1:31
	v_fma_f64 v[76:77], v[174:175], v[168:169], -v[76:77]
	v_mul_f64 v[174:175], v[174:175], v[78:79]
	v_fmac_f64_e32 v[174:175], v[176:177], v[168:169]
	s_waitcnt vmcnt(47)
	v_add_f64 v[62:63], v[62:63], -v[174:175]
	ds_read2_b64 v[174:177], v252 offset0:32 offset1:33
	v_add_f64 v[60:61], v[60:61], -v[76:77]
	;; [unrolled: 18-line block ×5, first 2 shown]
	s_waitcnt lgkmcnt(1)
	v_mul_f64 v[76:77], v[172:173], v[78:79]
	v_fma_f64 v[76:77], v[170:171], v[168:169], -v[76:77]
	v_mul_f64 v[170:171], v[170:171], v[78:79]
	v_fmac_f64_e32 v[170:171], v[172:173], v[168:169]
	v_add_f64 v[32:33], v[32:33], -v[76:77]
	v_add_f64 v[34:35], v[34:35], -v[170:171]
	s_waitcnt lgkmcnt(0)
	v_mul_f64 v[76:77], v[176:177], v[78:79]
	ds_read2_b64 v[170:173], v252 offset0:46 offset1:47
	v_fma_f64 v[76:77], v[174:175], v[168:169], -v[76:77]
	v_mul_f64 v[174:175], v[174:175], v[78:79]
	v_fmac_f64_e32 v[174:175], v[176:177], v[168:169]
	v_add_f64 v[30:31], v[30:31], -v[174:175]
	ds_read2_b64 v[174:177], v252 offset0:48 offset1:49
	v_add_f64 v[28:29], v[28:29], -v[76:77]
	s_waitcnt lgkmcnt(1)
	v_mul_f64 v[76:77], v[172:173], v[78:79]
	v_fma_f64 v[76:77], v[170:171], v[168:169], -v[76:77]
	v_mul_f64 v[170:171], v[170:171], v[78:79]
	v_fmac_f64_e32 v[170:171], v[172:173], v[168:169]
	v_add_f64 v[24:25], v[24:25], -v[76:77]
	v_add_f64 v[26:27], v[26:27], -v[170:171]
	s_waitcnt lgkmcnt(0)
	v_mul_f64 v[76:77], v[176:177], v[78:79]
	ds_read2_b64 v[170:173], v252 offset0:50 offset1:51
	v_fma_f64 v[76:77], v[174:175], v[168:169], -v[76:77]
	v_mul_f64 v[174:175], v[174:175], v[78:79]
	v_fmac_f64_e32 v[174:175], v[176:177], v[168:169]
	v_add_f64 v[22:23], v[22:23], -v[174:175]
	ds_read2_b64 v[174:177], v252 offset0:52 offset1:53
	v_add_f64 v[20:21], v[20:21], -v[76:77]
	s_waitcnt lgkmcnt(1)
	v_mul_f64 v[76:77], v[172:173], v[78:79]
	v_fma_f64 v[76:77], v[170:171], v[168:169], -v[76:77]
	v_mul_f64 v[170:171], v[170:171], v[78:79]
	v_fmac_f64_e32 v[170:171], v[172:173], v[168:169]
	s_waitcnt vmcnt(15)
	v_add_f64 v[16:17], v[16:17], -v[76:77]
	v_add_f64 v[18:19], v[18:19], -v[170:171]
	s_waitcnt lgkmcnt(0)
	v_mul_f64 v[76:77], v[176:177], v[78:79]
	ds_read2_b64 v[170:173], v252 offset0:54 offset1:55
	v_fma_f64 v[76:77], v[174:175], v[168:169], -v[76:77]
	v_mul_f64 v[174:175], v[174:175], v[78:79]
	v_fmac_f64_e32 v[174:175], v[176:177], v[168:169]
	s_waitcnt vmcnt(14)
	v_add_f64 v[14:15], v[14:15], -v[174:175]
	ds_read2_b64 v[174:177], v252 offset0:56 offset1:57
	v_add_f64 v[12:13], v[12:13], -v[76:77]
	s_waitcnt lgkmcnt(1)
	v_mul_f64 v[76:77], v[172:173], v[78:79]
	v_fma_f64 v[76:77], v[170:171], v[168:169], -v[76:77]
	v_mul_f64 v[170:171], v[170:171], v[78:79]
	v_fmac_f64_e32 v[170:171], v[172:173], v[168:169]
	s_waitcnt vmcnt(13)
	v_add_f64 v[8:9], v[8:9], -v[76:77]
	v_add_f64 v[10:11], v[10:11], -v[170:171]
	s_waitcnt lgkmcnt(0)
	v_mul_f64 v[76:77], v[176:177], v[78:79]
	ds_read2_b64 v[170:173], v252 offset0:58 offset1:59
	v_fma_f64 v[76:77], v[174:175], v[168:169], -v[76:77]
	v_mul_f64 v[174:175], v[174:175], v[78:79]
	v_fmac_f64_e32 v[174:175], v[176:177], v[168:169]
	s_waitcnt vmcnt(12)
	v_add_f64 v[6:7], v[6:7], -v[174:175]
	ds_read2_b64 v[174:177], v252 offset0:60 offset1:61
	v_add_f64 v[4:5], v[4:5], -v[76:77]
	s_waitcnt lgkmcnt(1)
	v_mul_f64 v[76:77], v[172:173], v[78:79]
	v_fma_f64 v[76:77], v[170:171], v[168:169], -v[76:77]
	v_mul_f64 v[170:171], v[170:171], v[78:79]
	v_fmac_f64_e32 v[170:171], v[172:173], v[168:169]
	s_waitcnt vmcnt(11)
	v_add_f64 v[0:1], v[0:1], -v[76:77]
	v_add_f64 v[2:3], v[2:3], -v[170:171]
	s_waitcnt lgkmcnt(0)
	v_mul_f64 v[76:77], v[176:177], v[78:79]
	v_mul_f64 v[170:171], v[174:175], v[78:79]
	v_fma_f64 v[76:77], v[174:175], v[168:169], -v[76:77]
	v_fmac_f64_e32 v[170:171], v[176:177], v[168:169]
	s_waitcnt vmcnt(10)
	v_add_f64 v[120:121], v[120:121], -v[76:77]
	v_add_f64 v[122:123], v[122:123], -v[170:171]
	v_mov_b64_e32 v[76:77], v[168:169]
.LBB61_100:
	s_or_b64 exec, exec, s[2:3]
	v_cmp_eq_u32_e32 vcc, 11, v254
	s_waitcnt lgkmcnt(0)
	s_barrier
	s_and_saveexec_b64 s[4:5], vcc
	s_cbranch_execz .LBB61_107
; %bb.101:
	s_waitcnt vmcnt(50)
	ds_write2_b64 v255, v[72:73], v[74:75] offset1:1
	s_waitcnt vmcnt(49)
	ds_write2_b64 v252, v[68:69], v[70:71] offset0:24 offset1:25
	s_waitcnt vmcnt(48)
	ds_write2_b64 v252, v[64:65], v[66:67] offset0:26 offset1:27
	;; [unrolled: 2-line block ×9, first 2 shown]
	ds_write2_b64 v252, v[32:33], v[34:35] offset0:42 offset1:43
	ds_write2_b64 v252, v[28:29], v[30:31] offset0:44 offset1:45
	;; [unrolled: 1-line block ×4, first 2 shown]
	s_waitcnt vmcnt(15)
	ds_write2_b64 v252, v[16:17], v[18:19] offset0:50 offset1:51
	s_waitcnt vmcnt(14)
	ds_write2_b64 v252, v[12:13], v[14:15] offset0:52 offset1:53
	;; [unrolled: 2-line block ×6, first 2 shown]
	ds_read2_b64 v[168:171], v255 offset1:1
	s_waitcnt lgkmcnt(0)
	v_cmp_neq_f64_e32 vcc, 0, v[168:169]
	v_cmp_neq_f64_e64 s[2:3], 0, v[170:171]
	s_or_b64 s[2:3], vcc, s[2:3]
	s_and_b64 exec, exec, s[2:3]
	s_cbranch_execz .LBB61_107
; %bb.102:
	v_cmp_ngt_f64_e64 s[2:3], |v[168:169]|, |v[170:171]|
                                        ; implicit-def: $vgpr172_vgpr173
	s_and_saveexec_b64 s[10:11], s[2:3]
	s_xor_b64 s[2:3], exec, s[10:11]
                                        ; implicit-def: $vgpr174_vgpr175
	s_cbranch_execz .LBB61_104
; %bb.103:
	v_div_scale_f64 v[172:173], s[10:11], v[170:171], v[170:171], v[168:169]
	v_rcp_f64_e32 v[174:175], v[172:173]
	v_div_scale_f64 v[176:177], vcc, v[168:169], v[170:171], v[168:169]
	v_fma_f64 v[178:179], -v[172:173], v[174:175], 1.0
	v_fmac_f64_e32 v[174:175], v[174:175], v[178:179]
	v_fma_f64 v[178:179], -v[172:173], v[174:175], 1.0
	v_fmac_f64_e32 v[174:175], v[174:175], v[178:179]
	v_mul_f64 v[178:179], v[176:177], v[174:175]
	v_fma_f64 v[172:173], -v[172:173], v[178:179], v[176:177]
	v_div_fmas_f64 v[172:173], v[172:173], v[174:175], v[178:179]
	v_div_fixup_f64 v[172:173], v[172:173], v[170:171], v[168:169]
	v_fmac_f64_e32 v[170:171], v[168:169], v[172:173]
	v_div_scale_f64 v[168:169], s[10:11], v[170:171], v[170:171], 1.0
	v_rcp_f64_e32 v[174:175], v[168:169]
	s_nop 0
	v_fma_f64 v[176:177], -v[168:169], v[174:175], 1.0
	v_fmac_f64_e32 v[174:175], v[174:175], v[176:177]
	v_fma_f64 v[176:177], -v[168:169], v[174:175], 1.0
	v_fmac_f64_e32 v[174:175], v[174:175], v[176:177]
	v_div_scale_f64 v[176:177], vcc, 1.0, v[170:171], 1.0
	v_mul_f64 v[178:179], v[176:177], v[174:175]
	v_fma_f64 v[168:169], -v[168:169], v[178:179], v[176:177]
	s_nop 1
	v_div_fmas_f64 v[168:169], v[168:169], v[174:175], v[178:179]
	v_div_fixup_f64 v[174:175], v[168:169], v[170:171], 1.0
	v_mul_f64 v[172:173], v[172:173], v[174:175]
	v_xor_b32_e32 v175, 0x80000000, v175
                                        ; implicit-def: $vgpr168_vgpr169
.LBB61_104:
	s_andn2_saveexec_b64 s[2:3], s[2:3]
	s_cbranch_execz .LBB61_106
; %bb.105:
	v_div_scale_f64 v[172:173], s[10:11], v[168:169], v[168:169], v[170:171]
	v_rcp_f64_e32 v[174:175], v[172:173]
	v_div_scale_f64 v[176:177], vcc, v[170:171], v[168:169], v[170:171]
	v_fma_f64 v[178:179], -v[172:173], v[174:175], 1.0
	v_fmac_f64_e32 v[174:175], v[174:175], v[178:179]
	v_fma_f64 v[178:179], -v[172:173], v[174:175], 1.0
	v_fmac_f64_e32 v[174:175], v[174:175], v[178:179]
	v_mul_f64 v[178:179], v[176:177], v[174:175]
	v_fma_f64 v[172:173], -v[172:173], v[178:179], v[176:177]
	v_div_fmas_f64 v[172:173], v[172:173], v[174:175], v[178:179]
	v_div_fixup_f64 v[174:175], v[172:173], v[168:169], v[170:171]
	v_fmac_f64_e32 v[168:169], v[170:171], v[174:175]
	v_div_scale_f64 v[170:171], s[10:11], v[168:169], v[168:169], 1.0
	v_rcp_f64_e32 v[172:173], v[170:171]
	s_nop 0
	v_fma_f64 v[176:177], -v[170:171], v[172:173], 1.0
	v_fmac_f64_e32 v[172:173], v[172:173], v[176:177]
	v_fma_f64 v[176:177], -v[170:171], v[172:173], 1.0
	v_fmac_f64_e32 v[172:173], v[172:173], v[176:177]
	v_div_scale_f64 v[176:177], vcc, 1.0, v[168:169], 1.0
	v_mul_f64 v[178:179], v[176:177], v[172:173]
	v_fma_f64 v[170:171], -v[170:171], v[178:179], v[176:177]
	s_nop 1
	v_div_fmas_f64 v[170:171], v[170:171], v[172:173], v[178:179]
	v_div_fixup_f64 v[172:173], v[170:171], v[168:169], 1.0
	v_mul_f64 v[174:175], v[174:175], -v[172:173]
.LBB61_106:
	s_or_b64 exec, exec, s[2:3]
	ds_write2_b64 v255, v[172:173], v[174:175] offset1:1
.LBB61_107:
	s_or_b64 exec, exec, s[4:5]
	s_waitcnt lgkmcnt(0)
	s_barrier
	ds_read2_b64 v[168:171], v255 offset1:1
	v_cmp_lt_u32_e32 vcc, 11, v254
	s_and_saveexec_b64 s[2:3], vcc
	s_cbranch_execz .LBB61_109
; %bb.108:
	ds_read2_b64 v[174:177], v252 offset0:24 offset1:25
	ds_read2_b64 v[178:181], v252 offset0:26 offset1:27
	s_waitcnt vmcnt(50) lgkmcnt(2)
	v_mul_f64 v[172:173], v[170:171], v[74:75]
	v_mul_f64 v[74:75], v[168:169], v[74:75]
	v_fmac_f64_e32 v[74:75], v[170:171], v[72:73]
	v_fma_f64 v[172:173], v[168:169], v[72:73], -v[172:173]
	s_waitcnt lgkmcnt(1)
	v_mul_f64 v[72:73], v[176:177], v[74:75]
	v_fma_f64 v[72:73], v[174:175], v[172:173], -v[72:73]
	v_mul_f64 v[174:175], v[174:175], v[74:75]
	v_fmac_f64_e32 v[174:175], v[176:177], v[172:173]
	s_waitcnt vmcnt(49)
	v_add_f64 v[70:71], v[70:71], -v[174:175]
	ds_read2_b64 v[174:177], v252 offset0:28 offset1:29
	v_add_f64 v[68:69], v[68:69], -v[72:73]
	s_waitcnt lgkmcnt(1)
	v_mul_f64 v[72:73], v[180:181], v[74:75]
	v_fma_f64 v[72:73], v[178:179], v[172:173], -v[72:73]
	v_mul_f64 v[178:179], v[178:179], v[74:75]
	v_fmac_f64_e32 v[178:179], v[180:181], v[172:173]
	s_waitcnt vmcnt(48)
	v_add_f64 v[64:65], v[64:65], -v[72:73]
	v_add_f64 v[66:67], v[66:67], -v[178:179]
	ds_read2_b64 v[178:181], v252 offset0:30 offset1:31
	s_waitcnt lgkmcnt(1)
	v_mul_f64 v[72:73], v[176:177], v[74:75]
	v_fma_f64 v[72:73], v[174:175], v[172:173], -v[72:73]
	v_mul_f64 v[174:175], v[174:175], v[74:75]
	v_fmac_f64_e32 v[174:175], v[176:177], v[172:173]
	s_waitcnt vmcnt(47)
	v_add_f64 v[62:63], v[62:63], -v[174:175]
	ds_read2_b64 v[174:177], v252 offset0:32 offset1:33
	v_add_f64 v[60:61], v[60:61], -v[72:73]
	s_waitcnt lgkmcnt(1)
	v_mul_f64 v[72:73], v[180:181], v[74:75]
	v_fma_f64 v[72:73], v[178:179], v[172:173], -v[72:73]
	v_mul_f64 v[178:179], v[178:179], v[74:75]
	v_fmac_f64_e32 v[178:179], v[180:181], v[172:173]
	s_waitcnt vmcnt(46)
	v_add_f64 v[56:57], v[56:57], -v[72:73]
	v_add_f64 v[58:59], v[58:59], -v[178:179]
	ds_read2_b64 v[178:181], v252 offset0:34 offset1:35
	s_waitcnt lgkmcnt(1)
	v_mul_f64 v[72:73], v[176:177], v[74:75]
	v_fma_f64 v[72:73], v[174:175], v[172:173], -v[72:73]
	v_mul_f64 v[174:175], v[174:175], v[74:75]
	v_fmac_f64_e32 v[174:175], v[176:177], v[172:173]
	s_waitcnt vmcnt(45)
	v_add_f64 v[54:55], v[54:55], -v[174:175]
	ds_read2_b64 v[174:177], v252 offset0:36 offset1:37
	v_add_f64 v[52:53], v[52:53], -v[72:73]
	s_waitcnt lgkmcnt(1)
	v_mul_f64 v[72:73], v[180:181], v[74:75]
	v_fma_f64 v[72:73], v[178:179], v[172:173], -v[72:73]
	v_mul_f64 v[178:179], v[178:179], v[74:75]
	v_fmac_f64_e32 v[178:179], v[180:181], v[172:173]
	s_waitcnt vmcnt(44)
	v_add_f64 v[48:49], v[48:49], -v[72:73]
	v_add_f64 v[50:51], v[50:51], -v[178:179]
	ds_read2_b64 v[178:181], v252 offset0:38 offset1:39
	s_waitcnt lgkmcnt(1)
	v_mul_f64 v[72:73], v[176:177], v[74:75]
	v_fma_f64 v[72:73], v[174:175], v[172:173], -v[72:73]
	v_mul_f64 v[174:175], v[174:175], v[74:75]
	v_fmac_f64_e32 v[174:175], v[176:177], v[172:173]
	s_waitcnt vmcnt(43)
	v_add_f64 v[46:47], v[46:47], -v[174:175]
	ds_read2_b64 v[174:177], v252 offset0:40 offset1:41
	v_add_f64 v[44:45], v[44:45], -v[72:73]
	s_waitcnt lgkmcnt(1)
	v_mul_f64 v[72:73], v[180:181], v[74:75]
	v_fma_f64 v[72:73], v[178:179], v[172:173], -v[72:73]
	v_mul_f64 v[178:179], v[178:179], v[74:75]
	v_fmac_f64_e32 v[178:179], v[180:181], v[172:173]
	s_waitcnt vmcnt(42)
	v_add_f64 v[40:41], v[40:41], -v[72:73]
	v_add_f64 v[42:43], v[42:43], -v[178:179]
	ds_read2_b64 v[178:181], v252 offset0:42 offset1:43
	s_waitcnt lgkmcnt(1)
	v_mul_f64 v[72:73], v[176:177], v[74:75]
	v_fma_f64 v[72:73], v[174:175], v[172:173], -v[72:73]
	v_mul_f64 v[174:175], v[174:175], v[74:75]
	v_fmac_f64_e32 v[174:175], v[176:177], v[172:173]
	s_waitcnt vmcnt(16)
	v_add_f64 v[38:39], v[38:39], -v[174:175]
	ds_read2_b64 v[174:177], v252 offset0:44 offset1:45
	v_add_f64 v[36:37], v[36:37], -v[72:73]
	s_waitcnt lgkmcnt(1)
	v_mul_f64 v[72:73], v[180:181], v[74:75]
	v_fma_f64 v[72:73], v[178:179], v[172:173], -v[72:73]
	v_mul_f64 v[178:179], v[178:179], v[74:75]
	v_fmac_f64_e32 v[178:179], v[180:181], v[172:173]
	v_add_f64 v[32:33], v[32:33], -v[72:73]
	v_add_f64 v[34:35], v[34:35], -v[178:179]
	ds_read2_b64 v[178:181], v252 offset0:46 offset1:47
	s_waitcnt lgkmcnt(1)
	v_mul_f64 v[72:73], v[176:177], v[74:75]
	v_fma_f64 v[72:73], v[174:175], v[172:173], -v[72:73]
	v_mul_f64 v[174:175], v[174:175], v[74:75]
	v_fmac_f64_e32 v[174:175], v[176:177], v[172:173]
	v_add_f64 v[30:31], v[30:31], -v[174:175]
	ds_read2_b64 v[174:177], v252 offset0:48 offset1:49
	v_add_f64 v[28:29], v[28:29], -v[72:73]
	s_waitcnt lgkmcnt(1)
	v_mul_f64 v[72:73], v[180:181], v[74:75]
	v_fma_f64 v[72:73], v[178:179], v[172:173], -v[72:73]
	v_mul_f64 v[178:179], v[178:179], v[74:75]
	v_fmac_f64_e32 v[178:179], v[180:181], v[172:173]
	v_add_f64 v[24:25], v[24:25], -v[72:73]
	v_add_f64 v[26:27], v[26:27], -v[178:179]
	ds_read2_b64 v[178:181], v252 offset0:50 offset1:51
	s_waitcnt lgkmcnt(1)
	v_mul_f64 v[72:73], v[176:177], v[74:75]
	v_fma_f64 v[72:73], v[174:175], v[172:173], -v[72:73]
	v_mul_f64 v[174:175], v[174:175], v[74:75]
	v_fmac_f64_e32 v[174:175], v[176:177], v[172:173]
	v_add_f64 v[22:23], v[22:23], -v[174:175]
	ds_read2_b64 v[174:177], v252 offset0:52 offset1:53
	v_add_f64 v[20:21], v[20:21], -v[72:73]
	s_waitcnt lgkmcnt(1)
	v_mul_f64 v[72:73], v[180:181], v[74:75]
	v_fma_f64 v[72:73], v[178:179], v[172:173], -v[72:73]
	v_mul_f64 v[178:179], v[178:179], v[74:75]
	v_fmac_f64_e32 v[178:179], v[180:181], v[172:173]
	s_waitcnt vmcnt(15)
	v_add_f64 v[16:17], v[16:17], -v[72:73]
	v_add_f64 v[18:19], v[18:19], -v[178:179]
	ds_read2_b64 v[178:181], v252 offset0:54 offset1:55
	s_waitcnt lgkmcnt(1)
	v_mul_f64 v[72:73], v[176:177], v[74:75]
	v_fma_f64 v[72:73], v[174:175], v[172:173], -v[72:73]
	v_mul_f64 v[174:175], v[174:175], v[74:75]
	v_fmac_f64_e32 v[174:175], v[176:177], v[172:173]
	s_waitcnt vmcnt(14)
	v_add_f64 v[14:15], v[14:15], -v[174:175]
	ds_read2_b64 v[174:177], v252 offset0:56 offset1:57
	v_add_f64 v[12:13], v[12:13], -v[72:73]
	s_waitcnt lgkmcnt(1)
	v_mul_f64 v[72:73], v[180:181], v[74:75]
	v_fma_f64 v[72:73], v[178:179], v[172:173], -v[72:73]
	v_mul_f64 v[178:179], v[178:179], v[74:75]
	v_fmac_f64_e32 v[178:179], v[180:181], v[172:173]
	s_waitcnt vmcnt(13)
	v_add_f64 v[8:9], v[8:9], -v[72:73]
	v_add_f64 v[10:11], v[10:11], -v[178:179]
	ds_read2_b64 v[178:181], v252 offset0:58 offset1:59
	s_waitcnt lgkmcnt(1)
	v_mul_f64 v[72:73], v[176:177], v[74:75]
	v_fma_f64 v[72:73], v[174:175], v[172:173], -v[72:73]
	v_mul_f64 v[174:175], v[174:175], v[74:75]
	v_fmac_f64_e32 v[174:175], v[176:177], v[172:173]
	s_waitcnt vmcnt(12)
	v_add_f64 v[6:7], v[6:7], -v[174:175]
	ds_read2_b64 v[174:177], v252 offset0:60 offset1:61
	v_add_f64 v[4:5], v[4:5], -v[72:73]
	s_waitcnt lgkmcnt(1)
	v_mul_f64 v[72:73], v[180:181], v[74:75]
	v_fma_f64 v[72:73], v[178:179], v[172:173], -v[72:73]
	s_waitcnt vmcnt(11)
	v_add_f64 v[0:1], v[0:1], -v[72:73]
	s_waitcnt lgkmcnt(0)
	v_mul_f64 v[72:73], v[176:177], v[74:75]
	v_mul_f64 v[178:179], v[178:179], v[74:75]
	v_fma_f64 v[72:73], v[174:175], v[172:173], -v[72:73]
	v_mul_f64 v[174:175], v[174:175], v[74:75]
	v_fmac_f64_e32 v[178:179], v[180:181], v[172:173]
	v_fmac_f64_e32 v[174:175], v[176:177], v[172:173]
	v_add_f64 v[2:3], v[2:3], -v[178:179]
	s_waitcnt vmcnt(10)
	v_add_f64 v[120:121], v[120:121], -v[72:73]
	v_add_f64 v[122:123], v[122:123], -v[174:175]
	v_mov_b64_e32 v[72:73], v[172:173]
.LBB61_109:
	s_or_b64 exec, exec, s[2:3]
	v_cmp_eq_u32_e32 vcc, 12, v254
	s_waitcnt lgkmcnt(0)
	s_barrier
	s_and_saveexec_b64 s[4:5], vcc
	s_cbranch_execz .LBB61_116
; %bb.110:
	s_waitcnt vmcnt(49)
	ds_write2_b64 v255, v[68:69], v[70:71] offset1:1
	s_waitcnt vmcnt(48)
	ds_write2_b64 v252, v[64:65], v[66:67] offset0:26 offset1:27
	s_waitcnt vmcnt(47)
	ds_write2_b64 v252, v[60:61], v[62:63] offset0:28 offset1:29
	;; [unrolled: 2-line block ×8, first 2 shown]
	ds_write2_b64 v252, v[32:33], v[34:35] offset0:42 offset1:43
	ds_write2_b64 v252, v[28:29], v[30:31] offset0:44 offset1:45
	;; [unrolled: 1-line block ×4, first 2 shown]
	s_waitcnt vmcnt(15)
	ds_write2_b64 v252, v[16:17], v[18:19] offset0:50 offset1:51
	s_waitcnt vmcnt(14)
	ds_write2_b64 v252, v[12:13], v[14:15] offset0:52 offset1:53
	;; [unrolled: 2-line block ×6, first 2 shown]
	ds_read2_b64 v[172:175], v255 offset1:1
	s_waitcnt lgkmcnt(0)
	v_cmp_neq_f64_e32 vcc, 0, v[172:173]
	v_cmp_neq_f64_e64 s[2:3], 0, v[174:175]
	s_or_b64 s[2:3], vcc, s[2:3]
	s_and_b64 exec, exec, s[2:3]
	s_cbranch_execz .LBB61_116
; %bb.111:
	v_cmp_ngt_f64_e64 s[2:3], |v[172:173]|, |v[174:175]|
                                        ; implicit-def: $vgpr176_vgpr177
	s_and_saveexec_b64 s[10:11], s[2:3]
	s_xor_b64 s[2:3], exec, s[10:11]
                                        ; implicit-def: $vgpr178_vgpr179
	s_cbranch_execz .LBB61_113
; %bb.112:
	v_div_scale_f64 v[176:177], s[10:11], v[174:175], v[174:175], v[172:173]
	v_rcp_f64_e32 v[178:179], v[176:177]
	v_div_scale_f64 v[180:181], vcc, v[172:173], v[174:175], v[172:173]
	v_fma_f64 v[182:183], -v[176:177], v[178:179], 1.0
	v_fmac_f64_e32 v[178:179], v[178:179], v[182:183]
	v_fma_f64 v[182:183], -v[176:177], v[178:179], 1.0
	v_fmac_f64_e32 v[178:179], v[178:179], v[182:183]
	v_mul_f64 v[182:183], v[180:181], v[178:179]
	v_fma_f64 v[176:177], -v[176:177], v[182:183], v[180:181]
	v_div_fmas_f64 v[176:177], v[176:177], v[178:179], v[182:183]
	v_div_fixup_f64 v[176:177], v[176:177], v[174:175], v[172:173]
	v_fmac_f64_e32 v[174:175], v[172:173], v[176:177]
	v_div_scale_f64 v[172:173], s[10:11], v[174:175], v[174:175], 1.0
	v_rcp_f64_e32 v[178:179], v[172:173]
	s_nop 0
	v_fma_f64 v[180:181], -v[172:173], v[178:179], 1.0
	v_fmac_f64_e32 v[178:179], v[178:179], v[180:181]
	v_fma_f64 v[180:181], -v[172:173], v[178:179], 1.0
	v_fmac_f64_e32 v[178:179], v[178:179], v[180:181]
	v_div_scale_f64 v[180:181], vcc, 1.0, v[174:175], 1.0
	v_mul_f64 v[182:183], v[180:181], v[178:179]
	v_fma_f64 v[172:173], -v[172:173], v[182:183], v[180:181]
	s_nop 1
	v_div_fmas_f64 v[172:173], v[172:173], v[178:179], v[182:183]
	v_div_fixup_f64 v[178:179], v[172:173], v[174:175], 1.0
	v_mul_f64 v[176:177], v[176:177], v[178:179]
	v_xor_b32_e32 v179, 0x80000000, v179
                                        ; implicit-def: $vgpr172_vgpr173
.LBB61_113:
	s_andn2_saveexec_b64 s[2:3], s[2:3]
	s_cbranch_execz .LBB61_115
; %bb.114:
	v_div_scale_f64 v[176:177], s[10:11], v[172:173], v[172:173], v[174:175]
	v_rcp_f64_e32 v[178:179], v[176:177]
	v_div_scale_f64 v[180:181], vcc, v[174:175], v[172:173], v[174:175]
	v_fma_f64 v[182:183], -v[176:177], v[178:179], 1.0
	v_fmac_f64_e32 v[178:179], v[178:179], v[182:183]
	v_fma_f64 v[182:183], -v[176:177], v[178:179], 1.0
	v_fmac_f64_e32 v[178:179], v[178:179], v[182:183]
	v_mul_f64 v[182:183], v[180:181], v[178:179]
	v_fma_f64 v[176:177], -v[176:177], v[182:183], v[180:181]
	v_div_fmas_f64 v[176:177], v[176:177], v[178:179], v[182:183]
	v_div_fixup_f64 v[178:179], v[176:177], v[172:173], v[174:175]
	v_fmac_f64_e32 v[172:173], v[174:175], v[178:179]
	v_div_scale_f64 v[174:175], s[10:11], v[172:173], v[172:173], 1.0
	v_rcp_f64_e32 v[176:177], v[174:175]
	s_nop 0
	v_fma_f64 v[180:181], -v[174:175], v[176:177], 1.0
	v_fmac_f64_e32 v[176:177], v[176:177], v[180:181]
	v_fma_f64 v[180:181], -v[174:175], v[176:177], 1.0
	v_fmac_f64_e32 v[176:177], v[176:177], v[180:181]
	v_div_scale_f64 v[180:181], vcc, 1.0, v[172:173], 1.0
	v_mul_f64 v[182:183], v[180:181], v[176:177]
	v_fma_f64 v[174:175], -v[174:175], v[182:183], v[180:181]
	s_nop 1
	v_div_fmas_f64 v[174:175], v[174:175], v[176:177], v[182:183]
	v_div_fixup_f64 v[176:177], v[174:175], v[172:173], 1.0
	v_mul_f64 v[178:179], v[178:179], -v[176:177]
.LBB61_115:
	s_or_b64 exec, exec, s[2:3]
	ds_write2_b64 v255, v[176:177], v[178:179] offset1:1
.LBB61_116:
	s_or_b64 exec, exec, s[4:5]
	s_waitcnt lgkmcnt(0)
	s_barrier
	ds_read2_b64 v[172:175], v255 offset1:1
	v_cmp_lt_u32_e32 vcc, 12, v254
	s_and_saveexec_b64 s[2:3], vcc
	s_cbranch_execz .LBB61_118
; %bb.117:
	ds_read2_b64 v[178:181], v252 offset0:26 offset1:27
	ds_read2_b64 v[182:185], v252 offset0:28 offset1:29
	s_waitcnt vmcnt(49) lgkmcnt(2)
	v_mul_f64 v[176:177], v[174:175], v[70:71]
	v_mul_f64 v[70:71], v[172:173], v[70:71]
	v_fmac_f64_e32 v[70:71], v[174:175], v[68:69]
	v_fma_f64 v[176:177], v[172:173], v[68:69], -v[176:177]
	s_waitcnt lgkmcnt(1)
	v_mul_f64 v[68:69], v[180:181], v[70:71]
	v_fma_f64 v[68:69], v[178:179], v[176:177], -v[68:69]
	v_mul_f64 v[178:179], v[178:179], v[70:71]
	v_fmac_f64_e32 v[178:179], v[180:181], v[176:177]
	s_waitcnt vmcnt(48)
	v_add_f64 v[64:65], v[64:65], -v[68:69]
	v_add_f64 v[66:67], v[66:67], -v[178:179]
	s_waitcnt lgkmcnt(0)
	v_mul_f64 v[68:69], v[184:185], v[70:71]
	ds_read2_b64 v[178:181], v252 offset0:30 offset1:31
	v_fma_f64 v[68:69], v[182:183], v[176:177], -v[68:69]
	v_mul_f64 v[182:183], v[182:183], v[70:71]
	v_fmac_f64_e32 v[182:183], v[184:185], v[176:177]
	s_waitcnt vmcnt(47)
	v_add_f64 v[62:63], v[62:63], -v[182:183]
	ds_read2_b64 v[182:185], v252 offset0:32 offset1:33
	v_add_f64 v[60:61], v[60:61], -v[68:69]
	s_waitcnt lgkmcnt(1)
	v_mul_f64 v[68:69], v[180:181], v[70:71]
	v_fma_f64 v[68:69], v[178:179], v[176:177], -v[68:69]
	v_mul_f64 v[178:179], v[178:179], v[70:71]
	v_fmac_f64_e32 v[178:179], v[180:181], v[176:177]
	s_waitcnt vmcnt(46)
	v_add_f64 v[56:57], v[56:57], -v[68:69]
	v_add_f64 v[58:59], v[58:59], -v[178:179]
	s_waitcnt lgkmcnt(0)
	v_mul_f64 v[68:69], v[184:185], v[70:71]
	ds_read2_b64 v[178:181], v252 offset0:34 offset1:35
	v_fma_f64 v[68:69], v[182:183], v[176:177], -v[68:69]
	v_mul_f64 v[182:183], v[182:183], v[70:71]
	v_fmac_f64_e32 v[182:183], v[184:185], v[176:177]
	s_waitcnt vmcnt(45)
	v_add_f64 v[54:55], v[54:55], -v[182:183]
	ds_read2_b64 v[182:185], v252 offset0:36 offset1:37
	v_add_f64 v[52:53], v[52:53], -v[68:69]
	;; [unrolled: 18-line block ×4, first 2 shown]
	s_waitcnt lgkmcnt(1)
	v_mul_f64 v[68:69], v[180:181], v[70:71]
	v_fma_f64 v[68:69], v[178:179], v[176:177], -v[68:69]
	v_mul_f64 v[178:179], v[178:179], v[70:71]
	v_fmac_f64_e32 v[178:179], v[180:181], v[176:177]
	v_add_f64 v[32:33], v[32:33], -v[68:69]
	v_add_f64 v[34:35], v[34:35], -v[178:179]
	s_waitcnt lgkmcnt(0)
	v_mul_f64 v[68:69], v[184:185], v[70:71]
	ds_read2_b64 v[178:181], v252 offset0:46 offset1:47
	v_fma_f64 v[68:69], v[182:183], v[176:177], -v[68:69]
	v_mul_f64 v[182:183], v[182:183], v[70:71]
	v_fmac_f64_e32 v[182:183], v[184:185], v[176:177]
	v_add_f64 v[30:31], v[30:31], -v[182:183]
	ds_read2_b64 v[182:185], v252 offset0:48 offset1:49
	v_add_f64 v[28:29], v[28:29], -v[68:69]
	s_waitcnt lgkmcnt(1)
	v_mul_f64 v[68:69], v[180:181], v[70:71]
	v_fma_f64 v[68:69], v[178:179], v[176:177], -v[68:69]
	v_mul_f64 v[178:179], v[178:179], v[70:71]
	v_fmac_f64_e32 v[178:179], v[180:181], v[176:177]
	v_add_f64 v[24:25], v[24:25], -v[68:69]
	v_add_f64 v[26:27], v[26:27], -v[178:179]
	s_waitcnt lgkmcnt(0)
	v_mul_f64 v[68:69], v[184:185], v[70:71]
	ds_read2_b64 v[178:181], v252 offset0:50 offset1:51
	v_fma_f64 v[68:69], v[182:183], v[176:177], -v[68:69]
	v_mul_f64 v[182:183], v[182:183], v[70:71]
	v_fmac_f64_e32 v[182:183], v[184:185], v[176:177]
	v_add_f64 v[22:23], v[22:23], -v[182:183]
	ds_read2_b64 v[182:185], v252 offset0:52 offset1:53
	v_add_f64 v[20:21], v[20:21], -v[68:69]
	s_waitcnt lgkmcnt(1)
	v_mul_f64 v[68:69], v[180:181], v[70:71]
	v_fma_f64 v[68:69], v[178:179], v[176:177], -v[68:69]
	v_mul_f64 v[178:179], v[178:179], v[70:71]
	v_fmac_f64_e32 v[178:179], v[180:181], v[176:177]
	s_waitcnt vmcnt(15)
	v_add_f64 v[16:17], v[16:17], -v[68:69]
	v_add_f64 v[18:19], v[18:19], -v[178:179]
	s_waitcnt lgkmcnt(0)
	v_mul_f64 v[68:69], v[184:185], v[70:71]
	ds_read2_b64 v[178:181], v252 offset0:54 offset1:55
	v_fma_f64 v[68:69], v[182:183], v[176:177], -v[68:69]
	v_mul_f64 v[182:183], v[182:183], v[70:71]
	v_fmac_f64_e32 v[182:183], v[184:185], v[176:177]
	s_waitcnt vmcnt(14)
	v_add_f64 v[14:15], v[14:15], -v[182:183]
	ds_read2_b64 v[182:185], v252 offset0:56 offset1:57
	v_add_f64 v[12:13], v[12:13], -v[68:69]
	s_waitcnt lgkmcnt(1)
	v_mul_f64 v[68:69], v[180:181], v[70:71]
	v_fma_f64 v[68:69], v[178:179], v[176:177], -v[68:69]
	v_mul_f64 v[178:179], v[178:179], v[70:71]
	v_fmac_f64_e32 v[178:179], v[180:181], v[176:177]
	s_waitcnt vmcnt(13)
	v_add_f64 v[8:9], v[8:9], -v[68:69]
	v_add_f64 v[10:11], v[10:11], -v[178:179]
	s_waitcnt lgkmcnt(0)
	v_mul_f64 v[68:69], v[184:185], v[70:71]
	ds_read2_b64 v[178:181], v252 offset0:58 offset1:59
	v_fma_f64 v[68:69], v[182:183], v[176:177], -v[68:69]
	v_mul_f64 v[182:183], v[182:183], v[70:71]
	v_fmac_f64_e32 v[182:183], v[184:185], v[176:177]
	s_waitcnt vmcnt(12)
	v_add_f64 v[6:7], v[6:7], -v[182:183]
	ds_read2_b64 v[182:185], v252 offset0:60 offset1:61
	v_add_f64 v[4:5], v[4:5], -v[68:69]
	s_waitcnt lgkmcnt(1)
	v_mul_f64 v[68:69], v[180:181], v[70:71]
	v_fma_f64 v[68:69], v[178:179], v[176:177], -v[68:69]
	v_mul_f64 v[178:179], v[178:179], v[70:71]
	v_fmac_f64_e32 v[178:179], v[180:181], v[176:177]
	s_waitcnt vmcnt(11)
	v_add_f64 v[0:1], v[0:1], -v[68:69]
	v_add_f64 v[2:3], v[2:3], -v[178:179]
	s_waitcnt lgkmcnt(0)
	v_mul_f64 v[68:69], v[184:185], v[70:71]
	v_mul_f64 v[178:179], v[182:183], v[70:71]
	v_fma_f64 v[68:69], v[182:183], v[176:177], -v[68:69]
	v_fmac_f64_e32 v[178:179], v[184:185], v[176:177]
	s_waitcnt vmcnt(10)
	v_add_f64 v[120:121], v[120:121], -v[68:69]
	v_add_f64 v[122:123], v[122:123], -v[178:179]
	v_mov_b64_e32 v[68:69], v[176:177]
.LBB61_118:
	s_or_b64 exec, exec, s[2:3]
	v_cmp_eq_u32_e32 vcc, 13, v254
	s_waitcnt lgkmcnt(0)
	s_barrier
	s_and_saveexec_b64 s[4:5], vcc
	s_cbranch_execz .LBB61_125
; %bb.119:
	s_waitcnt vmcnt(48)
	ds_write2_b64 v255, v[64:65], v[66:67] offset1:1
	s_waitcnt vmcnt(47)
	ds_write2_b64 v252, v[60:61], v[62:63] offset0:28 offset1:29
	s_waitcnt vmcnt(46)
	ds_write2_b64 v252, v[56:57], v[58:59] offset0:30 offset1:31
	;; [unrolled: 2-line block ×7, first 2 shown]
	ds_write2_b64 v252, v[32:33], v[34:35] offset0:42 offset1:43
	ds_write2_b64 v252, v[28:29], v[30:31] offset0:44 offset1:45
	;; [unrolled: 1-line block ×4, first 2 shown]
	s_waitcnt vmcnt(15)
	ds_write2_b64 v252, v[16:17], v[18:19] offset0:50 offset1:51
	s_waitcnt vmcnt(14)
	ds_write2_b64 v252, v[12:13], v[14:15] offset0:52 offset1:53
	;; [unrolled: 2-line block ×6, first 2 shown]
	ds_read2_b64 v[176:179], v255 offset1:1
	s_waitcnt lgkmcnt(0)
	v_cmp_neq_f64_e32 vcc, 0, v[176:177]
	v_cmp_neq_f64_e64 s[2:3], 0, v[178:179]
	s_or_b64 s[2:3], vcc, s[2:3]
	s_and_b64 exec, exec, s[2:3]
	s_cbranch_execz .LBB61_125
; %bb.120:
	v_cmp_ngt_f64_e64 s[2:3], |v[176:177]|, |v[178:179]|
                                        ; implicit-def: $vgpr180_vgpr181
	s_and_saveexec_b64 s[10:11], s[2:3]
	s_xor_b64 s[2:3], exec, s[10:11]
                                        ; implicit-def: $vgpr182_vgpr183
	s_cbranch_execz .LBB61_122
; %bb.121:
	v_div_scale_f64 v[180:181], s[10:11], v[178:179], v[178:179], v[176:177]
	v_rcp_f64_e32 v[182:183], v[180:181]
	v_div_scale_f64 v[184:185], vcc, v[176:177], v[178:179], v[176:177]
	v_fma_f64 v[186:187], -v[180:181], v[182:183], 1.0
	v_fmac_f64_e32 v[182:183], v[182:183], v[186:187]
	v_fma_f64 v[186:187], -v[180:181], v[182:183], 1.0
	v_fmac_f64_e32 v[182:183], v[182:183], v[186:187]
	v_mul_f64 v[186:187], v[184:185], v[182:183]
	v_fma_f64 v[180:181], -v[180:181], v[186:187], v[184:185]
	v_div_fmas_f64 v[180:181], v[180:181], v[182:183], v[186:187]
	v_div_fixup_f64 v[180:181], v[180:181], v[178:179], v[176:177]
	v_fmac_f64_e32 v[178:179], v[176:177], v[180:181]
	v_div_scale_f64 v[176:177], s[10:11], v[178:179], v[178:179], 1.0
	v_rcp_f64_e32 v[182:183], v[176:177]
	s_nop 0
	v_fma_f64 v[184:185], -v[176:177], v[182:183], 1.0
	v_fmac_f64_e32 v[182:183], v[182:183], v[184:185]
	v_fma_f64 v[184:185], -v[176:177], v[182:183], 1.0
	v_fmac_f64_e32 v[182:183], v[182:183], v[184:185]
	v_div_scale_f64 v[184:185], vcc, 1.0, v[178:179], 1.0
	v_mul_f64 v[186:187], v[184:185], v[182:183]
	v_fma_f64 v[176:177], -v[176:177], v[186:187], v[184:185]
	s_nop 1
	v_div_fmas_f64 v[176:177], v[176:177], v[182:183], v[186:187]
	v_div_fixup_f64 v[182:183], v[176:177], v[178:179], 1.0
	v_mul_f64 v[180:181], v[180:181], v[182:183]
	v_xor_b32_e32 v183, 0x80000000, v183
                                        ; implicit-def: $vgpr176_vgpr177
.LBB61_122:
	s_andn2_saveexec_b64 s[2:3], s[2:3]
	s_cbranch_execz .LBB61_124
; %bb.123:
	v_div_scale_f64 v[180:181], s[10:11], v[176:177], v[176:177], v[178:179]
	v_rcp_f64_e32 v[182:183], v[180:181]
	v_div_scale_f64 v[184:185], vcc, v[178:179], v[176:177], v[178:179]
	v_fma_f64 v[186:187], -v[180:181], v[182:183], 1.0
	v_fmac_f64_e32 v[182:183], v[182:183], v[186:187]
	v_fma_f64 v[186:187], -v[180:181], v[182:183], 1.0
	v_fmac_f64_e32 v[182:183], v[182:183], v[186:187]
	v_mul_f64 v[186:187], v[184:185], v[182:183]
	v_fma_f64 v[180:181], -v[180:181], v[186:187], v[184:185]
	v_div_fmas_f64 v[180:181], v[180:181], v[182:183], v[186:187]
	v_div_fixup_f64 v[182:183], v[180:181], v[176:177], v[178:179]
	v_fmac_f64_e32 v[176:177], v[178:179], v[182:183]
	v_div_scale_f64 v[178:179], s[10:11], v[176:177], v[176:177], 1.0
	v_rcp_f64_e32 v[180:181], v[178:179]
	s_nop 0
	v_fma_f64 v[184:185], -v[178:179], v[180:181], 1.0
	v_fmac_f64_e32 v[180:181], v[180:181], v[184:185]
	v_fma_f64 v[184:185], -v[178:179], v[180:181], 1.0
	v_fmac_f64_e32 v[180:181], v[180:181], v[184:185]
	v_div_scale_f64 v[184:185], vcc, 1.0, v[176:177], 1.0
	v_mul_f64 v[186:187], v[184:185], v[180:181]
	v_fma_f64 v[178:179], -v[178:179], v[186:187], v[184:185]
	s_nop 1
	v_div_fmas_f64 v[178:179], v[178:179], v[180:181], v[186:187]
	v_div_fixup_f64 v[180:181], v[178:179], v[176:177], 1.0
	v_mul_f64 v[182:183], v[182:183], -v[180:181]
.LBB61_124:
	s_or_b64 exec, exec, s[2:3]
	ds_write2_b64 v255, v[180:181], v[182:183] offset1:1
.LBB61_125:
	s_or_b64 exec, exec, s[4:5]
	s_waitcnt lgkmcnt(0)
	s_barrier
	ds_read2_b64 v[176:179], v255 offset1:1
	v_cmp_lt_u32_e32 vcc, 13, v254
	s_and_saveexec_b64 s[2:3], vcc
	s_cbranch_execz .LBB61_127
; %bb.126:
	ds_read2_b64 v[182:185], v252 offset0:28 offset1:29
	s_waitcnt vmcnt(48) lgkmcnt(1)
	v_mul_f64 v[180:181], v[178:179], v[66:67]
	v_mul_f64 v[66:67], v[176:177], v[66:67]
	v_fmac_f64_e32 v[66:67], v[178:179], v[64:65]
	v_fma_f64 v[180:181], v[176:177], v[64:65], -v[180:181]
	s_waitcnt lgkmcnt(0)
	v_mul_f64 v[64:65], v[184:185], v[66:67]
	v_fma_f64 v[64:65], v[182:183], v[180:181], -v[64:65]
	v_mul_f64 v[182:183], v[182:183], v[66:67]
	v_fmac_f64_e32 v[182:183], v[184:185], v[180:181]
	s_waitcnt vmcnt(47)
	v_add_f64 v[62:63], v[62:63], -v[182:183]
	ds_read2_b64 v[182:185], v252 offset0:30 offset1:31
	v_add_f64 v[60:61], v[60:61], -v[64:65]
	s_waitcnt lgkmcnt(0)
	v_mul_f64 v[64:65], v[184:185], v[66:67]
	v_fma_f64 v[64:65], v[182:183], v[180:181], -v[64:65]
	v_mul_f64 v[182:183], v[182:183], v[66:67]
	v_fmac_f64_e32 v[182:183], v[184:185], v[180:181]
	s_waitcnt vmcnt(46)
	v_add_f64 v[58:59], v[58:59], -v[182:183]
	ds_read2_b64 v[182:185], v252 offset0:32 offset1:33
	v_add_f64 v[56:57], v[56:57], -v[64:65]
	;; [unrolled: 9-line block ×7, first 2 shown]
	s_waitcnt lgkmcnt(0)
	v_mul_f64 v[64:65], v[184:185], v[66:67]
	v_fma_f64 v[64:65], v[182:183], v[180:181], -v[64:65]
	v_mul_f64 v[182:183], v[182:183], v[66:67]
	v_fmac_f64_e32 v[182:183], v[184:185], v[180:181]
	v_add_f64 v[34:35], v[34:35], -v[182:183]
	ds_read2_b64 v[182:185], v252 offset0:44 offset1:45
	v_add_f64 v[32:33], v[32:33], -v[64:65]
	s_waitcnt lgkmcnt(0)
	v_mul_f64 v[64:65], v[184:185], v[66:67]
	v_fma_f64 v[64:65], v[182:183], v[180:181], -v[64:65]
	v_mul_f64 v[182:183], v[182:183], v[66:67]
	v_fmac_f64_e32 v[182:183], v[184:185], v[180:181]
	v_add_f64 v[30:31], v[30:31], -v[182:183]
	ds_read2_b64 v[182:185], v252 offset0:46 offset1:47
	v_add_f64 v[28:29], v[28:29], -v[64:65]
	s_waitcnt lgkmcnt(0)
	v_mul_f64 v[64:65], v[184:185], v[66:67]
	v_fma_f64 v[64:65], v[182:183], v[180:181], -v[64:65]
	v_mul_f64 v[182:183], v[182:183], v[66:67]
	v_fmac_f64_e32 v[182:183], v[184:185], v[180:181]
	v_add_f64 v[26:27], v[26:27], -v[182:183]
	ds_read2_b64 v[182:185], v252 offset0:48 offset1:49
	v_add_f64 v[24:25], v[24:25], -v[64:65]
	s_waitcnt lgkmcnt(0)
	v_mul_f64 v[64:65], v[184:185], v[66:67]
	v_fma_f64 v[64:65], v[182:183], v[180:181], -v[64:65]
	v_mul_f64 v[182:183], v[182:183], v[66:67]
	v_fmac_f64_e32 v[182:183], v[184:185], v[180:181]
	v_add_f64 v[22:23], v[22:23], -v[182:183]
	ds_read2_b64 v[182:185], v252 offset0:50 offset1:51
	v_add_f64 v[20:21], v[20:21], -v[64:65]
	s_waitcnt lgkmcnt(0)
	v_mul_f64 v[64:65], v[184:185], v[66:67]
	v_fma_f64 v[64:65], v[182:183], v[180:181], -v[64:65]
	v_mul_f64 v[182:183], v[182:183], v[66:67]
	v_fmac_f64_e32 v[182:183], v[184:185], v[180:181]
	s_waitcnt vmcnt(15)
	v_add_f64 v[18:19], v[18:19], -v[182:183]
	ds_read2_b64 v[182:185], v252 offset0:52 offset1:53
	v_add_f64 v[16:17], v[16:17], -v[64:65]
	s_waitcnt lgkmcnt(0)
	v_mul_f64 v[64:65], v[184:185], v[66:67]
	v_fma_f64 v[64:65], v[182:183], v[180:181], -v[64:65]
	v_mul_f64 v[182:183], v[182:183], v[66:67]
	v_fmac_f64_e32 v[182:183], v[184:185], v[180:181]
	s_waitcnt vmcnt(14)
	v_add_f64 v[14:15], v[14:15], -v[182:183]
	ds_read2_b64 v[182:185], v252 offset0:54 offset1:55
	v_add_f64 v[12:13], v[12:13], -v[64:65]
	;; [unrolled: 9-line block ×5, first 2 shown]
	s_waitcnt lgkmcnt(0)
	v_mul_f64 v[64:65], v[184:185], v[66:67]
	v_fma_f64 v[64:65], v[182:183], v[180:181], -v[64:65]
	v_mul_f64 v[182:183], v[182:183], v[66:67]
	v_fmac_f64_e32 v[182:183], v[184:185], v[180:181]
	s_waitcnt vmcnt(10)
	v_add_f64 v[120:121], v[120:121], -v[64:65]
	v_add_f64 v[122:123], v[122:123], -v[182:183]
	v_mov_b64_e32 v[64:65], v[180:181]
.LBB61_127:
	s_or_b64 exec, exec, s[2:3]
	v_cmp_eq_u32_e32 vcc, 14, v254
	s_waitcnt lgkmcnt(0)
	s_barrier
	s_and_saveexec_b64 s[4:5], vcc
	s_cbranch_execz .LBB61_134
; %bb.128:
	s_waitcnt vmcnt(47)
	ds_write2_b64 v255, v[60:61], v[62:63] offset1:1
	s_waitcnt vmcnt(46)
	ds_write2_b64 v252, v[56:57], v[58:59] offset0:30 offset1:31
	s_waitcnt vmcnt(45)
	ds_write2_b64 v252, v[52:53], v[54:55] offset0:32 offset1:33
	;; [unrolled: 2-line block ×6, first 2 shown]
	ds_write2_b64 v252, v[32:33], v[34:35] offset0:42 offset1:43
	ds_write2_b64 v252, v[28:29], v[30:31] offset0:44 offset1:45
	;; [unrolled: 1-line block ×4, first 2 shown]
	s_waitcnt vmcnt(15)
	ds_write2_b64 v252, v[16:17], v[18:19] offset0:50 offset1:51
	s_waitcnt vmcnt(14)
	ds_write2_b64 v252, v[12:13], v[14:15] offset0:52 offset1:53
	;; [unrolled: 2-line block ×6, first 2 shown]
	ds_read2_b64 v[180:183], v255 offset1:1
	s_waitcnt lgkmcnt(0)
	v_cmp_neq_f64_e32 vcc, 0, v[180:181]
	v_cmp_neq_f64_e64 s[2:3], 0, v[182:183]
	s_or_b64 s[2:3], vcc, s[2:3]
	s_and_b64 exec, exec, s[2:3]
	s_cbranch_execz .LBB61_134
; %bb.129:
	v_cmp_ngt_f64_e64 s[2:3], |v[180:181]|, |v[182:183]|
                                        ; implicit-def: $vgpr184_vgpr185
	s_and_saveexec_b64 s[10:11], s[2:3]
	s_xor_b64 s[2:3], exec, s[10:11]
                                        ; implicit-def: $vgpr186_vgpr187
	s_cbranch_execz .LBB61_131
; %bb.130:
	v_div_scale_f64 v[184:185], s[10:11], v[182:183], v[182:183], v[180:181]
	v_rcp_f64_e32 v[186:187], v[184:185]
	v_div_scale_f64 v[188:189], vcc, v[180:181], v[182:183], v[180:181]
	v_fma_f64 v[190:191], -v[184:185], v[186:187], 1.0
	v_fmac_f64_e32 v[186:187], v[186:187], v[190:191]
	v_fma_f64 v[190:191], -v[184:185], v[186:187], 1.0
	v_fmac_f64_e32 v[186:187], v[186:187], v[190:191]
	v_mul_f64 v[190:191], v[188:189], v[186:187]
	v_fma_f64 v[184:185], -v[184:185], v[190:191], v[188:189]
	v_div_fmas_f64 v[184:185], v[184:185], v[186:187], v[190:191]
	v_div_fixup_f64 v[184:185], v[184:185], v[182:183], v[180:181]
	v_fmac_f64_e32 v[182:183], v[180:181], v[184:185]
	v_div_scale_f64 v[180:181], s[10:11], v[182:183], v[182:183], 1.0
	v_rcp_f64_e32 v[186:187], v[180:181]
	s_nop 0
	v_fma_f64 v[188:189], -v[180:181], v[186:187], 1.0
	v_fmac_f64_e32 v[186:187], v[186:187], v[188:189]
	v_fma_f64 v[188:189], -v[180:181], v[186:187], 1.0
	v_fmac_f64_e32 v[186:187], v[186:187], v[188:189]
	v_div_scale_f64 v[188:189], vcc, 1.0, v[182:183], 1.0
	v_mul_f64 v[190:191], v[188:189], v[186:187]
	v_fma_f64 v[180:181], -v[180:181], v[190:191], v[188:189]
	s_nop 1
	v_div_fmas_f64 v[180:181], v[180:181], v[186:187], v[190:191]
	v_div_fixup_f64 v[186:187], v[180:181], v[182:183], 1.0
	v_mul_f64 v[184:185], v[184:185], v[186:187]
	v_xor_b32_e32 v187, 0x80000000, v187
                                        ; implicit-def: $vgpr180_vgpr181
.LBB61_131:
	s_andn2_saveexec_b64 s[2:3], s[2:3]
	s_cbranch_execz .LBB61_133
; %bb.132:
	v_div_scale_f64 v[184:185], s[10:11], v[180:181], v[180:181], v[182:183]
	v_rcp_f64_e32 v[186:187], v[184:185]
	v_div_scale_f64 v[188:189], vcc, v[182:183], v[180:181], v[182:183]
	v_fma_f64 v[190:191], -v[184:185], v[186:187], 1.0
	v_fmac_f64_e32 v[186:187], v[186:187], v[190:191]
	v_fma_f64 v[190:191], -v[184:185], v[186:187], 1.0
	v_fmac_f64_e32 v[186:187], v[186:187], v[190:191]
	v_mul_f64 v[190:191], v[188:189], v[186:187]
	v_fma_f64 v[184:185], -v[184:185], v[190:191], v[188:189]
	v_div_fmas_f64 v[184:185], v[184:185], v[186:187], v[190:191]
	v_div_fixup_f64 v[186:187], v[184:185], v[180:181], v[182:183]
	v_fmac_f64_e32 v[180:181], v[182:183], v[186:187]
	v_div_scale_f64 v[182:183], s[10:11], v[180:181], v[180:181], 1.0
	v_rcp_f64_e32 v[184:185], v[182:183]
	s_nop 0
	v_fma_f64 v[188:189], -v[182:183], v[184:185], 1.0
	v_fmac_f64_e32 v[184:185], v[184:185], v[188:189]
	v_fma_f64 v[188:189], -v[182:183], v[184:185], 1.0
	v_fmac_f64_e32 v[184:185], v[184:185], v[188:189]
	v_div_scale_f64 v[188:189], vcc, 1.0, v[180:181], 1.0
	v_mul_f64 v[190:191], v[188:189], v[184:185]
	v_fma_f64 v[182:183], -v[182:183], v[190:191], v[188:189]
	s_nop 1
	v_div_fmas_f64 v[182:183], v[182:183], v[184:185], v[190:191]
	v_div_fixup_f64 v[184:185], v[182:183], v[180:181], 1.0
	v_mul_f64 v[186:187], v[186:187], -v[184:185]
.LBB61_133:
	s_or_b64 exec, exec, s[2:3]
	ds_write2_b64 v255, v[184:185], v[186:187] offset1:1
.LBB61_134:
	s_or_b64 exec, exec, s[4:5]
	s_waitcnt lgkmcnt(0)
	s_barrier
	ds_read2_b64 v[180:183], v255 offset1:1
	v_cmp_lt_u32_e32 vcc, 14, v254
	s_and_saveexec_b64 s[2:3], vcc
	s_cbranch_execz .LBB61_136
; %bb.135:
	ds_read2_b64 v[186:189], v252 offset0:30 offset1:31
	s_waitcnt vmcnt(47) lgkmcnt(1)
	v_mul_f64 v[184:185], v[180:181], v[62:63]
	v_fmac_f64_e32 v[184:185], v[182:183], v[60:61]
	v_mul_f64 v[62:63], v[182:183], v[62:63]
	v_fma_f64 v[60:61], v[180:181], v[60:61], -v[62:63]
	s_waitcnt lgkmcnt(0)
	v_mul_f64 v[62:63], v[188:189], v[184:185]
	v_fma_f64 v[62:63], v[186:187], v[60:61], -v[62:63]
	v_mul_f64 v[186:187], v[186:187], v[184:185]
	v_fmac_f64_e32 v[186:187], v[188:189], v[60:61]
	s_waitcnt vmcnt(46)
	v_add_f64 v[58:59], v[58:59], -v[186:187]
	ds_read2_b64 v[186:189], v252 offset0:32 offset1:33
	v_add_f64 v[56:57], v[56:57], -v[62:63]
	s_waitcnt lgkmcnt(0)
	v_mul_f64 v[62:63], v[188:189], v[184:185]
	v_fma_f64 v[62:63], v[186:187], v[60:61], -v[62:63]
	v_mul_f64 v[186:187], v[186:187], v[184:185]
	v_fmac_f64_e32 v[186:187], v[188:189], v[60:61]
	s_waitcnt vmcnt(45)
	v_add_f64 v[54:55], v[54:55], -v[186:187]
	ds_read2_b64 v[186:189], v252 offset0:34 offset1:35
	v_add_f64 v[52:53], v[52:53], -v[62:63]
	;; [unrolled: 9-line block ×6, first 2 shown]
	s_waitcnt lgkmcnt(0)
	v_mul_f64 v[62:63], v[188:189], v[184:185]
	v_fma_f64 v[62:63], v[186:187], v[60:61], -v[62:63]
	v_mul_f64 v[186:187], v[186:187], v[184:185]
	v_fmac_f64_e32 v[186:187], v[188:189], v[60:61]
	v_add_f64 v[34:35], v[34:35], -v[186:187]
	ds_read2_b64 v[186:189], v252 offset0:44 offset1:45
	v_add_f64 v[32:33], v[32:33], -v[62:63]
	s_waitcnt lgkmcnt(0)
	v_mul_f64 v[62:63], v[188:189], v[184:185]
	v_fma_f64 v[62:63], v[186:187], v[60:61], -v[62:63]
	v_mul_f64 v[186:187], v[186:187], v[184:185]
	v_fmac_f64_e32 v[186:187], v[188:189], v[60:61]
	v_add_f64 v[30:31], v[30:31], -v[186:187]
	ds_read2_b64 v[186:189], v252 offset0:46 offset1:47
	v_add_f64 v[28:29], v[28:29], -v[62:63]
	;; [unrolled: 8-line block ×4, first 2 shown]
	s_waitcnt lgkmcnt(0)
	v_mul_f64 v[62:63], v[188:189], v[184:185]
	v_fma_f64 v[62:63], v[186:187], v[60:61], -v[62:63]
	v_mul_f64 v[186:187], v[186:187], v[184:185]
	v_fmac_f64_e32 v[186:187], v[188:189], v[60:61]
	s_waitcnt vmcnt(15)
	v_add_f64 v[18:19], v[18:19], -v[186:187]
	ds_read2_b64 v[186:189], v252 offset0:52 offset1:53
	v_add_f64 v[16:17], v[16:17], -v[62:63]
	s_waitcnt lgkmcnt(0)
	v_mul_f64 v[62:63], v[188:189], v[184:185]
	v_fma_f64 v[62:63], v[186:187], v[60:61], -v[62:63]
	v_mul_f64 v[186:187], v[186:187], v[184:185]
	v_fmac_f64_e32 v[186:187], v[188:189], v[60:61]
	s_waitcnt vmcnt(14)
	v_add_f64 v[14:15], v[14:15], -v[186:187]
	ds_read2_b64 v[186:189], v252 offset0:54 offset1:55
	v_add_f64 v[12:13], v[12:13], -v[62:63]
	;; [unrolled: 9-line block ×5, first 2 shown]
	s_waitcnt lgkmcnt(0)
	v_mul_f64 v[62:63], v[188:189], v[184:185]
	v_fma_f64 v[62:63], v[186:187], v[60:61], -v[62:63]
	v_mul_f64 v[186:187], v[186:187], v[184:185]
	v_fmac_f64_e32 v[186:187], v[188:189], v[60:61]
	s_waitcnt vmcnt(10)
	v_add_f64 v[120:121], v[120:121], -v[62:63]
	v_add_f64 v[122:123], v[122:123], -v[186:187]
	v_mov_b64_e32 v[62:63], v[184:185]
.LBB61_136:
	s_or_b64 exec, exec, s[2:3]
	v_cmp_eq_u32_e32 vcc, 15, v254
	s_waitcnt lgkmcnt(0)
	s_barrier
	s_and_saveexec_b64 s[4:5], vcc
	s_cbranch_execz .LBB61_143
; %bb.137:
	s_waitcnt vmcnt(46)
	ds_write2_b64 v255, v[56:57], v[58:59] offset1:1
	s_waitcnt vmcnt(45)
	ds_write2_b64 v252, v[52:53], v[54:55] offset0:32 offset1:33
	s_waitcnt vmcnt(44)
	ds_write2_b64 v252, v[48:49], v[50:51] offset0:34 offset1:35
	;; [unrolled: 2-line block ×5, first 2 shown]
	ds_write2_b64 v252, v[32:33], v[34:35] offset0:42 offset1:43
	ds_write2_b64 v252, v[28:29], v[30:31] offset0:44 offset1:45
	;; [unrolled: 1-line block ×4, first 2 shown]
	s_waitcnt vmcnt(15)
	ds_write2_b64 v252, v[16:17], v[18:19] offset0:50 offset1:51
	s_waitcnt vmcnt(14)
	ds_write2_b64 v252, v[12:13], v[14:15] offset0:52 offset1:53
	;; [unrolled: 2-line block ×6, first 2 shown]
	ds_read2_b64 v[184:187], v255 offset1:1
	s_waitcnt lgkmcnt(0)
	v_cmp_neq_f64_e32 vcc, 0, v[184:185]
	v_cmp_neq_f64_e64 s[2:3], 0, v[186:187]
	s_or_b64 s[2:3], vcc, s[2:3]
	s_and_b64 exec, exec, s[2:3]
	s_cbranch_execz .LBB61_143
; %bb.138:
	v_cmp_ngt_f64_e64 s[2:3], |v[184:185]|, |v[186:187]|
                                        ; implicit-def: $vgpr188_vgpr189
	s_and_saveexec_b64 s[10:11], s[2:3]
	s_xor_b64 s[2:3], exec, s[10:11]
                                        ; implicit-def: $vgpr190_vgpr191
	s_cbranch_execz .LBB61_140
; %bb.139:
	v_div_scale_f64 v[188:189], s[10:11], v[186:187], v[186:187], v[184:185]
	v_rcp_f64_e32 v[190:191], v[188:189]
	v_div_scale_f64 v[192:193], vcc, v[184:185], v[186:187], v[184:185]
	v_fma_f64 v[194:195], -v[188:189], v[190:191], 1.0
	v_fmac_f64_e32 v[190:191], v[190:191], v[194:195]
	v_fma_f64 v[194:195], -v[188:189], v[190:191], 1.0
	v_fmac_f64_e32 v[190:191], v[190:191], v[194:195]
	v_mul_f64 v[194:195], v[192:193], v[190:191]
	v_fma_f64 v[188:189], -v[188:189], v[194:195], v[192:193]
	v_div_fmas_f64 v[188:189], v[188:189], v[190:191], v[194:195]
	v_div_fixup_f64 v[188:189], v[188:189], v[186:187], v[184:185]
	v_fmac_f64_e32 v[186:187], v[184:185], v[188:189]
	v_div_scale_f64 v[184:185], s[10:11], v[186:187], v[186:187], 1.0
	v_rcp_f64_e32 v[190:191], v[184:185]
	s_nop 0
	v_fma_f64 v[192:193], -v[184:185], v[190:191], 1.0
	v_fmac_f64_e32 v[190:191], v[190:191], v[192:193]
	v_fma_f64 v[192:193], -v[184:185], v[190:191], 1.0
	v_fmac_f64_e32 v[190:191], v[190:191], v[192:193]
	v_div_scale_f64 v[192:193], vcc, 1.0, v[186:187], 1.0
	v_mul_f64 v[194:195], v[192:193], v[190:191]
	v_fma_f64 v[184:185], -v[184:185], v[194:195], v[192:193]
	s_nop 1
	v_div_fmas_f64 v[184:185], v[184:185], v[190:191], v[194:195]
	v_div_fixup_f64 v[190:191], v[184:185], v[186:187], 1.0
	v_mul_f64 v[188:189], v[188:189], v[190:191]
	v_xor_b32_e32 v191, 0x80000000, v191
                                        ; implicit-def: $vgpr184_vgpr185
.LBB61_140:
	s_andn2_saveexec_b64 s[2:3], s[2:3]
	s_cbranch_execz .LBB61_142
; %bb.141:
	v_div_scale_f64 v[188:189], s[10:11], v[184:185], v[184:185], v[186:187]
	v_rcp_f64_e32 v[190:191], v[188:189]
	v_div_scale_f64 v[192:193], vcc, v[186:187], v[184:185], v[186:187]
	v_fma_f64 v[194:195], -v[188:189], v[190:191], 1.0
	v_fmac_f64_e32 v[190:191], v[190:191], v[194:195]
	v_fma_f64 v[194:195], -v[188:189], v[190:191], 1.0
	v_fmac_f64_e32 v[190:191], v[190:191], v[194:195]
	v_mul_f64 v[194:195], v[192:193], v[190:191]
	v_fma_f64 v[188:189], -v[188:189], v[194:195], v[192:193]
	v_div_fmas_f64 v[188:189], v[188:189], v[190:191], v[194:195]
	v_div_fixup_f64 v[190:191], v[188:189], v[184:185], v[186:187]
	v_fmac_f64_e32 v[184:185], v[186:187], v[190:191]
	v_div_scale_f64 v[186:187], s[10:11], v[184:185], v[184:185], 1.0
	v_rcp_f64_e32 v[188:189], v[186:187]
	s_nop 0
	v_fma_f64 v[192:193], -v[186:187], v[188:189], 1.0
	v_fmac_f64_e32 v[188:189], v[188:189], v[192:193]
	v_fma_f64 v[192:193], -v[186:187], v[188:189], 1.0
	v_fmac_f64_e32 v[188:189], v[188:189], v[192:193]
	v_div_scale_f64 v[192:193], vcc, 1.0, v[184:185], 1.0
	v_mul_f64 v[194:195], v[192:193], v[188:189]
	v_fma_f64 v[186:187], -v[186:187], v[194:195], v[192:193]
	s_nop 1
	v_div_fmas_f64 v[186:187], v[186:187], v[188:189], v[194:195]
	v_div_fixup_f64 v[188:189], v[186:187], v[184:185], 1.0
	v_mul_f64 v[190:191], v[190:191], -v[188:189]
.LBB61_142:
	s_or_b64 exec, exec, s[2:3]
	ds_write2_b64 v255, v[188:189], v[190:191] offset1:1
.LBB61_143:
	s_or_b64 exec, exec, s[4:5]
	s_waitcnt lgkmcnt(0)
	s_barrier
	ds_read2_b64 v[184:187], v255 offset1:1
	v_cmp_lt_u32_e32 vcc, 15, v254
	s_and_saveexec_b64 s[2:3], vcc
	s_cbranch_execz .LBB61_145
; %bb.144:
	ds_read2_b64 v[190:193], v252 offset0:32 offset1:33
	s_waitcnt vmcnt(46) lgkmcnt(1)
	v_mul_f64 v[188:189], v[184:185], v[58:59]
	v_fmac_f64_e32 v[188:189], v[186:187], v[56:57]
	v_mul_f64 v[58:59], v[186:187], v[58:59]
	v_fma_f64 v[56:57], v[184:185], v[56:57], -v[58:59]
	s_waitcnt lgkmcnt(0)
	v_mul_f64 v[58:59], v[192:193], v[188:189]
	v_fma_f64 v[58:59], v[190:191], v[56:57], -v[58:59]
	v_mul_f64 v[190:191], v[190:191], v[188:189]
	v_fmac_f64_e32 v[190:191], v[192:193], v[56:57]
	s_waitcnt vmcnt(45)
	v_add_f64 v[54:55], v[54:55], -v[190:191]
	ds_read2_b64 v[190:193], v252 offset0:34 offset1:35
	v_add_f64 v[52:53], v[52:53], -v[58:59]
	s_waitcnt lgkmcnt(0)
	v_mul_f64 v[58:59], v[192:193], v[188:189]
	v_fma_f64 v[58:59], v[190:191], v[56:57], -v[58:59]
	v_mul_f64 v[190:191], v[190:191], v[188:189]
	v_fmac_f64_e32 v[190:191], v[192:193], v[56:57]
	s_waitcnt vmcnt(44)
	v_add_f64 v[50:51], v[50:51], -v[190:191]
	ds_read2_b64 v[190:193], v252 offset0:36 offset1:37
	v_add_f64 v[48:49], v[48:49], -v[58:59]
	;; [unrolled: 9-line block ×5, first 2 shown]
	s_waitcnt lgkmcnt(0)
	v_mul_f64 v[58:59], v[192:193], v[188:189]
	v_fma_f64 v[58:59], v[190:191], v[56:57], -v[58:59]
	v_mul_f64 v[190:191], v[190:191], v[188:189]
	v_fmac_f64_e32 v[190:191], v[192:193], v[56:57]
	v_add_f64 v[34:35], v[34:35], -v[190:191]
	ds_read2_b64 v[190:193], v252 offset0:44 offset1:45
	v_add_f64 v[32:33], v[32:33], -v[58:59]
	s_waitcnt lgkmcnt(0)
	v_mul_f64 v[58:59], v[192:193], v[188:189]
	v_fma_f64 v[58:59], v[190:191], v[56:57], -v[58:59]
	v_mul_f64 v[190:191], v[190:191], v[188:189]
	v_fmac_f64_e32 v[190:191], v[192:193], v[56:57]
	v_add_f64 v[30:31], v[30:31], -v[190:191]
	ds_read2_b64 v[190:193], v252 offset0:46 offset1:47
	v_add_f64 v[28:29], v[28:29], -v[58:59]
	;; [unrolled: 8-line block ×4, first 2 shown]
	s_waitcnt lgkmcnt(0)
	v_mul_f64 v[58:59], v[192:193], v[188:189]
	v_fma_f64 v[58:59], v[190:191], v[56:57], -v[58:59]
	v_mul_f64 v[190:191], v[190:191], v[188:189]
	v_fmac_f64_e32 v[190:191], v[192:193], v[56:57]
	s_waitcnt vmcnt(15)
	v_add_f64 v[18:19], v[18:19], -v[190:191]
	ds_read2_b64 v[190:193], v252 offset0:52 offset1:53
	v_add_f64 v[16:17], v[16:17], -v[58:59]
	s_waitcnt lgkmcnt(0)
	v_mul_f64 v[58:59], v[192:193], v[188:189]
	v_fma_f64 v[58:59], v[190:191], v[56:57], -v[58:59]
	v_mul_f64 v[190:191], v[190:191], v[188:189]
	v_fmac_f64_e32 v[190:191], v[192:193], v[56:57]
	s_waitcnt vmcnt(14)
	v_add_f64 v[14:15], v[14:15], -v[190:191]
	ds_read2_b64 v[190:193], v252 offset0:54 offset1:55
	v_add_f64 v[12:13], v[12:13], -v[58:59]
	s_waitcnt lgkmcnt(0)
	v_mul_f64 v[58:59], v[192:193], v[188:189]
	v_fma_f64 v[58:59], v[190:191], v[56:57], -v[58:59]
	v_mul_f64 v[190:191], v[190:191], v[188:189]
	v_fmac_f64_e32 v[190:191], v[192:193], v[56:57]
	s_waitcnt vmcnt(13)
	v_add_f64 v[10:11], v[10:11], -v[190:191]
	ds_read2_b64 v[190:193], v252 offset0:56 offset1:57
	v_add_f64 v[8:9], v[8:9], -v[58:59]
	s_waitcnt lgkmcnt(0)
	v_mul_f64 v[58:59], v[192:193], v[188:189]
	v_fma_f64 v[58:59], v[190:191], v[56:57], -v[58:59]
	v_mul_f64 v[190:191], v[190:191], v[188:189]
	v_fmac_f64_e32 v[190:191], v[192:193], v[56:57]
	s_waitcnt vmcnt(12)
	v_add_f64 v[6:7], v[6:7], -v[190:191]
	ds_read2_b64 v[190:193], v252 offset0:58 offset1:59
	v_add_f64 v[4:5], v[4:5], -v[58:59]
	s_waitcnt lgkmcnt(0)
	v_mul_f64 v[58:59], v[192:193], v[188:189]
	v_fma_f64 v[58:59], v[190:191], v[56:57], -v[58:59]
	v_mul_f64 v[190:191], v[190:191], v[188:189]
	v_fmac_f64_e32 v[190:191], v[192:193], v[56:57]
	s_waitcnt vmcnt(11)
	v_add_f64 v[2:3], v[2:3], -v[190:191]
	ds_read2_b64 v[190:193], v252 offset0:60 offset1:61
	v_add_f64 v[0:1], v[0:1], -v[58:59]
	s_waitcnt lgkmcnt(0)
	v_mul_f64 v[58:59], v[192:193], v[188:189]
	v_fma_f64 v[58:59], v[190:191], v[56:57], -v[58:59]
	v_mul_f64 v[190:191], v[190:191], v[188:189]
	v_fmac_f64_e32 v[190:191], v[192:193], v[56:57]
	s_waitcnt vmcnt(10)
	v_add_f64 v[120:121], v[120:121], -v[58:59]
	v_add_f64 v[122:123], v[122:123], -v[190:191]
	v_mov_b64_e32 v[58:59], v[188:189]
.LBB61_145:
	s_or_b64 exec, exec, s[2:3]
	v_cmp_eq_u32_e32 vcc, 16, v254
	s_waitcnt lgkmcnt(0)
	s_barrier
	s_and_saveexec_b64 s[4:5], vcc
	s_cbranch_execz .LBB61_152
; %bb.146:
	s_waitcnt vmcnt(45)
	ds_write2_b64 v255, v[52:53], v[54:55] offset1:1
	s_waitcnt vmcnt(44)
	ds_write2_b64 v252, v[48:49], v[50:51] offset0:34 offset1:35
	s_waitcnt vmcnt(43)
	ds_write2_b64 v252, v[44:45], v[46:47] offset0:36 offset1:37
	;; [unrolled: 2-line block ×4, first 2 shown]
	ds_write2_b64 v252, v[32:33], v[34:35] offset0:42 offset1:43
	ds_write2_b64 v252, v[28:29], v[30:31] offset0:44 offset1:45
	;; [unrolled: 1-line block ×4, first 2 shown]
	s_waitcnt vmcnt(15)
	ds_write2_b64 v252, v[16:17], v[18:19] offset0:50 offset1:51
	s_waitcnt vmcnt(14)
	ds_write2_b64 v252, v[12:13], v[14:15] offset0:52 offset1:53
	;; [unrolled: 2-line block ×6, first 2 shown]
	ds_read2_b64 v[188:191], v255 offset1:1
	s_waitcnt lgkmcnt(0)
	v_cmp_neq_f64_e32 vcc, 0, v[188:189]
	v_cmp_neq_f64_e64 s[2:3], 0, v[190:191]
	s_or_b64 s[2:3], vcc, s[2:3]
	s_and_b64 exec, exec, s[2:3]
	s_cbranch_execz .LBB61_152
; %bb.147:
	v_cmp_ngt_f64_e64 s[2:3], |v[188:189]|, |v[190:191]|
                                        ; implicit-def: $vgpr192_vgpr193
	s_and_saveexec_b64 s[10:11], s[2:3]
	s_xor_b64 s[2:3], exec, s[10:11]
                                        ; implicit-def: $vgpr194_vgpr195
	s_cbranch_execz .LBB61_149
; %bb.148:
	v_div_scale_f64 v[192:193], s[10:11], v[190:191], v[190:191], v[188:189]
	v_rcp_f64_e32 v[194:195], v[192:193]
	v_div_scale_f64 v[196:197], vcc, v[188:189], v[190:191], v[188:189]
	v_fma_f64 v[198:199], -v[192:193], v[194:195], 1.0
	v_fmac_f64_e32 v[194:195], v[194:195], v[198:199]
	v_fma_f64 v[198:199], -v[192:193], v[194:195], 1.0
	v_fmac_f64_e32 v[194:195], v[194:195], v[198:199]
	v_mul_f64 v[198:199], v[196:197], v[194:195]
	v_fma_f64 v[192:193], -v[192:193], v[198:199], v[196:197]
	v_div_fmas_f64 v[192:193], v[192:193], v[194:195], v[198:199]
	v_div_fixup_f64 v[192:193], v[192:193], v[190:191], v[188:189]
	v_fmac_f64_e32 v[190:191], v[188:189], v[192:193]
	v_div_scale_f64 v[188:189], s[10:11], v[190:191], v[190:191], 1.0
	v_rcp_f64_e32 v[194:195], v[188:189]
	s_nop 0
	v_fma_f64 v[196:197], -v[188:189], v[194:195], 1.0
	v_fmac_f64_e32 v[194:195], v[194:195], v[196:197]
	v_fma_f64 v[196:197], -v[188:189], v[194:195], 1.0
	v_fmac_f64_e32 v[194:195], v[194:195], v[196:197]
	v_div_scale_f64 v[196:197], vcc, 1.0, v[190:191], 1.0
	v_mul_f64 v[198:199], v[196:197], v[194:195]
	v_fma_f64 v[188:189], -v[188:189], v[198:199], v[196:197]
	s_nop 1
	v_div_fmas_f64 v[188:189], v[188:189], v[194:195], v[198:199]
	v_div_fixup_f64 v[194:195], v[188:189], v[190:191], 1.0
	v_mul_f64 v[192:193], v[192:193], v[194:195]
	v_xor_b32_e32 v195, 0x80000000, v195
                                        ; implicit-def: $vgpr188_vgpr189
.LBB61_149:
	s_andn2_saveexec_b64 s[2:3], s[2:3]
	s_cbranch_execz .LBB61_151
; %bb.150:
	v_div_scale_f64 v[192:193], s[10:11], v[188:189], v[188:189], v[190:191]
	v_rcp_f64_e32 v[194:195], v[192:193]
	v_div_scale_f64 v[196:197], vcc, v[190:191], v[188:189], v[190:191]
	v_fma_f64 v[198:199], -v[192:193], v[194:195], 1.0
	v_fmac_f64_e32 v[194:195], v[194:195], v[198:199]
	v_fma_f64 v[198:199], -v[192:193], v[194:195], 1.0
	v_fmac_f64_e32 v[194:195], v[194:195], v[198:199]
	v_mul_f64 v[198:199], v[196:197], v[194:195]
	v_fma_f64 v[192:193], -v[192:193], v[198:199], v[196:197]
	v_div_fmas_f64 v[192:193], v[192:193], v[194:195], v[198:199]
	v_div_fixup_f64 v[194:195], v[192:193], v[188:189], v[190:191]
	v_fmac_f64_e32 v[188:189], v[190:191], v[194:195]
	v_div_scale_f64 v[190:191], s[10:11], v[188:189], v[188:189], 1.0
	v_rcp_f64_e32 v[192:193], v[190:191]
	s_nop 0
	v_fma_f64 v[196:197], -v[190:191], v[192:193], 1.0
	v_fmac_f64_e32 v[192:193], v[192:193], v[196:197]
	v_fma_f64 v[196:197], -v[190:191], v[192:193], 1.0
	v_fmac_f64_e32 v[192:193], v[192:193], v[196:197]
	v_div_scale_f64 v[196:197], vcc, 1.0, v[188:189], 1.0
	v_mul_f64 v[198:199], v[196:197], v[192:193]
	v_fma_f64 v[190:191], -v[190:191], v[198:199], v[196:197]
	s_nop 1
	v_div_fmas_f64 v[190:191], v[190:191], v[192:193], v[198:199]
	v_div_fixup_f64 v[192:193], v[190:191], v[188:189], 1.0
	v_mul_f64 v[194:195], v[194:195], -v[192:193]
.LBB61_151:
	s_or_b64 exec, exec, s[2:3]
	ds_write2_b64 v255, v[192:193], v[194:195] offset1:1
.LBB61_152:
	s_or_b64 exec, exec, s[4:5]
	s_waitcnt lgkmcnt(0)
	s_barrier
	ds_read2_b64 v[188:191], v255 offset1:1
	v_cmp_lt_u32_e32 vcc, 16, v254
	s_and_saveexec_b64 s[2:3], vcc
	s_cbranch_execz .LBB61_154
; %bb.153:
	ds_read2_b64 v[194:197], v252 offset0:34 offset1:35
	s_waitcnt vmcnt(45) lgkmcnt(1)
	v_mul_f64 v[192:193], v[188:189], v[54:55]
	v_fmac_f64_e32 v[192:193], v[190:191], v[52:53]
	v_mul_f64 v[54:55], v[190:191], v[54:55]
	v_fma_f64 v[52:53], v[188:189], v[52:53], -v[54:55]
	s_waitcnt lgkmcnt(0)
	v_mul_f64 v[54:55], v[196:197], v[192:193]
	v_fma_f64 v[54:55], v[194:195], v[52:53], -v[54:55]
	v_mul_f64 v[194:195], v[194:195], v[192:193]
	v_fmac_f64_e32 v[194:195], v[196:197], v[52:53]
	s_waitcnt vmcnt(44)
	v_add_f64 v[50:51], v[50:51], -v[194:195]
	ds_read2_b64 v[194:197], v252 offset0:36 offset1:37
	v_add_f64 v[48:49], v[48:49], -v[54:55]
	s_waitcnt lgkmcnt(0)
	v_mul_f64 v[54:55], v[196:197], v[192:193]
	v_fma_f64 v[54:55], v[194:195], v[52:53], -v[54:55]
	v_mul_f64 v[194:195], v[194:195], v[192:193]
	v_fmac_f64_e32 v[194:195], v[196:197], v[52:53]
	s_waitcnt vmcnt(43)
	v_add_f64 v[46:47], v[46:47], -v[194:195]
	ds_read2_b64 v[194:197], v252 offset0:38 offset1:39
	v_add_f64 v[44:45], v[44:45], -v[54:55]
	;; [unrolled: 9-line block ×4, first 2 shown]
	s_waitcnt lgkmcnt(0)
	v_mul_f64 v[54:55], v[196:197], v[192:193]
	v_fma_f64 v[54:55], v[194:195], v[52:53], -v[54:55]
	v_mul_f64 v[194:195], v[194:195], v[192:193]
	v_fmac_f64_e32 v[194:195], v[196:197], v[52:53]
	v_add_f64 v[34:35], v[34:35], -v[194:195]
	ds_read2_b64 v[194:197], v252 offset0:44 offset1:45
	v_add_f64 v[32:33], v[32:33], -v[54:55]
	s_waitcnt lgkmcnt(0)
	v_mul_f64 v[54:55], v[196:197], v[192:193]
	v_fma_f64 v[54:55], v[194:195], v[52:53], -v[54:55]
	v_mul_f64 v[194:195], v[194:195], v[192:193]
	v_fmac_f64_e32 v[194:195], v[196:197], v[52:53]
	v_add_f64 v[30:31], v[30:31], -v[194:195]
	ds_read2_b64 v[194:197], v252 offset0:46 offset1:47
	v_add_f64 v[28:29], v[28:29], -v[54:55]
	;; [unrolled: 8-line block ×4, first 2 shown]
	s_waitcnt lgkmcnt(0)
	v_mul_f64 v[54:55], v[196:197], v[192:193]
	v_fma_f64 v[54:55], v[194:195], v[52:53], -v[54:55]
	v_mul_f64 v[194:195], v[194:195], v[192:193]
	v_fmac_f64_e32 v[194:195], v[196:197], v[52:53]
	s_waitcnt vmcnt(15)
	v_add_f64 v[18:19], v[18:19], -v[194:195]
	ds_read2_b64 v[194:197], v252 offset0:52 offset1:53
	v_add_f64 v[16:17], v[16:17], -v[54:55]
	s_waitcnt lgkmcnt(0)
	v_mul_f64 v[54:55], v[196:197], v[192:193]
	v_fma_f64 v[54:55], v[194:195], v[52:53], -v[54:55]
	v_mul_f64 v[194:195], v[194:195], v[192:193]
	v_fmac_f64_e32 v[194:195], v[196:197], v[52:53]
	s_waitcnt vmcnt(14)
	v_add_f64 v[14:15], v[14:15], -v[194:195]
	ds_read2_b64 v[194:197], v252 offset0:54 offset1:55
	v_add_f64 v[12:13], v[12:13], -v[54:55]
	;; [unrolled: 9-line block ×5, first 2 shown]
	s_waitcnt lgkmcnt(0)
	v_mul_f64 v[54:55], v[196:197], v[192:193]
	v_fma_f64 v[54:55], v[194:195], v[52:53], -v[54:55]
	v_mul_f64 v[194:195], v[194:195], v[192:193]
	v_fmac_f64_e32 v[194:195], v[196:197], v[52:53]
	s_waitcnt vmcnt(10)
	v_add_f64 v[120:121], v[120:121], -v[54:55]
	v_add_f64 v[122:123], v[122:123], -v[194:195]
	v_mov_b64_e32 v[54:55], v[192:193]
.LBB61_154:
	s_or_b64 exec, exec, s[2:3]
	v_cmp_eq_u32_e32 vcc, 17, v254
	s_waitcnt lgkmcnt(0)
	s_barrier
	s_and_saveexec_b64 s[4:5], vcc
	s_cbranch_execz .LBB61_161
; %bb.155:
	s_waitcnt vmcnt(44)
	ds_write2_b64 v255, v[48:49], v[50:51] offset1:1
	s_waitcnt vmcnt(43)
	ds_write2_b64 v252, v[44:45], v[46:47] offset0:36 offset1:37
	s_waitcnt vmcnt(42)
	ds_write2_b64 v252, v[40:41], v[42:43] offset0:38 offset1:39
	;; [unrolled: 2-line block ×3, first 2 shown]
	ds_write2_b64 v252, v[32:33], v[34:35] offset0:42 offset1:43
	ds_write2_b64 v252, v[28:29], v[30:31] offset0:44 offset1:45
	;; [unrolled: 1-line block ×4, first 2 shown]
	s_waitcnt vmcnt(15)
	ds_write2_b64 v252, v[16:17], v[18:19] offset0:50 offset1:51
	s_waitcnt vmcnt(14)
	ds_write2_b64 v252, v[12:13], v[14:15] offset0:52 offset1:53
	;; [unrolled: 2-line block ×6, first 2 shown]
	ds_read2_b64 v[192:195], v255 offset1:1
	s_waitcnt lgkmcnt(0)
	v_cmp_neq_f64_e32 vcc, 0, v[192:193]
	v_cmp_neq_f64_e64 s[2:3], 0, v[194:195]
	s_or_b64 s[2:3], vcc, s[2:3]
	s_and_b64 exec, exec, s[2:3]
	s_cbranch_execz .LBB61_161
; %bb.156:
	v_cmp_ngt_f64_e64 s[2:3], |v[192:193]|, |v[194:195]|
                                        ; implicit-def: $vgpr196_vgpr197
	s_and_saveexec_b64 s[10:11], s[2:3]
	s_xor_b64 s[2:3], exec, s[10:11]
                                        ; implicit-def: $vgpr198_vgpr199
	s_cbranch_execz .LBB61_158
; %bb.157:
	v_div_scale_f64 v[196:197], s[10:11], v[194:195], v[194:195], v[192:193]
	v_rcp_f64_e32 v[198:199], v[196:197]
	v_div_scale_f64 v[200:201], vcc, v[192:193], v[194:195], v[192:193]
	v_fma_f64 v[202:203], -v[196:197], v[198:199], 1.0
	v_fmac_f64_e32 v[198:199], v[198:199], v[202:203]
	v_fma_f64 v[202:203], -v[196:197], v[198:199], 1.0
	v_fmac_f64_e32 v[198:199], v[198:199], v[202:203]
	v_mul_f64 v[202:203], v[200:201], v[198:199]
	v_fma_f64 v[196:197], -v[196:197], v[202:203], v[200:201]
	v_div_fmas_f64 v[196:197], v[196:197], v[198:199], v[202:203]
	v_div_fixup_f64 v[196:197], v[196:197], v[194:195], v[192:193]
	v_fmac_f64_e32 v[194:195], v[192:193], v[196:197]
	v_div_scale_f64 v[192:193], s[10:11], v[194:195], v[194:195], 1.0
	v_rcp_f64_e32 v[198:199], v[192:193]
	s_nop 0
	v_fma_f64 v[200:201], -v[192:193], v[198:199], 1.0
	v_fmac_f64_e32 v[198:199], v[198:199], v[200:201]
	v_fma_f64 v[200:201], -v[192:193], v[198:199], 1.0
	v_fmac_f64_e32 v[198:199], v[198:199], v[200:201]
	v_div_scale_f64 v[200:201], vcc, 1.0, v[194:195], 1.0
	v_mul_f64 v[202:203], v[200:201], v[198:199]
	v_fma_f64 v[192:193], -v[192:193], v[202:203], v[200:201]
	s_nop 1
	v_div_fmas_f64 v[192:193], v[192:193], v[198:199], v[202:203]
	v_div_fixup_f64 v[198:199], v[192:193], v[194:195], 1.0
	v_mul_f64 v[196:197], v[196:197], v[198:199]
	v_xor_b32_e32 v199, 0x80000000, v199
                                        ; implicit-def: $vgpr192_vgpr193
.LBB61_158:
	s_andn2_saveexec_b64 s[2:3], s[2:3]
	s_cbranch_execz .LBB61_160
; %bb.159:
	v_div_scale_f64 v[196:197], s[10:11], v[192:193], v[192:193], v[194:195]
	v_rcp_f64_e32 v[198:199], v[196:197]
	v_div_scale_f64 v[200:201], vcc, v[194:195], v[192:193], v[194:195]
	v_fma_f64 v[202:203], -v[196:197], v[198:199], 1.0
	v_fmac_f64_e32 v[198:199], v[198:199], v[202:203]
	v_fma_f64 v[202:203], -v[196:197], v[198:199], 1.0
	v_fmac_f64_e32 v[198:199], v[198:199], v[202:203]
	v_mul_f64 v[202:203], v[200:201], v[198:199]
	v_fma_f64 v[196:197], -v[196:197], v[202:203], v[200:201]
	v_div_fmas_f64 v[196:197], v[196:197], v[198:199], v[202:203]
	v_div_fixup_f64 v[198:199], v[196:197], v[192:193], v[194:195]
	v_fmac_f64_e32 v[192:193], v[194:195], v[198:199]
	v_div_scale_f64 v[194:195], s[10:11], v[192:193], v[192:193], 1.0
	v_rcp_f64_e32 v[196:197], v[194:195]
	s_nop 0
	v_fma_f64 v[200:201], -v[194:195], v[196:197], 1.0
	v_fmac_f64_e32 v[196:197], v[196:197], v[200:201]
	v_fma_f64 v[200:201], -v[194:195], v[196:197], 1.0
	v_fmac_f64_e32 v[196:197], v[196:197], v[200:201]
	v_div_scale_f64 v[200:201], vcc, 1.0, v[192:193], 1.0
	v_mul_f64 v[202:203], v[200:201], v[196:197]
	v_fma_f64 v[194:195], -v[194:195], v[202:203], v[200:201]
	s_nop 1
	v_div_fmas_f64 v[194:195], v[194:195], v[196:197], v[202:203]
	v_div_fixup_f64 v[196:197], v[194:195], v[192:193], 1.0
	v_mul_f64 v[198:199], v[198:199], -v[196:197]
.LBB61_160:
	s_or_b64 exec, exec, s[2:3]
	ds_write2_b64 v255, v[196:197], v[198:199] offset1:1
.LBB61_161:
	s_or_b64 exec, exec, s[4:5]
	s_waitcnt lgkmcnt(0)
	s_barrier
	ds_read2_b64 v[192:195], v255 offset1:1
	v_cmp_lt_u32_e32 vcc, 17, v254
	s_and_saveexec_b64 s[2:3], vcc
	s_cbranch_execz .LBB61_163
; %bb.162:
	ds_read2_b64 v[198:201], v252 offset0:36 offset1:37
	s_waitcnt vmcnt(44) lgkmcnt(1)
	v_mul_f64 v[196:197], v[192:193], v[50:51]
	v_fmac_f64_e32 v[196:197], v[194:195], v[48:49]
	v_mul_f64 v[50:51], v[194:195], v[50:51]
	v_fma_f64 v[48:49], v[192:193], v[48:49], -v[50:51]
	s_waitcnt lgkmcnt(0)
	v_mul_f64 v[50:51], v[200:201], v[196:197]
	v_fma_f64 v[50:51], v[198:199], v[48:49], -v[50:51]
	v_mul_f64 v[198:199], v[198:199], v[196:197]
	v_fmac_f64_e32 v[198:199], v[200:201], v[48:49]
	s_waitcnt vmcnt(43)
	v_add_f64 v[46:47], v[46:47], -v[198:199]
	ds_read2_b64 v[198:201], v252 offset0:38 offset1:39
	v_add_f64 v[44:45], v[44:45], -v[50:51]
	s_waitcnt lgkmcnt(0)
	v_mul_f64 v[50:51], v[200:201], v[196:197]
	v_fma_f64 v[50:51], v[198:199], v[48:49], -v[50:51]
	v_mul_f64 v[198:199], v[198:199], v[196:197]
	v_fmac_f64_e32 v[198:199], v[200:201], v[48:49]
	s_waitcnt vmcnt(42)
	v_add_f64 v[42:43], v[42:43], -v[198:199]
	ds_read2_b64 v[198:201], v252 offset0:40 offset1:41
	v_add_f64 v[40:41], v[40:41], -v[50:51]
	;; [unrolled: 9-line block ×3, first 2 shown]
	s_waitcnt lgkmcnt(0)
	v_mul_f64 v[50:51], v[200:201], v[196:197]
	v_fma_f64 v[50:51], v[198:199], v[48:49], -v[50:51]
	v_mul_f64 v[198:199], v[198:199], v[196:197]
	v_fmac_f64_e32 v[198:199], v[200:201], v[48:49]
	v_add_f64 v[34:35], v[34:35], -v[198:199]
	ds_read2_b64 v[198:201], v252 offset0:44 offset1:45
	v_add_f64 v[32:33], v[32:33], -v[50:51]
	s_waitcnt lgkmcnt(0)
	v_mul_f64 v[50:51], v[200:201], v[196:197]
	v_fma_f64 v[50:51], v[198:199], v[48:49], -v[50:51]
	v_mul_f64 v[198:199], v[198:199], v[196:197]
	v_fmac_f64_e32 v[198:199], v[200:201], v[48:49]
	v_add_f64 v[30:31], v[30:31], -v[198:199]
	ds_read2_b64 v[198:201], v252 offset0:46 offset1:47
	v_add_f64 v[28:29], v[28:29], -v[50:51]
	s_waitcnt lgkmcnt(0)
	v_mul_f64 v[50:51], v[200:201], v[196:197]
	v_fma_f64 v[50:51], v[198:199], v[48:49], -v[50:51]
	v_mul_f64 v[198:199], v[198:199], v[196:197]
	v_fmac_f64_e32 v[198:199], v[200:201], v[48:49]
	v_add_f64 v[26:27], v[26:27], -v[198:199]
	ds_read2_b64 v[198:201], v252 offset0:48 offset1:49
	v_add_f64 v[24:25], v[24:25], -v[50:51]
	s_waitcnt lgkmcnt(0)
	v_mul_f64 v[50:51], v[200:201], v[196:197]
	v_fma_f64 v[50:51], v[198:199], v[48:49], -v[50:51]
	v_mul_f64 v[198:199], v[198:199], v[196:197]
	v_fmac_f64_e32 v[198:199], v[200:201], v[48:49]
	v_add_f64 v[22:23], v[22:23], -v[198:199]
	ds_read2_b64 v[198:201], v252 offset0:50 offset1:51
	v_add_f64 v[20:21], v[20:21], -v[50:51]
	s_waitcnt lgkmcnt(0)
	v_mul_f64 v[50:51], v[200:201], v[196:197]
	v_fma_f64 v[50:51], v[198:199], v[48:49], -v[50:51]
	v_mul_f64 v[198:199], v[198:199], v[196:197]
	v_fmac_f64_e32 v[198:199], v[200:201], v[48:49]
	s_waitcnt vmcnt(15)
	v_add_f64 v[18:19], v[18:19], -v[198:199]
	ds_read2_b64 v[198:201], v252 offset0:52 offset1:53
	v_add_f64 v[16:17], v[16:17], -v[50:51]
	s_waitcnt lgkmcnt(0)
	v_mul_f64 v[50:51], v[200:201], v[196:197]
	v_fma_f64 v[50:51], v[198:199], v[48:49], -v[50:51]
	v_mul_f64 v[198:199], v[198:199], v[196:197]
	v_fmac_f64_e32 v[198:199], v[200:201], v[48:49]
	s_waitcnt vmcnt(14)
	v_add_f64 v[14:15], v[14:15], -v[198:199]
	ds_read2_b64 v[198:201], v252 offset0:54 offset1:55
	v_add_f64 v[12:13], v[12:13], -v[50:51]
	;; [unrolled: 9-line block ×5, first 2 shown]
	s_waitcnt lgkmcnt(0)
	v_mul_f64 v[50:51], v[200:201], v[196:197]
	v_fma_f64 v[50:51], v[198:199], v[48:49], -v[50:51]
	v_mul_f64 v[198:199], v[198:199], v[196:197]
	v_fmac_f64_e32 v[198:199], v[200:201], v[48:49]
	s_waitcnt vmcnt(10)
	v_add_f64 v[120:121], v[120:121], -v[50:51]
	v_add_f64 v[122:123], v[122:123], -v[198:199]
	v_mov_b64_e32 v[50:51], v[196:197]
.LBB61_163:
	s_or_b64 exec, exec, s[2:3]
	v_cmp_eq_u32_e32 vcc, 18, v254
	s_waitcnt lgkmcnt(0)
	s_barrier
	s_and_saveexec_b64 s[4:5], vcc
	s_cbranch_execz .LBB61_170
; %bb.164:
	s_waitcnt vmcnt(43)
	ds_write2_b64 v255, v[44:45], v[46:47] offset1:1
	s_waitcnt vmcnt(42)
	ds_write2_b64 v252, v[40:41], v[42:43] offset0:38 offset1:39
	s_waitcnt vmcnt(16)
	ds_write2_b64 v252, v[36:37], v[38:39] offset0:40 offset1:41
	ds_write2_b64 v252, v[32:33], v[34:35] offset0:42 offset1:43
	;; [unrolled: 1-line block ×5, first 2 shown]
	s_waitcnt vmcnt(15)
	ds_write2_b64 v252, v[16:17], v[18:19] offset0:50 offset1:51
	s_waitcnt vmcnt(14)
	ds_write2_b64 v252, v[12:13], v[14:15] offset0:52 offset1:53
	;; [unrolled: 2-line block ×6, first 2 shown]
	ds_read2_b64 v[196:199], v255 offset1:1
	s_waitcnt lgkmcnt(0)
	v_cmp_neq_f64_e32 vcc, 0, v[196:197]
	v_cmp_neq_f64_e64 s[2:3], 0, v[198:199]
	s_or_b64 s[2:3], vcc, s[2:3]
	s_and_b64 exec, exec, s[2:3]
	s_cbranch_execz .LBB61_170
; %bb.165:
	v_cmp_ngt_f64_e64 s[2:3], |v[196:197]|, |v[198:199]|
                                        ; implicit-def: $vgpr200_vgpr201
	s_and_saveexec_b64 s[10:11], s[2:3]
	s_xor_b64 s[2:3], exec, s[10:11]
                                        ; implicit-def: $vgpr202_vgpr203
	s_cbranch_execz .LBB61_167
; %bb.166:
	v_div_scale_f64 v[200:201], s[10:11], v[198:199], v[198:199], v[196:197]
	v_rcp_f64_e32 v[202:203], v[200:201]
	v_div_scale_f64 v[204:205], vcc, v[196:197], v[198:199], v[196:197]
	v_fma_f64 v[206:207], -v[200:201], v[202:203], 1.0
	v_fmac_f64_e32 v[202:203], v[202:203], v[206:207]
	v_fma_f64 v[206:207], -v[200:201], v[202:203], 1.0
	v_fmac_f64_e32 v[202:203], v[202:203], v[206:207]
	v_mul_f64 v[206:207], v[204:205], v[202:203]
	v_fma_f64 v[200:201], -v[200:201], v[206:207], v[204:205]
	v_div_fmas_f64 v[200:201], v[200:201], v[202:203], v[206:207]
	v_div_fixup_f64 v[200:201], v[200:201], v[198:199], v[196:197]
	v_fmac_f64_e32 v[198:199], v[196:197], v[200:201]
	v_div_scale_f64 v[196:197], s[10:11], v[198:199], v[198:199], 1.0
	v_rcp_f64_e32 v[202:203], v[196:197]
	s_nop 0
	v_fma_f64 v[204:205], -v[196:197], v[202:203], 1.0
	v_fmac_f64_e32 v[202:203], v[202:203], v[204:205]
	v_fma_f64 v[204:205], -v[196:197], v[202:203], 1.0
	v_fmac_f64_e32 v[202:203], v[202:203], v[204:205]
	v_div_scale_f64 v[204:205], vcc, 1.0, v[198:199], 1.0
	v_mul_f64 v[206:207], v[204:205], v[202:203]
	v_fma_f64 v[196:197], -v[196:197], v[206:207], v[204:205]
	s_nop 1
	v_div_fmas_f64 v[196:197], v[196:197], v[202:203], v[206:207]
	v_div_fixup_f64 v[202:203], v[196:197], v[198:199], 1.0
	v_mul_f64 v[200:201], v[200:201], v[202:203]
	v_xor_b32_e32 v203, 0x80000000, v203
                                        ; implicit-def: $vgpr196_vgpr197
.LBB61_167:
	s_andn2_saveexec_b64 s[2:3], s[2:3]
	s_cbranch_execz .LBB61_169
; %bb.168:
	v_div_scale_f64 v[200:201], s[10:11], v[196:197], v[196:197], v[198:199]
	v_rcp_f64_e32 v[202:203], v[200:201]
	v_div_scale_f64 v[204:205], vcc, v[198:199], v[196:197], v[198:199]
	v_fma_f64 v[206:207], -v[200:201], v[202:203], 1.0
	v_fmac_f64_e32 v[202:203], v[202:203], v[206:207]
	v_fma_f64 v[206:207], -v[200:201], v[202:203], 1.0
	v_fmac_f64_e32 v[202:203], v[202:203], v[206:207]
	v_mul_f64 v[206:207], v[204:205], v[202:203]
	v_fma_f64 v[200:201], -v[200:201], v[206:207], v[204:205]
	v_div_fmas_f64 v[200:201], v[200:201], v[202:203], v[206:207]
	v_div_fixup_f64 v[202:203], v[200:201], v[196:197], v[198:199]
	v_fmac_f64_e32 v[196:197], v[198:199], v[202:203]
	v_div_scale_f64 v[198:199], s[10:11], v[196:197], v[196:197], 1.0
	v_rcp_f64_e32 v[200:201], v[198:199]
	s_nop 0
	v_fma_f64 v[204:205], -v[198:199], v[200:201], 1.0
	v_fmac_f64_e32 v[200:201], v[200:201], v[204:205]
	v_fma_f64 v[204:205], -v[198:199], v[200:201], 1.0
	v_fmac_f64_e32 v[200:201], v[200:201], v[204:205]
	v_div_scale_f64 v[204:205], vcc, 1.0, v[196:197], 1.0
	v_mul_f64 v[206:207], v[204:205], v[200:201]
	v_fma_f64 v[198:199], -v[198:199], v[206:207], v[204:205]
	s_nop 1
	v_div_fmas_f64 v[198:199], v[198:199], v[200:201], v[206:207]
	v_div_fixup_f64 v[200:201], v[198:199], v[196:197], 1.0
	v_mul_f64 v[202:203], v[202:203], -v[200:201]
.LBB61_169:
	s_or_b64 exec, exec, s[2:3]
	ds_write2_b64 v255, v[200:201], v[202:203] offset1:1
.LBB61_170:
	s_or_b64 exec, exec, s[4:5]
	s_waitcnt lgkmcnt(0)
	s_barrier
	ds_read2_b64 v[196:199], v255 offset1:1
	v_cmp_lt_u32_e32 vcc, 18, v254
	s_and_saveexec_b64 s[2:3], vcc
	s_cbranch_execz .LBB61_172
; %bb.171:
	ds_read2_b64 v[202:205], v252 offset0:38 offset1:39
	s_waitcnt vmcnt(43) lgkmcnt(1)
	v_mul_f64 v[200:201], v[196:197], v[46:47]
	v_fmac_f64_e32 v[200:201], v[198:199], v[44:45]
	v_mul_f64 v[46:47], v[198:199], v[46:47]
	v_fma_f64 v[44:45], v[196:197], v[44:45], -v[46:47]
	s_waitcnt lgkmcnt(0)
	v_mul_f64 v[46:47], v[204:205], v[200:201]
	v_fma_f64 v[46:47], v[202:203], v[44:45], -v[46:47]
	v_mul_f64 v[202:203], v[202:203], v[200:201]
	v_fmac_f64_e32 v[202:203], v[204:205], v[44:45]
	s_waitcnt vmcnt(42)
	v_add_f64 v[42:43], v[42:43], -v[202:203]
	ds_read2_b64 v[202:205], v252 offset0:40 offset1:41
	v_add_f64 v[40:41], v[40:41], -v[46:47]
	s_waitcnt lgkmcnt(0)
	v_mul_f64 v[46:47], v[204:205], v[200:201]
	v_fma_f64 v[46:47], v[202:203], v[44:45], -v[46:47]
	v_mul_f64 v[202:203], v[202:203], v[200:201]
	v_fmac_f64_e32 v[202:203], v[204:205], v[44:45]
	s_waitcnt vmcnt(16)
	v_add_f64 v[38:39], v[38:39], -v[202:203]
	ds_read2_b64 v[202:205], v252 offset0:42 offset1:43
	v_add_f64 v[36:37], v[36:37], -v[46:47]
	s_waitcnt lgkmcnt(0)
	v_mul_f64 v[46:47], v[204:205], v[200:201]
	v_fma_f64 v[46:47], v[202:203], v[44:45], -v[46:47]
	v_mul_f64 v[202:203], v[202:203], v[200:201]
	v_fmac_f64_e32 v[202:203], v[204:205], v[44:45]
	v_add_f64 v[34:35], v[34:35], -v[202:203]
	ds_read2_b64 v[202:205], v252 offset0:44 offset1:45
	v_add_f64 v[32:33], v[32:33], -v[46:47]
	s_waitcnt lgkmcnt(0)
	v_mul_f64 v[46:47], v[204:205], v[200:201]
	v_fma_f64 v[46:47], v[202:203], v[44:45], -v[46:47]
	v_mul_f64 v[202:203], v[202:203], v[200:201]
	v_fmac_f64_e32 v[202:203], v[204:205], v[44:45]
	;; [unrolled: 8-line block ×5, first 2 shown]
	s_waitcnt vmcnt(15)
	v_add_f64 v[18:19], v[18:19], -v[202:203]
	ds_read2_b64 v[202:205], v252 offset0:52 offset1:53
	v_add_f64 v[16:17], v[16:17], -v[46:47]
	s_waitcnt lgkmcnt(0)
	v_mul_f64 v[46:47], v[204:205], v[200:201]
	v_fma_f64 v[46:47], v[202:203], v[44:45], -v[46:47]
	v_mul_f64 v[202:203], v[202:203], v[200:201]
	v_fmac_f64_e32 v[202:203], v[204:205], v[44:45]
	s_waitcnt vmcnt(14)
	v_add_f64 v[14:15], v[14:15], -v[202:203]
	ds_read2_b64 v[202:205], v252 offset0:54 offset1:55
	v_add_f64 v[12:13], v[12:13], -v[46:47]
	s_waitcnt lgkmcnt(0)
	v_mul_f64 v[46:47], v[204:205], v[200:201]
	v_fma_f64 v[46:47], v[202:203], v[44:45], -v[46:47]
	v_mul_f64 v[202:203], v[202:203], v[200:201]
	v_fmac_f64_e32 v[202:203], v[204:205], v[44:45]
	;; [unrolled: 9-line block ×5, first 2 shown]
	s_waitcnt vmcnt(10)
	v_add_f64 v[120:121], v[120:121], -v[46:47]
	v_add_f64 v[122:123], v[122:123], -v[202:203]
	v_mov_b64_e32 v[46:47], v[200:201]
.LBB61_172:
	s_or_b64 exec, exec, s[2:3]
	v_cmp_eq_u32_e32 vcc, 19, v254
	s_waitcnt lgkmcnt(0)
	s_barrier
	s_and_saveexec_b64 s[4:5], vcc
	s_cbranch_execz .LBB61_179
; %bb.173:
	s_waitcnt vmcnt(42)
	ds_write2_b64 v255, v[40:41], v[42:43] offset1:1
	s_waitcnt vmcnt(16)
	ds_write2_b64 v252, v[36:37], v[38:39] offset0:40 offset1:41
	ds_write2_b64 v252, v[32:33], v[34:35] offset0:42 offset1:43
	ds_write2_b64 v252, v[28:29], v[30:31] offset0:44 offset1:45
	ds_write2_b64 v252, v[24:25], v[26:27] offset0:46 offset1:47
	ds_write2_b64 v252, v[20:21], v[22:23] offset0:48 offset1:49
	s_waitcnt vmcnt(15)
	ds_write2_b64 v252, v[16:17], v[18:19] offset0:50 offset1:51
	s_waitcnt vmcnt(14)
	ds_write2_b64 v252, v[12:13], v[14:15] offset0:52 offset1:53
	;; [unrolled: 2-line block ×6, first 2 shown]
	ds_read2_b64 v[200:203], v255 offset1:1
	s_waitcnt lgkmcnt(0)
	v_cmp_neq_f64_e32 vcc, 0, v[200:201]
	v_cmp_neq_f64_e64 s[2:3], 0, v[202:203]
	s_or_b64 s[2:3], vcc, s[2:3]
	s_and_b64 exec, exec, s[2:3]
	s_cbranch_execz .LBB61_179
; %bb.174:
	v_cmp_ngt_f64_e64 s[2:3], |v[200:201]|, |v[202:203]|
                                        ; implicit-def: $vgpr204_vgpr205
	s_and_saveexec_b64 s[10:11], s[2:3]
	s_xor_b64 s[2:3], exec, s[10:11]
                                        ; implicit-def: $vgpr206_vgpr207
	s_cbranch_execz .LBB61_176
; %bb.175:
	v_div_scale_f64 v[204:205], s[10:11], v[202:203], v[202:203], v[200:201]
	v_rcp_f64_e32 v[206:207], v[204:205]
	v_div_scale_f64 v[208:209], vcc, v[200:201], v[202:203], v[200:201]
	v_fma_f64 v[210:211], -v[204:205], v[206:207], 1.0
	v_fmac_f64_e32 v[206:207], v[206:207], v[210:211]
	v_fma_f64 v[210:211], -v[204:205], v[206:207], 1.0
	v_fmac_f64_e32 v[206:207], v[206:207], v[210:211]
	v_mul_f64 v[210:211], v[208:209], v[206:207]
	v_fma_f64 v[204:205], -v[204:205], v[210:211], v[208:209]
	v_div_fmas_f64 v[204:205], v[204:205], v[206:207], v[210:211]
	v_div_fixup_f64 v[204:205], v[204:205], v[202:203], v[200:201]
	v_fmac_f64_e32 v[202:203], v[200:201], v[204:205]
	v_div_scale_f64 v[200:201], s[10:11], v[202:203], v[202:203], 1.0
	v_rcp_f64_e32 v[206:207], v[200:201]
	s_nop 0
	v_fma_f64 v[208:209], -v[200:201], v[206:207], 1.0
	v_fmac_f64_e32 v[206:207], v[206:207], v[208:209]
	v_fma_f64 v[208:209], -v[200:201], v[206:207], 1.0
	v_fmac_f64_e32 v[206:207], v[206:207], v[208:209]
	v_div_scale_f64 v[208:209], vcc, 1.0, v[202:203], 1.0
	v_mul_f64 v[210:211], v[208:209], v[206:207]
	v_fma_f64 v[200:201], -v[200:201], v[210:211], v[208:209]
	s_nop 1
	v_div_fmas_f64 v[200:201], v[200:201], v[206:207], v[210:211]
	v_div_fixup_f64 v[206:207], v[200:201], v[202:203], 1.0
	v_mul_f64 v[204:205], v[204:205], v[206:207]
	v_xor_b32_e32 v207, 0x80000000, v207
                                        ; implicit-def: $vgpr200_vgpr201
.LBB61_176:
	s_andn2_saveexec_b64 s[2:3], s[2:3]
	s_cbranch_execz .LBB61_178
; %bb.177:
	v_div_scale_f64 v[204:205], s[10:11], v[200:201], v[200:201], v[202:203]
	v_rcp_f64_e32 v[206:207], v[204:205]
	v_div_scale_f64 v[208:209], vcc, v[202:203], v[200:201], v[202:203]
	v_fma_f64 v[210:211], -v[204:205], v[206:207], 1.0
	v_fmac_f64_e32 v[206:207], v[206:207], v[210:211]
	v_fma_f64 v[210:211], -v[204:205], v[206:207], 1.0
	v_fmac_f64_e32 v[206:207], v[206:207], v[210:211]
	v_mul_f64 v[210:211], v[208:209], v[206:207]
	v_fma_f64 v[204:205], -v[204:205], v[210:211], v[208:209]
	v_div_fmas_f64 v[204:205], v[204:205], v[206:207], v[210:211]
	v_div_fixup_f64 v[206:207], v[204:205], v[200:201], v[202:203]
	v_fmac_f64_e32 v[200:201], v[202:203], v[206:207]
	v_div_scale_f64 v[202:203], s[10:11], v[200:201], v[200:201], 1.0
	v_rcp_f64_e32 v[204:205], v[202:203]
	s_nop 0
	v_fma_f64 v[208:209], -v[202:203], v[204:205], 1.0
	v_fmac_f64_e32 v[204:205], v[204:205], v[208:209]
	v_fma_f64 v[208:209], -v[202:203], v[204:205], 1.0
	v_fmac_f64_e32 v[204:205], v[204:205], v[208:209]
	v_div_scale_f64 v[208:209], vcc, 1.0, v[200:201], 1.0
	v_mul_f64 v[210:211], v[208:209], v[204:205]
	v_fma_f64 v[202:203], -v[202:203], v[210:211], v[208:209]
	s_nop 1
	v_div_fmas_f64 v[202:203], v[202:203], v[204:205], v[210:211]
	v_div_fixup_f64 v[204:205], v[202:203], v[200:201], 1.0
	v_mul_f64 v[206:207], v[206:207], -v[204:205]
.LBB61_178:
	s_or_b64 exec, exec, s[2:3]
	ds_write2_b64 v255, v[204:205], v[206:207] offset1:1
.LBB61_179:
	s_or_b64 exec, exec, s[4:5]
	s_waitcnt lgkmcnt(0)
	s_barrier
	ds_read2_b64 v[200:203], v255 offset1:1
	v_cmp_lt_u32_e32 vcc, 19, v254
	s_and_saveexec_b64 s[2:3], vcc
	s_cbranch_execz .LBB61_181
; %bb.180:
	ds_read2_b64 v[206:209], v252 offset0:40 offset1:41
	s_waitcnt vmcnt(42) lgkmcnt(1)
	v_mul_f64 v[204:205], v[200:201], v[42:43]
	v_fmac_f64_e32 v[204:205], v[202:203], v[40:41]
	v_mul_f64 v[42:43], v[202:203], v[42:43]
	v_fma_f64 v[40:41], v[200:201], v[40:41], -v[42:43]
	s_waitcnt lgkmcnt(0)
	v_mul_f64 v[42:43], v[208:209], v[204:205]
	v_fma_f64 v[42:43], v[206:207], v[40:41], -v[42:43]
	v_mul_f64 v[206:207], v[206:207], v[204:205]
	v_fmac_f64_e32 v[206:207], v[208:209], v[40:41]
	s_waitcnt vmcnt(16)
	v_add_f64 v[38:39], v[38:39], -v[206:207]
	ds_read2_b64 v[206:209], v252 offset0:42 offset1:43
	v_add_f64 v[36:37], v[36:37], -v[42:43]
	s_waitcnt lgkmcnt(0)
	v_mul_f64 v[42:43], v[208:209], v[204:205]
	v_fma_f64 v[42:43], v[206:207], v[40:41], -v[42:43]
	v_mul_f64 v[206:207], v[206:207], v[204:205]
	v_fmac_f64_e32 v[206:207], v[208:209], v[40:41]
	v_add_f64 v[34:35], v[34:35], -v[206:207]
	ds_read2_b64 v[206:209], v252 offset0:44 offset1:45
	v_add_f64 v[32:33], v[32:33], -v[42:43]
	s_waitcnt lgkmcnt(0)
	v_mul_f64 v[42:43], v[208:209], v[204:205]
	v_fma_f64 v[42:43], v[206:207], v[40:41], -v[42:43]
	v_mul_f64 v[206:207], v[206:207], v[204:205]
	v_fmac_f64_e32 v[206:207], v[208:209], v[40:41]
	;; [unrolled: 8-line block ×5, first 2 shown]
	s_waitcnt vmcnt(15)
	v_add_f64 v[18:19], v[18:19], -v[206:207]
	ds_read2_b64 v[206:209], v252 offset0:52 offset1:53
	v_add_f64 v[16:17], v[16:17], -v[42:43]
	s_waitcnt lgkmcnt(0)
	v_mul_f64 v[42:43], v[208:209], v[204:205]
	v_fma_f64 v[42:43], v[206:207], v[40:41], -v[42:43]
	v_mul_f64 v[206:207], v[206:207], v[204:205]
	v_fmac_f64_e32 v[206:207], v[208:209], v[40:41]
	s_waitcnt vmcnt(14)
	v_add_f64 v[14:15], v[14:15], -v[206:207]
	ds_read2_b64 v[206:209], v252 offset0:54 offset1:55
	v_add_f64 v[12:13], v[12:13], -v[42:43]
	s_waitcnt lgkmcnt(0)
	v_mul_f64 v[42:43], v[208:209], v[204:205]
	v_fma_f64 v[42:43], v[206:207], v[40:41], -v[42:43]
	v_mul_f64 v[206:207], v[206:207], v[204:205]
	v_fmac_f64_e32 v[206:207], v[208:209], v[40:41]
	;; [unrolled: 9-line block ×5, first 2 shown]
	s_waitcnt vmcnt(10)
	v_add_f64 v[120:121], v[120:121], -v[42:43]
	v_add_f64 v[122:123], v[122:123], -v[206:207]
	v_mov_b64_e32 v[42:43], v[204:205]
.LBB61_181:
	s_or_b64 exec, exec, s[2:3]
	v_cmp_eq_u32_e32 vcc, 20, v254
	s_waitcnt lgkmcnt(0)
	s_barrier
	s_and_saveexec_b64 s[4:5], vcc
	s_cbranch_execz .LBB61_188
; %bb.182:
	s_waitcnt vmcnt(16)
	ds_write2_b64 v255, v[36:37], v[38:39] offset1:1
	ds_write2_b64 v252, v[32:33], v[34:35] offset0:42 offset1:43
	ds_write2_b64 v252, v[28:29], v[30:31] offset0:44 offset1:45
	;; [unrolled: 1-line block ×4, first 2 shown]
	s_waitcnt vmcnt(15)
	ds_write2_b64 v252, v[16:17], v[18:19] offset0:50 offset1:51
	s_waitcnt vmcnt(14)
	ds_write2_b64 v252, v[12:13], v[14:15] offset0:52 offset1:53
	;; [unrolled: 2-line block ×6, first 2 shown]
	ds_read2_b64 v[204:207], v255 offset1:1
	s_waitcnt lgkmcnt(0)
	v_cmp_neq_f64_e32 vcc, 0, v[204:205]
	v_cmp_neq_f64_e64 s[2:3], 0, v[206:207]
	s_or_b64 s[2:3], vcc, s[2:3]
	s_and_b64 exec, exec, s[2:3]
	s_cbranch_execz .LBB61_188
; %bb.183:
	v_cmp_ngt_f64_e64 s[2:3], |v[204:205]|, |v[206:207]|
                                        ; implicit-def: $vgpr208_vgpr209
	s_and_saveexec_b64 s[10:11], s[2:3]
	s_xor_b64 s[2:3], exec, s[10:11]
                                        ; implicit-def: $vgpr210_vgpr211
	s_cbranch_execz .LBB61_185
; %bb.184:
	v_div_scale_f64 v[208:209], s[10:11], v[206:207], v[206:207], v[204:205]
	v_rcp_f64_e32 v[210:211], v[208:209]
	v_div_scale_f64 v[212:213], vcc, v[204:205], v[206:207], v[204:205]
	v_fma_f64 v[214:215], -v[208:209], v[210:211], 1.0
	v_fmac_f64_e32 v[210:211], v[210:211], v[214:215]
	v_fma_f64 v[214:215], -v[208:209], v[210:211], 1.0
	v_fmac_f64_e32 v[210:211], v[210:211], v[214:215]
	v_mul_f64 v[214:215], v[212:213], v[210:211]
	v_fma_f64 v[208:209], -v[208:209], v[214:215], v[212:213]
	v_div_fmas_f64 v[208:209], v[208:209], v[210:211], v[214:215]
	v_div_fixup_f64 v[208:209], v[208:209], v[206:207], v[204:205]
	v_fmac_f64_e32 v[206:207], v[204:205], v[208:209]
	v_div_scale_f64 v[204:205], s[10:11], v[206:207], v[206:207], 1.0
	v_rcp_f64_e32 v[210:211], v[204:205]
	s_nop 0
	v_fma_f64 v[212:213], -v[204:205], v[210:211], 1.0
	v_fmac_f64_e32 v[210:211], v[210:211], v[212:213]
	v_fma_f64 v[212:213], -v[204:205], v[210:211], 1.0
	v_fmac_f64_e32 v[210:211], v[210:211], v[212:213]
	v_div_scale_f64 v[212:213], vcc, 1.0, v[206:207], 1.0
	v_mul_f64 v[214:215], v[212:213], v[210:211]
	v_fma_f64 v[204:205], -v[204:205], v[214:215], v[212:213]
	s_nop 1
	v_div_fmas_f64 v[204:205], v[204:205], v[210:211], v[214:215]
	v_div_fixup_f64 v[210:211], v[204:205], v[206:207], 1.0
	v_mul_f64 v[208:209], v[208:209], v[210:211]
	v_xor_b32_e32 v211, 0x80000000, v211
                                        ; implicit-def: $vgpr204_vgpr205
.LBB61_185:
	s_andn2_saveexec_b64 s[2:3], s[2:3]
	s_cbranch_execz .LBB61_187
; %bb.186:
	v_div_scale_f64 v[208:209], s[10:11], v[204:205], v[204:205], v[206:207]
	v_rcp_f64_e32 v[210:211], v[208:209]
	v_div_scale_f64 v[212:213], vcc, v[206:207], v[204:205], v[206:207]
	v_fma_f64 v[214:215], -v[208:209], v[210:211], 1.0
	v_fmac_f64_e32 v[210:211], v[210:211], v[214:215]
	v_fma_f64 v[214:215], -v[208:209], v[210:211], 1.0
	v_fmac_f64_e32 v[210:211], v[210:211], v[214:215]
	v_mul_f64 v[214:215], v[212:213], v[210:211]
	v_fma_f64 v[208:209], -v[208:209], v[214:215], v[212:213]
	v_div_fmas_f64 v[208:209], v[208:209], v[210:211], v[214:215]
	v_div_fixup_f64 v[210:211], v[208:209], v[204:205], v[206:207]
	v_fmac_f64_e32 v[204:205], v[206:207], v[210:211]
	v_div_scale_f64 v[206:207], s[10:11], v[204:205], v[204:205], 1.0
	v_rcp_f64_e32 v[208:209], v[206:207]
	s_nop 0
	v_fma_f64 v[212:213], -v[206:207], v[208:209], 1.0
	v_fmac_f64_e32 v[208:209], v[208:209], v[212:213]
	v_fma_f64 v[212:213], -v[206:207], v[208:209], 1.0
	v_fmac_f64_e32 v[208:209], v[208:209], v[212:213]
	v_div_scale_f64 v[212:213], vcc, 1.0, v[204:205], 1.0
	v_mul_f64 v[214:215], v[212:213], v[208:209]
	v_fma_f64 v[206:207], -v[206:207], v[214:215], v[212:213]
	s_nop 1
	v_div_fmas_f64 v[206:207], v[206:207], v[208:209], v[214:215]
	v_div_fixup_f64 v[208:209], v[206:207], v[204:205], 1.0
	v_mul_f64 v[210:211], v[210:211], -v[208:209]
.LBB61_187:
	s_or_b64 exec, exec, s[2:3]
	ds_write2_b64 v255, v[208:209], v[210:211] offset1:1
.LBB61_188:
	s_or_b64 exec, exec, s[4:5]
	s_waitcnt lgkmcnt(0)
	s_barrier
	ds_read2_b64 v[204:207], v255 offset1:1
	v_cmp_lt_u32_e32 vcc, 20, v254
	s_and_saveexec_b64 s[2:3], vcc
	s_cbranch_execz .LBB61_190
; %bb.189:
	ds_read2_b64 v[210:213], v252 offset0:42 offset1:43
	s_waitcnt vmcnt(16) lgkmcnt(1)
	v_mul_f64 v[208:209], v[204:205], v[38:39]
	v_fmac_f64_e32 v[208:209], v[206:207], v[36:37]
	v_mul_f64 v[38:39], v[206:207], v[38:39]
	v_fma_f64 v[36:37], v[204:205], v[36:37], -v[38:39]
	s_waitcnt lgkmcnt(0)
	v_mul_f64 v[38:39], v[212:213], v[208:209]
	v_fma_f64 v[38:39], v[210:211], v[36:37], -v[38:39]
	v_mul_f64 v[210:211], v[210:211], v[208:209]
	v_fmac_f64_e32 v[210:211], v[212:213], v[36:37]
	v_add_f64 v[34:35], v[34:35], -v[210:211]
	ds_read2_b64 v[210:213], v252 offset0:44 offset1:45
	v_add_f64 v[32:33], v[32:33], -v[38:39]
	s_waitcnt lgkmcnt(0)
	v_mul_f64 v[38:39], v[212:213], v[208:209]
	v_fma_f64 v[38:39], v[210:211], v[36:37], -v[38:39]
	v_mul_f64 v[210:211], v[210:211], v[208:209]
	v_fmac_f64_e32 v[210:211], v[212:213], v[36:37]
	v_add_f64 v[30:31], v[30:31], -v[210:211]
	ds_read2_b64 v[210:213], v252 offset0:46 offset1:47
	v_add_f64 v[28:29], v[28:29], -v[38:39]
	;; [unrolled: 8-line block ×4, first 2 shown]
	s_waitcnt lgkmcnt(0)
	v_mul_f64 v[38:39], v[212:213], v[208:209]
	v_fma_f64 v[38:39], v[210:211], v[36:37], -v[38:39]
	v_mul_f64 v[210:211], v[210:211], v[208:209]
	v_fmac_f64_e32 v[210:211], v[212:213], v[36:37]
	s_waitcnt vmcnt(15)
	v_add_f64 v[18:19], v[18:19], -v[210:211]
	ds_read2_b64 v[210:213], v252 offset0:52 offset1:53
	v_add_f64 v[16:17], v[16:17], -v[38:39]
	s_waitcnt lgkmcnt(0)
	v_mul_f64 v[38:39], v[212:213], v[208:209]
	v_fma_f64 v[38:39], v[210:211], v[36:37], -v[38:39]
	v_mul_f64 v[210:211], v[210:211], v[208:209]
	v_fmac_f64_e32 v[210:211], v[212:213], v[36:37]
	s_waitcnt vmcnt(14)
	v_add_f64 v[14:15], v[14:15], -v[210:211]
	ds_read2_b64 v[210:213], v252 offset0:54 offset1:55
	v_add_f64 v[12:13], v[12:13], -v[38:39]
	;; [unrolled: 9-line block ×5, first 2 shown]
	s_waitcnt lgkmcnt(0)
	v_mul_f64 v[38:39], v[212:213], v[208:209]
	v_fma_f64 v[38:39], v[210:211], v[36:37], -v[38:39]
	v_mul_f64 v[210:211], v[210:211], v[208:209]
	v_fmac_f64_e32 v[210:211], v[212:213], v[36:37]
	s_waitcnt vmcnt(10)
	v_add_f64 v[120:121], v[120:121], -v[38:39]
	v_add_f64 v[122:123], v[122:123], -v[210:211]
	v_mov_b64_e32 v[38:39], v[208:209]
.LBB61_190:
	s_or_b64 exec, exec, s[2:3]
	v_cmp_eq_u32_e32 vcc, 21, v254
	s_waitcnt lgkmcnt(0)
	s_barrier
	s_and_saveexec_b64 s[4:5], vcc
	s_cbranch_execz .LBB61_197
; %bb.191:
	s_waitcnt vmcnt(20)
	ds_write2_b64 v255, v[32:33], v[34:35] offset1:1
	s_waitcnt vmcnt(19)
	ds_write2_b64 v252, v[28:29], v[30:31] offset0:44 offset1:45
	s_waitcnt vmcnt(18)
	ds_write2_b64 v252, v[24:25], v[26:27] offset0:46 offset1:47
	;; [unrolled: 2-line block ×9, first 2 shown]
	ds_read2_b64 v[208:211], v255 offset1:1
	s_waitcnt lgkmcnt(0)
	v_cmp_neq_f64_e32 vcc, 0, v[208:209]
	v_cmp_neq_f64_e64 s[2:3], 0, v[210:211]
	s_or_b64 s[2:3], vcc, s[2:3]
	s_and_b64 exec, exec, s[2:3]
	s_cbranch_execz .LBB61_197
; %bb.192:
	v_cmp_ngt_f64_e64 s[2:3], |v[208:209]|, |v[210:211]|
                                        ; implicit-def: $vgpr212_vgpr213
	s_and_saveexec_b64 s[10:11], s[2:3]
	s_xor_b64 s[2:3], exec, s[10:11]
                                        ; implicit-def: $vgpr214_vgpr215
	s_cbranch_execz .LBB61_194
; %bb.193:
	v_div_scale_f64 v[212:213], s[10:11], v[210:211], v[210:211], v[208:209]
	v_rcp_f64_e32 v[214:215], v[212:213]
	v_div_scale_f64 v[216:217], vcc, v[208:209], v[210:211], v[208:209]
	v_fma_f64 v[218:219], -v[212:213], v[214:215], 1.0
	v_fmac_f64_e32 v[214:215], v[214:215], v[218:219]
	v_fma_f64 v[218:219], -v[212:213], v[214:215], 1.0
	v_fmac_f64_e32 v[214:215], v[214:215], v[218:219]
	v_mul_f64 v[218:219], v[216:217], v[214:215]
	v_fma_f64 v[212:213], -v[212:213], v[218:219], v[216:217]
	v_div_fmas_f64 v[212:213], v[212:213], v[214:215], v[218:219]
	v_div_fixup_f64 v[212:213], v[212:213], v[210:211], v[208:209]
	v_fmac_f64_e32 v[210:211], v[208:209], v[212:213]
	v_div_scale_f64 v[208:209], s[10:11], v[210:211], v[210:211], 1.0
	v_rcp_f64_e32 v[214:215], v[208:209]
	s_nop 0
	v_fma_f64 v[216:217], -v[208:209], v[214:215], 1.0
	v_fmac_f64_e32 v[214:215], v[214:215], v[216:217]
	v_fma_f64 v[216:217], -v[208:209], v[214:215], 1.0
	v_fmac_f64_e32 v[214:215], v[214:215], v[216:217]
	v_div_scale_f64 v[216:217], vcc, 1.0, v[210:211], 1.0
	v_mul_f64 v[218:219], v[216:217], v[214:215]
	v_fma_f64 v[208:209], -v[208:209], v[218:219], v[216:217]
	s_nop 1
	v_div_fmas_f64 v[208:209], v[208:209], v[214:215], v[218:219]
	v_div_fixup_f64 v[214:215], v[208:209], v[210:211], 1.0
	v_mul_f64 v[212:213], v[212:213], v[214:215]
	v_xor_b32_e32 v215, 0x80000000, v215
                                        ; implicit-def: $vgpr208_vgpr209
.LBB61_194:
	s_andn2_saveexec_b64 s[2:3], s[2:3]
	s_cbranch_execz .LBB61_196
; %bb.195:
	v_div_scale_f64 v[212:213], s[10:11], v[208:209], v[208:209], v[210:211]
	v_rcp_f64_e32 v[214:215], v[212:213]
	v_div_scale_f64 v[216:217], vcc, v[210:211], v[208:209], v[210:211]
	v_fma_f64 v[218:219], -v[212:213], v[214:215], 1.0
	v_fmac_f64_e32 v[214:215], v[214:215], v[218:219]
	v_fma_f64 v[218:219], -v[212:213], v[214:215], 1.0
	v_fmac_f64_e32 v[214:215], v[214:215], v[218:219]
	v_mul_f64 v[218:219], v[216:217], v[214:215]
	v_fma_f64 v[212:213], -v[212:213], v[218:219], v[216:217]
	v_div_fmas_f64 v[212:213], v[212:213], v[214:215], v[218:219]
	v_div_fixup_f64 v[214:215], v[212:213], v[208:209], v[210:211]
	v_fmac_f64_e32 v[208:209], v[210:211], v[214:215]
	v_div_scale_f64 v[210:211], s[10:11], v[208:209], v[208:209], 1.0
	v_rcp_f64_e32 v[212:213], v[210:211]
	s_nop 0
	v_fma_f64 v[216:217], -v[210:211], v[212:213], 1.0
	v_fmac_f64_e32 v[212:213], v[212:213], v[216:217]
	v_fma_f64 v[216:217], -v[210:211], v[212:213], 1.0
	v_fmac_f64_e32 v[212:213], v[212:213], v[216:217]
	v_div_scale_f64 v[216:217], vcc, 1.0, v[208:209], 1.0
	v_mul_f64 v[218:219], v[216:217], v[212:213]
	v_fma_f64 v[210:211], -v[210:211], v[218:219], v[216:217]
	s_nop 1
	v_div_fmas_f64 v[210:211], v[210:211], v[212:213], v[218:219]
	v_div_fixup_f64 v[212:213], v[210:211], v[208:209], 1.0
	v_mul_f64 v[214:215], v[214:215], -v[212:213]
.LBB61_196:
	s_or_b64 exec, exec, s[2:3]
	ds_write2_b64 v255, v[212:213], v[214:215] offset1:1
.LBB61_197:
	s_or_b64 exec, exec, s[4:5]
	s_waitcnt lgkmcnt(0)
	s_barrier
	ds_read2_b64 v[208:211], v255 offset1:1
	v_cmp_lt_u32_e32 vcc, 21, v254
	s_and_saveexec_b64 s[2:3], vcc
	s_cbranch_execz .LBB61_199
; %bb.198:
	ds_read2_b64 v[214:217], v252 offset0:44 offset1:45
	s_waitcnt vmcnt(20) lgkmcnt(1)
	v_mul_f64 v[212:213], v[208:209], v[34:35]
	v_fmac_f64_e32 v[212:213], v[210:211], v[32:33]
	v_mul_f64 v[34:35], v[210:211], v[34:35]
	v_fma_f64 v[32:33], v[208:209], v[32:33], -v[34:35]
	s_waitcnt lgkmcnt(0)
	v_mul_f64 v[34:35], v[216:217], v[212:213]
	v_fma_f64 v[34:35], v[214:215], v[32:33], -v[34:35]
	v_mul_f64 v[214:215], v[214:215], v[212:213]
	v_fmac_f64_e32 v[214:215], v[216:217], v[32:33]
	s_waitcnt vmcnt(19)
	v_add_f64 v[30:31], v[30:31], -v[214:215]
	ds_read2_b64 v[214:217], v252 offset0:46 offset1:47
	v_add_f64 v[28:29], v[28:29], -v[34:35]
	s_waitcnt lgkmcnt(0)
	v_mul_f64 v[34:35], v[216:217], v[212:213]
	v_fma_f64 v[34:35], v[214:215], v[32:33], -v[34:35]
	v_mul_f64 v[214:215], v[214:215], v[212:213]
	v_fmac_f64_e32 v[214:215], v[216:217], v[32:33]
	s_waitcnt vmcnt(18)
	v_add_f64 v[26:27], v[26:27], -v[214:215]
	ds_read2_b64 v[214:217], v252 offset0:48 offset1:49
	v_add_f64 v[24:25], v[24:25], -v[34:35]
	s_waitcnt lgkmcnt(0)
	v_mul_f64 v[34:35], v[216:217], v[212:213]
	v_fma_f64 v[34:35], v[214:215], v[32:33], -v[34:35]
	v_mul_f64 v[214:215], v[214:215], v[212:213]
	v_fmac_f64_e32 v[214:215], v[216:217], v[32:33]
	s_waitcnt vmcnt(17)
	v_add_f64 v[22:23], v[22:23], -v[214:215]
	ds_read2_b64 v[214:217], v252 offset0:50 offset1:51
	v_add_f64 v[20:21], v[20:21], -v[34:35]
	s_waitcnt lgkmcnt(0)
	v_mul_f64 v[34:35], v[216:217], v[212:213]
	v_fma_f64 v[34:35], v[214:215], v[32:33], -v[34:35]
	v_mul_f64 v[214:215], v[214:215], v[212:213]
	v_fmac_f64_e32 v[214:215], v[216:217], v[32:33]
	s_waitcnt vmcnt(15)
	v_add_f64 v[18:19], v[18:19], -v[214:215]
	ds_read2_b64 v[214:217], v252 offset0:52 offset1:53
	v_add_f64 v[16:17], v[16:17], -v[34:35]
	s_waitcnt lgkmcnt(0)
	v_mul_f64 v[34:35], v[216:217], v[212:213]
	v_fma_f64 v[34:35], v[214:215], v[32:33], -v[34:35]
	v_mul_f64 v[214:215], v[214:215], v[212:213]
	v_fmac_f64_e32 v[214:215], v[216:217], v[32:33]
	s_waitcnt vmcnt(14)
	v_add_f64 v[14:15], v[14:15], -v[214:215]
	ds_read2_b64 v[214:217], v252 offset0:54 offset1:55
	v_add_f64 v[12:13], v[12:13], -v[34:35]
	s_waitcnt lgkmcnt(0)
	v_mul_f64 v[34:35], v[216:217], v[212:213]
	v_fma_f64 v[34:35], v[214:215], v[32:33], -v[34:35]
	v_mul_f64 v[214:215], v[214:215], v[212:213]
	v_fmac_f64_e32 v[214:215], v[216:217], v[32:33]
	s_waitcnt vmcnt(13)
	v_add_f64 v[10:11], v[10:11], -v[214:215]
	ds_read2_b64 v[214:217], v252 offset0:56 offset1:57
	v_add_f64 v[8:9], v[8:9], -v[34:35]
	s_waitcnt lgkmcnt(0)
	v_mul_f64 v[34:35], v[216:217], v[212:213]
	v_fma_f64 v[34:35], v[214:215], v[32:33], -v[34:35]
	v_mul_f64 v[214:215], v[214:215], v[212:213]
	v_fmac_f64_e32 v[214:215], v[216:217], v[32:33]
	s_waitcnt vmcnt(12)
	v_add_f64 v[6:7], v[6:7], -v[214:215]
	ds_read2_b64 v[214:217], v252 offset0:58 offset1:59
	v_add_f64 v[4:5], v[4:5], -v[34:35]
	s_waitcnt lgkmcnt(0)
	v_mul_f64 v[34:35], v[216:217], v[212:213]
	v_fma_f64 v[34:35], v[214:215], v[32:33], -v[34:35]
	v_mul_f64 v[214:215], v[214:215], v[212:213]
	v_fmac_f64_e32 v[214:215], v[216:217], v[32:33]
	s_waitcnt vmcnt(11)
	v_add_f64 v[2:3], v[2:3], -v[214:215]
	ds_read2_b64 v[214:217], v252 offset0:60 offset1:61
	v_add_f64 v[0:1], v[0:1], -v[34:35]
	s_waitcnt lgkmcnt(0)
	v_mul_f64 v[34:35], v[216:217], v[212:213]
	v_fma_f64 v[34:35], v[214:215], v[32:33], -v[34:35]
	v_mul_f64 v[214:215], v[214:215], v[212:213]
	v_fmac_f64_e32 v[214:215], v[216:217], v[32:33]
	s_waitcnt vmcnt(10)
	v_add_f64 v[120:121], v[120:121], -v[34:35]
	v_add_f64 v[122:123], v[122:123], -v[214:215]
	v_mov_b64_e32 v[34:35], v[212:213]
.LBB61_199:
	s_or_b64 exec, exec, s[2:3]
	v_cmp_eq_u32_e32 vcc, 22, v254
	s_waitcnt lgkmcnt(0)
	s_barrier
	s_and_saveexec_b64 s[4:5], vcc
	s_cbranch_execz .LBB61_206
; %bb.200:
	s_waitcnt vmcnt(19)
	ds_write2_b64 v255, v[28:29], v[30:31] offset1:1
	s_waitcnt vmcnt(18)
	ds_write2_b64 v252, v[24:25], v[26:27] offset0:46 offset1:47
	s_waitcnt vmcnt(17)
	ds_write2_b64 v252, v[20:21], v[22:23] offset0:48 offset1:49
	;; [unrolled: 2-line block ×8, first 2 shown]
	ds_read2_b64 v[212:215], v255 offset1:1
	s_waitcnt lgkmcnt(0)
	v_cmp_neq_f64_e32 vcc, 0, v[212:213]
	v_cmp_neq_f64_e64 s[2:3], 0, v[214:215]
	s_or_b64 s[2:3], vcc, s[2:3]
	s_and_b64 exec, exec, s[2:3]
	s_cbranch_execz .LBB61_206
; %bb.201:
	v_cmp_ngt_f64_e64 s[2:3], |v[212:213]|, |v[214:215]|
                                        ; implicit-def: $vgpr216_vgpr217
	s_and_saveexec_b64 s[10:11], s[2:3]
	s_xor_b64 s[2:3], exec, s[10:11]
                                        ; implicit-def: $vgpr218_vgpr219
	s_cbranch_execz .LBB61_203
; %bb.202:
	v_div_scale_f64 v[216:217], s[10:11], v[214:215], v[214:215], v[212:213]
	v_rcp_f64_e32 v[218:219], v[216:217]
	v_div_scale_f64 v[220:221], vcc, v[212:213], v[214:215], v[212:213]
	v_fma_f64 v[222:223], -v[216:217], v[218:219], 1.0
	v_fmac_f64_e32 v[218:219], v[218:219], v[222:223]
	v_fma_f64 v[222:223], -v[216:217], v[218:219], 1.0
	v_fmac_f64_e32 v[218:219], v[218:219], v[222:223]
	v_mul_f64 v[222:223], v[220:221], v[218:219]
	v_fma_f64 v[216:217], -v[216:217], v[222:223], v[220:221]
	v_div_fmas_f64 v[216:217], v[216:217], v[218:219], v[222:223]
	v_div_fixup_f64 v[216:217], v[216:217], v[214:215], v[212:213]
	v_fmac_f64_e32 v[214:215], v[212:213], v[216:217]
	v_div_scale_f64 v[212:213], s[10:11], v[214:215], v[214:215], 1.0
	v_rcp_f64_e32 v[218:219], v[212:213]
	s_nop 0
	v_fma_f64 v[220:221], -v[212:213], v[218:219], 1.0
	v_fmac_f64_e32 v[218:219], v[218:219], v[220:221]
	v_fma_f64 v[220:221], -v[212:213], v[218:219], 1.0
	v_fmac_f64_e32 v[218:219], v[218:219], v[220:221]
	v_div_scale_f64 v[220:221], vcc, 1.0, v[214:215], 1.0
	v_mul_f64 v[222:223], v[220:221], v[218:219]
	v_fma_f64 v[212:213], -v[212:213], v[222:223], v[220:221]
	s_nop 1
	v_div_fmas_f64 v[212:213], v[212:213], v[218:219], v[222:223]
	v_div_fixup_f64 v[218:219], v[212:213], v[214:215], 1.0
	v_mul_f64 v[216:217], v[216:217], v[218:219]
	v_xor_b32_e32 v219, 0x80000000, v219
                                        ; implicit-def: $vgpr212_vgpr213
.LBB61_203:
	s_andn2_saveexec_b64 s[2:3], s[2:3]
	s_cbranch_execz .LBB61_205
; %bb.204:
	v_div_scale_f64 v[216:217], s[10:11], v[212:213], v[212:213], v[214:215]
	v_rcp_f64_e32 v[218:219], v[216:217]
	v_div_scale_f64 v[220:221], vcc, v[214:215], v[212:213], v[214:215]
	v_fma_f64 v[222:223], -v[216:217], v[218:219], 1.0
	v_fmac_f64_e32 v[218:219], v[218:219], v[222:223]
	v_fma_f64 v[222:223], -v[216:217], v[218:219], 1.0
	v_fmac_f64_e32 v[218:219], v[218:219], v[222:223]
	v_mul_f64 v[222:223], v[220:221], v[218:219]
	v_fma_f64 v[216:217], -v[216:217], v[222:223], v[220:221]
	v_div_fmas_f64 v[216:217], v[216:217], v[218:219], v[222:223]
	v_div_fixup_f64 v[218:219], v[216:217], v[212:213], v[214:215]
	v_fmac_f64_e32 v[212:213], v[214:215], v[218:219]
	v_div_scale_f64 v[214:215], s[10:11], v[212:213], v[212:213], 1.0
	v_rcp_f64_e32 v[216:217], v[214:215]
	s_nop 0
	v_fma_f64 v[220:221], -v[214:215], v[216:217], 1.0
	v_fmac_f64_e32 v[216:217], v[216:217], v[220:221]
	v_fma_f64 v[220:221], -v[214:215], v[216:217], 1.0
	v_fmac_f64_e32 v[216:217], v[216:217], v[220:221]
	v_div_scale_f64 v[220:221], vcc, 1.0, v[212:213], 1.0
	v_mul_f64 v[222:223], v[220:221], v[216:217]
	v_fma_f64 v[214:215], -v[214:215], v[222:223], v[220:221]
	s_nop 1
	v_div_fmas_f64 v[214:215], v[214:215], v[216:217], v[222:223]
	v_div_fixup_f64 v[216:217], v[214:215], v[212:213], 1.0
	v_mul_f64 v[218:219], v[218:219], -v[216:217]
.LBB61_205:
	s_or_b64 exec, exec, s[2:3]
	ds_write2_b64 v255, v[216:217], v[218:219] offset1:1
.LBB61_206:
	s_or_b64 exec, exec, s[4:5]
	s_waitcnt lgkmcnt(0)
	s_barrier
	ds_read2_b64 v[212:215], v255 offset1:1
	v_cmp_lt_u32_e32 vcc, 22, v254
	s_and_saveexec_b64 s[2:3], vcc
	s_cbranch_execz .LBB61_208
; %bb.207:
	ds_read2_b64 v[218:221], v252 offset0:46 offset1:47
	s_waitcnt vmcnt(19) lgkmcnt(1)
	v_mul_f64 v[216:217], v[212:213], v[30:31]
	v_fmac_f64_e32 v[216:217], v[214:215], v[28:29]
	v_mul_f64 v[30:31], v[214:215], v[30:31]
	v_fma_f64 v[28:29], v[212:213], v[28:29], -v[30:31]
	s_waitcnt lgkmcnt(0)
	v_mul_f64 v[30:31], v[220:221], v[216:217]
	v_fma_f64 v[30:31], v[218:219], v[28:29], -v[30:31]
	v_mul_f64 v[218:219], v[218:219], v[216:217]
	v_fmac_f64_e32 v[218:219], v[220:221], v[28:29]
	s_waitcnt vmcnt(18)
	v_add_f64 v[26:27], v[26:27], -v[218:219]
	ds_read2_b64 v[218:221], v252 offset0:48 offset1:49
	v_add_f64 v[24:25], v[24:25], -v[30:31]
	s_waitcnt lgkmcnt(0)
	v_mul_f64 v[30:31], v[220:221], v[216:217]
	v_fma_f64 v[30:31], v[218:219], v[28:29], -v[30:31]
	v_mul_f64 v[218:219], v[218:219], v[216:217]
	v_fmac_f64_e32 v[218:219], v[220:221], v[28:29]
	s_waitcnt vmcnt(17)
	v_add_f64 v[22:23], v[22:23], -v[218:219]
	ds_read2_b64 v[218:221], v252 offset0:50 offset1:51
	v_add_f64 v[20:21], v[20:21], -v[30:31]
	;; [unrolled: 9-line block ×7, first 2 shown]
	s_waitcnt lgkmcnt(0)
	v_mul_f64 v[30:31], v[220:221], v[216:217]
	v_fma_f64 v[30:31], v[218:219], v[28:29], -v[30:31]
	v_mul_f64 v[218:219], v[218:219], v[216:217]
	v_fmac_f64_e32 v[218:219], v[220:221], v[28:29]
	s_waitcnt vmcnt(10)
	v_add_f64 v[120:121], v[120:121], -v[30:31]
	v_add_f64 v[122:123], v[122:123], -v[218:219]
	v_mov_b64_e32 v[30:31], v[216:217]
.LBB61_208:
	s_or_b64 exec, exec, s[2:3]
	v_cmp_eq_u32_e32 vcc, 23, v254
	s_waitcnt lgkmcnt(0)
	s_barrier
	s_and_saveexec_b64 s[4:5], vcc
	s_cbranch_execz .LBB61_215
; %bb.209:
	s_waitcnt vmcnt(18)
	ds_write2_b64 v255, v[24:25], v[26:27] offset1:1
	s_waitcnt vmcnt(17)
	ds_write2_b64 v252, v[20:21], v[22:23] offset0:48 offset1:49
	s_waitcnt vmcnt(15)
	ds_write2_b64 v252, v[16:17], v[18:19] offset0:50 offset1:51
	;; [unrolled: 2-line block ×7, first 2 shown]
	ds_read2_b64 v[216:219], v255 offset1:1
	s_waitcnt lgkmcnt(0)
	v_cmp_neq_f64_e32 vcc, 0, v[216:217]
	v_cmp_neq_f64_e64 s[2:3], 0, v[218:219]
	s_or_b64 s[2:3], vcc, s[2:3]
	s_and_b64 exec, exec, s[2:3]
	s_cbranch_execz .LBB61_215
; %bb.210:
	v_cmp_ngt_f64_e64 s[2:3], |v[216:217]|, |v[218:219]|
                                        ; implicit-def: $vgpr220_vgpr221
	s_and_saveexec_b64 s[10:11], s[2:3]
	s_xor_b64 s[2:3], exec, s[10:11]
                                        ; implicit-def: $vgpr222_vgpr223
	s_cbranch_execz .LBB61_212
; %bb.211:
	v_div_scale_f64 v[220:221], s[10:11], v[218:219], v[218:219], v[216:217]
	v_rcp_f64_e32 v[222:223], v[220:221]
	v_div_scale_f64 v[224:225], vcc, v[216:217], v[218:219], v[216:217]
	v_fma_f64 v[226:227], -v[220:221], v[222:223], 1.0
	v_fmac_f64_e32 v[222:223], v[222:223], v[226:227]
	v_fma_f64 v[226:227], -v[220:221], v[222:223], 1.0
	v_fmac_f64_e32 v[222:223], v[222:223], v[226:227]
	v_mul_f64 v[226:227], v[224:225], v[222:223]
	v_fma_f64 v[220:221], -v[220:221], v[226:227], v[224:225]
	v_div_fmas_f64 v[220:221], v[220:221], v[222:223], v[226:227]
	v_div_fixup_f64 v[220:221], v[220:221], v[218:219], v[216:217]
	v_fmac_f64_e32 v[218:219], v[216:217], v[220:221]
	v_div_scale_f64 v[216:217], s[10:11], v[218:219], v[218:219], 1.0
	v_rcp_f64_e32 v[222:223], v[216:217]
	s_nop 0
	v_fma_f64 v[224:225], -v[216:217], v[222:223], 1.0
	v_fmac_f64_e32 v[222:223], v[222:223], v[224:225]
	v_fma_f64 v[224:225], -v[216:217], v[222:223], 1.0
	v_fmac_f64_e32 v[222:223], v[222:223], v[224:225]
	v_div_scale_f64 v[224:225], vcc, 1.0, v[218:219], 1.0
	v_mul_f64 v[226:227], v[224:225], v[222:223]
	v_fma_f64 v[216:217], -v[216:217], v[226:227], v[224:225]
	s_nop 1
	v_div_fmas_f64 v[216:217], v[216:217], v[222:223], v[226:227]
	v_div_fixup_f64 v[222:223], v[216:217], v[218:219], 1.0
	v_mul_f64 v[220:221], v[220:221], v[222:223]
	v_xor_b32_e32 v223, 0x80000000, v223
                                        ; implicit-def: $vgpr216_vgpr217
.LBB61_212:
	s_andn2_saveexec_b64 s[2:3], s[2:3]
	s_cbranch_execz .LBB61_214
; %bb.213:
	v_div_scale_f64 v[220:221], s[10:11], v[216:217], v[216:217], v[218:219]
	v_rcp_f64_e32 v[222:223], v[220:221]
	v_div_scale_f64 v[224:225], vcc, v[218:219], v[216:217], v[218:219]
	v_fma_f64 v[226:227], -v[220:221], v[222:223], 1.0
	v_fmac_f64_e32 v[222:223], v[222:223], v[226:227]
	v_fma_f64 v[226:227], -v[220:221], v[222:223], 1.0
	v_fmac_f64_e32 v[222:223], v[222:223], v[226:227]
	v_mul_f64 v[226:227], v[224:225], v[222:223]
	v_fma_f64 v[220:221], -v[220:221], v[226:227], v[224:225]
	v_div_fmas_f64 v[220:221], v[220:221], v[222:223], v[226:227]
	v_div_fixup_f64 v[222:223], v[220:221], v[216:217], v[218:219]
	v_fmac_f64_e32 v[216:217], v[218:219], v[222:223]
	v_div_scale_f64 v[218:219], s[10:11], v[216:217], v[216:217], 1.0
	v_rcp_f64_e32 v[220:221], v[218:219]
	s_nop 0
	v_fma_f64 v[224:225], -v[218:219], v[220:221], 1.0
	v_fmac_f64_e32 v[220:221], v[220:221], v[224:225]
	v_fma_f64 v[224:225], -v[218:219], v[220:221], 1.0
	v_fmac_f64_e32 v[220:221], v[220:221], v[224:225]
	v_div_scale_f64 v[224:225], vcc, 1.0, v[216:217], 1.0
	v_mul_f64 v[226:227], v[224:225], v[220:221]
	v_fma_f64 v[218:219], -v[218:219], v[226:227], v[224:225]
	s_nop 1
	v_div_fmas_f64 v[218:219], v[218:219], v[220:221], v[226:227]
	v_div_fixup_f64 v[220:221], v[218:219], v[216:217], 1.0
	v_mul_f64 v[222:223], v[222:223], -v[220:221]
.LBB61_214:
	s_or_b64 exec, exec, s[2:3]
	ds_write2_b64 v255, v[220:221], v[222:223] offset1:1
.LBB61_215:
	s_or_b64 exec, exec, s[4:5]
	s_waitcnt lgkmcnt(0)
	s_barrier
	ds_read2_b64 v[216:219], v255 offset1:1
	v_cmp_lt_u32_e32 vcc, 23, v254
	s_and_saveexec_b64 s[2:3], vcc
	s_cbranch_execz .LBB61_217
; %bb.216:
	ds_read2_b64 v[222:225], v252 offset0:48 offset1:49
	s_waitcnt vmcnt(18) lgkmcnt(1)
	v_mul_f64 v[220:221], v[216:217], v[26:27]
	v_fmac_f64_e32 v[220:221], v[218:219], v[24:25]
	v_mul_f64 v[26:27], v[218:219], v[26:27]
	v_fma_f64 v[24:25], v[216:217], v[24:25], -v[26:27]
	s_waitcnt lgkmcnt(0)
	v_mul_f64 v[26:27], v[224:225], v[220:221]
	v_fma_f64 v[26:27], v[222:223], v[24:25], -v[26:27]
	v_mul_f64 v[222:223], v[222:223], v[220:221]
	v_fmac_f64_e32 v[222:223], v[224:225], v[24:25]
	s_waitcnt vmcnt(17)
	v_add_f64 v[22:23], v[22:23], -v[222:223]
	ds_read2_b64 v[222:225], v252 offset0:50 offset1:51
	v_add_f64 v[20:21], v[20:21], -v[26:27]
	s_waitcnt lgkmcnt(0)
	v_mul_f64 v[26:27], v[224:225], v[220:221]
	v_fma_f64 v[26:27], v[222:223], v[24:25], -v[26:27]
	v_mul_f64 v[222:223], v[222:223], v[220:221]
	v_fmac_f64_e32 v[222:223], v[224:225], v[24:25]
	s_waitcnt vmcnt(15)
	v_add_f64 v[18:19], v[18:19], -v[222:223]
	ds_read2_b64 v[222:225], v252 offset0:52 offset1:53
	v_add_f64 v[16:17], v[16:17], -v[26:27]
	;; [unrolled: 9-line block ×6, first 2 shown]
	s_waitcnt lgkmcnt(0)
	v_mul_f64 v[26:27], v[224:225], v[220:221]
	v_fma_f64 v[26:27], v[222:223], v[24:25], -v[26:27]
	v_mul_f64 v[222:223], v[222:223], v[220:221]
	v_fmac_f64_e32 v[222:223], v[224:225], v[24:25]
	s_waitcnt vmcnt(10)
	v_add_f64 v[120:121], v[120:121], -v[26:27]
	v_add_f64 v[122:123], v[122:123], -v[222:223]
	v_mov_b64_e32 v[26:27], v[220:221]
.LBB61_217:
	s_or_b64 exec, exec, s[2:3]
	v_cmp_eq_u32_e32 vcc, 24, v254
	s_waitcnt lgkmcnt(0)
	s_barrier
	s_and_saveexec_b64 s[4:5], vcc
	s_cbranch_execz .LBB61_224
; %bb.218:
	s_waitcnt vmcnt(17)
	ds_write2_b64 v255, v[20:21], v[22:23] offset1:1
	s_waitcnt vmcnt(15)
	ds_write2_b64 v252, v[16:17], v[18:19] offset0:50 offset1:51
	s_waitcnt vmcnt(14)
	ds_write2_b64 v252, v[12:13], v[14:15] offset0:52 offset1:53
	;; [unrolled: 2-line block ×6, first 2 shown]
	ds_read2_b64 v[220:223], v255 offset1:1
	s_waitcnt lgkmcnt(0)
	v_cmp_neq_f64_e32 vcc, 0, v[220:221]
	v_cmp_neq_f64_e64 s[2:3], 0, v[222:223]
	s_or_b64 s[2:3], vcc, s[2:3]
	s_and_b64 exec, exec, s[2:3]
	s_cbranch_execz .LBB61_224
; %bb.219:
	v_cmp_ngt_f64_e64 s[2:3], |v[220:221]|, |v[222:223]|
                                        ; implicit-def: $vgpr224_vgpr225
	s_and_saveexec_b64 s[10:11], s[2:3]
	s_xor_b64 s[2:3], exec, s[10:11]
                                        ; implicit-def: $vgpr226_vgpr227
	s_cbranch_execz .LBB61_221
; %bb.220:
	v_div_scale_f64 v[224:225], s[10:11], v[222:223], v[222:223], v[220:221]
	v_rcp_f64_e32 v[226:227], v[224:225]
	v_div_scale_f64 v[228:229], vcc, v[220:221], v[222:223], v[220:221]
	v_fma_f64 v[230:231], -v[224:225], v[226:227], 1.0
	v_fmac_f64_e32 v[226:227], v[226:227], v[230:231]
	v_fma_f64 v[230:231], -v[224:225], v[226:227], 1.0
	v_fmac_f64_e32 v[226:227], v[226:227], v[230:231]
	v_mul_f64 v[230:231], v[228:229], v[226:227]
	v_fma_f64 v[224:225], -v[224:225], v[230:231], v[228:229]
	v_div_fmas_f64 v[224:225], v[224:225], v[226:227], v[230:231]
	v_div_fixup_f64 v[224:225], v[224:225], v[222:223], v[220:221]
	v_fmac_f64_e32 v[222:223], v[220:221], v[224:225]
	v_div_scale_f64 v[220:221], s[10:11], v[222:223], v[222:223], 1.0
	v_rcp_f64_e32 v[226:227], v[220:221]
	s_nop 0
	v_fma_f64 v[228:229], -v[220:221], v[226:227], 1.0
	v_fmac_f64_e32 v[226:227], v[226:227], v[228:229]
	v_fma_f64 v[228:229], -v[220:221], v[226:227], 1.0
	v_fmac_f64_e32 v[226:227], v[226:227], v[228:229]
	v_div_scale_f64 v[228:229], vcc, 1.0, v[222:223], 1.0
	v_mul_f64 v[230:231], v[228:229], v[226:227]
	v_fma_f64 v[220:221], -v[220:221], v[230:231], v[228:229]
	s_nop 1
	v_div_fmas_f64 v[220:221], v[220:221], v[226:227], v[230:231]
	v_div_fixup_f64 v[226:227], v[220:221], v[222:223], 1.0
	v_mul_f64 v[224:225], v[224:225], v[226:227]
	v_xor_b32_e32 v227, 0x80000000, v227
                                        ; implicit-def: $vgpr220_vgpr221
.LBB61_221:
	s_andn2_saveexec_b64 s[2:3], s[2:3]
	s_cbranch_execz .LBB61_223
; %bb.222:
	v_div_scale_f64 v[224:225], s[10:11], v[220:221], v[220:221], v[222:223]
	v_rcp_f64_e32 v[226:227], v[224:225]
	v_div_scale_f64 v[228:229], vcc, v[222:223], v[220:221], v[222:223]
	v_fma_f64 v[230:231], -v[224:225], v[226:227], 1.0
	v_fmac_f64_e32 v[226:227], v[226:227], v[230:231]
	v_fma_f64 v[230:231], -v[224:225], v[226:227], 1.0
	v_fmac_f64_e32 v[226:227], v[226:227], v[230:231]
	v_mul_f64 v[230:231], v[228:229], v[226:227]
	v_fma_f64 v[224:225], -v[224:225], v[230:231], v[228:229]
	v_div_fmas_f64 v[224:225], v[224:225], v[226:227], v[230:231]
	v_div_fixup_f64 v[226:227], v[224:225], v[220:221], v[222:223]
	v_fmac_f64_e32 v[220:221], v[222:223], v[226:227]
	v_div_scale_f64 v[222:223], s[10:11], v[220:221], v[220:221], 1.0
	v_rcp_f64_e32 v[224:225], v[222:223]
	s_nop 0
	v_fma_f64 v[228:229], -v[222:223], v[224:225], 1.0
	v_fmac_f64_e32 v[224:225], v[224:225], v[228:229]
	v_fma_f64 v[228:229], -v[222:223], v[224:225], 1.0
	v_fmac_f64_e32 v[224:225], v[224:225], v[228:229]
	v_div_scale_f64 v[228:229], vcc, 1.0, v[220:221], 1.0
	v_mul_f64 v[230:231], v[228:229], v[224:225]
	v_fma_f64 v[222:223], -v[222:223], v[230:231], v[228:229]
	s_nop 1
	v_div_fmas_f64 v[222:223], v[222:223], v[224:225], v[230:231]
	v_div_fixup_f64 v[224:225], v[222:223], v[220:221], 1.0
	v_mul_f64 v[226:227], v[226:227], -v[224:225]
.LBB61_223:
	s_or_b64 exec, exec, s[2:3]
	ds_write2_b64 v255, v[224:225], v[226:227] offset1:1
.LBB61_224:
	s_or_b64 exec, exec, s[4:5]
	s_waitcnt lgkmcnt(0)
	s_barrier
	ds_read2_b64 v[220:223], v255 offset1:1
	v_cmp_lt_u32_e32 vcc, 24, v254
	s_and_saveexec_b64 s[2:3], vcc
	s_cbranch_execz .LBB61_226
; %bb.225:
	ds_read2_b64 v[224:227], v252 offset0:50 offset1:51
	s_waitcnt vmcnt(17) lgkmcnt(1)
	v_mul_f64 v[228:229], v[220:221], v[22:23]
	v_fmac_f64_e32 v[228:229], v[222:223], v[20:21]
	v_mul_f64 v[22:23], v[222:223], v[22:23]
	v_fma_f64 v[20:21], v[220:221], v[20:21], -v[22:23]
	s_waitcnt lgkmcnt(0)
	v_mul_f64 v[22:23], v[226:227], v[228:229]
	v_fma_f64 v[22:23], v[224:225], v[20:21], -v[22:23]
	v_mul_f64 v[224:225], v[224:225], v[228:229]
	v_fmac_f64_e32 v[224:225], v[226:227], v[20:21]
	s_waitcnt vmcnt(15)
	v_add_f64 v[18:19], v[18:19], -v[224:225]
	ds_read2_b64 v[224:227], v252 offset0:52 offset1:53
	v_add_f64 v[16:17], v[16:17], -v[22:23]
	s_waitcnt lgkmcnt(0)
	v_mul_f64 v[22:23], v[226:227], v[228:229]
	v_fma_f64 v[22:23], v[224:225], v[20:21], -v[22:23]
	v_mul_f64 v[224:225], v[224:225], v[228:229]
	v_fmac_f64_e32 v[224:225], v[226:227], v[20:21]
	s_waitcnt vmcnt(14)
	v_add_f64 v[14:15], v[14:15], -v[224:225]
	ds_read2_b64 v[224:227], v252 offset0:54 offset1:55
	v_add_f64 v[12:13], v[12:13], -v[22:23]
	s_waitcnt lgkmcnt(0)
	v_mul_f64 v[22:23], v[226:227], v[228:229]
	v_fma_f64 v[22:23], v[224:225], v[20:21], -v[22:23]
	v_mul_f64 v[224:225], v[224:225], v[228:229]
	v_fmac_f64_e32 v[224:225], v[226:227], v[20:21]
	s_waitcnt vmcnt(13)
	v_add_f64 v[10:11], v[10:11], -v[224:225]
	ds_read2_b64 v[224:227], v252 offset0:56 offset1:57
	v_add_f64 v[8:9], v[8:9], -v[22:23]
	s_waitcnt lgkmcnt(0)
	v_mul_f64 v[22:23], v[226:227], v[228:229]
	v_fma_f64 v[22:23], v[224:225], v[20:21], -v[22:23]
	v_mul_f64 v[224:225], v[224:225], v[228:229]
	v_fmac_f64_e32 v[224:225], v[226:227], v[20:21]
	s_waitcnt vmcnt(12)
	v_add_f64 v[6:7], v[6:7], -v[224:225]
	ds_read2_b64 v[224:227], v252 offset0:58 offset1:59
	v_add_f64 v[4:5], v[4:5], -v[22:23]
	s_waitcnt lgkmcnt(0)
	v_mul_f64 v[22:23], v[226:227], v[228:229]
	v_fma_f64 v[22:23], v[224:225], v[20:21], -v[22:23]
	v_mul_f64 v[224:225], v[224:225], v[228:229]
	v_fmac_f64_e32 v[224:225], v[226:227], v[20:21]
	s_waitcnt vmcnt(11)
	v_add_f64 v[2:3], v[2:3], -v[224:225]
	ds_read2_b64 v[224:227], v252 offset0:60 offset1:61
	v_add_f64 v[0:1], v[0:1], -v[22:23]
	s_waitcnt lgkmcnt(0)
	v_mul_f64 v[22:23], v[226:227], v[228:229]
	v_fma_f64 v[22:23], v[224:225], v[20:21], -v[22:23]
	v_mul_f64 v[224:225], v[224:225], v[228:229]
	v_fmac_f64_e32 v[224:225], v[226:227], v[20:21]
	s_waitcnt vmcnt(10)
	v_add_f64 v[120:121], v[120:121], -v[22:23]
	v_add_f64 v[122:123], v[122:123], -v[224:225]
	v_mov_b64_e32 v[22:23], v[228:229]
.LBB61_226:
	s_or_b64 exec, exec, s[2:3]
	v_cmp_eq_u32_e32 vcc, 25, v254
	s_waitcnt lgkmcnt(0)
	s_barrier
	s_and_saveexec_b64 s[4:5], vcc
	s_cbranch_execz .LBB61_233
; %bb.227:
	s_waitcnt vmcnt(15)
	ds_write2_b64 v255, v[16:17], v[18:19] offset1:1
	s_waitcnt vmcnt(14)
	ds_write2_b64 v252, v[12:13], v[14:15] offset0:52 offset1:53
	s_waitcnt vmcnt(13)
	ds_write2_b64 v252, v[8:9], v[10:11] offset0:54 offset1:55
	;; [unrolled: 2-line block ×5, first 2 shown]
	ds_read2_b64 v[224:227], v255 offset1:1
	s_waitcnt lgkmcnt(0)
	v_cmp_neq_f64_e32 vcc, 0, v[224:225]
	v_cmp_neq_f64_e64 s[2:3], 0, v[226:227]
	s_or_b64 s[2:3], vcc, s[2:3]
	s_and_b64 exec, exec, s[2:3]
	s_cbranch_execz .LBB61_233
; %bb.228:
	v_cmp_ngt_f64_e64 s[2:3], |v[224:225]|, |v[226:227]|
                                        ; implicit-def: $vgpr228_vgpr229
	s_and_saveexec_b64 s[10:11], s[2:3]
	s_xor_b64 s[2:3], exec, s[10:11]
                                        ; implicit-def: $vgpr230_vgpr231
	s_cbranch_execz .LBB61_230
; %bb.229:
	v_div_scale_f64 v[228:229], s[10:11], v[226:227], v[226:227], v[224:225]
	v_rcp_f64_e32 v[230:231], v[228:229]
	v_div_scale_f64 v[232:233], vcc, v[224:225], v[226:227], v[224:225]
	v_fma_f64 v[234:235], -v[228:229], v[230:231], 1.0
	v_fmac_f64_e32 v[230:231], v[230:231], v[234:235]
	v_fma_f64 v[234:235], -v[228:229], v[230:231], 1.0
	v_fmac_f64_e32 v[230:231], v[230:231], v[234:235]
	v_mul_f64 v[234:235], v[232:233], v[230:231]
	v_fma_f64 v[228:229], -v[228:229], v[234:235], v[232:233]
	v_div_fmas_f64 v[228:229], v[228:229], v[230:231], v[234:235]
	v_div_fixup_f64 v[228:229], v[228:229], v[226:227], v[224:225]
	v_fmac_f64_e32 v[226:227], v[224:225], v[228:229]
	v_div_scale_f64 v[224:225], s[10:11], v[226:227], v[226:227], 1.0
	v_rcp_f64_e32 v[230:231], v[224:225]
	s_nop 0
	v_fma_f64 v[232:233], -v[224:225], v[230:231], 1.0
	v_fmac_f64_e32 v[230:231], v[230:231], v[232:233]
	v_fma_f64 v[232:233], -v[224:225], v[230:231], 1.0
	v_fmac_f64_e32 v[230:231], v[230:231], v[232:233]
	v_div_scale_f64 v[232:233], vcc, 1.0, v[226:227], 1.0
	v_mul_f64 v[234:235], v[232:233], v[230:231]
	v_fma_f64 v[224:225], -v[224:225], v[234:235], v[232:233]
	s_nop 1
	v_div_fmas_f64 v[224:225], v[224:225], v[230:231], v[234:235]
	v_div_fixup_f64 v[230:231], v[224:225], v[226:227], 1.0
	v_mul_f64 v[228:229], v[228:229], v[230:231]
	v_xor_b32_e32 v231, 0x80000000, v231
                                        ; implicit-def: $vgpr224_vgpr225
.LBB61_230:
	s_andn2_saveexec_b64 s[2:3], s[2:3]
	s_cbranch_execz .LBB61_232
; %bb.231:
	v_div_scale_f64 v[228:229], s[10:11], v[224:225], v[224:225], v[226:227]
	v_rcp_f64_e32 v[230:231], v[228:229]
	v_div_scale_f64 v[232:233], vcc, v[226:227], v[224:225], v[226:227]
	v_fma_f64 v[234:235], -v[228:229], v[230:231], 1.0
	v_fmac_f64_e32 v[230:231], v[230:231], v[234:235]
	v_fma_f64 v[234:235], -v[228:229], v[230:231], 1.0
	v_fmac_f64_e32 v[230:231], v[230:231], v[234:235]
	v_mul_f64 v[234:235], v[232:233], v[230:231]
	v_fma_f64 v[228:229], -v[228:229], v[234:235], v[232:233]
	v_div_fmas_f64 v[228:229], v[228:229], v[230:231], v[234:235]
	v_div_fixup_f64 v[230:231], v[228:229], v[224:225], v[226:227]
	v_fmac_f64_e32 v[224:225], v[226:227], v[230:231]
	v_div_scale_f64 v[226:227], s[10:11], v[224:225], v[224:225], 1.0
	v_rcp_f64_e32 v[228:229], v[226:227]
	s_nop 0
	v_fma_f64 v[232:233], -v[226:227], v[228:229], 1.0
	v_fmac_f64_e32 v[228:229], v[228:229], v[232:233]
	v_fma_f64 v[232:233], -v[226:227], v[228:229], 1.0
	v_fmac_f64_e32 v[228:229], v[228:229], v[232:233]
	v_div_scale_f64 v[232:233], vcc, 1.0, v[224:225], 1.0
	v_mul_f64 v[234:235], v[232:233], v[228:229]
	v_fma_f64 v[226:227], -v[226:227], v[234:235], v[232:233]
	s_nop 1
	v_div_fmas_f64 v[226:227], v[226:227], v[228:229], v[234:235]
	v_div_fixup_f64 v[228:229], v[226:227], v[224:225], 1.0
	v_mul_f64 v[230:231], v[230:231], -v[228:229]
.LBB61_232:
	s_or_b64 exec, exec, s[2:3]
	ds_write2_b64 v255, v[228:229], v[230:231] offset1:1
.LBB61_233:
	s_or_b64 exec, exec, s[4:5]
	s_waitcnt lgkmcnt(0)
	s_barrier
	ds_read2_b64 v[224:227], v255 offset1:1
	v_cmp_lt_u32_e32 vcc, 25, v254
	s_and_saveexec_b64 s[2:3], vcc
	s_cbranch_execz .LBB61_235
; %bb.234:
	ds_read2_b64 v[228:231], v252 offset0:52 offset1:53
	s_waitcnt vmcnt(15) lgkmcnt(1)
	v_mul_f64 v[232:233], v[224:225], v[18:19]
	v_fmac_f64_e32 v[232:233], v[226:227], v[16:17]
	v_mul_f64 v[18:19], v[226:227], v[18:19]
	v_fma_f64 v[16:17], v[224:225], v[16:17], -v[18:19]
	s_waitcnt lgkmcnt(0)
	v_mul_f64 v[18:19], v[230:231], v[232:233]
	v_fma_f64 v[18:19], v[228:229], v[16:17], -v[18:19]
	v_mul_f64 v[228:229], v[228:229], v[232:233]
	v_fmac_f64_e32 v[228:229], v[230:231], v[16:17]
	s_waitcnt vmcnt(14)
	v_add_f64 v[14:15], v[14:15], -v[228:229]
	ds_read2_b64 v[228:231], v252 offset0:54 offset1:55
	v_add_f64 v[12:13], v[12:13], -v[18:19]
	s_waitcnt lgkmcnt(0)
	v_mul_f64 v[18:19], v[230:231], v[232:233]
	v_fma_f64 v[18:19], v[228:229], v[16:17], -v[18:19]
	v_mul_f64 v[228:229], v[228:229], v[232:233]
	v_fmac_f64_e32 v[228:229], v[230:231], v[16:17]
	s_waitcnt vmcnt(13)
	v_add_f64 v[10:11], v[10:11], -v[228:229]
	ds_read2_b64 v[228:231], v252 offset0:56 offset1:57
	v_add_f64 v[8:9], v[8:9], -v[18:19]
	;; [unrolled: 9-line block ×4, first 2 shown]
	s_waitcnt lgkmcnt(0)
	v_mul_f64 v[18:19], v[230:231], v[232:233]
	v_fma_f64 v[18:19], v[228:229], v[16:17], -v[18:19]
	v_mul_f64 v[228:229], v[228:229], v[232:233]
	v_fmac_f64_e32 v[228:229], v[230:231], v[16:17]
	s_waitcnt vmcnt(10)
	v_add_f64 v[120:121], v[120:121], -v[18:19]
	v_add_f64 v[122:123], v[122:123], -v[228:229]
	v_mov_b64_e32 v[18:19], v[232:233]
.LBB61_235:
	s_or_b64 exec, exec, s[2:3]
	v_cmp_eq_u32_e32 vcc, 26, v254
	s_waitcnt lgkmcnt(0)
	s_barrier
	s_and_saveexec_b64 s[4:5], vcc
	s_cbranch_execz .LBB61_242
; %bb.236:
	s_waitcnt vmcnt(14)
	ds_write2_b64 v255, v[12:13], v[14:15] offset1:1
	s_waitcnt vmcnt(13)
	ds_write2_b64 v252, v[8:9], v[10:11] offset0:54 offset1:55
	s_waitcnt vmcnt(12)
	ds_write2_b64 v252, v[4:5], v[6:7] offset0:56 offset1:57
	s_waitcnt vmcnt(11)
	ds_write2_b64 v252, v[0:1], v[2:3] offset0:58 offset1:59
	s_waitcnt vmcnt(10)
	ds_write2_b64 v252, v[120:121], v[122:123] offset0:60 offset1:61
	ds_read2_b64 v[228:231], v255 offset1:1
	s_waitcnt lgkmcnt(0)
	v_cmp_neq_f64_e32 vcc, 0, v[228:229]
	v_cmp_neq_f64_e64 s[2:3], 0, v[230:231]
	s_or_b64 s[2:3], vcc, s[2:3]
	s_and_b64 exec, exec, s[2:3]
	s_cbranch_execz .LBB61_242
; %bb.237:
	v_cmp_ngt_f64_e64 s[2:3], |v[228:229]|, |v[230:231]|
                                        ; implicit-def: $vgpr232_vgpr233
	s_and_saveexec_b64 s[10:11], s[2:3]
	s_xor_b64 s[2:3], exec, s[10:11]
                                        ; implicit-def: $vgpr234_vgpr235
	s_cbranch_execz .LBB61_239
; %bb.238:
	v_div_scale_f64 v[232:233], s[10:11], v[230:231], v[230:231], v[228:229]
	v_rcp_f64_e32 v[234:235], v[232:233]
	v_div_scale_f64 v[236:237], vcc, v[228:229], v[230:231], v[228:229]
	v_fma_f64 v[238:239], -v[232:233], v[234:235], 1.0
	v_fmac_f64_e32 v[234:235], v[234:235], v[238:239]
	v_fma_f64 v[238:239], -v[232:233], v[234:235], 1.0
	v_fmac_f64_e32 v[234:235], v[234:235], v[238:239]
	v_mul_f64 v[238:239], v[236:237], v[234:235]
	v_fma_f64 v[232:233], -v[232:233], v[238:239], v[236:237]
	v_div_fmas_f64 v[232:233], v[232:233], v[234:235], v[238:239]
	v_div_fixup_f64 v[232:233], v[232:233], v[230:231], v[228:229]
	v_fmac_f64_e32 v[230:231], v[228:229], v[232:233]
	v_div_scale_f64 v[228:229], s[10:11], v[230:231], v[230:231], 1.0
	v_rcp_f64_e32 v[234:235], v[228:229]
	s_nop 0
	v_fma_f64 v[236:237], -v[228:229], v[234:235], 1.0
	v_fmac_f64_e32 v[234:235], v[234:235], v[236:237]
	v_fma_f64 v[236:237], -v[228:229], v[234:235], 1.0
	v_fmac_f64_e32 v[234:235], v[234:235], v[236:237]
	v_div_scale_f64 v[236:237], vcc, 1.0, v[230:231], 1.0
	v_mul_f64 v[238:239], v[236:237], v[234:235]
	v_fma_f64 v[228:229], -v[228:229], v[238:239], v[236:237]
	s_nop 1
	v_div_fmas_f64 v[228:229], v[228:229], v[234:235], v[238:239]
	v_div_fixup_f64 v[234:235], v[228:229], v[230:231], 1.0
	v_mul_f64 v[232:233], v[232:233], v[234:235]
	v_xor_b32_e32 v235, 0x80000000, v235
                                        ; implicit-def: $vgpr228_vgpr229
.LBB61_239:
	s_andn2_saveexec_b64 s[2:3], s[2:3]
	s_cbranch_execz .LBB61_241
; %bb.240:
	v_div_scale_f64 v[232:233], s[10:11], v[228:229], v[228:229], v[230:231]
	v_rcp_f64_e32 v[234:235], v[232:233]
	v_div_scale_f64 v[236:237], vcc, v[230:231], v[228:229], v[230:231]
	v_fma_f64 v[238:239], -v[232:233], v[234:235], 1.0
	v_fmac_f64_e32 v[234:235], v[234:235], v[238:239]
	v_fma_f64 v[238:239], -v[232:233], v[234:235], 1.0
	v_fmac_f64_e32 v[234:235], v[234:235], v[238:239]
	v_mul_f64 v[238:239], v[236:237], v[234:235]
	v_fma_f64 v[232:233], -v[232:233], v[238:239], v[236:237]
	v_div_fmas_f64 v[232:233], v[232:233], v[234:235], v[238:239]
	v_div_fixup_f64 v[234:235], v[232:233], v[228:229], v[230:231]
	v_fmac_f64_e32 v[228:229], v[230:231], v[234:235]
	v_div_scale_f64 v[230:231], s[10:11], v[228:229], v[228:229], 1.0
	v_rcp_f64_e32 v[232:233], v[230:231]
	s_nop 0
	v_fma_f64 v[236:237], -v[230:231], v[232:233], 1.0
	v_fmac_f64_e32 v[232:233], v[232:233], v[236:237]
	v_fma_f64 v[236:237], -v[230:231], v[232:233], 1.0
	v_fmac_f64_e32 v[232:233], v[232:233], v[236:237]
	v_div_scale_f64 v[236:237], vcc, 1.0, v[228:229], 1.0
	v_mul_f64 v[238:239], v[236:237], v[232:233]
	v_fma_f64 v[230:231], -v[230:231], v[238:239], v[236:237]
	s_nop 1
	v_div_fmas_f64 v[230:231], v[230:231], v[232:233], v[238:239]
	v_div_fixup_f64 v[232:233], v[230:231], v[228:229], 1.0
	v_mul_f64 v[234:235], v[234:235], -v[232:233]
.LBB61_241:
	s_or_b64 exec, exec, s[2:3]
	ds_write2_b64 v255, v[232:233], v[234:235] offset1:1
.LBB61_242:
	s_or_b64 exec, exec, s[4:5]
	s_waitcnt lgkmcnt(0)
	s_barrier
	ds_read2_b64 v[228:231], v255 offset1:1
	v_cmp_lt_u32_e32 vcc, 26, v254
	s_and_saveexec_b64 s[2:3], vcc
	s_cbranch_execz .LBB61_244
; %bb.243:
	ds_read2_b64 v[232:235], v252 offset0:54 offset1:55
	s_waitcnt vmcnt(14) lgkmcnt(1)
	v_mul_f64 v[236:237], v[228:229], v[14:15]
	v_fmac_f64_e32 v[236:237], v[230:231], v[12:13]
	v_mul_f64 v[14:15], v[230:231], v[14:15]
	v_fma_f64 v[12:13], v[228:229], v[12:13], -v[14:15]
	s_waitcnt lgkmcnt(0)
	v_mul_f64 v[14:15], v[234:235], v[236:237]
	v_fma_f64 v[14:15], v[232:233], v[12:13], -v[14:15]
	v_mul_f64 v[232:233], v[232:233], v[236:237]
	v_fmac_f64_e32 v[232:233], v[234:235], v[12:13]
	s_waitcnt vmcnt(13)
	v_add_f64 v[10:11], v[10:11], -v[232:233]
	ds_read2_b64 v[232:235], v252 offset0:56 offset1:57
	v_add_f64 v[8:9], v[8:9], -v[14:15]
	s_waitcnt lgkmcnt(0)
	v_mul_f64 v[14:15], v[234:235], v[236:237]
	v_fma_f64 v[14:15], v[232:233], v[12:13], -v[14:15]
	v_mul_f64 v[232:233], v[232:233], v[236:237]
	v_fmac_f64_e32 v[232:233], v[234:235], v[12:13]
	s_waitcnt vmcnt(12)
	v_add_f64 v[6:7], v[6:7], -v[232:233]
	ds_read2_b64 v[232:235], v252 offset0:58 offset1:59
	v_add_f64 v[4:5], v[4:5], -v[14:15]
	;; [unrolled: 9-line block ×3, first 2 shown]
	s_waitcnt lgkmcnt(0)
	v_mul_f64 v[14:15], v[234:235], v[236:237]
	v_fma_f64 v[14:15], v[232:233], v[12:13], -v[14:15]
	v_mul_f64 v[232:233], v[232:233], v[236:237]
	v_fmac_f64_e32 v[232:233], v[234:235], v[12:13]
	s_waitcnt vmcnt(10)
	v_add_f64 v[120:121], v[120:121], -v[14:15]
	v_add_f64 v[122:123], v[122:123], -v[232:233]
	v_mov_b64_e32 v[14:15], v[236:237]
.LBB61_244:
	s_or_b64 exec, exec, s[2:3]
	v_cmp_eq_u32_e32 vcc, 27, v254
	s_waitcnt lgkmcnt(0)
	s_barrier
	s_and_saveexec_b64 s[4:5], vcc
	s_cbranch_execz .LBB61_251
; %bb.245:
	s_waitcnt vmcnt(13)
	ds_write2_b64 v255, v[8:9], v[10:11] offset1:1
	s_waitcnt vmcnt(12)
	ds_write2_b64 v252, v[4:5], v[6:7] offset0:56 offset1:57
	s_waitcnt vmcnt(11)
	ds_write2_b64 v252, v[0:1], v[2:3] offset0:58 offset1:59
	;; [unrolled: 2-line block ×3, first 2 shown]
	ds_read2_b64 v[232:235], v255 offset1:1
	s_waitcnt lgkmcnt(0)
	v_cmp_neq_f64_e32 vcc, 0, v[232:233]
	v_cmp_neq_f64_e64 s[2:3], 0, v[234:235]
	s_or_b64 s[2:3], vcc, s[2:3]
	s_and_b64 exec, exec, s[2:3]
	s_cbranch_execz .LBB61_251
; %bb.246:
	v_cmp_ngt_f64_e64 s[2:3], |v[232:233]|, |v[234:235]|
                                        ; implicit-def: $vgpr236_vgpr237
	s_and_saveexec_b64 s[10:11], s[2:3]
	s_xor_b64 s[2:3], exec, s[10:11]
                                        ; implicit-def: $vgpr238_vgpr239
	s_cbranch_execz .LBB61_248
; %bb.247:
	v_div_scale_f64 v[236:237], s[10:11], v[234:235], v[234:235], v[232:233]
	v_rcp_f64_e32 v[238:239], v[236:237]
	v_div_scale_f64 v[240:241], vcc, v[232:233], v[234:235], v[232:233]
	v_fma_f64 v[242:243], -v[236:237], v[238:239], 1.0
	v_fmac_f64_e32 v[238:239], v[238:239], v[242:243]
	v_fma_f64 v[242:243], -v[236:237], v[238:239], 1.0
	v_fmac_f64_e32 v[238:239], v[238:239], v[242:243]
	v_mul_f64 v[242:243], v[240:241], v[238:239]
	v_fma_f64 v[236:237], -v[236:237], v[242:243], v[240:241]
	v_div_fmas_f64 v[236:237], v[236:237], v[238:239], v[242:243]
	v_div_fixup_f64 v[236:237], v[236:237], v[234:235], v[232:233]
	v_fmac_f64_e32 v[234:235], v[232:233], v[236:237]
	v_div_scale_f64 v[232:233], s[10:11], v[234:235], v[234:235], 1.0
	v_rcp_f64_e32 v[238:239], v[232:233]
	s_nop 0
	v_fma_f64 v[240:241], -v[232:233], v[238:239], 1.0
	v_fmac_f64_e32 v[238:239], v[238:239], v[240:241]
	v_fma_f64 v[240:241], -v[232:233], v[238:239], 1.0
	v_fmac_f64_e32 v[238:239], v[238:239], v[240:241]
	v_div_scale_f64 v[240:241], vcc, 1.0, v[234:235], 1.0
	v_mul_f64 v[242:243], v[240:241], v[238:239]
	v_fma_f64 v[232:233], -v[232:233], v[242:243], v[240:241]
	s_nop 1
	v_div_fmas_f64 v[232:233], v[232:233], v[238:239], v[242:243]
	v_div_fixup_f64 v[238:239], v[232:233], v[234:235], 1.0
	v_mul_f64 v[236:237], v[236:237], v[238:239]
	v_xor_b32_e32 v239, 0x80000000, v239
                                        ; implicit-def: $vgpr232_vgpr233
.LBB61_248:
	s_andn2_saveexec_b64 s[2:3], s[2:3]
	s_cbranch_execz .LBB61_250
; %bb.249:
	v_div_scale_f64 v[236:237], s[10:11], v[232:233], v[232:233], v[234:235]
	v_rcp_f64_e32 v[238:239], v[236:237]
	v_div_scale_f64 v[240:241], vcc, v[234:235], v[232:233], v[234:235]
	v_fma_f64 v[242:243], -v[236:237], v[238:239], 1.0
	v_fmac_f64_e32 v[238:239], v[238:239], v[242:243]
	v_fma_f64 v[242:243], -v[236:237], v[238:239], 1.0
	v_fmac_f64_e32 v[238:239], v[238:239], v[242:243]
	v_mul_f64 v[242:243], v[240:241], v[238:239]
	v_fma_f64 v[236:237], -v[236:237], v[242:243], v[240:241]
	v_div_fmas_f64 v[236:237], v[236:237], v[238:239], v[242:243]
	v_div_fixup_f64 v[238:239], v[236:237], v[232:233], v[234:235]
	v_fmac_f64_e32 v[232:233], v[234:235], v[238:239]
	v_div_scale_f64 v[234:235], s[10:11], v[232:233], v[232:233], 1.0
	v_rcp_f64_e32 v[236:237], v[234:235]
	s_nop 0
	v_fma_f64 v[240:241], -v[234:235], v[236:237], 1.0
	v_fmac_f64_e32 v[236:237], v[236:237], v[240:241]
	v_fma_f64 v[240:241], -v[234:235], v[236:237], 1.0
	v_fmac_f64_e32 v[236:237], v[236:237], v[240:241]
	v_div_scale_f64 v[240:241], vcc, 1.0, v[232:233], 1.0
	v_mul_f64 v[242:243], v[240:241], v[236:237]
	v_fma_f64 v[234:235], -v[234:235], v[242:243], v[240:241]
	s_nop 1
	v_div_fmas_f64 v[234:235], v[234:235], v[236:237], v[242:243]
	v_div_fixup_f64 v[236:237], v[234:235], v[232:233], 1.0
	v_mul_f64 v[238:239], v[238:239], -v[236:237]
.LBB61_250:
	s_or_b64 exec, exec, s[2:3]
	ds_write2_b64 v255, v[236:237], v[238:239] offset1:1
.LBB61_251:
	s_or_b64 exec, exec, s[4:5]
	s_waitcnt lgkmcnt(0)
	s_barrier
	ds_read2_b64 v[232:235], v255 offset1:1
	v_cmp_lt_u32_e32 vcc, 27, v254
	s_and_saveexec_b64 s[2:3], vcc
	s_cbranch_execz .LBB61_253
; %bb.252:
	ds_read2_b64 v[236:239], v252 offset0:56 offset1:57
	s_waitcnt vmcnt(13) lgkmcnt(1)
	v_mul_f64 v[240:241], v[232:233], v[10:11]
	v_fmac_f64_e32 v[240:241], v[234:235], v[8:9]
	v_mul_f64 v[10:11], v[234:235], v[10:11]
	v_fma_f64 v[8:9], v[232:233], v[8:9], -v[10:11]
	s_waitcnt lgkmcnt(0)
	v_mul_f64 v[10:11], v[238:239], v[240:241]
	v_fma_f64 v[10:11], v[236:237], v[8:9], -v[10:11]
	v_mul_f64 v[236:237], v[236:237], v[240:241]
	v_fmac_f64_e32 v[236:237], v[238:239], v[8:9]
	s_waitcnt vmcnt(12)
	v_add_f64 v[6:7], v[6:7], -v[236:237]
	ds_read2_b64 v[236:239], v252 offset0:58 offset1:59
	v_add_f64 v[4:5], v[4:5], -v[10:11]
	s_waitcnt lgkmcnt(0)
	v_mul_f64 v[10:11], v[238:239], v[240:241]
	v_fma_f64 v[10:11], v[236:237], v[8:9], -v[10:11]
	v_mul_f64 v[236:237], v[236:237], v[240:241]
	v_fmac_f64_e32 v[236:237], v[238:239], v[8:9]
	s_waitcnt vmcnt(11)
	v_add_f64 v[2:3], v[2:3], -v[236:237]
	ds_read2_b64 v[236:239], v252 offset0:60 offset1:61
	v_add_f64 v[0:1], v[0:1], -v[10:11]
	s_waitcnt lgkmcnt(0)
	v_mul_f64 v[10:11], v[238:239], v[240:241]
	v_fma_f64 v[10:11], v[236:237], v[8:9], -v[10:11]
	v_mul_f64 v[236:237], v[236:237], v[240:241]
	v_fmac_f64_e32 v[236:237], v[238:239], v[8:9]
	s_waitcnt vmcnt(10)
	v_add_f64 v[120:121], v[120:121], -v[10:11]
	v_add_f64 v[122:123], v[122:123], -v[236:237]
	v_mov_b64_e32 v[10:11], v[240:241]
.LBB61_253:
	s_or_b64 exec, exec, s[2:3]
	v_cmp_eq_u32_e32 vcc, 28, v254
	s_waitcnt lgkmcnt(0)
	s_barrier
	s_and_saveexec_b64 s[4:5], vcc
	s_cbranch_execz .LBB61_260
; %bb.254:
	s_waitcnt vmcnt(12)
	ds_write2_b64 v255, v[4:5], v[6:7] offset1:1
	s_waitcnt vmcnt(11)
	ds_write2_b64 v252, v[0:1], v[2:3] offset0:58 offset1:59
	s_waitcnt vmcnt(10)
	ds_write2_b64 v252, v[120:121], v[122:123] offset0:60 offset1:61
	ds_read2_b64 v[236:239], v255 offset1:1
	s_waitcnt lgkmcnt(0)
	v_cmp_neq_f64_e32 vcc, 0, v[236:237]
	v_cmp_neq_f64_e64 s[2:3], 0, v[238:239]
	s_or_b64 s[2:3], vcc, s[2:3]
	s_and_b64 exec, exec, s[2:3]
	s_cbranch_execz .LBB61_260
; %bb.255:
	v_cmp_ngt_f64_e64 s[2:3], |v[236:237]|, |v[238:239]|
                                        ; implicit-def: $vgpr240_vgpr241
	s_and_saveexec_b64 s[10:11], s[2:3]
	s_xor_b64 s[2:3], exec, s[10:11]
                                        ; implicit-def: $vgpr242_vgpr243
	s_cbranch_execz .LBB61_257
; %bb.256:
	v_div_scale_f64 v[240:241], s[10:11], v[238:239], v[238:239], v[236:237]
	v_rcp_f64_e32 v[242:243], v[240:241]
	v_div_scale_f64 v[244:245], vcc, v[236:237], v[238:239], v[236:237]
	v_fma_f64 v[246:247], -v[240:241], v[242:243], 1.0
	v_fmac_f64_e32 v[242:243], v[242:243], v[246:247]
	v_fma_f64 v[246:247], -v[240:241], v[242:243], 1.0
	v_fmac_f64_e32 v[242:243], v[242:243], v[246:247]
	v_mul_f64 v[246:247], v[244:245], v[242:243]
	v_fma_f64 v[240:241], -v[240:241], v[246:247], v[244:245]
	v_div_fmas_f64 v[240:241], v[240:241], v[242:243], v[246:247]
	v_div_fixup_f64 v[240:241], v[240:241], v[238:239], v[236:237]
	v_fmac_f64_e32 v[238:239], v[236:237], v[240:241]
	v_div_scale_f64 v[236:237], s[10:11], v[238:239], v[238:239], 1.0
	v_rcp_f64_e32 v[242:243], v[236:237]
	s_nop 0
	v_fma_f64 v[244:245], -v[236:237], v[242:243], 1.0
	v_fmac_f64_e32 v[242:243], v[242:243], v[244:245]
	v_fma_f64 v[244:245], -v[236:237], v[242:243], 1.0
	v_fmac_f64_e32 v[242:243], v[242:243], v[244:245]
	v_div_scale_f64 v[244:245], vcc, 1.0, v[238:239], 1.0
	v_mul_f64 v[246:247], v[244:245], v[242:243]
	v_fma_f64 v[236:237], -v[236:237], v[246:247], v[244:245]
	s_nop 1
	v_div_fmas_f64 v[236:237], v[236:237], v[242:243], v[246:247]
	v_div_fixup_f64 v[242:243], v[236:237], v[238:239], 1.0
	v_mul_f64 v[240:241], v[240:241], v[242:243]
	v_xor_b32_e32 v243, 0x80000000, v243
                                        ; implicit-def: $vgpr236_vgpr237
.LBB61_257:
	s_andn2_saveexec_b64 s[2:3], s[2:3]
	s_cbranch_execz .LBB61_259
; %bb.258:
	v_div_scale_f64 v[240:241], s[10:11], v[236:237], v[236:237], v[238:239]
	v_rcp_f64_e32 v[242:243], v[240:241]
	v_div_scale_f64 v[244:245], vcc, v[238:239], v[236:237], v[238:239]
	v_fma_f64 v[246:247], -v[240:241], v[242:243], 1.0
	v_fmac_f64_e32 v[242:243], v[242:243], v[246:247]
	v_fma_f64 v[246:247], -v[240:241], v[242:243], 1.0
	v_fmac_f64_e32 v[242:243], v[242:243], v[246:247]
	v_mul_f64 v[246:247], v[244:245], v[242:243]
	v_fma_f64 v[240:241], -v[240:241], v[246:247], v[244:245]
	v_div_fmas_f64 v[240:241], v[240:241], v[242:243], v[246:247]
	v_div_fixup_f64 v[242:243], v[240:241], v[236:237], v[238:239]
	v_fmac_f64_e32 v[236:237], v[238:239], v[242:243]
	v_div_scale_f64 v[238:239], s[10:11], v[236:237], v[236:237], 1.0
	v_rcp_f64_e32 v[240:241], v[238:239]
	s_nop 0
	v_fma_f64 v[244:245], -v[238:239], v[240:241], 1.0
	v_fmac_f64_e32 v[240:241], v[240:241], v[244:245]
	v_fma_f64 v[244:245], -v[238:239], v[240:241], 1.0
	v_fmac_f64_e32 v[240:241], v[240:241], v[244:245]
	v_div_scale_f64 v[244:245], vcc, 1.0, v[236:237], 1.0
	v_mul_f64 v[246:247], v[244:245], v[240:241]
	v_fma_f64 v[238:239], -v[238:239], v[246:247], v[244:245]
	s_nop 1
	v_div_fmas_f64 v[238:239], v[238:239], v[240:241], v[246:247]
	v_div_fixup_f64 v[240:241], v[238:239], v[236:237], 1.0
	v_mul_f64 v[242:243], v[242:243], -v[240:241]
.LBB61_259:
	s_or_b64 exec, exec, s[2:3]
	ds_write2_b64 v255, v[240:241], v[242:243] offset1:1
.LBB61_260:
	s_or_b64 exec, exec, s[4:5]
	s_waitcnt lgkmcnt(0)
	s_barrier
	ds_read2_b64 v[236:239], v255 offset1:1
	v_cmp_lt_u32_e32 vcc, 28, v254
	s_and_saveexec_b64 s[2:3], vcc
	s_cbranch_execz .LBB61_262
; %bb.261:
	ds_read2_b64 v[240:243], v252 offset0:58 offset1:59
	s_waitcnt vmcnt(12) lgkmcnt(1)
	v_mul_f64 v[244:245], v[236:237], v[6:7]
	v_fmac_f64_e32 v[244:245], v[238:239], v[4:5]
	v_mul_f64 v[6:7], v[238:239], v[6:7]
	v_fma_f64 v[4:5], v[236:237], v[4:5], -v[6:7]
	s_waitcnt lgkmcnt(0)
	v_mul_f64 v[6:7], v[242:243], v[244:245]
	v_fma_f64 v[6:7], v[240:241], v[4:5], -v[6:7]
	v_mul_f64 v[240:241], v[240:241], v[244:245]
	v_fmac_f64_e32 v[240:241], v[242:243], v[4:5]
	s_waitcnt vmcnt(11)
	v_add_f64 v[2:3], v[2:3], -v[240:241]
	ds_read2_b64 v[240:243], v252 offset0:60 offset1:61
	v_add_f64 v[0:1], v[0:1], -v[6:7]
	s_waitcnt lgkmcnt(0)
	v_mul_f64 v[6:7], v[242:243], v[244:245]
	v_fma_f64 v[6:7], v[240:241], v[4:5], -v[6:7]
	v_mul_f64 v[240:241], v[240:241], v[244:245]
	v_fmac_f64_e32 v[240:241], v[242:243], v[4:5]
	s_waitcnt vmcnt(10)
	v_add_f64 v[120:121], v[120:121], -v[6:7]
	v_add_f64 v[122:123], v[122:123], -v[240:241]
	v_mov_b64_e32 v[6:7], v[244:245]
.LBB61_262:
	s_or_b64 exec, exec, s[2:3]
	v_cmp_eq_u32_e32 vcc, 29, v254
	s_waitcnt lgkmcnt(0)
	s_barrier
	s_and_saveexec_b64 s[4:5], vcc
	s_cbranch_execz .LBB61_269
; %bb.263:
	s_waitcnt vmcnt(11)
	ds_write2_b64 v255, v[0:1], v[2:3] offset1:1
	s_waitcnt vmcnt(10)
	ds_write2_b64 v252, v[120:121], v[122:123] offset0:60 offset1:61
	ds_read2_b64 v[240:243], v255 offset1:1
	s_waitcnt lgkmcnt(0)
	v_cmp_neq_f64_e32 vcc, 0, v[240:241]
	v_cmp_neq_f64_e64 s[2:3], 0, v[242:243]
	s_or_b64 s[2:3], vcc, s[2:3]
	s_and_b64 exec, exec, s[2:3]
	s_cbranch_execz .LBB61_269
; %bb.264:
	v_cmp_ngt_f64_e64 s[2:3], |v[240:241]|, |v[242:243]|
                                        ; implicit-def: $vgpr244_vgpr245
	s_and_saveexec_b64 s[10:11], s[2:3]
	s_xor_b64 s[2:3], exec, s[10:11]
                                        ; implicit-def: $vgpr246_vgpr247
	s_cbranch_execz .LBB61_266
; %bb.265:
	scratch_store_dwordx4 off, v[32:35], off offset:272 ; 16-byte Folded Spill
	v_div_scale_f64 v[244:245], s[10:11], v[242:243], v[242:243], v[240:241]
	s_nop 0
	v_mov_b64_e32 v[32:33], v[36:37]
	v_mov_b64_e32 v[34:35], v[38:39]
	;; [unrolled: 1-line block ×79, first 2 shown]
	v_rcp_f64_e32 v[246:247], v[244:245]
	v_mov_b64_e32 v[158:159], v[156:157]
	v_mov_b64_e32 v[156:157], v[154:155]
	;; [unrolled: 1-line block ×10, first 2 shown]
	v_fma_f64 v[124:125], -v[244:245], v[246:247], 1.0
	v_mov_b64_e32 v[138:139], v[136:137]
	v_mov_b64_e32 v[136:137], v[134:135]
	v_fmac_f64_e32 v[246:247], v[246:247], v[124:125]
	v_mov_b64_e32 v[134:135], v[132:133]
	v_mov_b64_e32 v[132:133], v[130:131]
	v_fma_f64 v[124:125], -v[244:245], v[246:247], 1.0
	v_mov_b64_e32 v[130:131], v[128:129]
	v_mov_b64_e32 v[128:129], v[248:249]
	v_div_scale_f64 v[248:249], vcc, v[240:241], v[242:243], v[240:241]
	v_fmac_f64_e32 v[246:247], v[246:247], v[124:125]
	v_mul_f64 v[124:125], v[248:249], v[246:247]
	v_fma_f64 v[126:127], -v[244:245], v[124:125], v[248:249]
	v_mov_b64_e32 v[248:249], v[128:129]
	v_mov_b64_e32 v[128:129], v[130:131]
	;; [unrolled: 1-line block ×95, first 2 shown]
	scratch_load_dwordx4 v[32:35], off, off offset:272 ; 16-byte Folded Reload
	v_div_fmas_f64 v[124:125], v[126:127], v[246:247], v[124:125]
	v_div_fixup_f64 v[124:125], v[124:125], v[242:243], v[240:241]
	v_fmac_f64_e32 v[242:243], v[240:241], v[124:125]
	v_div_scale_f64 v[126:127], s[10:11], v[242:243], v[242:243], 1.0
	v_rcp_f64_e32 v[240:241], v[126:127]
	s_nop 0
	v_fma_f64 v[244:245], -v[126:127], v[240:241], 1.0
	v_fmac_f64_e32 v[240:241], v[240:241], v[244:245]
	v_fma_f64 v[244:245], -v[126:127], v[240:241], 1.0
	v_fmac_f64_e32 v[240:241], v[240:241], v[244:245]
	v_div_scale_f64 v[244:245], vcc, 1.0, v[242:243], 1.0
	v_mul_f64 v[246:247], v[244:245], v[240:241]
	v_fma_f64 v[126:127], -v[126:127], v[246:247], v[244:245]
	s_nop 1
	v_div_fmas_f64 v[126:127], v[126:127], v[240:241], v[246:247]
	v_div_fixup_f64 v[246:247], v[126:127], v[242:243], 1.0
	v_mul_f64 v[244:245], v[124:125], v[246:247]
	v_xor_b32_e32 v247, 0x80000000, v247
                                        ; implicit-def: $vgpr240_vgpr241
.LBB61_266:
	s_andn2_saveexec_b64 s[2:3], s[2:3]
	s_cbranch_execz .LBB61_268
; %bb.267:
	v_div_scale_f64 v[124:125], s[10:11], v[240:241], v[240:241], v[242:243]
	v_rcp_f64_e32 v[126:127], v[124:125]
	v_div_scale_f64 v[244:245], vcc, v[242:243], v[240:241], v[242:243]
	v_fma_f64 v[246:247], -v[124:125], v[126:127], 1.0
	v_fmac_f64_e32 v[126:127], v[126:127], v[246:247]
	v_fma_f64 v[246:247], -v[124:125], v[126:127], 1.0
	v_fmac_f64_e32 v[126:127], v[126:127], v[246:247]
	v_mul_f64 v[246:247], v[244:245], v[126:127]
	v_fma_f64 v[124:125], -v[124:125], v[246:247], v[244:245]
	v_div_fmas_f64 v[124:125], v[124:125], v[126:127], v[246:247]
	v_div_fixup_f64 v[124:125], v[124:125], v[240:241], v[242:243]
	v_fmac_f64_e32 v[240:241], v[242:243], v[124:125]
	v_div_scale_f64 v[126:127], s[10:11], v[240:241], v[240:241], 1.0
	v_rcp_f64_e32 v[242:243], v[126:127]
	s_nop 0
	v_fma_f64 v[244:245], -v[126:127], v[242:243], 1.0
	v_fmac_f64_e32 v[242:243], v[242:243], v[244:245]
	v_fma_f64 v[244:245], -v[126:127], v[242:243], 1.0
	v_fmac_f64_e32 v[242:243], v[242:243], v[244:245]
	v_div_scale_f64 v[244:245], vcc, 1.0, v[240:241], 1.0
	v_mul_f64 v[246:247], v[244:245], v[242:243]
	v_fma_f64 v[126:127], -v[126:127], v[246:247], v[244:245]
	s_nop 1
	v_div_fmas_f64 v[126:127], v[126:127], v[242:243], v[246:247]
	v_div_fixup_f64 v[244:245], v[126:127], v[240:241], 1.0
	v_mul_f64 v[246:247], v[124:125], -v[244:245]
.LBB61_268:
	s_or_b64 exec, exec, s[2:3]
	ds_write2_b64 v255, v[244:245], v[246:247] offset1:1
.LBB61_269:
	s_or_b64 exec, exec, s[4:5]
	s_waitcnt lgkmcnt(0)
	s_barrier
	ds_read2_b64 v[240:243], v255 offset1:1
	v_cmp_lt_u32_e32 vcc, 29, v254
	s_and_saveexec_b64 s[2:3], vcc
	s_cbranch_execz .LBB61_271
; %bb.270:
	ds_read2_b64 v[244:247], v252 offset0:60 offset1:61
	s_waitcnt vmcnt(11) lgkmcnt(1)
	v_mul_f64 v[124:125], v[240:241], v[2:3]
	v_mul_f64 v[2:3], v[242:243], v[2:3]
	v_fmac_f64_e32 v[124:125], v[242:243], v[0:1]
	v_fma_f64 v[0:1], v[240:241], v[0:1], -v[2:3]
	s_waitcnt lgkmcnt(0)
	v_mul_f64 v[2:3], v[246:247], v[124:125]
	v_mul_f64 v[126:127], v[244:245], v[124:125]
	v_fma_f64 v[2:3], v[244:245], v[0:1], -v[2:3]
	v_fmac_f64_e32 v[126:127], v[246:247], v[0:1]
	s_waitcnt vmcnt(10)
	v_add_f64 v[120:121], v[120:121], -v[2:3]
	v_add_f64 v[122:123], v[122:123], -v[126:127]
	v_mov_b64_e32 v[2:3], v[124:125]
.LBB61_271:
	s_or_b64 exec, exec, s[2:3]
	v_cmp_eq_u32_e32 vcc, 30, v254
	s_waitcnt lgkmcnt(0)
	s_barrier
	s_and_saveexec_b64 s[4:5], vcc
	s_cbranch_execz .LBB61_278
; %bb.272:
	s_waitcnt vmcnt(10)
	v_cmp_neq_f64_e32 vcc, 0, v[120:121]
	v_cmp_neq_f64_e64 s[2:3], 0, v[122:123]
	s_or_b64 s[2:3], vcc, s[2:3]
	ds_write2_b64 v255, v[120:121], v[122:123] offset1:1
	s_and_b64 exec, exec, s[2:3]
	s_cbranch_execz .LBB61_278
; %bb.273:
	v_cmp_ngt_f64_e64 s[2:3], |v[120:121]|, |v[122:123]|
                                        ; implicit-def: $vgpr244_vgpr245
	s_mov_b64 s[10:11], exec
	s_and_b64 s[12:13], s[10:11], s[2:3]
	s_xor_b64 s[2:3], s[12:13], s[10:11]
                                        ; implicit-def: $vgpr246_vgpr247
	scratch_store_dwordx4 off, v[28:31], off offset:256 ; 16-byte Folded Spill
	s_mov_b64 exec, s[12:13]
	s_cbranch_execz .LBB61_275
; %bb.274:
	s_waitcnt vmcnt(1)
	v_mov_b64_e32 v[28:29], v[32:33]
	v_mov_b64_e32 v[30:31], v[34:35]
	;; [unrolled: 1-line block ×57, first 2 shown]
	v_div_scale_f64 v[124:125], s[10:11], v[122:123], v[122:123], v[120:121]
	v_mov_b64_e32 v[206:207], v[204:205]
	v_mov_b64_e32 v[204:205], v[202:203]
	v_rcp_f64_e32 v[126:127], v[124:125]
	v_mov_b64_e32 v[202:203], v[200:201]
	v_mov_b64_e32 v[200:201], v[198:199]
	;; [unrolled: 1-line block ×8, first 2 shown]
	v_fma_f64 v[246:247], -v[124:125], v[126:127], 1.0
	v_mov_b64_e32 v[186:187], v[184:185]
	v_mov_b64_e32 v[184:185], v[182:183]
	v_fmac_f64_e32 v[126:127], v[126:127], v[246:247]
	v_mov_b64_e32 v[182:183], v[180:181]
	v_mov_b64_e32 v[180:181], v[178:179]
	v_fma_f64 v[246:247], -v[124:125], v[126:127], 1.0
	v_mov_b64_e32 v[178:179], v[176:177]
	v_mov_b64_e32 v[176:177], v[174:175]
	v_div_scale_f64 v[244:245], vcc, v[120:121], v[122:123], v[120:121]
	v_fmac_f64_e32 v[126:127], v[126:127], v[246:247]
	v_mov_b64_e32 v[174:175], v[172:173]
	v_mov_b64_e32 v[172:173], v[170:171]
	v_mul_f64 v[246:247], v[244:245], v[126:127]
	v_mov_b64_e32 v[170:171], v[168:169]
	v_mov_b64_e32 v[168:169], v[166:167]
	v_fma_f64 v[124:125], -v[124:125], v[246:247], v[244:245]
	v_mov_b64_e32 v[166:167], v[164:165]
	v_mov_b64_e32 v[164:165], v[162:163]
	v_div_fmas_f64 v[124:125], v[124:125], v[126:127], v[246:247]
	v_mov_b64_e32 v[162:163], v[160:161]
	v_mov_b64_e32 v[160:161], v[158:159]
	v_div_fixup_f64 v[124:125], v[124:125], v[122:123], v[120:121]
	v_mov_b64_e32 v[158:159], v[156:157]
	v_mov_b64_e32 v[156:157], v[154:155]
	v_fma_f64 v[126:127], v[120:121], v[124:125], v[122:123]
	v_mov_b64_e32 v[154:155], v[152:153]
	v_mov_b64_e32 v[152:153], v[150:151]
	v_div_scale_f64 v[244:245], s[10:11], v[126:127], v[126:127], 1.0
	v_mov_b64_e32 v[150:151], v[148:149]
	v_mov_b64_e32 v[148:149], v[146:147]
	v_rcp_f64_e32 v[246:247], v[244:245]
	v_mov_b64_e32 v[146:147], v[144:145]
	v_mov_b64_e32 v[144:145], v[142:143]
	;; [unrolled: 1-line block ×10, first 2 shown]
	v_fma_f64 v[248:249], -v[244:245], v[246:247], 1.0
	v_fmac_f64_e32 v[246:247], v[246:247], v[248:249]
	v_fma_f64 v[248:249], -v[244:245], v[246:247], 1.0
	v_fmac_f64_e32 v[246:247], v[246:247], v[248:249]
	v_div_scale_f64 v[248:249], vcc, 1.0, v[126:127], 1.0
	v_mul_f64 v[252:253], v[248:249], v[246:247]
	v_fma_f64 v[244:245], -v[244:245], v[252:253], v[248:249]
	v_mov_b64_e32 v[248:249], v[128:129]
	v_mov_b64_e32 v[128:129], v[130:131]
	;; [unrolled: 1-line block ×97, first 2 shown]
	scratch_load_dwordx4 v[28:31], off, off offset:256 ; 16-byte Folded Reload
	v_div_fmas_f64 v[244:245], v[244:245], v[246:247], v[252:253]
	v_div_fixup_f64 v[246:247], v[244:245], v[126:127], 1.0
	v_mul_f64 v[244:245], v[124:125], v[246:247]
	v_xor_b32_e32 v247, 0x80000000, v247
.LBB61_275:
	s_andn2_saveexec_b64 s[2:3], s[2:3]
	s_cbranch_execz .LBB61_277
; %bb.276:
	s_waitcnt vmcnt(0)
	v_mov_b64_e32 v[28:29], v[32:33]
	v_mov_b64_e32 v[30:31], v[34:35]
	;; [unrolled: 1-line block ×57, first 2 shown]
	v_div_scale_f64 v[124:125], s[10:11], v[120:121], v[120:121], v[122:123]
	v_mov_b64_e32 v[206:207], v[204:205]
	v_mov_b64_e32 v[204:205], v[202:203]
	v_rcp_f64_e32 v[126:127], v[124:125]
	v_mov_b64_e32 v[202:203], v[200:201]
	v_mov_b64_e32 v[200:201], v[198:199]
	;; [unrolled: 1-line block ×8, first 2 shown]
	v_fma_f64 v[246:247], -v[124:125], v[126:127], 1.0
	v_mov_b64_e32 v[186:187], v[184:185]
	v_mov_b64_e32 v[184:185], v[182:183]
	v_fmac_f64_e32 v[126:127], v[126:127], v[246:247]
	v_mov_b64_e32 v[182:183], v[180:181]
	v_mov_b64_e32 v[180:181], v[178:179]
	v_fma_f64 v[246:247], -v[124:125], v[126:127], 1.0
	v_mov_b64_e32 v[178:179], v[176:177]
	v_mov_b64_e32 v[176:177], v[174:175]
	v_div_scale_f64 v[244:245], vcc, v[122:123], v[120:121], v[122:123]
	v_fmac_f64_e32 v[126:127], v[126:127], v[246:247]
	v_mov_b64_e32 v[174:175], v[172:173]
	v_mov_b64_e32 v[172:173], v[170:171]
	v_mul_f64 v[246:247], v[244:245], v[126:127]
	v_mov_b64_e32 v[170:171], v[168:169]
	v_mov_b64_e32 v[168:169], v[166:167]
	v_fma_f64 v[124:125], -v[124:125], v[246:247], v[244:245]
	v_mov_b64_e32 v[166:167], v[164:165]
	v_mov_b64_e32 v[164:165], v[162:163]
	v_div_fmas_f64 v[124:125], v[124:125], v[126:127], v[246:247]
	v_mov_b64_e32 v[162:163], v[160:161]
	v_mov_b64_e32 v[160:161], v[158:159]
	v_div_fixup_f64 v[124:125], v[124:125], v[120:121], v[122:123]
	v_mov_b64_e32 v[158:159], v[156:157]
	v_mov_b64_e32 v[156:157], v[154:155]
	v_fma_f64 v[126:127], v[122:123], v[124:125], v[120:121]
	v_mov_b64_e32 v[154:155], v[152:153]
	v_mov_b64_e32 v[152:153], v[150:151]
	v_div_scale_f64 v[244:245], s[10:11], v[126:127], v[126:127], 1.0
	v_mov_b64_e32 v[150:151], v[148:149]
	v_mov_b64_e32 v[148:149], v[146:147]
	v_rcp_f64_e32 v[246:247], v[244:245]
	v_mov_b64_e32 v[146:147], v[144:145]
	v_mov_b64_e32 v[144:145], v[142:143]
	;; [unrolled: 1-line block ×10, first 2 shown]
	v_fma_f64 v[248:249], -v[244:245], v[246:247], 1.0
	v_fmac_f64_e32 v[246:247], v[246:247], v[248:249]
	v_fma_f64 v[248:249], -v[244:245], v[246:247], 1.0
	v_fmac_f64_e32 v[246:247], v[246:247], v[248:249]
	v_div_scale_f64 v[248:249], vcc, 1.0, v[126:127], 1.0
	v_mul_f64 v[252:253], v[248:249], v[246:247]
	v_fma_f64 v[244:245], -v[244:245], v[252:253], v[248:249]
	v_mov_b64_e32 v[248:249], v[128:129]
	v_mov_b64_e32 v[128:129], v[130:131]
	v_mov_b64_e32 v[130:131], v[132:133]
	v_mov_b64_e32 v[132:133], v[134:135]
	v_mov_b64_e32 v[134:135], v[136:137]
	v_mov_b64_e32 v[136:137], v[138:139]
	v_mov_b64_e32 v[138:139], v[140:141]
	v_mov_b64_e32 v[140:141], v[142:143]
	v_mov_b64_e32 v[142:143], v[144:145]
	v_mov_b64_e32 v[144:145], v[146:147]
	v_mov_b64_e32 v[146:147], v[148:149]
	v_mov_b64_e32 v[148:149], v[150:151]
	v_mov_b64_e32 v[150:151], v[152:153]
	v_mov_b64_e32 v[152:153], v[154:155]
	v_mov_b64_e32 v[154:155], v[156:157]
	v_mov_b64_e32 v[156:157], v[158:159]
	v_mov_b64_e32 v[158:159], v[160:161]
	v_mov_b64_e32 v[160:161], v[162:163]
	v_mov_b64_e32 v[162:163], v[164:165]
	v_mov_b64_e32 v[164:165], v[166:167]
	v_mov_b64_e32 v[166:167], v[168:169]
	v_mov_b64_e32 v[168:169], v[170:171]
	v_mov_b64_e32 v[170:171], v[172:173]
	v_mov_b64_e32 v[172:173], v[174:175]
	v_mov_b64_e32 v[174:175], v[176:177]
	v_mov_b64_e32 v[176:177], v[178:179]
	v_mov_b64_e32 v[178:179], v[180:181]
	v_mov_b64_e32 v[180:181], v[182:183]
	v_mov_b64_e32 v[182:183], v[184:185]
	v_mov_b64_e32 v[184:185], v[186:187]
	v_mov_b64_e32 v[186:187], v[188:189]
	v_mov_b64_e32 v[188:189], v[190:191]
	v_mov_b64_e32 v[190:191], v[192:193]
	v_mov_b64_e32 v[192:193], v[194:195]
	v_mov_b64_e32 v[194:195], v[196:197]
	v_mov_b64_e32 v[196:197], v[198:199]
	v_mov_b64_e32 v[198:199], v[200:201]
	v_mov_b64_e32 v[200:201], v[202:203]
	v_mov_b64_e32 v[202:203], v[204:205]
	v_mov_b64_e32 v[204:205], v[206:207]
	v_mov_b64_e32 v[206:207], v[208:209]
	v_mov_b64_e32 v[208:209], v[210:211]
	v_mov_b64_e32 v[210:211], v[212:213]
	v_mov_b64_e32 v[212:213], v[214:215]
	v_mov_b64_e32 v[214:215], v[216:217]
	v_mov_b64_e32 v[218:219], v[118:119]
	v_mov_b64_e32 v[216:217], v[116:117]
	v_mov_b64_e32 v[118:119], v[114:115]
	v_mov_b64_e32 v[116:117], v[112:113]
	v_mov_b64_e32 v[112:113], v[220:221]
	v_mov_b64_e32 v[114:115], v[222:223]
	v_mov_b64_e32 v[222:223], v[110:111]
	v_mov_b64_e32 v[220:221], v[108:109]
	v_mov_b64_e32 v[110:111], v[106:107]
	v_mov_b64_e32 v[108:109], v[104:105]
	v_mov_b64_e32 v[106:107], v[102:103]
	v_mov_b64_e32 v[104:105], v[100:101]
	v_mov_b64_e32 v[102:103], v[98:99]
	v_mov_b64_e32 v[100:101], v[96:97]
	v_mov_b64_e32 v[98:99], v[94:95]
	v_mov_b64_e32 v[96:97], v[92:93]
	v_mov_b64_e32 v[94:95], v[90:91]
	v_mov_b64_e32 v[92:93], v[88:89]
	v_mov_b64_e32 v[88:89], v[224:225]
	v_mov_b64_e32 v[90:91], v[226:227]
	v_mov_b64_e32 v[226:227], v[86:87]
	v_mov_b64_e32 v[224:225], v[84:85]
	v_mov_b64_e32 v[86:87], v[82:83]
	v_mov_b64_e32 v[84:85], v[80:81]
	v_mov_b64_e32 v[82:83], v[78:79]
	v_mov_b64_e32 v[80:81], v[76:77]
	v_mov_b64_e32 v[78:79], v[74:75]
	v_mov_b64_e32 v[76:77], v[72:73]
	v_mov_b64_e32 v[74:75], v[70:71]
	v_mov_b64_e32 v[72:73], v[68:69]
	v_mov_b64_e32 v[70:71], v[66:67]
	v_mov_b64_e32 v[68:69], v[64:65]
	v_mov_b64_e32 v[66:67], v[62:63]
	v_mov_b64_e32 v[64:65], v[60:61]
	v_mov_b64_e32 v[62:63], v[58:59]
	v_mov_b64_e32 v[60:61], v[56:57]
	v_mov_b64_e32 v[58:59], v[54:55]
	v_mov_b64_e32 v[56:57], v[52:53]
	v_mov_b64_e32 v[54:55], v[50:51]
	v_mov_b64_e32 v[52:53], v[48:49]
	v_mov_b64_e32 v[48:49], v[228:229]
	v_mov_b64_e32 v[50:51], v[230:231]
	v_mov_b64_e32 v[230:231], v[46:47]
	v_mov_b64_e32 v[228:229], v[44:45]
	v_mov_b64_e32 v[46:47], v[42:43]
	v_mov_b64_e32 v[44:45], v[40:41]
	v_mov_b64_e32 v[42:43], v[38:39]
	v_mov_b64_e32 v[40:41], v[36:37]
	v_mov_b64_e32 v[38:39], v[34:35]
	v_mov_b64_e32 v[36:37], v[32:33]
	v_mov_b64_e32 v[34:35], v[30:31]
	v_mov_b64_e32 v[32:33], v[28:29]
	scratch_load_dwordx4 v[28:31], off, off offset:256 ; 16-byte Folded Reload
	v_div_fmas_f64 v[244:245], v[244:245], v[246:247], v[252:253]
	v_div_fixup_f64 v[244:245], v[244:245], v[126:127], 1.0
	v_mul_f64 v[246:247], v[124:125], -v[244:245]
.LBB61_277:
	s_or_b64 exec, exec, s[2:3]
	ds_write2_b64 v255, v[244:245], v[246:247] offset1:1
.LBB61_278:
	s_or_b64 exec, exec, s[4:5]
	s_waitcnt lgkmcnt(0)
	s_barrier
	ds_read2_b64 v[244:247], v255 offset1:1
	s_waitcnt lgkmcnt(0)
	s_barrier
	s_and_saveexec_b64 s[2:3], s[0:1]
	s_cbranch_execz .LBB61_281
; %bb.279:
	scratch_load_dwordx4 v[124:127], off, off offset:240 ; 16-byte Folded Reload
	s_waitcnt vmcnt(0)
	v_cmp_eq_f64_e32 vcc, 0, v[124:125]
	v_cmp_eq_f64_e64 s[0:1], 0, v[126:127]
	s_and_b64 s[4:5], vcc, s[0:1]
	v_cmp_neq_f64_e32 vcc, 0, v[128:129]
	v_cmp_neq_f64_e64 s[0:1], 0, v[130:131]
	s_or_b64 s[0:1], vcc, s[0:1]
	v_cndmask_b32_e64 v124, 0, 1, s[4:5]
	s_or_b64 vcc, s[0:1], s[4:5]
	v_cndmask_b32_e32 v124, 2, v124, vcc
	v_cmp_eq_f64_e32 vcc, 0, v[132:133]
	v_cmp_eq_f64_e64 s[0:1], 0, v[134:135]
	s_and_b64 s[0:1], vcc, s[0:1]
	v_cmp_eq_u32_e32 vcc, 0, v124
	s_and_b64 s[0:1], s[0:1], vcc
	v_cndmask_b32_e64 v124, v124, 3, s[0:1]
	v_cmp_eq_f64_e32 vcc, 0, v[136:137]
	v_cmp_eq_f64_e64 s[0:1], 0, v[138:139]
	s_and_b64 s[0:1], vcc, s[0:1]
	v_cmp_eq_u32_e32 vcc, 0, v124
	s_and_b64 s[0:1], s[0:1], vcc
	v_cndmask_b32_e64 v124, v124, 4, s[0:1]
	;; [unrolled: 6-line block ×15, first 2 shown]
	v_mov_b32_e32 v124, s6
	v_mov_b32_e32 v125, s7
	v_lshl_add_u64 v[124:125], v[250:251], 2, v[124:125]
	global_load_dword v127, v[124:125], off
	v_cmp_eq_f64_e32 vcc, 0, v[192:193]
	v_cmp_eq_f64_e64 s[0:1], 0, v[194:195]
	s_and_b64 s[0:1], vcc, s[0:1]
	v_cmp_eq_u32_e32 vcc, 0, v126
	s_and_b64 s[0:1], s[0:1], vcc
	v_cndmask_b32_e64 v126, v126, 18, s[0:1]
	v_cmp_eq_f64_e32 vcc, 0, v[196:197]
	v_cmp_eq_f64_e64 s[0:1], 0, v[198:199]
	s_and_b64 s[0:1], vcc, s[0:1]
	v_cmp_eq_u32_e32 vcc, 0, v126
	s_and_b64 s[0:1], s[0:1], vcc
	v_cndmask_b32_e64 v126, v126, 19, s[0:1]
	;; [unrolled: 6-line block ×14, first 2 shown]
	s_waitcnt vmcnt(0)
	v_cmp_eq_u32_e32 vcc, 0, v127
	v_cmp_ne_u32_e64 s[0:1], 0, v126
	s_and_b64 s[0:1], vcc, s[0:1]
	s_and_b64 exec, exec, s[0:1]
	s_cbranch_execz .LBB61_281
; %bb.280:
	v_add_u32_e32 v126, s9, v126
	global_store_dword v[124:125], v126, off
.LBB61_281:
	s_or_b64 exec, exec, s[2:3]
	s_waitcnt vmcnt(61)
	global_store_dwordx4 v[248:249], v[116:119], off
	scratch_load_dwordx2 v[116:117], off, off offset:232 ; 8-byte Folded Reload
	s_waitcnt vmcnt(12)
	v_mul_f64 v[124:125], v[246:247], v[122:123]
	v_mul_f64 v[126:127], v[244:245], v[122:123]
	v_fma_f64 v[124:125], v[244:245], v[120:121], -v[124:125]
	v_fmac_f64_e32 v[126:127], v[246:247], v[120:121]
	v_cmp_lt_u32_e32 vcc, 30, v254
	s_waitcnt vmcnt(0)
	global_store_dwordx4 v[116:117], v[112:115], off
	scratch_load_dwordx2 v[112:113], off, off ; 8-byte Folded Reload
	v_cndmask_b32_e32 v123, v123, v127, vcc
	v_cndmask_b32_e32 v122, v122, v126, vcc
	;; [unrolled: 1-line block ×4, first 2 shown]
	s_waitcnt vmcnt(0)
	global_store_dwordx4 v[112:113], v[108:111], off
	scratch_load_dwordx2 v[108:109], off, off offset:8 ; 8-byte Folded Reload
	s_waitcnt vmcnt(0)
	global_store_dwordx4 v[108:109], v[104:107], off
	scratch_load_dwordx2 v[104:105], off, off offset:16 ; 8-byte Folded Reload
	;; [unrolled: 3-line block ×28, first 2 shown]
	s_waitcnt vmcnt(0)
	global_store_dwordx4 v[0:1], v[120:123], off
.LBB61_282:
	s_endpgm
	.section	.rodata,"a",@progbits
	.p2align	6, 0x0
	.amdhsa_kernel _ZN9rocsolver6v33100L23getf2_npvt_small_kernelILi31E19rocblas_complex_numIdEiiPS3_EEvT1_T3_lS5_lPT2_S5_S5_
		.amdhsa_group_segment_fixed_size 0
		.amdhsa_private_segment_fixed_size 292
		.amdhsa_kernarg_size 312
		.amdhsa_user_sgpr_count 2
		.amdhsa_user_sgpr_dispatch_ptr 0
		.amdhsa_user_sgpr_queue_ptr 0
		.amdhsa_user_sgpr_kernarg_segment_ptr 1
		.amdhsa_user_sgpr_dispatch_id 0
		.amdhsa_user_sgpr_kernarg_preload_length 0
		.amdhsa_user_sgpr_kernarg_preload_offset 0
		.amdhsa_user_sgpr_private_segment_size 0
		.amdhsa_uses_dynamic_stack 0
		.amdhsa_enable_private_segment 1
		.amdhsa_system_sgpr_workgroup_id_x 1
		.amdhsa_system_sgpr_workgroup_id_y 1
		.amdhsa_system_sgpr_workgroup_id_z 0
		.amdhsa_system_sgpr_workgroup_info 0
		.amdhsa_system_vgpr_workitem_id 1
		.amdhsa_next_free_vgpr 256
		.amdhsa_next_free_sgpr 16
		.amdhsa_accum_offset 256
		.amdhsa_reserve_vcc 1
		.amdhsa_float_round_mode_32 0
		.amdhsa_float_round_mode_16_64 0
		.amdhsa_float_denorm_mode_32 3
		.amdhsa_float_denorm_mode_16_64 3
		.amdhsa_dx10_clamp 1
		.amdhsa_ieee_mode 1
		.amdhsa_fp16_overflow 0
		.amdhsa_tg_split 0
		.amdhsa_exception_fp_ieee_invalid_op 0
		.amdhsa_exception_fp_denorm_src 0
		.amdhsa_exception_fp_ieee_div_zero 0
		.amdhsa_exception_fp_ieee_overflow 0
		.amdhsa_exception_fp_ieee_underflow 0
		.amdhsa_exception_fp_ieee_inexact 0
		.amdhsa_exception_int_div_zero 0
	.end_amdhsa_kernel
	.section	.text._ZN9rocsolver6v33100L23getf2_npvt_small_kernelILi31E19rocblas_complex_numIdEiiPS3_EEvT1_T3_lS5_lPT2_S5_S5_,"axG",@progbits,_ZN9rocsolver6v33100L23getf2_npvt_small_kernelILi31E19rocblas_complex_numIdEiiPS3_EEvT1_T3_lS5_lPT2_S5_S5_,comdat
.Lfunc_end61:
	.size	_ZN9rocsolver6v33100L23getf2_npvt_small_kernelILi31E19rocblas_complex_numIdEiiPS3_EEvT1_T3_lS5_lPT2_S5_S5_, .Lfunc_end61-_ZN9rocsolver6v33100L23getf2_npvt_small_kernelILi31E19rocblas_complex_numIdEiiPS3_EEvT1_T3_lS5_lPT2_S5_S5_
                                        ; -- End function
	.set _ZN9rocsolver6v33100L23getf2_npvt_small_kernelILi31E19rocblas_complex_numIdEiiPS3_EEvT1_T3_lS5_lPT2_S5_S5_.num_vgpr, 256
	.set _ZN9rocsolver6v33100L23getf2_npvt_small_kernelILi31E19rocblas_complex_numIdEiiPS3_EEvT1_T3_lS5_lPT2_S5_S5_.num_agpr, 0
	.set _ZN9rocsolver6v33100L23getf2_npvt_small_kernelILi31E19rocblas_complex_numIdEiiPS3_EEvT1_T3_lS5_lPT2_S5_S5_.numbered_sgpr, 16
	.set _ZN9rocsolver6v33100L23getf2_npvt_small_kernelILi31E19rocblas_complex_numIdEiiPS3_EEvT1_T3_lS5_lPT2_S5_S5_.num_named_barrier, 0
	.set _ZN9rocsolver6v33100L23getf2_npvt_small_kernelILi31E19rocblas_complex_numIdEiiPS3_EEvT1_T3_lS5_lPT2_S5_S5_.private_seg_size, 292
	.set _ZN9rocsolver6v33100L23getf2_npvt_small_kernelILi31E19rocblas_complex_numIdEiiPS3_EEvT1_T3_lS5_lPT2_S5_S5_.uses_vcc, 1
	.set _ZN9rocsolver6v33100L23getf2_npvt_small_kernelILi31E19rocblas_complex_numIdEiiPS3_EEvT1_T3_lS5_lPT2_S5_S5_.uses_flat_scratch, 0
	.set _ZN9rocsolver6v33100L23getf2_npvt_small_kernelILi31E19rocblas_complex_numIdEiiPS3_EEvT1_T3_lS5_lPT2_S5_S5_.has_dyn_sized_stack, 0
	.set _ZN9rocsolver6v33100L23getf2_npvt_small_kernelILi31E19rocblas_complex_numIdEiiPS3_EEvT1_T3_lS5_lPT2_S5_S5_.has_recursion, 0
	.set _ZN9rocsolver6v33100L23getf2_npvt_small_kernelILi31E19rocblas_complex_numIdEiiPS3_EEvT1_T3_lS5_lPT2_S5_S5_.has_indirect_call, 0
	.section	.AMDGPU.csdata,"",@progbits
; Kernel info:
; codeLenInByte = 54412
; TotalNumSgprs: 22
; NumVgprs: 256
; NumAgprs: 0
; TotalNumVgprs: 256
; ScratchSize: 292
; MemoryBound: 1
; FloatMode: 240
; IeeeMode: 1
; LDSByteSize: 0 bytes/workgroup (compile time only)
; SGPRBlocks: 2
; VGPRBlocks: 31
; NumSGPRsForWavesPerEU: 22
; NumVGPRsForWavesPerEU: 256
; AccumOffset: 256
; Occupancy: 2
; WaveLimiterHint : 0
; COMPUTE_PGM_RSRC2:SCRATCH_EN: 1
; COMPUTE_PGM_RSRC2:USER_SGPR: 2
; COMPUTE_PGM_RSRC2:TRAP_HANDLER: 0
; COMPUTE_PGM_RSRC2:TGID_X_EN: 1
; COMPUTE_PGM_RSRC2:TGID_Y_EN: 1
; COMPUTE_PGM_RSRC2:TGID_Z_EN: 0
; COMPUTE_PGM_RSRC2:TIDIG_COMP_CNT: 1
; COMPUTE_PGM_RSRC3_GFX90A:ACCUM_OFFSET: 63
; COMPUTE_PGM_RSRC3_GFX90A:TG_SPLIT: 0
	.section	.text._ZN9rocsolver6v33100L18getf2_small_kernelILi32E19rocblas_complex_numIdEiiPS3_EEvT1_T3_lS5_lPS5_llPT2_S5_S5_S7_l,"axG",@progbits,_ZN9rocsolver6v33100L18getf2_small_kernelILi32E19rocblas_complex_numIdEiiPS3_EEvT1_T3_lS5_lPS5_llPT2_S5_S5_S7_l,comdat
	.globl	_ZN9rocsolver6v33100L18getf2_small_kernelILi32E19rocblas_complex_numIdEiiPS3_EEvT1_T3_lS5_lPS5_llPT2_S5_S5_S7_l ; -- Begin function _ZN9rocsolver6v33100L18getf2_small_kernelILi32E19rocblas_complex_numIdEiiPS3_EEvT1_T3_lS5_lPS5_llPT2_S5_S5_S7_l
	.p2align	8
	.type	_ZN9rocsolver6v33100L18getf2_small_kernelILi32E19rocblas_complex_numIdEiiPS3_EEvT1_T3_lS5_lPS5_llPT2_S5_S5_S7_l,@function
_ZN9rocsolver6v33100L18getf2_small_kernelILi32E19rocblas_complex_numIdEiiPS3_EEvT1_T3_lS5_lPS5_llPT2_S5_S5_S7_l: ; @_ZN9rocsolver6v33100L18getf2_small_kernelILi32E19rocblas_complex_numIdEiiPS3_EEvT1_T3_lS5_lPS5_llPT2_S5_S5_S7_l
; %bb.0:
	s_load_dword s2, s[0:1], 0x6c
	s_load_dwordx2 s[12:13], s[0:1], 0x48
	v_bfe_u32 v128, v0, 10, 10
	s_waitcnt lgkmcnt(0)
	s_lshr_b32 s2, s2, 16
	s_mul_i32 s3, s3, s2
	v_add_u32_e32 v134, s3, v128
	v_cmp_gt_i32_e32 vcc, s12, v134
	s_and_saveexec_b64 s[2:3], vcc
	s_cbranch_execz .LBB62_673
; %bb.1:
	s_load_dwordx4 s[4:7], s[0:1], 0x50
	v_ashrrev_i32_e32 v135, 31, v134
	v_mov_b64_e32 v[136:137], 0
	s_waitcnt lgkmcnt(0)
	s_cmp_eq_u64 s[4:5], 0
	s_cselect_b64 s[14:15], -1, 0
	s_and_b64 vcc, exec, s[14:15]
	s_cbranch_vccnz .LBB62_3
; %bb.2:
	v_mul_lo_u32 v1, s7, v134
	v_mul_lo_u32 v4, s6, v135
	v_mad_u64_u32 v[2:3], s[2:3], s6, v134, 0
	v_add3_u32 v3, v3, v4, v1
	v_lshl_add_u64 v[136:137], v[2:3], 2, s[4:5]
.LBB62_3:
	s_load_dwordx4 s[16:19], s[0:1], 0x8
	s_load_dwordx8 s[4:11], s[0:1], 0x20
	s_load_dword s2, s[0:1], 0x18
	s_load_dword s20, s[0:1], 0x0
	v_and_b32_e32 v143, 0x3ff, v0
	s_waitcnt lgkmcnt(0)
	v_mov_b32_e32 v2, s16
	v_mul_lo_u32 v1, s5, v134
	v_mul_lo_u32 v6, s4, v135
	v_mad_u64_u32 v[4:5], s[4:5], s4, v134, 0
	v_mov_b32_e32 v3, s17
	v_add3_u32 v5, v5, v6, v1
	v_lshl_add_u64 v[2:3], v[4:5], 4, v[2:3]
	s_add_i32 s12, s2, s2
	v_lshl_add_u64 v[132:133], s[18:19], 4, v[2:3]
	v_add_u32_e32 v2, s12, v143
	v_add_u32_e32 v4, s2, v2
	;; [unrolled: 1-line block ×3, first 2 shown]
	v_lshlrev_b32_e32 v138, 4, v143
	v_mov_b32_e32 v139, 0
	v_add_u32_e32 v8, s2, v6
	v_lshl_add_u64 v[0:1], v[132:133], 0, v[138:139]
	s_ashr_i32 s3, s2, 31
	v_ashrrev_i32_e32 v9, 31, v8
	v_add_u32_e32 v12, s2, v8
	v_lshl_add_u64 v[10:11], s[2:3], 4, v[0:1]
	global_load_dwordx4 v[88:91], v[0:1], off
	global_load_dwordx4 v[80:83], v[10:11], off
	v_lshl_add_u64 v[0:1], v[8:9], 4, v[132:133]
	v_ashrrev_i32_e32 v13, 31, v12
	v_add_u32_e32 v8, s2, v12
	v_lshl_add_u64 v[10:11], v[12:13], 4, v[132:133]
	v_add_u32_e32 v12, s2, v8
	v_add_u32_e32 v14, s2, v12
	;; [unrolled: 1-line block ×13, first 2 shown]
	v_ashrrev_i32_e32 v37, 31, v36
	v_add_u32_e32 v38, s2, v36
	v_lshl_add_u64 v[124:125], v[36:37], 4, v[132:133]
	v_add_u32_e32 v36, s2, v38
	v_ashrrev_i32_e32 v37, 31, v36
	v_lshl_add_u64 v[130:131], v[36:37], 4, v[132:133]
	v_add_u32_e32 v36, s2, v36
	v_ashrrev_i32_e32 v37, 31, v36
	v_lshl_add_u64 v[140:141], v[36:37], 4, v[132:133]
	v_add_u32_e32 v36, s2, v36
	v_ashrrev_i32_e32 v37, 31, v36
	v_lshl_add_u64 v[144:145], v[36:37], 4, v[132:133]
	v_add_u32_e32 v36, s2, v36
	v_ashrrev_i32_e32 v37, 31, v36
	v_lshl_add_u64 v[146:147], v[36:37], 4, v[132:133]
	v_add_u32_e32 v36, s2, v36
	v_ashrrev_i32_e32 v37, 31, v36
	v_lshl_add_u64 v[148:149], v[36:37], 4, v[132:133]
	v_add_u32_e32 v36, s2, v36
	v_ashrrev_i32_e32 v37, 31, v36
	v_lshl_add_u64 v[150:151], v[36:37], 4, v[132:133]
	v_add_u32_e32 v36, s2, v36
	v_ashrrev_i32_e32 v37, 31, v36
	v_lshl_add_u64 v[152:153], v[36:37], 4, v[132:133]
	v_add_u32_e32 v36, s2, v36
	v_ashrrev_i32_e32 v37, 31, v36
	v_lshl_add_u64 v[154:155], v[36:37], 4, v[132:133]
	v_add_u32_e32 v36, s2, v36
	v_ashrrev_i32_e32 v37, 31, v36
	v_ashrrev_i32_e32 v3, 31, v2
	v_ashrrev_i32_e32 v5, 31, v4
	;; [unrolled: 1-line block ×17, first 2 shown]
	v_lshl_add_u64 v[156:157], v[36:37], 4, v[132:133]
	v_add_u32_e32 v36, s2, v36
	v_lshl_add_u64 v[2:3], v[2:3], 4, v[132:133]
	v_lshl_add_u64 v[4:5], v[4:5], 4, v[132:133]
	;; [unrolled: 1-line block ×17, first 2 shown]
	v_ashrrev_i32_e32 v37, 31, v36
	v_lshl_add_u64 v[158:159], v[36:37], 4, v[132:133]
	global_load_dwordx4 v[120:123], v[2:3], off
	global_load_dwordx4 v[116:119], v[4:5], off
	;; [unrolled: 1-line block ×12, first 2 shown]
                                        ; kill: killed $vgpr10_vgpr11
                                        ; kill: killed $vgpr8_vgpr9
                                        ; kill: killed $vgpr12_vgpr13
                                        ; kill: killed $vgpr14_vgpr15
                                        ; kill: killed $vgpr16_vgpr17
                                        ; kill: killed $vgpr18_vgpr19
                                        ; kill: killed $vgpr2_vgpr3
                                        ; kill: killed $vgpr20_vgpr21
                                        ; kill: killed $vgpr4_vgpr5
                                        ; kill: killed $vgpr22_vgpr23
                                        ; kill: killed $vgpr6_vgpr7
                                        ; kill: killed $vgpr0_vgpr1
	global_load_dwordx4 v[68:71], v[24:25], off
	global_load_dwordx4 v[60:63], v[26:27], off
	;; [unrolled: 1-line block ×6, first 2 shown]
                                        ; kill: killed $vgpr26_vgpr27
                                        ; kill: killed $vgpr28_vgpr29
                                        ; kill: killed $vgpr30_vgpr31
                                        ; kill: killed $vgpr32_vgpr33
                                        ; kill: killed $vgpr34_vgpr35
                                        ; kill: killed $vgpr24_vgpr25
	global_load_dwordx4 v[40:43], v[124:125], off
	global_load_dwordx4 v[36:39], v[126:127], off
	s_nop 0
	global_load_dwordx4 v[32:35], v[130:131], off
                                        ; kill: killed $vgpr124_vgpr125
                                        ; kill: killed $vgpr126_vgpr127
                                        ; kill: killed $vgpr130_vgpr131
	global_load_dwordx4 v[28:31], v[140:141], off
	global_load_dwordx4 v[24:27], v[144:145], off
                                        ; kill: killed $vgpr144_vgpr145
                                        ; kill: killed $vgpr140_vgpr141
	global_load_dwordx4 v[20:23], v[146:147], off
	global_load_dwordx4 v[16:19], v[148:149], off
	;; [unrolled: 1-line block ×7, first 2 shown]
	s_load_dwordx2 s[4:5], s[0:1], 0x40
	s_max_i32 s0, s20, 32
	v_mul_lo_u32 v141, s0, v128
	v_lshl_add_u32 v140, v141, 4, 0
	v_add_u32_e32 v128, v140, v138
	s_waitcnt vmcnt(31)
	ds_write2_b64 v128, v[88:89], v[90:91] offset1:1
	s_waitcnt lgkmcnt(0)
	s_barrier
	ds_read2_b64 v[128:131], v140 offset1:1
	s_cmp_lt_i32 s20, 2
	v_lshlrev_b32_e32 v144, 4, v141
	s_cbranch_scc1 .LBB62_6
; %bb.4:
	v_add3_u32 v138, v144, 0, 16
	s_mov_b32 s16, 1
	v_mov_b32_e32 v139, 0
.LBB62_5:                               ; =>This Inner Loop Header: Depth=1
	ds_read2_b64 v[146:149], v138 offset1:1
	s_waitcnt lgkmcnt(1)
	v_xor_b32_e32 v141, 0x80000000, v129
	v_xor_b32_e32 v142, 0x80000000, v131
	v_cmp_gt_f64_e32 vcc, 0, v[130:131]
	v_cmp_gt_f64_e64 s[0:1], 0, v[128:129]
	v_mov_b32_e32 v150, v128
	v_mov_b32_e32 v152, v130
	v_cndmask_b32_e64 v151, v129, v141, s[0:1]
	v_cndmask_b32_e32 v153, v131, v142, vcc
	s_waitcnt lgkmcnt(0)
	v_xor_b32_e32 v141, 0x80000000, v147
	v_xor_b32_e32 v142, 0x80000000, v149
	v_cmp_gt_f64_e32 vcc, 0, v[148:149]
	v_cmp_gt_f64_e64 s[0:1], 0, v[146:147]
	v_add_f64 v[150:151], v[150:151], v[152:153]
	v_mov_b32_e32 v152, v146
	v_mov_b32_e32 v154, v148
	v_cndmask_b32_e64 v153, v147, v141, s[0:1]
	v_cndmask_b32_e32 v155, v149, v142, vcc
	v_add_f64 v[152:153], v[152:153], v[154:155]
	v_mov_b32_e32 v145, s16
	s_add_i32 s16, s16, 1
	v_cmp_lt_f64_e32 vcc, v[150:151], v[152:153]
	v_add_u32_e32 v138, 16, v138
	s_cmp_eq_u32 s20, s16
	v_cndmask_b32_e32 v129, v129, v147, vcc
	v_cndmask_b32_e32 v128, v128, v146, vcc
	;; [unrolled: 1-line block ×5, first 2 shown]
	s_cbranch_scc0 .LBB62_5
.LBB62_6:
	s_waitcnt lgkmcnt(0)
	v_cmp_neq_f64_e32 vcc, 0, v[128:129]
	v_cmp_neq_f64_e64 s[0:1], 0, v[130:131]
	s_or_b64 s[16:17], vcc, s[0:1]
	v_mov_b32_e32 v142, 1
	v_mov_b32_e32 v145, 1
	s_and_saveexec_b64 s[0:1], s[16:17]
	s_cbranch_execz .LBB62_12
; %bb.7:
	v_cmp_ngt_f64_e64 s[16:17], |v[128:129]|, |v[130:131]|
	s_and_saveexec_b64 s[18:19], s[16:17]
	s_xor_b64 s[16:17], exec, s[18:19]
	s_cbranch_execz .LBB62_9
; %bb.8:
	v_div_scale_f64 v[146:147], s[18:19], v[130:131], v[130:131], v[128:129]
	v_rcp_f64_e32 v[148:149], v[146:147]
	v_div_scale_f64 v[150:151], vcc, v[128:129], v[130:131], v[128:129]
	v_fma_f64 v[152:153], -v[146:147], v[148:149], 1.0
	v_fmac_f64_e32 v[148:149], v[148:149], v[152:153]
	v_fma_f64 v[152:153], -v[146:147], v[148:149], 1.0
	v_fmac_f64_e32 v[148:149], v[148:149], v[152:153]
	v_mul_f64 v[152:153], v[150:151], v[148:149]
	v_fma_f64 v[146:147], -v[146:147], v[152:153], v[150:151]
	v_div_fmas_f64 v[146:147], v[146:147], v[148:149], v[152:153]
	v_div_fixup_f64 v[146:147], v[146:147], v[130:131], v[128:129]
	v_fmac_f64_e32 v[130:131], v[128:129], v[146:147]
	v_div_scale_f64 v[128:129], s[18:19], v[130:131], v[130:131], 1.0
	v_rcp_f64_e32 v[148:149], v[128:129]
	s_nop 0
	v_fma_f64 v[150:151], -v[128:129], v[148:149], 1.0
	v_fmac_f64_e32 v[148:149], v[148:149], v[150:151]
	v_fma_f64 v[150:151], -v[128:129], v[148:149], 1.0
	v_fmac_f64_e32 v[148:149], v[148:149], v[150:151]
	v_div_scale_f64 v[150:151], vcc, 1.0, v[130:131], 1.0
	v_mul_f64 v[152:153], v[150:151], v[148:149]
	v_fma_f64 v[128:129], -v[128:129], v[152:153], v[150:151]
	s_nop 1
	v_div_fmas_f64 v[128:129], v[128:129], v[148:149], v[152:153]
	v_div_fixup_f64 v[130:131], v[128:129], v[130:131], 1.0
	v_mul_f64 v[128:129], v[146:147], v[130:131]
	v_xor_b32_e32 v131, 0x80000000, v131
.LBB62_9:
	s_andn2_saveexec_b64 s[16:17], s[16:17]
	s_cbranch_execz .LBB62_11
; %bb.10:
	v_div_scale_f64 v[146:147], s[18:19], v[128:129], v[128:129], v[130:131]
	v_rcp_f64_e32 v[148:149], v[146:147]
	v_div_scale_f64 v[150:151], vcc, v[130:131], v[128:129], v[130:131]
	v_fma_f64 v[152:153], -v[146:147], v[148:149], 1.0
	v_fmac_f64_e32 v[148:149], v[148:149], v[152:153]
	v_fma_f64 v[152:153], -v[146:147], v[148:149], 1.0
	v_fmac_f64_e32 v[148:149], v[148:149], v[152:153]
	v_mul_f64 v[152:153], v[150:151], v[148:149]
	v_fma_f64 v[146:147], -v[146:147], v[152:153], v[150:151]
	v_div_fmas_f64 v[146:147], v[146:147], v[148:149], v[152:153]
	v_div_fixup_f64 v[146:147], v[146:147], v[128:129], v[130:131]
	v_fmac_f64_e32 v[128:129], v[130:131], v[146:147]
	v_div_scale_f64 v[130:131], s[18:19], v[128:129], v[128:129], 1.0
	v_rcp_f64_e32 v[148:149], v[130:131]
	s_nop 0
	v_fma_f64 v[150:151], -v[130:131], v[148:149], 1.0
	v_fmac_f64_e32 v[148:149], v[148:149], v[150:151]
	v_fma_f64 v[150:151], -v[130:131], v[148:149], 1.0
	v_fmac_f64_e32 v[148:149], v[148:149], v[150:151]
	v_div_scale_f64 v[150:151], vcc, 1.0, v[128:129], 1.0
	v_mul_f64 v[152:153], v[150:151], v[148:149]
	v_fma_f64 v[130:131], -v[130:131], v[152:153], v[150:151]
	s_nop 1
	v_div_fmas_f64 v[130:131], v[130:131], v[148:149], v[152:153]
	v_div_fixup_f64 v[128:129], v[130:131], v[128:129], 1.0
	v_mul_f64 v[130:131], v[146:147], -v[128:129]
.LBB62_11:
	s_or_b64 exec, exec, s[16:17]
	v_mov_b32_e32 v145, 0
	v_mov_b32_e32 v142, 2
.LBB62_12:
	s_or_b64 exec, exec, s[0:1]
	v_cmp_ne_u32_e32 vcc, v143, v139
	s_and_saveexec_b64 s[0:1], vcc
	s_xor_b64 s[0:1], exec, s[0:1]
	s_cbranch_execz .LBB62_18
; %bb.13:
	v_cmp_eq_u32_e32 vcc, 0, v143
	s_and_saveexec_b64 s[16:17], vcc
	s_cbranch_execz .LBB62_17
; %bb.14:
	v_cmp_ne_u32_e32 vcc, 0, v139
	s_xor_b64 s[18:19], s[14:15], -1
	s_and_b64 s[22:23], s[18:19], vcc
	s_and_saveexec_b64 s[18:19], s[22:23]
	s_cbranch_execz .LBB62_16
; %bb.15:
	v_ashrrev_i32_e32 v147, 31, v139
	v_mov_b32_e32 v146, v139
	v_lshl_add_u64 v[146:147], v[146:147], 2, v[136:137]
	global_load_dword v138, v[146:147], off
	global_load_dword v141, v[136:137], off
	s_waitcnt vmcnt(1)
	global_store_dword v[136:137], v138, off
	s_waitcnt vmcnt(1)
	global_store_dword v[146:147], v141, off
.LBB62_16:
	s_or_b64 exec, exec, s[18:19]
	v_mov_b32_e32 v143, v139
.LBB62_17:
	s_or_b64 exec, exec, s[16:17]
.LBB62_18:
	s_or_saveexec_b64 s[0:1], s[0:1]
	v_mov_b32_e32 v141, v143
	s_xor_b64 exec, exec, s[0:1]
	s_cbranch_execz .LBB62_20
; %bb.19:
	v_mov_b32_e32 v141, 0
	s_waitcnt vmcnt(30)
	ds_write2_b64 v140, v[80:81], v[82:83] offset0:2 offset1:3
	s_waitcnt vmcnt(29)
	ds_write2_b64 v140, v[120:121], v[122:123] offset0:4 offset1:5
	;; [unrolled: 2-line block ×31, first 2 shown]
.LBB62_20:
	s_or_b64 exec, exec, s[0:1]
	v_cmp_lt_i32_e32 vcc, 0, v141
	s_waitcnt lgkmcnt(0)
	s_barrier
	s_and_saveexec_b64 s[0:1], vcc
	s_cbranch_execz .LBB62_22
; %bb.21:
	ds_read2_b64 v[146:149], v140 offset0:2 offset1:3
	v_mul_f64 v[138:139], v[130:131], v[90:91]
	v_mul_f64 v[90:91], v[128:129], v[90:91]
	v_fmac_f64_e32 v[90:91], v[130:131], v[88:89]
	v_fma_f64 v[138:139], v[128:129], v[88:89], -v[138:139]
	ds_read2_b64 v[128:131], v140 offset0:4 offset1:5
	s_waitcnt lgkmcnt(1)
	v_mul_f64 v[88:89], v[148:149], v[90:91]
	v_fma_f64 v[88:89], v[146:147], v[138:139], -v[88:89]
	v_mul_f64 v[146:147], v[146:147], v[90:91]
	v_fmac_f64_e32 v[146:147], v[148:149], v[138:139]
	s_waitcnt vmcnt(30)
	v_add_f64 v[82:83], v[82:83], -v[146:147]
	ds_read2_b64 v[146:149], v140 offset0:6 offset1:7
	v_add_f64 v[80:81], v[80:81], -v[88:89]
	s_waitcnt lgkmcnt(1)
	v_mul_f64 v[88:89], v[130:131], v[90:91]
	v_fma_f64 v[88:89], v[128:129], v[138:139], -v[88:89]
	v_mul_f64 v[128:129], v[128:129], v[90:91]
	v_fmac_f64_e32 v[128:129], v[130:131], v[138:139]
	s_waitcnt vmcnt(29)
	v_add_f64 v[120:121], v[120:121], -v[88:89]
	v_add_f64 v[122:123], v[122:123], -v[128:129]
	ds_read2_b64 v[128:131], v140 offset0:8 offset1:9
	s_waitcnt lgkmcnt(1)
	v_mul_f64 v[88:89], v[148:149], v[90:91]
	v_fma_f64 v[88:89], v[146:147], v[138:139], -v[88:89]
	v_mul_f64 v[146:147], v[146:147], v[90:91]
	v_fmac_f64_e32 v[146:147], v[148:149], v[138:139]
	s_waitcnt vmcnt(28)
	v_add_f64 v[118:119], v[118:119], -v[146:147]
	ds_read2_b64 v[146:149], v140 offset0:10 offset1:11
	v_add_f64 v[116:117], v[116:117], -v[88:89]
	s_waitcnt lgkmcnt(1)
	v_mul_f64 v[88:89], v[130:131], v[90:91]
	v_fma_f64 v[88:89], v[128:129], v[138:139], -v[88:89]
	v_mul_f64 v[128:129], v[128:129], v[90:91]
	v_fmac_f64_e32 v[128:129], v[130:131], v[138:139]
	s_waitcnt vmcnt(27)
	v_add_f64 v[112:113], v[112:113], -v[88:89]
	v_add_f64 v[114:115], v[114:115], -v[128:129]
	;; [unrolled: 18-line block ×15, first 2 shown]
	s_waitcnt lgkmcnt(0)
	v_mul_f64 v[88:89], v[148:149], v[90:91]
	v_mul_f64 v[128:129], v[146:147], v[90:91]
	v_fma_f64 v[88:89], v[146:147], v[138:139], -v[88:89]
	v_fmac_f64_e32 v[128:129], v[148:149], v[138:139]
	s_waitcnt vmcnt(0)
	v_add_f64 v[124:125], v[124:125], -v[88:89]
	v_add_f64 v[126:127], v[126:127], -v[128:129]
	v_mov_b64_e32 v[88:89], v[138:139]
.LBB62_22:
	s_or_b64 exec, exec, s[0:1]
	v_lshl_add_u32 v128, v141, 4, v140
	s_barrier
	s_waitcnt vmcnt(30)
	ds_write2_b64 v128, v[80:81], v[82:83] offset1:1
	s_waitcnt lgkmcnt(0)
	s_barrier
	ds_read2_b64 v[128:131], v140 offset0:2 offset1:3
	s_cmp_lt_i32 s20, 3
	v_mov_b32_e32 v138, 1
	s_cbranch_scc1 .LBB62_25
; %bb.23:
	v_add3_u32 v139, v144, 0, 32
	s_mov_b32 s16, 2
	v_mov_b32_e32 v138, 1
.LBB62_24:                              ; =>This Inner Loop Header: Depth=1
	ds_read2_b64 v[146:149], v139 offset1:1
	s_waitcnt lgkmcnt(1)
	v_xor_b32_e32 v151, 0x80000000, v129
	v_xor_b32_e32 v153, 0x80000000, v131
	v_cmp_gt_f64_e32 vcc, 0, v[130:131]
	v_cmp_gt_f64_e64 s[0:1], 0, v[128:129]
	v_mov_b32_e32 v150, v128
	v_mov_b32_e32 v152, v130
	v_cndmask_b32_e64 v151, v129, v151, s[0:1]
	v_cndmask_b32_e32 v153, v131, v153, vcc
	v_add_f64 v[150:151], v[150:151], v[152:153]
	s_waitcnt lgkmcnt(0)
	v_xor_b32_e32 v153, 0x80000000, v147
	v_xor_b32_e32 v155, 0x80000000, v149
	v_cmp_gt_f64_e32 vcc, 0, v[148:149]
	v_cmp_gt_f64_e64 s[0:1], 0, v[146:147]
	v_mov_b32_e32 v152, v146
	v_mov_b32_e32 v154, v148
	v_cndmask_b32_e64 v153, v147, v153, s[0:1]
	v_cndmask_b32_e32 v155, v149, v155, vcc
	v_add_f64 v[152:153], v[152:153], v[154:155]
	v_mov_b32_e32 v156, s16
	s_add_i32 s16, s16, 1
	v_cmp_lt_f64_e32 vcc, v[150:151], v[152:153]
	v_add_u32_e32 v139, 16, v139
	s_cmp_lg_u32 s20, s16
	v_cndmask_b32_e32 v129, v129, v147, vcc
	v_cndmask_b32_e32 v128, v128, v146, vcc
	;; [unrolled: 1-line block ×5, first 2 shown]
	s_cbranch_scc1 .LBB62_24
.LBB62_25:
	s_waitcnt lgkmcnt(0)
	v_cmp_neq_f64_e32 vcc, 0, v[128:129]
	v_cmp_neq_f64_e64 s[0:1], 0, v[130:131]
	s_or_b64 s[16:17], vcc, s[0:1]
	s_and_saveexec_b64 s[0:1], s[16:17]
	s_cbranch_execz .LBB62_31
; %bb.26:
	v_cmp_ngt_f64_e64 s[16:17], |v[128:129]|, |v[130:131]|
	s_and_saveexec_b64 s[18:19], s[16:17]
	s_xor_b64 s[16:17], exec, s[18:19]
	s_cbranch_execz .LBB62_28
; %bb.27:
	v_div_scale_f64 v[146:147], s[18:19], v[130:131], v[130:131], v[128:129]
	v_rcp_f64_e32 v[148:149], v[146:147]
	v_div_scale_f64 v[150:151], vcc, v[128:129], v[130:131], v[128:129]
	v_fma_f64 v[152:153], -v[146:147], v[148:149], 1.0
	v_fmac_f64_e32 v[148:149], v[148:149], v[152:153]
	v_fma_f64 v[152:153], -v[146:147], v[148:149], 1.0
	v_fmac_f64_e32 v[148:149], v[148:149], v[152:153]
	v_mul_f64 v[152:153], v[150:151], v[148:149]
	v_fma_f64 v[146:147], -v[146:147], v[152:153], v[150:151]
	v_div_fmas_f64 v[146:147], v[146:147], v[148:149], v[152:153]
	v_div_fixup_f64 v[146:147], v[146:147], v[130:131], v[128:129]
	v_fmac_f64_e32 v[130:131], v[128:129], v[146:147]
	v_div_scale_f64 v[128:129], s[18:19], v[130:131], v[130:131], 1.0
	v_rcp_f64_e32 v[148:149], v[128:129]
	s_nop 0
	v_fma_f64 v[150:151], -v[128:129], v[148:149], 1.0
	v_fmac_f64_e32 v[148:149], v[148:149], v[150:151]
	v_fma_f64 v[150:151], -v[128:129], v[148:149], 1.0
	v_fmac_f64_e32 v[148:149], v[148:149], v[150:151]
	v_div_scale_f64 v[150:151], vcc, 1.0, v[130:131], 1.0
	v_mul_f64 v[152:153], v[150:151], v[148:149]
	v_fma_f64 v[128:129], -v[128:129], v[152:153], v[150:151]
	s_nop 1
	v_div_fmas_f64 v[128:129], v[128:129], v[148:149], v[152:153]
	v_div_fixup_f64 v[130:131], v[128:129], v[130:131], 1.0
	v_mul_f64 v[128:129], v[146:147], v[130:131]
	v_xor_b32_e32 v131, 0x80000000, v131
.LBB62_28:
	s_andn2_saveexec_b64 s[16:17], s[16:17]
	s_cbranch_execz .LBB62_30
; %bb.29:
	v_div_scale_f64 v[146:147], s[18:19], v[128:129], v[128:129], v[130:131]
	v_rcp_f64_e32 v[148:149], v[146:147]
	v_div_scale_f64 v[150:151], vcc, v[130:131], v[128:129], v[130:131]
	v_fma_f64 v[152:153], -v[146:147], v[148:149], 1.0
	v_fmac_f64_e32 v[148:149], v[148:149], v[152:153]
	v_fma_f64 v[152:153], -v[146:147], v[148:149], 1.0
	v_fmac_f64_e32 v[148:149], v[148:149], v[152:153]
	v_mul_f64 v[152:153], v[150:151], v[148:149]
	v_fma_f64 v[146:147], -v[146:147], v[152:153], v[150:151]
	v_div_fmas_f64 v[146:147], v[146:147], v[148:149], v[152:153]
	v_div_fixup_f64 v[146:147], v[146:147], v[128:129], v[130:131]
	v_fmac_f64_e32 v[128:129], v[130:131], v[146:147]
	v_div_scale_f64 v[130:131], s[18:19], v[128:129], v[128:129], 1.0
	v_rcp_f64_e32 v[148:149], v[130:131]
	s_nop 0
	v_fma_f64 v[150:151], -v[130:131], v[148:149], 1.0
	v_fmac_f64_e32 v[148:149], v[148:149], v[150:151]
	v_fma_f64 v[150:151], -v[130:131], v[148:149], 1.0
	v_fmac_f64_e32 v[148:149], v[148:149], v[150:151]
	v_div_scale_f64 v[150:151], vcc, 1.0, v[128:129], 1.0
	v_mul_f64 v[152:153], v[150:151], v[148:149]
	v_fma_f64 v[130:131], -v[130:131], v[152:153], v[150:151]
	s_nop 1
	v_div_fmas_f64 v[130:131], v[130:131], v[148:149], v[152:153]
	v_div_fixup_f64 v[128:129], v[130:131], v[128:129], 1.0
	v_mul_f64 v[130:131], v[146:147], -v[128:129]
.LBB62_30:
	s_or_b64 exec, exec, s[16:17]
	v_mov_b32_e32 v142, v145
.LBB62_31:
	s_or_b64 exec, exec, s[0:1]
	v_cmp_ne_u32_e32 vcc, v141, v138
	s_and_saveexec_b64 s[0:1], vcc
	s_xor_b64 s[0:1], exec, s[0:1]
	s_cbranch_execz .LBB62_37
; %bb.32:
	v_cmp_eq_u32_e32 vcc, 1, v141
	s_and_saveexec_b64 s[16:17], vcc
	s_cbranch_execz .LBB62_36
; %bb.33:
	v_cmp_ne_u32_e32 vcc, 1, v138
	s_xor_b64 s[18:19], s[14:15], -1
	s_and_b64 s[22:23], s[18:19], vcc
	s_and_saveexec_b64 s[18:19], s[22:23]
	s_cbranch_execz .LBB62_35
; %bb.34:
	v_ashrrev_i32_e32 v139, 31, v138
	v_lshl_add_u64 v[146:147], v[138:139], 2, v[136:137]
	global_load_dword v139, v[146:147], off
	global_load_dword v141, v[136:137], off offset:4
	s_waitcnt vmcnt(1)
	global_store_dword v[136:137], v139, off offset:4
	s_waitcnt vmcnt(1)
	global_store_dword v[146:147], v141, off
.LBB62_35:
	s_or_b64 exec, exec, s[18:19]
	v_mov_b32_e32 v141, v138
	v_mov_b32_e32 v143, v138
.LBB62_36:
	s_or_b64 exec, exec, s[16:17]
.LBB62_37:
	s_andn2_saveexec_b64 s[0:1], s[0:1]
	s_cbranch_execz .LBB62_39
; %bb.38:
	v_mov_b32_e32 v141, 1
	s_waitcnt vmcnt(29)
	ds_write2_b64 v140, v[120:121], v[122:123] offset0:4 offset1:5
	s_waitcnt vmcnt(28)
	ds_write2_b64 v140, v[116:117], v[118:119] offset0:6 offset1:7
	s_waitcnt vmcnt(27)
	ds_write2_b64 v140, v[112:113], v[114:115] offset0:8 offset1:9
	s_waitcnt vmcnt(26)
	ds_write2_b64 v140, v[108:109], v[110:111] offset0:10 offset1:11
	s_waitcnt vmcnt(25)
	ds_write2_b64 v140, v[104:105], v[106:107] offset0:12 offset1:13
	s_waitcnt vmcnt(24)
	ds_write2_b64 v140, v[100:101], v[102:103] offset0:14 offset1:15
	s_waitcnt vmcnt(23)
	ds_write2_b64 v140, v[96:97], v[98:99] offset0:16 offset1:17
	s_waitcnt vmcnt(22)
	ds_write2_b64 v140, v[92:93], v[94:95] offset0:18 offset1:19
	s_waitcnt vmcnt(21)
	ds_write2_b64 v140, v[84:85], v[86:87] offset0:20 offset1:21
	s_waitcnt vmcnt(20)
	ds_write2_b64 v140, v[76:77], v[78:79] offset0:22 offset1:23
	s_waitcnt vmcnt(19)
	ds_write2_b64 v140, v[72:73], v[74:75] offset0:24 offset1:25
	s_waitcnt vmcnt(18)
	ds_write2_b64 v140, v[64:65], v[66:67] offset0:26 offset1:27
	s_waitcnt vmcnt(17)
	ds_write2_b64 v140, v[68:69], v[70:71] offset0:28 offset1:29
	s_waitcnt vmcnt(16)
	ds_write2_b64 v140, v[60:61], v[62:63] offset0:30 offset1:31
	s_waitcnt vmcnt(15)
	ds_write2_b64 v140, v[56:57], v[58:59] offset0:32 offset1:33
	s_waitcnt vmcnt(14)
	ds_write2_b64 v140, v[52:53], v[54:55] offset0:34 offset1:35
	s_waitcnt vmcnt(13)
	ds_write2_b64 v140, v[48:49], v[50:51] offset0:36 offset1:37
	s_waitcnt vmcnt(12)
	ds_write2_b64 v140, v[44:45], v[46:47] offset0:38 offset1:39
	s_waitcnt vmcnt(11)
	ds_write2_b64 v140, v[40:41], v[42:43] offset0:40 offset1:41
	s_waitcnt vmcnt(10)
	ds_write2_b64 v140, v[36:37], v[38:39] offset0:42 offset1:43
	s_waitcnt vmcnt(9)
	ds_write2_b64 v140, v[32:33], v[34:35] offset0:44 offset1:45
	s_waitcnt vmcnt(8)
	ds_write2_b64 v140, v[28:29], v[30:31] offset0:46 offset1:47
	s_waitcnt vmcnt(7)
	ds_write2_b64 v140, v[24:25], v[26:27] offset0:48 offset1:49
	s_waitcnt vmcnt(6)
	ds_write2_b64 v140, v[20:21], v[22:23] offset0:50 offset1:51
	s_waitcnt vmcnt(5)
	ds_write2_b64 v140, v[16:17], v[18:19] offset0:52 offset1:53
	s_waitcnt vmcnt(4)
	ds_write2_b64 v140, v[12:13], v[14:15] offset0:54 offset1:55
	s_waitcnt vmcnt(3)
	ds_write2_b64 v140, v[8:9], v[10:11] offset0:56 offset1:57
	s_waitcnt vmcnt(2)
	ds_write2_b64 v140, v[4:5], v[6:7] offset0:58 offset1:59
	s_waitcnt vmcnt(1)
	ds_write2_b64 v140, v[0:1], v[2:3] offset0:60 offset1:61
	s_waitcnt vmcnt(0)
	ds_write2_b64 v140, v[124:125], v[126:127] offset0:62 offset1:63
.LBB62_39:
	s_or_b64 exec, exec, s[0:1]
	v_cmp_lt_i32_e32 vcc, 1, v141
	s_waitcnt lgkmcnt(0)
	s_barrier
	s_and_saveexec_b64 s[0:1], vcc
	s_cbranch_execz .LBB62_41
; %bb.40:
	ds_read2_b64 v[146:149], v140 offset0:4 offset1:5
	v_mul_f64 v[138:139], v[130:131], v[82:83]
	v_mul_f64 v[82:83], v[128:129], v[82:83]
	v_fma_f64 v[138:139], v[128:129], v[80:81], -v[138:139]
	v_fmac_f64_e32 v[82:83], v[130:131], v[80:81]
	ds_read2_b64 v[128:131], v140 offset0:6 offset1:7
	s_waitcnt lgkmcnt(1)
	v_mul_f64 v[80:81], v[148:149], v[82:83]
	v_fma_f64 v[80:81], v[146:147], v[138:139], -v[80:81]
	v_mul_f64 v[146:147], v[146:147], v[82:83]
	v_fmac_f64_e32 v[146:147], v[148:149], v[138:139]
	s_waitcnt vmcnt(29)
	v_add_f64 v[120:121], v[120:121], -v[80:81]
	s_waitcnt lgkmcnt(0)
	v_mul_f64 v[80:81], v[130:131], v[82:83]
	v_add_f64 v[122:123], v[122:123], -v[146:147]
	v_fma_f64 v[80:81], v[128:129], v[138:139], -v[80:81]
	v_mul_f64 v[128:129], v[128:129], v[82:83]
	ds_read2_b64 v[146:149], v140 offset0:8 offset1:9
	v_fmac_f64_e32 v[128:129], v[130:131], v[138:139]
	s_waitcnt vmcnt(28)
	v_add_f64 v[118:119], v[118:119], -v[128:129]
	ds_read2_b64 v[128:131], v140 offset0:10 offset1:11
	v_add_f64 v[116:117], v[116:117], -v[80:81]
	s_waitcnt lgkmcnt(1)
	v_mul_f64 v[80:81], v[148:149], v[82:83]
	v_fma_f64 v[80:81], v[146:147], v[138:139], -v[80:81]
	v_mul_f64 v[146:147], v[146:147], v[82:83]
	v_fmac_f64_e32 v[146:147], v[148:149], v[138:139]
	s_waitcnt vmcnt(27)
	v_add_f64 v[112:113], v[112:113], -v[80:81]
	s_waitcnt lgkmcnt(0)
	v_mul_f64 v[80:81], v[130:131], v[82:83]
	v_add_f64 v[114:115], v[114:115], -v[146:147]
	v_fma_f64 v[80:81], v[128:129], v[138:139], -v[80:81]
	v_mul_f64 v[128:129], v[128:129], v[82:83]
	ds_read2_b64 v[146:149], v140 offset0:12 offset1:13
	v_fmac_f64_e32 v[128:129], v[130:131], v[138:139]
	s_waitcnt vmcnt(26)
	v_add_f64 v[110:111], v[110:111], -v[128:129]
	ds_read2_b64 v[128:131], v140 offset0:14 offset1:15
	v_add_f64 v[108:109], v[108:109], -v[80:81]
	;; [unrolled: 18-line block ×14, first 2 shown]
	s_waitcnt lgkmcnt(1)
	v_mul_f64 v[80:81], v[148:149], v[82:83]
	v_fma_f64 v[80:81], v[146:147], v[138:139], -v[80:81]
	s_waitcnt vmcnt(1)
	v_add_f64 v[0:1], v[0:1], -v[80:81]
	s_waitcnt lgkmcnt(0)
	v_mul_f64 v[80:81], v[130:131], v[82:83]
	v_mul_f64 v[146:147], v[146:147], v[82:83]
	v_fma_f64 v[80:81], v[128:129], v[138:139], -v[80:81]
	v_mul_f64 v[128:129], v[128:129], v[82:83]
	v_fmac_f64_e32 v[146:147], v[148:149], v[138:139]
	v_fmac_f64_e32 v[128:129], v[130:131], v[138:139]
	v_add_f64 v[2:3], v[2:3], -v[146:147]
	s_waitcnt vmcnt(0)
	v_add_f64 v[124:125], v[124:125], -v[80:81]
	v_add_f64 v[126:127], v[126:127], -v[128:129]
	v_mov_b64_e32 v[80:81], v[138:139]
.LBB62_41:
	s_or_b64 exec, exec, s[0:1]
	v_lshl_add_u32 v128, v141, 4, v140
	s_barrier
	s_waitcnt vmcnt(29)
	ds_write2_b64 v128, v[120:121], v[122:123] offset1:1
	s_waitcnt lgkmcnt(0)
	s_barrier
	ds_read2_b64 v[128:131], v140 offset0:4 offset1:5
	s_cmp_lt_i32 s20, 4
	v_mov_b32_e32 v138, 2
	s_cbranch_scc1 .LBB62_44
; %bb.42:
	v_add3_u32 v139, v144, 0, 48
	s_mov_b32 s16, 3
	v_mov_b32_e32 v138, 2
.LBB62_43:                              ; =>This Inner Loop Header: Depth=1
	ds_read2_b64 v[146:149], v139 offset1:1
	s_waitcnt lgkmcnt(1)
	v_xor_b32_e32 v145, 0x80000000, v129
	v_xor_b32_e32 v153, 0x80000000, v131
	v_cmp_gt_f64_e32 vcc, 0, v[130:131]
	v_cmp_gt_f64_e64 s[0:1], 0, v[128:129]
	v_mov_b32_e32 v150, v128
	v_mov_b32_e32 v152, v130
	v_cndmask_b32_e64 v151, v129, v145, s[0:1]
	v_cndmask_b32_e32 v153, v131, v153, vcc
	s_waitcnt lgkmcnt(0)
	v_xor_b32_e32 v145, 0x80000000, v147
	v_xor_b32_e32 v155, 0x80000000, v149
	v_cmp_gt_f64_e32 vcc, 0, v[148:149]
	v_cmp_gt_f64_e64 s[0:1], 0, v[146:147]
	v_add_f64 v[150:151], v[150:151], v[152:153]
	v_mov_b32_e32 v152, v146
	v_mov_b32_e32 v154, v148
	v_cndmask_b32_e64 v153, v147, v145, s[0:1]
	v_cndmask_b32_e32 v155, v149, v155, vcc
	v_add_f64 v[152:153], v[152:153], v[154:155]
	v_mov_b32_e32 v156, s16
	s_add_i32 s16, s16, 1
	v_cmp_lt_f64_e32 vcc, v[150:151], v[152:153]
	v_add_u32_e32 v139, 16, v139
	s_cmp_lg_u32 s20, s16
	v_cndmask_b32_e32 v129, v129, v147, vcc
	v_cndmask_b32_e32 v128, v128, v146, vcc
	;; [unrolled: 1-line block ×5, first 2 shown]
	s_cbranch_scc1 .LBB62_43
.LBB62_44:
	s_waitcnt lgkmcnt(0)
	v_cmp_eq_f64_e32 vcc, 0, v[128:129]
	v_cmp_eq_f64_e64 s[0:1], 0, v[130:131]
	s_and_b64 s[0:1], vcc, s[0:1]
	s_and_saveexec_b64 s[16:17], s[0:1]
	s_xor_b64 s[0:1], exec, s[16:17]
; %bb.45:
	v_cmp_ne_u32_e32 vcc, 0, v142
	s_nop 1
	v_cndmask_b32_e32 v142, 3, v142, vcc
; %bb.46:
	s_andn2_saveexec_b64 s[0:1], s[0:1]
	s_cbranch_execz .LBB62_52
; %bb.47:
	v_cmp_ngt_f64_e64 s[16:17], |v[128:129]|, |v[130:131]|
	s_and_saveexec_b64 s[18:19], s[16:17]
	s_xor_b64 s[16:17], exec, s[18:19]
	s_cbranch_execz .LBB62_49
; %bb.48:
	v_div_scale_f64 v[146:147], s[18:19], v[130:131], v[130:131], v[128:129]
	v_rcp_f64_e32 v[148:149], v[146:147]
	v_div_scale_f64 v[150:151], vcc, v[128:129], v[130:131], v[128:129]
	v_fma_f64 v[152:153], -v[146:147], v[148:149], 1.0
	v_fmac_f64_e32 v[148:149], v[148:149], v[152:153]
	v_fma_f64 v[152:153], -v[146:147], v[148:149], 1.0
	v_fmac_f64_e32 v[148:149], v[148:149], v[152:153]
	v_mul_f64 v[152:153], v[150:151], v[148:149]
	v_fma_f64 v[146:147], -v[146:147], v[152:153], v[150:151]
	v_div_fmas_f64 v[146:147], v[146:147], v[148:149], v[152:153]
	v_div_fixup_f64 v[146:147], v[146:147], v[130:131], v[128:129]
	v_fmac_f64_e32 v[130:131], v[128:129], v[146:147]
	v_div_scale_f64 v[128:129], s[18:19], v[130:131], v[130:131], 1.0
	v_rcp_f64_e32 v[148:149], v[128:129]
	s_nop 0
	v_fma_f64 v[150:151], -v[128:129], v[148:149], 1.0
	v_fmac_f64_e32 v[148:149], v[148:149], v[150:151]
	v_fma_f64 v[150:151], -v[128:129], v[148:149], 1.0
	v_fmac_f64_e32 v[148:149], v[148:149], v[150:151]
	v_div_scale_f64 v[150:151], vcc, 1.0, v[130:131], 1.0
	v_mul_f64 v[152:153], v[150:151], v[148:149]
	v_fma_f64 v[128:129], -v[128:129], v[152:153], v[150:151]
	s_nop 1
	v_div_fmas_f64 v[128:129], v[128:129], v[148:149], v[152:153]
	v_div_fixup_f64 v[130:131], v[128:129], v[130:131], 1.0
	v_mul_f64 v[128:129], v[146:147], v[130:131]
	v_xor_b32_e32 v131, 0x80000000, v131
.LBB62_49:
	s_andn2_saveexec_b64 s[16:17], s[16:17]
	s_cbranch_execz .LBB62_51
; %bb.50:
	v_div_scale_f64 v[146:147], s[18:19], v[128:129], v[128:129], v[130:131]
	v_rcp_f64_e32 v[148:149], v[146:147]
	v_div_scale_f64 v[150:151], vcc, v[130:131], v[128:129], v[130:131]
	v_fma_f64 v[152:153], -v[146:147], v[148:149], 1.0
	v_fmac_f64_e32 v[148:149], v[148:149], v[152:153]
	v_fma_f64 v[152:153], -v[146:147], v[148:149], 1.0
	v_fmac_f64_e32 v[148:149], v[148:149], v[152:153]
	v_mul_f64 v[152:153], v[150:151], v[148:149]
	v_fma_f64 v[146:147], -v[146:147], v[152:153], v[150:151]
	v_div_fmas_f64 v[146:147], v[146:147], v[148:149], v[152:153]
	v_div_fixup_f64 v[146:147], v[146:147], v[128:129], v[130:131]
	v_fmac_f64_e32 v[128:129], v[130:131], v[146:147]
	v_div_scale_f64 v[130:131], s[18:19], v[128:129], v[128:129], 1.0
	v_rcp_f64_e32 v[148:149], v[130:131]
	s_nop 0
	v_fma_f64 v[150:151], -v[130:131], v[148:149], 1.0
	v_fmac_f64_e32 v[148:149], v[148:149], v[150:151]
	v_fma_f64 v[150:151], -v[130:131], v[148:149], 1.0
	v_fmac_f64_e32 v[148:149], v[148:149], v[150:151]
	v_div_scale_f64 v[150:151], vcc, 1.0, v[128:129], 1.0
	v_mul_f64 v[152:153], v[150:151], v[148:149]
	v_fma_f64 v[130:131], -v[130:131], v[152:153], v[150:151]
	s_nop 1
	v_div_fmas_f64 v[130:131], v[130:131], v[148:149], v[152:153]
	v_div_fixup_f64 v[128:129], v[130:131], v[128:129], 1.0
	v_mul_f64 v[130:131], v[146:147], -v[128:129]
.LBB62_51:
	s_or_b64 exec, exec, s[16:17]
.LBB62_52:
	s_or_b64 exec, exec, s[0:1]
	v_cmp_ne_u32_e32 vcc, v141, v138
	s_and_saveexec_b64 s[0:1], vcc
	s_xor_b64 s[0:1], exec, s[0:1]
	s_cbranch_execz .LBB62_58
; %bb.53:
	v_cmp_eq_u32_e32 vcc, 2, v141
	s_and_saveexec_b64 s[16:17], vcc
	s_cbranch_execz .LBB62_57
; %bb.54:
	v_cmp_ne_u32_e32 vcc, 2, v138
	s_xor_b64 s[18:19], s[14:15], -1
	s_and_b64 s[22:23], s[18:19], vcc
	s_and_saveexec_b64 s[18:19], s[22:23]
	s_cbranch_execz .LBB62_56
; %bb.55:
	v_ashrrev_i32_e32 v139, 31, v138
	v_lshl_add_u64 v[146:147], v[138:139], 2, v[136:137]
	global_load_dword v139, v[146:147], off
	global_load_dword v141, v[136:137], off offset:8
	s_waitcnt vmcnt(1)
	global_store_dword v[136:137], v139, off offset:8
	s_waitcnt vmcnt(1)
	global_store_dword v[146:147], v141, off
.LBB62_56:
	s_or_b64 exec, exec, s[18:19]
	v_mov_b32_e32 v141, v138
	v_mov_b32_e32 v143, v138
.LBB62_57:
	s_or_b64 exec, exec, s[16:17]
.LBB62_58:
	s_andn2_saveexec_b64 s[0:1], s[0:1]
	s_cbranch_execz .LBB62_60
; %bb.59:
	v_mov_b32_e32 v141, 2
	s_waitcnt vmcnt(28)
	ds_write2_b64 v140, v[116:117], v[118:119] offset0:6 offset1:7
	s_waitcnt vmcnt(27)
	ds_write2_b64 v140, v[112:113], v[114:115] offset0:8 offset1:9
	s_waitcnt vmcnt(26)
	ds_write2_b64 v140, v[108:109], v[110:111] offset0:10 offset1:11
	s_waitcnt vmcnt(25)
	ds_write2_b64 v140, v[104:105], v[106:107] offset0:12 offset1:13
	s_waitcnt vmcnt(24)
	ds_write2_b64 v140, v[100:101], v[102:103] offset0:14 offset1:15
	s_waitcnt vmcnt(23)
	ds_write2_b64 v140, v[96:97], v[98:99] offset0:16 offset1:17
	s_waitcnt vmcnt(22)
	ds_write2_b64 v140, v[92:93], v[94:95] offset0:18 offset1:19
	s_waitcnt vmcnt(21)
	ds_write2_b64 v140, v[84:85], v[86:87] offset0:20 offset1:21
	s_waitcnt vmcnt(20)
	ds_write2_b64 v140, v[76:77], v[78:79] offset0:22 offset1:23
	s_waitcnt vmcnt(19)
	ds_write2_b64 v140, v[72:73], v[74:75] offset0:24 offset1:25
	s_waitcnt vmcnt(18)
	ds_write2_b64 v140, v[64:65], v[66:67] offset0:26 offset1:27
	s_waitcnt vmcnt(17)
	ds_write2_b64 v140, v[68:69], v[70:71] offset0:28 offset1:29
	s_waitcnt vmcnt(16)
	ds_write2_b64 v140, v[60:61], v[62:63] offset0:30 offset1:31
	s_waitcnt vmcnt(15)
	ds_write2_b64 v140, v[56:57], v[58:59] offset0:32 offset1:33
	s_waitcnt vmcnt(14)
	ds_write2_b64 v140, v[52:53], v[54:55] offset0:34 offset1:35
	s_waitcnt vmcnt(13)
	ds_write2_b64 v140, v[48:49], v[50:51] offset0:36 offset1:37
	s_waitcnt vmcnt(12)
	ds_write2_b64 v140, v[44:45], v[46:47] offset0:38 offset1:39
	s_waitcnt vmcnt(11)
	ds_write2_b64 v140, v[40:41], v[42:43] offset0:40 offset1:41
	s_waitcnt vmcnt(10)
	ds_write2_b64 v140, v[36:37], v[38:39] offset0:42 offset1:43
	s_waitcnt vmcnt(9)
	ds_write2_b64 v140, v[32:33], v[34:35] offset0:44 offset1:45
	s_waitcnt vmcnt(8)
	ds_write2_b64 v140, v[28:29], v[30:31] offset0:46 offset1:47
	s_waitcnt vmcnt(7)
	ds_write2_b64 v140, v[24:25], v[26:27] offset0:48 offset1:49
	s_waitcnt vmcnt(6)
	ds_write2_b64 v140, v[20:21], v[22:23] offset0:50 offset1:51
	s_waitcnt vmcnt(5)
	ds_write2_b64 v140, v[16:17], v[18:19] offset0:52 offset1:53
	s_waitcnt vmcnt(4)
	ds_write2_b64 v140, v[12:13], v[14:15] offset0:54 offset1:55
	s_waitcnt vmcnt(3)
	ds_write2_b64 v140, v[8:9], v[10:11] offset0:56 offset1:57
	s_waitcnt vmcnt(2)
	ds_write2_b64 v140, v[4:5], v[6:7] offset0:58 offset1:59
	s_waitcnt vmcnt(1)
	ds_write2_b64 v140, v[0:1], v[2:3] offset0:60 offset1:61
	s_waitcnt vmcnt(0)
	ds_write2_b64 v140, v[124:125], v[126:127] offset0:62 offset1:63
.LBB62_60:
	s_or_b64 exec, exec, s[0:1]
	v_cmp_lt_i32_e32 vcc, 2, v141
	s_waitcnt lgkmcnt(0)
	s_barrier
	s_and_saveexec_b64 s[0:1], vcc
	s_cbranch_execz .LBB62_62
; %bb.61:
	ds_read2_b64 v[146:149], v140 offset0:6 offset1:7
	v_mul_f64 v[138:139], v[130:131], v[122:123]
	v_mul_f64 v[122:123], v[128:129], v[122:123]
	v_fmac_f64_e32 v[122:123], v[130:131], v[120:121]
	v_fma_f64 v[138:139], v[128:129], v[120:121], -v[138:139]
	ds_read2_b64 v[128:131], v140 offset0:8 offset1:9
	s_waitcnt lgkmcnt(1)
	v_mul_f64 v[120:121], v[148:149], v[122:123]
	v_fma_f64 v[120:121], v[146:147], v[138:139], -v[120:121]
	v_mul_f64 v[146:147], v[146:147], v[122:123]
	v_fmac_f64_e32 v[146:147], v[148:149], v[138:139]
	s_waitcnt vmcnt(28)
	v_add_f64 v[118:119], v[118:119], -v[146:147]
	ds_read2_b64 v[146:149], v140 offset0:10 offset1:11
	v_add_f64 v[116:117], v[116:117], -v[120:121]
	s_waitcnt lgkmcnt(1)
	v_mul_f64 v[120:121], v[130:131], v[122:123]
	v_fma_f64 v[120:121], v[128:129], v[138:139], -v[120:121]
	v_mul_f64 v[128:129], v[128:129], v[122:123]
	v_fmac_f64_e32 v[128:129], v[130:131], v[138:139]
	s_waitcnt vmcnt(27)
	v_add_f64 v[112:113], v[112:113], -v[120:121]
	v_add_f64 v[114:115], v[114:115], -v[128:129]
	ds_read2_b64 v[128:131], v140 offset0:12 offset1:13
	s_waitcnt lgkmcnt(1)
	v_mul_f64 v[120:121], v[148:149], v[122:123]
	v_fma_f64 v[120:121], v[146:147], v[138:139], -v[120:121]
	v_mul_f64 v[146:147], v[146:147], v[122:123]
	v_fmac_f64_e32 v[146:147], v[148:149], v[138:139]
	s_waitcnt vmcnt(26)
	v_add_f64 v[110:111], v[110:111], -v[146:147]
	ds_read2_b64 v[146:149], v140 offset0:14 offset1:15
	v_add_f64 v[108:109], v[108:109], -v[120:121]
	s_waitcnt lgkmcnt(1)
	v_mul_f64 v[120:121], v[130:131], v[122:123]
	v_fma_f64 v[120:121], v[128:129], v[138:139], -v[120:121]
	v_mul_f64 v[128:129], v[128:129], v[122:123]
	v_fmac_f64_e32 v[128:129], v[130:131], v[138:139]
	s_waitcnt vmcnt(25)
	v_add_f64 v[104:105], v[104:105], -v[120:121]
	v_add_f64 v[106:107], v[106:107], -v[128:129]
	;; [unrolled: 18-line block ×14, first 2 shown]
	s_waitcnt lgkmcnt(0)
	v_mul_f64 v[120:121], v[148:149], v[122:123]
	v_mul_f64 v[128:129], v[146:147], v[122:123]
	v_fma_f64 v[120:121], v[146:147], v[138:139], -v[120:121]
	v_fmac_f64_e32 v[128:129], v[148:149], v[138:139]
	s_waitcnt vmcnt(0)
	v_add_f64 v[124:125], v[124:125], -v[120:121]
	v_add_f64 v[126:127], v[126:127], -v[128:129]
	v_mov_b64_e32 v[120:121], v[138:139]
.LBB62_62:
	s_or_b64 exec, exec, s[0:1]
	v_lshl_add_u32 v128, v141, 4, v140
	s_barrier
	s_waitcnt vmcnt(28)
	ds_write2_b64 v128, v[116:117], v[118:119] offset1:1
	s_waitcnt lgkmcnt(0)
	s_barrier
	ds_read2_b64 v[128:131], v140 offset0:6 offset1:7
	s_mov_b32 s16, 4
	s_cmp_lt_i32 s20, 5
	v_mov_b32_e32 v138, 3
	s_cbranch_scc1 .LBB62_65
; %bb.63:
	v_add3_u32 v139, v144, 0, 64
	v_mov_b32_e32 v138, 3
.LBB62_64:                              ; =>This Inner Loop Header: Depth=1
	ds_read2_b64 v[144:147], v139 offset1:1
	s_waitcnt lgkmcnt(1)
	v_xor_b32_e32 v149, 0x80000000, v129
	v_xor_b32_e32 v151, 0x80000000, v131
	v_cmp_gt_f64_e32 vcc, 0, v[130:131]
	v_cmp_gt_f64_e64 s[0:1], 0, v[128:129]
	v_mov_b32_e32 v148, v128
	v_mov_b32_e32 v150, v130
	v_cndmask_b32_e64 v149, v129, v149, s[0:1]
	v_cndmask_b32_e32 v151, v131, v151, vcc
	v_add_f64 v[148:149], v[148:149], v[150:151]
	s_waitcnt lgkmcnt(0)
	v_xor_b32_e32 v151, 0x80000000, v145
	v_xor_b32_e32 v153, 0x80000000, v147
	v_cmp_gt_f64_e32 vcc, 0, v[146:147]
	v_cmp_gt_f64_e64 s[0:1], 0, v[144:145]
	v_mov_b32_e32 v150, v144
	v_mov_b32_e32 v152, v146
	v_cndmask_b32_e64 v151, v145, v151, s[0:1]
	v_cndmask_b32_e32 v153, v147, v153, vcc
	v_add_f64 v[150:151], v[150:151], v[152:153]
	v_mov_b32_e32 v154, s16
	s_add_i32 s16, s16, 1
	v_cmp_lt_f64_e32 vcc, v[148:149], v[150:151]
	v_add_u32_e32 v139, 16, v139
	s_cmp_lg_u32 s20, s16
	v_cndmask_b32_e32 v129, v129, v145, vcc
	v_cndmask_b32_e32 v128, v128, v144, vcc
	;; [unrolled: 1-line block ×5, first 2 shown]
	s_cbranch_scc1 .LBB62_64
.LBB62_65:
	s_waitcnt lgkmcnt(0)
	v_cmp_eq_f64_e32 vcc, 0, v[128:129]
	v_cmp_eq_f64_e64 s[0:1], 0, v[130:131]
	s_and_b64 s[0:1], vcc, s[0:1]
	s_and_saveexec_b64 s[16:17], s[0:1]
	s_xor_b64 s[0:1], exec, s[16:17]
; %bb.66:
	v_cmp_ne_u32_e32 vcc, 0, v142
	s_nop 1
	v_cndmask_b32_e32 v142, 4, v142, vcc
; %bb.67:
	s_andn2_saveexec_b64 s[0:1], s[0:1]
	s_cbranch_execz .LBB62_73
; %bb.68:
	v_cmp_ngt_f64_e64 s[16:17], |v[128:129]|, |v[130:131]|
	s_and_saveexec_b64 s[18:19], s[16:17]
	s_xor_b64 s[16:17], exec, s[18:19]
	s_cbranch_execz .LBB62_70
; %bb.69:
	v_div_scale_f64 v[144:145], s[18:19], v[130:131], v[130:131], v[128:129]
	v_rcp_f64_e32 v[146:147], v[144:145]
	v_div_scale_f64 v[148:149], vcc, v[128:129], v[130:131], v[128:129]
	v_fma_f64 v[150:151], -v[144:145], v[146:147], 1.0
	v_fmac_f64_e32 v[146:147], v[146:147], v[150:151]
	v_fma_f64 v[150:151], -v[144:145], v[146:147], 1.0
	v_fmac_f64_e32 v[146:147], v[146:147], v[150:151]
	v_mul_f64 v[150:151], v[148:149], v[146:147]
	v_fma_f64 v[144:145], -v[144:145], v[150:151], v[148:149]
	v_div_fmas_f64 v[144:145], v[144:145], v[146:147], v[150:151]
	v_div_fixup_f64 v[144:145], v[144:145], v[130:131], v[128:129]
	v_fmac_f64_e32 v[130:131], v[128:129], v[144:145]
	v_div_scale_f64 v[128:129], s[18:19], v[130:131], v[130:131], 1.0
	v_rcp_f64_e32 v[146:147], v[128:129]
	s_nop 0
	v_fma_f64 v[148:149], -v[128:129], v[146:147], 1.0
	v_fmac_f64_e32 v[146:147], v[146:147], v[148:149]
	v_fma_f64 v[148:149], -v[128:129], v[146:147], 1.0
	v_fmac_f64_e32 v[146:147], v[146:147], v[148:149]
	v_div_scale_f64 v[148:149], vcc, 1.0, v[130:131], 1.0
	v_mul_f64 v[150:151], v[148:149], v[146:147]
	v_fma_f64 v[128:129], -v[128:129], v[150:151], v[148:149]
	s_nop 1
	v_div_fmas_f64 v[128:129], v[128:129], v[146:147], v[150:151]
	v_div_fixup_f64 v[130:131], v[128:129], v[130:131], 1.0
	v_mul_f64 v[128:129], v[144:145], v[130:131]
	v_xor_b32_e32 v131, 0x80000000, v131
.LBB62_70:
	s_andn2_saveexec_b64 s[16:17], s[16:17]
	s_cbranch_execz .LBB62_72
; %bb.71:
	v_div_scale_f64 v[144:145], s[18:19], v[128:129], v[128:129], v[130:131]
	v_rcp_f64_e32 v[146:147], v[144:145]
	v_div_scale_f64 v[148:149], vcc, v[130:131], v[128:129], v[130:131]
	v_fma_f64 v[150:151], -v[144:145], v[146:147], 1.0
	v_fmac_f64_e32 v[146:147], v[146:147], v[150:151]
	v_fma_f64 v[150:151], -v[144:145], v[146:147], 1.0
	v_fmac_f64_e32 v[146:147], v[146:147], v[150:151]
	v_mul_f64 v[150:151], v[148:149], v[146:147]
	v_fma_f64 v[144:145], -v[144:145], v[150:151], v[148:149]
	v_div_fmas_f64 v[144:145], v[144:145], v[146:147], v[150:151]
	v_div_fixup_f64 v[144:145], v[144:145], v[128:129], v[130:131]
	v_fmac_f64_e32 v[128:129], v[130:131], v[144:145]
	v_div_scale_f64 v[130:131], s[18:19], v[128:129], v[128:129], 1.0
	v_rcp_f64_e32 v[146:147], v[130:131]
	s_nop 0
	v_fma_f64 v[148:149], -v[130:131], v[146:147], 1.0
	v_fmac_f64_e32 v[146:147], v[146:147], v[148:149]
	v_fma_f64 v[148:149], -v[130:131], v[146:147], 1.0
	v_fmac_f64_e32 v[146:147], v[146:147], v[148:149]
	v_div_scale_f64 v[148:149], vcc, 1.0, v[128:129], 1.0
	v_mul_f64 v[150:151], v[148:149], v[146:147]
	v_fma_f64 v[130:131], -v[130:131], v[150:151], v[148:149]
	s_nop 1
	v_div_fmas_f64 v[130:131], v[130:131], v[146:147], v[150:151]
	v_div_fixup_f64 v[128:129], v[130:131], v[128:129], 1.0
	v_mul_f64 v[130:131], v[144:145], -v[128:129]
.LBB62_72:
	s_or_b64 exec, exec, s[16:17]
.LBB62_73:
	s_or_b64 exec, exec, s[0:1]
	v_cmp_ne_u32_e32 vcc, v141, v138
	s_and_saveexec_b64 s[0:1], vcc
	s_xor_b64 s[0:1], exec, s[0:1]
	s_cbranch_execz .LBB62_79
; %bb.74:
	v_cmp_eq_u32_e32 vcc, 3, v141
	s_and_saveexec_b64 s[16:17], vcc
	s_cbranch_execz .LBB62_78
; %bb.75:
	v_cmp_ne_u32_e32 vcc, 3, v138
	s_xor_b64 s[18:19], s[14:15], -1
	s_and_b64 s[22:23], s[18:19], vcc
	s_and_saveexec_b64 s[18:19], s[22:23]
	s_cbranch_execz .LBB62_77
; %bb.76:
	v_ashrrev_i32_e32 v139, 31, v138
	v_lshl_add_u64 v[144:145], v[138:139], 2, v[136:137]
	global_load_dword v139, v[144:145], off
	global_load_dword v141, v[136:137], off offset:12
	s_waitcnt vmcnt(1)
	global_store_dword v[136:137], v139, off offset:12
	s_waitcnt vmcnt(1)
	global_store_dword v[144:145], v141, off
.LBB62_77:
	s_or_b64 exec, exec, s[18:19]
	v_mov_b32_e32 v141, v138
	v_mov_b32_e32 v143, v138
.LBB62_78:
	s_or_b64 exec, exec, s[16:17]
.LBB62_79:
	s_andn2_saveexec_b64 s[0:1], s[0:1]
	s_cbranch_execz .LBB62_81
; %bb.80:
	v_mov_b32_e32 v141, 3
	s_waitcnt vmcnt(27)
	ds_write2_b64 v140, v[112:113], v[114:115] offset0:8 offset1:9
	s_waitcnt vmcnt(26)
	ds_write2_b64 v140, v[108:109], v[110:111] offset0:10 offset1:11
	;; [unrolled: 2-line block ×28, first 2 shown]
.LBB62_81:
	s_or_b64 exec, exec, s[0:1]
	v_cmp_lt_i32_e32 vcc, 3, v141
	s_waitcnt lgkmcnt(0)
	s_barrier
	s_and_saveexec_b64 s[0:1], vcc
	s_cbranch_execz .LBB62_83
; %bb.82:
	ds_read2_b64 v[144:147], v140 offset0:8 offset1:9
	v_mul_f64 v[138:139], v[130:131], v[118:119]
	v_mul_f64 v[118:119], v[128:129], v[118:119]
	v_fma_f64 v[138:139], v[128:129], v[116:117], -v[138:139]
	v_fmac_f64_e32 v[118:119], v[130:131], v[116:117]
	ds_read2_b64 v[128:131], v140 offset0:10 offset1:11
	s_waitcnt lgkmcnt(1)
	v_mul_f64 v[116:117], v[146:147], v[118:119]
	v_fma_f64 v[116:117], v[144:145], v[138:139], -v[116:117]
	v_mul_f64 v[144:145], v[144:145], v[118:119]
	v_fmac_f64_e32 v[144:145], v[146:147], v[138:139]
	s_waitcnt vmcnt(27)
	v_add_f64 v[112:113], v[112:113], -v[116:117]
	s_waitcnt lgkmcnt(0)
	v_mul_f64 v[116:117], v[130:131], v[118:119]
	v_add_f64 v[114:115], v[114:115], -v[144:145]
	v_fma_f64 v[116:117], v[128:129], v[138:139], -v[116:117]
	v_mul_f64 v[128:129], v[128:129], v[118:119]
	ds_read2_b64 v[144:147], v140 offset0:12 offset1:13
	v_fmac_f64_e32 v[128:129], v[130:131], v[138:139]
	s_waitcnt vmcnt(26)
	v_add_f64 v[110:111], v[110:111], -v[128:129]
	ds_read2_b64 v[128:131], v140 offset0:14 offset1:15
	v_add_f64 v[108:109], v[108:109], -v[116:117]
	s_waitcnt lgkmcnt(1)
	v_mul_f64 v[116:117], v[146:147], v[118:119]
	v_fma_f64 v[116:117], v[144:145], v[138:139], -v[116:117]
	v_mul_f64 v[144:145], v[144:145], v[118:119]
	v_fmac_f64_e32 v[144:145], v[146:147], v[138:139]
	s_waitcnt vmcnt(25)
	v_add_f64 v[104:105], v[104:105], -v[116:117]
	s_waitcnt lgkmcnt(0)
	v_mul_f64 v[116:117], v[130:131], v[118:119]
	v_add_f64 v[106:107], v[106:107], -v[144:145]
	v_fma_f64 v[116:117], v[128:129], v[138:139], -v[116:117]
	v_mul_f64 v[128:129], v[128:129], v[118:119]
	ds_read2_b64 v[144:147], v140 offset0:16 offset1:17
	v_fmac_f64_e32 v[128:129], v[130:131], v[138:139]
	s_waitcnt vmcnt(24)
	v_add_f64 v[102:103], v[102:103], -v[128:129]
	ds_read2_b64 v[128:131], v140 offset0:18 offset1:19
	v_add_f64 v[100:101], v[100:101], -v[116:117]
	;; [unrolled: 18-line block ×13, first 2 shown]
	s_waitcnt lgkmcnt(1)
	v_mul_f64 v[116:117], v[146:147], v[118:119]
	v_fma_f64 v[116:117], v[144:145], v[138:139], -v[116:117]
	s_waitcnt vmcnt(1)
	v_add_f64 v[0:1], v[0:1], -v[116:117]
	s_waitcnt lgkmcnt(0)
	v_mul_f64 v[116:117], v[130:131], v[118:119]
	v_mul_f64 v[144:145], v[144:145], v[118:119]
	v_fma_f64 v[116:117], v[128:129], v[138:139], -v[116:117]
	v_mul_f64 v[128:129], v[128:129], v[118:119]
	v_fmac_f64_e32 v[144:145], v[146:147], v[138:139]
	v_fmac_f64_e32 v[128:129], v[130:131], v[138:139]
	v_add_f64 v[2:3], v[2:3], -v[144:145]
	s_waitcnt vmcnt(0)
	v_add_f64 v[124:125], v[124:125], -v[116:117]
	v_add_f64 v[126:127], v[126:127], -v[128:129]
	v_mov_b64_e32 v[116:117], v[138:139]
.LBB62_83:
	s_or_b64 exec, exec, s[0:1]
	v_lshl_add_u32 v128, v141, 4, v140
	s_barrier
	s_waitcnt vmcnt(27)
	ds_write2_b64 v128, v[112:113], v[114:115] offset1:1
	s_waitcnt lgkmcnt(0)
	s_barrier
	ds_read2_b64 v[128:131], v140 offset0:8 offset1:9
	s_cmp_lt_i32 s20, 6
	v_mov_b32_e32 v138, 4
	s_cbranch_scc1 .LBB62_86
; %bb.84:
	v_mov_b32_e32 v138, 4
	v_add_u32_e32 v139, 0x50, v140
	s_mov_b32 s16, 5
.LBB62_85:                              ; =>This Inner Loop Header: Depth=1
	ds_read2_b64 v[144:147], v139 offset1:1
	s_waitcnt lgkmcnt(1)
	v_xor_b32_e32 v149, 0x80000000, v129
	v_xor_b32_e32 v151, 0x80000000, v131
	v_cmp_gt_f64_e32 vcc, 0, v[130:131]
	v_cmp_gt_f64_e64 s[0:1], 0, v[128:129]
	v_mov_b32_e32 v148, v128
	v_mov_b32_e32 v150, v130
	v_cndmask_b32_e64 v149, v129, v149, s[0:1]
	v_cndmask_b32_e32 v151, v131, v151, vcc
	v_add_f64 v[148:149], v[148:149], v[150:151]
	s_waitcnt lgkmcnt(0)
	v_xor_b32_e32 v151, 0x80000000, v145
	v_xor_b32_e32 v153, 0x80000000, v147
	v_cmp_gt_f64_e32 vcc, 0, v[146:147]
	v_cmp_gt_f64_e64 s[0:1], 0, v[144:145]
	v_mov_b32_e32 v150, v144
	v_mov_b32_e32 v152, v146
	v_cndmask_b32_e64 v151, v145, v151, s[0:1]
	v_cndmask_b32_e32 v153, v147, v153, vcc
	v_add_f64 v[150:151], v[150:151], v[152:153]
	v_mov_b32_e32 v154, s16
	s_add_i32 s16, s16, 1
	v_cmp_lt_f64_e32 vcc, v[148:149], v[150:151]
	v_add_u32_e32 v139, 16, v139
	s_cmp_lg_u32 s20, s16
	v_cndmask_b32_e32 v129, v129, v145, vcc
	v_cndmask_b32_e32 v128, v128, v144, vcc
	;; [unrolled: 1-line block ×5, first 2 shown]
	s_cbranch_scc1 .LBB62_85
.LBB62_86:
	s_waitcnt lgkmcnt(0)
	v_cmp_eq_f64_e32 vcc, 0, v[128:129]
	v_cmp_eq_f64_e64 s[0:1], 0, v[130:131]
	s_and_b64 s[0:1], vcc, s[0:1]
	s_and_saveexec_b64 s[16:17], s[0:1]
	s_xor_b64 s[0:1], exec, s[16:17]
; %bb.87:
	v_cmp_ne_u32_e32 vcc, 0, v142
	s_nop 1
	v_cndmask_b32_e32 v142, 5, v142, vcc
; %bb.88:
	s_andn2_saveexec_b64 s[0:1], s[0:1]
	s_cbranch_execz .LBB62_94
; %bb.89:
	v_cmp_ngt_f64_e64 s[16:17], |v[128:129]|, |v[130:131]|
	s_and_saveexec_b64 s[18:19], s[16:17]
	s_xor_b64 s[16:17], exec, s[18:19]
	s_cbranch_execz .LBB62_91
; %bb.90:
	v_div_scale_f64 v[144:145], s[18:19], v[130:131], v[130:131], v[128:129]
	v_rcp_f64_e32 v[146:147], v[144:145]
	v_div_scale_f64 v[148:149], vcc, v[128:129], v[130:131], v[128:129]
	v_fma_f64 v[150:151], -v[144:145], v[146:147], 1.0
	v_fmac_f64_e32 v[146:147], v[146:147], v[150:151]
	v_fma_f64 v[150:151], -v[144:145], v[146:147], 1.0
	v_fmac_f64_e32 v[146:147], v[146:147], v[150:151]
	v_mul_f64 v[150:151], v[148:149], v[146:147]
	v_fma_f64 v[144:145], -v[144:145], v[150:151], v[148:149]
	v_div_fmas_f64 v[144:145], v[144:145], v[146:147], v[150:151]
	v_div_fixup_f64 v[144:145], v[144:145], v[130:131], v[128:129]
	v_fmac_f64_e32 v[130:131], v[128:129], v[144:145]
	v_div_scale_f64 v[128:129], s[18:19], v[130:131], v[130:131], 1.0
	v_rcp_f64_e32 v[146:147], v[128:129]
	s_nop 0
	v_fma_f64 v[148:149], -v[128:129], v[146:147], 1.0
	v_fmac_f64_e32 v[146:147], v[146:147], v[148:149]
	v_fma_f64 v[148:149], -v[128:129], v[146:147], 1.0
	v_fmac_f64_e32 v[146:147], v[146:147], v[148:149]
	v_div_scale_f64 v[148:149], vcc, 1.0, v[130:131], 1.0
	v_mul_f64 v[150:151], v[148:149], v[146:147]
	v_fma_f64 v[128:129], -v[128:129], v[150:151], v[148:149]
	s_nop 1
	v_div_fmas_f64 v[128:129], v[128:129], v[146:147], v[150:151]
	v_div_fixup_f64 v[130:131], v[128:129], v[130:131], 1.0
	v_mul_f64 v[128:129], v[144:145], v[130:131]
	v_xor_b32_e32 v131, 0x80000000, v131
.LBB62_91:
	s_andn2_saveexec_b64 s[16:17], s[16:17]
	s_cbranch_execz .LBB62_93
; %bb.92:
	v_div_scale_f64 v[144:145], s[18:19], v[128:129], v[128:129], v[130:131]
	v_rcp_f64_e32 v[146:147], v[144:145]
	v_div_scale_f64 v[148:149], vcc, v[130:131], v[128:129], v[130:131]
	v_fma_f64 v[150:151], -v[144:145], v[146:147], 1.0
	v_fmac_f64_e32 v[146:147], v[146:147], v[150:151]
	v_fma_f64 v[150:151], -v[144:145], v[146:147], 1.0
	v_fmac_f64_e32 v[146:147], v[146:147], v[150:151]
	v_mul_f64 v[150:151], v[148:149], v[146:147]
	v_fma_f64 v[144:145], -v[144:145], v[150:151], v[148:149]
	v_div_fmas_f64 v[144:145], v[144:145], v[146:147], v[150:151]
	v_div_fixup_f64 v[144:145], v[144:145], v[128:129], v[130:131]
	v_fmac_f64_e32 v[128:129], v[130:131], v[144:145]
	v_div_scale_f64 v[130:131], s[18:19], v[128:129], v[128:129], 1.0
	v_rcp_f64_e32 v[146:147], v[130:131]
	s_nop 0
	v_fma_f64 v[148:149], -v[130:131], v[146:147], 1.0
	v_fmac_f64_e32 v[146:147], v[146:147], v[148:149]
	v_fma_f64 v[148:149], -v[130:131], v[146:147], 1.0
	v_fmac_f64_e32 v[146:147], v[146:147], v[148:149]
	v_div_scale_f64 v[148:149], vcc, 1.0, v[128:129], 1.0
	v_mul_f64 v[150:151], v[148:149], v[146:147]
	v_fma_f64 v[130:131], -v[130:131], v[150:151], v[148:149]
	s_nop 1
	v_div_fmas_f64 v[130:131], v[130:131], v[146:147], v[150:151]
	v_div_fixup_f64 v[128:129], v[130:131], v[128:129], 1.0
	v_mul_f64 v[130:131], v[144:145], -v[128:129]
.LBB62_93:
	s_or_b64 exec, exec, s[16:17]
.LBB62_94:
	s_or_b64 exec, exec, s[0:1]
	v_cmp_ne_u32_e32 vcc, v141, v138
	s_and_saveexec_b64 s[0:1], vcc
	s_xor_b64 s[0:1], exec, s[0:1]
	s_cbranch_execz .LBB62_100
; %bb.95:
	v_cmp_eq_u32_e32 vcc, 4, v141
	s_and_saveexec_b64 s[16:17], vcc
	s_cbranch_execz .LBB62_99
; %bb.96:
	v_cmp_ne_u32_e32 vcc, 4, v138
	s_xor_b64 s[18:19], s[14:15], -1
	s_and_b64 s[22:23], s[18:19], vcc
	s_and_saveexec_b64 s[18:19], s[22:23]
	s_cbranch_execz .LBB62_98
; %bb.97:
	v_ashrrev_i32_e32 v139, 31, v138
	v_lshl_add_u64 v[144:145], v[138:139], 2, v[136:137]
	global_load_dword v139, v[144:145], off
	global_load_dword v141, v[136:137], off offset:16
	s_waitcnt vmcnt(1)
	global_store_dword v[136:137], v139, off offset:16
	s_waitcnt vmcnt(1)
	global_store_dword v[144:145], v141, off
.LBB62_98:
	s_or_b64 exec, exec, s[18:19]
	v_mov_b32_e32 v141, v138
	v_mov_b32_e32 v143, v138
.LBB62_99:
	s_or_b64 exec, exec, s[16:17]
.LBB62_100:
	s_andn2_saveexec_b64 s[0:1], s[0:1]
	s_cbranch_execz .LBB62_102
; %bb.101:
	v_mov_b32_e32 v141, 4
	s_waitcnt vmcnt(26)
	ds_write2_b64 v140, v[108:109], v[110:111] offset0:10 offset1:11
	s_waitcnt vmcnt(25)
	ds_write2_b64 v140, v[104:105], v[106:107] offset0:12 offset1:13
	;; [unrolled: 2-line block ×27, first 2 shown]
.LBB62_102:
	s_or_b64 exec, exec, s[0:1]
	v_cmp_lt_i32_e32 vcc, 4, v141
	s_waitcnt lgkmcnt(0)
	s_barrier
	s_and_saveexec_b64 s[0:1], vcc
	s_cbranch_execz .LBB62_104
; %bb.103:
	ds_read2_b64 v[144:147], v140 offset0:10 offset1:11
	v_mul_f64 v[138:139], v[130:131], v[114:115]
	v_mul_f64 v[114:115], v[128:129], v[114:115]
	v_fmac_f64_e32 v[114:115], v[130:131], v[112:113]
	v_fma_f64 v[138:139], v[128:129], v[112:113], -v[138:139]
	ds_read2_b64 v[128:131], v140 offset0:12 offset1:13
	s_waitcnt lgkmcnt(1)
	v_mul_f64 v[112:113], v[146:147], v[114:115]
	v_fma_f64 v[112:113], v[144:145], v[138:139], -v[112:113]
	v_mul_f64 v[144:145], v[144:145], v[114:115]
	v_fmac_f64_e32 v[144:145], v[146:147], v[138:139]
	s_waitcnt vmcnt(26)
	v_add_f64 v[110:111], v[110:111], -v[144:145]
	ds_read2_b64 v[144:147], v140 offset0:14 offset1:15
	v_add_f64 v[108:109], v[108:109], -v[112:113]
	s_waitcnt lgkmcnt(1)
	v_mul_f64 v[112:113], v[130:131], v[114:115]
	v_fma_f64 v[112:113], v[128:129], v[138:139], -v[112:113]
	v_mul_f64 v[128:129], v[128:129], v[114:115]
	v_fmac_f64_e32 v[128:129], v[130:131], v[138:139]
	s_waitcnt vmcnt(25)
	v_add_f64 v[104:105], v[104:105], -v[112:113]
	v_add_f64 v[106:107], v[106:107], -v[128:129]
	ds_read2_b64 v[128:131], v140 offset0:16 offset1:17
	s_waitcnt lgkmcnt(1)
	v_mul_f64 v[112:113], v[146:147], v[114:115]
	v_fma_f64 v[112:113], v[144:145], v[138:139], -v[112:113]
	v_mul_f64 v[144:145], v[144:145], v[114:115]
	v_fmac_f64_e32 v[144:145], v[146:147], v[138:139]
	s_waitcnt vmcnt(24)
	v_add_f64 v[102:103], v[102:103], -v[144:145]
	ds_read2_b64 v[144:147], v140 offset0:18 offset1:19
	v_add_f64 v[100:101], v[100:101], -v[112:113]
	s_waitcnt lgkmcnt(1)
	v_mul_f64 v[112:113], v[130:131], v[114:115]
	v_fma_f64 v[112:113], v[128:129], v[138:139], -v[112:113]
	v_mul_f64 v[128:129], v[128:129], v[114:115]
	v_fmac_f64_e32 v[128:129], v[130:131], v[138:139]
	s_waitcnt vmcnt(23)
	v_add_f64 v[96:97], v[96:97], -v[112:113]
	v_add_f64 v[98:99], v[98:99], -v[128:129]
	;; [unrolled: 18-line block ×13, first 2 shown]
	s_waitcnt lgkmcnt(0)
	v_mul_f64 v[112:113], v[146:147], v[114:115]
	v_mul_f64 v[128:129], v[144:145], v[114:115]
	v_fma_f64 v[112:113], v[144:145], v[138:139], -v[112:113]
	v_fmac_f64_e32 v[128:129], v[146:147], v[138:139]
	s_waitcnt vmcnt(0)
	v_add_f64 v[124:125], v[124:125], -v[112:113]
	v_add_f64 v[126:127], v[126:127], -v[128:129]
	v_mov_b64_e32 v[112:113], v[138:139]
.LBB62_104:
	s_or_b64 exec, exec, s[0:1]
	v_lshl_add_u32 v128, v141, 4, v140
	s_barrier
	s_waitcnt vmcnt(26)
	ds_write2_b64 v128, v[108:109], v[110:111] offset1:1
	s_waitcnt lgkmcnt(0)
	s_barrier
	ds_read2_b64 v[128:131], v140 offset0:10 offset1:11
	s_cmp_lt_i32 s20, 7
	v_mov_b32_e32 v138, 5
	s_cbranch_scc1 .LBB62_107
; %bb.105:
	v_add_u32_e32 v139, 0x60, v140
	s_mov_b32 s16, 6
	v_mov_b32_e32 v138, 5
.LBB62_106:                             ; =>This Inner Loop Header: Depth=1
	ds_read2_b64 v[144:147], v139 offset1:1
	s_waitcnt lgkmcnt(1)
	v_xor_b32_e32 v149, 0x80000000, v129
	v_xor_b32_e32 v151, 0x80000000, v131
	v_cmp_gt_f64_e32 vcc, 0, v[130:131]
	v_cmp_gt_f64_e64 s[0:1], 0, v[128:129]
	v_mov_b32_e32 v148, v128
	v_mov_b32_e32 v150, v130
	v_cndmask_b32_e64 v149, v129, v149, s[0:1]
	v_cndmask_b32_e32 v151, v131, v151, vcc
	v_add_f64 v[148:149], v[148:149], v[150:151]
	s_waitcnt lgkmcnt(0)
	v_xor_b32_e32 v151, 0x80000000, v145
	v_xor_b32_e32 v153, 0x80000000, v147
	v_cmp_gt_f64_e32 vcc, 0, v[146:147]
	v_cmp_gt_f64_e64 s[0:1], 0, v[144:145]
	v_mov_b32_e32 v150, v144
	v_mov_b32_e32 v152, v146
	v_cndmask_b32_e64 v151, v145, v151, s[0:1]
	v_cndmask_b32_e32 v153, v147, v153, vcc
	v_add_f64 v[150:151], v[150:151], v[152:153]
	v_mov_b32_e32 v154, s16
	s_add_i32 s16, s16, 1
	v_cmp_lt_f64_e32 vcc, v[148:149], v[150:151]
	v_add_u32_e32 v139, 16, v139
	s_cmp_lg_u32 s20, s16
	v_cndmask_b32_e32 v129, v129, v145, vcc
	v_cndmask_b32_e32 v128, v128, v144, vcc
	v_cndmask_b32_e32 v131, v131, v147, vcc
	v_cndmask_b32_e32 v130, v130, v146, vcc
	v_cndmask_b32_e32 v138, v138, v154, vcc
	s_cbranch_scc1 .LBB62_106
.LBB62_107:
	s_waitcnt lgkmcnt(0)
	v_cmp_eq_f64_e32 vcc, 0, v[128:129]
	v_cmp_eq_f64_e64 s[0:1], 0, v[130:131]
	s_and_b64 s[0:1], vcc, s[0:1]
	s_and_saveexec_b64 s[16:17], s[0:1]
	s_xor_b64 s[0:1], exec, s[16:17]
; %bb.108:
	v_cmp_ne_u32_e32 vcc, 0, v142
	s_nop 1
	v_cndmask_b32_e32 v142, 6, v142, vcc
; %bb.109:
	s_andn2_saveexec_b64 s[0:1], s[0:1]
	s_cbranch_execz .LBB62_115
; %bb.110:
	v_cmp_ngt_f64_e64 s[16:17], |v[128:129]|, |v[130:131]|
	s_and_saveexec_b64 s[18:19], s[16:17]
	s_xor_b64 s[16:17], exec, s[18:19]
	s_cbranch_execz .LBB62_112
; %bb.111:
	v_div_scale_f64 v[144:145], s[18:19], v[130:131], v[130:131], v[128:129]
	v_rcp_f64_e32 v[146:147], v[144:145]
	v_div_scale_f64 v[148:149], vcc, v[128:129], v[130:131], v[128:129]
	v_fma_f64 v[150:151], -v[144:145], v[146:147], 1.0
	v_fmac_f64_e32 v[146:147], v[146:147], v[150:151]
	v_fma_f64 v[150:151], -v[144:145], v[146:147], 1.0
	v_fmac_f64_e32 v[146:147], v[146:147], v[150:151]
	v_mul_f64 v[150:151], v[148:149], v[146:147]
	v_fma_f64 v[144:145], -v[144:145], v[150:151], v[148:149]
	v_div_fmas_f64 v[144:145], v[144:145], v[146:147], v[150:151]
	v_div_fixup_f64 v[144:145], v[144:145], v[130:131], v[128:129]
	v_fmac_f64_e32 v[130:131], v[128:129], v[144:145]
	v_div_scale_f64 v[128:129], s[18:19], v[130:131], v[130:131], 1.0
	v_rcp_f64_e32 v[146:147], v[128:129]
	s_nop 0
	v_fma_f64 v[148:149], -v[128:129], v[146:147], 1.0
	v_fmac_f64_e32 v[146:147], v[146:147], v[148:149]
	v_fma_f64 v[148:149], -v[128:129], v[146:147], 1.0
	v_fmac_f64_e32 v[146:147], v[146:147], v[148:149]
	v_div_scale_f64 v[148:149], vcc, 1.0, v[130:131], 1.0
	v_mul_f64 v[150:151], v[148:149], v[146:147]
	v_fma_f64 v[128:129], -v[128:129], v[150:151], v[148:149]
	s_nop 1
	v_div_fmas_f64 v[128:129], v[128:129], v[146:147], v[150:151]
	v_div_fixup_f64 v[130:131], v[128:129], v[130:131], 1.0
	v_mul_f64 v[128:129], v[144:145], v[130:131]
	v_xor_b32_e32 v131, 0x80000000, v131
.LBB62_112:
	s_andn2_saveexec_b64 s[16:17], s[16:17]
	s_cbranch_execz .LBB62_114
; %bb.113:
	v_div_scale_f64 v[144:145], s[18:19], v[128:129], v[128:129], v[130:131]
	v_rcp_f64_e32 v[146:147], v[144:145]
	v_div_scale_f64 v[148:149], vcc, v[130:131], v[128:129], v[130:131]
	v_fma_f64 v[150:151], -v[144:145], v[146:147], 1.0
	v_fmac_f64_e32 v[146:147], v[146:147], v[150:151]
	v_fma_f64 v[150:151], -v[144:145], v[146:147], 1.0
	v_fmac_f64_e32 v[146:147], v[146:147], v[150:151]
	v_mul_f64 v[150:151], v[148:149], v[146:147]
	v_fma_f64 v[144:145], -v[144:145], v[150:151], v[148:149]
	v_div_fmas_f64 v[144:145], v[144:145], v[146:147], v[150:151]
	v_div_fixup_f64 v[144:145], v[144:145], v[128:129], v[130:131]
	v_fmac_f64_e32 v[128:129], v[130:131], v[144:145]
	v_div_scale_f64 v[130:131], s[18:19], v[128:129], v[128:129], 1.0
	v_rcp_f64_e32 v[146:147], v[130:131]
	s_nop 0
	v_fma_f64 v[148:149], -v[130:131], v[146:147], 1.0
	v_fmac_f64_e32 v[146:147], v[146:147], v[148:149]
	v_fma_f64 v[148:149], -v[130:131], v[146:147], 1.0
	v_fmac_f64_e32 v[146:147], v[146:147], v[148:149]
	v_div_scale_f64 v[148:149], vcc, 1.0, v[128:129], 1.0
	v_mul_f64 v[150:151], v[148:149], v[146:147]
	v_fma_f64 v[130:131], -v[130:131], v[150:151], v[148:149]
	s_nop 1
	v_div_fmas_f64 v[130:131], v[130:131], v[146:147], v[150:151]
	v_div_fixup_f64 v[128:129], v[130:131], v[128:129], 1.0
	v_mul_f64 v[130:131], v[144:145], -v[128:129]
.LBB62_114:
	s_or_b64 exec, exec, s[16:17]
.LBB62_115:
	s_or_b64 exec, exec, s[0:1]
	v_cmp_ne_u32_e32 vcc, v141, v138
	s_and_saveexec_b64 s[0:1], vcc
	s_xor_b64 s[0:1], exec, s[0:1]
	s_cbranch_execz .LBB62_121
; %bb.116:
	v_cmp_eq_u32_e32 vcc, 5, v141
	s_and_saveexec_b64 s[16:17], vcc
	s_cbranch_execz .LBB62_120
; %bb.117:
	v_cmp_ne_u32_e32 vcc, 5, v138
	s_xor_b64 s[18:19], s[14:15], -1
	s_and_b64 s[22:23], s[18:19], vcc
	s_and_saveexec_b64 s[18:19], s[22:23]
	s_cbranch_execz .LBB62_119
; %bb.118:
	v_ashrrev_i32_e32 v139, 31, v138
	v_lshl_add_u64 v[144:145], v[138:139], 2, v[136:137]
	global_load_dword v139, v[144:145], off
	global_load_dword v141, v[136:137], off offset:20
	s_waitcnt vmcnt(1)
	global_store_dword v[136:137], v139, off offset:20
	s_waitcnt vmcnt(1)
	global_store_dword v[144:145], v141, off
.LBB62_119:
	s_or_b64 exec, exec, s[18:19]
	v_mov_b32_e32 v141, v138
	v_mov_b32_e32 v143, v138
.LBB62_120:
	s_or_b64 exec, exec, s[16:17]
.LBB62_121:
	s_andn2_saveexec_b64 s[0:1], s[0:1]
	s_cbranch_execz .LBB62_123
; %bb.122:
	v_mov_b32_e32 v141, 5
	s_waitcnt vmcnt(25)
	ds_write2_b64 v140, v[104:105], v[106:107] offset0:12 offset1:13
	s_waitcnt vmcnt(24)
	ds_write2_b64 v140, v[100:101], v[102:103] offset0:14 offset1:15
	;; [unrolled: 2-line block ×26, first 2 shown]
.LBB62_123:
	s_or_b64 exec, exec, s[0:1]
	v_cmp_lt_i32_e32 vcc, 5, v141
	s_waitcnt lgkmcnt(0)
	s_barrier
	s_and_saveexec_b64 s[0:1], vcc
	s_cbranch_execz .LBB62_125
; %bb.124:
	ds_read2_b64 v[144:147], v140 offset0:12 offset1:13
	v_mul_f64 v[138:139], v[130:131], v[110:111]
	v_mul_f64 v[110:111], v[128:129], v[110:111]
	v_fma_f64 v[138:139], v[128:129], v[108:109], -v[138:139]
	v_fmac_f64_e32 v[110:111], v[130:131], v[108:109]
	ds_read2_b64 v[128:131], v140 offset0:14 offset1:15
	s_waitcnt lgkmcnt(1)
	v_mul_f64 v[108:109], v[146:147], v[110:111]
	v_fma_f64 v[108:109], v[144:145], v[138:139], -v[108:109]
	v_mul_f64 v[144:145], v[144:145], v[110:111]
	v_fmac_f64_e32 v[144:145], v[146:147], v[138:139]
	s_waitcnt vmcnt(25)
	v_add_f64 v[104:105], v[104:105], -v[108:109]
	s_waitcnt lgkmcnt(0)
	v_mul_f64 v[108:109], v[130:131], v[110:111]
	v_add_f64 v[106:107], v[106:107], -v[144:145]
	v_fma_f64 v[108:109], v[128:129], v[138:139], -v[108:109]
	v_mul_f64 v[128:129], v[128:129], v[110:111]
	ds_read2_b64 v[144:147], v140 offset0:16 offset1:17
	v_fmac_f64_e32 v[128:129], v[130:131], v[138:139]
	s_waitcnt vmcnt(24)
	v_add_f64 v[102:103], v[102:103], -v[128:129]
	ds_read2_b64 v[128:131], v140 offset0:18 offset1:19
	v_add_f64 v[100:101], v[100:101], -v[108:109]
	s_waitcnt lgkmcnt(1)
	v_mul_f64 v[108:109], v[146:147], v[110:111]
	v_fma_f64 v[108:109], v[144:145], v[138:139], -v[108:109]
	v_mul_f64 v[144:145], v[144:145], v[110:111]
	v_fmac_f64_e32 v[144:145], v[146:147], v[138:139]
	s_waitcnt vmcnt(23)
	v_add_f64 v[96:97], v[96:97], -v[108:109]
	s_waitcnt lgkmcnt(0)
	v_mul_f64 v[108:109], v[130:131], v[110:111]
	v_add_f64 v[98:99], v[98:99], -v[144:145]
	v_fma_f64 v[108:109], v[128:129], v[138:139], -v[108:109]
	v_mul_f64 v[128:129], v[128:129], v[110:111]
	ds_read2_b64 v[144:147], v140 offset0:20 offset1:21
	v_fmac_f64_e32 v[128:129], v[130:131], v[138:139]
	s_waitcnt vmcnt(22)
	v_add_f64 v[94:95], v[94:95], -v[128:129]
	ds_read2_b64 v[128:131], v140 offset0:22 offset1:23
	v_add_f64 v[92:93], v[92:93], -v[108:109]
	;; [unrolled: 18-line block ×12, first 2 shown]
	s_waitcnt lgkmcnt(1)
	v_mul_f64 v[108:109], v[146:147], v[110:111]
	v_fma_f64 v[108:109], v[144:145], v[138:139], -v[108:109]
	s_waitcnt vmcnt(1)
	v_add_f64 v[0:1], v[0:1], -v[108:109]
	s_waitcnt lgkmcnt(0)
	v_mul_f64 v[108:109], v[130:131], v[110:111]
	v_mul_f64 v[144:145], v[144:145], v[110:111]
	v_fma_f64 v[108:109], v[128:129], v[138:139], -v[108:109]
	v_mul_f64 v[128:129], v[128:129], v[110:111]
	v_fmac_f64_e32 v[144:145], v[146:147], v[138:139]
	v_fmac_f64_e32 v[128:129], v[130:131], v[138:139]
	v_add_f64 v[2:3], v[2:3], -v[144:145]
	s_waitcnt vmcnt(0)
	v_add_f64 v[124:125], v[124:125], -v[108:109]
	v_add_f64 v[126:127], v[126:127], -v[128:129]
	v_mov_b64_e32 v[108:109], v[138:139]
.LBB62_125:
	s_or_b64 exec, exec, s[0:1]
	v_lshl_add_u32 v128, v141, 4, v140
	s_barrier
	s_waitcnt vmcnt(25)
	ds_write2_b64 v128, v[104:105], v[106:107] offset1:1
	s_waitcnt lgkmcnt(0)
	s_barrier
	ds_read2_b64 v[128:131], v140 offset0:12 offset1:13
	s_cmp_lt_i32 s20, 8
	v_mov_b32_e32 v138, 6
	s_cbranch_scc1 .LBB62_128
; %bb.126:
	v_add_u32_e32 v139, 0x70, v140
	s_mov_b32 s16, 7
	v_mov_b32_e32 v138, 6
.LBB62_127:                             ; =>This Inner Loop Header: Depth=1
	ds_read2_b64 v[144:147], v139 offset1:1
	s_waitcnt lgkmcnt(1)
	v_xor_b32_e32 v149, 0x80000000, v129
	v_xor_b32_e32 v151, 0x80000000, v131
	v_cmp_gt_f64_e32 vcc, 0, v[130:131]
	v_cmp_gt_f64_e64 s[0:1], 0, v[128:129]
	v_mov_b32_e32 v148, v128
	v_mov_b32_e32 v150, v130
	v_cndmask_b32_e64 v149, v129, v149, s[0:1]
	v_cndmask_b32_e32 v151, v131, v151, vcc
	v_add_f64 v[148:149], v[148:149], v[150:151]
	s_waitcnt lgkmcnt(0)
	v_xor_b32_e32 v151, 0x80000000, v145
	v_xor_b32_e32 v153, 0x80000000, v147
	v_cmp_gt_f64_e32 vcc, 0, v[146:147]
	v_cmp_gt_f64_e64 s[0:1], 0, v[144:145]
	v_mov_b32_e32 v150, v144
	v_mov_b32_e32 v152, v146
	v_cndmask_b32_e64 v151, v145, v151, s[0:1]
	v_cndmask_b32_e32 v153, v147, v153, vcc
	v_add_f64 v[150:151], v[150:151], v[152:153]
	v_mov_b32_e32 v154, s16
	s_add_i32 s16, s16, 1
	v_cmp_lt_f64_e32 vcc, v[148:149], v[150:151]
	v_add_u32_e32 v139, 16, v139
	s_cmp_lg_u32 s20, s16
	v_cndmask_b32_e32 v129, v129, v145, vcc
	v_cndmask_b32_e32 v128, v128, v144, vcc
	;; [unrolled: 1-line block ×5, first 2 shown]
	s_cbranch_scc1 .LBB62_127
.LBB62_128:
	s_waitcnt lgkmcnt(0)
	v_cmp_eq_f64_e32 vcc, 0, v[128:129]
	v_cmp_eq_f64_e64 s[0:1], 0, v[130:131]
	s_and_b64 s[0:1], vcc, s[0:1]
	s_and_saveexec_b64 s[16:17], s[0:1]
	s_xor_b64 s[0:1], exec, s[16:17]
; %bb.129:
	v_cmp_ne_u32_e32 vcc, 0, v142
	s_nop 1
	v_cndmask_b32_e32 v142, 7, v142, vcc
; %bb.130:
	s_andn2_saveexec_b64 s[0:1], s[0:1]
	s_cbranch_execz .LBB62_136
; %bb.131:
	v_cmp_ngt_f64_e64 s[16:17], |v[128:129]|, |v[130:131]|
	s_and_saveexec_b64 s[18:19], s[16:17]
	s_xor_b64 s[16:17], exec, s[18:19]
	s_cbranch_execz .LBB62_133
; %bb.132:
	v_div_scale_f64 v[144:145], s[18:19], v[130:131], v[130:131], v[128:129]
	v_rcp_f64_e32 v[146:147], v[144:145]
	v_div_scale_f64 v[148:149], vcc, v[128:129], v[130:131], v[128:129]
	v_fma_f64 v[150:151], -v[144:145], v[146:147], 1.0
	v_fmac_f64_e32 v[146:147], v[146:147], v[150:151]
	v_fma_f64 v[150:151], -v[144:145], v[146:147], 1.0
	v_fmac_f64_e32 v[146:147], v[146:147], v[150:151]
	v_mul_f64 v[150:151], v[148:149], v[146:147]
	v_fma_f64 v[144:145], -v[144:145], v[150:151], v[148:149]
	v_div_fmas_f64 v[144:145], v[144:145], v[146:147], v[150:151]
	v_div_fixup_f64 v[144:145], v[144:145], v[130:131], v[128:129]
	v_fmac_f64_e32 v[130:131], v[128:129], v[144:145]
	v_div_scale_f64 v[128:129], s[18:19], v[130:131], v[130:131], 1.0
	v_rcp_f64_e32 v[146:147], v[128:129]
	s_nop 0
	v_fma_f64 v[148:149], -v[128:129], v[146:147], 1.0
	v_fmac_f64_e32 v[146:147], v[146:147], v[148:149]
	v_fma_f64 v[148:149], -v[128:129], v[146:147], 1.0
	v_fmac_f64_e32 v[146:147], v[146:147], v[148:149]
	v_div_scale_f64 v[148:149], vcc, 1.0, v[130:131], 1.0
	v_mul_f64 v[150:151], v[148:149], v[146:147]
	v_fma_f64 v[128:129], -v[128:129], v[150:151], v[148:149]
	s_nop 1
	v_div_fmas_f64 v[128:129], v[128:129], v[146:147], v[150:151]
	v_div_fixup_f64 v[130:131], v[128:129], v[130:131], 1.0
	v_mul_f64 v[128:129], v[144:145], v[130:131]
	v_xor_b32_e32 v131, 0x80000000, v131
.LBB62_133:
	s_andn2_saveexec_b64 s[16:17], s[16:17]
	s_cbranch_execz .LBB62_135
; %bb.134:
	v_div_scale_f64 v[144:145], s[18:19], v[128:129], v[128:129], v[130:131]
	v_rcp_f64_e32 v[146:147], v[144:145]
	v_div_scale_f64 v[148:149], vcc, v[130:131], v[128:129], v[130:131]
	v_fma_f64 v[150:151], -v[144:145], v[146:147], 1.0
	v_fmac_f64_e32 v[146:147], v[146:147], v[150:151]
	v_fma_f64 v[150:151], -v[144:145], v[146:147], 1.0
	v_fmac_f64_e32 v[146:147], v[146:147], v[150:151]
	v_mul_f64 v[150:151], v[148:149], v[146:147]
	v_fma_f64 v[144:145], -v[144:145], v[150:151], v[148:149]
	v_div_fmas_f64 v[144:145], v[144:145], v[146:147], v[150:151]
	v_div_fixup_f64 v[144:145], v[144:145], v[128:129], v[130:131]
	v_fmac_f64_e32 v[128:129], v[130:131], v[144:145]
	v_div_scale_f64 v[130:131], s[18:19], v[128:129], v[128:129], 1.0
	v_rcp_f64_e32 v[146:147], v[130:131]
	s_nop 0
	v_fma_f64 v[148:149], -v[130:131], v[146:147], 1.0
	v_fmac_f64_e32 v[146:147], v[146:147], v[148:149]
	v_fma_f64 v[148:149], -v[130:131], v[146:147], 1.0
	v_fmac_f64_e32 v[146:147], v[146:147], v[148:149]
	v_div_scale_f64 v[148:149], vcc, 1.0, v[128:129], 1.0
	v_mul_f64 v[150:151], v[148:149], v[146:147]
	v_fma_f64 v[130:131], -v[130:131], v[150:151], v[148:149]
	s_nop 1
	v_div_fmas_f64 v[130:131], v[130:131], v[146:147], v[150:151]
	v_div_fixup_f64 v[128:129], v[130:131], v[128:129], 1.0
	v_mul_f64 v[130:131], v[144:145], -v[128:129]
.LBB62_135:
	s_or_b64 exec, exec, s[16:17]
.LBB62_136:
	s_or_b64 exec, exec, s[0:1]
	v_cmp_ne_u32_e32 vcc, v141, v138
	s_and_saveexec_b64 s[0:1], vcc
	s_xor_b64 s[0:1], exec, s[0:1]
	s_cbranch_execz .LBB62_142
; %bb.137:
	v_cmp_eq_u32_e32 vcc, 6, v141
	s_and_saveexec_b64 s[16:17], vcc
	s_cbranch_execz .LBB62_141
; %bb.138:
	v_cmp_ne_u32_e32 vcc, 6, v138
	s_xor_b64 s[18:19], s[14:15], -1
	s_and_b64 s[22:23], s[18:19], vcc
	s_and_saveexec_b64 s[18:19], s[22:23]
	s_cbranch_execz .LBB62_140
; %bb.139:
	v_ashrrev_i32_e32 v139, 31, v138
	v_lshl_add_u64 v[144:145], v[138:139], 2, v[136:137]
	global_load_dword v139, v[144:145], off
	global_load_dword v141, v[136:137], off offset:24
	s_waitcnt vmcnt(1)
	global_store_dword v[136:137], v139, off offset:24
	s_waitcnt vmcnt(1)
	global_store_dword v[144:145], v141, off
.LBB62_140:
	s_or_b64 exec, exec, s[18:19]
	v_mov_b32_e32 v141, v138
	v_mov_b32_e32 v143, v138
.LBB62_141:
	s_or_b64 exec, exec, s[16:17]
.LBB62_142:
	s_andn2_saveexec_b64 s[0:1], s[0:1]
	s_cbranch_execz .LBB62_144
; %bb.143:
	v_mov_b32_e32 v141, 6
	s_waitcnt vmcnt(24)
	ds_write2_b64 v140, v[100:101], v[102:103] offset0:14 offset1:15
	s_waitcnt vmcnt(23)
	ds_write2_b64 v140, v[96:97], v[98:99] offset0:16 offset1:17
	;; [unrolled: 2-line block ×25, first 2 shown]
.LBB62_144:
	s_or_b64 exec, exec, s[0:1]
	v_cmp_lt_i32_e32 vcc, 6, v141
	s_waitcnt lgkmcnt(0)
	s_barrier
	s_and_saveexec_b64 s[0:1], vcc
	s_cbranch_execz .LBB62_146
; %bb.145:
	ds_read2_b64 v[144:147], v140 offset0:14 offset1:15
	v_mul_f64 v[138:139], v[130:131], v[106:107]
	v_mul_f64 v[106:107], v[128:129], v[106:107]
	v_fmac_f64_e32 v[106:107], v[130:131], v[104:105]
	v_fma_f64 v[138:139], v[128:129], v[104:105], -v[138:139]
	ds_read2_b64 v[128:131], v140 offset0:16 offset1:17
	s_waitcnt lgkmcnt(1)
	v_mul_f64 v[104:105], v[146:147], v[106:107]
	v_fma_f64 v[104:105], v[144:145], v[138:139], -v[104:105]
	v_mul_f64 v[144:145], v[144:145], v[106:107]
	v_fmac_f64_e32 v[144:145], v[146:147], v[138:139]
	s_waitcnt vmcnt(24)
	v_add_f64 v[102:103], v[102:103], -v[144:145]
	ds_read2_b64 v[144:147], v140 offset0:18 offset1:19
	v_add_f64 v[100:101], v[100:101], -v[104:105]
	s_waitcnt lgkmcnt(1)
	v_mul_f64 v[104:105], v[130:131], v[106:107]
	v_fma_f64 v[104:105], v[128:129], v[138:139], -v[104:105]
	v_mul_f64 v[128:129], v[128:129], v[106:107]
	v_fmac_f64_e32 v[128:129], v[130:131], v[138:139]
	s_waitcnt vmcnt(23)
	v_add_f64 v[96:97], v[96:97], -v[104:105]
	v_add_f64 v[98:99], v[98:99], -v[128:129]
	ds_read2_b64 v[128:131], v140 offset0:20 offset1:21
	s_waitcnt lgkmcnt(1)
	v_mul_f64 v[104:105], v[146:147], v[106:107]
	v_fma_f64 v[104:105], v[144:145], v[138:139], -v[104:105]
	v_mul_f64 v[144:145], v[144:145], v[106:107]
	v_fmac_f64_e32 v[144:145], v[146:147], v[138:139]
	s_waitcnt vmcnt(22)
	v_add_f64 v[94:95], v[94:95], -v[144:145]
	ds_read2_b64 v[144:147], v140 offset0:22 offset1:23
	v_add_f64 v[92:93], v[92:93], -v[104:105]
	s_waitcnt lgkmcnt(1)
	v_mul_f64 v[104:105], v[130:131], v[106:107]
	v_fma_f64 v[104:105], v[128:129], v[138:139], -v[104:105]
	v_mul_f64 v[128:129], v[128:129], v[106:107]
	v_fmac_f64_e32 v[128:129], v[130:131], v[138:139]
	s_waitcnt vmcnt(21)
	v_add_f64 v[84:85], v[84:85], -v[104:105]
	v_add_f64 v[86:87], v[86:87], -v[128:129]
	;; [unrolled: 18-line block ×12, first 2 shown]
	s_waitcnt lgkmcnt(0)
	v_mul_f64 v[104:105], v[146:147], v[106:107]
	v_mul_f64 v[128:129], v[144:145], v[106:107]
	v_fma_f64 v[104:105], v[144:145], v[138:139], -v[104:105]
	v_fmac_f64_e32 v[128:129], v[146:147], v[138:139]
	s_waitcnt vmcnt(0)
	v_add_f64 v[124:125], v[124:125], -v[104:105]
	v_add_f64 v[126:127], v[126:127], -v[128:129]
	v_mov_b64_e32 v[104:105], v[138:139]
.LBB62_146:
	s_or_b64 exec, exec, s[0:1]
	v_lshl_add_u32 v128, v141, 4, v140
	s_barrier
	s_waitcnt vmcnt(24)
	ds_write2_b64 v128, v[100:101], v[102:103] offset1:1
	s_waitcnt lgkmcnt(0)
	s_barrier
	ds_read2_b64 v[128:131], v140 offset0:14 offset1:15
	s_cmp_lt_i32 s20, 9
	v_mov_b32_e32 v138, 7
	s_cbranch_scc1 .LBB62_149
; %bb.147:
	v_add_u32_e32 v139, 0x80, v140
	s_mov_b32 s16, 8
	v_mov_b32_e32 v138, 7
.LBB62_148:                             ; =>This Inner Loop Header: Depth=1
	ds_read2_b64 v[144:147], v139 offset1:1
	s_waitcnt lgkmcnt(1)
	v_xor_b32_e32 v149, 0x80000000, v129
	v_xor_b32_e32 v151, 0x80000000, v131
	v_cmp_gt_f64_e32 vcc, 0, v[130:131]
	v_cmp_gt_f64_e64 s[0:1], 0, v[128:129]
	v_mov_b32_e32 v148, v128
	v_mov_b32_e32 v150, v130
	v_cndmask_b32_e64 v149, v129, v149, s[0:1]
	v_cndmask_b32_e32 v151, v131, v151, vcc
	v_add_f64 v[148:149], v[148:149], v[150:151]
	s_waitcnt lgkmcnt(0)
	v_xor_b32_e32 v151, 0x80000000, v145
	v_xor_b32_e32 v153, 0x80000000, v147
	v_cmp_gt_f64_e32 vcc, 0, v[146:147]
	v_cmp_gt_f64_e64 s[0:1], 0, v[144:145]
	v_mov_b32_e32 v150, v144
	v_mov_b32_e32 v152, v146
	v_cndmask_b32_e64 v151, v145, v151, s[0:1]
	v_cndmask_b32_e32 v153, v147, v153, vcc
	v_add_f64 v[150:151], v[150:151], v[152:153]
	v_mov_b32_e32 v154, s16
	s_add_i32 s16, s16, 1
	v_cmp_lt_f64_e32 vcc, v[148:149], v[150:151]
	v_add_u32_e32 v139, 16, v139
	s_cmp_lg_u32 s20, s16
	v_cndmask_b32_e32 v129, v129, v145, vcc
	v_cndmask_b32_e32 v128, v128, v144, vcc
	;; [unrolled: 1-line block ×5, first 2 shown]
	s_cbranch_scc1 .LBB62_148
.LBB62_149:
	s_waitcnt lgkmcnt(0)
	v_cmp_eq_f64_e32 vcc, 0, v[128:129]
	v_cmp_eq_f64_e64 s[0:1], 0, v[130:131]
	s_and_b64 s[0:1], vcc, s[0:1]
	s_and_saveexec_b64 s[16:17], s[0:1]
	s_xor_b64 s[0:1], exec, s[16:17]
; %bb.150:
	v_cmp_ne_u32_e32 vcc, 0, v142
	s_nop 1
	v_cndmask_b32_e32 v142, 8, v142, vcc
; %bb.151:
	s_andn2_saveexec_b64 s[0:1], s[0:1]
	s_cbranch_execz .LBB62_157
; %bb.152:
	v_cmp_ngt_f64_e64 s[16:17], |v[128:129]|, |v[130:131]|
	s_and_saveexec_b64 s[18:19], s[16:17]
	s_xor_b64 s[16:17], exec, s[18:19]
	s_cbranch_execz .LBB62_154
; %bb.153:
	v_div_scale_f64 v[144:145], s[18:19], v[130:131], v[130:131], v[128:129]
	v_rcp_f64_e32 v[146:147], v[144:145]
	v_div_scale_f64 v[148:149], vcc, v[128:129], v[130:131], v[128:129]
	v_fma_f64 v[150:151], -v[144:145], v[146:147], 1.0
	v_fmac_f64_e32 v[146:147], v[146:147], v[150:151]
	v_fma_f64 v[150:151], -v[144:145], v[146:147], 1.0
	v_fmac_f64_e32 v[146:147], v[146:147], v[150:151]
	v_mul_f64 v[150:151], v[148:149], v[146:147]
	v_fma_f64 v[144:145], -v[144:145], v[150:151], v[148:149]
	v_div_fmas_f64 v[144:145], v[144:145], v[146:147], v[150:151]
	v_div_fixup_f64 v[144:145], v[144:145], v[130:131], v[128:129]
	v_fmac_f64_e32 v[130:131], v[128:129], v[144:145]
	v_div_scale_f64 v[128:129], s[18:19], v[130:131], v[130:131], 1.0
	v_rcp_f64_e32 v[146:147], v[128:129]
	s_nop 0
	v_fma_f64 v[148:149], -v[128:129], v[146:147], 1.0
	v_fmac_f64_e32 v[146:147], v[146:147], v[148:149]
	v_fma_f64 v[148:149], -v[128:129], v[146:147], 1.0
	v_fmac_f64_e32 v[146:147], v[146:147], v[148:149]
	v_div_scale_f64 v[148:149], vcc, 1.0, v[130:131], 1.0
	v_mul_f64 v[150:151], v[148:149], v[146:147]
	v_fma_f64 v[128:129], -v[128:129], v[150:151], v[148:149]
	s_nop 1
	v_div_fmas_f64 v[128:129], v[128:129], v[146:147], v[150:151]
	v_div_fixup_f64 v[130:131], v[128:129], v[130:131], 1.0
	v_mul_f64 v[128:129], v[144:145], v[130:131]
	v_xor_b32_e32 v131, 0x80000000, v131
.LBB62_154:
	s_andn2_saveexec_b64 s[16:17], s[16:17]
	s_cbranch_execz .LBB62_156
; %bb.155:
	v_div_scale_f64 v[144:145], s[18:19], v[128:129], v[128:129], v[130:131]
	v_rcp_f64_e32 v[146:147], v[144:145]
	v_div_scale_f64 v[148:149], vcc, v[130:131], v[128:129], v[130:131]
	v_fma_f64 v[150:151], -v[144:145], v[146:147], 1.0
	v_fmac_f64_e32 v[146:147], v[146:147], v[150:151]
	v_fma_f64 v[150:151], -v[144:145], v[146:147], 1.0
	v_fmac_f64_e32 v[146:147], v[146:147], v[150:151]
	v_mul_f64 v[150:151], v[148:149], v[146:147]
	v_fma_f64 v[144:145], -v[144:145], v[150:151], v[148:149]
	v_div_fmas_f64 v[144:145], v[144:145], v[146:147], v[150:151]
	v_div_fixup_f64 v[144:145], v[144:145], v[128:129], v[130:131]
	v_fmac_f64_e32 v[128:129], v[130:131], v[144:145]
	v_div_scale_f64 v[130:131], s[18:19], v[128:129], v[128:129], 1.0
	v_rcp_f64_e32 v[146:147], v[130:131]
	s_nop 0
	v_fma_f64 v[148:149], -v[130:131], v[146:147], 1.0
	v_fmac_f64_e32 v[146:147], v[146:147], v[148:149]
	v_fma_f64 v[148:149], -v[130:131], v[146:147], 1.0
	v_fmac_f64_e32 v[146:147], v[146:147], v[148:149]
	v_div_scale_f64 v[148:149], vcc, 1.0, v[128:129], 1.0
	v_mul_f64 v[150:151], v[148:149], v[146:147]
	v_fma_f64 v[130:131], -v[130:131], v[150:151], v[148:149]
	s_nop 1
	v_div_fmas_f64 v[130:131], v[130:131], v[146:147], v[150:151]
	v_div_fixup_f64 v[128:129], v[130:131], v[128:129], 1.0
	v_mul_f64 v[130:131], v[144:145], -v[128:129]
.LBB62_156:
	s_or_b64 exec, exec, s[16:17]
.LBB62_157:
	s_or_b64 exec, exec, s[0:1]
	v_cmp_ne_u32_e32 vcc, v141, v138
	s_and_saveexec_b64 s[0:1], vcc
	s_xor_b64 s[0:1], exec, s[0:1]
	s_cbranch_execz .LBB62_163
; %bb.158:
	v_cmp_eq_u32_e32 vcc, 7, v141
	s_and_saveexec_b64 s[16:17], vcc
	s_cbranch_execz .LBB62_162
; %bb.159:
	v_cmp_ne_u32_e32 vcc, 7, v138
	s_xor_b64 s[18:19], s[14:15], -1
	s_and_b64 s[22:23], s[18:19], vcc
	s_and_saveexec_b64 s[18:19], s[22:23]
	s_cbranch_execz .LBB62_161
; %bb.160:
	v_ashrrev_i32_e32 v139, 31, v138
	v_lshl_add_u64 v[144:145], v[138:139], 2, v[136:137]
	global_load_dword v139, v[144:145], off
	global_load_dword v141, v[136:137], off offset:28
	s_waitcnt vmcnt(1)
	global_store_dword v[136:137], v139, off offset:28
	s_waitcnt vmcnt(1)
	global_store_dword v[144:145], v141, off
.LBB62_161:
	s_or_b64 exec, exec, s[18:19]
	v_mov_b32_e32 v141, v138
	v_mov_b32_e32 v143, v138
.LBB62_162:
	s_or_b64 exec, exec, s[16:17]
.LBB62_163:
	s_andn2_saveexec_b64 s[0:1], s[0:1]
	s_cbranch_execz .LBB62_165
; %bb.164:
	v_mov_b32_e32 v141, 7
	s_waitcnt vmcnt(23)
	ds_write2_b64 v140, v[96:97], v[98:99] offset0:16 offset1:17
	s_waitcnt vmcnt(22)
	ds_write2_b64 v140, v[92:93], v[94:95] offset0:18 offset1:19
	;; [unrolled: 2-line block ×24, first 2 shown]
.LBB62_165:
	s_or_b64 exec, exec, s[0:1]
	v_cmp_lt_i32_e32 vcc, 7, v141
	s_waitcnt lgkmcnt(0)
	s_barrier
	s_and_saveexec_b64 s[0:1], vcc
	s_cbranch_execz .LBB62_167
; %bb.166:
	ds_read2_b64 v[144:147], v140 offset0:16 offset1:17
	v_mul_f64 v[138:139], v[130:131], v[102:103]
	v_mul_f64 v[102:103], v[128:129], v[102:103]
	v_fma_f64 v[138:139], v[128:129], v[100:101], -v[138:139]
	v_fmac_f64_e32 v[102:103], v[130:131], v[100:101]
	ds_read2_b64 v[128:131], v140 offset0:18 offset1:19
	s_waitcnt lgkmcnt(1)
	v_mul_f64 v[100:101], v[146:147], v[102:103]
	v_fma_f64 v[100:101], v[144:145], v[138:139], -v[100:101]
	v_mul_f64 v[144:145], v[144:145], v[102:103]
	v_fmac_f64_e32 v[144:145], v[146:147], v[138:139]
	s_waitcnt vmcnt(23)
	v_add_f64 v[96:97], v[96:97], -v[100:101]
	s_waitcnt lgkmcnt(0)
	v_mul_f64 v[100:101], v[130:131], v[102:103]
	v_add_f64 v[98:99], v[98:99], -v[144:145]
	v_fma_f64 v[100:101], v[128:129], v[138:139], -v[100:101]
	v_mul_f64 v[128:129], v[128:129], v[102:103]
	ds_read2_b64 v[144:147], v140 offset0:20 offset1:21
	v_fmac_f64_e32 v[128:129], v[130:131], v[138:139]
	s_waitcnt vmcnt(22)
	v_add_f64 v[94:95], v[94:95], -v[128:129]
	ds_read2_b64 v[128:131], v140 offset0:22 offset1:23
	v_add_f64 v[92:93], v[92:93], -v[100:101]
	s_waitcnt lgkmcnt(1)
	v_mul_f64 v[100:101], v[146:147], v[102:103]
	v_fma_f64 v[100:101], v[144:145], v[138:139], -v[100:101]
	v_mul_f64 v[144:145], v[144:145], v[102:103]
	v_fmac_f64_e32 v[144:145], v[146:147], v[138:139]
	s_waitcnt vmcnt(21)
	v_add_f64 v[84:85], v[84:85], -v[100:101]
	s_waitcnt lgkmcnt(0)
	v_mul_f64 v[100:101], v[130:131], v[102:103]
	v_add_f64 v[86:87], v[86:87], -v[144:145]
	v_fma_f64 v[100:101], v[128:129], v[138:139], -v[100:101]
	v_mul_f64 v[128:129], v[128:129], v[102:103]
	ds_read2_b64 v[144:147], v140 offset0:24 offset1:25
	v_fmac_f64_e32 v[128:129], v[130:131], v[138:139]
	s_waitcnt vmcnt(20)
	v_add_f64 v[78:79], v[78:79], -v[128:129]
	ds_read2_b64 v[128:131], v140 offset0:26 offset1:27
	v_add_f64 v[76:77], v[76:77], -v[100:101]
	;; [unrolled: 18-line block ×11, first 2 shown]
	s_waitcnt lgkmcnt(1)
	v_mul_f64 v[100:101], v[146:147], v[102:103]
	v_fma_f64 v[100:101], v[144:145], v[138:139], -v[100:101]
	s_waitcnt vmcnt(1)
	v_add_f64 v[0:1], v[0:1], -v[100:101]
	s_waitcnt lgkmcnt(0)
	v_mul_f64 v[100:101], v[130:131], v[102:103]
	v_mul_f64 v[144:145], v[144:145], v[102:103]
	v_fma_f64 v[100:101], v[128:129], v[138:139], -v[100:101]
	v_mul_f64 v[128:129], v[128:129], v[102:103]
	v_fmac_f64_e32 v[144:145], v[146:147], v[138:139]
	v_fmac_f64_e32 v[128:129], v[130:131], v[138:139]
	v_add_f64 v[2:3], v[2:3], -v[144:145]
	s_waitcnt vmcnt(0)
	v_add_f64 v[124:125], v[124:125], -v[100:101]
	v_add_f64 v[126:127], v[126:127], -v[128:129]
	v_mov_b64_e32 v[100:101], v[138:139]
.LBB62_167:
	s_or_b64 exec, exec, s[0:1]
	v_lshl_add_u32 v128, v141, 4, v140
	s_barrier
	s_waitcnt vmcnt(23)
	ds_write2_b64 v128, v[96:97], v[98:99] offset1:1
	s_waitcnt lgkmcnt(0)
	s_barrier
	ds_read2_b64 v[128:131], v140 offset0:16 offset1:17
	s_cmp_lt_i32 s20, 10
	v_mov_b32_e32 v138, 8
	s_cbranch_scc1 .LBB62_170
; %bb.168:
	v_add_u32_e32 v139, 0x90, v140
	s_mov_b32 s16, 9
	v_mov_b32_e32 v138, 8
.LBB62_169:                             ; =>This Inner Loop Header: Depth=1
	ds_read2_b64 v[144:147], v139 offset1:1
	s_waitcnt lgkmcnt(1)
	v_xor_b32_e32 v149, 0x80000000, v129
	v_xor_b32_e32 v151, 0x80000000, v131
	v_cmp_gt_f64_e32 vcc, 0, v[130:131]
	v_cmp_gt_f64_e64 s[0:1], 0, v[128:129]
	v_mov_b32_e32 v148, v128
	v_mov_b32_e32 v150, v130
	v_cndmask_b32_e64 v149, v129, v149, s[0:1]
	v_cndmask_b32_e32 v151, v131, v151, vcc
	v_add_f64 v[148:149], v[148:149], v[150:151]
	s_waitcnt lgkmcnt(0)
	v_xor_b32_e32 v151, 0x80000000, v145
	v_xor_b32_e32 v153, 0x80000000, v147
	v_cmp_gt_f64_e32 vcc, 0, v[146:147]
	v_cmp_gt_f64_e64 s[0:1], 0, v[144:145]
	v_mov_b32_e32 v150, v144
	v_mov_b32_e32 v152, v146
	v_cndmask_b32_e64 v151, v145, v151, s[0:1]
	v_cndmask_b32_e32 v153, v147, v153, vcc
	v_add_f64 v[150:151], v[150:151], v[152:153]
	v_mov_b32_e32 v154, s16
	s_add_i32 s16, s16, 1
	v_cmp_lt_f64_e32 vcc, v[148:149], v[150:151]
	v_add_u32_e32 v139, 16, v139
	s_cmp_lg_u32 s20, s16
	v_cndmask_b32_e32 v129, v129, v145, vcc
	v_cndmask_b32_e32 v128, v128, v144, vcc
	;; [unrolled: 1-line block ×5, first 2 shown]
	s_cbranch_scc1 .LBB62_169
.LBB62_170:
	s_waitcnt lgkmcnt(0)
	v_cmp_eq_f64_e32 vcc, 0, v[128:129]
	v_cmp_eq_f64_e64 s[0:1], 0, v[130:131]
	s_and_b64 s[0:1], vcc, s[0:1]
	s_and_saveexec_b64 s[16:17], s[0:1]
	s_xor_b64 s[0:1], exec, s[16:17]
; %bb.171:
	v_cmp_ne_u32_e32 vcc, 0, v142
	s_nop 1
	v_cndmask_b32_e32 v142, 9, v142, vcc
; %bb.172:
	s_andn2_saveexec_b64 s[0:1], s[0:1]
	s_cbranch_execz .LBB62_178
; %bb.173:
	v_cmp_ngt_f64_e64 s[16:17], |v[128:129]|, |v[130:131]|
	s_and_saveexec_b64 s[18:19], s[16:17]
	s_xor_b64 s[16:17], exec, s[18:19]
	s_cbranch_execz .LBB62_175
; %bb.174:
	v_div_scale_f64 v[144:145], s[18:19], v[130:131], v[130:131], v[128:129]
	v_rcp_f64_e32 v[146:147], v[144:145]
	v_div_scale_f64 v[148:149], vcc, v[128:129], v[130:131], v[128:129]
	v_fma_f64 v[150:151], -v[144:145], v[146:147], 1.0
	v_fmac_f64_e32 v[146:147], v[146:147], v[150:151]
	v_fma_f64 v[150:151], -v[144:145], v[146:147], 1.0
	v_fmac_f64_e32 v[146:147], v[146:147], v[150:151]
	v_mul_f64 v[150:151], v[148:149], v[146:147]
	v_fma_f64 v[144:145], -v[144:145], v[150:151], v[148:149]
	v_div_fmas_f64 v[144:145], v[144:145], v[146:147], v[150:151]
	v_div_fixup_f64 v[144:145], v[144:145], v[130:131], v[128:129]
	v_fmac_f64_e32 v[130:131], v[128:129], v[144:145]
	v_div_scale_f64 v[128:129], s[18:19], v[130:131], v[130:131], 1.0
	v_rcp_f64_e32 v[146:147], v[128:129]
	s_nop 0
	v_fma_f64 v[148:149], -v[128:129], v[146:147], 1.0
	v_fmac_f64_e32 v[146:147], v[146:147], v[148:149]
	v_fma_f64 v[148:149], -v[128:129], v[146:147], 1.0
	v_fmac_f64_e32 v[146:147], v[146:147], v[148:149]
	v_div_scale_f64 v[148:149], vcc, 1.0, v[130:131], 1.0
	v_mul_f64 v[150:151], v[148:149], v[146:147]
	v_fma_f64 v[128:129], -v[128:129], v[150:151], v[148:149]
	s_nop 1
	v_div_fmas_f64 v[128:129], v[128:129], v[146:147], v[150:151]
	v_div_fixup_f64 v[130:131], v[128:129], v[130:131], 1.0
	v_mul_f64 v[128:129], v[144:145], v[130:131]
	v_xor_b32_e32 v131, 0x80000000, v131
.LBB62_175:
	s_andn2_saveexec_b64 s[16:17], s[16:17]
	s_cbranch_execz .LBB62_177
; %bb.176:
	v_div_scale_f64 v[144:145], s[18:19], v[128:129], v[128:129], v[130:131]
	v_rcp_f64_e32 v[146:147], v[144:145]
	v_div_scale_f64 v[148:149], vcc, v[130:131], v[128:129], v[130:131]
	v_fma_f64 v[150:151], -v[144:145], v[146:147], 1.0
	v_fmac_f64_e32 v[146:147], v[146:147], v[150:151]
	v_fma_f64 v[150:151], -v[144:145], v[146:147], 1.0
	v_fmac_f64_e32 v[146:147], v[146:147], v[150:151]
	v_mul_f64 v[150:151], v[148:149], v[146:147]
	v_fma_f64 v[144:145], -v[144:145], v[150:151], v[148:149]
	v_div_fmas_f64 v[144:145], v[144:145], v[146:147], v[150:151]
	v_div_fixup_f64 v[144:145], v[144:145], v[128:129], v[130:131]
	v_fmac_f64_e32 v[128:129], v[130:131], v[144:145]
	v_div_scale_f64 v[130:131], s[18:19], v[128:129], v[128:129], 1.0
	v_rcp_f64_e32 v[146:147], v[130:131]
	s_nop 0
	v_fma_f64 v[148:149], -v[130:131], v[146:147], 1.0
	v_fmac_f64_e32 v[146:147], v[146:147], v[148:149]
	v_fma_f64 v[148:149], -v[130:131], v[146:147], 1.0
	v_fmac_f64_e32 v[146:147], v[146:147], v[148:149]
	v_div_scale_f64 v[148:149], vcc, 1.0, v[128:129], 1.0
	v_mul_f64 v[150:151], v[148:149], v[146:147]
	v_fma_f64 v[130:131], -v[130:131], v[150:151], v[148:149]
	s_nop 1
	v_div_fmas_f64 v[130:131], v[130:131], v[146:147], v[150:151]
	v_div_fixup_f64 v[128:129], v[130:131], v[128:129], 1.0
	v_mul_f64 v[130:131], v[144:145], -v[128:129]
.LBB62_177:
	s_or_b64 exec, exec, s[16:17]
.LBB62_178:
	s_or_b64 exec, exec, s[0:1]
	v_cmp_ne_u32_e32 vcc, v141, v138
	s_and_saveexec_b64 s[0:1], vcc
	s_xor_b64 s[0:1], exec, s[0:1]
	s_cbranch_execz .LBB62_184
; %bb.179:
	v_cmp_eq_u32_e32 vcc, 8, v141
	s_and_saveexec_b64 s[16:17], vcc
	s_cbranch_execz .LBB62_183
; %bb.180:
	v_cmp_ne_u32_e32 vcc, 8, v138
	s_xor_b64 s[18:19], s[14:15], -1
	s_and_b64 s[22:23], s[18:19], vcc
	s_and_saveexec_b64 s[18:19], s[22:23]
	s_cbranch_execz .LBB62_182
; %bb.181:
	v_ashrrev_i32_e32 v139, 31, v138
	v_lshl_add_u64 v[144:145], v[138:139], 2, v[136:137]
	global_load_dword v139, v[144:145], off
	global_load_dword v141, v[136:137], off offset:32
	s_waitcnt vmcnt(1)
	global_store_dword v[136:137], v139, off offset:32
	s_waitcnt vmcnt(1)
	global_store_dword v[144:145], v141, off
.LBB62_182:
	s_or_b64 exec, exec, s[18:19]
	v_mov_b32_e32 v141, v138
	v_mov_b32_e32 v143, v138
.LBB62_183:
	s_or_b64 exec, exec, s[16:17]
.LBB62_184:
	s_andn2_saveexec_b64 s[0:1], s[0:1]
	s_cbranch_execz .LBB62_186
; %bb.185:
	v_mov_b32_e32 v141, 8
	s_waitcnt vmcnt(22)
	ds_write2_b64 v140, v[92:93], v[94:95] offset0:18 offset1:19
	s_waitcnt vmcnt(21)
	ds_write2_b64 v140, v[84:85], v[86:87] offset0:20 offset1:21
	;; [unrolled: 2-line block ×23, first 2 shown]
.LBB62_186:
	s_or_b64 exec, exec, s[0:1]
	v_cmp_lt_i32_e32 vcc, 8, v141
	s_waitcnt lgkmcnt(0)
	s_barrier
	s_and_saveexec_b64 s[0:1], vcc
	s_cbranch_execz .LBB62_188
; %bb.187:
	ds_read2_b64 v[144:147], v140 offset0:18 offset1:19
	v_mul_f64 v[138:139], v[130:131], v[98:99]
	v_mul_f64 v[98:99], v[128:129], v[98:99]
	v_fmac_f64_e32 v[98:99], v[130:131], v[96:97]
	v_fma_f64 v[138:139], v[128:129], v[96:97], -v[138:139]
	ds_read2_b64 v[128:131], v140 offset0:20 offset1:21
	s_waitcnt lgkmcnt(1)
	v_mul_f64 v[96:97], v[146:147], v[98:99]
	v_fma_f64 v[96:97], v[144:145], v[138:139], -v[96:97]
	v_mul_f64 v[144:145], v[144:145], v[98:99]
	v_fmac_f64_e32 v[144:145], v[146:147], v[138:139]
	s_waitcnt vmcnt(22)
	v_add_f64 v[94:95], v[94:95], -v[144:145]
	ds_read2_b64 v[144:147], v140 offset0:22 offset1:23
	v_add_f64 v[92:93], v[92:93], -v[96:97]
	s_waitcnt lgkmcnt(1)
	v_mul_f64 v[96:97], v[130:131], v[98:99]
	v_fma_f64 v[96:97], v[128:129], v[138:139], -v[96:97]
	v_mul_f64 v[128:129], v[128:129], v[98:99]
	v_fmac_f64_e32 v[128:129], v[130:131], v[138:139]
	s_waitcnt vmcnt(21)
	v_add_f64 v[84:85], v[84:85], -v[96:97]
	v_add_f64 v[86:87], v[86:87], -v[128:129]
	ds_read2_b64 v[128:131], v140 offset0:24 offset1:25
	s_waitcnt lgkmcnt(1)
	v_mul_f64 v[96:97], v[146:147], v[98:99]
	v_fma_f64 v[96:97], v[144:145], v[138:139], -v[96:97]
	v_mul_f64 v[144:145], v[144:145], v[98:99]
	v_fmac_f64_e32 v[144:145], v[146:147], v[138:139]
	s_waitcnt vmcnt(20)
	v_add_f64 v[78:79], v[78:79], -v[144:145]
	ds_read2_b64 v[144:147], v140 offset0:26 offset1:27
	v_add_f64 v[76:77], v[76:77], -v[96:97]
	s_waitcnt lgkmcnt(1)
	v_mul_f64 v[96:97], v[130:131], v[98:99]
	v_fma_f64 v[96:97], v[128:129], v[138:139], -v[96:97]
	v_mul_f64 v[128:129], v[128:129], v[98:99]
	v_fmac_f64_e32 v[128:129], v[130:131], v[138:139]
	s_waitcnt vmcnt(19)
	v_add_f64 v[72:73], v[72:73], -v[96:97]
	v_add_f64 v[74:75], v[74:75], -v[128:129]
	;; [unrolled: 18-line block ×11, first 2 shown]
	s_waitcnt lgkmcnt(0)
	v_mul_f64 v[96:97], v[146:147], v[98:99]
	v_mul_f64 v[128:129], v[144:145], v[98:99]
	v_fma_f64 v[96:97], v[144:145], v[138:139], -v[96:97]
	v_fmac_f64_e32 v[128:129], v[146:147], v[138:139]
	s_waitcnt vmcnt(0)
	v_add_f64 v[124:125], v[124:125], -v[96:97]
	v_add_f64 v[126:127], v[126:127], -v[128:129]
	v_mov_b64_e32 v[96:97], v[138:139]
.LBB62_188:
	s_or_b64 exec, exec, s[0:1]
	v_lshl_add_u32 v128, v141, 4, v140
	s_barrier
	s_waitcnt vmcnt(22)
	ds_write2_b64 v128, v[92:93], v[94:95] offset1:1
	s_waitcnt lgkmcnt(0)
	s_barrier
	ds_read2_b64 v[128:131], v140 offset0:18 offset1:19
	s_cmp_lt_i32 s20, 11
	v_mov_b32_e32 v138, 9
	s_cbranch_scc1 .LBB62_191
; %bb.189:
	v_add_u32_e32 v139, 0xa0, v140
	s_mov_b32 s16, 10
	v_mov_b32_e32 v138, 9
.LBB62_190:                             ; =>This Inner Loop Header: Depth=1
	ds_read2_b64 v[144:147], v139 offset1:1
	s_waitcnt lgkmcnt(1)
	v_xor_b32_e32 v149, 0x80000000, v129
	v_xor_b32_e32 v151, 0x80000000, v131
	v_cmp_gt_f64_e32 vcc, 0, v[130:131]
	v_cmp_gt_f64_e64 s[0:1], 0, v[128:129]
	v_mov_b32_e32 v148, v128
	v_mov_b32_e32 v150, v130
	v_cndmask_b32_e64 v149, v129, v149, s[0:1]
	v_cndmask_b32_e32 v151, v131, v151, vcc
	v_add_f64 v[148:149], v[148:149], v[150:151]
	s_waitcnt lgkmcnt(0)
	v_xor_b32_e32 v151, 0x80000000, v145
	v_xor_b32_e32 v153, 0x80000000, v147
	v_cmp_gt_f64_e32 vcc, 0, v[146:147]
	v_cmp_gt_f64_e64 s[0:1], 0, v[144:145]
	v_mov_b32_e32 v150, v144
	v_mov_b32_e32 v152, v146
	v_cndmask_b32_e64 v151, v145, v151, s[0:1]
	v_cndmask_b32_e32 v153, v147, v153, vcc
	v_add_f64 v[150:151], v[150:151], v[152:153]
	v_mov_b32_e32 v154, s16
	s_add_i32 s16, s16, 1
	v_cmp_lt_f64_e32 vcc, v[148:149], v[150:151]
	v_add_u32_e32 v139, 16, v139
	s_cmp_lg_u32 s20, s16
	v_cndmask_b32_e32 v129, v129, v145, vcc
	v_cndmask_b32_e32 v128, v128, v144, vcc
	;; [unrolled: 1-line block ×5, first 2 shown]
	s_cbranch_scc1 .LBB62_190
.LBB62_191:
	s_waitcnt lgkmcnt(0)
	v_cmp_eq_f64_e32 vcc, 0, v[128:129]
	v_cmp_eq_f64_e64 s[0:1], 0, v[130:131]
	s_and_b64 s[0:1], vcc, s[0:1]
	s_and_saveexec_b64 s[16:17], s[0:1]
	s_xor_b64 s[0:1], exec, s[16:17]
; %bb.192:
	v_cmp_ne_u32_e32 vcc, 0, v142
	s_nop 1
	v_cndmask_b32_e32 v142, 10, v142, vcc
; %bb.193:
	s_andn2_saveexec_b64 s[0:1], s[0:1]
	s_cbranch_execz .LBB62_199
; %bb.194:
	v_cmp_ngt_f64_e64 s[16:17], |v[128:129]|, |v[130:131]|
	s_and_saveexec_b64 s[18:19], s[16:17]
	s_xor_b64 s[16:17], exec, s[18:19]
	s_cbranch_execz .LBB62_196
; %bb.195:
	v_div_scale_f64 v[144:145], s[18:19], v[130:131], v[130:131], v[128:129]
	v_rcp_f64_e32 v[146:147], v[144:145]
	v_div_scale_f64 v[148:149], vcc, v[128:129], v[130:131], v[128:129]
	v_fma_f64 v[150:151], -v[144:145], v[146:147], 1.0
	v_fmac_f64_e32 v[146:147], v[146:147], v[150:151]
	v_fma_f64 v[150:151], -v[144:145], v[146:147], 1.0
	v_fmac_f64_e32 v[146:147], v[146:147], v[150:151]
	v_mul_f64 v[150:151], v[148:149], v[146:147]
	v_fma_f64 v[144:145], -v[144:145], v[150:151], v[148:149]
	v_div_fmas_f64 v[144:145], v[144:145], v[146:147], v[150:151]
	v_div_fixup_f64 v[144:145], v[144:145], v[130:131], v[128:129]
	v_fmac_f64_e32 v[130:131], v[128:129], v[144:145]
	v_div_scale_f64 v[128:129], s[18:19], v[130:131], v[130:131], 1.0
	v_rcp_f64_e32 v[146:147], v[128:129]
	s_nop 0
	v_fma_f64 v[148:149], -v[128:129], v[146:147], 1.0
	v_fmac_f64_e32 v[146:147], v[146:147], v[148:149]
	v_fma_f64 v[148:149], -v[128:129], v[146:147], 1.0
	v_fmac_f64_e32 v[146:147], v[146:147], v[148:149]
	v_div_scale_f64 v[148:149], vcc, 1.0, v[130:131], 1.0
	v_mul_f64 v[150:151], v[148:149], v[146:147]
	v_fma_f64 v[128:129], -v[128:129], v[150:151], v[148:149]
	s_nop 1
	v_div_fmas_f64 v[128:129], v[128:129], v[146:147], v[150:151]
	v_div_fixup_f64 v[130:131], v[128:129], v[130:131], 1.0
	v_mul_f64 v[128:129], v[144:145], v[130:131]
	v_xor_b32_e32 v131, 0x80000000, v131
.LBB62_196:
	s_andn2_saveexec_b64 s[16:17], s[16:17]
	s_cbranch_execz .LBB62_198
; %bb.197:
	v_div_scale_f64 v[144:145], s[18:19], v[128:129], v[128:129], v[130:131]
	v_rcp_f64_e32 v[146:147], v[144:145]
	v_div_scale_f64 v[148:149], vcc, v[130:131], v[128:129], v[130:131]
	v_fma_f64 v[150:151], -v[144:145], v[146:147], 1.0
	v_fmac_f64_e32 v[146:147], v[146:147], v[150:151]
	v_fma_f64 v[150:151], -v[144:145], v[146:147], 1.0
	v_fmac_f64_e32 v[146:147], v[146:147], v[150:151]
	v_mul_f64 v[150:151], v[148:149], v[146:147]
	v_fma_f64 v[144:145], -v[144:145], v[150:151], v[148:149]
	v_div_fmas_f64 v[144:145], v[144:145], v[146:147], v[150:151]
	v_div_fixup_f64 v[144:145], v[144:145], v[128:129], v[130:131]
	v_fmac_f64_e32 v[128:129], v[130:131], v[144:145]
	v_div_scale_f64 v[130:131], s[18:19], v[128:129], v[128:129], 1.0
	v_rcp_f64_e32 v[146:147], v[130:131]
	s_nop 0
	v_fma_f64 v[148:149], -v[130:131], v[146:147], 1.0
	v_fmac_f64_e32 v[146:147], v[146:147], v[148:149]
	v_fma_f64 v[148:149], -v[130:131], v[146:147], 1.0
	v_fmac_f64_e32 v[146:147], v[146:147], v[148:149]
	v_div_scale_f64 v[148:149], vcc, 1.0, v[128:129], 1.0
	v_mul_f64 v[150:151], v[148:149], v[146:147]
	v_fma_f64 v[130:131], -v[130:131], v[150:151], v[148:149]
	s_nop 1
	v_div_fmas_f64 v[130:131], v[130:131], v[146:147], v[150:151]
	v_div_fixup_f64 v[128:129], v[130:131], v[128:129], 1.0
	v_mul_f64 v[130:131], v[144:145], -v[128:129]
.LBB62_198:
	s_or_b64 exec, exec, s[16:17]
.LBB62_199:
	s_or_b64 exec, exec, s[0:1]
	v_cmp_ne_u32_e32 vcc, v141, v138
	s_and_saveexec_b64 s[0:1], vcc
	s_xor_b64 s[0:1], exec, s[0:1]
	s_cbranch_execz .LBB62_205
; %bb.200:
	v_cmp_eq_u32_e32 vcc, 9, v141
	s_and_saveexec_b64 s[16:17], vcc
	s_cbranch_execz .LBB62_204
; %bb.201:
	v_cmp_ne_u32_e32 vcc, 9, v138
	s_xor_b64 s[18:19], s[14:15], -1
	s_and_b64 s[22:23], s[18:19], vcc
	s_and_saveexec_b64 s[18:19], s[22:23]
	s_cbranch_execz .LBB62_203
; %bb.202:
	v_ashrrev_i32_e32 v139, 31, v138
	v_lshl_add_u64 v[144:145], v[138:139], 2, v[136:137]
	global_load_dword v139, v[144:145], off
	global_load_dword v141, v[136:137], off offset:36
	s_waitcnt vmcnt(1)
	global_store_dword v[136:137], v139, off offset:36
	s_waitcnt vmcnt(1)
	global_store_dword v[144:145], v141, off
.LBB62_203:
	s_or_b64 exec, exec, s[18:19]
	v_mov_b32_e32 v141, v138
	v_mov_b32_e32 v143, v138
.LBB62_204:
	s_or_b64 exec, exec, s[16:17]
.LBB62_205:
	s_andn2_saveexec_b64 s[0:1], s[0:1]
	s_cbranch_execz .LBB62_207
; %bb.206:
	v_mov_b32_e32 v141, 9
	s_waitcnt vmcnt(21)
	ds_write2_b64 v140, v[84:85], v[86:87] offset0:20 offset1:21
	s_waitcnt vmcnt(20)
	ds_write2_b64 v140, v[76:77], v[78:79] offset0:22 offset1:23
	;; [unrolled: 2-line block ×22, first 2 shown]
.LBB62_207:
	s_or_b64 exec, exec, s[0:1]
	v_cmp_lt_i32_e32 vcc, 9, v141
	s_waitcnt lgkmcnt(0)
	s_barrier
	s_and_saveexec_b64 s[0:1], vcc
	s_cbranch_execz .LBB62_209
; %bb.208:
	ds_read2_b64 v[144:147], v140 offset0:20 offset1:21
	v_mul_f64 v[138:139], v[130:131], v[94:95]
	v_mul_f64 v[94:95], v[128:129], v[94:95]
	v_fma_f64 v[138:139], v[128:129], v[92:93], -v[138:139]
	v_fmac_f64_e32 v[94:95], v[130:131], v[92:93]
	ds_read2_b64 v[128:131], v140 offset0:22 offset1:23
	s_waitcnt lgkmcnt(1)
	v_mul_f64 v[92:93], v[146:147], v[94:95]
	v_fma_f64 v[92:93], v[144:145], v[138:139], -v[92:93]
	v_mul_f64 v[144:145], v[144:145], v[94:95]
	v_fmac_f64_e32 v[144:145], v[146:147], v[138:139]
	s_waitcnt vmcnt(21)
	v_add_f64 v[84:85], v[84:85], -v[92:93]
	s_waitcnt lgkmcnt(0)
	v_mul_f64 v[92:93], v[130:131], v[94:95]
	v_add_f64 v[86:87], v[86:87], -v[144:145]
	v_fma_f64 v[92:93], v[128:129], v[138:139], -v[92:93]
	v_mul_f64 v[128:129], v[128:129], v[94:95]
	ds_read2_b64 v[144:147], v140 offset0:24 offset1:25
	v_fmac_f64_e32 v[128:129], v[130:131], v[138:139]
	s_waitcnt vmcnt(20)
	v_add_f64 v[78:79], v[78:79], -v[128:129]
	ds_read2_b64 v[128:131], v140 offset0:26 offset1:27
	v_add_f64 v[76:77], v[76:77], -v[92:93]
	s_waitcnt lgkmcnt(1)
	v_mul_f64 v[92:93], v[146:147], v[94:95]
	v_fma_f64 v[92:93], v[144:145], v[138:139], -v[92:93]
	v_mul_f64 v[144:145], v[144:145], v[94:95]
	v_fmac_f64_e32 v[144:145], v[146:147], v[138:139]
	s_waitcnt vmcnt(19)
	v_add_f64 v[72:73], v[72:73], -v[92:93]
	s_waitcnt lgkmcnt(0)
	v_mul_f64 v[92:93], v[130:131], v[94:95]
	v_add_f64 v[74:75], v[74:75], -v[144:145]
	v_fma_f64 v[92:93], v[128:129], v[138:139], -v[92:93]
	v_mul_f64 v[128:129], v[128:129], v[94:95]
	ds_read2_b64 v[144:147], v140 offset0:28 offset1:29
	v_fmac_f64_e32 v[128:129], v[130:131], v[138:139]
	s_waitcnt vmcnt(18)
	v_add_f64 v[66:67], v[66:67], -v[128:129]
	ds_read2_b64 v[128:131], v140 offset0:30 offset1:31
	v_add_f64 v[64:65], v[64:65], -v[92:93]
	;; [unrolled: 18-line block ×10, first 2 shown]
	s_waitcnt lgkmcnt(1)
	v_mul_f64 v[92:93], v[146:147], v[94:95]
	v_fma_f64 v[92:93], v[144:145], v[138:139], -v[92:93]
	s_waitcnt vmcnt(1)
	v_add_f64 v[0:1], v[0:1], -v[92:93]
	s_waitcnt lgkmcnt(0)
	v_mul_f64 v[92:93], v[130:131], v[94:95]
	v_mul_f64 v[144:145], v[144:145], v[94:95]
	v_fma_f64 v[92:93], v[128:129], v[138:139], -v[92:93]
	v_mul_f64 v[128:129], v[128:129], v[94:95]
	v_fmac_f64_e32 v[144:145], v[146:147], v[138:139]
	v_fmac_f64_e32 v[128:129], v[130:131], v[138:139]
	v_add_f64 v[2:3], v[2:3], -v[144:145]
	s_waitcnt vmcnt(0)
	v_add_f64 v[124:125], v[124:125], -v[92:93]
	v_add_f64 v[126:127], v[126:127], -v[128:129]
	v_mov_b64_e32 v[92:93], v[138:139]
.LBB62_209:
	s_or_b64 exec, exec, s[0:1]
	v_lshl_add_u32 v128, v141, 4, v140
	s_barrier
	s_waitcnt vmcnt(21)
	ds_write2_b64 v128, v[84:85], v[86:87] offset1:1
	s_waitcnt lgkmcnt(0)
	s_barrier
	ds_read2_b64 v[128:131], v140 offset0:20 offset1:21
	s_cmp_lt_i32 s20, 12
	v_mov_b32_e32 v138, 10
	s_cbranch_scc1 .LBB62_212
; %bb.210:
	v_add_u32_e32 v139, 0xb0, v140
	s_mov_b32 s16, 11
	v_mov_b32_e32 v138, 10
.LBB62_211:                             ; =>This Inner Loop Header: Depth=1
	ds_read2_b64 v[144:147], v139 offset1:1
	s_waitcnt lgkmcnt(1)
	v_xor_b32_e32 v149, 0x80000000, v129
	v_xor_b32_e32 v151, 0x80000000, v131
	v_cmp_gt_f64_e32 vcc, 0, v[130:131]
	v_cmp_gt_f64_e64 s[0:1], 0, v[128:129]
	v_mov_b32_e32 v148, v128
	v_mov_b32_e32 v150, v130
	v_cndmask_b32_e64 v149, v129, v149, s[0:1]
	v_cndmask_b32_e32 v151, v131, v151, vcc
	v_add_f64 v[148:149], v[148:149], v[150:151]
	s_waitcnt lgkmcnt(0)
	v_xor_b32_e32 v151, 0x80000000, v145
	v_xor_b32_e32 v153, 0x80000000, v147
	v_cmp_gt_f64_e32 vcc, 0, v[146:147]
	v_cmp_gt_f64_e64 s[0:1], 0, v[144:145]
	v_mov_b32_e32 v150, v144
	v_mov_b32_e32 v152, v146
	v_cndmask_b32_e64 v151, v145, v151, s[0:1]
	v_cndmask_b32_e32 v153, v147, v153, vcc
	v_add_f64 v[150:151], v[150:151], v[152:153]
	v_mov_b32_e32 v154, s16
	s_add_i32 s16, s16, 1
	v_cmp_lt_f64_e32 vcc, v[148:149], v[150:151]
	v_add_u32_e32 v139, 16, v139
	s_cmp_lg_u32 s20, s16
	v_cndmask_b32_e32 v129, v129, v145, vcc
	v_cndmask_b32_e32 v128, v128, v144, vcc
	;; [unrolled: 1-line block ×5, first 2 shown]
	s_cbranch_scc1 .LBB62_211
.LBB62_212:
	s_waitcnt lgkmcnt(0)
	v_cmp_eq_f64_e32 vcc, 0, v[128:129]
	v_cmp_eq_f64_e64 s[0:1], 0, v[130:131]
	s_and_b64 s[0:1], vcc, s[0:1]
	s_and_saveexec_b64 s[16:17], s[0:1]
	s_xor_b64 s[0:1], exec, s[16:17]
; %bb.213:
	v_cmp_ne_u32_e32 vcc, 0, v142
	s_nop 1
	v_cndmask_b32_e32 v142, 11, v142, vcc
; %bb.214:
	s_andn2_saveexec_b64 s[0:1], s[0:1]
	s_cbranch_execz .LBB62_220
; %bb.215:
	v_cmp_ngt_f64_e64 s[16:17], |v[128:129]|, |v[130:131]|
	s_and_saveexec_b64 s[18:19], s[16:17]
	s_xor_b64 s[16:17], exec, s[18:19]
	s_cbranch_execz .LBB62_217
; %bb.216:
	v_div_scale_f64 v[144:145], s[18:19], v[130:131], v[130:131], v[128:129]
	v_rcp_f64_e32 v[146:147], v[144:145]
	v_div_scale_f64 v[148:149], vcc, v[128:129], v[130:131], v[128:129]
	v_fma_f64 v[150:151], -v[144:145], v[146:147], 1.0
	v_fmac_f64_e32 v[146:147], v[146:147], v[150:151]
	v_fma_f64 v[150:151], -v[144:145], v[146:147], 1.0
	v_fmac_f64_e32 v[146:147], v[146:147], v[150:151]
	v_mul_f64 v[150:151], v[148:149], v[146:147]
	v_fma_f64 v[144:145], -v[144:145], v[150:151], v[148:149]
	v_div_fmas_f64 v[144:145], v[144:145], v[146:147], v[150:151]
	v_div_fixup_f64 v[144:145], v[144:145], v[130:131], v[128:129]
	v_fmac_f64_e32 v[130:131], v[128:129], v[144:145]
	v_div_scale_f64 v[128:129], s[18:19], v[130:131], v[130:131], 1.0
	v_rcp_f64_e32 v[146:147], v[128:129]
	s_nop 0
	v_fma_f64 v[148:149], -v[128:129], v[146:147], 1.0
	v_fmac_f64_e32 v[146:147], v[146:147], v[148:149]
	v_fma_f64 v[148:149], -v[128:129], v[146:147], 1.0
	v_fmac_f64_e32 v[146:147], v[146:147], v[148:149]
	v_div_scale_f64 v[148:149], vcc, 1.0, v[130:131], 1.0
	v_mul_f64 v[150:151], v[148:149], v[146:147]
	v_fma_f64 v[128:129], -v[128:129], v[150:151], v[148:149]
	s_nop 1
	v_div_fmas_f64 v[128:129], v[128:129], v[146:147], v[150:151]
	v_div_fixup_f64 v[130:131], v[128:129], v[130:131], 1.0
	v_mul_f64 v[128:129], v[144:145], v[130:131]
	v_xor_b32_e32 v131, 0x80000000, v131
.LBB62_217:
	s_andn2_saveexec_b64 s[16:17], s[16:17]
	s_cbranch_execz .LBB62_219
; %bb.218:
	v_div_scale_f64 v[144:145], s[18:19], v[128:129], v[128:129], v[130:131]
	v_rcp_f64_e32 v[146:147], v[144:145]
	v_div_scale_f64 v[148:149], vcc, v[130:131], v[128:129], v[130:131]
	v_fma_f64 v[150:151], -v[144:145], v[146:147], 1.0
	v_fmac_f64_e32 v[146:147], v[146:147], v[150:151]
	v_fma_f64 v[150:151], -v[144:145], v[146:147], 1.0
	v_fmac_f64_e32 v[146:147], v[146:147], v[150:151]
	v_mul_f64 v[150:151], v[148:149], v[146:147]
	v_fma_f64 v[144:145], -v[144:145], v[150:151], v[148:149]
	v_div_fmas_f64 v[144:145], v[144:145], v[146:147], v[150:151]
	v_div_fixup_f64 v[144:145], v[144:145], v[128:129], v[130:131]
	v_fmac_f64_e32 v[128:129], v[130:131], v[144:145]
	v_div_scale_f64 v[130:131], s[18:19], v[128:129], v[128:129], 1.0
	v_rcp_f64_e32 v[146:147], v[130:131]
	s_nop 0
	v_fma_f64 v[148:149], -v[130:131], v[146:147], 1.0
	v_fmac_f64_e32 v[146:147], v[146:147], v[148:149]
	v_fma_f64 v[148:149], -v[130:131], v[146:147], 1.0
	v_fmac_f64_e32 v[146:147], v[146:147], v[148:149]
	v_div_scale_f64 v[148:149], vcc, 1.0, v[128:129], 1.0
	v_mul_f64 v[150:151], v[148:149], v[146:147]
	v_fma_f64 v[130:131], -v[130:131], v[150:151], v[148:149]
	s_nop 1
	v_div_fmas_f64 v[130:131], v[130:131], v[146:147], v[150:151]
	v_div_fixup_f64 v[128:129], v[130:131], v[128:129], 1.0
	v_mul_f64 v[130:131], v[144:145], -v[128:129]
.LBB62_219:
	s_or_b64 exec, exec, s[16:17]
.LBB62_220:
	s_or_b64 exec, exec, s[0:1]
	v_cmp_ne_u32_e32 vcc, v141, v138
	s_and_saveexec_b64 s[0:1], vcc
	s_xor_b64 s[0:1], exec, s[0:1]
	s_cbranch_execz .LBB62_226
; %bb.221:
	v_cmp_eq_u32_e32 vcc, 10, v141
	s_and_saveexec_b64 s[16:17], vcc
	s_cbranch_execz .LBB62_225
; %bb.222:
	v_cmp_ne_u32_e32 vcc, 10, v138
	s_xor_b64 s[18:19], s[14:15], -1
	s_and_b64 s[22:23], s[18:19], vcc
	s_and_saveexec_b64 s[18:19], s[22:23]
	s_cbranch_execz .LBB62_224
; %bb.223:
	v_ashrrev_i32_e32 v139, 31, v138
	v_lshl_add_u64 v[144:145], v[138:139], 2, v[136:137]
	global_load_dword v139, v[144:145], off
	global_load_dword v141, v[136:137], off offset:40
	s_waitcnt vmcnt(1)
	global_store_dword v[136:137], v139, off offset:40
	s_waitcnt vmcnt(1)
	global_store_dword v[144:145], v141, off
.LBB62_224:
	s_or_b64 exec, exec, s[18:19]
	v_mov_b32_e32 v141, v138
	v_mov_b32_e32 v143, v138
.LBB62_225:
	s_or_b64 exec, exec, s[16:17]
.LBB62_226:
	s_andn2_saveexec_b64 s[0:1], s[0:1]
	s_cbranch_execz .LBB62_228
; %bb.227:
	v_mov_b32_e32 v141, 10
	s_waitcnt vmcnt(20)
	ds_write2_b64 v140, v[76:77], v[78:79] offset0:22 offset1:23
	s_waitcnt vmcnt(19)
	ds_write2_b64 v140, v[72:73], v[74:75] offset0:24 offset1:25
	;; [unrolled: 2-line block ×21, first 2 shown]
.LBB62_228:
	s_or_b64 exec, exec, s[0:1]
	v_cmp_lt_i32_e32 vcc, 10, v141
	s_waitcnt lgkmcnt(0)
	s_barrier
	s_and_saveexec_b64 s[0:1], vcc
	s_cbranch_execz .LBB62_230
; %bb.229:
	ds_read2_b64 v[144:147], v140 offset0:22 offset1:23
	v_mul_f64 v[138:139], v[130:131], v[86:87]
	v_mul_f64 v[86:87], v[128:129], v[86:87]
	v_fmac_f64_e32 v[86:87], v[130:131], v[84:85]
	v_fma_f64 v[138:139], v[128:129], v[84:85], -v[138:139]
	ds_read2_b64 v[128:131], v140 offset0:24 offset1:25
	s_waitcnt lgkmcnt(1)
	v_mul_f64 v[84:85], v[146:147], v[86:87]
	v_fma_f64 v[84:85], v[144:145], v[138:139], -v[84:85]
	v_mul_f64 v[144:145], v[144:145], v[86:87]
	v_fmac_f64_e32 v[144:145], v[146:147], v[138:139]
	s_waitcnt vmcnt(20)
	v_add_f64 v[78:79], v[78:79], -v[144:145]
	ds_read2_b64 v[144:147], v140 offset0:26 offset1:27
	v_add_f64 v[76:77], v[76:77], -v[84:85]
	s_waitcnt lgkmcnt(1)
	v_mul_f64 v[84:85], v[130:131], v[86:87]
	v_fma_f64 v[84:85], v[128:129], v[138:139], -v[84:85]
	v_mul_f64 v[128:129], v[128:129], v[86:87]
	v_fmac_f64_e32 v[128:129], v[130:131], v[138:139]
	s_waitcnt vmcnt(19)
	v_add_f64 v[72:73], v[72:73], -v[84:85]
	v_add_f64 v[74:75], v[74:75], -v[128:129]
	ds_read2_b64 v[128:131], v140 offset0:28 offset1:29
	s_waitcnt lgkmcnt(1)
	v_mul_f64 v[84:85], v[146:147], v[86:87]
	v_fma_f64 v[84:85], v[144:145], v[138:139], -v[84:85]
	v_mul_f64 v[144:145], v[144:145], v[86:87]
	v_fmac_f64_e32 v[144:145], v[146:147], v[138:139]
	s_waitcnt vmcnt(18)
	v_add_f64 v[66:67], v[66:67], -v[144:145]
	ds_read2_b64 v[144:147], v140 offset0:30 offset1:31
	v_add_f64 v[64:65], v[64:65], -v[84:85]
	s_waitcnt lgkmcnt(1)
	v_mul_f64 v[84:85], v[130:131], v[86:87]
	v_fma_f64 v[84:85], v[128:129], v[138:139], -v[84:85]
	v_mul_f64 v[128:129], v[128:129], v[86:87]
	v_fmac_f64_e32 v[128:129], v[130:131], v[138:139]
	s_waitcnt vmcnt(17)
	v_add_f64 v[68:69], v[68:69], -v[84:85]
	v_add_f64 v[70:71], v[70:71], -v[128:129]
	;; [unrolled: 18-line block ×10, first 2 shown]
	s_waitcnt lgkmcnt(0)
	v_mul_f64 v[84:85], v[146:147], v[86:87]
	v_mul_f64 v[128:129], v[144:145], v[86:87]
	v_fma_f64 v[84:85], v[144:145], v[138:139], -v[84:85]
	v_fmac_f64_e32 v[128:129], v[146:147], v[138:139]
	s_waitcnt vmcnt(0)
	v_add_f64 v[124:125], v[124:125], -v[84:85]
	v_add_f64 v[126:127], v[126:127], -v[128:129]
	v_mov_b64_e32 v[84:85], v[138:139]
.LBB62_230:
	s_or_b64 exec, exec, s[0:1]
	v_lshl_add_u32 v128, v141, 4, v140
	s_barrier
	s_waitcnt vmcnt(20)
	ds_write2_b64 v128, v[76:77], v[78:79] offset1:1
	s_waitcnt lgkmcnt(0)
	s_barrier
	ds_read2_b64 v[128:131], v140 offset0:22 offset1:23
	s_cmp_lt_i32 s20, 13
	v_mov_b32_e32 v138, 11
	s_cbranch_scc1 .LBB62_233
; %bb.231:
	v_add_u32_e32 v139, 0xc0, v140
	s_mov_b32 s16, 12
	v_mov_b32_e32 v138, 11
.LBB62_232:                             ; =>This Inner Loop Header: Depth=1
	ds_read2_b64 v[144:147], v139 offset1:1
	s_waitcnt lgkmcnt(1)
	v_xor_b32_e32 v149, 0x80000000, v129
	v_xor_b32_e32 v151, 0x80000000, v131
	v_cmp_gt_f64_e32 vcc, 0, v[130:131]
	v_cmp_gt_f64_e64 s[0:1], 0, v[128:129]
	v_mov_b32_e32 v148, v128
	v_mov_b32_e32 v150, v130
	v_cndmask_b32_e64 v149, v129, v149, s[0:1]
	v_cndmask_b32_e32 v151, v131, v151, vcc
	v_add_f64 v[148:149], v[148:149], v[150:151]
	s_waitcnt lgkmcnt(0)
	v_xor_b32_e32 v151, 0x80000000, v145
	v_xor_b32_e32 v153, 0x80000000, v147
	v_cmp_gt_f64_e32 vcc, 0, v[146:147]
	v_cmp_gt_f64_e64 s[0:1], 0, v[144:145]
	v_mov_b32_e32 v150, v144
	v_mov_b32_e32 v152, v146
	v_cndmask_b32_e64 v151, v145, v151, s[0:1]
	v_cndmask_b32_e32 v153, v147, v153, vcc
	v_add_f64 v[150:151], v[150:151], v[152:153]
	v_mov_b32_e32 v154, s16
	s_add_i32 s16, s16, 1
	v_cmp_lt_f64_e32 vcc, v[148:149], v[150:151]
	v_add_u32_e32 v139, 16, v139
	s_cmp_lg_u32 s20, s16
	v_cndmask_b32_e32 v129, v129, v145, vcc
	v_cndmask_b32_e32 v128, v128, v144, vcc
	;; [unrolled: 1-line block ×5, first 2 shown]
	s_cbranch_scc1 .LBB62_232
.LBB62_233:
	s_waitcnt lgkmcnt(0)
	v_cmp_eq_f64_e32 vcc, 0, v[128:129]
	v_cmp_eq_f64_e64 s[0:1], 0, v[130:131]
	s_and_b64 s[0:1], vcc, s[0:1]
	s_and_saveexec_b64 s[16:17], s[0:1]
	s_xor_b64 s[0:1], exec, s[16:17]
; %bb.234:
	v_cmp_ne_u32_e32 vcc, 0, v142
	s_nop 1
	v_cndmask_b32_e32 v142, 12, v142, vcc
; %bb.235:
	s_andn2_saveexec_b64 s[0:1], s[0:1]
	s_cbranch_execz .LBB62_241
; %bb.236:
	v_cmp_ngt_f64_e64 s[16:17], |v[128:129]|, |v[130:131]|
	s_and_saveexec_b64 s[18:19], s[16:17]
	s_xor_b64 s[16:17], exec, s[18:19]
	s_cbranch_execz .LBB62_238
; %bb.237:
	v_div_scale_f64 v[144:145], s[18:19], v[130:131], v[130:131], v[128:129]
	v_rcp_f64_e32 v[146:147], v[144:145]
	v_div_scale_f64 v[148:149], vcc, v[128:129], v[130:131], v[128:129]
	v_fma_f64 v[150:151], -v[144:145], v[146:147], 1.0
	v_fmac_f64_e32 v[146:147], v[146:147], v[150:151]
	v_fma_f64 v[150:151], -v[144:145], v[146:147], 1.0
	v_fmac_f64_e32 v[146:147], v[146:147], v[150:151]
	v_mul_f64 v[150:151], v[148:149], v[146:147]
	v_fma_f64 v[144:145], -v[144:145], v[150:151], v[148:149]
	v_div_fmas_f64 v[144:145], v[144:145], v[146:147], v[150:151]
	v_div_fixup_f64 v[144:145], v[144:145], v[130:131], v[128:129]
	v_fmac_f64_e32 v[130:131], v[128:129], v[144:145]
	v_div_scale_f64 v[128:129], s[18:19], v[130:131], v[130:131], 1.0
	v_rcp_f64_e32 v[146:147], v[128:129]
	s_nop 0
	v_fma_f64 v[148:149], -v[128:129], v[146:147], 1.0
	v_fmac_f64_e32 v[146:147], v[146:147], v[148:149]
	v_fma_f64 v[148:149], -v[128:129], v[146:147], 1.0
	v_fmac_f64_e32 v[146:147], v[146:147], v[148:149]
	v_div_scale_f64 v[148:149], vcc, 1.0, v[130:131], 1.0
	v_mul_f64 v[150:151], v[148:149], v[146:147]
	v_fma_f64 v[128:129], -v[128:129], v[150:151], v[148:149]
	s_nop 1
	v_div_fmas_f64 v[128:129], v[128:129], v[146:147], v[150:151]
	v_div_fixup_f64 v[130:131], v[128:129], v[130:131], 1.0
	v_mul_f64 v[128:129], v[144:145], v[130:131]
	v_xor_b32_e32 v131, 0x80000000, v131
.LBB62_238:
	s_andn2_saveexec_b64 s[16:17], s[16:17]
	s_cbranch_execz .LBB62_240
; %bb.239:
	v_div_scale_f64 v[144:145], s[18:19], v[128:129], v[128:129], v[130:131]
	v_rcp_f64_e32 v[146:147], v[144:145]
	v_div_scale_f64 v[148:149], vcc, v[130:131], v[128:129], v[130:131]
	v_fma_f64 v[150:151], -v[144:145], v[146:147], 1.0
	v_fmac_f64_e32 v[146:147], v[146:147], v[150:151]
	v_fma_f64 v[150:151], -v[144:145], v[146:147], 1.0
	v_fmac_f64_e32 v[146:147], v[146:147], v[150:151]
	v_mul_f64 v[150:151], v[148:149], v[146:147]
	v_fma_f64 v[144:145], -v[144:145], v[150:151], v[148:149]
	v_div_fmas_f64 v[144:145], v[144:145], v[146:147], v[150:151]
	v_div_fixup_f64 v[144:145], v[144:145], v[128:129], v[130:131]
	v_fmac_f64_e32 v[128:129], v[130:131], v[144:145]
	v_div_scale_f64 v[130:131], s[18:19], v[128:129], v[128:129], 1.0
	v_rcp_f64_e32 v[146:147], v[130:131]
	s_nop 0
	v_fma_f64 v[148:149], -v[130:131], v[146:147], 1.0
	v_fmac_f64_e32 v[146:147], v[146:147], v[148:149]
	v_fma_f64 v[148:149], -v[130:131], v[146:147], 1.0
	v_fmac_f64_e32 v[146:147], v[146:147], v[148:149]
	v_div_scale_f64 v[148:149], vcc, 1.0, v[128:129], 1.0
	v_mul_f64 v[150:151], v[148:149], v[146:147]
	v_fma_f64 v[130:131], -v[130:131], v[150:151], v[148:149]
	s_nop 1
	v_div_fmas_f64 v[130:131], v[130:131], v[146:147], v[150:151]
	v_div_fixup_f64 v[128:129], v[130:131], v[128:129], 1.0
	v_mul_f64 v[130:131], v[144:145], -v[128:129]
.LBB62_240:
	s_or_b64 exec, exec, s[16:17]
.LBB62_241:
	s_or_b64 exec, exec, s[0:1]
	v_cmp_ne_u32_e32 vcc, v141, v138
	s_and_saveexec_b64 s[0:1], vcc
	s_xor_b64 s[0:1], exec, s[0:1]
	s_cbranch_execz .LBB62_247
; %bb.242:
	v_cmp_eq_u32_e32 vcc, 11, v141
	s_and_saveexec_b64 s[16:17], vcc
	s_cbranch_execz .LBB62_246
; %bb.243:
	v_cmp_ne_u32_e32 vcc, 11, v138
	s_xor_b64 s[18:19], s[14:15], -1
	s_and_b64 s[22:23], s[18:19], vcc
	s_and_saveexec_b64 s[18:19], s[22:23]
	s_cbranch_execz .LBB62_245
; %bb.244:
	v_ashrrev_i32_e32 v139, 31, v138
	v_lshl_add_u64 v[144:145], v[138:139], 2, v[136:137]
	global_load_dword v139, v[144:145], off
	global_load_dword v141, v[136:137], off offset:44
	s_waitcnt vmcnt(1)
	global_store_dword v[136:137], v139, off offset:44
	s_waitcnt vmcnt(1)
	global_store_dword v[144:145], v141, off
.LBB62_245:
	s_or_b64 exec, exec, s[18:19]
	v_mov_b32_e32 v141, v138
	v_mov_b32_e32 v143, v138
.LBB62_246:
	s_or_b64 exec, exec, s[16:17]
.LBB62_247:
	s_andn2_saveexec_b64 s[0:1], s[0:1]
	s_cbranch_execz .LBB62_249
; %bb.248:
	v_mov_b32_e32 v141, 11
	s_waitcnt vmcnt(19)
	ds_write2_b64 v140, v[72:73], v[74:75] offset0:24 offset1:25
	s_waitcnt vmcnt(18)
	ds_write2_b64 v140, v[64:65], v[66:67] offset0:26 offset1:27
	;; [unrolled: 2-line block ×20, first 2 shown]
.LBB62_249:
	s_or_b64 exec, exec, s[0:1]
	v_cmp_lt_i32_e32 vcc, 11, v141
	s_waitcnt lgkmcnt(0)
	s_barrier
	s_and_saveexec_b64 s[0:1], vcc
	s_cbranch_execz .LBB62_251
; %bb.250:
	ds_read2_b64 v[144:147], v140 offset0:24 offset1:25
	v_mul_f64 v[138:139], v[130:131], v[78:79]
	v_mul_f64 v[78:79], v[128:129], v[78:79]
	v_fma_f64 v[138:139], v[128:129], v[76:77], -v[138:139]
	v_fmac_f64_e32 v[78:79], v[130:131], v[76:77]
	ds_read2_b64 v[128:131], v140 offset0:26 offset1:27
	s_waitcnt lgkmcnt(1)
	v_mul_f64 v[76:77], v[146:147], v[78:79]
	v_fma_f64 v[76:77], v[144:145], v[138:139], -v[76:77]
	v_mul_f64 v[144:145], v[144:145], v[78:79]
	v_fmac_f64_e32 v[144:145], v[146:147], v[138:139]
	s_waitcnt vmcnt(19)
	v_add_f64 v[72:73], v[72:73], -v[76:77]
	s_waitcnt lgkmcnt(0)
	v_mul_f64 v[76:77], v[130:131], v[78:79]
	v_add_f64 v[74:75], v[74:75], -v[144:145]
	v_fma_f64 v[76:77], v[128:129], v[138:139], -v[76:77]
	v_mul_f64 v[128:129], v[128:129], v[78:79]
	ds_read2_b64 v[144:147], v140 offset0:28 offset1:29
	v_fmac_f64_e32 v[128:129], v[130:131], v[138:139]
	s_waitcnt vmcnt(18)
	v_add_f64 v[66:67], v[66:67], -v[128:129]
	ds_read2_b64 v[128:131], v140 offset0:30 offset1:31
	v_add_f64 v[64:65], v[64:65], -v[76:77]
	s_waitcnt lgkmcnt(1)
	v_mul_f64 v[76:77], v[146:147], v[78:79]
	v_fma_f64 v[76:77], v[144:145], v[138:139], -v[76:77]
	v_mul_f64 v[144:145], v[144:145], v[78:79]
	v_fmac_f64_e32 v[144:145], v[146:147], v[138:139]
	s_waitcnt vmcnt(17)
	v_add_f64 v[68:69], v[68:69], -v[76:77]
	s_waitcnt lgkmcnt(0)
	v_mul_f64 v[76:77], v[130:131], v[78:79]
	v_add_f64 v[70:71], v[70:71], -v[144:145]
	v_fma_f64 v[76:77], v[128:129], v[138:139], -v[76:77]
	v_mul_f64 v[128:129], v[128:129], v[78:79]
	ds_read2_b64 v[144:147], v140 offset0:32 offset1:33
	v_fmac_f64_e32 v[128:129], v[130:131], v[138:139]
	s_waitcnt vmcnt(16)
	v_add_f64 v[62:63], v[62:63], -v[128:129]
	ds_read2_b64 v[128:131], v140 offset0:34 offset1:35
	v_add_f64 v[60:61], v[60:61], -v[76:77]
	;; [unrolled: 18-line block ×9, first 2 shown]
	s_waitcnt lgkmcnt(1)
	v_mul_f64 v[76:77], v[146:147], v[78:79]
	v_fma_f64 v[76:77], v[144:145], v[138:139], -v[76:77]
	s_waitcnt vmcnt(1)
	v_add_f64 v[0:1], v[0:1], -v[76:77]
	s_waitcnt lgkmcnt(0)
	v_mul_f64 v[76:77], v[130:131], v[78:79]
	v_mul_f64 v[144:145], v[144:145], v[78:79]
	v_fma_f64 v[76:77], v[128:129], v[138:139], -v[76:77]
	v_mul_f64 v[128:129], v[128:129], v[78:79]
	v_fmac_f64_e32 v[144:145], v[146:147], v[138:139]
	v_fmac_f64_e32 v[128:129], v[130:131], v[138:139]
	v_add_f64 v[2:3], v[2:3], -v[144:145]
	s_waitcnt vmcnt(0)
	v_add_f64 v[124:125], v[124:125], -v[76:77]
	v_add_f64 v[126:127], v[126:127], -v[128:129]
	v_mov_b64_e32 v[76:77], v[138:139]
.LBB62_251:
	s_or_b64 exec, exec, s[0:1]
	v_lshl_add_u32 v128, v141, 4, v140
	s_barrier
	s_waitcnt vmcnt(19)
	ds_write2_b64 v128, v[72:73], v[74:75] offset1:1
	s_waitcnt lgkmcnt(0)
	s_barrier
	ds_read2_b64 v[128:131], v140 offset0:24 offset1:25
	s_cmp_lt_i32 s20, 14
	v_mov_b32_e32 v138, 12
	s_cbranch_scc1 .LBB62_254
; %bb.252:
	v_add_u32_e32 v139, 0xd0, v140
	s_mov_b32 s16, 13
	v_mov_b32_e32 v138, 12
.LBB62_253:                             ; =>This Inner Loop Header: Depth=1
	ds_read2_b64 v[144:147], v139 offset1:1
	s_waitcnt lgkmcnt(1)
	v_xor_b32_e32 v149, 0x80000000, v129
	v_xor_b32_e32 v151, 0x80000000, v131
	v_cmp_gt_f64_e32 vcc, 0, v[130:131]
	v_cmp_gt_f64_e64 s[0:1], 0, v[128:129]
	v_mov_b32_e32 v148, v128
	v_mov_b32_e32 v150, v130
	v_cndmask_b32_e64 v149, v129, v149, s[0:1]
	v_cndmask_b32_e32 v151, v131, v151, vcc
	v_add_f64 v[148:149], v[148:149], v[150:151]
	s_waitcnt lgkmcnt(0)
	v_xor_b32_e32 v151, 0x80000000, v145
	v_xor_b32_e32 v153, 0x80000000, v147
	v_cmp_gt_f64_e32 vcc, 0, v[146:147]
	v_cmp_gt_f64_e64 s[0:1], 0, v[144:145]
	v_mov_b32_e32 v150, v144
	v_mov_b32_e32 v152, v146
	v_cndmask_b32_e64 v151, v145, v151, s[0:1]
	v_cndmask_b32_e32 v153, v147, v153, vcc
	v_add_f64 v[150:151], v[150:151], v[152:153]
	v_mov_b32_e32 v154, s16
	s_add_i32 s16, s16, 1
	v_cmp_lt_f64_e32 vcc, v[148:149], v[150:151]
	v_add_u32_e32 v139, 16, v139
	s_cmp_lg_u32 s20, s16
	v_cndmask_b32_e32 v129, v129, v145, vcc
	v_cndmask_b32_e32 v128, v128, v144, vcc
	;; [unrolled: 1-line block ×5, first 2 shown]
	s_cbranch_scc1 .LBB62_253
.LBB62_254:
	s_waitcnt lgkmcnt(0)
	v_cmp_eq_f64_e32 vcc, 0, v[128:129]
	v_cmp_eq_f64_e64 s[0:1], 0, v[130:131]
	s_and_b64 s[0:1], vcc, s[0:1]
	s_and_saveexec_b64 s[16:17], s[0:1]
	s_xor_b64 s[0:1], exec, s[16:17]
; %bb.255:
	v_cmp_ne_u32_e32 vcc, 0, v142
	s_nop 1
	v_cndmask_b32_e32 v142, 13, v142, vcc
; %bb.256:
	s_andn2_saveexec_b64 s[0:1], s[0:1]
	s_cbranch_execz .LBB62_262
; %bb.257:
	v_cmp_ngt_f64_e64 s[16:17], |v[128:129]|, |v[130:131]|
	s_and_saveexec_b64 s[18:19], s[16:17]
	s_xor_b64 s[16:17], exec, s[18:19]
	s_cbranch_execz .LBB62_259
; %bb.258:
	v_div_scale_f64 v[144:145], s[18:19], v[130:131], v[130:131], v[128:129]
	v_rcp_f64_e32 v[146:147], v[144:145]
	v_div_scale_f64 v[148:149], vcc, v[128:129], v[130:131], v[128:129]
	v_fma_f64 v[150:151], -v[144:145], v[146:147], 1.0
	v_fmac_f64_e32 v[146:147], v[146:147], v[150:151]
	v_fma_f64 v[150:151], -v[144:145], v[146:147], 1.0
	v_fmac_f64_e32 v[146:147], v[146:147], v[150:151]
	v_mul_f64 v[150:151], v[148:149], v[146:147]
	v_fma_f64 v[144:145], -v[144:145], v[150:151], v[148:149]
	v_div_fmas_f64 v[144:145], v[144:145], v[146:147], v[150:151]
	v_div_fixup_f64 v[144:145], v[144:145], v[130:131], v[128:129]
	v_fmac_f64_e32 v[130:131], v[128:129], v[144:145]
	v_div_scale_f64 v[128:129], s[18:19], v[130:131], v[130:131], 1.0
	v_rcp_f64_e32 v[146:147], v[128:129]
	s_nop 0
	v_fma_f64 v[148:149], -v[128:129], v[146:147], 1.0
	v_fmac_f64_e32 v[146:147], v[146:147], v[148:149]
	v_fma_f64 v[148:149], -v[128:129], v[146:147], 1.0
	v_fmac_f64_e32 v[146:147], v[146:147], v[148:149]
	v_div_scale_f64 v[148:149], vcc, 1.0, v[130:131], 1.0
	v_mul_f64 v[150:151], v[148:149], v[146:147]
	v_fma_f64 v[128:129], -v[128:129], v[150:151], v[148:149]
	s_nop 1
	v_div_fmas_f64 v[128:129], v[128:129], v[146:147], v[150:151]
	v_div_fixup_f64 v[130:131], v[128:129], v[130:131], 1.0
	v_mul_f64 v[128:129], v[144:145], v[130:131]
	v_xor_b32_e32 v131, 0x80000000, v131
.LBB62_259:
	s_andn2_saveexec_b64 s[16:17], s[16:17]
	s_cbranch_execz .LBB62_261
; %bb.260:
	v_div_scale_f64 v[144:145], s[18:19], v[128:129], v[128:129], v[130:131]
	v_rcp_f64_e32 v[146:147], v[144:145]
	v_div_scale_f64 v[148:149], vcc, v[130:131], v[128:129], v[130:131]
	v_fma_f64 v[150:151], -v[144:145], v[146:147], 1.0
	v_fmac_f64_e32 v[146:147], v[146:147], v[150:151]
	v_fma_f64 v[150:151], -v[144:145], v[146:147], 1.0
	v_fmac_f64_e32 v[146:147], v[146:147], v[150:151]
	v_mul_f64 v[150:151], v[148:149], v[146:147]
	v_fma_f64 v[144:145], -v[144:145], v[150:151], v[148:149]
	v_div_fmas_f64 v[144:145], v[144:145], v[146:147], v[150:151]
	v_div_fixup_f64 v[144:145], v[144:145], v[128:129], v[130:131]
	v_fmac_f64_e32 v[128:129], v[130:131], v[144:145]
	v_div_scale_f64 v[130:131], s[18:19], v[128:129], v[128:129], 1.0
	v_rcp_f64_e32 v[146:147], v[130:131]
	s_nop 0
	v_fma_f64 v[148:149], -v[130:131], v[146:147], 1.0
	v_fmac_f64_e32 v[146:147], v[146:147], v[148:149]
	v_fma_f64 v[148:149], -v[130:131], v[146:147], 1.0
	v_fmac_f64_e32 v[146:147], v[146:147], v[148:149]
	v_div_scale_f64 v[148:149], vcc, 1.0, v[128:129], 1.0
	v_mul_f64 v[150:151], v[148:149], v[146:147]
	v_fma_f64 v[130:131], -v[130:131], v[150:151], v[148:149]
	s_nop 1
	v_div_fmas_f64 v[130:131], v[130:131], v[146:147], v[150:151]
	v_div_fixup_f64 v[128:129], v[130:131], v[128:129], 1.0
	v_mul_f64 v[130:131], v[144:145], -v[128:129]
.LBB62_261:
	s_or_b64 exec, exec, s[16:17]
.LBB62_262:
	s_or_b64 exec, exec, s[0:1]
	v_cmp_ne_u32_e32 vcc, v141, v138
	s_and_saveexec_b64 s[0:1], vcc
	s_xor_b64 s[0:1], exec, s[0:1]
	s_cbranch_execz .LBB62_268
; %bb.263:
	v_cmp_eq_u32_e32 vcc, 12, v141
	s_and_saveexec_b64 s[16:17], vcc
	s_cbranch_execz .LBB62_267
; %bb.264:
	v_cmp_ne_u32_e32 vcc, 12, v138
	s_xor_b64 s[18:19], s[14:15], -1
	s_and_b64 s[22:23], s[18:19], vcc
	s_and_saveexec_b64 s[18:19], s[22:23]
	s_cbranch_execz .LBB62_266
; %bb.265:
	v_ashrrev_i32_e32 v139, 31, v138
	v_lshl_add_u64 v[144:145], v[138:139], 2, v[136:137]
	global_load_dword v139, v[144:145], off
	global_load_dword v141, v[136:137], off offset:48
	s_waitcnt vmcnt(1)
	global_store_dword v[136:137], v139, off offset:48
	s_waitcnt vmcnt(1)
	global_store_dword v[144:145], v141, off
.LBB62_266:
	s_or_b64 exec, exec, s[18:19]
	v_mov_b32_e32 v141, v138
	v_mov_b32_e32 v143, v138
.LBB62_267:
	s_or_b64 exec, exec, s[16:17]
.LBB62_268:
	s_andn2_saveexec_b64 s[0:1], s[0:1]
	s_cbranch_execz .LBB62_270
; %bb.269:
	v_mov_b32_e32 v141, 12
	s_waitcnt vmcnt(18)
	ds_write2_b64 v140, v[64:65], v[66:67] offset0:26 offset1:27
	s_waitcnt vmcnt(17)
	ds_write2_b64 v140, v[68:69], v[70:71] offset0:28 offset1:29
	;; [unrolled: 2-line block ×19, first 2 shown]
.LBB62_270:
	s_or_b64 exec, exec, s[0:1]
	v_cmp_lt_i32_e32 vcc, 12, v141
	s_waitcnt lgkmcnt(0)
	s_barrier
	s_and_saveexec_b64 s[0:1], vcc
	s_cbranch_execz .LBB62_272
; %bb.271:
	ds_read2_b64 v[144:147], v140 offset0:26 offset1:27
	v_mul_f64 v[138:139], v[130:131], v[74:75]
	v_mul_f64 v[74:75], v[128:129], v[74:75]
	v_fmac_f64_e32 v[74:75], v[130:131], v[72:73]
	v_fma_f64 v[138:139], v[128:129], v[72:73], -v[138:139]
	ds_read2_b64 v[128:131], v140 offset0:28 offset1:29
	s_waitcnt lgkmcnt(1)
	v_mul_f64 v[72:73], v[146:147], v[74:75]
	v_fma_f64 v[72:73], v[144:145], v[138:139], -v[72:73]
	v_mul_f64 v[144:145], v[144:145], v[74:75]
	v_fmac_f64_e32 v[144:145], v[146:147], v[138:139]
	s_waitcnt vmcnt(18)
	v_add_f64 v[66:67], v[66:67], -v[144:145]
	ds_read2_b64 v[144:147], v140 offset0:30 offset1:31
	v_add_f64 v[64:65], v[64:65], -v[72:73]
	s_waitcnt lgkmcnt(1)
	v_mul_f64 v[72:73], v[130:131], v[74:75]
	v_fma_f64 v[72:73], v[128:129], v[138:139], -v[72:73]
	v_mul_f64 v[128:129], v[128:129], v[74:75]
	v_fmac_f64_e32 v[128:129], v[130:131], v[138:139]
	s_waitcnt vmcnt(17)
	v_add_f64 v[68:69], v[68:69], -v[72:73]
	v_add_f64 v[70:71], v[70:71], -v[128:129]
	ds_read2_b64 v[128:131], v140 offset0:32 offset1:33
	s_waitcnt lgkmcnt(1)
	v_mul_f64 v[72:73], v[146:147], v[74:75]
	v_fma_f64 v[72:73], v[144:145], v[138:139], -v[72:73]
	v_mul_f64 v[144:145], v[144:145], v[74:75]
	v_fmac_f64_e32 v[144:145], v[146:147], v[138:139]
	s_waitcnt vmcnt(16)
	v_add_f64 v[62:63], v[62:63], -v[144:145]
	ds_read2_b64 v[144:147], v140 offset0:34 offset1:35
	v_add_f64 v[60:61], v[60:61], -v[72:73]
	s_waitcnt lgkmcnt(1)
	v_mul_f64 v[72:73], v[130:131], v[74:75]
	v_fma_f64 v[72:73], v[128:129], v[138:139], -v[72:73]
	v_mul_f64 v[128:129], v[128:129], v[74:75]
	v_fmac_f64_e32 v[128:129], v[130:131], v[138:139]
	s_waitcnt vmcnt(15)
	v_add_f64 v[56:57], v[56:57], -v[72:73]
	v_add_f64 v[58:59], v[58:59], -v[128:129]
	;; [unrolled: 18-line block ×9, first 2 shown]
	s_waitcnt lgkmcnt(0)
	v_mul_f64 v[72:73], v[146:147], v[74:75]
	v_mul_f64 v[128:129], v[144:145], v[74:75]
	v_fma_f64 v[72:73], v[144:145], v[138:139], -v[72:73]
	v_fmac_f64_e32 v[128:129], v[146:147], v[138:139]
	s_waitcnt vmcnt(0)
	v_add_f64 v[124:125], v[124:125], -v[72:73]
	v_add_f64 v[126:127], v[126:127], -v[128:129]
	v_mov_b64_e32 v[72:73], v[138:139]
.LBB62_272:
	s_or_b64 exec, exec, s[0:1]
	v_lshl_add_u32 v128, v141, 4, v140
	s_barrier
	s_waitcnt vmcnt(18)
	ds_write2_b64 v128, v[64:65], v[66:67] offset1:1
	s_waitcnt lgkmcnt(0)
	s_barrier
	ds_read2_b64 v[128:131], v140 offset0:26 offset1:27
	s_cmp_lt_i32 s20, 15
	v_mov_b32_e32 v138, 13
	s_cbranch_scc1 .LBB62_275
; %bb.273:
	v_add_u32_e32 v139, 0xe0, v140
	s_mov_b32 s16, 14
	v_mov_b32_e32 v138, 13
.LBB62_274:                             ; =>This Inner Loop Header: Depth=1
	ds_read2_b64 v[144:147], v139 offset1:1
	s_waitcnt lgkmcnt(1)
	v_xor_b32_e32 v149, 0x80000000, v129
	v_xor_b32_e32 v151, 0x80000000, v131
	v_cmp_gt_f64_e32 vcc, 0, v[130:131]
	v_cmp_gt_f64_e64 s[0:1], 0, v[128:129]
	v_mov_b32_e32 v148, v128
	v_mov_b32_e32 v150, v130
	v_cndmask_b32_e64 v149, v129, v149, s[0:1]
	v_cndmask_b32_e32 v151, v131, v151, vcc
	v_add_f64 v[148:149], v[148:149], v[150:151]
	s_waitcnt lgkmcnt(0)
	v_xor_b32_e32 v151, 0x80000000, v145
	v_xor_b32_e32 v153, 0x80000000, v147
	v_cmp_gt_f64_e32 vcc, 0, v[146:147]
	v_cmp_gt_f64_e64 s[0:1], 0, v[144:145]
	v_mov_b32_e32 v150, v144
	v_mov_b32_e32 v152, v146
	v_cndmask_b32_e64 v151, v145, v151, s[0:1]
	v_cndmask_b32_e32 v153, v147, v153, vcc
	v_add_f64 v[150:151], v[150:151], v[152:153]
	v_mov_b32_e32 v154, s16
	s_add_i32 s16, s16, 1
	v_cmp_lt_f64_e32 vcc, v[148:149], v[150:151]
	v_add_u32_e32 v139, 16, v139
	s_cmp_lg_u32 s20, s16
	v_cndmask_b32_e32 v129, v129, v145, vcc
	v_cndmask_b32_e32 v128, v128, v144, vcc
	;; [unrolled: 1-line block ×5, first 2 shown]
	s_cbranch_scc1 .LBB62_274
.LBB62_275:
	s_waitcnt lgkmcnt(0)
	v_cmp_eq_f64_e32 vcc, 0, v[128:129]
	v_cmp_eq_f64_e64 s[0:1], 0, v[130:131]
	s_and_b64 s[0:1], vcc, s[0:1]
	s_and_saveexec_b64 s[16:17], s[0:1]
	s_xor_b64 s[0:1], exec, s[16:17]
; %bb.276:
	v_cmp_ne_u32_e32 vcc, 0, v142
	s_nop 1
	v_cndmask_b32_e32 v142, 14, v142, vcc
; %bb.277:
	s_andn2_saveexec_b64 s[0:1], s[0:1]
	s_cbranch_execz .LBB62_283
; %bb.278:
	v_cmp_ngt_f64_e64 s[16:17], |v[128:129]|, |v[130:131]|
	s_and_saveexec_b64 s[18:19], s[16:17]
	s_xor_b64 s[16:17], exec, s[18:19]
	s_cbranch_execz .LBB62_280
; %bb.279:
	v_div_scale_f64 v[144:145], s[18:19], v[130:131], v[130:131], v[128:129]
	v_rcp_f64_e32 v[146:147], v[144:145]
	v_div_scale_f64 v[148:149], vcc, v[128:129], v[130:131], v[128:129]
	v_fma_f64 v[150:151], -v[144:145], v[146:147], 1.0
	v_fmac_f64_e32 v[146:147], v[146:147], v[150:151]
	v_fma_f64 v[150:151], -v[144:145], v[146:147], 1.0
	v_fmac_f64_e32 v[146:147], v[146:147], v[150:151]
	v_mul_f64 v[150:151], v[148:149], v[146:147]
	v_fma_f64 v[144:145], -v[144:145], v[150:151], v[148:149]
	v_div_fmas_f64 v[144:145], v[144:145], v[146:147], v[150:151]
	v_div_fixup_f64 v[144:145], v[144:145], v[130:131], v[128:129]
	v_fmac_f64_e32 v[130:131], v[128:129], v[144:145]
	v_div_scale_f64 v[128:129], s[18:19], v[130:131], v[130:131], 1.0
	v_rcp_f64_e32 v[146:147], v[128:129]
	s_nop 0
	v_fma_f64 v[148:149], -v[128:129], v[146:147], 1.0
	v_fmac_f64_e32 v[146:147], v[146:147], v[148:149]
	v_fma_f64 v[148:149], -v[128:129], v[146:147], 1.0
	v_fmac_f64_e32 v[146:147], v[146:147], v[148:149]
	v_div_scale_f64 v[148:149], vcc, 1.0, v[130:131], 1.0
	v_mul_f64 v[150:151], v[148:149], v[146:147]
	v_fma_f64 v[128:129], -v[128:129], v[150:151], v[148:149]
	s_nop 1
	v_div_fmas_f64 v[128:129], v[128:129], v[146:147], v[150:151]
	v_div_fixup_f64 v[130:131], v[128:129], v[130:131], 1.0
	v_mul_f64 v[128:129], v[144:145], v[130:131]
	v_xor_b32_e32 v131, 0x80000000, v131
.LBB62_280:
	s_andn2_saveexec_b64 s[16:17], s[16:17]
	s_cbranch_execz .LBB62_282
; %bb.281:
	v_div_scale_f64 v[144:145], s[18:19], v[128:129], v[128:129], v[130:131]
	v_rcp_f64_e32 v[146:147], v[144:145]
	v_div_scale_f64 v[148:149], vcc, v[130:131], v[128:129], v[130:131]
	v_fma_f64 v[150:151], -v[144:145], v[146:147], 1.0
	v_fmac_f64_e32 v[146:147], v[146:147], v[150:151]
	v_fma_f64 v[150:151], -v[144:145], v[146:147], 1.0
	v_fmac_f64_e32 v[146:147], v[146:147], v[150:151]
	v_mul_f64 v[150:151], v[148:149], v[146:147]
	v_fma_f64 v[144:145], -v[144:145], v[150:151], v[148:149]
	v_div_fmas_f64 v[144:145], v[144:145], v[146:147], v[150:151]
	v_div_fixup_f64 v[144:145], v[144:145], v[128:129], v[130:131]
	v_fmac_f64_e32 v[128:129], v[130:131], v[144:145]
	v_div_scale_f64 v[130:131], s[18:19], v[128:129], v[128:129], 1.0
	v_rcp_f64_e32 v[146:147], v[130:131]
	s_nop 0
	v_fma_f64 v[148:149], -v[130:131], v[146:147], 1.0
	v_fmac_f64_e32 v[146:147], v[146:147], v[148:149]
	v_fma_f64 v[148:149], -v[130:131], v[146:147], 1.0
	v_fmac_f64_e32 v[146:147], v[146:147], v[148:149]
	v_div_scale_f64 v[148:149], vcc, 1.0, v[128:129], 1.0
	v_mul_f64 v[150:151], v[148:149], v[146:147]
	v_fma_f64 v[130:131], -v[130:131], v[150:151], v[148:149]
	s_nop 1
	v_div_fmas_f64 v[130:131], v[130:131], v[146:147], v[150:151]
	v_div_fixup_f64 v[128:129], v[130:131], v[128:129], 1.0
	v_mul_f64 v[130:131], v[144:145], -v[128:129]
.LBB62_282:
	s_or_b64 exec, exec, s[16:17]
.LBB62_283:
	s_or_b64 exec, exec, s[0:1]
	v_cmp_ne_u32_e32 vcc, v141, v138
	s_and_saveexec_b64 s[0:1], vcc
	s_xor_b64 s[0:1], exec, s[0:1]
	s_cbranch_execz .LBB62_289
; %bb.284:
	v_cmp_eq_u32_e32 vcc, 13, v141
	s_and_saveexec_b64 s[16:17], vcc
	s_cbranch_execz .LBB62_288
; %bb.285:
	v_cmp_ne_u32_e32 vcc, 13, v138
	s_xor_b64 s[18:19], s[14:15], -1
	s_and_b64 s[22:23], s[18:19], vcc
	s_and_saveexec_b64 s[18:19], s[22:23]
	s_cbranch_execz .LBB62_287
; %bb.286:
	v_ashrrev_i32_e32 v139, 31, v138
	v_lshl_add_u64 v[144:145], v[138:139], 2, v[136:137]
	global_load_dword v139, v[144:145], off
	global_load_dword v141, v[136:137], off offset:52
	s_waitcnt vmcnt(1)
	global_store_dword v[136:137], v139, off offset:52
	s_waitcnt vmcnt(1)
	global_store_dword v[144:145], v141, off
.LBB62_287:
	s_or_b64 exec, exec, s[18:19]
	v_mov_b32_e32 v141, v138
	v_mov_b32_e32 v143, v138
.LBB62_288:
	s_or_b64 exec, exec, s[16:17]
.LBB62_289:
	s_andn2_saveexec_b64 s[0:1], s[0:1]
	s_cbranch_execz .LBB62_291
; %bb.290:
	v_mov_b32_e32 v141, 13
	s_waitcnt vmcnt(17)
	ds_write2_b64 v140, v[68:69], v[70:71] offset0:28 offset1:29
	s_waitcnt vmcnt(16)
	ds_write2_b64 v140, v[60:61], v[62:63] offset0:30 offset1:31
	;; [unrolled: 2-line block ×18, first 2 shown]
.LBB62_291:
	s_or_b64 exec, exec, s[0:1]
	v_cmp_lt_i32_e32 vcc, 13, v141
	s_waitcnt lgkmcnt(0)
	s_barrier
	s_and_saveexec_b64 s[0:1], vcc
	s_cbranch_execz .LBB62_293
; %bb.292:
	ds_read2_b64 v[144:147], v140 offset0:28 offset1:29
	v_mul_f64 v[138:139], v[130:131], v[66:67]
	v_mul_f64 v[66:67], v[128:129], v[66:67]
	v_fma_f64 v[138:139], v[128:129], v[64:65], -v[138:139]
	v_fmac_f64_e32 v[66:67], v[130:131], v[64:65]
	ds_read2_b64 v[128:131], v140 offset0:30 offset1:31
	s_waitcnt lgkmcnt(1)
	v_mul_f64 v[64:65], v[146:147], v[66:67]
	v_fma_f64 v[64:65], v[144:145], v[138:139], -v[64:65]
	v_mul_f64 v[144:145], v[144:145], v[66:67]
	v_fmac_f64_e32 v[144:145], v[146:147], v[138:139]
	s_waitcnt vmcnt(17)
	v_add_f64 v[68:69], v[68:69], -v[64:65]
	s_waitcnt lgkmcnt(0)
	v_mul_f64 v[64:65], v[130:131], v[66:67]
	v_add_f64 v[70:71], v[70:71], -v[144:145]
	v_fma_f64 v[64:65], v[128:129], v[138:139], -v[64:65]
	v_mul_f64 v[128:129], v[128:129], v[66:67]
	ds_read2_b64 v[144:147], v140 offset0:32 offset1:33
	v_fmac_f64_e32 v[128:129], v[130:131], v[138:139]
	s_waitcnt vmcnt(16)
	v_add_f64 v[62:63], v[62:63], -v[128:129]
	ds_read2_b64 v[128:131], v140 offset0:34 offset1:35
	v_add_f64 v[60:61], v[60:61], -v[64:65]
	s_waitcnt lgkmcnt(1)
	v_mul_f64 v[64:65], v[146:147], v[66:67]
	v_fma_f64 v[64:65], v[144:145], v[138:139], -v[64:65]
	v_mul_f64 v[144:145], v[144:145], v[66:67]
	v_fmac_f64_e32 v[144:145], v[146:147], v[138:139]
	s_waitcnt vmcnt(15)
	v_add_f64 v[56:57], v[56:57], -v[64:65]
	s_waitcnt lgkmcnt(0)
	v_mul_f64 v[64:65], v[130:131], v[66:67]
	v_add_f64 v[58:59], v[58:59], -v[144:145]
	v_fma_f64 v[64:65], v[128:129], v[138:139], -v[64:65]
	v_mul_f64 v[128:129], v[128:129], v[66:67]
	ds_read2_b64 v[144:147], v140 offset0:36 offset1:37
	v_fmac_f64_e32 v[128:129], v[130:131], v[138:139]
	s_waitcnt vmcnt(14)
	v_add_f64 v[54:55], v[54:55], -v[128:129]
	ds_read2_b64 v[128:131], v140 offset0:38 offset1:39
	v_add_f64 v[52:53], v[52:53], -v[64:65]
	;; [unrolled: 18-line block ×8, first 2 shown]
	s_waitcnt lgkmcnt(1)
	v_mul_f64 v[64:65], v[146:147], v[66:67]
	v_fma_f64 v[64:65], v[144:145], v[138:139], -v[64:65]
	s_waitcnt vmcnt(1)
	v_add_f64 v[0:1], v[0:1], -v[64:65]
	s_waitcnt lgkmcnt(0)
	v_mul_f64 v[64:65], v[130:131], v[66:67]
	v_mul_f64 v[144:145], v[144:145], v[66:67]
	v_fma_f64 v[64:65], v[128:129], v[138:139], -v[64:65]
	v_mul_f64 v[128:129], v[128:129], v[66:67]
	v_fmac_f64_e32 v[144:145], v[146:147], v[138:139]
	v_fmac_f64_e32 v[128:129], v[130:131], v[138:139]
	v_add_f64 v[2:3], v[2:3], -v[144:145]
	s_waitcnt vmcnt(0)
	v_add_f64 v[124:125], v[124:125], -v[64:65]
	v_add_f64 v[126:127], v[126:127], -v[128:129]
	v_mov_b64_e32 v[64:65], v[138:139]
.LBB62_293:
	s_or_b64 exec, exec, s[0:1]
	v_lshl_add_u32 v128, v141, 4, v140
	s_barrier
	s_waitcnt vmcnt(17)
	ds_write2_b64 v128, v[68:69], v[70:71] offset1:1
	s_waitcnt lgkmcnt(0)
	s_barrier
	ds_read2_b64 v[128:131], v140 offset0:28 offset1:29
	s_cmp_lt_i32 s20, 16
	v_mov_b32_e32 v138, 14
	s_cbranch_scc1 .LBB62_296
; %bb.294:
	v_add_u32_e32 v139, 0xf0, v140
	s_mov_b32 s16, 15
	v_mov_b32_e32 v138, 14
.LBB62_295:                             ; =>This Inner Loop Header: Depth=1
	ds_read2_b64 v[144:147], v139 offset1:1
	s_waitcnt lgkmcnt(1)
	v_xor_b32_e32 v149, 0x80000000, v129
	v_xor_b32_e32 v151, 0x80000000, v131
	v_cmp_gt_f64_e32 vcc, 0, v[130:131]
	v_cmp_gt_f64_e64 s[0:1], 0, v[128:129]
	v_mov_b32_e32 v148, v128
	v_mov_b32_e32 v150, v130
	v_cndmask_b32_e64 v149, v129, v149, s[0:1]
	v_cndmask_b32_e32 v151, v131, v151, vcc
	v_add_f64 v[148:149], v[148:149], v[150:151]
	s_waitcnt lgkmcnt(0)
	v_xor_b32_e32 v151, 0x80000000, v145
	v_xor_b32_e32 v153, 0x80000000, v147
	v_cmp_gt_f64_e32 vcc, 0, v[146:147]
	v_cmp_gt_f64_e64 s[0:1], 0, v[144:145]
	v_mov_b32_e32 v150, v144
	v_mov_b32_e32 v152, v146
	v_cndmask_b32_e64 v151, v145, v151, s[0:1]
	v_cndmask_b32_e32 v153, v147, v153, vcc
	v_add_f64 v[150:151], v[150:151], v[152:153]
	v_mov_b32_e32 v154, s16
	s_add_i32 s16, s16, 1
	v_cmp_lt_f64_e32 vcc, v[148:149], v[150:151]
	v_add_u32_e32 v139, 16, v139
	s_cmp_lg_u32 s20, s16
	v_cndmask_b32_e32 v129, v129, v145, vcc
	v_cndmask_b32_e32 v128, v128, v144, vcc
	;; [unrolled: 1-line block ×5, first 2 shown]
	s_cbranch_scc1 .LBB62_295
.LBB62_296:
	s_waitcnt lgkmcnt(0)
	v_cmp_eq_f64_e32 vcc, 0, v[128:129]
	v_cmp_eq_f64_e64 s[0:1], 0, v[130:131]
	s_and_b64 s[0:1], vcc, s[0:1]
	s_and_saveexec_b64 s[16:17], s[0:1]
	s_xor_b64 s[0:1], exec, s[16:17]
; %bb.297:
	v_cmp_ne_u32_e32 vcc, 0, v142
	s_nop 1
	v_cndmask_b32_e32 v142, 15, v142, vcc
; %bb.298:
	s_andn2_saveexec_b64 s[0:1], s[0:1]
	s_cbranch_execz .LBB62_304
; %bb.299:
	v_cmp_ngt_f64_e64 s[16:17], |v[128:129]|, |v[130:131]|
	s_and_saveexec_b64 s[18:19], s[16:17]
	s_xor_b64 s[16:17], exec, s[18:19]
	s_cbranch_execz .LBB62_301
; %bb.300:
	v_div_scale_f64 v[144:145], s[18:19], v[130:131], v[130:131], v[128:129]
	v_rcp_f64_e32 v[146:147], v[144:145]
	v_div_scale_f64 v[148:149], vcc, v[128:129], v[130:131], v[128:129]
	v_fma_f64 v[150:151], -v[144:145], v[146:147], 1.0
	v_fmac_f64_e32 v[146:147], v[146:147], v[150:151]
	v_fma_f64 v[150:151], -v[144:145], v[146:147], 1.0
	v_fmac_f64_e32 v[146:147], v[146:147], v[150:151]
	v_mul_f64 v[150:151], v[148:149], v[146:147]
	v_fma_f64 v[144:145], -v[144:145], v[150:151], v[148:149]
	v_div_fmas_f64 v[144:145], v[144:145], v[146:147], v[150:151]
	v_div_fixup_f64 v[144:145], v[144:145], v[130:131], v[128:129]
	v_fmac_f64_e32 v[130:131], v[128:129], v[144:145]
	v_div_scale_f64 v[128:129], s[18:19], v[130:131], v[130:131], 1.0
	v_rcp_f64_e32 v[146:147], v[128:129]
	s_nop 0
	v_fma_f64 v[148:149], -v[128:129], v[146:147], 1.0
	v_fmac_f64_e32 v[146:147], v[146:147], v[148:149]
	v_fma_f64 v[148:149], -v[128:129], v[146:147], 1.0
	v_fmac_f64_e32 v[146:147], v[146:147], v[148:149]
	v_div_scale_f64 v[148:149], vcc, 1.0, v[130:131], 1.0
	v_mul_f64 v[150:151], v[148:149], v[146:147]
	v_fma_f64 v[128:129], -v[128:129], v[150:151], v[148:149]
	s_nop 1
	v_div_fmas_f64 v[128:129], v[128:129], v[146:147], v[150:151]
	v_div_fixup_f64 v[130:131], v[128:129], v[130:131], 1.0
	v_mul_f64 v[128:129], v[144:145], v[130:131]
	v_xor_b32_e32 v131, 0x80000000, v131
.LBB62_301:
	s_andn2_saveexec_b64 s[16:17], s[16:17]
	s_cbranch_execz .LBB62_303
; %bb.302:
	v_div_scale_f64 v[144:145], s[18:19], v[128:129], v[128:129], v[130:131]
	v_rcp_f64_e32 v[146:147], v[144:145]
	v_div_scale_f64 v[148:149], vcc, v[130:131], v[128:129], v[130:131]
	v_fma_f64 v[150:151], -v[144:145], v[146:147], 1.0
	v_fmac_f64_e32 v[146:147], v[146:147], v[150:151]
	v_fma_f64 v[150:151], -v[144:145], v[146:147], 1.0
	v_fmac_f64_e32 v[146:147], v[146:147], v[150:151]
	v_mul_f64 v[150:151], v[148:149], v[146:147]
	v_fma_f64 v[144:145], -v[144:145], v[150:151], v[148:149]
	v_div_fmas_f64 v[144:145], v[144:145], v[146:147], v[150:151]
	v_div_fixup_f64 v[144:145], v[144:145], v[128:129], v[130:131]
	v_fmac_f64_e32 v[128:129], v[130:131], v[144:145]
	v_div_scale_f64 v[130:131], s[18:19], v[128:129], v[128:129], 1.0
	v_rcp_f64_e32 v[146:147], v[130:131]
	s_nop 0
	v_fma_f64 v[148:149], -v[130:131], v[146:147], 1.0
	v_fmac_f64_e32 v[146:147], v[146:147], v[148:149]
	v_fma_f64 v[148:149], -v[130:131], v[146:147], 1.0
	v_fmac_f64_e32 v[146:147], v[146:147], v[148:149]
	v_div_scale_f64 v[148:149], vcc, 1.0, v[128:129], 1.0
	v_mul_f64 v[150:151], v[148:149], v[146:147]
	v_fma_f64 v[130:131], -v[130:131], v[150:151], v[148:149]
	s_nop 1
	v_div_fmas_f64 v[130:131], v[130:131], v[146:147], v[150:151]
	v_div_fixup_f64 v[128:129], v[130:131], v[128:129], 1.0
	v_mul_f64 v[130:131], v[144:145], -v[128:129]
.LBB62_303:
	s_or_b64 exec, exec, s[16:17]
.LBB62_304:
	s_or_b64 exec, exec, s[0:1]
	v_cmp_ne_u32_e32 vcc, v141, v138
	s_and_saveexec_b64 s[0:1], vcc
	s_xor_b64 s[0:1], exec, s[0:1]
	s_cbranch_execz .LBB62_310
; %bb.305:
	v_cmp_eq_u32_e32 vcc, 14, v141
	s_and_saveexec_b64 s[16:17], vcc
	s_cbranch_execz .LBB62_309
; %bb.306:
	v_cmp_ne_u32_e32 vcc, 14, v138
	s_xor_b64 s[18:19], s[14:15], -1
	s_and_b64 s[22:23], s[18:19], vcc
	s_and_saveexec_b64 s[18:19], s[22:23]
	s_cbranch_execz .LBB62_308
; %bb.307:
	v_ashrrev_i32_e32 v139, 31, v138
	v_lshl_add_u64 v[144:145], v[138:139], 2, v[136:137]
	global_load_dword v139, v[144:145], off
	global_load_dword v141, v[136:137], off offset:56
	s_waitcnt vmcnt(1)
	global_store_dword v[136:137], v139, off offset:56
	s_waitcnt vmcnt(1)
	global_store_dword v[144:145], v141, off
.LBB62_308:
	s_or_b64 exec, exec, s[18:19]
	v_mov_b32_e32 v141, v138
	v_mov_b32_e32 v143, v138
.LBB62_309:
	s_or_b64 exec, exec, s[16:17]
.LBB62_310:
	s_andn2_saveexec_b64 s[0:1], s[0:1]
	s_cbranch_execz .LBB62_312
; %bb.311:
	v_mov_b32_e32 v141, 14
	s_waitcnt vmcnt(16)
	ds_write2_b64 v140, v[60:61], v[62:63] offset0:30 offset1:31
	s_waitcnt vmcnt(15)
	ds_write2_b64 v140, v[56:57], v[58:59] offset0:32 offset1:33
	;; [unrolled: 2-line block ×17, first 2 shown]
.LBB62_312:
	s_or_b64 exec, exec, s[0:1]
	v_cmp_lt_i32_e32 vcc, 14, v141
	s_waitcnt lgkmcnt(0)
	s_barrier
	s_and_saveexec_b64 s[0:1], vcc
	s_cbranch_execz .LBB62_314
; %bb.313:
	ds_read2_b64 v[144:147], v140 offset0:30 offset1:31
	v_mul_f64 v[138:139], v[130:131], v[70:71]
	v_mul_f64 v[70:71], v[128:129], v[70:71]
	v_fmac_f64_e32 v[70:71], v[130:131], v[68:69]
	v_fma_f64 v[138:139], v[128:129], v[68:69], -v[138:139]
	ds_read2_b64 v[128:131], v140 offset0:32 offset1:33
	s_waitcnt lgkmcnt(1)
	v_mul_f64 v[68:69], v[146:147], v[70:71]
	v_fma_f64 v[68:69], v[144:145], v[138:139], -v[68:69]
	v_mul_f64 v[144:145], v[144:145], v[70:71]
	v_fmac_f64_e32 v[144:145], v[146:147], v[138:139]
	s_waitcnt vmcnt(16)
	v_add_f64 v[62:63], v[62:63], -v[144:145]
	ds_read2_b64 v[144:147], v140 offset0:34 offset1:35
	v_add_f64 v[60:61], v[60:61], -v[68:69]
	s_waitcnt lgkmcnt(1)
	v_mul_f64 v[68:69], v[130:131], v[70:71]
	v_fma_f64 v[68:69], v[128:129], v[138:139], -v[68:69]
	v_mul_f64 v[128:129], v[128:129], v[70:71]
	v_fmac_f64_e32 v[128:129], v[130:131], v[138:139]
	s_waitcnt vmcnt(15)
	v_add_f64 v[56:57], v[56:57], -v[68:69]
	v_add_f64 v[58:59], v[58:59], -v[128:129]
	ds_read2_b64 v[128:131], v140 offset0:36 offset1:37
	s_waitcnt lgkmcnt(1)
	v_mul_f64 v[68:69], v[146:147], v[70:71]
	v_fma_f64 v[68:69], v[144:145], v[138:139], -v[68:69]
	v_mul_f64 v[144:145], v[144:145], v[70:71]
	v_fmac_f64_e32 v[144:145], v[146:147], v[138:139]
	s_waitcnt vmcnt(14)
	v_add_f64 v[54:55], v[54:55], -v[144:145]
	ds_read2_b64 v[144:147], v140 offset0:38 offset1:39
	v_add_f64 v[52:53], v[52:53], -v[68:69]
	s_waitcnt lgkmcnt(1)
	v_mul_f64 v[68:69], v[130:131], v[70:71]
	v_fma_f64 v[68:69], v[128:129], v[138:139], -v[68:69]
	v_mul_f64 v[128:129], v[128:129], v[70:71]
	v_fmac_f64_e32 v[128:129], v[130:131], v[138:139]
	s_waitcnt vmcnt(13)
	v_add_f64 v[48:49], v[48:49], -v[68:69]
	v_add_f64 v[50:51], v[50:51], -v[128:129]
	ds_read2_b64 v[128:131], v140 offset0:40 offset1:41
	s_waitcnt lgkmcnt(1)
	v_mul_f64 v[68:69], v[146:147], v[70:71]
	v_fma_f64 v[68:69], v[144:145], v[138:139], -v[68:69]
	v_mul_f64 v[144:145], v[144:145], v[70:71]
	v_fmac_f64_e32 v[144:145], v[146:147], v[138:139]
	s_waitcnt vmcnt(12)
	v_add_f64 v[46:47], v[46:47], -v[144:145]
	ds_read2_b64 v[144:147], v140 offset0:42 offset1:43
	v_add_f64 v[44:45], v[44:45], -v[68:69]
	s_waitcnt lgkmcnt(1)
	v_mul_f64 v[68:69], v[130:131], v[70:71]
	v_fma_f64 v[68:69], v[128:129], v[138:139], -v[68:69]
	v_mul_f64 v[128:129], v[128:129], v[70:71]
	v_fmac_f64_e32 v[128:129], v[130:131], v[138:139]
	s_waitcnt vmcnt(11)
	v_add_f64 v[40:41], v[40:41], -v[68:69]
	v_add_f64 v[42:43], v[42:43], -v[128:129]
	ds_read2_b64 v[128:131], v140 offset0:44 offset1:45
	s_waitcnt lgkmcnt(1)
	v_mul_f64 v[68:69], v[146:147], v[70:71]
	v_fma_f64 v[68:69], v[144:145], v[138:139], -v[68:69]
	v_mul_f64 v[144:145], v[144:145], v[70:71]
	v_fmac_f64_e32 v[144:145], v[146:147], v[138:139]
	s_waitcnt vmcnt(10)
	v_add_f64 v[38:39], v[38:39], -v[144:145]
	ds_read2_b64 v[144:147], v140 offset0:46 offset1:47
	v_add_f64 v[36:37], v[36:37], -v[68:69]
	s_waitcnt lgkmcnt(1)
	v_mul_f64 v[68:69], v[130:131], v[70:71]
	v_fma_f64 v[68:69], v[128:129], v[138:139], -v[68:69]
	v_mul_f64 v[128:129], v[128:129], v[70:71]
	v_fmac_f64_e32 v[128:129], v[130:131], v[138:139]
	s_waitcnt vmcnt(9)
	v_add_f64 v[32:33], v[32:33], -v[68:69]
	v_add_f64 v[34:35], v[34:35], -v[128:129]
	ds_read2_b64 v[128:131], v140 offset0:48 offset1:49
	s_waitcnt lgkmcnt(1)
	v_mul_f64 v[68:69], v[146:147], v[70:71]
	v_fma_f64 v[68:69], v[144:145], v[138:139], -v[68:69]
	v_mul_f64 v[144:145], v[144:145], v[70:71]
	v_fmac_f64_e32 v[144:145], v[146:147], v[138:139]
	s_waitcnt vmcnt(8)
	v_add_f64 v[30:31], v[30:31], -v[144:145]
	ds_read2_b64 v[144:147], v140 offset0:50 offset1:51
	v_add_f64 v[28:29], v[28:29], -v[68:69]
	s_waitcnt lgkmcnt(1)
	v_mul_f64 v[68:69], v[130:131], v[70:71]
	v_fma_f64 v[68:69], v[128:129], v[138:139], -v[68:69]
	v_mul_f64 v[128:129], v[128:129], v[70:71]
	v_fmac_f64_e32 v[128:129], v[130:131], v[138:139]
	s_waitcnt vmcnt(7)
	v_add_f64 v[24:25], v[24:25], -v[68:69]
	v_add_f64 v[26:27], v[26:27], -v[128:129]
	ds_read2_b64 v[128:131], v140 offset0:52 offset1:53
	s_waitcnt lgkmcnt(1)
	v_mul_f64 v[68:69], v[146:147], v[70:71]
	v_fma_f64 v[68:69], v[144:145], v[138:139], -v[68:69]
	v_mul_f64 v[144:145], v[144:145], v[70:71]
	v_fmac_f64_e32 v[144:145], v[146:147], v[138:139]
	s_waitcnt vmcnt(6)
	v_add_f64 v[22:23], v[22:23], -v[144:145]
	ds_read2_b64 v[144:147], v140 offset0:54 offset1:55
	v_add_f64 v[20:21], v[20:21], -v[68:69]
	s_waitcnt lgkmcnt(1)
	v_mul_f64 v[68:69], v[130:131], v[70:71]
	v_fma_f64 v[68:69], v[128:129], v[138:139], -v[68:69]
	v_mul_f64 v[128:129], v[128:129], v[70:71]
	v_fmac_f64_e32 v[128:129], v[130:131], v[138:139]
	s_waitcnt vmcnt(5)
	v_add_f64 v[16:17], v[16:17], -v[68:69]
	v_add_f64 v[18:19], v[18:19], -v[128:129]
	ds_read2_b64 v[128:131], v140 offset0:56 offset1:57
	s_waitcnt lgkmcnt(1)
	v_mul_f64 v[68:69], v[146:147], v[70:71]
	v_fma_f64 v[68:69], v[144:145], v[138:139], -v[68:69]
	v_mul_f64 v[144:145], v[144:145], v[70:71]
	v_fmac_f64_e32 v[144:145], v[146:147], v[138:139]
	s_waitcnt vmcnt(4)
	v_add_f64 v[14:15], v[14:15], -v[144:145]
	ds_read2_b64 v[144:147], v140 offset0:58 offset1:59
	v_add_f64 v[12:13], v[12:13], -v[68:69]
	s_waitcnt lgkmcnt(1)
	v_mul_f64 v[68:69], v[130:131], v[70:71]
	v_fma_f64 v[68:69], v[128:129], v[138:139], -v[68:69]
	v_mul_f64 v[128:129], v[128:129], v[70:71]
	v_fmac_f64_e32 v[128:129], v[130:131], v[138:139]
	s_waitcnt vmcnt(3)
	v_add_f64 v[8:9], v[8:9], -v[68:69]
	v_add_f64 v[10:11], v[10:11], -v[128:129]
	ds_read2_b64 v[128:131], v140 offset0:60 offset1:61
	s_waitcnt lgkmcnt(1)
	v_mul_f64 v[68:69], v[146:147], v[70:71]
	v_fma_f64 v[68:69], v[144:145], v[138:139], -v[68:69]
	v_mul_f64 v[144:145], v[144:145], v[70:71]
	v_fmac_f64_e32 v[144:145], v[146:147], v[138:139]
	s_waitcnt vmcnt(2)
	v_add_f64 v[6:7], v[6:7], -v[144:145]
	ds_read2_b64 v[144:147], v140 offset0:62 offset1:63
	v_add_f64 v[4:5], v[4:5], -v[68:69]
	s_waitcnt lgkmcnt(1)
	v_mul_f64 v[68:69], v[130:131], v[70:71]
	v_fma_f64 v[68:69], v[128:129], v[138:139], -v[68:69]
	v_mul_f64 v[128:129], v[128:129], v[70:71]
	v_fmac_f64_e32 v[128:129], v[130:131], v[138:139]
	s_waitcnt vmcnt(1)
	v_add_f64 v[0:1], v[0:1], -v[68:69]
	v_add_f64 v[2:3], v[2:3], -v[128:129]
	s_waitcnt lgkmcnt(0)
	v_mul_f64 v[68:69], v[146:147], v[70:71]
	v_mul_f64 v[128:129], v[144:145], v[70:71]
	v_fma_f64 v[68:69], v[144:145], v[138:139], -v[68:69]
	v_fmac_f64_e32 v[128:129], v[146:147], v[138:139]
	s_waitcnt vmcnt(0)
	v_add_f64 v[124:125], v[124:125], -v[68:69]
	v_add_f64 v[126:127], v[126:127], -v[128:129]
	v_mov_b64_e32 v[68:69], v[138:139]
.LBB62_314:
	s_or_b64 exec, exec, s[0:1]
	v_lshl_add_u32 v128, v141, 4, v140
	s_barrier
	s_waitcnt vmcnt(16)
	ds_write2_b64 v128, v[60:61], v[62:63] offset1:1
	s_waitcnt lgkmcnt(0)
	s_barrier
	ds_read2_b64 v[128:131], v140 offset0:30 offset1:31
	s_cmp_lt_i32 s20, 17
	v_mov_b32_e32 v138, 15
	s_cbranch_scc1 .LBB62_317
; %bb.315:
	v_add_u32_e32 v139, 0x100, v140
	s_mov_b32 s16, 16
	v_mov_b32_e32 v138, 15
.LBB62_316:                             ; =>This Inner Loop Header: Depth=1
	ds_read2_b64 v[144:147], v139 offset1:1
	s_waitcnt lgkmcnt(1)
	v_xor_b32_e32 v149, 0x80000000, v129
	v_xor_b32_e32 v151, 0x80000000, v131
	v_cmp_gt_f64_e32 vcc, 0, v[130:131]
	v_cmp_gt_f64_e64 s[0:1], 0, v[128:129]
	v_mov_b32_e32 v148, v128
	v_mov_b32_e32 v150, v130
	v_cndmask_b32_e64 v149, v129, v149, s[0:1]
	v_cndmask_b32_e32 v151, v131, v151, vcc
	v_add_f64 v[148:149], v[148:149], v[150:151]
	s_waitcnt lgkmcnt(0)
	v_xor_b32_e32 v151, 0x80000000, v145
	v_xor_b32_e32 v153, 0x80000000, v147
	v_cmp_gt_f64_e32 vcc, 0, v[146:147]
	v_cmp_gt_f64_e64 s[0:1], 0, v[144:145]
	v_mov_b32_e32 v150, v144
	v_mov_b32_e32 v152, v146
	v_cndmask_b32_e64 v151, v145, v151, s[0:1]
	v_cndmask_b32_e32 v153, v147, v153, vcc
	v_add_f64 v[150:151], v[150:151], v[152:153]
	v_mov_b32_e32 v154, s16
	s_add_i32 s16, s16, 1
	v_cmp_lt_f64_e32 vcc, v[148:149], v[150:151]
	v_add_u32_e32 v139, 16, v139
	s_cmp_lg_u32 s20, s16
	v_cndmask_b32_e32 v129, v129, v145, vcc
	v_cndmask_b32_e32 v128, v128, v144, vcc
	;; [unrolled: 1-line block ×5, first 2 shown]
	s_cbranch_scc1 .LBB62_316
.LBB62_317:
	s_waitcnt lgkmcnt(0)
	v_cmp_eq_f64_e32 vcc, 0, v[128:129]
	v_cmp_eq_f64_e64 s[0:1], 0, v[130:131]
	s_and_b64 s[0:1], vcc, s[0:1]
	s_and_saveexec_b64 s[16:17], s[0:1]
	s_xor_b64 s[0:1], exec, s[16:17]
; %bb.318:
	v_cmp_ne_u32_e32 vcc, 0, v142
	s_nop 1
	v_cndmask_b32_e32 v142, 16, v142, vcc
; %bb.319:
	s_andn2_saveexec_b64 s[0:1], s[0:1]
	s_cbranch_execz .LBB62_325
; %bb.320:
	v_cmp_ngt_f64_e64 s[16:17], |v[128:129]|, |v[130:131]|
	s_and_saveexec_b64 s[18:19], s[16:17]
	s_xor_b64 s[16:17], exec, s[18:19]
	s_cbranch_execz .LBB62_322
; %bb.321:
	v_div_scale_f64 v[144:145], s[18:19], v[130:131], v[130:131], v[128:129]
	v_rcp_f64_e32 v[146:147], v[144:145]
	v_div_scale_f64 v[148:149], vcc, v[128:129], v[130:131], v[128:129]
	v_fma_f64 v[150:151], -v[144:145], v[146:147], 1.0
	v_fmac_f64_e32 v[146:147], v[146:147], v[150:151]
	v_fma_f64 v[150:151], -v[144:145], v[146:147], 1.0
	v_fmac_f64_e32 v[146:147], v[146:147], v[150:151]
	v_mul_f64 v[150:151], v[148:149], v[146:147]
	v_fma_f64 v[144:145], -v[144:145], v[150:151], v[148:149]
	v_div_fmas_f64 v[144:145], v[144:145], v[146:147], v[150:151]
	v_div_fixup_f64 v[144:145], v[144:145], v[130:131], v[128:129]
	v_fmac_f64_e32 v[130:131], v[128:129], v[144:145]
	v_div_scale_f64 v[128:129], s[18:19], v[130:131], v[130:131], 1.0
	v_rcp_f64_e32 v[146:147], v[128:129]
	s_nop 0
	v_fma_f64 v[148:149], -v[128:129], v[146:147], 1.0
	v_fmac_f64_e32 v[146:147], v[146:147], v[148:149]
	v_fma_f64 v[148:149], -v[128:129], v[146:147], 1.0
	v_fmac_f64_e32 v[146:147], v[146:147], v[148:149]
	v_div_scale_f64 v[148:149], vcc, 1.0, v[130:131], 1.0
	v_mul_f64 v[150:151], v[148:149], v[146:147]
	v_fma_f64 v[128:129], -v[128:129], v[150:151], v[148:149]
	s_nop 1
	v_div_fmas_f64 v[128:129], v[128:129], v[146:147], v[150:151]
	v_div_fixup_f64 v[130:131], v[128:129], v[130:131], 1.0
	v_mul_f64 v[128:129], v[144:145], v[130:131]
	v_xor_b32_e32 v131, 0x80000000, v131
.LBB62_322:
	s_andn2_saveexec_b64 s[16:17], s[16:17]
	s_cbranch_execz .LBB62_324
; %bb.323:
	v_div_scale_f64 v[144:145], s[18:19], v[128:129], v[128:129], v[130:131]
	v_rcp_f64_e32 v[146:147], v[144:145]
	v_div_scale_f64 v[148:149], vcc, v[130:131], v[128:129], v[130:131]
	v_fma_f64 v[150:151], -v[144:145], v[146:147], 1.0
	v_fmac_f64_e32 v[146:147], v[146:147], v[150:151]
	v_fma_f64 v[150:151], -v[144:145], v[146:147], 1.0
	v_fmac_f64_e32 v[146:147], v[146:147], v[150:151]
	v_mul_f64 v[150:151], v[148:149], v[146:147]
	v_fma_f64 v[144:145], -v[144:145], v[150:151], v[148:149]
	v_div_fmas_f64 v[144:145], v[144:145], v[146:147], v[150:151]
	v_div_fixup_f64 v[144:145], v[144:145], v[128:129], v[130:131]
	v_fmac_f64_e32 v[128:129], v[130:131], v[144:145]
	v_div_scale_f64 v[130:131], s[18:19], v[128:129], v[128:129], 1.0
	v_rcp_f64_e32 v[146:147], v[130:131]
	s_nop 0
	v_fma_f64 v[148:149], -v[130:131], v[146:147], 1.0
	v_fmac_f64_e32 v[146:147], v[146:147], v[148:149]
	v_fma_f64 v[148:149], -v[130:131], v[146:147], 1.0
	v_fmac_f64_e32 v[146:147], v[146:147], v[148:149]
	v_div_scale_f64 v[148:149], vcc, 1.0, v[128:129], 1.0
	v_mul_f64 v[150:151], v[148:149], v[146:147]
	v_fma_f64 v[130:131], -v[130:131], v[150:151], v[148:149]
	s_nop 1
	v_div_fmas_f64 v[130:131], v[130:131], v[146:147], v[150:151]
	v_div_fixup_f64 v[128:129], v[130:131], v[128:129], 1.0
	v_mul_f64 v[130:131], v[144:145], -v[128:129]
.LBB62_324:
	s_or_b64 exec, exec, s[16:17]
.LBB62_325:
	s_or_b64 exec, exec, s[0:1]
	v_cmp_ne_u32_e32 vcc, v141, v138
	s_and_saveexec_b64 s[0:1], vcc
	s_xor_b64 s[0:1], exec, s[0:1]
	s_cbranch_execz .LBB62_331
; %bb.326:
	v_cmp_eq_u32_e32 vcc, 15, v141
	s_and_saveexec_b64 s[16:17], vcc
	s_cbranch_execz .LBB62_330
; %bb.327:
	v_cmp_ne_u32_e32 vcc, 15, v138
	s_xor_b64 s[18:19], s[14:15], -1
	s_and_b64 s[22:23], s[18:19], vcc
	s_and_saveexec_b64 s[18:19], s[22:23]
	s_cbranch_execz .LBB62_329
; %bb.328:
	v_ashrrev_i32_e32 v139, 31, v138
	v_lshl_add_u64 v[144:145], v[138:139], 2, v[136:137]
	global_load_dword v139, v[144:145], off
	global_load_dword v141, v[136:137], off offset:60
	s_waitcnt vmcnt(1)
	global_store_dword v[136:137], v139, off offset:60
	s_waitcnt vmcnt(1)
	global_store_dword v[144:145], v141, off
.LBB62_329:
	s_or_b64 exec, exec, s[18:19]
	v_mov_b32_e32 v141, v138
	v_mov_b32_e32 v143, v138
.LBB62_330:
	s_or_b64 exec, exec, s[16:17]
.LBB62_331:
	s_andn2_saveexec_b64 s[0:1], s[0:1]
	s_cbranch_execz .LBB62_333
; %bb.332:
	v_mov_b32_e32 v141, 15
	s_waitcnt vmcnt(15)
	ds_write2_b64 v140, v[56:57], v[58:59] offset0:32 offset1:33
	s_waitcnt vmcnt(14)
	ds_write2_b64 v140, v[52:53], v[54:55] offset0:34 offset1:35
	;; [unrolled: 2-line block ×16, first 2 shown]
.LBB62_333:
	s_or_b64 exec, exec, s[0:1]
	v_cmp_lt_i32_e32 vcc, 15, v141
	s_waitcnt lgkmcnt(0)
	s_barrier
	s_and_saveexec_b64 s[0:1], vcc
	s_cbranch_execz .LBB62_335
; %bb.334:
	ds_read2_b64 v[144:147], v140 offset0:32 offset1:33
	v_mul_f64 v[138:139], v[128:129], v[62:63]
	v_mul_f64 v[62:63], v[130:131], v[62:63]
	v_fmac_f64_e32 v[138:139], v[130:131], v[60:61]
	v_fma_f64 v[60:61], v[128:129], v[60:61], -v[62:63]
	ds_read2_b64 v[128:131], v140 offset0:34 offset1:35
	s_waitcnt lgkmcnt(1)
	v_mul_f64 v[62:63], v[146:147], v[138:139]
	v_fma_f64 v[62:63], v[144:145], v[60:61], -v[62:63]
	v_mul_f64 v[144:145], v[144:145], v[138:139]
	v_fmac_f64_e32 v[144:145], v[146:147], v[60:61]
	s_waitcnt vmcnt(15)
	v_add_f64 v[56:57], v[56:57], -v[62:63]
	s_waitcnt lgkmcnt(0)
	v_mul_f64 v[62:63], v[130:131], v[138:139]
	v_add_f64 v[58:59], v[58:59], -v[144:145]
	v_fma_f64 v[62:63], v[128:129], v[60:61], -v[62:63]
	v_mul_f64 v[128:129], v[128:129], v[138:139]
	ds_read2_b64 v[144:147], v140 offset0:36 offset1:37
	v_fmac_f64_e32 v[128:129], v[130:131], v[60:61]
	s_waitcnt vmcnt(14)
	v_add_f64 v[54:55], v[54:55], -v[128:129]
	ds_read2_b64 v[128:131], v140 offset0:38 offset1:39
	v_add_f64 v[52:53], v[52:53], -v[62:63]
	s_waitcnt lgkmcnt(1)
	v_mul_f64 v[62:63], v[146:147], v[138:139]
	v_fma_f64 v[62:63], v[144:145], v[60:61], -v[62:63]
	v_mul_f64 v[144:145], v[144:145], v[138:139]
	v_fmac_f64_e32 v[144:145], v[146:147], v[60:61]
	s_waitcnt vmcnt(13)
	v_add_f64 v[48:49], v[48:49], -v[62:63]
	s_waitcnt lgkmcnt(0)
	v_mul_f64 v[62:63], v[130:131], v[138:139]
	v_add_f64 v[50:51], v[50:51], -v[144:145]
	v_fma_f64 v[62:63], v[128:129], v[60:61], -v[62:63]
	v_mul_f64 v[128:129], v[128:129], v[138:139]
	ds_read2_b64 v[144:147], v140 offset0:40 offset1:41
	v_fmac_f64_e32 v[128:129], v[130:131], v[60:61]
	s_waitcnt vmcnt(12)
	v_add_f64 v[46:47], v[46:47], -v[128:129]
	ds_read2_b64 v[128:131], v140 offset0:42 offset1:43
	v_add_f64 v[44:45], v[44:45], -v[62:63]
	;; [unrolled: 18-line block ×7, first 2 shown]
	s_waitcnt lgkmcnt(1)
	v_mul_f64 v[62:63], v[146:147], v[138:139]
	v_fma_f64 v[62:63], v[144:145], v[60:61], -v[62:63]
	s_waitcnt vmcnt(1)
	v_add_f64 v[0:1], v[0:1], -v[62:63]
	s_waitcnt lgkmcnt(0)
	v_mul_f64 v[62:63], v[130:131], v[138:139]
	v_mul_f64 v[144:145], v[144:145], v[138:139]
	v_fma_f64 v[62:63], v[128:129], v[60:61], -v[62:63]
	v_mul_f64 v[128:129], v[128:129], v[138:139]
	v_fmac_f64_e32 v[144:145], v[146:147], v[60:61]
	v_fmac_f64_e32 v[128:129], v[130:131], v[60:61]
	v_add_f64 v[2:3], v[2:3], -v[144:145]
	s_waitcnt vmcnt(0)
	v_add_f64 v[124:125], v[124:125], -v[62:63]
	v_add_f64 v[126:127], v[126:127], -v[128:129]
	v_mov_b64_e32 v[62:63], v[138:139]
.LBB62_335:
	s_or_b64 exec, exec, s[0:1]
	v_lshl_add_u32 v128, v141, 4, v140
	s_barrier
	s_waitcnt vmcnt(15)
	ds_write2_b64 v128, v[56:57], v[58:59] offset1:1
	s_waitcnt lgkmcnt(0)
	s_barrier
	ds_read2_b64 v[128:131], v140 offset0:32 offset1:33
	s_cmp_lt_i32 s20, 18
	v_mov_b32_e32 v138, 16
	s_cbranch_scc1 .LBB62_338
; %bb.336:
	v_add_u32_e32 v139, 0x110, v140
	s_mov_b32 s16, 17
	v_mov_b32_e32 v138, 16
.LBB62_337:                             ; =>This Inner Loop Header: Depth=1
	ds_read2_b64 v[144:147], v139 offset1:1
	s_waitcnt lgkmcnt(1)
	v_xor_b32_e32 v149, 0x80000000, v129
	v_xor_b32_e32 v151, 0x80000000, v131
	v_cmp_gt_f64_e32 vcc, 0, v[130:131]
	v_cmp_gt_f64_e64 s[0:1], 0, v[128:129]
	v_mov_b32_e32 v148, v128
	v_mov_b32_e32 v150, v130
	v_cndmask_b32_e64 v149, v129, v149, s[0:1]
	v_cndmask_b32_e32 v151, v131, v151, vcc
	v_add_f64 v[148:149], v[148:149], v[150:151]
	s_waitcnt lgkmcnt(0)
	v_xor_b32_e32 v151, 0x80000000, v145
	v_xor_b32_e32 v153, 0x80000000, v147
	v_cmp_gt_f64_e32 vcc, 0, v[146:147]
	v_cmp_gt_f64_e64 s[0:1], 0, v[144:145]
	v_mov_b32_e32 v150, v144
	v_mov_b32_e32 v152, v146
	v_cndmask_b32_e64 v151, v145, v151, s[0:1]
	v_cndmask_b32_e32 v153, v147, v153, vcc
	v_add_f64 v[150:151], v[150:151], v[152:153]
	v_mov_b32_e32 v154, s16
	s_add_i32 s16, s16, 1
	v_cmp_lt_f64_e32 vcc, v[148:149], v[150:151]
	v_add_u32_e32 v139, 16, v139
	s_cmp_lg_u32 s20, s16
	v_cndmask_b32_e32 v129, v129, v145, vcc
	v_cndmask_b32_e32 v128, v128, v144, vcc
	;; [unrolled: 1-line block ×5, first 2 shown]
	s_cbranch_scc1 .LBB62_337
.LBB62_338:
	s_waitcnt lgkmcnt(0)
	v_cmp_eq_f64_e32 vcc, 0, v[128:129]
	v_cmp_eq_f64_e64 s[0:1], 0, v[130:131]
	s_and_b64 s[0:1], vcc, s[0:1]
	s_and_saveexec_b64 s[16:17], s[0:1]
	s_xor_b64 s[0:1], exec, s[16:17]
; %bb.339:
	v_cmp_ne_u32_e32 vcc, 0, v142
	s_nop 1
	v_cndmask_b32_e32 v142, 17, v142, vcc
; %bb.340:
	s_andn2_saveexec_b64 s[0:1], s[0:1]
	s_cbranch_execz .LBB62_346
; %bb.341:
	v_cmp_ngt_f64_e64 s[16:17], |v[128:129]|, |v[130:131]|
	s_and_saveexec_b64 s[18:19], s[16:17]
	s_xor_b64 s[16:17], exec, s[18:19]
	s_cbranch_execz .LBB62_343
; %bb.342:
	v_div_scale_f64 v[144:145], s[18:19], v[130:131], v[130:131], v[128:129]
	v_rcp_f64_e32 v[146:147], v[144:145]
	v_div_scale_f64 v[148:149], vcc, v[128:129], v[130:131], v[128:129]
	v_fma_f64 v[150:151], -v[144:145], v[146:147], 1.0
	v_fmac_f64_e32 v[146:147], v[146:147], v[150:151]
	v_fma_f64 v[150:151], -v[144:145], v[146:147], 1.0
	v_fmac_f64_e32 v[146:147], v[146:147], v[150:151]
	v_mul_f64 v[150:151], v[148:149], v[146:147]
	v_fma_f64 v[144:145], -v[144:145], v[150:151], v[148:149]
	v_div_fmas_f64 v[144:145], v[144:145], v[146:147], v[150:151]
	v_div_fixup_f64 v[144:145], v[144:145], v[130:131], v[128:129]
	v_fmac_f64_e32 v[130:131], v[128:129], v[144:145]
	v_div_scale_f64 v[128:129], s[18:19], v[130:131], v[130:131], 1.0
	v_rcp_f64_e32 v[146:147], v[128:129]
	s_nop 0
	v_fma_f64 v[148:149], -v[128:129], v[146:147], 1.0
	v_fmac_f64_e32 v[146:147], v[146:147], v[148:149]
	v_fma_f64 v[148:149], -v[128:129], v[146:147], 1.0
	v_fmac_f64_e32 v[146:147], v[146:147], v[148:149]
	v_div_scale_f64 v[148:149], vcc, 1.0, v[130:131], 1.0
	v_mul_f64 v[150:151], v[148:149], v[146:147]
	v_fma_f64 v[128:129], -v[128:129], v[150:151], v[148:149]
	s_nop 1
	v_div_fmas_f64 v[128:129], v[128:129], v[146:147], v[150:151]
	v_div_fixup_f64 v[130:131], v[128:129], v[130:131], 1.0
	v_mul_f64 v[128:129], v[144:145], v[130:131]
	v_xor_b32_e32 v131, 0x80000000, v131
.LBB62_343:
	s_andn2_saveexec_b64 s[16:17], s[16:17]
	s_cbranch_execz .LBB62_345
; %bb.344:
	v_div_scale_f64 v[144:145], s[18:19], v[128:129], v[128:129], v[130:131]
	v_rcp_f64_e32 v[146:147], v[144:145]
	v_div_scale_f64 v[148:149], vcc, v[130:131], v[128:129], v[130:131]
	v_fma_f64 v[150:151], -v[144:145], v[146:147], 1.0
	v_fmac_f64_e32 v[146:147], v[146:147], v[150:151]
	v_fma_f64 v[150:151], -v[144:145], v[146:147], 1.0
	v_fmac_f64_e32 v[146:147], v[146:147], v[150:151]
	v_mul_f64 v[150:151], v[148:149], v[146:147]
	v_fma_f64 v[144:145], -v[144:145], v[150:151], v[148:149]
	v_div_fmas_f64 v[144:145], v[144:145], v[146:147], v[150:151]
	v_div_fixup_f64 v[144:145], v[144:145], v[128:129], v[130:131]
	v_fmac_f64_e32 v[128:129], v[130:131], v[144:145]
	v_div_scale_f64 v[130:131], s[18:19], v[128:129], v[128:129], 1.0
	v_rcp_f64_e32 v[146:147], v[130:131]
	s_nop 0
	v_fma_f64 v[148:149], -v[130:131], v[146:147], 1.0
	v_fmac_f64_e32 v[146:147], v[146:147], v[148:149]
	v_fma_f64 v[148:149], -v[130:131], v[146:147], 1.0
	v_fmac_f64_e32 v[146:147], v[146:147], v[148:149]
	v_div_scale_f64 v[148:149], vcc, 1.0, v[128:129], 1.0
	v_mul_f64 v[150:151], v[148:149], v[146:147]
	v_fma_f64 v[130:131], -v[130:131], v[150:151], v[148:149]
	s_nop 1
	v_div_fmas_f64 v[130:131], v[130:131], v[146:147], v[150:151]
	v_div_fixup_f64 v[128:129], v[130:131], v[128:129], 1.0
	v_mul_f64 v[130:131], v[144:145], -v[128:129]
.LBB62_345:
	s_or_b64 exec, exec, s[16:17]
.LBB62_346:
	s_or_b64 exec, exec, s[0:1]
	v_cmp_ne_u32_e32 vcc, v141, v138
	s_and_saveexec_b64 s[0:1], vcc
	s_xor_b64 s[0:1], exec, s[0:1]
	s_cbranch_execz .LBB62_352
; %bb.347:
	v_cmp_eq_u32_e32 vcc, 16, v141
	s_and_saveexec_b64 s[16:17], vcc
	s_cbranch_execz .LBB62_351
; %bb.348:
	v_cmp_ne_u32_e32 vcc, 16, v138
	s_xor_b64 s[18:19], s[14:15], -1
	s_and_b64 s[22:23], s[18:19], vcc
	s_and_saveexec_b64 s[18:19], s[22:23]
	s_cbranch_execz .LBB62_350
; %bb.349:
	v_ashrrev_i32_e32 v139, 31, v138
	v_lshl_add_u64 v[144:145], v[138:139], 2, v[136:137]
	global_load_dword v139, v[144:145], off
	global_load_dword v141, v[136:137], off offset:64
	s_waitcnt vmcnt(1)
	global_store_dword v[136:137], v139, off offset:64
	s_waitcnt vmcnt(1)
	global_store_dword v[144:145], v141, off
.LBB62_350:
	s_or_b64 exec, exec, s[18:19]
	v_mov_b32_e32 v141, v138
	v_mov_b32_e32 v143, v138
.LBB62_351:
	s_or_b64 exec, exec, s[16:17]
.LBB62_352:
	s_andn2_saveexec_b64 s[0:1], s[0:1]
	s_cbranch_execz .LBB62_354
; %bb.353:
	v_mov_b32_e32 v141, 16
	s_waitcnt vmcnt(14)
	ds_write2_b64 v140, v[52:53], v[54:55] offset0:34 offset1:35
	s_waitcnt vmcnt(13)
	ds_write2_b64 v140, v[48:49], v[50:51] offset0:36 offset1:37
	s_waitcnt vmcnt(12)
	ds_write2_b64 v140, v[44:45], v[46:47] offset0:38 offset1:39
	s_waitcnt vmcnt(11)
	ds_write2_b64 v140, v[40:41], v[42:43] offset0:40 offset1:41
	s_waitcnt vmcnt(10)
	ds_write2_b64 v140, v[36:37], v[38:39] offset0:42 offset1:43
	s_waitcnt vmcnt(9)
	ds_write2_b64 v140, v[32:33], v[34:35] offset0:44 offset1:45
	s_waitcnt vmcnt(8)
	ds_write2_b64 v140, v[28:29], v[30:31] offset0:46 offset1:47
	s_waitcnt vmcnt(7)
	ds_write2_b64 v140, v[24:25], v[26:27] offset0:48 offset1:49
	s_waitcnt vmcnt(6)
	ds_write2_b64 v140, v[20:21], v[22:23] offset0:50 offset1:51
	s_waitcnt vmcnt(5)
	ds_write2_b64 v140, v[16:17], v[18:19] offset0:52 offset1:53
	s_waitcnt vmcnt(4)
	ds_write2_b64 v140, v[12:13], v[14:15] offset0:54 offset1:55
	s_waitcnt vmcnt(3)
	ds_write2_b64 v140, v[8:9], v[10:11] offset0:56 offset1:57
	s_waitcnt vmcnt(2)
	ds_write2_b64 v140, v[4:5], v[6:7] offset0:58 offset1:59
	s_waitcnt vmcnt(1)
	ds_write2_b64 v140, v[0:1], v[2:3] offset0:60 offset1:61
	s_waitcnt vmcnt(0)
	ds_write2_b64 v140, v[124:125], v[126:127] offset0:62 offset1:63
.LBB62_354:
	s_or_b64 exec, exec, s[0:1]
	v_cmp_lt_i32_e32 vcc, 16, v141
	s_waitcnt lgkmcnt(0)
	s_barrier
	s_and_saveexec_b64 s[0:1], vcc
	s_cbranch_execz .LBB62_356
; %bb.355:
	ds_read2_b64 v[144:147], v140 offset0:34 offset1:35
	v_mul_f64 v[138:139], v[128:129], v[58:59]
	v_fmac_f64_e32 v[138:139], v[130:131], v[56:57]
	v_mul_f64 v[58:59], v[130:131], v[58:59]
	v_fma_f64 v[56:57], v[128:129], v[56:57], -v[58:59]
	ds_read2_b64 v[128:131], v140 offset0:36 offset1:37
	s_waitcnt lgkmcnt(1)
	v_mul_f64 v[58:59], v[146:147], v[138:139]
	v_fma_f64 v[58:59], v[144:145], v[56:57], -v[58:59]
	v_mul_f64 v[144:145], v[144:145], v[138:139]
	v_fmac_f64_e32 v[144:145], v[146:147], v[56:57]
	s_waitcnt vmcnt(14)
	v_add_f64 v[54:55], v[54:55], -v[144:145]
	ds_read2_b64 v[144:147], v140 offset0:38 offset1:39
	v_add_f64 v[52:53], v[52:53], -v[58:59]
	s_waitcnt lgkmcnt(1)
	v_mul_f64 v[58:59], v[130:131], v[138:139]
	v_fma_f64 v[58:59], v[128:129], v[56:57], -v[58:59]
	v_mul_f64 v[128:129], v[128:129], v[138:139]
	v_fmac_f64_e32 v[128:129], v[130:131], v[56:57]
	s_waitcnt vmcnt(13)
	v_add_f64 v[48:49], v[48:49], -v[58:59]
	v_add_f64 v[50:51], v[50:51], -v[128:129]
	ds_read2_b64 v[128:131], v140 offset0:40 offset1:41
	s_waitcnt lgkmcnt(1)
	v_mul_f64 v[58:59], v[146:147], v[138:139]
	v_fma_f64 v[58:59], v[144:145], v[56:57], -v[58:59]
	v_mul_f64 v[144:145], v[144:145], v[138:139]
	v_fmac_f64_e32 v[144:145], v[146:147], v[56:57]
	s_waitcnt vmcnt(12)
	v_add_f64 v[46:47], v[46:47], -v[144:145]
	ds_read2_b64 v[144:147], v140 offset0:42 offset1:43
	v_add_f64 v[44:45], v[44:45], -v[58:59]
	s_waitcnt lgkmcnt(1)
	v_mul_f64 v[58:59], v[130:131], v[138:139]
	v_fma_f64 v[58:59], v[128:129], v[56:57], -v[58:59]
	v_mul_f64 v[128:129], v[128:129], v[138:139]
	v_fmac_f64_e32 v[128:129], v[130:131], v[56:57]
	s_waitcnt vmcnt(11)
	v_add_f64 v[40:41], v[40:41], -v[58:59]
	v_add_f64 v[42:43], v[42:43], -v[128:129]
	;; [unrolled: 18-line block ×7, first 2 shown]
	s_waitcnt lgkmcnt(0)
	v_mul_f64 v[58:59], v[146:147], v[138:139]
	v_mul_f64 v[128:129], v[144:145], v[138:139]
	v_fma_f64 v[58:59], v[144:145], v[56:57], -v[58:59]
	v_fmac_f64_e32 v[128:129], v[146:147], v[56:57]
	s_waitcnt vmcnt(0)
	v_add_f64 v[124:125], v[124:125], -v[58:59]
	v_add_f64 v[126:127], v[126:127], -v[128:129]
	v_mov_b64_e32 v[58:59], v[138:139]
.LBB62_356:
	s_or_b64 exec, exec, s[0:1]
	v_lshl_add_u32 v128, v141, 4, v140
	s_barrier
	s_waitcnt vmcnt(14)
	ds_write2_b64 v128, v[52:53], v[54:55] offset1:1
	s_waitcnt lgkmcnt(0)
	s_barrier
	ds_read2_b64 v[128:131], v140 offset0:34 offset1:35
	s_cmp_lt_i32 s20, 19
	v_mov_b32_e32 v138, 17
	s_cbranch_scc1 .LBB62_359
; %bb.357:
	v_add_u32_e32 v139, 0x120, v140
	s_mov_b32 s16, 18
	v_mov_b32_e32 v138, 17
.LBB62_358:                             ; =>This Inner Loop Header: Depth=1
	ds_read2_b64 v[144:147], v139 offset1:1
	s_waitcnt lgkmcnt(1)
	v_xor_b32_e32 v149, 0x80000000, v129
	v_xor_b32_e32 v151, 0x80000000, v131
	v_cmp_gt_f64_e32 vcc, 0, v[130:131]
	v_cmp_gt_f64_e64 s[0:1], 0, v[128:129]
	v_mov_b32_e32 v148, v128
	v_mov_b32_e32 v150, v130
	v_cndmask_b32_e64 v149, v129, v149, s[0:1]
	v_cndmask_b32_e32 v151, v131, v151, vcc
	v_add_f64 v[148:149], v[148:149], v[150:151]
	s_waitcnt lgkmcnt(0)
	v_xor_b32_e32 v151, 0x80000000, v145
	v_xor_b32_e32 v153, 0x80000000, v147
	v_cmp_gt_f64_e32 vcc, 0, v[146:147]
	v_cmp_gt_f64_e64 s[0:1], 0, v[144:145]
	v_mov_b32_e32 v150, v144
	v_mov_b32_e32 v152, v146
	v_cndmask_b32_e64 v151, v145, v151, s[0:1]
	v_cndmask_b32_e32 v153, v147, v153, vcc
	v_add_f64 v[150:151], v[150:151], v[152:153]
	v_mov_b32_e32 v154, s16
	s_add_i32 s16, s16, 1
	v_cmp_lt_f64_e32 vcc, v[148:149], v[150:151]
	v_add_u32_e32 v139, 16, v139
	s_cmp_lg_u32 s20, s16
	v_cndmask_b32_e32 v129, v129, v145, vcc
	v_cndmask_b32_e32 v128, v128, v144, vcc
	;; [unrolled: 1-line block ×5, first 2 shown]
	s_cbranch_scc1 .LBB62_358
.LBB62_359:
	s_waitcnt lgkmcnt(0)
	v_cmp_eq_f64_e32 vcc, 0, v[128:129]
	v_cmp_eq_f64_e64 s[0:1], 0, v[130:131]
	s_and_b64 s[0:1], vcc, s[0:1]
	s_and_saveexec_b64 s[16:17], s[0:1]
	s_xor_b64 s[0:1], exec, s[16:17]
; %bb.360:
	v_cmp_ne_u32_e32 vcc, 0, v142
	s_nop 1
	v_cndmask_b32_e32 v142, 18, v142, vcc
; %bb.361:
	s_andn2_saveexec_b64 s[0:1], s[0:1]
	s_cbranch_execz .LBB62_367
; %bb.362:
	v_cmp_ngt_f64_e64 s[16:17], |v[128:129]|, |v[130:131]|
	s_and_saveexec_b64 s[18:19], s[16:17]
	s_xor_b64 s[16:17], exec, s[18:19]
	s_cbranch_execz .LBB62_364
; %bb.363:
	v_div_scale_f64 v[144:145], s[18:19], v[130:131], v[130:131], v[128:129]
	v_rcp_f64_e32 v[146:147], v[144:145]
	v_div_scale_f64 v[148:149], vcc, v[128:129], v[130:131], v[128:129]
	v_fma_f64 v[150:151], -v[144:145], v[146:147], 1.0
	v_fmac_f64_e32 v[146:147], v[146:147], v[150:151]
	v_fma_f64 v[150:151], -v[144:145], v[146:147], 1.0
	v_fmac_f64_e32 v[146:147], v[146:147], v[150:151]
	v_mul_f64 v[150:151], v[148:149], v[146:147]
	v_fma_f64 v[144:145], -v[144:145], v[150:151], v[148:149]
	v_div_fmas_f64 v[144:145], v[144:145], v[146:147], v[150:151]
	v_div_fixup_f64 v[144:145], v[144:145], v[130:131], v[128:129]
	v_fmac_f64_e32 v[130:131], v[128:129], v[144:145]
	v_div_scale_f64 v[128:129], s[18:19], v[130:131], v[130:131], 1.0
	v_rcp_f64_e32 v[146:147], v[128:129]
	s_nop 0
	v_fma_f64 v[148:149], -v[128:129], v[146:147], 1.0
	v_fmac_f64_e32 v[146:147], v[146:147], v[148:149]
	v_fma_f64 v[148:149], -v[128:129], v[146:147], 1.0
	v_fmac_f64_e32 v[146:147], v[146:147], v[148:149]
	v_div_scale_f64 v[148:149], vcc, 1.0, v[130:131], 1.0
	v_mul_f64 v[150:151], v[148:149], v[146:147]
	v_fma_f64 v[128:129], -v[128:129], v[150:151], v[148:149]
	s_nop 1
	v_div_fmas_f64 v[128:129], v[128:129], v[146:147], v[150:151]
	v_div_fixup_f64 v[130:131], v[128:129], v[130:131], 1.0
	v_mul_f64 v[128:129], v[144:145], v[130:131]
	v_xor_b32_e32 v131, 0x80000000, v131
.LBB62_364:
	s_andn2_saveexec_b64 s[16:17], s[16:17]
	s_cbranch_execz .LBB62_366
; %bb.365:
	v_div_scale_f64 v[144:145], s[18:19], v[128:129], v[128:129], v[130:131]
	v_rcp_f64_e32 v[146:147], v[144:145]
	v_div_scale_f64 v[148:149], vcc, v[130:131], v[128:129], v[130:131]
	v_fma_f64 v[150:151], -v[144:145], v[146:147], 1.0
	v_fmac_f64_e32 v[146:147], v[146:147], v[150:151]
	v_fma_f64 v[150:151], -v[144:145], v[146:147], 1.0
	v_fmac_f64_e32 v[146:147], v[146:147], v[150:151]
	v_mul_f64 v[150:151], v[148:149], v[146:147]
	v_fma_f64 v[144:145], -v[144:145], v[150:151], v[148:149]
	v_div_fmas_f64 v[144:145], v[144:145], v[146:147], v[150:151]
	v_div_fixup_f64 v[144:145], v[144:145], v[128:129], v[130:131]
	v_fmac_f64_e32 v[128:129], v[130:131], v[144:145]
	v_div_scale_f64 v[130:131], s[18:19], v[128:129], v[128:129], 1.0
	v_rcp_f64_e32 v[146:147], v[130:131]
	s_nop 0
	v_fma_f64 v[148:149], -v[130:131], v[146:147], 1.0
	v_fmac_f64_e32 v[146:147], v[146:147], v[148:149]
	v_fma_f64 v[148:149], -v[130:131], v[146:147], 1.0
	v_fmac_f64_e32 v[146:147], v[146:147], v[148:149]
	v_div_scale_f64 v[148:149], vcc, 1.0, v[128:129], 1.0
	v_mul_f64 v[150:151], v[148:149], v[146:147]
	v_fma_f64 v[130:131], -v[130:131], v[150:151], v[148:149]
	s_nop 1
	v_div_fmas_f64 v[130:131], v[130:131], v[146:147], v[150:151]
	v_div_fixup_f64 v[128:129], v[130:131], v[128:129], 1.0
	v_mul_f64 v[130:131], v[144:145], -v[128:129]
.LBB62_366:
	s_or_b64 exec, exec, s[16:17]
.LBB62_367:
	s_or_b64 exec, exec, s[0:1]
	v_cmp_ne_u32_e32 vcc, v141, v138
	s_and_saveexec_b64 s[0:1], vcc
	s_xor_b64 s[0:1], exec, s[0:1]
	s_cbranch_execz .LBB62_373
; %bb.368:
	v_cmp_eq_u32_e32 vcc, 17, v141
	s_and_saveexec_b64 s[16:17], vcc
	s_cbranch_execz .LBB62_372
; %bb.369:
	v_cmp_ne_u32_e32 vcc, 17, v138
	s_xor_b64 s[18:19], s[14:15], -1
	s_and_b64 s[22:23], s[18:19], vcc
	s_and_saveexec_b64 s[18:19], s[22:23]
	s_cbranch_execz .LBB62_371
; %bb.370:
	v_ashrrev_i32_e32 v139, 31, v138
	v_lshl_add_u64 v[144:145], v[138:139], 2, v[136:137]
	global_load_dword v139, v[144:145], off
	global_load_dword v141, v[136:137], off offset:68
	s_waitcnt vmcnt(1)
	global_store_dword v[136:137], v139, off offset:68
	s_waitcnt vmcnt(1)
	global_store_dword v[144:145], v141, off
.LBB62_371:
	s_or_b64 exec, exec, s[18:19]
	v_mov_b32_e32 v141, v138
	v_mov_b32_e32 v143, v138
.LBB62_372:
	s_or_b64 exec, exec, s[16:17]
.LBB62_373:
	s_andn2_saveexec_b64 s[0:1], s[0:1]
	s_cbranch_execz .LBB62_375
; %bb.374:
	v_mov_b32_e32 v141, 17
	s_waitcnt vmcnt(13)
	ds_write2_b64 v140, v[48:49], v[50:51] offset0:36 offset1:37
	s_waitcnt vmcnt(12)
	ds_write2_b64 v140, v[44:45], v[46:47] offset0:38 offset1:39
	;; [unrolled: 2-line block ×14, first 2 shown]
.LBB62_375:
	s_or_b64 exec, exec, s[0:1]
	v_cmp_lt_i32_e32 vcc, 17, v141
	s_waitcnt lgkmcnt(0)
	s_barrier
	s_and_saveexec_b64 s[0:1], vcc
	s_cbranch_execz .LBB62_377
; %bb.376:
	ds_read2_b64 v[144:147], v140 offset0:36 offset1:37
	v_mul_f64 v[138:139], v[128:129], v[54:55]
	v_mul_f64 v[54:55], v[130:131], v[54:55]
	v_fmac_f64_e32 v[138:139], v[130:131], v[52:53]
	v_fma_f64 v[52:53], v[128:129], v[52:53], -v[54:55]
	ds_read2_b64 v[128:131], v140 offset0:38 offset1:39
	s_waitcnt lgkmcnt(1)
	v_mul_f64 v[54:55], v[146:147], v[138:139]
	v_fma_f64 v[54:55], v[144:145], v[52:53], -v[54:55]
	v_mul_f64 v[144:145], v[144:145], v[138:139]
	v_fmac_f64_e32 v[144:145], v[146:147], v[52:53]
	s_waitcnt vmcnt(13)
	v_add_f64 v[48:49], v[48:49], -v[54:55]
	s_waitcnt lgkmcnt(0)
	v_mul_f64 v[54:55], v[130:131], v[138:139]
	v_add_f64 v[50:51], v[50:51], -v[144:145]
	v_fma_f64 v[54:55], v[128:129], v[52:53], -v[54:55]
	v_mul_f64 v[128:129], v[128:129], v[138:139]
	ds_read2_b64 v[144:147], v140 offset0:40 offset1:41
	v_fmac_f64_e32 v[128:129], v[130:131], v[52:53]
	s_waitcnt vmcnt(12)
	v_add_f64 v[46:47], v[46:47], -v[128:129]
	ds_read2_b64 v[128:131], v140 offset0:42 offset1:43
	v_add_f64 v[44:45], v[44:45], -v[54:55]
	s_waitcnt lgkmcnt(1)
	v_mul_f64 v[54:55], v[146:147], v[138:139]
	v_fma_f64 v[54:55], v[144:145], v[52:53], -v[54:55]
	v_mul_f64 v[144:145], v[144:145], v[138:139]
	v_fmac_f64_e32 v[144:145], v[146:147], v[52:53]
	s_waitcnt vmcnt(11)
	v_add_f64 v[40:41], v[40:41], -v[54:55]
	s_waitcnt lgkmcnt(0)
	v_mul_f64 v[54:55], v[130:131], v[138:139]
	v_add_f64 v[42:43], v[42:43], -v[144:145]
	v_fma_f64 v[54:55], v[128:129], v[52:53], -v[54:55]
	v_mul_f64 v[128:129], v[128:129], v[138:139]
	ds_read2_b64 v[144:147], v140 offset0:44 offset1:45
	v_fmac_f64_e32 v[128:129], v[130:131], v[52:53]
	s_waitcnt vmcnt(10)
	v_add_f64 v[38:39], v[38:39], -v[128:129]
	ds_read2_b64 v[128:131], v140 offset0:46 offset1:47
	v_add_f64 v[36:37], v[36:37], -v[54:55]
	;; [unrolled: 18-line block ×6, first 2 shown]
	s_waitcnt lgkmcnt(1)
	v_mul_f64 v[54:55], v[146:147], v[138:139]
	v_fma_f64 v[54:55], v[144:145], v[52:53], -v[54:55]
	s_waitcnt vmcnt(1)
	v_add_f64 v[0:1], v[0:1], -v[54:55]
	s_waitcnt lgkmcnt(0)
	v_mul_f64 v[54:55], v[130:131], v[138:139]
	v_mul_f64 v[144:145], v[144:145], v[138:139]
	v_fma_f64 v[54:55], v[128:129], v[52:53], -v[54:55]
	v_mul_f64 v[128:129], v[128:129], v[138:139]
	v_fmac_f64_e32 v[144:145], v[146:147], v[52:53]
	v_fmac_f64_e32 v[128:129], v[130:131], v[52:53]
	v_add_f64 v[2:3], v[2:3], -v[144:145]
	s_waitcnt vmcnt(0)
	v_add_f64 v[124:125], v[124:125], -v[54:55]
	v_add_f64 v[126:127], v[126:127], -v[128:129]
	v_mov_b64_e32 v[54:55], v[138:139]
.LBB62_377:
	s_or_b64 exec, exec, s[0:1]
	v_lshl_add_u32 v128, v141, 4, v140
	s_barrier
	s_waitcnt vmcnt(13)
	ds_write2_b64 v128, v[48:49], v[50:51] offset1:1
	s_waitcnt lgkmcnt(0)
	s_barrier
	ds_read2_b64 v[128:131], v140 offset0:36 offset1:37
	s_cmp_lt_i32 s20, 20
	v_mov_b32_e32 v138, 18
	s_cbranch_scc1 .LBB62_380
; %bb.378:
	v_add_u32_e32 v139, 0x130, v140
	s_mov_b32 s16, 19
	v_mov_b32_e32 v138, 18
.LBB62_379:                             ; =>This Inner Loop Header: Depth=1
	ds_read2_b64 v[144:147], v139 offset1:1
	s_waitcnt lgkmcnt(1)
	v_xor_b32_e32 v149, 0x80000000, v129
	v_xor_b32_e32 v151, 0x80000000, v131
	v_cmp_gt_f64_e32 vcc, 0, v[130:131]
	v_cmp_gt_f64_e64 s[0:1], 0, v[128:129]
	v_mov_b32_e32 v148, v128
	v_mov_b32_e32 v150, v130
	v_cndmask_b32_e64 v149, v129, v149, s[0:1]
	v_cndmask_b32_e32 v151, v131, v151, vcc
	v_add_f64 v[148:149], v[148:149], v[150:151]
	s_waitcnt lgkmcnt(0)
	v_xor_b32_e32 v151, 0x80000000, v145
	v_xor_b32_e32 v153, 0x80000000, v147
	v_cmp_gt_f64_e32 vcc, 0, v[146:147]
	v_cmp_gt_f64_e64 s[0:1], 0, v[144:145]
	v_mov_b32_e32 v150, v144
	v_mov_b32_e32 v152, v146
	v_cndmask_b32_e64 v151, v145, v151, s[0:1]
	v_cndmask_b32_e32 v153, v147, v153, vcc
	v_add_f64 v[150:151], v[150:151], v[152:153]
	v_mov_b32_e32 v154, s16
	s_add_i32 s16, s16, 1
	v_cmp_lt_f64_e32 vcc, v[148:149], v[150:151]
	v_add_u32_e32 v139, 16, v139
	s_cmp_lg_u32 s20, s16
	v_cndmask_b32_e32 v129, v129, v145, vcc
	v_cndmask_b32_e32 v128, v128, v144, vcc
	v_cndmask_b32_e32 v131, v131, v147, vcc
	v_cndmask_b32_e32 v130, v130, v146, vcc
	v_cndmask_b32_e32 v138, v138, v154, vcc
	s_cbranch_scc1 .LBB62_379
.LBB62_380:
	s_waitcnt lgkmcnt(0)
	v_cmp_eq_f64_e32 vcc, 0, v[128:129]
	v_cmp_eq_f64_e64 s[0:1], 0, v[130:131]
	s_and_b64 s[0:1], vcc, s[0:1]
	s_and_saveexec_b64 s[16:17], s[0:1]
	s_xor_b64 s[0:1], exec, s[16:17]
; %bb.381:
	v_cmp_ne_u32_e32 vcc, 0, v142
	s_nop 1
	v_cndmask_b32_e32 v142, 19, v142, vcc
; %bb.382:
	s_andn2_saveexec_b64 s[0:1], s[0:1]
	s_cbranch_execz .LBB62_388
; %bb.383:
	v_cmp_ngt_f64_e64 s[16:17], |v[128:129]|, |v[130:131]|
	s_and_saveexec_b64 s[18:19], s[16:17]
	s_xor_b64 s[16:17], exec, s[18:19]
	s_cbranch_execz .LBB62_385
; %bb.384:
	v_div_scale_f64 v[144:145], s[18:19], v[130:131], v[130:131], v[128:129]
	v_rcp_f64_e32 v[146:147], v[144:145]
	v_div_scale_f64 v[148:149], vcc, v[128:129], v[130:131], v[128:129]
	v_fma_f64 v[150:151], -v[144:145], v[146:147], 1.0
	v_fmac_f64_e32 v[146:147], v[146:147], v[150:151]
	v_fma_f64 v[150:151], -v[144:145], v[146:147], 1.0
	v_fmac_f64_e32 v[146:147], v[146:147], v[150:151]
	v_mul_f64 v[150:151], v[148:149], v[146:147]
	v_fma_f64 v[144:145], -v[144:145], v[150:151], v[148:149]
	v_div_fmas_f64 v[144:145], v[144:145], v[146:147], v[150:151]
	v_div_fixup_f64 v[144:145], v[144:145], v[130:131], v[128:129]
	v_fmac_f64_e32 v[130:131], v[128:129], v[144:145]
	v_div_scale_f64 v[128:129], s[18:19], v[130:131], v[130:131], 1.0
	v_rcp_f64_e32 v[146:147], v[128:129]
	s_nop 0
	v_fma_f64 v[148:149], -v[128:129], v[146:147], 1.0
	v_fmac_f64_e32 v[146:147], v[146:147], v[148:149]
	v_fma_f64 v[148:149], -v[128:129], v[146:147], 1.0
	v_fmac_f64_e32 v[146:147], v[146:147], v[148:149]
	v_div_scale_f64 v[148:149], vcc, 1.0, v[130:131], 1.0
	v_mul_f64 v[150:151], v[148:149], v[146:147]
	v_fma_f64 v[128:129], -v[128:129], v[150:151], v[148:149]
	s_nop 1
	v_div_fmas_f64 v[128:129], v[128:129], v[146:147], v[150:151]
	v_div_fixup_f64 v[130:131], v[128:129], v[130:131], 1.0
	v_mul_f64 v[128:129], v[144:145], v[130:131]
	v_xor_b32_e32 v131, 0x80000000, v131
.LBB62_385:
	s_andn2_saveexec_b64 s[16:17], s[16:17]
	s_cbranch_execz .LBB62_387
; %bb.386:
	v_div_scale_f64 v[144:145], s[18:19], v[128:129], v[128:129], v[130:131]
	v_rcp_f64_e32 v[146:147], v[144:145]
	v_div_scale_f64 v[148:149], vcc, v[130:131], v[128:129], v[130:131]
	v_fma_f64 v[150:151], -v[144:145], v[146:147], 1.0
	v_fmac_f64_e32 v[146:147], v[146:147], v[150:151]
	v_fma_f64 v[150:151], -v[144:145], v[146:147], 1.0
	v_fmac_f64_e32 v[146:147], v[146:147], v[150:151]
	v_mul_f64 v[150:151], v[148:149], v[146:147]
	v_fma_f64 v[144:145], -v[144:145], v[150:151], v[148:149]
	v_div_fmas_f64 v[144:145], v[144:145], v[146:147], v[150:151]
	v_div_fixup_f64 v[144:145], v[144:145], v[128:129], v[130:131]
	v_fmac_f64_e32 v[128:129], v[130:131], v[144:145]
	v_div_scale_f64 v[130:131], s[18:19], v[128:129], v[128:129], 1.0
	v_rcp_f64_e32 v[146:147], v[130:131]
	s_nop 0
	v_fma_f64 v[148:149], -v[130:131], v[146:147], 1.0
	v_fmac_f64_e32 v[146:147], v[146:147], v[148:149]
	v_fma_f64 v[148:149], -v[130:131], v[146:147], 1.0
	v_fmac_f64_e32 v[146:147], v[146:147], v[148:149]
	v_div_scale_f64 v[148:149], vcc, 1.0, v[128:129], 1.0
	v_mul_f64 v[150:151], v[148:149], v[146:147]
	v_fma_f64 v[130:131], -v[130:131], v[150:151], v[148:149]
	s_nop 1
	v_div_fmas_f64 v[130:131], v[130:131], v[146:147], v[150:151]
	v_div_fixup_f64 v[128:129], v[130:131], v[128:129], 1.0
	v_mul_f64 v[130:131], v[144:145], -v[128:129]
.LBB62_387:
	s_or_b64 exec, exec, s[16:17]
.LBB62_388:
	s_or_b64 exec, exec, s[0:1]
	v_cmp_ne_u32_e32 vcc, v141, v138
	s_and_saveexec_b64 s[0:1], vcc
	s_xor_b64 s[0:1], exec, s[0:1]
	s_cbranch_execz .LBB62_394
; %bb.389:
	v_cmp_eq_u32_e32 vcc, 18, v141
	s_and_saveexec_b64 s[16:17], vcc
	s_cbranch_execz .LBB62_393
; %bb.390:
	v_cmp_ne_u32_e32 vcc, 18, v138
	s_xor_b64 s[18:19], s[14:15], -1
	s_and_b64 s[22:23], s[18:19], vcc
	s_and_saveexec_b64 s[18:19], s[22:23]
	s_cbranch_execz .LBB62_392
; %bb.391:
	v_ashrrev_i32_e32 v139, 31, v138
	v_lshl_add_u64 v[144:145], v[138:139], 2, v[136:137]
	global_load_dword v139, v[144:145], off
	global_load_dword v141, v[136:137], off offset:72
	s_waitcnt vmcnt(1)
	global_store_dword v[136:137], v139, off offset:72
	s_waitcnt vmcnt(1)
	global_store_dword v[144:145], v141, off
.LBB62_392:
	s_or_b64 exec, exec, s[18:19]
	v_mov_b32_e32 v141, v138
	v_mov_b32_e32 v143, v138
.LBB62_393:
	s_or_b64 exec, exec, s[16:17]
.LBB62_394:
	s_andn2_saveexec_b64 s[0:1], s[0:1]
	s_cbranch_execz .LBB62_396
; %bb.395:
	v_mov_b32_e32 v141, 18
	s_waitcnt vmcnt(12)
	ds_write2_b64 v140, v[44:45], v[46:47] offset0:38 offset1:39
	s_waitcnt vmcnt(11)
	ds_write2_b64 v140, v[40:41], v[42:43] offset0:40 offset1:41
	s_waitcnt vmcnt(10)
	ds_write2_b64 v140, v[36:37], v[38:39] offset0:42 offset1:43
	s_waitcnt vmcnt(9)
	ds_write2_b64 v140, v[32:33], v[34:35] offset0:44 offset1:45
	s_waitcnt vmcnt(8)
	ds_write2_b64 v140, v[28:29], v[30:31] offset0:46 offset1:47
	s_waitcnt vmcnt(7)
	ds_write2_b64 v140, v[24:25], v[26:27] offset0:48 offset1:49
	s_waitcnt vmcnt(6)
	ds_write2_b64 v140, v[20:21], v[22:23] offset0:50 offset1:51
	s_waitcnt vmcnt(5)
	ds_write2_b64 v140, v[16:17], v[18:19] offset0:52 offset1:53
	s_waitcnt vmcnt(4)
	ds_write2_b64 v140, v[12:13], v[14:15] offset0:54 offset1:55
	s_waitcnt vmcnt(3)
	ds_write2_b64 v140, v[8:9], v[10:11] offset0:56 offset1:57
	s_waitcnt vmcnt(2)
	ds_write2_b64 v140, v[4:5], v[6:7] offset0:58 offset1:59
	s_waitcnt vmcnt(1)
	ds_write2_b64 v140, v[0:1], v[2:3] offset0:60 offset1:61
	s_waitcnt vmcnt(0)
	ds_write2_b64 v140, v[124:125], v[126:127] offset0:62 offset1:63
.LBB62_396:
	s_or_b64 exec, exec, s[0:1]
	v_cmp_lt_i32_e32 vcc, 18, v141
	s_waitcnt lgkmcnt(0)
	s_barrier
	s_and_saveexec_b64 s[0:1], vcc
	s_cbranch_execz .LBB62_398
; %bb.397:
	ds_read2_b64 v[144:147], v140 offset0:38 offset1:39
	v_mul_f64 v[138:139], v[128:129], v[50:51]
	v_fmac_f64_e32 v[138:139], v[130:131], v[48:49]
	v_mul_f64 v[50:51], v[130:131], v[50:51]
	v_fma_f64 v[48:49], v[128:129], v[48:49], -v[50:51]
	ds_read2_b64 v[128:131], v140 offset0:40 offset1:41
	s_waitcnt lgkmcnt(1)
	v_mul_f64 v[50:51], v[146:147], v[138:139]
	v_fma_f64 v[50:51], v[144:145], v[48:49], -v[50:51]
	v_mul_f64 v[144:145], v[144:145], v[138:139]
	v_fmac_f64_e32 v[144:145], v[146:147], v[48:49]
	s_waitcnt vmcnt(12)
	v_add_f64 v[46:47], v[46:47], -v[144:145]
	ds_read2_b64 v[144:147], v140 offset0:42 offset1:43
	v_add_f64 v[44:45], v[44:45], -v[50:51]
	s_waitcnt lgkmcnt(1)
	v_mul_f64 v[50:51], v[130:131], v[138:139]
	v_fma_f64 v[50:51], v[128:129], v[48:49], -v[50:51]
	v_mul_f64 v[128:129], v[128:129], v[138:139]
	v_fmac_f64_e32 v[128:129], v[130:131], v[48:49]
	s_waitcnt vmcnt(11)
	v_add_f64 v[40:41], v[40:41], -v[50:51]
	v_add_f64 v[42:43], v[42:43], -v[128:129]
	ds_read2_b64 v[128:131], v140 offset0:44 offset1:45
	s_waitcnt lgkmcnt(1)
	v_mul_f64 v[50:51], v[146:147], v[138:139]
	v_fma_f64 v[50:51], v[144:145], v[48:49], -v[50:51]
	v_mul_f64 v[144:145], v[144:145], v[138:139]
	v_fmac_f64_e32 v[144:145], v[146:147], v[48:49]
	s_waitcnt vmcnt(10)
	v_add_f64 v[38:39], v[38:39], -v[144:145]
	ds_read2_b64 v[144:147], v140 offset0:46 offset1:47
	v_add_f64 v[36:37], v[36:37], -v[50:51]
	s_waitcnt lgkmcnt(1)
	v_mul_f64 v[50:51], v[130:131], v[138:139]
	v_fma_f64 v[50:51], v[128:129], v[48:49], -v[50:51]
	v_mul_f64 v[128:129], v[128:129], v[138:139]
	v_fmac_f64_e32 v[128:129], v[130:131], v[48:49]
	s_waitcnt vmcnt(9)
	v_add_f64 v[32:33], v[32:33], -v[50:51]
	v_add_f64 v[34:35], v[34:35], -v[128:129]
	;; [unrolled: 18-line block ×6, first 2 shown]
	s_waitcnt lgkmcnt(0)
	v_mul_f64 v[50:51], v[146:147], v[138:139]
	v_mul_f64 v[128:129], v[144:145], v[138:139]
	v_fma_f64 v[50:51], v[144:145], v[48:49], -v[50:51]
	v_fmac_f64_e32 v[128:129], v[146:147], v[48:49]
	s_waitcnt vmcnt(0)
	v_add_f64 v[124:125], v[124:125], -v[50:51]
	v_add_f64 v[126:127], v[126:127], -v[128:129]
	v_mov_b64_e32 v[50:51], v[138:139]
.LBB62_398:
	s_or_b64 exec, exec, s[0:1]
	v_lshl_add_u32 v128, v141, 4, v140
	s_barrier
	s_waitcnt vmcnt(12)
	ds_write2_b64 v128, v[44:45], v[46:47] offset1:1
	s_waitcnt lgkmcnt(0)
	s_barrier
	ds_read2_b64 v[128:131], v140 offset0:38 offset1:39
	s_cmp_lt_i32 s20, 21
	v_mov_b32_e32 v138, 19
	s_cbranch_scc1 .LBB62_401
; %bb.399:
	v_add_u32_e32 v139, 0x140, v140
	s_mov_b32 s16, 20
	v_mov_b32_e32 v138, 19
.LBB62_400:                             ; =>This Inner Loop Header: Depth=1
	ds_read2_b64 v[144:147], v139 offset1:1
	s_waitcnt lgkmcnt(1)
	v_xor_b32_e32 v149, 0x80000000, v129
	v_xor_b32_e32 v151, 0x80000000, v131
	v_cmp_gt_f64_e32 vcc, 0, v[130:131]
	v_cmp_gt_f64_e64 s[0:1], 0, v[128:129]
	v_mov_b32_e32 v148, v128
	v_mov_b32_e32 v150, v130
	v_cndmask_b32_e64 v149, v129, v149, s[0:1]
	v_cndmask_b32_e32 v151, v131, v151, vcc
	v_add_f64 v[148:149], v[148:149], v[150:151]
	s_waitcnt lgkmcnt(0)
	v_xor_b32_e32 v151, 0x80000000, v145
	v_xor_b32_e32 v153, 0x80000000, v147
	v_cmp_gt_f64_e32 vcc, 0, v[146:147]
	v_cmp_gt_f64_e64 s[0:1], 0, v[144:145]
	v_mov_b32_e32 v150, v144
	v_mov_b32_e32 v152, v146
	v_cndmask_b32_e64 v151, v145, v151, s[0:1]
	v_cndmask_b32_e32 v153, v147, v153, vcc
	v_add_f64 v[150:151], v[150:151], v[152:153]
	v_mov_b32_e32 v154, s16
	s_add_i32 s16, s16, 1
	v_cmp_lt_f64_e32 vcc, v[148:149], v[150:151]
	v_add_u32_e32 v139, 16, v139
	s_cmp_lg_u32 s20, s16
	v_cndmask_b32_e32 v129, v129, v145, vcc
	v_cndmask_b32_e32 v128, v128, v144, vcc
	;; [unrolled: 1-line block ×5, first 2 shown]
	s_cbranch_scc1 .LBB62_400
.LBB62_401:
	s_waitcnt lgkmcnt(0)
	v_cmp_eq_f64_e32 vcc, 0, v[128:129]
	v_cmp_eq_f64_e64 s[0:1], 0, v[130:131]
	s_and_b64 s[0:1], vcc, s[0:1]
	s_and_saveexec_b64 s[16:17], s[0:1]
	s_xor_b64 s[0:1], exec, s[16:17]
; %bb.402:
	v_cmp_ne_u32_e32 vcc, 0, v142
	s_nop 1
	v_cndmask_b32_e32 v142, 20, v142, vcc
; %bb.403:
	s_andn2_saveexec_b64 s[0:1], s[0:1]
	s_cbranch_execz .LBB62_409
; %bb.404:
	v_cmp_ngt_f64_e64 s[16:17], |v[128:129]|, |v[130:131]|
	s_and_saveexec_b64 s[18:19], s[16:17]
	s_xor_b64 s[16:17], exec, s[18:19]
	s_cbranch_execz .LBB62_406
; %bb.405:
	v_div_scale_f64 v[144:145], s[18:19], v[130:131], v[130:131], v[128:129]
	v_rcp_f64_e32 v[146:147], v[144:145]
	v_div_scale_f64 v[148:149], vcc, v[128:129], v[130:131], v[128:129]
	v_fma_f64 v[150:151], -v[144:145], v[146:147], 1.0
	v_fmac_f64_e32 v[146:147], v[146:147], v[150:151]
	v_fma_f64 v[150:151], -v[144:145], v[146:147], 1.0
	v_fmac_f64_e32 v[146:147], v[146:147], v[150:151]
	v_mul_f64 v[150:151], v[148:149], v[146:147]
	v_fma_f64 v[144:145], -v[144:145], v[150:151], v[148:149]
	v_div_fmas_f64 v[144:145], v[144:145], v[146:147], v[150:151]
	v_div_fixup_f64 v[144:145], v[144:145], v[130:131], v[128:129]
	v_fmac_f64_e32 v[130:131], v[128:129], v[144:145]
	v_div_scale_f64 v[128:129], s[18:19], v[130:131], v[130:131], 1.0
	v_rcp_f64_e32 v[146:147], v[128:129]
	s_nop 0
	v_fma_f64 v[148:149], -v[128:129], v[146:147], 1.0
	v_fmac_f64_e32 v[146:147], v[146:147], v[148:149]
	v_fma_f64 v[148:149], -v[128:129], v[146:147], 1.0
	v_fmac_f64_e32 v[146:147], v[146:147], v[148:149]
	v_div_scale_f64 v[148:149], vcc, 1.0, v[130:131], 1.0
	v_mul_f64 v[150:151], v[148:149], v[146:147]
	v_fma_f64 v[128:129], -v[128:129], v[150:151], v[148:149]
	s_nop 1
	v_div_fmas_f64 v[128:129], v[128:129], v[146:147], v[150:151]
	v_div_fixup_f64 v[130:131], v[128:129], v[130:131], 1.0
	v_mul_f64 v[128:129], v[144:145], v[130:131]
	v_xor_b32_e32 v131, 0x80000000, v131
.LBB62_406:
	s_andn2_saveexec_b64 s[16:17], s[16:17]
	s_cbranch_execz .LBB62_408
; %bb.407:
	v_div_scale_f64 v[144:145], s[18:19], v[128:129], v[128:129], v[130:131]
	v_rcp_f64_e32 v[146:147], v[144:145]
	v_div_scale_f64 v[148:149], vcc, v[130:131], v[128:129], v[130:131]
	v_fma_f64 v[150:151], -v[144:145], v[146:147], 1.0
	v_fmac_f64_e32 v[146:147], v[146:147], v[150:151]
	v_fma_f64 v[150:151], -v[144:145], v[146:147], 1.0
	v_fmac_f64_e32 v[146:147], v[146:147], v[150:151]
	v_mul_f64 v[150:151], v[148:149], v[146:147]
	v_fma_f64 v[144:145], -v[144:145], v[150:151], v[148:149]
	v_div_fmas_f64 v[144:145], v[144:145], v[146:147], v[150:151]
	v_div_fixup_f64 v[144:145], v[144:145], v[128:129], v[130:131]
	v_fmac_f64_e32 v[128:129], v[130:131], v[144:145]
	v_div_scale_f64 v[130:131], s[18:19], v[128:129], v[128:129], 1.0
	v_rcp_f64_e32 v[146:147], v[130:131]
	s_nop 0
	v_fma_f64 v[148:149], -v[130:131], v[146:147], 1.0
	v_fmac_f64_e32 v[146:147], v[146:147], v[148:149]
	v_fma_f64 v[148:149], -v[130:131], v[146:147], 1.0
	v_fmac_f64_e32 v[146:147], v[146:147], v[148:149]
	v_div_scale_f64 v[148:149], vcc, 1.0, v[128:129], 1.0
	v_mul_f64 v[150:151], v[148:149], v[146:147]
	v_fma_f64 v[130:131], -v[130:131], v[150:151], v[148:149]
	s_nop 1
	v_div_fmas_f64 v[130:131], v[130:131], v[146:147], v[150:151]
	v_div_fixup_f64 v[128:129], v[130:131], v[128:129], 1.0
	v_mul_f64 v[130:131], v[144:145], -v[128:129]
.LBB62_408:
	s_or_b64 exec, exec, s[16:17]
.LBB62_409:
	s_or_b64 exec, exec, s[0:1]
	v_cmp_ne_u32_e32 vcc, v141, v138
	s_and_saveexec_b64 s[0:1], vcc
	s_xor_b64 s[0:1], exec, s[0:1]
	s_cbranch_execz .LBB62_415
; %bb.410:
	v_cmp_eq_u32_e32 vcc, 19, v141
	s_and_saveexec_b64 s[16:17], vcc
	s_cbranch_execz .LBB62_414
; %bb.411:
	v_cmp_ne_u32_e32 vcc, 19, v138
	s_xor_b64 s[18:19], s[14:15], -1
	s_and_b64 s[22:23], s[18:19], vcc
	s_and_saveexec_b64 s[18:19], s[22:23]
	s_cbranch_execz .LBB62_413
; %bb.412:
	v_ashrrev_i32_e32 v139, 31, v138
	v_lshl_add_u64 v[144:145], v[138:139], 2, v[136:137]
	global_load_dword v139, v[144:145], off
	global_load_dword v141, v[136:137], off offset:76
	s_waitcnt vmcnt(1)
	global_store_dword v[136:137], v139, off offset:76
	s_waitcnt vmcnt(1)
	global_store_dword v[144:145], v141, off
.LBB62_413:
	s_or_b64 exec, exec, s[18:19]
	v_mov_b32_e32 v141, v138
	v_mov_b32_e32 v143, v138
.LBB62_414:
	s_or_b64 exec, exec, s[16:17]
.LBB62_415:
	s_andn2_saveexec_b64 s[0:1], s[0:1]
	s_cbranch_execz .LBB62_417
; %bb.416:
	v_mov_b32_e32 v141, 19
	s_waitcnt vmcnt(11)
	ds_write2_b64 v140, v[40:41], v[42:43] offset0:40 offset1:41
	s_waitcnt vmcnt(10)
	ds_write2_b64 v140, v[36:37], v[38:39] offset0:42 offset1:43
	s_waitcnt vmcnt(9)
	ds_write2_b64 v140, v[32:33], v[34:35] offset0:44 offset1:45
	s_waitcnt vmcnt(8)
	ds_write2_b64 v140, v[28:29], v[30:31] offset0:46 offset1:47
	s_waitcnt vmcnt(7)
	ds_write2_b64 v140, v[24:25], v[26:27] offset0:48 offset1:49
	s_waitcnt vmcnt(6)
	ds_write2_b64 v140, v[20:21], v[22:23] offset0:50 offset1:51
	s_waitcnt vmcnt(5)
	ds_write2_b64 v140, v[16:17], v[18:19] offset0:52 offset1:53
	s_waitcnt vmcnt(4)
	ds_write2_b64 v140, v[12:13], v[14:15] offset0:54 offset1:55
	s_waitcnt vmcnt(3)
	ds_write2_b64 v140, v[8:9], v[10:11] offset0:56 offset1:57
	s_waitcnt vmcnt(2)
	ds_write2_b64 v140, v[4:5], v[6:7] offset0:58 offset1:59
	s_waitcnt vmcnt(1)
	ds_write2_b64 v140, v[0:1], v[2:3] offset0:60 offset1:61
	s_waitcnt vmcnt(0)
	ds_write2_b64 v140, v[124:125], v[126:127] offset0:62 offset1:63
.LBB62_417:
	s_or_b64 exec, exec, s[0:1]
	v_cmp_lt_i32_e32 vcc, 19, v141
	s_waitcnt lgkmcnt(0)
	s_barrier
	s_and_saveexec_b64 s[0:1], vcc
	s_cbranch_execz .LBB62_419
; %bb.418:
	ds_read2_b64 v[144:147], v140 offset0:40 offset1:41
	v_mul_f64 v[138:139], v[128:129], v[46:47]
	v_mul_f64 v[46:47], v[130:131], v[46:47]
	v_fmac_f64_e32 v[138:139], v[130:131], v[44:45]
	v_fma_f64 v[44:45], v[128:129], v[44:45], -v[46:47]
	ds_read2_b64 v[128:131], v140 offset0:42 offset1:43
	s_waitcnt lgkmcnt(1)
	v_mul_f64 v[46:47], v[146:147], v[138:139]
	v_fma_f64 v[46:47], v[144:145], v[44:45], -v[46:47]
	v_mul_f64 v[144:145], v[144:145], v[138:139]
	v_fmac_f64_e32 v[144:145], v[146:147], v[44:45]
	s_waitcnt vmcnt(11)
	v_add_f64 v[40:41], v[40:41], -v[46:47]
	s_waitcnt lgkmcnt(0)
	v_mul_f64 v[46:47], v[130:131], v[138:139]
	v_add_f64 v[42:43], v[42:43], -v[144:145]
	v_fma_f64 v[46:47], v[128:129], v[44:45], -v[46:47]
	v_mul_f64 v[128:129], v[128:129], v[138:139]
	ds_read2_b64 v[144:147], v140 offset0:44 offset1:45
	v_fmac_f64_e32 v[128:129], v[130:131], v[44:45]
	s_waitcnt vmcnt(10)
	v_add_f64 v[38:39], v[38:39], -v[128:129]
	ds_read2_b64 v[128:131], v140 offset0:46 offset1:47
	v_add_f64 v[36:37], v[36:37], -v[46:47]
	s_waitcnt lgkmcnt(1)
	v_mul_f64 v[46:47], v[146:147], v[138:139]
	v_fma_f64 v[46:47], v[144:145], v[44:45], -v[46:47]
	v_mul_f64 v[144:145], v[144:145], v[138:139]
	v_fmac_f64_e32 v[144:145], v[146:147], v[44:45]
	s_waitcnt vmcnt(9)
	v_add_f64 v[32:33], v[32:33], -v[46:47]
	s_waitcnt lgkmcnt(0)
	v_mul_f64 v[46:47], v[130:131], v[138:139]
	v_add_f64 v[34:35], v[34:35], -v[144:145]
	v_fma_f64 v[46:47], v[128:129], v[44:45], -v[46:47]
	v_mul_f64 v[128:129], v[128:129], v[138:139]
	ds_read2_b64 v[144:147], v140 offset0:48 offset1:49
	v_fmac_f64_e32 v[128:129], v[130:131], v[44:45]
	s_waitcnt vmcnt(8)
	v_add_f64 v[30:31], v[30:31], -v[128:129]
	ds_read2_b64 v[128:131], v140 offset0:50 offset1:51
	v_add_f64 v[28:29], v[28:29], -v[46:47]
	;; [unrolled: 18-line block ×5, first 2 shown]
	s_waitcnt lgkmcnt(1)
	v_mul_f64 v[46:47], v[146:147], v[138:139]
	v_fma_f64 v[46:47], v[144:145], v[44:45], -v[46:47]
	s_waitcnt vmcnt(1)
	v_add_f64 v[0:1], v[0:1], -v[46:47]
	s_waitcnt lgkmcnt(0)
	v_mul_f64 v[46:47], v[130:131], v[138:139]
	v_mul_f64 v[144:145], v[144:145], v[138:139]
	v_fma_f64 v[46:47], v[128:129], v[44:45], -v[46:47]
	v_mul_f64 v[128:129], v[128:129], v[138:139]
	v_fmac_f64_e32 v[144:145], v[146:147], v[44:45]
	v_fmac_f64_e32 v[128:129], v[130:131], v[44:45]
	v_add_f64 v[2:3], v[2:3], -v[144:145]
	s_waitcnt vmcnt(0)
	v_add_f64 v[124:125], v[124:125], -v[46:47]
	v_add_f64 v[126:127], v[126:127], -v[128:129]
	v_mov_b64_e32 v[46:47], v[138:139]
.LBB62_419:
	s_or_b64 exec, exec, s[0:1]
	v_lshl_add_u32 v128, v141, 4, v140
	s_barrier
	s_waitcnt vmcnt(11)
	ds_write2_b64 v128, v[40:41], v[42:43] offset1:1
	s_waitcnt lgkmcnt(0)
	s_barrier
	ds_read2_b64 v[128:131], v140 offset0:40 offset1:41
	s_cmp_lt_i32 s20, 22
	v_mov_b32_e32 v138, 20
	s_cbranch_scc1 .LBB62_422
; %bb.420:
	v_add_u32_e32 v139, 0x150, v140
	s_mov_b32 s16, 21
	v_mov_b32_e32 v138, 20
.LBB62_421:                             ; =>This Inner Loop Header: Depth=1
	ds_read2_b64 v[144:147], v139 offset1:1
	s_waitcnt lgkmcnt(1)
	v_xor_b32_e32 v149, 0x80000000, v129
	v_xor_b32_e32 v151, 0x80000000, v131
	v_cmp_gt_f64_e32 vcc, 0, v[130:131]
	v_cmp_gt_f64_e64 s[0:1], 0, v[128:129]
	v_mov_b32_e32 v148, v128
	v_mov_b32_e32 v150, v130
	v_cndmask_b32_e64 v149, v129, v149, s[0:1]
	v_cndmask_b32_e32 v151, v131, v151, vcc
	v_add_f64 v[148:149], v[148:149], v[150:151]
	s_waitcnt lgkmcnt(0)
	v_xor_b32_e32 v151, 0x80000000, v145
	v_xor_b32_e32 v153, 0x80000000, v147
	v_cmp_gt_f64_e32 vcc, 0, v[146:147]
	v_cmp_gt_f64_e64 s[0:1], 0, v[144:145]
	v_mov_b32_e32 v150, v144
	v_mov_b32_e32 v152, v146
	v_cndmask_b32_e64 v151, v145, v151, s[0:1]
	v_cndmask_b32_e32 v153, v147, v153, vcc
	v_add_f64 v[150:151], v[150:151], v[152:153]
	v_mov_b32_e32 v154, s16
	s_add_i32 s16, s16, 1
	v_cmp_lt_f64_e32 vcc, v[148:149], v[150:151]
	v_add_u32_e32 v139, 16, v139
	s_cmp_lg_u32 s20, s16
	v_cndmask_b32_e32 v129, v129, v145, vcc
	v_cndmask_b32_e32 v128, v128, v144, vcc
	;; [unrolled: 1-line block ×5, first 2 shown]
	s_cbranch_scc1 .LBB62_421
.LBB62_422:
	s_waitcnt lgkmcnt(0)
	v_cmp_eq_f64_e32 vcc, 0, v[128:129]
	v_cmp_eq_f64_e64 s[0:1], 0, v[130:131]
	s_and_b64 s[0:1], vcc, s[0:1]
	s_and_saveexec_b64 s[16:17], s[0:1]
	s_xor_b64 s[0:1], exec, s[16:17]
; %bb.423:
	v_cmp_ne_u32_e32 vcc, 0, v142
	s_nop 1
	v_cndmask_b32_e32 v142, 21, v142, vcc
; %bb.424:
	s_andn2_saveexec_b64 s[0:1], s[0:1]
	s_cbranch_execz .LBB62_430
; %bb.425:
	v_cmp_ngt_f64_e64 s[16:17], |v[128:129]|, |v[130:131]|
	s_and_saveexec_b64 s[18:19], s[16:17]
	s_xor_b64 s[16:17], exec, s[18:19]
	s_cbranch_execz .LBB62_427
; %bb.426:
	v_div_scale_f64 v[144:145], s[18:19], v[130:131], v[130:131], v[128:129]
	v_rcp_f64_e32 v[146:147], v[144:145]
	v_div_scale_f64 v[148:149], vcc, v[128:129], v[130:131], v[128:129]
	v_fma_f64 v[150:151], -v[144:145], v[146:147], 1.0
	v_fmac_f64_e32 v[146:147], v[146:147], v[150:151]
	v_fma_f64 v[150:151], -v[144:145], v[146:147], 1.0
	v_fmac_f64_e32 v[146:147], v[146:147], v[150:151]
	v_mul_f64 v[150:151], v[148:149], v[146:147]
	v_fma_f64 v[144:145], -v[144:145], v[150:151], v[148:149]
	v_div_fmas_f64 v[144:145], v[144:145], v[146:147], v[150:151]
	v_div_fixup_f64 v[144:145], v[144:145], v[130:131], v[128:129]
	v_fmac_f64_e32 v[130:131], v[128:129], v[144:145]
	v_div_scale_f64 v[128:129], s[18:19], v[130:131], v[130:131], 1.0
	v_rcp_f64_e32 v[146:147], v[128:129]
	s_nop 0
	v_fma_f64 v[148:149], -v[128:129], v[146:147], 1.0
	v_fmac_f64_e32 v[146:147], v[146:147], v[148:149]
	v_fma_f64 v[148:149], -v[128:129], v[146:147], 1.0
	v_fmac_f64_e32 v[146:147], v[146:147], v[148:149]
	v_div_scale_f64 v[148:149], vcc, 1.0, v[130:131], 1.0
	v_mul_f64 v[150:151], v[148:149], v[146:147]
	v_fma_f64 v[128:129], -v[128:129], v[150:151], v[148:149]
	s_nop 1
	v_div_fmas_f64 v[128:129], v[128:129], v[146:147], v[150:151]
	v_div_fixup_f64 v[130:131], v[128:129], v[130:131], 1.0
	v_mul_f64 v[128:129], v[144:145], v[130:131]
	v_xor_b32_e32 v131, 0x80000000, v131
.LBB62_427:
	s_andn2_saveexec_b64 s[16:17], s[16:17]
	s_cbranch_execz .LBB62_429
; %bb.428:
	v_div_scale_f64 v[144:145], s[18:19], v[128:129], v[128:129], v[130:131]
	v_rcp_f64_e32 v[146:147], v[144:145]
	v_div_scale_f64 v[148:149], vcc, v[130:131], v[128:129], v[130:131]
	v_fma_f64 v[150:151], -v[144:145], v[146:147], 1.0
	v_fmac_f64_e32 v[146:147], v[146:147], v[150:151]
	v_fma_f64 v[150:151], -v[144:145], v[146:147], 1.0
	v_fmac_f64_e32 v[146:147], v[146:147], v[150:151]
	v_mul_f64 v[150:151], v[148:149], v[146:147]
	v_fma_f64 v[144:145], -v[144:145], v[150:151], v[148:149]
	v_div_fmas_f64 v[144:145], v[144:145], v[146:147], v[150:151]
	v_div_fixup_f64 v[144:145], v[144:145], v[128:129], v[130:131]
	v_fmac_f64_e32 v[128:129], v[130:131], v[144:145]
	v_div_scale_f64 v[130:131], s[18:19], v[128:129], v[128:129], 1.0
	v_rcp_f64_e32 v[146:147], v[130:131]
	s_nop 0
	v_fma_f64 v[148:149], -v[130:131], v[146:147], 1.0
	v_fmac_f64_e32 v[146:147], v[146:147], v[148:149]
	v_fma_f64 v[148:149], -v[130:131], v[146:147], 1.0
	v_fmac_f64_e32 v[146:147], v[146:147], v[148:149]
	v_div_scale_f64 v[148:149], vcc, 1.0, v[128:129], 1.0
	v_mul_f64 v[150:151], v[148:149], v[146:147]
	v_fma_f64 v[130:131], -v[130:131], v[150:151], v[148:149]
	s_nop 1
	v_div_fmas_f64 v[130:131], v[130:131], v[146:147], v[150:151]
	v_div_fixup_f64 v[128:129], v[130:131], v[128:129], 1.0
	v_mul_f64 v[130:131], v[144:145], -v[128:129]
.LBB62_429:
	s_or_b64 exec, exec, s[16:17]
.LBB62_430:
	s_or_b64 exec, exec, s[0:1]
	v_cmp_ne_u32_e32 vcc, v141, v138
	s_and_saveexec_b64 s[0:1], vcc
	s_xor_b64 s[0:1], exec, s[0:1]
	s_cbranch_execz .LBB62_436
; %bb.431:
	v_cmp_eq_u32_e32 vcc, 20, v141
	s_and_saveexec_b64 s[16:17], vcc
	s_cbranch_execz .LBB62_435
; %bb.432:
	v_cmp_ne_u32_e32 vcc, 20, v138
	s_xor_b64 s[18:19], s[14:15], -1
	s_and_b64 s[22:23], s[18:19], vcc
	s_and_saveexec_b64 s[18:19], s[22:23]
	s_cbranch_execz .LBB62_434
; %bb.433:
	v_ashrrev_i32_e32 v139, 31, v138
	v_lshl_add_u64 v[144:145], v[138:139], 2, v[136:137]
	global_load_dword v139, v[144:145], off
	global_load_dword v141, v[136:137], off offset:80
	s_waitcnt vmcnt(1)
	global_store_dword v[136:137], v139, off offset:80
	s_waitcnt vmcnt(1)
	global_store_dword v[144:145], v141, off
.LBB62_434:
	s_or_b64 exec, exec, s[18:19]
	v_mov_b32_e32 v141, v138
	v_mov_b32_e32 v143, v138
.LBB62_435:
	s_or_b64 exec, exec, s[16:17]
.LBB62_436:
	s_andn2_saveexec_b64 s[0:1], s[0:1]
	s_cbranch_execz .LBB62_438
; %bb.437:
	v_mov_b32_e32 v141, 20
	s_waitcnt vmcnt(10)
	ds_write2_b64 v140, v[36:37], v[38:39] offset0:42 offset1:43
	s_waitcnt vmcnt(9)
	ds_write2_b64 v140, v[32:33], v[34:35] offset0:44 offset1:45
	;; [unrolled: 2-line block ×11, first 2 shown]
.LBB62_438:
	s_or_b64 exec, exec, s[0:1]
	v_cmp_lt_i32_e32 vcc, 20, v141
	s_waitcnt lgkmcnt(0)
	s_barrier
	s_and_saveexec_b64 s[0:1], vcc
	s_cbranch_execz .LBB62_440
; %bb.439:
	ds_read2_b64 v[144:147], v140 offset0:42 offset1:43
	v_mul_f64 v[138:139], v[128:129], v[42:43]
	v_fmac_f64_e32 v[138:139], v[130:131], v[40:41]
	v_mul_f64 v[42:43], v[130:131], v[42:43]
	v_fma_f64 v[40:41], v[128:129], v[40:41], -v[42:43]
	ds_read2_b64 v[128:131], v140 offset0:44 offset1:45
	s_waitcnt lgkmcnt(1)
	v_mul_f64 v[42:43], v[146:147], v[138:139]
	v_fma_f64 v[42:43], v[144:145], v[40:41], -v[42:43]
	v_mul_f64 v[144:145], v[144:145], v[138:139]
	v_fmac_f64_e32 v[144:145], v[146:147], v[40:41]
	s_waitcnt vmcnt(10)
	v_add_f64 v[38:39], v[38:39], -v[144:145]
	ds_read2_b64 v[144:147], v140 offset0:46 offset1:47
	v_add_f64 v[36:37], v[36:37], -v[42:43]
	s_waitcnt lgkmcnt(1)
	v_mul_f64 v[42:43], v[130:131], v[138:139]
	v_fma_f64 v[42:43], v[128:129], v[40:41], -v[42:43]
	v_mul_f64 v[128:129], v[128:129], v[138:139]
	v_fmac_f64_e32 v[128:129], v[130:131], v[40:41]
	s_waitcnt vmcnt(9)
	v_add_f64 v[32:33], v[32:33], -v[42:43]
	v_add_f64 v[34:35], v[34:35], -v[128:129]
	ds_read2_b64 v[128:131], v140 offset0:48 offset1:49
	s_waitcnt lgkmcnt(1)
	v_mul_f64 v[42:43], v[146:147], v[138:139]
	v_fma_f64 v[42:43], v[144:145], v[40:41], -v[42:43]
	v_mul_f64 v[144:145], v[144:145], v[138:139]
	v_fmac_f64_e32 v[144:145], v[146:147], v[40:41]
	s_waitcnt vmcnt(8)
	v_add_f64 v[30:31], v[30:31], -v[144:145]
	ds_read2_b64 v[144:147], v140 offset0:50 offset1:51
	v_add_f64 v[28:29], v[28:29], -v[42:43]
	s_waitcnt lgkmcnt(1)
	v_mul_f64 v[42:43], v[130:131], v[138:139]
	v_fma_f64 v[42:43], v[128:129], v[40:41], -v[42:43]
	v_mul_f64 v[128:129], v[128:129], v[138:139]
	v_fmac_f64_e32 v[128:129], v[130:131], v[40:41]
	s_waitcnt vmcnt(7)
	v_add_f64 v[24:25], v[24:25], -v[42:43]
	v_add_f64 v[26:27], v[26:27], -v[128:129]
	ds_read2_b64 v[128:131], v140 offset0:52 offset1:53
	s_waitcnt lgkmcnt(1)
	v_mul_f64 v[42:43], v[146:147], v[138:139]
	v_fma_f64 v[42:43], v[144:145], v[40:41], -v[42:43]
	v_mul_f64 v[144:145], v[144:145], v[138:139]
	v_fmac_f64_e32 v[144:145], v[146:147], v[40:41]
	s_waitcnt vmcnt(6)
	v_add_f64 v[22:23], v[22:23], -v[144:145]
	ds_read2_b64 v[144:147], v140 offset0:54 offset1:55
	v_add_f64 v[20:21], v[20:21], -v[42:43]
	s_waitcnt lgkmcnt(1)
	v_mul_f64 v[42:43], v[130:131], v[138:139]
	v_fma_f64 v[42:43], v[128:129], v[40:41], -v[42:43]
	v_mul_f64 v[128:129], v[128:129], v[138:139]
	v_fmac_f64_e32 v[128:129], v[130:131], v[40:41]
	s_waitcnt vmcnt(5)
	v_add_f64 v[16:17], v[16:17], -v[42:43]
	v_add_f64 v[18:19], v[18:19], -v[128:129]
	ds_read2_b64 v[128:131], v140 offset0:56 offset1:57
	s_waitcnt lgkmcnt(1)
	v_mul_f64 v[42:43], v[146:147], v[138:139]
	v_fma_f64 v[42:43], v[144:145], v[40:41], -v[42:43]
	v_mul_f64 v[144:145], v[144:145], v[138:139]
	v_fmac_f64_e32 v[144:145], v[146:147], v[40:41]
	s_waitcnt vmcnt(4)
	v_add_f64 v[14:15], v[14:15], -v[144:145]
	ds_read2_b64 v[144:147], v140 offset0:58 offset1:59
	v_add_f64 v[12:13], v[12:13], -v[42:43]
	s_waitcnt lgkmcnt(1)
	v_mul_f64 v[42:43], v[130:131], v[138:139]
	v_fma_f64 v[42:43], v[128:129], v[40:41], -v[42:43]
	v_mul_f64 v[128:129], v[128:129], v[138:139]
	v_fmac_f64_e32 v[128:129], v[130:131], v[40:41]
	s_waitcnt vmcnt(3)
	v_add_f64 v[8:9], v[8:9], -v[42:43]
	v_add_f64 v[10:11], v[10:11], -v[128:129]
	ds_read2_b64 v[128:131], v140 offset0:60 offset1:61
	s_waitcnt lgkmcnt(1)
	v_mul_f64 v[42:43], v[146:147], v[138:139]
	v_fma_f64 v[42:43], v[144:145], v[40:41], -v[42:43]
	v_mul_f64 v[144:145], v[144:145], v[138:139]
	v_fmac_f64_e32 v[144:145], v[146:147], v[40:41]
	s_waitcnt vmcnt(2)
	v_add_f64 v[6:7], v[6:7], -v[144:145]
	ds_read2_b64 v[144:147], v140 offset0:62 offset1:63
	v_add_f64 v[4:5], v[4:5], -v[42:43]
	s_waitcnt lgkmcnt(1)
	v_mul_f64 v[42:43], v[130:131], v[138:139]
	v_fma_f64 v[42:43], v[128:129], v[40:41], -v[42:43]
	v_mul_f64 v[128:129], v[128:129], v[138:139]
	v_fmac_f64_e32 v[128:129], v[130:131], v[40:41]
	s_waitcnt vmcnt(1)
	v_add_f64 v[0:1], v[0:1], -v[42:43]
	v_add_f64 v[2:3], v[2:3], -v[128:129]
	s_waitcnt lgkmcnt(0)
	v_mul_f64 v[42:43], v[146:147], v[138:139]
	v_mul_f64 v[128:129], v[144:145], v[138:139]
	v_fma_f64 v[42:43], v[144:145], v[40:41], -v[42:43]
	v_fmac_f64_e32 v[128:129], v[146:147], v[40:41]
	s_waitcnt vmcnt(0)
	v_add_f64 v[124:125], v[124:125], -v[42:43]
	v_add_f64 v[126:127], v[126:127], -v[128:129]
	v_mov_b64_e32 v[42:43], v[138:139]
.LBB62_440:
	s_or_b64 exec, exec, s[0:1]
	v_lshl_add_u32 v128, v141, 4, v140
	s_barrier
	s_waitcnt vmcnt(10)
	ds_write2_b64 v128, v[36:37], v[38:39] offset1:1
	s_waitcnt lgkmcnt(0)
	s_barrier
	ds_read2_b64 v[128:131], v140 offset0:42 offset1:43
	s_cmp_lt_i32 s20, 23
	v_mov_b32_e32 v138, 21
	s_cbranch_scc1 .LBB62_443
; %bb.441:
	v_add_u32_e32 v139, 0x160, v140
	s_mov_b32 s16, 22
	v_mov_b32_e32 v138, 21
.LBB62_442:                             ; =>This Inner Loop Header: Depth=1
	ds_read2_b64 v[144:147], v139 offset1:1
	s_waitcnt lgkmcnt(1)
	v_xor_b32_e32 v149, 0x80000000, v129
	v_xor_b32_e32 v151, 0x80000000, v131
	v_cmp_gt_f64_e32 vcc, 0, v[130:131]
	v_cmp_gt_f64_e64 s[0:1], 0, v[128:129]
	v_mov_b32_e32 v148, v128
	v_mov_b32_e32 v150, v130
	v_cndmask_b32_e64 v149, v129, v149, s[0:1]
	v_cndmask_b32_e32 v151, v131, v151, vcc
	v_add_f64 v[148:149], v[148:149], v[150:151]
	s_waitcnt lgkmcnt(0)
	v_xor_b32_e32 v151, 0x80000000, v145
	v_xor_b32_e32 v153, 0x80000000, v147
	v_cmp_gt_f64_e32 vcc, 0, v[146:147]
	v_cmp_gt_f64_e64 s[0:1], 0, v[144:145]
	v_mov_b32_e32 v150, v144
	v_mov_b32_e32 v152, v146
	v_cndmask_b32_e64 v151, v145, v151, s[0:1]
	v_cndmask_b32_e32 v153, v147, v153, vcc
	v_add_f64 v[150:151], v[150:151], v[152:153]
	v_mov_b32_e32 v154, s16
	s_add_i32 s16, s16, 1
	v_cmp_lt_f64_e32 vcc, v[148:149], v[150:151]
	v_add_u32_e32 v139, 16, v139
	s_cmp_lg_u32 s20, s16
	v_cndmask_b32_e32 v129, v129, v145, vcc
	v_cndmask_b32_e32 v128, v128, v144, vcc
	;; [unrolled: 1-line block ×5, first 2 shown]
	s_cbranch_scc1 .LBB62_442
.LBB62_443:
	s_waitcnt lgkmcnt(0)
	v_cmp_eq_f64_e32 vcc, 0, v[128:129]
	v_cmp_eq_f64_e64 s[0:1], 0, v[130:131]
	s_and_b64 s[0:1], vcc, s[0:1]
	s_and_saveexec_b64 s[16:17], s[0:1]
	s_xor_b64 s[0:1], exec, s[16:17]
; %bb.444:
	v_cmp_ne_u32_e32 vcc, 0, v142
	s_nop 1
	v_cndmask_b32_e32 v142, 22, v142, vcc
; %bb.445:
	s_andn2_saveexec_b64 s[0:1], s[0:1]
	s_cbranch_execz .LBB62_451
; %bb.446:
	v_cmp_ngt_f64_e64 s[16:17], |v[128:129]|, |v[130:131]|
	s_and_saveexec_b64 s[18:19], s[16:17]
	s_xor_b64 s[16:17], exec, s[18:19]
	s_cbranch_execz .LBB62_448
; %bb.447:
	v_div_scale_f64 v[144:145], s[18:19], v[130:131], v[130:131], v[128:129]
	v_rcp_f64_e32 v[146:147], v[144:145]
	v_div_scale_f64 v[148:149], vcc, v[128:129], v[130:131], v[128:129]
	v_fma_f64 v[150:151], -v[144:145], v[146:147], 1.0
	v_fmac_f64_e32 v[146:147], v[146:147], v[150:151]
	v_fma_f64 v[150:151], -v[144:145], v[146:147], 1.0
	v_fmac_f64_e32 v[146:147], v[146:147], v[150:151]
	v_mul_f64 v[150:151], v[148:149], v[146:147]
	v_fma_f64 v[144:145], -v[144:145], v[150:151], v[148:149]
	v_div_fmas_f64 v[144:145], v[144:145], v[146:147], v[150:151]
	v_div_fixup_f64 v[144:145], v[144:145], v[130:131], v[128:129]
	v_fmac_f64_e32 v[130:131], v[128:129], v[144:145]
	v_div_scale_f64 v[128:129], s[18:19], v[130:131], v[130:131], 1.0
	v_rcp_f64_e32 v[146:147], v[128:129]
	s_nop 0
	v_fma_f64 v[148:149], -v[128:129], v[146:147], 1.0
	v_fmac_f64_e32 v[146:147], v[146:147], v[148:149]
	v_fma_f64 v[148:149], -v[128:129], v[146:147], 1.0
	v_fmac_f64_e32 v[146:147], v[146:147], v[148:149]
	v_div_scale_f64 v[148:149], vcc, 1.0, v[130:131], 1.0
	v_mul_f64 v[150:151], v[148:149], v[146:147]
	v_fma_f64 v[128:129], -v[128:129], v[150:151], v[148:149]
	s_nop 1
	v_div_fmas_f64 v[128:129], v[128:129], v[146:147], v[150:151]
	v_div_fixup_f64 v[130:131], v[128:129], v[130:131], 1.0
	v_mul_f64 v[128:129], v[144:145], v[130:131]
	v_xor_b32_e32 v131, 0x80000000, v131
.LBB62_448:
	s_andn2_saveexec_b64 s[16:17], s[16:17]
	s_cbranch_execz .LBB62_450
; %bb.449:
	v_div_scale_f64 v[144:145], s[18:19], v[128:129], v[128:129], v[130:131]
	v_rcp_f64_e32 v[146:147], v[144:145]
	v_div_scale_f64 v[148:149], vcc, v[130:131], v[128:129], v[130:131]
	v_fma_f64 v[150:151], -v[144:145], v[146:147], 1.0
	v_fmac_f64_e32 v[146:147], v[146:147], v[150:151]
	v_fma_f64 v[150:151], -v[144:145], v[146:147], 1.0
	v_fmac_f64_e32 v[146:147], v[146:147], v[150:151]
	v_mul_f64 v[150:151], v[148:149], v[146:147]
	v_fma_f64 v[144:145], -v[144:145], v[150:151], v[148:149]
	v_div_fmas_f64 v[144:145], v[144:145], v[146:147], v[150:151]
	v_div_fixup_f64 v[144:145], v[144:145], v[128:129], v[130:131]
	v_fmac_f64_e32 v[128:129], v[130:131], v[144:145]
	v_div_scale_f64 v[130:131], s[18:19], v[128:129], v[128:129], 1.0
	v_rcp_f64_e32 v[146:147], v[130:131]
	s_nop 0
	v_fma_f64 v[148:149], -v[130:131], v[146:147], 1.0
	v_fmac_f64_e32 v[146:147], v[146:147], v[148:149]
	v_fma_f64 v[148:149], -v[130:131], v[146:147], 1.0
	v_fmac_f64_e32 v[146:147], v[146:147], v[148:149]
	v_div_scale_f64 v[148:149], vcc, 1.0, v[128:129], 1.0
	v_mul_f64 v[150:151], v[148:149], v[146:147]
	v_fma_f64 v[130:131], -v[130:131], v[150:151], v[148:149]
	s_nop 1
	v_div_fmas_f64 v[130:131], v[130:131], v[146:147], v[150:151]
	v_div_fixup_f64 v[128:129], v[130:131], v[128:129], 1.0
	v_mul_f64 v[130:131], v[144:145], -v[128:129]
.LBB62_450:
	s_or_b64 exec, exec, s[16:17]
.LBB62_451:
	s_or_b64 exec, exec, s[0:1]
	v_cmp_ne_u32_e32 vcc, v141, v138
	s_and_saveexec_b64 s[0:1], vcc
	s_xor_b64 s[0:1], exec, s[0:1]
	s_cbranch_execz .LBB62_457
; %bb.452:
	v_cmp_eq_u32_e32 vcc, 21, v141
	s_and_saveexec_b64 s[16:17], vcc
	s_cbranch_execz .LBB62_456
; %bb.453:
	v_cmp_ne_u32_e32 vcc, 21, v138
	s_xor_b64 s[18:19], s[14:15], -1
	s_and_b64 s[22:23], s[18:19], vcc
	s_and_saveexec_b64 s[18:19], s[22:23]
	s_cbranch_execz .LBB62_455
; %bb.454:
	v_ashrrev_i32_e32 v139, 31, v138
	v_lshl_add_u64 v[144:145], v[138:139], 2, v[136:137]
	global_load_dword v139, v[144:145], off
	global_load_dword v141, v[136:137], off offset:84
	s_waitcnt vmcnt(1)
	global_store_dword v[136:137], v139, off offset:84
	s_waitcnt vmcnt(1)
	global_store_dword v[144:145], v141, off
.LBB62_455:
	s_or_b64 exec, exec, s[18:19]
	v_mov_b32_e32 v141, v138
	v_mov_b32_e32 v143, v138
.LBB62_456:
	s_or_b64 exec, exec, s[16:17]
.LBB62_457:
	s_andn2_saveexec_b64 s[0:1], s[0:1]
	s_cbranch_execz .LBB62_459
; %bb.458:
	v_mov_b32_e32 v141, 21
	s_waitcnt vmcnt(9)
	ds_write2_b64 v140, v[32:33], v[34:35] offset0:44 offset1:45
	s_waitcnt vmcnt(8)
	ds_write2_b64 v140, v[28:29], v[30:31] offset0:46 offset1:47
	;; [unrolled: 2-line block ×10, first 2 shown]
.LBB62_459:
	s_or_b64 exec, exec, s[0:1]
	v_cmp_lt_i32_e32 vcc, 21, v141
	s_waitcnt lgkmcnt(0)
	s_barrier
	s_and_saveexec_b64 s[0:1], vcc
	s_cbranch_execz .LBB62_461
; %bb.460:
	ds_read2_b64 v[144:147], v140 offset0:44 offset1:45
	v_mul_f64 v[138:139], v[128:129], v[38:39]
	v_mul_f64 v[38:39], v[130:131], v[38:39]
	v_fmac_f64_e32 v[138:139], v[130:131], v[36:37]
	v_fma_f64 v[36:37], v[128:129], v[36:37], -v[38:39]
	ds_read2_b64 v[128:131], v140 offset0:46 offset1:47
	s_waitcnt lgkmcnt(1)
	v_mul_f64 v[38:39], v[146:147], v[138:139]
	v_fma_f64 v[38:39], v[144:145], v[36:37], -v[38:39]
	v_mul_f64 v[144:145], v[144:145], v[138:139]
	v_fmac_f64_e32 v[144:145], v[146:147], v[36:37]
	s_waitcnt vmcnt(9)
	v_add_f64 v[32:33], v[32:33], -v[38:39]
	s_waitcnt lgkmcnt(0)
	v_mul_f64 v[38:39], v[130:131], v[138:139]
	v_add_f64 v[34:35], v[34:35], -v[144:145]
	v_fma_f64 v[38:39], v[128:129], v[36:37], -v[38:39]
	v_mul_f64 v[128:129], v[128:129], v[138:139]
	ds_read2_b64 v[144:147], v140 offset0:48 offset1:49
	v_fmac_f64_e32 v[128:129], v[130:131], v[36:37]
	s_waitcnt vmcnt(8)
	v_add_f64 v[30:31], v[30:31], -v[128:129]
	ds_read2_b64 v[128:131], v140 offset0:50 offset1:51
	v_add_f64 v[28:29], v[28:29], -v[38:39]
	s_waitcnt lgkmcnt(1)
	v_mul_f64 v[38:39], v[146:147], v[138:139]
	v_fma_f64 v[38:39], v[144:145], v[36:37], -v[38:39]
	v_mul_f64 v[144:145], v[144:145], v[138:139]
	v_fmac_f64_e32 v[144:145], v[146:147], v[36:37]
	s_waitcnt vmcnt(7)
	v_add_f64 v[24:25], v[24:25], -v[38:39]
	s_waitcnt lgkmcnt(0)
	v_mul_f64 v[38:39], v[130:131], v[138:139]
	v_add_f64 v[26:27], v[26:27], -v[144:145]
	v_fma_f64 v[38:39], v[128:129], v[36:37], -v[38:39]
	v_mul_f64 v[128:129], v[128:129], v[138:139]
	ds_read2_b64 v[144:147], v140 offset0:52 offset1:53
	v_fmac_f64_e32 v[128:129], v[130:131], v[36:37]
	s_waitcnt vmcnt(6)
	v_add_f64 v[22:23], v[22:23], -v[128:129]
	ds_read2_b64 v[128:131], v140 offset0:54 offset1:55
	v_add_f64 v[20:21], v[20:21], -v[38:39]
	;; [unrolled: 18-line block ×4, first 2 shown]
	s_waitcnt lgkmcnt(1)
	v_mul_f64 v[38:39], v[146:147], v[138:139]
	v_fma_f64 v[38:39], v[144:145], v[36:37], -v[38:39]
	s_waitcnt vmcnt(1)
	v_add_f64 v[0:1], v[0:1], -v[38:39]
	s_waitcnt lgkmcnt(0)
	v_mul_f64 v[38:39], v[130:131], v[138:139]
	v_mul_f64 v[144:145], v[144:145], v[138:139]
	v_fma_f64 v[38:39], v[128:129], v[36:37], -v[38:39]
	v_mul_f64 v[128:129], v[128:129], v[138:139]
	v_fmac_f64_e32 v[144:145], v[146:147], v[36:37]
	v_fmac_f64_e32 v[128:129], v[130:131], v[36:37]
	v_add_f64 v[2:3], v[2:3], -v[144:145]
	s_waitcnt vmcnt(0)
	v_add_f64 v[124:125], v[124:125], -v[38:39]
	v_add_f64 v[126:127], v[126:127], -v[128:129]
	v_mov_b64_e32 v[38:39], v[138:139]
.LBB62_461:
	s_or_b64 exec, exec, s[0:1]
	v_lshl_add_u32 v128, v141, 4, v140
	s_barrier
	s_waitcnt vmcnt(9)
	ds_write2_b64 v128, v[32:33], v[34:35] offset1:1
	s_waitcnt lgkmcnt(0)
	s_barrier
	ds_read2_b64 v[128:131], v140 offset0:44 offset1:45
	s_cmp_lt_i32 s20, 24
	v_mov_b32_e32 v138, 22
	s_cbranch_scc1 .LBB62_464
; %bb.462:
	v_add_u32_e32 v139, 0x170, v140
	s_mov_b32 s16, 23
	v_mov_b32_e32 v138, 22
.LBB62_463:                             ; =>This Inner Loop Header: Depth=1
	ds_read2_b64 v[144:147], v139 offset1:1
	s_waitcnt lgkmcnt(1)
	v_xor_b32_e32 v149, 0x80000000, v129
	v_xor_b32_e32 v151, 0x80000000, v131
	v_cmp_gt_f64_e32 vcc, 0, v[130:131]
	v_cmp_gt_f64_e64 s[0:1], 0, v[128:129]
	v_mov_b32_e32 v148, v128
	v_mov_b32_e32 v150, v130
	v_cndmask_b32_e64 v149, v129, v149, s[0:1]
	v_cndmask_b32_e32 v151, v131, v151, vcc
	v_add_f64 v[148:149], v[148:149], v[150:151]
	s_waitcnt lgkmcnt(0)
	v_xor_b32_e32 v151, 0x80000000, v145
	v_xor_b32_e32 v153, 0x80000000, v147
	v_cmp_gt_f64_e32 vcc, 0, v[146:147]
	v_cmp_gt_f64_e64 s[0:1], 0, v[144:145]
	v_mov_b32_e32 v150, v144
	v_mov_b32_e32 v152, v146
	v_cndmask_b32_e64 v151, v145, v151, s[0:1]
	v_cndmask_b32_e32 v153, v147, v153, vcc
	v_add_f64 v[150:151], v[150:151], v[152:153]
	v_mov_b32_e32 v154, s16
	s_add_i32 s16, s16, 1
	v_cmp_lt_f64_e32 vcc, v[148:149], v[150:151]
	v_add_u32_e32 v139, 16, v139
	s_cmp_lg_u32 s20, s16
	v_cndmask_b32_e32 v129, v129, v145, vcc
	v_cndmask_b32_e32 v128, v128, v144, vcc
	;; [unrolled: 1-line block ×5, first 2 shown]
	s_cbranch_scc1 .LBB62_463
.LBB62_464:
	s_waitcnt lgkmcnt(0)
	v_cmp_eq_f64_e32 vcc, 0, v[128:129]
	v_cmp_eq_f64_e64 s[0:1], 0, v[130:131]
	s_and_b64 s[0:1], vcc, s[0:1]
	s_and_saveexec_b64 s[16:17], s[0:1]
	s_xor_b64 s[0:1], exec, s[16:17]
; %bb.465:
	v_cmp_ne_u32_e32 vcc, 0, v142
	s_nop 1
	v_cndmask_b32_e32 v142, 23, v142, vcc
; %bb.466:
	s_andn2_saveexec_b64 s[0:1], s[0:1]
	s_cbranch_execz .LBB62_472
; %bb.467:
	v_cmp_ngt_f64_e64 s[16:17], |v[128:129]|, |v[130:131]|
	s_and_saveexec_b64 s[18:19], s[16:17]
	s_xor_b64 s[16:17], exec, s[18:19]
	s_cbranch_execz .LBB62_469
; %bb.468:
	v_div_scale_f64 v[144:145], s[18:19], v[130:131], v[130:131], v[128:129]
	v_rcp_f64_e32 v[146:147], v[144:145]
	v_div_scale_f64 v[148:149], vcc, v[128:129], v[130:131], v[128:129]
	v_fma_f64 v[150:151], -v[144:145], v[146:147], 1.0
	v_fmac_f64_e32 v[146:147], v[146:147], v[150:151]
	v_fma_f64 v[150:151], -v[144:145], v[146:147], 1.0
	v_fmac_f64_e32 v[146:147], v[146:147], v[150:151]
	v_mul_f64 v[150:151], v[148:149], v[146:147]
	v_fma_f64 v[144:145], -v[144:145], v[150:151], v[148:149]
	v_div_fmas_f64 v[144:145], v[144:145], v[146:147], v[150:151]
	v_div_fixup_f64 v[144:145], v[144:145], v[130:131], v[128:129]
	v_fmac_f64_e32 v[130:131], v[128:129], v[144:145]
	v_div_scale_f64 v[128:129], s[18:19], v[130:131], v[130:131], 1.0
	v_rcp_f64_e32 v[146:147], v[128:129]
	s_nop 0
	v_fma_f64 v[148:149], -v[128:129], v[146:147], 1.0
	v_fmac_f64_e32 v[146:147], v[146:147], v[148:149]
	v_fma_f64 v[148:149], -v[128:129], v[146:147], 1.0
	v_fmac_f64_e32 v[146:147], v[146:147], v[148:149]
	v_div_scale_f64 v[148:149], vcc, 1.0, v[130:131], 1.0
	v_mul_f64 v[150:151], v[148:149], v[146:147]
	v_fma_f64 v[128:129], -v[128:129], v[150:151], v[148:149]
	s_nop 1
	v_div_fmas_f64 v[128:129], v[128:129], v[146:147], v[150:151]
	v_div_fixup_f64 v[130:131], v[128:129], v[130:131], 1.0
	v_mul_f64 v[128:129], v[144:145], v[130:131]
	v_xor_b32_e32 v131, 0x80000000, v131
.LBB62_469:
	s_andn2_saveexec_b64 s[16:17], s[16:17]
	s_cbranch_execz .LBB62_471
; %bb.470:
	v_div_scale_f64 v[144:145], s[18:19], v[128:129], v[128:129], v[130:131]
	v_rcp_f64_e32 v[146:147], v[144:145]
	v_div_scale_f64 v[148:149], vcc, v[130:131], v[128:129], v[130:131]
	v_fma_f64 v[150:151], -v[144:145], v[146:147], 1.0
	v_fmac_f64_e32 v[146:147], v[146:147], v[150:151]
	v_fma_f64 v[150:151], -v[144:145], v[146:147], 1.0
	v_fmac_f64_e32 v[146:147], v[146:147], v[150:151]
	v_mul_f64 v[150:151], v[148:149], v[146:147]
	v_fma_f64 v[144:145], -v[144:145], v[150:151], v[148:149]
	v_div_fmas_f64 v[144:145], v[144:145], v[146:147], v[150:151]
	v_div_fixup_f64 v[144:145], v[144:145], v[128:129], v[130:131]
	v_fmac_f64_e32 v[128:129], v[130:131], v[144:145]
	v_div_scale_f64 v[130:131], s[18:19], v[128:129], v[128:129], 1.0
	v_rcp_f64_e32 v[146:147], v[130:131]
	s_nop 0
	v_fma_f64 v[148:149], -v[130:131], v[146:147], 1.0
	v_fmac_f64_e32 v[146:147], v[146:147], v[148:149]
	v_fma_f64 v[148:149], -v[130:131], v[146:147], 1.0
	v_fmac_f64_e32 v[146:147], v[146:147], v[148:149]
	v_div_scale_f64 v[148:149], vcc, 1.0, v[128:129], 1.0
	v_mul_f64 v[150:151], v[148:149], v[146:147]
	v_fma_f64 v[130:131], -v[130:131], v[150:151], v[148:149]
	s_nop 1
	v_div_fmas_f64 v[130:131], v[130:131], v[146:147], v[150:151]
	v_div_fixup_f64 v[128:129], v[130:131], v[128:129], 1.0
	v_mul_f64 v[130:131], v[144:145], -v[128:129]
.LBB62_471:
	s_or_b64 exec, exec, s[16:17]
.LBB62_472:
	s_or_b64 exec, exec, s[0:1]
	v_cmp_ne_u32_e32 vcc, v141, v138
	s_and_saveexec_b64 s[0:1], vcc
	s_xor_b64 s[0:1], exec, s[0:1]
	s_cbranch_execz .LBB62_478
; %bb.473:
	v_cmp_eq_u32_e32 vcc, 22, v141
	s_and_saveexec_b64 s[16:17], vcc
	s_cbranch_execz .LBB62_477
; %bb.474:
	v_cmp_ne_u32_e32 vcc, 22, v138
	s_xor_b64 s[18:19], s[14:15], -1
	s_and_b64 s[22:23], s[18:19], vcc
	s_and_saveexec_b64 s[18:19], s[22:23]
	s_cbranch_execz .LBB62_476
; %bb.475:
	v_ashrrev_i32_e32 v139, 31, v138
	v_lshl_add_u64 v[144:145], v[138:139], 2, v[136:137]
	global_load_dword v139, v[144:145], off
	global_load_dword v141, v[136:137], off offset:88
	s_waitcnt vmcnt(1)
	global_store_dword v[136:137], v139, off offset:88
	s_waitcnt vmcnt(1)
	global_store_dword v[144:145], v141, off
.LBB62_476:
	s_or_b64 exec, exec, s[18:19]
	v_mov_b32_e32 v141, v138
	v_mov_b32_e32 v143, v138
.LBB62_477:
	s_or_b64 exec, exec, s[16:17]
.LBB62_478:
	s_andn2_saveexec_b64 s[0:1], s[0:1]
	s_cbranch_execz .LBB62_480
; %bb.479:
	v_mov_b32_e32 v141, 22
	s_waitcnt vmcnt(8)
	ds_write2_b64 v140, v[28:29], v[30:31] offset0:46 offset1:47
	s_waitcnt vmcnt(7)
	ds_write2_b64 v140, v[24:25], v[26:27] offset0:48 offset1:49
	;; [unrolled: 2-line block ×9, first 2 shown]
.LBB62_480:
	s_or_b64 exec, exec, s[0:1]
	v_cmp_lt_i32_e32 vcc, 22, v141
	s_waitcnt lgkmcnt(0)
	s_barrier
	s_and_saveexec_b64 s[0:1], vcc
	s_cbranch_execz .LBB62_482
; %bb.481:
	ds_read2_b64 v[144:147], v140 offset0:46 offset1:47
	v_mul_f64 v[138:139], v[128:129], v[34:35]
	v_fmac_f64_e32 v[138:139], v[130:131], v[32:33]
	v_mul_f64 v[34:35], v[130:131], v[34:35]
	v_fma_f64 v[32:33], v[128:129], v[32:33], -v[34:35]
	ds_read2_b64 v[128:131], v140 offset0:48 offset1:49
	s_waitcnt lgkmcnt(1)
	v_mul_f64 v[34:35], v[146:147], v[138:139]
	v_fma_f64 v[34:35], v[144:145], v[32:33], -v[34:35]
	v_mul_f64 v[144:145], v[144:145], v[138:139]
	v_fmac_f64_e32 v[144:145], v[146:147], v[32:33]
	s_waitcnt vmcnt(8)
	v_add_f64 v[30:31], v[30:31], -v[144:145]
	ds_read2_b64 v[144:147], v140 offset0:50 offset1:51
	v_add_f64 v[28:29], v[28:29], -v[34:35]
	s_waitcnt lgkmcnt(1)
	v_mul_f64 v[34:35], v[130:131], v[138:139]
	v_fma_f64 v[34:35], v[128:129], v[32:33], -v[34:35]
	v_mul_f64 v[128:129], v[128:129], v[138:139]
	v_fmac_f64_e32 v[128:129], v[130:131], v[32:33]
	s_waitcnt vmcnt(7)
	v_add_f64 v[24:25], v[24:25], -v[34:35]
	v_add_f64 v[26:27], v[26:27], -v[128:129]
	ds_read2_b64 v[128:131], v140 offset0:52 offset1:53
	s_waitcnt lgkmcnt(1)
	v_mul_f64 v[34:35], v[146:147], v[138:139]
	v_fma_f64 v[34:35], v[144:145], v[32:33], -v[34:35]
	v_mul_f64 v[144:145], v[144:145], v[138:139]
	v_fmac_f64_e32 v[144:145], v[146:147], v[32:33]
	s_waitcnt vmcnt(6)
	v_add_f64 v[22:23], v[22:23], -v[144:145]
	ds_read2_b64 v[144:147], v140 offset0:54 offset1:55
	v_add_f64 v[20:21], v[20:21], -v[34:35]
	s_waitcnt lgkmcnt(1)
	v_mul_f64 v[34:35], v[130:131], v[138:139]
	v_fma_f64 v[34:35], v[128:129], v[32:33], -v[34:35]
	v_mul_f64 v[128:129], v[128:129], v[138:139]
	v_fmac_f64_e32 v[128:129], v[130:131], v[32:33]
	s_waitcnt vmcnt(5)
	v_add_f64 v[16:17], v[16:17], -v[34:35]
	v_add_f64 v[18:19], v[18:19], -v[128:129]
	;; [unrolled: 18-line block ×4, first 2 shown]
	s_waitcnt lgkmcnt(0)
	v_mul_f64 v[34:35], v[146:147], v[138:139]
	v_mul_f64 v[128:129], v[144:145], v[138:139]
	v_fma_f64 v[34:35], v[144:145], v[32:33], -v[34:35]
	v_fmac_f64_e32 v[128:129], v[146:147], v[32:33]
	s_waitcnt vmcnt(0)
	v_add_f64 v[124:125], v[124:125], -v[34:35]
	v_add_f64 v[126:127], v[126:127], -v[128:129]
	v_mov_b64_e32 v[34:35], v[138:139]
.LBB62_482:
	s_or_b64 exec, exec, s[0:1]
	v_lshl_add_u32 v128, v141, 4, v140
	s_barrier
	s_waitcnt vmcnt(8)
	ds_write2_b64 v128, v[28:29], v[30:31] offset1:1
	s_waitcnt lgkmcnt(0)
	s_barrier
	ds_read2_b64 v[128:131], v140 offset0:46 offset1:47
	s_cmp_lt_i32 s20, 25
	v_mov_b32_e32 v138, 23
	s_cbranch_scc1 .LBB62_485
; %bb.483:
	v_add_u32_e32 v139, 0x180, v140
	s_mov_b32 s16, 24
	v_mov_b32_e32 v138, 23
.LBB62_484:                             ; =>This Inner Loop Header: Depth=1
	ds_read2_b64 v[144:147], v139 offset1:1
	s_waitcnt lgkmcnt(1)
	v_xor_b32_e32 v149, 0x80000000, v129
	v_xor_b32_e32 v151, 0x80000000, v131
	v_cmp_gt_f64_e32 vcc, 0, v[130:131]
	v_cmp_gt_f64_e64 s[0:1], 0, v[128:129]
	v_mov_b32_e32 v148, v128
	v_mov_b32_e32 v150, v130
	v_cndmask_b32_e64 v149, v129, v149, s[0:1]
	v_cndmask_b32_e32 v151, v131, v151, vcc
	v_add_f64 v[148:149], v[148:149], v[150:151]
	s_waitcnt lgkmcnt(0)
	v_xor_b32_e32 v151, 0x80000000, v145
	v_xor_b32_e32 v153, 0x80000000, v147
	v_cmp_gt_f64_e32 vcc, 0, v[146:147]
	v_cmp_gt_f64_e64 s[0:1], 0, v[144:145]
	v_mov_b32_e32 v150, v144
	v_mov_b32_e32 v152, v146
	v_cndmask_b32_e64 v151, v145, v151, s[0:1]
	v_cndmask_b32_e32 v153, v147, v153, vcc
	v_add_f64 v[150:151], v[150:151], v[152:153]
	v_mov_b32_e32 v154, s16
	s_add_i32 s16, s16, 1
	v_cmp_lt_f64_e32 vcc, v[148:149], v[150:151]
	v_add_u32_e32 v139, 16, v139
	s_cmp_lg_u32 s20, s16
	v_cndmask_b32_e32 v129, v129, v145, vcc
	v_cndmask_b32_e32 v128, v128, v144, vcc
	;; [unrolled: 1-line block ×5, first 2 shown]
	s_cbranch_scc1 .LBB62_484
.LBB62_485:
	s_waitcnt lgkmcnt(0)
	v_cmp_eq_f64_e32 vcc, 0, v[128:129]
	v_cmp_eq_f64_e64 s[0:1], 0, v[130:131]
	s_and_b64 s[0:1], vcc, s[0:1]
	s_and_saveexec_b64 s[16:17], s[0:1]
	s_xor_b64 s[0:1], exec, s[16:17]
; %bb.486:
	v_cmp_ne_u32_e32 vcc, 0, v142
	s_nop 1
	v_cndmask_b32_e32 v142, 24, v142, vcc
; %bb.487:
	s_andn2_saveexec_b64 s[0:1], s[0:1]
	s_cbranch_execz .LBB62_493
; %bb.488:
	v_cmp_ngt_f64_e64 s[16:17], |v[128:129]|, |v[130:131]|
	s_and_saveexec_b64 s[18:19], s[16:17]
	s_xor_b64 s[16:17], exec, s[18:19]
	s_cbranch_execz .LBB62_490
; %bb.489:
	v_div_scale_f64 v[144:145], s[18:19], v[130:131], v[130:131], v[128:129]
	v_rcp_f64_e32 v[146:147], v[144:145]
	v_div_scale_f64 v[148:149], vcc, v[128:129], v[130:131], v[128:129]
	v_fma_f64 v[150:151], -v[144:145], v[146:147], 1.0
	v_fmac_f64_e32 v[146:147], v[146:147], v[150:151]
	v_fma_f64 v[150:151], -v[144:145], v[146:147], 1.0
	v_fmac_f64_e32 v[146:147], v[146:147], v[150:151]
	v_mul_f64 v[150:151], v[148:149], v[146:147]
	v_fma_f64 v[144:145], -v[144:145], v[150:151], v[148:149]
	v_div_fmas_f64 v[144:145], v[144:145], v[146:147], v[150:151]
	v_div_fixup_f64 v[144:145], v[144:145], v[130:131], v[128:129]
	v_fmac_f64_e32 v[130:131], v[128:129], v[144:145]
	v_div_scale_f64 v[128:129], s[18:19], v[130:131], v[130:131], 1.0
	v_rcp_f64_e32 v[146:147], v[128:129]
	s_nop 0
	v_fma_f64 v[148:149], -v[128:129], v[146:147], 1.0
	v_fmac_f64_e32 v[146:147], v[146:147], v[148:149]
	v_fma_f64 v[148:149], -v[128:129], v[146:147], 1.0
	v_fmac_f64_e32 v[146:147], v[146:147], v[148:149]
	v_div_scale_f64 v[148:149], vcc, 1.0, v[130:131], 1.0
	v_mul_f64 v[150:151], v[148:149], v[146:147]
	v_fma_f64 v[128:129], -v[128:129], v[150:151], v[148:149]
	s_nop 1
	v_div_fmas_f64 v[128:129], v[128:129], v[146:147], v[150:151]
	v_div_fixup_f64 v[130:131], v[128:129], v[130:131], 1.0
	v_mul_f64 v[128:129], v[144:145], v[130:131]
	v_xor_b32_e32 v131, 0x80000000, v131
.LBB62_490:
	s_andn2_saveexec_b64 s[16:17], s[16:17]
	s_cbranch_execz .LBB62_492
; %bb.491:
	v_div_scale_f64 v[144:145], s[18:19], v[128:129], v[128:129], v[130:131]
	v_rcp_f64_e32 v[146:147], v[144:145]
	v_div_scale_f64 v[148:149], vcc, v[130:131], v[128:129], v[130:131]
	v_fma_f64 v[150:151], -v[144:145], v[146:147], 1.0
	v_fmac_f64_e32 v[146:147], v[146:147], v[150:151]
	v_fma_f64 v[150:151], -v[144:145], v[146:147], 1.0
	v_fmac_f64_e32 v[146:147], v[146:147], v[150:151]
	v_mul_f64 v[150:151], v[148:149], v[146:147]
	v_fma_f64 v[144:145], -v[144:145], v[150:151], v[148:149]
	v_div_fmas_f64 v[144:145], v[144:145], v[146:147], v[150:151]
	v_div_fixup_f64 v[144:145], v[144:145], v[128:129], v[130:131]
	v_fmac_f64_e32 v[128:129], v[130:131], v[144:145]
	v_div_scale_f64 v[130:131], s[18:19], v[128:129], v[128:129], 1.0
	v_rcp_f64_e32 v[146:147], v[130:131]
	s_nop 0
	v_fma_f64 v[148:149], -v[130:131], v[146:147], 1.0
	v_fmac_f64_e32 v[146:147], v[146:147], v[148:149]
	v_fma_f64 v[148:149], -v[130:131], v[146:147], 1.0
	v_fmac_f64_e32 v[146:147], v[146:147], v[148:149]
	v_div_scale_f64 v[148:149], vcc, 1.0, v[128:129], 1.0
	v_mul_f64 v[150:151], v[148:149], v[146:147]
	v_fma_f64 v[130:131], -v[130:131], v[150:151], v[148:149]
	s_nop 1
	v_div_fmas_f64 v[130:131], v[130:131], v[146:147], v[150:151]
	v_div_fixup_f64 v[128:129], v[130:131], v[128:129], 1.0
	v_mul_f64 v[130:131], v[144:145], -v[128:129]
.LBB62_492:
	s_or_b64 exec, exec, s[16:17]
.LBB62_493:
	s_or_b64 exec, exec, s[0:1]
	v_cmp_ne_u32_e32 vcc, v141, v138
	s_and_saveexec_b64 s[0:1], vcc
	s_xor_b64 s[0:1], exec, s[0:1]
	s_cbranch_execz .LBB62_499
; %bb.494:
	v_cmp_eq_u32_e32 vcc, 23, v141
	s_and_saveexec_b64 s[16:17], vcc
	s_cbranch_execz .LBB62_498
; %bb.495:
	v_cmp_ne_u32_e32 vcc, 23, v138
	s_xor_b64 s[18:19], s[14:15], -1
	s_and_b64 s[22:23], s[18:19], vcc
	s_and_saveexec_b64 s[18:19], s[22:23]
	s_cbranch_execz .LBB62_497
; %bb.496:
	v_ashrrev_i32_e32 v139, 31, v138
	v_lshl_add_u64 v[144:145], v[138:139], 2, v[136:137]
	global_load_dword v139, v[144:145], off
	global_load_dword v141, v[136:137], off offset:92
	s_waitcnt vmcnt(1)
	global_store_dword v[136:137], v139, off offset:92
	s_waitcnt vmcnt(1)
	global_store_dword v[144:145], v141, off
.LBB62_497:
	s_or_b64 exec, exec, s[18:19]
	v_mov_b32_e32 v141, v138
	v_mov_b32_e32 v143, v138
.LBB62_498:
	s_or_b64 exec, exec, s[16:17]
.LBB62_499:
	s_andn2_saveexec_b64 s[0:1], s[0:1]
	s_cbranch_execz .LBB62_501
; %bb.500:
	v_mov_b32_e32 v141, 23
	s_waitcnt vmcnt(7)
	ds_write2_b64 v140, v[24:25], v[26:27] offset0:48 offset1:49
	s_waitcnt vmcnt(6)
	ds_write2_b64 v140, v[20:21], v[22:23] offset0:50 offset1:51
	;; [unrolled: 2-line block ×8, first 2 shown]
.LBB62_501:
	s_or_b64 exec, exec, s[0:1]
	v_cmp_lt_i32_e32 vcc, 23, v141
	s_waitcnt lgkmcnt(0)
	s_barrier
	s_and_saveexec_b64 s[0:1], vcc
	s_cbranch_execz .LBB62_503
; %bb.502:
	ds_read2_b64 v[144:147], v140 offset0:48 offset1:49
	v_mul_f64 v[138:139], v[128:129], v[30:31]
	v_mul_f64 v[30:31], v[130:131], v[30:31]
	v_fmac_f64_e32 v[138:139], v[130:131], v[28:29]
	v_fma_f64 v[28:29], v[128:129], v[28:29], -v[30:31]
	ds_read2_b64 v[128:131], v140 offset0:50 offset1:51
	s_waitcnt lgkmcnt(1)
	v_mul_f64 v[30:31], v[146:147], v[138:139]
	v_fma_f64 v[30:31], v[144:145], v[28:29], -v[30:31]
	v_mul_f64 v[144:145], v[144:145], v[138:139]
	v_fmac_f64_e32 v[144:145], v[146:147], v[28:29]
	s_waitcnt vmcnt(7)
	v_add_f64 v[24:25], v[24:25], -v[30:31]
	s_waitcnt lgkmcnt(0)
	v_mul_f64 v[30:31], v[130:131], v[138:139]
	v_add_f64 v[26:27], v[26:27], -v[144:145]
	v_fma_f64 v[30:31], v[128:129], v[28:29], -v[30:31]
	v_mul_f64 v[128:129], v[128:129], v[138:139]
	ds_read2_b64 v[144:147], v140 offset0:52 offset1:53
	v_fmac_f64_e32 v[128:129], v[130:131], v[28:29]
	s_waitcnt vmcnt(6)
	v_add_f64 v[22:23], v[22:23], -v[128:129]
	ds_read2_b64 v[128:131], v140 offset0:54 offset1:55
	v_add_f64 v[20:21], v[20:21], -v[30:31]
	s_waitcnt lgkmcnt(1)
	v_mul_f64 v[30:31], v[146:147], v[138:139]
	v_fma_f64 v[30:31], v[144:145], v[28:29], -v[30:31]
	v_mul_f64 v[144:145], v[144:145], v[138:139]
	v_fmac_f64_e32 v[144:145], v[146:147], v[28:29]
	s_waitcnt vmcnt(5)
	v_add_f64 v[16:17], v[16:17], -v[30:31]
	s_waitcnt lgkmcnt(0)
	v_mul_f64 v[30:31], v[130:131], v[138:139]
	v_add_f64 v[18:19], v[18:19], -v[144:145]
	v_fma_f64 v[30:31], v[128:129], v[28:29], -v[30:31]
	v_mul_f64 v[128:129], v[128:129], v[138:139]
	ds_read2_b64 v[144:147], v140 offset0:56 offset1:57
	v_fmac_f64_e32 v[128:129], v[130:131], v[28:29]
	s_waitcnt vmcnt(4)
	v_add_f64 v[14:15], v[14:15], -v[128:129]
	ds_read2_b64 v[128:131], v140 offset0:58 offset1:59
	v_add_f64 v[12:13], v[12:13], -v[30:31]
	;; [unrolled: 18-line block ×3, first 2 shown]
	s_waitcnt lgkmcnt(1)
	v_mul_f64 v[30:31], v[146:147], v[138:139]
	v_fma_f64 v[30:31], v[144:145], v[28:29], -v[30:31]
	s_waitcnt vmcnt(1)
	v_add_f64 v[0:1], v[0:1], -v[30:31]
	s_waitcnt lgkmcnt(0)
	v_mul_f64 v[30:31], v[130:131], v[138:139]
	v_mul_f64 v[144:145], v[144:145], v[138:139]
	v_fma_f64 v[30:31], v[128:129], v[28:29], -v[30:31]
	v_mul_f64 v[128:129], v[128:129], v[138:139]
	v_fmac_f64_e32 v[144:145], v[146:147], v[28:29]
	v_fmac_f64_e32 v[128:129], v[130:131], v[28:29]
	v_add_f64 v[2:3], v[2:3], -v[144:145]
	s_waitcnt vmcnt(0)
	v_add_f64 v[124:125], v[124:125], -v[30:31]
	v_add_f64 v[126:127], v[126:127], -v[128:129]
	v_mov_b64_e32 v[30:31], v[138:139]
.LBB62_503:
	s_or_b64 exec, exec, s[0:1]
	v_lshl_add_u32 v128, v141, 4, v140
	s_barrier
	s_waitcnt vmcnt(7)
	ds_write2_b64 v128, v[24:25], v[26:27] offset1:1
	s_waitcnt lgkmcnt(0)
	s_barrier
	ds_read2_b64 v[128:131], v140 offset0:48 offset1:49
	s_cmp_lt_i32 s20, 26
	v_mov_b32_e32 v138, 24
	s_cbranch_scc1 .LBB62_506
; %bb.504:
	v_add_u32_e32 v139, 0x190, v140
	s_mov_b32 s16, 25
	v_mov_b32_e32 v138, 24
.LBB62_505:                             ; =>This Inner Loop Header: Depth=1
	ds_read2_b64 v[144:147], v139 offset1:1
	s_waitcnt lgkmcnt(1)
	v_xor_b32_e32 v149, 0x80000000, v129
	v_xor_b32_e32 v151, 0x80000000, v131
	v_cmp_gt_f64_e32 vcc, 0, v[130:131]
	v_cmp_gt_f64_e64 s[0:1], 0, v[128:129]
	v_mov_b32_e32 v148, v128
	v_mov_b32_e32 v150, v130
	v_cndmask_b32_e64 v149, v129, v149, s[0:1]
	v_cndmask_b32_e32 v151, v131, v151, vcc
	v_add_f64 v[148:149], v[148:149], v[150:151]
	s_waitcnt lgkmcnt(0)
	v_xor_b32_e32 v151, 0x80000000, v145
	v_xor_b32_e32 v153, 0x80000000, v147
	v_cmp_gt_f64_e32 vcc, 0, v[146:147]
	v_cmp_gt_f64_e64 s[0:1], 0, v[144:145]
	v_mov_b32_e32 v150, v144
	v_mov_b32_e32 v152, v146
	v_cndmask_b32_e64 v151, v145, v151, s[0:1]
	v_cndmask_b32_e32 v153, v147, v153, vcc
	v_add_f64 v[150:151], v[150:151], v[152:153]
	v_mov_b32_e32 v154, s16
	s_add_i32 s16, s16, 1
	v_cmp_lt_f64_e32 vcc, v[148:149], v[150:151]
	v_add_u32_e32 v139, 16, v139
	s_cmp_lg_u32 s20, s16
	v_cndmask_b32_e32 v129, v129, v145, vcc
	v_cndmask_b32_e32 v128, v128, v144, vcc
	;; [unrolled: 1-line block ×5, first 2 shown]
	s_cbranch_scc1 .LBB62_505
.LBB62_506:
	s_waitcnt lgkmcnt(0)
	v_cmp_eq_f64_e32 vcc, 0, v[128:129]
	v_cmp_eq_f64_e64 s[0:1], 0, v[130:131]
	s_and_b64 s[0:1], vcc, s[0:1]
	s_and_saveexec_b64 s[16:17], s[0:1]
	s_xor_b64 s[0:1], exec, s[16:17]
; %bb.507:
	v_cmp_ne_u32_e32 vcc, 0, v142
	s_nop 1
	v_cndmask_b32_e32 v142, 25, v142, vcc
; %bb.508:
	s_andn2_saveexec_b64 s[0:1], s[0:1]
	s_cbranch_execz .LBB62_514
; %bb.509:
	v_cmp_ngt_f64_e64 s[16:17], |v[128:129]|, |v[130:131]|
	s_and_saveexec_b64 s[18:19], s[16:17]
	s_xor_b64 s[16:17], exec, s[18:19]
	s_cbranch_execz .LBB62_511
; %bb.510:
	v_div_scale_f64 v[144:145], s[18:19], v[130:131], v[130:131], v[128:129]
	v_rcp_f64_e32 v[146:147], v[144:145]
	v_div_scale_f64 v[148:149], vcc, v[128:129], v[130:131], v[128:129]
	v_fma_f64 v[150:151], -v[144:145], v[146:147], 1.0
	v_fmac_f64_e32 v[146:147], v[146:147], v[150:151]
	v_fma_f64 v[150:151], -v[144:145], v[146:147], 1.0
	v_fmac_f64_e32 v[146:147], v[146:147], v[150:151]
	v_mul_f64 v[150:151], v[148:149], v[146:147]
	v_fma_f64 v[144:145], -v[144:145], v[150:151], v[148:149]
	v_div_fmas_f64 v[144:145], v[144:145], v[146:147], v[150:151]
	v_div_fixup_f64 v[144:145], v[144:145], v[130:131], v[128:129]
	v_fmac_f64_e32 v[130:131], v[128:129], v[144:145]
	v_div_scale_f64 v[128:129], s[18:19], v[130:131], v[130:131], 1.0
	v_rcp_f64_e32 v[146:147], v[128:129]
	s_nop 0
	v_fma_f64 v[148:149], -v[128:129], v[146:147], 1.0
	v_fmac_f64_e32 v[146:147], v[146:147], v[148:149]
	v_fma_f64 v[148:149], -v[128:129], v[146:147], 1.0
	v_fmac_f64_e32 v[146:147], v[146:147], v[148:149]
	v_div_scale_f64 v[148:149], vcc, 1.0, v[130:131], 1.0
	v_mul_f64 v[150:151], v[148:149], v[146:147]
	v_fma_f64 v[128:129], -v[128:129], v[150:151], v[148:149]
	s_nop 1
	v_div_fmas_f64 v[128:129], v[128:129], v[146:147], v[150:151]
	v_div_fixup_f64 v[130:131], v[128:129], v[130:131], 1.0
	v_mul_f64 v[128:129], v[144:145], v[130:131]
	v_xor_b32_e32 v131, 0x80000000, v131
.LBB62_511:
	s_andn2_saveexec_b64 s[16:17], s[16:17]
	s_cbranch_execz .LBB62_513
; %bb.512:
	v_div_scale_f64 v[144:145], s[18:19], v[128:129], v[128:129], v[130:131]
	v_rcp_f64_e32 v[146:147], v[144:145]
	v_div_scale_f64 v[148:149], vcc, v[130:131], v[128:129], v[130:131]
	v_fma_f64 v[150:151], -v[144:145], v[146:147], 1.0
	v_fmac_f64_e32 v[146:147], v[146:147], v[150:151]
	v_fma_f64 v[150:151], -v[144:145], v[146:147], 1.0
	v_fmac_f64_e32 v[146:147], v[146:147], v[150:151]
	v_mul_f64 v[150:151], v[148:149], v[146:147]
	v_fma_f64 v[144:145], -v[144:145], v[150:151], v[148:149]
	v_div_fmas_f64 v[144:145], v[144:145], v[146:147], v[150:151]
	v_div_fixup_f64 v[144:145], v[144:145], v[128:129], v[130:131]
	v_fmac_f64_e32 v[128:129], v[130:131], v[144:145]
	v_div_scale_f64 v[130:131], s[18:19], v[128:129], v[128:129], 1.0
	v_rcp_f64_e32 v[146:147], v[130:131]
	s_nop 0
	v_fma_f64 v[148:149], -v[130:131], v[146:147], 1.0
	v_fmac_f64_e32 v[146:147], v[146:147], v[148:149]
	v_fma_f64 v[148:149], -v[130:131], v[146:147], 1.0
	v_fmac_f64_e32 v[146:147], v[146:147], v[148:149]
	v_div_scale_f64 v[148:149], vcc, 1.0, v[128:129], 1.0
	v_mul_f64 v[150:151], v[148:149], v[146:147]
	v_fma_f64 v[130:131], -v[130:131], v[150:151], v[148:149]
	s_nop 1
	v_div_fmas_f64 v[130:131], v[130:131], v[146:147], v[150:151]
	v_div_fixup_f64 v[128:129], v[130:131], v[128:129], 1.0
	v_mul_f64 v[130:131], v[144:145], -v[128:129]
.LBB62_513:
	s_or_b64 exec, exec, s[16:17]
.LBB62_514:
	s_or_b64 exec, exec, s[0:1]
	v_cmp_ne_u32_e32 vcc, v141, v138
	s_and_saveexec_b64 s[0:1], vcc
	s_xor_b64 s[0:1], exec, s[0:1]
	s_cbranch_execz .LBB62_520
; %bb.515:
	v_cmp_eq_u32_e32 vcc, 24, v141
	s_and_saveexec_b64 s[16:17], vcc
	s_cbranch_execz .LBB62_519
; %bb.516:
	v_cmp_ne_u32_e32 vcc, 24, v138
	s_xor_b64 s[18:19], s[14:15], -1
	s_and_b64 s[22:23], s[18:19], vcc
	s_and_saveexec_b64 s[18:19], s[22:23]
	s_cbranch_execz .LBB62_518
; %bb.517:
	v_ashrrev_i32_e32 v139, 31, v138
	v_lshl_add_u64 v[144:145], v[138:139], 2, v[136:137]
	global_load_dword v139, v[144:145], off
	global_load_dword v141, v[136:137], off offset:96
	s_waitcnt vmcnt(1)
	global_store_dword v[136:137], v139, off offset:96
	s_waitcnt vmcnt(1)
	global_store_dword v[144:145], v141, off
.LBB62_518:
	s_or_b64 exec, exec, s[18:19]
	v_mov_b32_e32 v141, v138
	v_mov_b32_e32 v143, v138
.LBB62_519:
	s_or_b64 exec, exec, s[16:17]
.LBB62_520:
	s_andn2_saveexec_b64 s[0:1], s[0:1]
	s_cbranch_execz .LBB62_522
; %bb.521:
	v_mov_b32_e32 v141, 24
	s_waitcnt vmcnt(6)
	ds_write2_b64 v140, v[20:21], v[22:23] offset0:50 offset1:51
	s_waitcnt vmcnt(5)
	ds_write2_b64 v140, v[16:17], v[18:19] offset0:52 offset1:53
	;; [unrolled: 2-line block ×7, first 2 shown]
.LBB62_522:
	s_or_b64 exec, exec, s[0:1]
	v_cmp_lt_i32_e32 vcc, 24, v141
	s_waitcnt lgkmcnt(0)
	s_barrier
	s_and_saveexec_b64 s[0:1], vcc
	s_cbranch_execz .LBB62_524
; %bb.523:
	ds_read2_b64 v[144:147], v140 offset0:50 offset1:51
	v_mul_f64 v[138:139], v[128:129], v[26:27]
	v_fmac_f64_e32 v[138:139], v[130:131], v[24:25]
	v_mul_f64 v[26:27], v[130:131], v[26:27]
	v_fma_f64 v[24:25], v[128:129], v[24:25], -v[26:27]
	ds_read2_b64 v[128:131], v140 offset0:52 offset1:53
	s_waitcnt lgkmcnt(1)
	v_mul_f64 v[26:27], v[146:147], v[138:139]
	v_fma_f64 v[26:27], v[144:145], v[24:25], -v[26:27]
	v_mul_f64 v[144:145], v[144:145], v[138:139]
	v_fmac_f64_e32 v[144:145], v[146:147], v[24:25]
	s_waitcnt vmcnt(6)
	v_add_f64 v[22:23], v[22:23], -v[144:145]
	ds_read2_b64 v[144:147], v140 offset0:54 offset1:55
	v_add_f64 v[20:21], v[20:21], -v[26:27]
	s_waitcnt lgkmcnt(1)
	v_mul_f64 v[26:27], v[130:131], v[138:139]
	v_fma_f64 v[26:27], v[128:129], v[24:25], -v[26:27]
	v_mul_f64 v[128:129], v[128:129], v[138:139]
	v_fmac_f64_e32 v[128:129], v[130:131], v[24:25]
	s_waitcnt vmcnt(5)
	v_add_f64 v[16:17], v[16:17], -v[26:27]
	v_add_f64 v[18:19], v[18:19], -v[128:129]
	ds_read2_b64 v[128:131], v140 offset0:56 offset1:57
	s_waitcnt lgkmcnt(1)
	v_mul_f64 v[26:27], v[146:147], v[138:139]
	v_fma_f64 v[26:27], v[144:145], v[24:25], -v[26:27]
	v_mul_f64 v[144:145], v[144:145], v[138:139]
	v_fmac_f64_e32 v[144:145], v[146:147], v[24:25]
	s_waitcnt vmcnt(4)
	v_add_f64 v[14:15], v[14:15], -v[144:145]
	ds_read2_b64 v[144:147], v140 offset0:58 offset1:59
	v_add_f64 v[12:13], v[12:13], -v[26:27]
	s_waitcnt lgkmcnt(1)
	v_mul_f64 v[26:27], v[130:131], v[138:139]
	v_fma_f64 v[26:27], v[128:129], v[24:25], -v[26:27]
	v_mul_f64 v[128:129], v[128:129], v[138:139]
	v_fmac_f64_e32 v[128:129], v[130:131], v[24:25]
	s_waitcnt vmcnt(3)
	v_add_f64 v[8:9], v[8:9], -v[26:27]
	v_add_f64 v[10:11], v[10:11], -v[128:129]
	;; [unrolled: 18-line block ×3, first 2 shown]
	s_waitcnt lgkmcnt(0)
	v_mul_f64 v[26:27], v[146:147], v[138:139]
	v_mul_f64 v[128:129], v[144:145], v[138:139]
	v_fma_f64 v[26:27], v[144:145], v[24:25], -v[26:27]
	v_fmac_f64_e32 v[128:129], v[146:147], v[24:25]
	s_waitcnt vmcnt(0)
	v_add_f64 v[124:125], v[124:125], -v[26:27]
	v_add_f64 v[126:127], v[126:127], -v[128:129]
	v_mov_b64_e32 v[26:27], v[138:139]
.LBB62_524:
	s_or_b64 exec, exec, s[0:1]
	v_lshl_add_u32 v128, v141, 4, v140
	s_barrier
	s_waitcnt vmcnt(6)
	ds_write2_b64 v128, v[20:21], v[22:23] offset1:1
	s_waitcnt lgkmcnt(0)
	s_barrier
	ds_read2_b64 v[128:131], v140 offset0:50 offset1:51
	s_cmp_lt_i32 s20, 27
	v_mov_b32_e32 v138, 25
	s_cbranch_scc1 .LBB62_527
; %bb.525:
	v_add_u32_e32 v139, 0x1a0, v140
	s_mov_b32 s16, 26
	v_mov_b32_e32 v138, 25
.LBB62_526:                             ; =>This Inner Loop Header: Depth=1
	ds_read2_b64 v[144:147], v139 offset1:1
	s_waitcnt lgkmcnt(1)
	v_xor_b32_e32 v149, 0x80000000, v129
	v_xor_b32_e32 v151, 0x80000000, v131
	v_cmp_gt_f64_e32 vcc, 0, v[130:131]
	v_cmp_gt_f64_e64 s[0:1], 0, v[128:129]
	v_mov_b32_e32 v148, v128
	v_mov_b32_e32 v150, v130
	v_cndmask_b32_e64 v149, v129, v149, s[0:1]
	v_cndmask_b32_e32 v151, v131, v151, vcc
	v_add_f64 v[148:149], v[148:149], v[150:151]
	s_waitcnt lgkmcnt(0)
	v_xor_b32_e32 v151, 0x80000000, v145
	v_xor_b32_e32 v153, 0x80000000, v147
	v_cmp_gt_f64_e32 vcc, 0, v[146:147]
	v_cmp_gt_f64_e64 s[0:1], 0, v[144:145]
	v_mov_b32_e32 v150, v144
	v_mov_b32_e32 v152, v146
	v_cndmask_b32_e64 v151, v145, v151, s[0:1]
	v_cndmask_b32_e32 v153, v147, v153, vcc
	v_add_f64 v[150:151], v[150:151], v[152:153]
	v_mov_b32_e32 v154, s16
	s_add_i32 s16, s16, 1
	v_cmp_lt_f64_e32 vcc, v[148:149], v[150:151]
	v_add_u32_e32 v139, 16, v139
	s_cmp_lg_u32 s20, s16
	v_cndmask_b32_e32 v129, v129, v145, vcc
	v_cndmask_b32_e32 v128, v128, v144, vcc
	;; [unrolled: 1-line block ×5, first 2 shown]
	s_cbranch_scc1 .LBB62_526
.LBB62_527:
	s_waitcnt lgkmcnt(0)
	v_cmp_eq_f64_e32 vcc, 0, v[128:129]
	v_cmp_eq_f64_e64 s[0:1], 0, v[130:131]
	s_and_b64 s[0:1], vcc, s[0:1]
	s_and_saveexec_b64 s[16:17], s[0:1]
	s_xor_b64 s[0:1], exec, s[16:17]
; %bb.528:
	v_cmp_ne_u32_e32 vcc, 0, v142
	s_nop 1
	v_cndmask_b32_e32 v142, 26, v142, vcc
; %bb.529:
	s_andn2_saveexec_b64 s[0:1], s[0:1]
	s_cbranch_execz .LBB62_535
; %bb.530:
	v_cmp_ngt_f64_e64 s[16:17], |v[128:129]|, |v[130:131]|
	s_and_saveexec_b64 s[18:19], s[16:17]
	s_xor_b64 s[16:17], exec, s[18:19]
	s_cbranch_execz .LBB62_532
; %bb.531:
	v_div_scale_f64 v[144:145], s[18:19], v[130:131], v[130:131], v[128:129]
	v_rcp_f64_e32 v[146:147], v[144:145]
	v_div_scale_f64 v[148:149], vcc, v[128:129], v[130:131], v[128:129]
	v_fma_f64 v[150:151], -v[144:145], v[146:147], 1.0
	v_fmac_f64_e32 v[146:147], v[146:147], v[150:151]
	v_fma_f64 v[150:151], -v[144:145], v[146:147], 1.0
	v_fmac_f64_e32 v[146:147], v[146:147], v[150:151]
	v_mul_f64 v[150:151], v[148:149], v[146:147]
	v_fma_f64 v[144:145], -v[144:145], v[150:151], v[148:149]
	v_div_fmas_f64 v[144:145], v[144:145], v[146:147], v[150:151]
	v_div_fixup_f64 v[144:145], v[144:145], v[130:131], v[128:129]
	v_fmac_f64_e32 v[130:131], v[128:129], v[144:145]
	v_div_scale_f64 v[128:129], s[18:19], v[130:131], v[130:131], 1.0
	v_rcp_f64_e32 v[146:147], v[128:129]
	s_nop 0
	v_fma_f64 v[148:149], -v[128:129], v[146:147], 1.0
	v_fmac_f64_e32 v[146:147], v[146:147], v[148:149]
	v_fma_f64 v[148:149], -v[128:129], v[146:147], 1.0
	v_fmac_f64_e32 v[146:147], v[146:147], v[148:149]
	v_div_scale_f64 v[148:149], vcc, 1.0, v[130:131], 1.0
	v_mul_f64 v[150:151], v[148:149], v[146:147]
	v_fma_f64 v[128:129], -v[128:129], v[150:151], v[148:149]
	s_nop 1
	v_div_fmas_f64 v[128:129], v[128:129], v[146:147], v[150:151]
	v_div_fixup_f64 v[130:131], v[128:129], v[130:131], 1.0
	v_mul_f64 v[128:129], v[144:145], v[130:131]
	v_xor_b32_e32 v131, 0x80000000, v131
.LBB62_532:
	s_andn2_saveexec_b64 s[16:17], s[16:17]
	s_cbranch_execz .LBB62_534
; %bb.533:
	v_div_scale_f64 v[144:145], s[18:19], v[128:129], v[128:129], v[130:131]
	v_rcp_f64_e32 v[146:147], v[144:145]
	v_div_scale_f64 v[148:149], vcc, v[130:131], v[128:129], v[130:131]
	v_fma_f64 v[150:151], -v[144:145], v[146:147], 1.0
	v_fmac_f64_e32 v[146:147], v[146:147], v[150:151]
	v_fma_f64 v[150:151], -v[144:145], v[146:147], 1.0
	v_fmac_f64_e32 v[146:147], v[146:147], v[150:151]
	v_mul_f64 v[150:151], v[148:149], v[146:147]
	v_fma_f64 v[144:145], -v[144:145], v[150:151], v[148:149]
	v_div_fmas_f64 v[144:145], v[144:145], v[146:147], v[150:151]
	v_div_fixup_f64 v[144:145], v[144:145], v[128:129], v[130:131]
	v_fmac_f64_e32 v[128:129], v[130:131], v[144:145]
	v_div_scale_f64 v[130:131], s[18:19], v[128:129], v[128:129], 1.0
	v_rcp_f64_e32 v[146:147], v[130:131]
	s_nop 0
	v_fma_f64 v[148:149], -v[130:131], v[146:147], 1.0
	v_fmac_f64_e32 v[146:147], v[146:147], v[148:149]
	v_fma_f64 v[148:149], -v[130:131], v[146:147], 1.0
	v_fmac_f64_e32 v[146:147], v[146:147], v[148:149]
	v_div_scale_f64 v[148:149], vcc, 1.0, v[128:129], 1.0
	v_mul_f64 v[150:151], v[148:149], v[146:147]
	v_fma_f64 v[130:131], -v[130:131], v[150:151], v[148:149]
	s_nop 1
	v_div_fmas_f64 v[130:131], v[130:131], v[146:147], v[150:151]
	v_div_fixup_f64 v[128:129], v[130:131], v[128:129], 1.0
	v_mul_f64 v[130:131], v[144:145], -v[128:129]
.LBB62_534:
	s_or_b64 exec, exec, s[16:17]
.LBB62_535:
	s_or_b64 exec, exec, s[0:1]
	v_cmp_ne_u32_e32 vcc, v141, v138
	s_and_saveexec_b64 s[0:1], vcc
	s_xor_b64 s[0:1], exec, s[0:1]
	s_cbranch_execz .LBB62_541
; %bb.536:
	v_cmp_eq_u32_e32 vcc, 25, v141
	s_and_saveexec_b64 s[16:17], vcc
	s_cbranch_execz .LBB62_540
; %bb.537:
	v_cmp_ne_u32_e32 vcc, 25, v138
	s_xor_b64 s[18:19], s[14:15], -1
	s_and_b64 s[22:23], s[18:19], vcc
	s_and_saveexec_b64 s[18:19], s[22:23]
	s_cbranch_execz .LBB62_539
; %bb.538:
	v_ashrrev_i32_e32 v139, 31, v138
	v_lshl_add_u64 v[144:145], v[138:139], 2, v[136:137]
	global_load_dword v139, v[144:145], off
	global_load_dword v141, v[136:137], off offset:100
	s_waitcnt vmcnt(1)
	global_store_dword v[136:137], v139, off offset:100
	s_waitcnt vmcnt(1)
	global_store_dword v[144:145], v141, off
.LBB62_539:
	s_or_b64 exec, exec, s[18:19]
	v_mov_b32_e32 v141, v138
	v_mov_b32_e32 v143, v138
.LBB62_540:
	s_or_b64 exec, exec, s[16:17]
.LBB62_541:
	s_andn2_saveexec_b64 s[0:1], s[0:1]
	s_cbranch_execz .LBB62_543
; %bb.542:
	v_mov_b32_e32 v141, 25
	s_waitcnt vmcnt(5)
	ds_write2_b64 v140, v[16:17], v[18:19] offset0:52 offset1:53
	s_waitcnt vmcnt(4)
	ds_write2_b64 v140, v[12:13], v[14:15] offset0:54 offset1:55
	;; [unrolled: 2-line block ×6, first 2 shown]
.LBB62_543:
	s_or_b64 exec, exec, s[0:1]
	v_cmp_lt_i32_e32 vcc, 25, v141
	s_waitcnt lgkmcnt(0)
	s_barrier
	s_and_saveexec_b64 s[0:1], vcc
	s_cbranch_execz .LBB62_545
; %bb.544:
	ds_read2_b64 v[144:147], v140 offset0:52 offset1:53
	v_mul_f64 v[138:139], v[128:129], v[22:23]
	v_mul_f64 v[22:23], v[130:131], v[22:23]
	v_fmac_f64_e32 v[138:139], v[130:131], v[20:21]
	v_fma_f64 v[20:21], v[128:129], v[20:21], -v[22:23]
	ds_read2_b64 v[128:131], v140 offset0:54 offset1:55
	s_waitcnt lgkmcnt(1)
	v_mul_f64 v[22:23], v[146:147], v[138:139]
	v_fma_f64 v[22:23], v[144:145], v[20:21], -v[22:23]
	v_mul_f64 v[144:145], v[144:145], v[138:139]
	v_fmac_f64_e32 v[144:145], v[146:147], v[20:21]
	s_waitcnt vmcnt(5)
	v_add_f64 v[16:17], v[16:17], -v[22:23]
	s_waitcnt lgkmcnt(0)
	v_mul_f64 v[22:23], v[130:131], v[138:139]
	v_add_f64 v[18:19], v[18:19], -v[144:145]
	v_fma_f64 v[22:23], v[128:129], v[20:21], -v[22:23]
	v_mul_f64 v[128:129], v[128:129], v[138:139]
	ds_read2_b64 v[144:147], v140 offset0:56 offset1:57
	v_fmac_f64_e32 v[128:129], v[130:131], v[20:21]
	s_waitcnt vmcnt(4)
	v_add_f64 v[14:15], v[14:15], -v[128:129]
	ds_read2_b64 v[128:131], v140 offset0:58 offset1:59
	v_add_f64 v[12:13], v[12:13], -v[22:23]
	s_waitcnt lgkmcnt(1)
	v_mul_f64 v[22:23], v[146:147], v[138:139]
	v_fma_f64 v[22:23], v[144:145], v[20:21], -v[22:23]
	v_mul_f64 v[144:145], v[144:145], v[138:139]
	v_fmac_f64_e32 v[144:145], v[146:147], v[20:21]
	s_waitcnt vmcnt(3)
	v_add_f64 v[8:9], v[8:9], -v[22:23]
	s_waitcnt lgkmcnt(0)
	v_mul_f64 v[22:23], v[130:131], v[138:139]
	v_add_f64 v[10:11], v[10:11], -v[144:145]
	v_fma_f64 v[22:23], v[128:129], v[20:21], -v[22:23]
	v_mul_f64 v[128:129], v[128:129], v[138:139]
	ds_read2_b64 v[144:147], v140 offset0:60 offset1:61
	v_fmac_f64_e32 v[128:129], v[130:131], v[20:21]
	s_waitcnt vmcnt(2)
	v_add_f64 v[6:7], v[6:7], -v[128:129]
	ds_read2_b64 v[128:131], v140 offset0:62 offset1:63
	v_add_f64 v[4:5], v[4:5], -v[22:23]
	s_waitcnt lgkmcnt(1)
	v_mul_f64 v[22:23], v[146:147], v[138:139]
	v_fma_f64 v[22:23], v[144:145], v[20:21], -v[22:23]
	s_waitcnt vmcnt(1)
	v_add_f64 v[0:1], v[0:1], -v[22:23]
	s_waitcnt lgkmcnt(0)
	v_mul_f64 v[22:23], v[130:131], v[138:139]
	v_mul_f64 v[144:145], v[144:145], v[138:139]
	v_fma_f64 v[22:23], v[128:129], v[20:21], -v[22:23]
	v_mul_f64 v[128:129], v[128:129], v[138:139]
	v_fmac_f64_e32 v[144:145], v[146:147], v[20:21]
	v_fmac_f64_e32 v[128:129], v[130:131], v[20:21]
	v_add_f64 v[2:3], v[2:3], -v[144:145]
	s_waitcnt vmcnt(0)
	v_add_f64 v[124:125], v[124:125], -v[22:23]
	v_add_f64 v[126:127], v[126:127], -v[128:129]
	v_mov_b64_e32 v[22:23], v[138:139]
.LBB62_545:
	s_or_b64 exec, exec, s[0:1]
	v_lshl_add_u32 v128, v141, 4, v140
	s_barrier
	s_waitcnt vmcnt(5)
	ds_write2_b64 v128, v[16:17], v[18:19] offset1:1
	s_waitcnt lgkmcnt(0)
	s_barrier
	ds_read2_b64 v[128:131], v140 offset0:52 offset1:53
	s_cmp_lt_i32 s20, 28
	v_mov_b32_e32 v138, 26
	s_cbranch_scc1 .LBB62_548
; %bb.546:
	v_add_u32_e32 v139, 0x1b0, v140
	s_mov_b32 s16, 27
	v_mov_b32_e32 v138, 26
.LBB62_547:                             ; =>This Inner Loop Header: Depth=1
	ds_read2_b64 v[144:147], v139 offset1:1
	s_waitcnt lgkmcnt(1)
	v_xor_b32_e32 v149, 0x80000000, v129
	v_xor_b32_e32 v151, 0x80000000, v131
	v_cmp_gt_f64_e32 vcc, 0, v[130:131]
	v_cmp_gt_f64_e64 s[0:1], 0, v[128:129]
	v_mov_b32_e32 v148, v128
	v_mov_b32_e32 v150, v130
	v_cndmask_b32_e64 v149, v129, v149, s[0:1]
	v_cndmask_b32_e32 v151, v131, v151, vcc
	v_add_f64 v[148:149], v[148:149], v[150:151]
	s_waitcnt lgkmcnt(0)
	v_xor_b32_e32 v151, 0x80000000, v145
	v_xor_b32_e32 v153, 0x80000000, v147
	v_cmp_gt_f64_e32 vcc, 0, v[146:147]
	v_cmp_gt_f64_e64 s[0:1], 0, v[144:145]
	v_mov_b32_e32 v150, v144
	v_mov_b32_e32 v152, v146
	v_cndmask_b32_e64 v151, v145, v151, s[0:1]
	v_cndmask_b32_e32 v153, v147, v153, vcc
	v_add_f64 v[150:151], v[150:151], v[152:153]
	v_mov_b32_e32 v154, s16
	s_add_i32 s16, s16, 1
	v_cmp_lt_f64_e32 vcc, v[148:149], v[150:151]
	v_add_u32_e32 v139, 16, v139
	s_cmp_lg_u32 s20, s16
	v_cndmask_b32_e32 v129, v129, v145, vcc
	v_cndmask_b32_e32 v128, v128, v144, vcc
	;; [unrolled: 1-line block ×5, first 2 shown]
	s_cbranch_scc1 .LBB62_547
.LBB62_548:
	s_waitcnt lgkmcnt(0)
	v_cmp_eq_f64_e32 vcc, 0, v[128:129]
	v_cmp_eq_f64_e64 s[0:1], 0, v[130:131]
	s_and_b64 s[0:1], vcc, s[0:1]
	s_and_saveexec_b64 s[16:17], s[0:1]
	s_xor_b64 s[0:1], exec, s[16:17]
; %bb.549:
	v_cmp_ne_u32_e32 vcc, 0, v142
	s_nop 1
	v_cndmask_b32_e32 v142, 27, v142, vcc
; %bb.550:
	s_andn2_saveexec_b64 s[0:1], s[0:1]
	s_cbranch_execz .LBB62_556
; %bb.551:
	v_cmp_ngt_f64_e64 s[16:17], |v[128:129]|, |v[130:131]|
	s_and_saveexec_b64 s[18:19], s[16:17]
	s_xor_b64 s[16:17], exec, s[18:19]
	s_cbranch_execz .LBB62_553
; %bb.552:
	v_div_scale_f64 v[144:145], s[18:19], v[130:131], v[130:131], v[128:129]
	v_rcp_f64_e32 v[146:147], v[144:145]
	v_div_scale_f64 v[148:149], vcc, v[128:129], v[130:131], v[128:129]
	v_fma_f64 v[150:151], -v[144:145], v[146:147], 1.0
	v_fmac_f64_e32 v[146:147], v[146:147], v[150:151]
	v_fma_f64 v[150:151], -v[144:145], v[146:147], 1.0
	v_fmac_f64_e32 v[146:147], v[146:147], v[150:151]
	v_mul_f64 v[150:151], v[148:149], v[146:147]
	v_fma_f64 v[144:145], -v[144:145], v[150:151], v[148:149]
	v_div_fmas_f64 v[144:145], v[144:145], v[146:147], v[150:151]
	v_div_fixup_f64 v[144:145], v[144:145], v[130:131], v[128:129]
	v_fmac_f64_e32 v[130:131], v[128:129], v[144:145]
	v_div_scale_f64 v[128:129], s[18:19], v[130:131], v[130:131], 1.0
	v_rcp_f64_e32 v[146:147], v[128:129]
	s_nop 0
	v_fma_f64 v[148:149], -v[128:129], v[146:147], 1.0
	v_fmac_f64_e32 v[146:147], v[146:147], v[148:149]
	v_fma_f64 v[148:149], -v[128:129], v[146:147], 1.0
	v_fmac_f64_e32 v[146:147], v[146:147], v[148:149]
	v_div_scale_f64 v[148:149], vcc, 1.0, v[130:131], 1.0
	v_mul_f64 v[150:151], v[148:149], v[146:147]
	v_fma_f64 v[128:129], -v[128:129], v[150:151], v[148:149]
	s_nop 1
	v_div_fmas_f64 v[128:129], v[128:129], v[146:147], v[150:151]
	v_div_fixup_f64 v[130:131], v[128:129], v[130:131], 1.0
	v_mul_f64 v[128:129], v[144:145], v[130:131]
	v_xor_b32_e32 v131, 0x80000000, v131
.LBB62_553:
	s_andn2_saveexec_b64 s[16:17], s[16:17]
	s_cbranch_execz .LBB62_555
; %bb.554:
	v_div_scale_f64 v[144:145], s[18:19], v[128:129], v[128:129], v[130:131]
	v_rcp_f64_e32 v[146:147], v[144:145]
	v_div_scale_f64 v[148:149], vcc, v[130:131], v[128:129], v[130:131]
	v_fma_f64 v[150:151], -v[144:145], v[146:147], 1.0
	v_fmac_f64_e32 v[146:147], v[146:147], v[150:151]
	v_fma_f64 v[150:151], -v[144:145], v[146:147], 1.0
	v_fmac_f64_e32 v[146:147], v[146:147], v[150:151]
	v_mul_f64 v[150:151], v[148:149], v[146:147]
	v_fma_f64 v[144:145], -v[144:145], v[150:151], v[148:149]
	v_div_fmas_f64 v[144:145], v[144:145], v[146:147], v[150:151]
	v_div_fixup_f64 v[144:145], v[144:145], v[128:129], v[130:131]
	v_fmac_f64_e32 v[128:129], v[130:131], v[144:145]
	v_div_scale_f64 v[130:131], s[18:19], v[128:129], v[128:129], 1.0
	v_rcp_f64_e32 v[146:147], v[130:131]
	s_nop 0
	v_fma_f64 v[148:149], -v[130:131], v[146:147], 1.0
	v_fmac_f64_e32 v[146:147], v[146:147], v[148:149]
	v_fma_f64 v[148:149], -v[130:131], v[146:147], 1.0
	v_fmac_f64_e32 v[146:147], v[146:147], v[148:149]
	v_div_scale_f64 v[148:149], vcc, 1.0, v[128:129], 1.0
	v_mul_f64 v[150:151], v[148:149], v[146:147]
	v_fma_f64 v[130:131], -v[130:131], v[150:151], v[148:149]
	s_nop 1
	v_div_fmas_f64 v[130:131], v[130:131], v[146:147], v[150:151]
	v_div_fixup_f64 v[128:129], v[130:131], v[128:129], 1.0
	v_mul_f64 v[130:131], v[144:145], -v[128:129]
.LBB62_555:
	s_or_b64 exec, exec, s[16:17]
.LBB62_556:
	s_or_b64 exec, exec, s[0:1]
	v_cmp_ne_u32_e32 vcc, v141, v138
	s_and_saveexec_b64 s[0:1], vcc
	s_xor_b64 s[0:1], exec, s[0:1]
	s_cbranch_execz .LBB62_562
; %bb.557:
	v_cmp_eq_u32_e32 vcc, 26, v141
	s_and_saveexec_b64 s[16:17], vcc
	s_cbranch_execz .LBB62_561
; %bb.558:
	v_cmp_ne_u32_e32 vcc, 26, v138
	s_xor_b64 s[18:19], s[14:15], -1
	s_and_b64 s[22:23], s[18:19], vcc
	s_and_saveexec_b64 s[18:19], s[22:23]
	s_cbranch_execz .LBB62_560
; %bb.559:
	v_ashrrev_i32_e32 v139, 31, v138
	v_lshl_add_u64 v[144:145], v[138:139], 2, v[136:137]
	global_load_dword v139, v[144:145], off
	global_load_dword v141, v[136:137], off offset:104
	s_waitcnt vmcnt(1)
	global_store_dword v[136:137], v139, off offset:104
	s_waitcnt vmcnt(1)
	global_store_dword v[144:145], v141, off
.LBB62_560:
	s_or_b64 exec, exec, s[18:19]
	v_mov_b32_e32 v141, v138
	v_mov_b32_e32 v143, v138
.LBB62_561:
	s_or_b64 exec, exec, s[16:17]
.LBB62_562:
	s_andn2_saveexec_b64 s[0:1], s[0:1]
	s_cbranch_execz .LBB62_564
; %bb.563:
	v_mov_b32_e32 v141, 26
	s_waitcnt vmcnt(4)
	ds_write2_b64 v140, v[12:13], v[14:15] offset0:54 offset1:55
	s_waitcnt vmcnt(3)
	ds_write2_b64 v140, v[8:9], v[10:11] offset0:56 offset1:57
	;; [unrolled: 2-line block ×5, first 2 shown]
.LBB62_564:
	s_or_b64 exec, exec, s[0:1]
	v_cmp_lt_i32_e32 vcc, 26, v141
	s_waitcnt lgkmcnt(0)
	s_barrier
	s_and_saveexec_b64 s[0:1], vcc
	s_cbranch_execz .LBB62_566
; %bb.565:
	ds_read2_b64 v[144:147], v140 offset0:54 offset1:55
	v_mul_f64 v[138:139], v[128:129], v[18:19]
	v_fmac_f64_e32 v[138:139], v[130:131], v[16:17]
	v_mul_f64 v[18:19], v[130:131], v[18:19]
	v_fma_f64 v[16:17], v[128:129], v[16:17], -v[18:19]
	ds_read2_b64 v[128:131], v140 offset0:56 offset1:57
	s_waitcnt lgkmcnt(1)
	v_mul_f64 v[18:19], v[146:147], v[138:139]
	v_fma_f64 v[18:19], v[144:145], v[16:17], -v[18:19]
	v_mul_f64 v[144:145], v[144:145], v[138:139]
	v_fmac_f64_e32 v[144:145], v[146:147], v[16:17]
	s_waitcnt vmcnt(4)
	v_add_f64 v[14:15], v[14:15], -v[144:145]
	ds_read2_b64 v[144:147], v140 offset0:58 offset1:59
	v_add_f64 v[12:13], v[12:13], -v[18:19]
	s_waitcnt lgkmcnt(1)
	v_mul_f64 v[18:19], v[130:131], v[138:139]
	v_fma_f64 v[18:19], v[128:129], v[16:17], -v[18:19]
	v_mul_f64 v[128:129], v[128:129], v[138:139]
	v_fmac_f64_e32 v[128:129], v[130:131], v[16:17]
	s_waitcnt vmcnt(3)
	v_add_f64 v[8:9], v[8:9], -v[18:19]
	v_add_f64 v[10:11], v[10:11], -v[128:129]
	ds_read2_b64 v[128:131], v140 offset0:60 offset1:61
	s_waitcnt lgkmcnt(1)
	v_mul_f64 v[18:19], v[146:147], v[138:139]
	v_fma_f64 v[18:19], v[144:145], v[16:17], -v[18:19]
	v_mul_f64 v[144:145], v[144:145], v[138:139]
	v_fmac_f64_e32 v[144:145], v[146:147], v[16:17]
	s_waitcnt vmcnt(2)
	v_add_f64 v[6:7], v[6:7], -v[144:145]
	ds_read2_b64 v[144:147], v140 offset0:62 offset1:63
	v_add_f64 v[4:5], v[4:5], -v[18:19]
	s_waitcnt lgkmcnt(1)
	v_mul_f64 v[18:19], v[130:131], v[138:139]
	v_fma_f64 v[18:19], v[128:129], v[16:17], -v[18:19]
	v_mul_f64 v[128:129], v[128:129], v[138:139]
	v_fmac_f64_e32 v[128:129], v[130:131], v[16:17]
	s_waitcnt vmcnt(1)
	v_add_f64 v[0:1], v[0:1], -v[18:19]
	v_add_f64 v[2:3], v[2:3], -v[128:129]
	s_waitcnt lgkmcnt(0)
	v_mul_f64 v[18:19], v[146:147], v[138:139]
	v_mul_f64 v[128:129], v[144:145], v[138:139]
	v_fma_f64 v[18:19], v[144:145], v[16:17], -v[18:19]
	v_fmac_f64_e32 v[128:129], v[146:147], v[16:17]
	s_waitcnt vmcnt(0)
	v_add_f64 v[124:125], v[124:125], -v[18:19]
	v_add_f64 v[126:127], v[126:127], -v[128:129]
	v_mov_b64_e32 v[18:19], v[138:139]
.LBB62_566:
	s_or_b64 exec, exec, s[0:1]
	v_lshl_add_u32 v128, v141, 4, v140
	s_barrier
	s_waitcnt vmcnt(4)
	ds_write2_b64 v128, v[12:13], v[14:15] offset1:1
	s_waitcnt lgkmcnt(0)
	s_barrier
	ds_read2_b64 v[128:131], v140 offset0:54 offset1:55
	s_cmp_lt_i32 s20, 29
	v_mov_b32_e32 v138, 27
	s_cbranch_scc1 .LBB62_569
; %bb.567:
	v_add_u32_e32 v139, 0x1c0, v140
	s_mov_b32 s16, 28
	v_mov_b32_e32 v138, 27
.LBB62_568:                             ; =>This Inner Loop Header: Depth=1
	ds_read2_b64 v[144:147], v139 offset1:1
	s_waitcnt lgkmcnt(1)
	v_xor_b32_e32 v149, 0x80000000, v129
	v_xor_b32_e32 v151, 0x80000000, v131
	v_cmp_gt_f64_e32 vcc, 0, v[130:131]
	v_cmp_gt_f64_e64 s[0:1], 0, v[128:129]
	v_mov_b32_e32 v148, v128
	v_mov_b32_e32 v150, v130
	v_cndmask_b32_e64 v149, v129, v149, s[0:1]
	v_cndmask_b32_e32 v151, v131, v151, vcc
	v_add_f64 v[148:149], v[148:149], v[150:151]
	s_waitcnt lgkmcnt(0)
	v_xor_b32_e32 v151, 0x80000000, v145
	v_xor_b32_e32 v153, 0x80000000, v147
	v_cmp_gt_f64_e32 vcc, 0, v[146:147]
	v_cmp_gt_f64_e64 s[0:1], 0, v[144:145]
	v_mov_b32_e32 v150, v144
	v_mov_b32_e32 v152, v146
	v_cndmask_b32_e64 v151, v145, v151, s[0:1]
	v_cndmask_b32_e32 v153, v147, v153, vcc
	v_add_f64 v[150:151], v[150:151], v[152:153]
	v_mov_b32_e32 v154, s16
	s_add_i32 s16, s16, 1
	v_cmp_lt_f64_e32 vcc, v[148:149], v[150:151]
	v_add_u32_e32 v139, 16, v139
	s_cmp_lg_u32 s20, s16
	v_cndmask_b32_e32 v129, v129, v145, vcc
	v_cndmask_b32_e32 v128, v128, v144, vcc
	;; [unrolled: 1-line block ×5, first 2 shown]
	s_cbranch_scc1 .LBB62_568
.LBB62_569:
	s_waitcnt lgkmcnt(0)
	v_cmp_eq_f64_e32 vcc, 0, v[128:129]
	v_cmp_eq_f64_e64 s[0:1], 0, v[130:131]
	s_and_b64 s[0:1], vcc, s[0:1]
	s_and_saveexec_b64 s[16:17], s[0:1]
	s_xor_b64 s[0:1], exec, s[16:17]
; %bb.570:
	v_cmp_ne_u32_e32 vcc, 0, v142
	s_nop 1
	v_cndmask_b32_e32 v142, 28, v142, vcc
; %bb.571:
	s_andn2_saveexec_b64 s[0:1], s[0:1]
	s_cbranch_execz .LBB62_577
; %bb.572:
	v_cmp_ngt_f64_e64 s[16:17], |v[128:129]|, |v[130:131]|
	s_and_saveexec_b64 s[18:19], s[16:17]
	s_xor_b64 s[16:17], exec, s[18:19]
	s_cbranch_execz .LBB62_574
; %bb.573:
	v_div_scale_f64 v[144:145], s[18:19], v[130:131], v[130:131], v[128:129]
	v_rcp_f64_e32 v[146:147], v[144:145]
	v_div_scale_f64 v[148:149], vcc, v[128:129], v[130:131], v[128:129]
	v_fma_f64 v[150:151], -v[144:145], v[146:147], 1.0
	v_fmac_f64_e32 v[146:147], v[146:147], v[150:151]
	v_fma_f64 v[150:151], -v[144:145], v[146:147], 1.0
	v_fmac_f64_e32 v[146:147], v[146:147], v[150:151]
	v_mul_f64 v[150:151], v[148:149], v[146:147]
	v_fma_f64 v[144:145], -v[144:145], v[150:151], v[148:149]
	v_div_fmas_f64 v[144:145], v[144:145], v[146:147], v[150:151]
	v_div_fixup_f64 v[144:145], v[144:145], v[130:131], v[128:129]
	v_fmac_f64_e32 v[130:131], v[128:129], v[144:145]
	v_div_scale_f64 v[128:129], s[18:19], v[130:131], v[130:131], 1.0
	v_rcp_f64_e32 v[146:147], v[128:129]
	s_nop 0
	v_fma_f64 v[148:149], -v[128:129], v[146:147], 1.0
	v_fmac_f64_e32 v[146:147], v[146:147], v[148:149]
	v_fma_f64 v[148:149], -v[128:129], v[146:147], 1.0
	v_fmac_f64_e32 v[146:147], v[146:147], v[148:149]
	v_div_scale_f64 v[148:149], vcc, 1.0, v[130:131], 1.0
	v_mul_f64 v[150:151], v[148:149], v[146:147]
	v_fma_f64 v[128:129], -v[128:129], v[150:151], v[148:149]
	s_nop 1
	v_div_fmas_f64 v[128:129], v[128:129], v[146:147], v[150:151]
	v_div_fixup_f64 v[130:131], v[128:129], v[130:131], 1.0
	v_mul_f64 v[128:129], v[144:145], v[130:131]
	v_xor_b32_e32 v131, 0x80000000, v131
.LBB62_574:
	s_andn2_saveexec_b64 s[16:17], s[16:17]
	s_cbranch_execz .LBB62_576
; %bb.575:
	v_div_scale_f64 v[144:145], s[18:19], v[128:129], v[128:129], v[130:131]
	v_rcp_f64_e32 v[146:147], v[144:145]
	v_div_scale_f64 v[148:149], vcc, v[130:131], v[128:129], v[130:131]
	v_fma_f64 v[150:151], -v[144:145], v[146:147], 1.0
	v_fmac_f64_e32 v[146:147], v[146:147], v[150:151]
	v_fma_f64 v[150:151], -v[144:145], v[146:147], 1.0
	v_fmac_f64_e32 v[146:147], v[146:147], v[150:151]
	v_mul_f64 v[150:151], v[148:149], v[146:147]
	v_fma_f64 v[144:145], -v[144:145], v[150:151], v[148:149]
	v_div_fmas_f64 v[144:145], v[144:145], v[146:147], v[150:151]
	v_div_fixup_f64 v[144:145], v[144:145], v[128:129], v[130:131]
	v_fmac_f64_e32 v[128:129], v[130:131], v[144:145]
	v_div_scale_f64 v[130:131], s[18:19], v[128:129], v[128:129], 1.0
	v_rcp_f64_e32 v[146:147], v[130:131]
	s_nop 0
	v_fma_f64 v[148:149], -v[130:131], v[146:147], 1.0
	v_fmac_f64_e32 v[146:147], v[146:147], v[148:149]
	v_fma_f64 v[148:149], -v[130:131], v[146:147], 1.0
	v_fmac_f64_e32 v[146:147], v[146:147], v[148:149]
	v_div_scale_f64 v[148:149], vcc, 1.0, v[128:129], 1.0
	v_mul_f64 v[150:151], v[148:149], v[146:147]
	v_fma_f64 v[130:131], -v[130:131], v[150:151], v[148:149]
	s_nop 1
	v_div_fmas_f64 v[130:131], v[130:131], v[146:147], v[150:151]
	v_div_fixup_f64 v[128:129], v[130:131], v[128:129], 1.0
	v_mul_f64 v[130:131], v[144:145], -v[128:129]
.LBB62_576:
	s_or_b64 exec, exec, s[16:17]
.LBB62_577:
	s_or_b64 exec, exec, s[0:1]
	v_cmp_ne_u32_e32 vcc, v141, v138
	s_and_saveexec_b64 s[0:1], vcc
	s_xor_b64 s[0:1], exec, s[0:1]
	s_cbranch_execz .LBB62_583
; %bb.578:
	v_cmp_eq_u32_e32 vcc, 27, v141
	s_and_saveexec_b64 s[16:17], vcc
	s_cbranch_execz .LBB62_582
; %bb.579:
	v_cmp_ne_u32_e32 vcc, 27, v138
	s_xor_b64 s[18:19], s[14:15], -1
	s_and_b64 s[22:23], s[18:19], vcc
	s_and_saveexec_b64 s[18:19], s[22:23]
	s_cbranch_execz .LBB62_581
; %bb.580:
	v_ashrrev_i32_e32 v139, 31, v138
	v_lshl_add_u64 v[144:145], v[138:139], 2, v[136:137]
	global_load_dword v139, v[144:145], off
	global_load_dword v141, v[136:137], off offset:108
	s_waitcnt vmcnt(1)
	global_store_dword v[136:137], v139, off offset:108
	s_waitcnt vmcnt(1)
	global_store_dword v[144:145], v141, off
.LBB62_581:
	s_or_b64 exec, exec, s[18:19]
	v_mov_b32_e32 v141, v138
	v_mov_b32_e32 v143, v138
.LBB62_582:
	s_or_b64 exec, exec, s[16:17]
.LBB62_583:
	s_andn2_saveexec_b64 s[0:1], s[0:1]
	s_cbranch_execz .LBB62_585
; %bb.584:
	v_mov_b32_e32 v141, 27
	s_waitcnt vmcnt(3)
	ds_write2_b64 v140, v[8:9], v[10:11] offset0:56 offset1:57
	s_waitcnt vmcnt(2)
	ds_write2_b64 v140, v[4:5], v[6:7] offset0:58 offset1:59
	;; [unrolled: 2-line block ×4, first 2 shown]
.LBB62_585:
	s_or_b64 exec, exec, s[0:1]
	v_cmp_lt_i32_e32 vcc, 27, v141
	s_waitcnt lgkmcnt(0)
	s_barrier
	s_and_saveexec_b64 s[0:1], vcc
	s_cbranch_execz .LBB62_587
; %bb.586:
	ds_read2_b64 v[144:147], v140 offset0:56 offset1:57
	v_mul_f64 v[138:139], v[128:129], v[14:15]
	v_mul_f64 v[14:15], v[130:131], v[14:15]
	v_fmac_f64_e32 v[138:139], v[130:131], v[12:13]
	v_fma_f64 v[12:13], v[128:129], v[12:13], -v[14:15]
	ds_read2_b64 v[128:131], v140 offset0:58 offset1:59
	s_waitcnt lgkmcnt(1)
	v_mul_f64 v[14:15], v[146:147], v[138:139]
	v_fma_f64 v[14:15], v[144:145], v[12:13], -v[14:15]
	v_mul_f64 v[144:145], v[144:145], v[138:139]
	v_fmac_f64_e32 v[144:145], v[146:147], v[12:13]
	s_waitcnt vmcnt(3)
	v_add_f64 v[8:9], v[8:9], -v[14:15]
	s_waitcnt lgkmcnt(0)
	v_mul_f64 v[14:15], v[130:131], v[138:139]
	v_add_f64 v[10:11], v[10:11], -v[144:145]
	v_fma_f64 v[14:15], v[128:129], v[12:13], -v[14:15]
	v_mul_f64 v[128:129], v[128:129], v[138:139]
	ds_read2_b64 v[144:147], v140 offset0:60 offset1:61
	v_fmac_f64_e32 v[128:129], v[130:131], v[12:13]
	s_waitcnt vmcnt(2)
	v_add_f64 v[6:7], v[6:7], -v[128:129]
	ds_read2_b64 v[128:131], v140 offset0:62 offset1:63
	v_add_f64 v[4:5], v[4:5], -v[14:15]
	s_waitcnt lgkmcnt(1)
	v_mul_f64 v[14:15], v[146:147], v[138:139]
	v_fma_f64 v[14:15], v[144:145], v[12:13], -v[14:15]
	s_waitcnt vmcnt(1)
	v_add_f64 v[0:1], v[0:1], -v[14:15]
	s_waitcnt lgkmcnt(0)
	v_mul_f64 v[14:15], v[130:131], v[138:139]
	v_mul_f64 v[144:145], v[144:145], v[138:139]
	v_fma_f64 v[14:15], v[128:129], v[12:13], -v[14:15]
	v_mul_f64 v[128:129], v[128:129], v[138:139]
	v_fmac_f64_e32 v[144:145], v[146:147], v[12:13]
	v_fmac_f64_e32 v[128:129], v[130:131], v[12:13]
	v_add_f64 v[2:3], v[2:3], -v[144:145]
	s_waitcnt vmcnt(0)
	v_add_f64 v[124:125], v[124:125], -v[14:15]
	v_add_f64 v[126:127], v[126:127], -v[128:129]
	v_mov_b64_e32 v[14:15], v[138:139]
.LBB62_587:
	s_or_b64 exec, exec, s[0:1]
	v_lshl_add_u32 v128, v141, 4, v140
	s_barrier
	s_waitcnt vmcnt(3)
	ds_write2_b64 v128, v[8:9], v[10:11] offset1:1
	s_waitcnt lgkmcnt(0)
	s_barrier
	ds_read2_b64 v[128:131], v140 offset0:56 offset1:57
	s_cmp_lt_i32 s20, 30
	v_mov_b32_e32 v138, 28
	s_cbranch_scc1 .LBB62_590
; %bb.588:
	v_add_u32_e32 v139, 0x1d0, v140
	s_mov_b32 s16, 29
	v_mov_b32_e32 v138, 28
.LBB62_589:                             ; =>This Inner Loop Header: Depth=1
	ds_read2_b64 v[144:147], v139 offset1:1
	s_waitcnt lgkmcnt(1)
	v_xor_b32_e32 v149, 0x80000000, v129
	v_xor_b32_e32 v151, 0x80000000, v131
	v_cmp_gt_f64_e32 vcc, 0, v[130:131]
	v_cmp_gt_f64_e64 s[0:1], 0, v[128:129]
	v_mov_b32_e32 v148, v128
	v_mov_b32_e32 v150, v130
	v_cndmask_b32_e64 v149, v129, v149, s[0:1]
	v_cndmask_b32_e32 v151, v131, v151, vcc
	v_add_f64 v[148:149], v[148:149], v[150:151]
	s_waitcnt lgkmcnt(0)
	v_xor_b32_e32 v151, 0x80000000, v145
	v_xor_b32_e32 v153, 0x80000000, v147
	v_cmp_gt_f64_e32 vcc, 0, v[146:147]
	v_cmp_gt_f64_e64 s[0:1], 0, v[144:145]
	v_mov_b32_e32 v150, v144
	v_mov_b32_e32 v152, v146
	v_cndmask_b32_e64 v151, v145, v151, s[0:1]
	v_cndmask_b32_e32 v153, v147, v153, vcc
	v_add_f64 v[150:151], v[150:151], v[152:153]
	v_mov_b32_e32 v154, s16
	s_add_i32 s16, s16, 1
	v_cmp_lt_f64_e32 vcc, v[148:149], v[150:151]
	v_add_u32_e32 v139, 16, v139
	s_cmp_lg_u32 s20, s16
	v_cndmask_b32_e32 v129, v129, v145, vcc
	v_cndmask_b32_e32 v128, v128, v144, vcc
	;; [unrolled: 1-line block ×5, first 2 shown]
	s_cbranch_scc1 .LBB62_589
.LBB62_590:
	s_waitcnt lgkmcnt(0)
	v_cmp_eq_f64_e32 vcc, 0, v[128:129]
	v_cmp_eq_f64_e64 s[0:1], 0, v[130:131]
	s_and_b64 s[0:1], vcc, s[0:1]
	s_and_saveexec_b64 s[16:17], s[0:1]
	s_xor_b64 s[0:1], exec, s[16:17]
; %bb.591:
	v_cmp_ne_u32_e32 vcc, 0, v142
	s_nop 1
	v_cndmask_b32_e32 v142, 29, v142, vcc
; %bb.592:
	s_andn2_saveexec_b64 s[0:1], s[0:1]
	s_cbranch_execz .LBB62_598
; %bb.593:
	v_cmp_ngt_f64_e64 s[16:17], |v[128:129]|, |v[130:131]|
	s_and_saveexec_b64 s[18:19], s[16:17]
	s_xor_b64 s[16:17], exec, s[18:19]
	s_cbranch_execz .LBB62_595
; %bb.594:
	v_div_scale_f64 v[144:145], s[18:19], v[130:131], v[130:131], v[128:129]
	v_rcp_f64_e32 v[146:147], v[144:145]
	v_div_scale_f64 v[148:149], vcc, v[128:129], v[130:131], v[128:129]
	v_fma_f64 v[150:151], -v[144:145], v[146:147], 1.0
	v_fmac_f64_e32 v[146:147], v[146:147], v[150:151]
	v_fma_f64 v[150:151], -v[144:145], v[146:147], 1.0
	v_fmac_f64_e32 v[146:147], v[146:147], v[150:151]
	v_mul_f64 v[150:151], v[148:149], v[146:147]
	v_fma_f64 v[144:145], -v[144:145], v[150:151], v[148:149]
	v_div_fmas_f64 v[144:145], v[144:145], v[146:147], v[150:151]
	v_div_fixup_f64 v[144:145], v[144:145], v[130:131], v[128:129]
	v_fmac_f64_e32 v[130:131], v[128:129], v[144:145]
	v_div_scale_f64 v[128:129], s[18:19], v[130:131], v[130:131], 1.0
	v_rcp_f64_e32 v[146:147], v[128:129]
	s_nop 0
	v_fma_f64 v[148:149], -v[128:129], v[146:147], 1.0
	v_fmac_f64_e32 v[146:147], v[146:147], v[148:149]
	v_fma_f64 v[148:149], -v[128:129], v[146:147], 1.0
	v_fmac_f64_e32 v[146:147], v[146:147], v[148:149]
	v_div_scale_f64 v[148:149], vcc, 1.0, v[130:131], 1.0
	v_mul_f64 v[150:151], v[148:149], v[146:147]
	v_fma_f64 v[128:129], -v[128:129], v[150:151], v[148:149]
	s_nop 1
	v_div_fmas_f64 v[128:129], v[128:129], v[146:147], v[150:151]
	v_div_fixup_f64 v[130:131], v[128:129], v[130:131], 1.0
	v_mul_f64 v[128:129], v[144:145], v[130:131]
	v_xor_b32_e32 v131, 0x80000000, v131
.LBB62_595:
	s_andn2_saveexec_b64 s[16:17], s[16:17]
	s_cbranch_execz .LBB62_597
; %bb.596:
	v_div_scale_f64 v[144:145], s[18:19], v[128:129], v[128:129], v[130:131]
	v_rcp_f64_e32 v[146:147], v[144:145]
	v_div_scale_f64 v[148:149], vcc, v[130:131], v[128:129], v[130:131]
	v_fma_f64 v[150:151], -v[144:145], v[146:147], 1.0
	v_fmac_f64_e32 v[146:147], v[146:147], v[150:151]
	v_fma_f64 v[150:151], -v[144:145], v[146:147], 1.0
	v_fmac_f64_e32 v[146:147], v[146:147], v[150:151]
	v_mul_f64 v[150:151], v[148:149], v[146:147]
	v_fma_f64 v[144:145], -v[144:145], v[150:151], v[148:149]
	v_div_fmas_f64 v[144:145], v[144:145], v[146:147], v[150:151]
	v_div_fixup_f64 v[144:145], v[144:145], v[128:129], v[130:131]
	v_fmac_f64_e32 v[128:129], v[130:131], v[144:145]
	v_div_scale_f64 v[130:131], s[18:19], v[128:129], v[128:129], 1.0
	v_rcp_f64_e32 v[146:147], v[130:131]
	s_nop 0
	v_fma_f64 v[148:149], -v[130:131], v[146:147], 1.0
	v_fmac_f64_e32 v[146:147], v[146:147], v[148:149]
	v_fma_f64 v[148:149], -v[130:131], v[146:147], 1.0
	v_fmac_f64_e32 v[146:147], v[146:147], v[148:149]
	v_div_scale_f64 v[148:149], vcc, 1.0, v[128:129], 1.0
	v_mul_f64 v[150:151], v[148:149], v[146:147]
	v_fma_f64 v[130:131], -v[130:131], v[150:151], v[148:149]
	s_nop 1
	v_div_fmas_f64 v[130:131], v[130:131], v[146:147], v[150:151]
	v_div_fixup_f64 v[128:129], v[130:131], v[128:129], 1.0
	v_mul_f64 v[130:131], v[144:145], -v[128:129]
.LBB62_597:
	s_or_b64 exec, exec, s[16:17]
.LBB62_598:
	s_or_b64 exec, exec, s[0:1]
	v_cmp_ne_u32_e32 vcc, v141, v138
	s_and_saveexec_b64 s[0:1], vcc
	s_xor_b64 s[0:1], exec, s[0:1]
	s_cbranch_execz .LBB62_604
; %bb.599:
	v_cmp_eq_u32_e32 vcc, 28, v141
	s_and_saveexec_b64 s[16:17], vcc
	s_cbranch_execz .LBB62_603
; %bb.600:
	v_cmp_ne_u32_e32 vcc, 28, v138
	s_xor_b64 s[18:19], s[14:15], -1
	s_and_b64 s[22:23], s[18:19], vcc
	s_and_saveexec_b64 s[18:19], s[22:23]
	s_cbranch_execz .LBB62_602
; %bb.601:
	v_ashrrev_i32_e32 v139, 31, v138
	v_lshl_add_u64 v[144:145], v[138:139], 2, v[136:137]
	global_load_dword v139, v[144:145], off
	global_load_dword v141, v[136:137], off offset:112
	s_waitcnt vmcnt(1)
	global_store_dword v[136:137], v139, off offset:112
	s_waitcnt vmcnt(1)
	global_store_dword v[144:145], v141, off
.LBB62_602:
	s_or_b64 exec, exec, s[18:19]
	v_mov_b32_e32 v141, v138
	v_mov_b32_e32 v143, v138
.LBB62_603:
	s_or_b64 exec, exec, s[16:17]
.LBB62_604:
	s_andn2_saveexec_b64 s[0:1], s[0:1]
	s_cbranch_execz .LBB62_606
; %bb.605:
	v_mov_b32_e32 v141, 28
	s_waitcnt vmcnt(2)
	ds_write2_b64 v140, v[4:5], v[6:7] offset0:58 offset1:59
	s_waitcnt vmcnt(1)
	ds_write2_b64 v140, v[0:1], v[2:3] offset0:60 offset1:61
	;; [unrolled: 2-line block ×3, first 2 shown]
.LBB62_606:
	s_or_b64 exec, exec, s[0:1]
	v_cmp_lt_i32_e32 vcc, 28, v141
	s_waitcnt lgkmcnt(0)
	s_barrier
	s_and_saveexec_b64 s[0:1], vcc
	s_cbranch_execz .LBB62_608
; %bb.607:
	ds_read2_b64 v[144:147], v140 offset0:58 offset1:59
	v_mul_f64 v[138:139], v[128:129], v[10:11]
	v_fmac_f64_e32 v[138:139], v[130:131], v[8:9]
	v_mul_f64 v[10:11], v[130:131], v[10:11]
	v_fma_f64 v[8:9], v[128:129], v[8:9], -v[10:11]
	ds_read2_b64 v[128:131], v140 offset0:60 offset1:61
	s_waitcnt lgkmcnt(1)
	v_mul_f64 v[10:11], v[146:147], v[138:139]
	v_fma_f64 v[10:11], v[144:145], v[8:9], -v[10:11]
	v_mul_f64 v[144:145], v[144:145], v[138:139]
	v_fmac_f64_e32 v[144:145], v[146:147], v[8:9]
	s_waitcnt vmcnt(2)
	v_add_f64 v[6:7], v[6:7], -v[144:145]
	ds_read2_b64 v[144:147], v140 offset0:62 offset1:63
	v_add_f64 v[4:5], v[4:5], -v[10:11]
	s_waitcnt lgkmcnt(1)
	v_mul_f64 v[10:11], v[130:131], v[138:139]
	v_fma_f64 v[10:11], v[128:129], v[8:9], -v[10:11]
	v_mul_f64 v[128:129], v[128:129], v[138:139]
	v_fmac_f64_e32 v[128:129], v[130:131], v[8:9]
	s_waitcnt vmcnt(1)
	v_add_f64 v[0:1], v[0:1], -v[10:11]
	v_add_f64 v[2:3], v[2:3], -v[128:129]
	s_waitcnt lgkmcnt(0)
	v_mul_f64 v[10:11], v[146:147], v[138:139]
	v_mul_f64 v[128:129], v[144:145], v[138:139]
	v_fma_f64 v[10:11], v[144:145], v[8:9], -v[10:11]
	v_fmac_f64_e32 v[128:129], v[146:147], v[8:9]
	s_waitcnt vmcnt(0)
	v_add_f64 v[124:125], v[124:125], -v[10:11]
	v_add_f64 v[126:127], v[126:127], -v[128:129]
	v_mov_b64_e32 v[10:11], v[138:139]
.LBB62_608:
	s_or_b64 exec, exec, s[0:1]
	v_lshl_add_u32 v128, v141, 4, v140
	s_barrier
	s_waitcnt vmcnt(2)
	ds_write2_b64 v128, v[4:5], v[6:7] offset1:1
	s_waitcnt lgkmcnt(0)
	s_barrier
	ds_read2_b64 v[128:131], v140 offset0:58 offset1:59
	s_cmp_lt_i32 s20, 31
	v_mov_b32_e32 v138, 29
	s_cbranch_scc1 .LBB62_611
; %bb.609:
	v_add_u32_e32 v139, 0x1e0, v140
	s_mov_b32 s16, 30
	v_mov_b32_e32 v138, 29
.LBB62_610:                             ; =>This Inner Loop Header: Depth=1
	ds_read2_b64 v[144:147], v139 offset1:1
	s_waitcnt lgkmcnt(1)
	v_xor_b32_e32 v149, 0x80000000, v129
	v_xor_b32_e32 v151, 0x80000000, v131
	v_cmp_gt_f64_e32 vcc, 0, v[130:131]
	v_cmp_gt_f64_e64 s[0:1], 0, v[128:129]
	v_mov_b32_e32 v148, v128
	v_mov_b32_e32 v150, v130
	v_cndmask_b32_e64 v149, v129, v149, s[0:1]
	v_cndmask_b32_e32 v151, v131, v151, vcc
	v_add_f64 v[148:149], v[148:149], v[150:151]
	s_waitcnt lgkmcnt(0)
	v_xor_b32_e32 v151, 0x80000000, v145
	v_xor_b32_e32 v153, 0x80000000, v147
	v_cmp_gt_f64_e32 vcc, 0, v[146:147]
	v_cmp_gt_f64_e64 s[0:1], 0, v[144:145]
	v_mov_b32_e32 v150, v144
	v_mov_b32_e32 v152, v146
	v_cndmask_b32_e64 v151, v145, v151, s[0:1]
	v_cndmask_b32_e32 v153, v147, v153, vcc
	v_add_f64 v[150:151], v[150:151], v[152:153]
	v_mov_b32_e32 v154, s16
	s_add_i32 s16, s16, 1
	v_cmp_lt_f64_e32 vcc, v[148:149], v[150:151]
	v_add_u32_e32 v139, 16, v139
	s_cmp_lg_u32 s20, s16
	v_cndmask_b32_e32 v129, v129, v145, vcc
	v_cndmask_b32_e32 v128, v128, v144, vcc
	;; [unrolled: 1-line block ×5, first 2 shown]
	s_cbranch_scc1 .LBB62_610
.LBB62_611:
	s_waitcnt lgkmcnt(0)
	v_cmp_eq_f64_e32 vcc, 0, v[128:129]
	v_cmp_eq_f64_e64 s[0:1], 0, v[130:131]
	s_and_b64 s[0:1], vcc, s[0:1]
	s_and_saveexec_b64 s[16:17], s[0:1]
	s_xor_b64 s[0:1], exec, s[16:17]
; %bb.612:
	v_cmp_ne_u32_e32 vcc, 0, v142
	s_nop 1
	v_cndmask_b32_e32 v142, 30, v142, vcc
; %bb.613:
	s_andn2_saveexec_b64 s[0:1], s[0:1]
	s_cbranch_execz .LBB62_619
; %bb.614:
	v_cmp_ngt_f64_e64 s[16:17], |v[128:129]|, |v[130:131]|
	s_and_saveexec_b64 s[18:19], s[16:17]
	s_xor_b64 s[16:17], exec, s[18:19]
	s_cbranch_execz .LBB62_616
; %bb.615:
	v_div_scale_f64 v[144:145], s[18:19], v[130:131], v[130:131], v[128:129]
	v_rcp_f64_e32 v[146:147], v[144:145]
	v_div_scale_f64 v[148:149], vcc, v[128:129], v[130:131], v[128:129]
	v_fma_f64 v[150:151], -v[144:145], v[146:147], 1.0
	v_fmac_f64_e32 v[146:147], v[146:147], v[150:151]
	v_fma_f64 v[150:151], -v[144:145], v[146:147], 1.0
	v_fmac_f64_e32 v[146:147], v[146:147], v[150:151]
	v_mul_f64 v[150:151], v[148:149], v[146:147]
	v_fma_f64 v[144:145], -v[144:145], v[150:151], v[148:149]
	v_div_fmas_f64 v[144:145], v[144:145], v[146:147], v[150:151]
	v_div_fixup_f64 v[144:145], v[144:145], v[130:131], v[128:129]
	v_fmac_f64_e32 v[130:131], v[128:129], v[144:145]
	v_div_scale_f64 v[128:129], s[18:19], v[130:131], v[130:131], 1.0
	v_rcp_f64_e32 v[146:147], v[128:129]
	s_nop 0
	v_fma_f64 v[148:149], -v[128:129], v[146:147], 1.0
	v_fmac_f64_e32 v[146:147], v[146:147], v[148:149]
	v_fma_f64 v[148:149], -v[128:129], v[146:147], 1.0
	v_fmac_f64_e32 v[146:147], v[146:147], v[148:149]
	v_div_scale_f64 v[148:149], vcc, 1.0, v[130:131], 1.0
	v_mul_f64 v[150:151], v[148:149], v[146:147]
	v_fma_f64 v[128:129], -v[128:129], v[150:151], v[148:149]
	s_nop 1
	v_div_fmas_f64 v[128:129], v[128:129], v[146:147], v[150:151]
	v_div_fixup_f64 v[130:131], v[128:129], v[130:131], 1.0
	v_mul_f64 v[128:129], v[144:145], v[130:131]
	v_xor_b32_e32 v131, 0x80000000, v131
.LBB62_616:
	s_andn2_saveexec_b64 s[16:17], s[16:17]
	s_cbranch_execz .LBB62_618
; %bb.617:
	v_div_scale_f64 v[144:145], s[18:19], v[128:129], v[128:129], v[130:131]
	v_rcp_f64_e32 v[146:147], v[144:145]
	v_div_scale_f64 v[148:149], vcc, v[130:131], v[128:129], v[130:131]
	v_fma_f64 v[150:151], -v[144:145], v[146:147], 1.0
	v_fmac_f64_e32 v[146:147], v[146:147], v[150:151]
	v_fma_f64 v[150:151], -v[144:145], v[146:147], 1.0
	v_fmac_f64_e32 v[146:147], v[146:147], v[150:151]
	v_mul_f64 v[150:151], v[148:149], v[146:147]
	v_fma_f64 v[144:145], -v[144:145], v[150:151], v[148:149]
	v_div_fmas_f64 v[144:145], v[144:145], v[146:147], v[150:151]
	v_div_fixup_f64 v[144:145], v[144:145], v[128:129], v[130:131]
	v_fmac_f64_e32 v[128:129], v[130:131], v[144:145]
	v_div_scale_f64 v[130:131], s[18:19], v[128:129], v[128:129], 1.0
	v_rcp_f64_e32 v[146:147], v[130:131]
	s_nop 0
	v_fma_f64 v[148:149], -v[130:131], v[146:147], 1.0
	v_fmac_f64_e32 v[146:147], v[146:147], v[148:149]
	v_fma_f64 v[148:149], -v[130:131], v[146:147], 1.0
	v_fmac_f64_e32 v[146:147], v[146:147], v[148:149]
	v_div_scale_f64 v[148:149], vcc, 1.0, v[128:129], 1.0
	v_mul_f64 v[150:151], v[148:149], v[146:147]
	v_fma_f64 v[130:131], -v[130:131], v[150:151], v[148:149]
	s_nop 1
	v_div_fmas_f64 v[130:131], v[130:131], v[146:147], v[150:151]
	v_div_fixup_f64 v[128:129], v[130:131], v[128:129], 1.0
	v_mul_f64 v[130:131], v[144:145], -v[128:129]
.LBB62_618:
	s_or_b64 exec, exec, s[16:17]
.LBB62_619:
	s_or_b64 exec, exec, s[0:1]
	v_cmp_ne_u32_e32 vcc, v141, v138
	s_and_saveexec_b64 s[0:1], vcc
	s_xor_b64 s[0:1], exec, s[0:1]
	s_cbranch_execz .LBB62_625
; %bb.620:
	v_cmp_eq_u32_e32 vcc, 29, v141
	s_and_saveexec_b64 s[16:17], vcc
	s_cbranch_execz .LBB62_624
; %bb.621:
	v_cmp_ne_u32_e32 vcc, 29, v138
	s_xor_b64 s[18:19], s[14:15], -1
	s_and_b64 s[22:23], s[18:19], vcc
	s_and_saveexec_b64 s[18:19], s[22:23]
	s_cbranch_execz .LBB62_623
; %bb.622:
	v_ashrrev_i32_e32 v139, 31, v138
	v_lshl_add_u64 v[144:145], v[138:139], 2, v[136:137]
	global_load_dword v139, v[144:145], off
	global_load_dword v141, v[136:137], off offset:116
	s_waitcnt vmcnt(1)
	global_store_dword v[136:137], v139, off offset:116
	s_waitcnt vmcnt(1)
	global_store_dword v[144:145], v141, off
.LBB62_623:
	s_or_b64 exec, exec, s[18:19]
	v_mov_b32_e32 v141, v138
	v_mov_b32_e32 v143, v138
.LBB62_624:
	s_or_b64 exec, exec, s[16:17]
.LBB62_625:
	s_andn2_saveexec_b64 s[0:1], s[0:1]
	s_cbranch_execz .LBB62_627
; %bb.626:
	v_mov_b32_e32 v141, 29
	s_waitcnt vmcnt(1)
	ds_write2_b64 v140, v[0:1], v[2:3] offset0:60 offset1:61
	s_waitcnt vmcnt(0)
	ds_write2_b64 v140, v[124:125], v[126:127] offset0:62 offset1:63
.LBB62_627:
	s_or_b64 exec, exec, s[0:1]
	v_cmp_lt_i32_e32 vcc, 29, v141
	s_waitcnt lgkmcnt(0)
	s_barrier
	s_and_saveexec_b64 s[0:1], vcc
	s_cbranch_execz .LBB62_629
; %bb.628:
	ds_read2_b64 v[144:147], v140 offset0:60 offset1:61
	v_mul_f64 v[138:139], v[128:129], v[6:7]
	v_mul_f64 v[6:7], v[130:131], v[6:7]
	v_fmac_f64_e32 v[138:139], v[130:131], v[4:5]
	v_fma_f64 v[4:5], v[128:129], v[4:5], -v[6:7]
	ds_read2_b64 v[128:131], v140 offset0:62 offset1:63
	s_waitcnt lgkmcnt(1)
	v_mul_f64 v[6:7], v[146:147], v[138:139]
	v_fma_f64 v[6:7], v[144:145], v[4:5], -v[6:7]
	s_waitcnt vmcnt(1)
	v_add_f64 v[0:1], v[0:1], -v[6:7]
	v_mul_f64 v[144:145], v[144:145], v[138:139]
	s_waitcnt lgkmcnt(0)
	v_mul_f64 v[6:7], v[130:131], v[138:139]
	v_fma_f64 v[6:7], v[128:129], v[4:5], -v[6:7]
	v_mul_f64 v[128:129], v[128:129], v[138:139]
	v_fmac_f64_e32 v[144:145], v[146:147], v[4:5]
	v_fmac_f64_e32 v[128:129], v[130:131], v[4:5]
	v_add_f64 v[2:3], v[2:3], -v[144:145]
	s_waitcnt vmcnt(0)
	v_add_f64 v[124:125], v[124:125], -v[6:7]
	v_add_f64 v[126:127], v[126:127], -v[128:129]
	v_mov_b64_e32 v[6:7], v[138:139]
.LBB62_629:
	s_or_b64 exec, exec, s[0:1]
	v_lshl_add_u32 v128, v141, 4, v140
	s_barrier
	s_waitcnt vmcnt(1)
	ds_write2_b64 v128, v[0:1], v[2:3] offset1:1
	s_waitcnt lgkmcnt(0)
	s_barrier
	ds_read2_b64 v[128:131], v140 offset0:60 offset1:61
	s_cmp_lt_i32 s20, 32
	v_mov_b32_e32 v138, 30
	s_cbranch_scc1 .LBB62_632
; %bb.630:
	v_add_u32_e32 v139, 0x1f0, v140
	s_mov_b32 s16, 31
	v_mov_b32_e32 v138, 30
.LBB62_631:                             ; =>This Inner Loop Header: Depth=1
	ds_read2_b64 v[144:147], v139 offset1:1
	s_waitcnt lgkmcnt(1)
	v_xor_b32_e32 v149, 0x80000000, v129
	v_xor_b32_e32 v151, 0x80000000, v131
	v_cmp_gt_f64_e32 vcc, 0, v[130:131]
	v_cmp_gt_f64_e64 s[0:1], 0, v[128:129]
	v_mov_b32_e32 v148, v128
	v_mov_b32_e32 v150, v130
	v_cndmask_b32_e64 v149, v129, v149, s[0:1]
	v_cndmask_b32_e32 v151, v131, v151, vcc
	v_add_f64 v[148:149], v[148:149], v[150:151]
	s_waitcnt lgkmcnt(0)
	v_xor_b32_e32 v151, 0x80000000, v145
	v_xor_b32_e32 v153, 0x80000000, v147
	v_cmp_gt_f64_e32 vcc, 0, v[146:147]
	v_cmp_gt_f64_e64 s[0:1], 0, v[144:145]
	v_mov_b32_e32 v150, v144
	v_mov_b32_e32 v152, v146
	v_cndmask_b32_e64 v151, v145, v151, s[0:1]
	v_cndmask_b32_e32 v153, v147, v153, vcc
	v_add_f64 v[150:151], v[150:151], v[152:153]
	v_mov_b32_e32 v154, s16
	s_add_i32 s16, s16, 1
	v_cmp_lt_f64_e32 vcc, v[148:149], v[150:151]
	v_add_u32_e32 v139, 16, v139
	s_cmp_lg_u32 s20, s16
	v_cndmask_b32_e32 v129, v129, v145, vcc
	v_cndmask_b32_e32 v128, v128, v144, vcc
	;; [unrolled: 1-line block ×5, first 2 shown]
	s_cbranch_scc1 .LBB62_631
.LBB62_632:
	s_waitcnt lgkmcnt(0)
	v_cmp_eq_f64_e32 vcc, 0, v[128:129]
	v_cmp_eq_f64_e64 s[0:1], 0, v[130:131]
	s_and_b64 s[0:1], vcc, s[0:1]
	s_and_saveexec_b64 s[16:17], s[0:1]
	s_xor_b64 s[0:1], exec, s[16:17]
; %bb.633:
	v_cmp_ne_u32_e32 vcc, 0, v142
	s_nop 1
	v_cndmask_b32_e32 v142, 31, v142, vcc
; %bb.634:
	s_andn2_saveexec_b64 s[0:1], s[0:1]
	s_cbranch_execz .LBB62_640
; %bb.635:
	v_cmp_ngt_f64_e64 s[16:17], |v[128:129]|, |v[130:131]|
	s_and_saveexec_b64 s[18:19], s[16:17]
	s_xor_b64 s[16:17], exec, s[18:19]
	s_cbranch_execz .LBB62_637
; %bb.636:
	v_div_scale_f64 v[144:145], s[18:19], v[130:131], v[130:131], v[128:129]
	v_rcp_f64_e32 v[146:147], v[144:145]
	v_div_scale_f64 v[148:149], vcc, v[128:129], v[130:131], v[128:129]
	v_fma_f64 v[150:151], -v[144:145], v[146:147], 1.0
	v_fmac_f64_e32 v[146:147], v[146:147], v[150:151]
	v_fma_f64 v[150:151], -v[144:145], v[146:147], 1.0
	v_fmac_f64_e32 v[146:147], v[146:147], v[150:151]
	v_mul_f64 v[150:151], v[148:149], v[146:147]
	v_fma_f64 v[144:145], -v[144:145], v[150:151], v[148:149]
	v_div_fmas_f64 v[144:145], v[144:145], v[146:147], v[150:151]
	v_div_fixup_f64 v[144:145], v[144:145], v[130:131], v[128:129]
	v_fmac_f64_e32 v[130:131], v[128:129], v[144:145]
	v_div_scale_f64 v[128:129], s[18:19], v[130:131], v[130:131], 1.0
	v_rcp_f64_e32 v[146:147], v[128:129]
	s_nop 0
	v_fma_f64 v[148:149], -v[128:129], v[146:147], 1.0
	v_fmac_f64_e32 v[146:147], v[146:147], v[148:149]
	v_fma_f64 v[148:149], -v[128:129], v[146:147], 1.0
	v_fmac_f64_e32 v[146:147], v[146:147], v[148:149]
	v_div_scale_f64 v[148:149], vcc, 1.0, v[130:131], 1.0
	v_mul_f64 v[150:151], v[148:149], v[146:147]
	v_fma_f64 v[128:129], -v[128:129], v[150:151], v[148:149]
	s_nop 1
	v_div_fmas_f64 v[128:129], v[128:129], v[146:147], v[150:151]
	v_div_fixup_f64 v[130:131], v[128:129], v[130:131], 1.0
	v_mul_f64 v[128:129], v[144:145], v[130:131]
	v_xor_b32_e32 v131, 0x80000000, v131
.LBB62_637:
	s_andn2_saveexec_b64 s[16:17], s[16:17]
	s_cbranch_execz .LBB62_639
; %bb.638:
	v_div_scale_f64 v[144:145], s[18:19], v[128:129], v[128:129], v[130:131]
	v_rcp_f64_e32 v[146:147], v[144:145]
	v_div_scale_f64 v[148:149], vcc, v[130:131], v[128:129], v[130:131]
	v_fma_f64 v[150:151], -v[144:145], v[146:147], 1.0
	v_fmac_f64_e32 v[146:147], v[146:147], v[150:151]
	v_fma_f64 v[150:151], -v[144:145], v[146:147], 1.0
	v_fmac_f64_e32 v[146:147], v[146:147], v[150:151]
	v_mul_f64 v[150:151], v[148:149], v[146:147]
	v_fma_f64 v[144:145], -v[144:145], v[150:151], v[148:149]
	v_div_fmas_f64 v[144:145], v[144:145], v[146:147], v[150:151]
	v_div_fixup_f64 v[144:145], v[144:145], v[128:129], v[130:131]
	v_fmac_f64_e32 v[128:129], v[130:131], v[144:145]
	v_div_scale_f64 v[130:131], s[18:19], v[128:129], v[128:129], 1.0
	v_rcp_f64_e32 v[146:147], v[130:131]
	s_nop 0
	v_fma_f64 v[148:149], -v[130:131], v[146:147], 1.0
	v_fmac_f64_e32 v[146:147], v[146:147], v[148:149]
	v_fma_f64 v[148:149], -v[130:131], v[146:147], 1.0
	v_fmac_f64_e32 v[146:147], v[146:147], v[148:149]
	v_div_scale_f64 v[148:149], vcc, 1.0, v[128:129], 1.0
	v_mul_f64 v[150:151], v[148:149], v[146:147]
	v_fma_f64 v[130:131], -v[130:131], v[150:151], v[148:149]
	s_nop 1
	v_div_fmas_f64 v[130:131], v[130:131], v[146:147], v[150:151]
	v_div_fixup_f64 v[128:129], v[130:131], v[128:129], 1.0
	v_mul_f64 v[130:131], v[144:145], -v[128:129]
.LBB62_639:
	s_or_b64 exec, exec, s[16:17]
.LBB62_640:
	s_or_b64 exec, exec, s[0:1]
	v_cmp_ne_u32_e32 vcc, v141, v138
	s_and_saveexec_b64 s[0:1], vcc
	s_xor_b64 s[0:1], exec, s[0:1]
	s_cbranch_execz .LBB62_646
; %bb.641:
	v_cmp_eq_u32_e32 vcc, 30, v141
	s_and_saveexec_b64 s[16:17], vcc
	s_cbranch_execz .LBB62_645
; %bb.642:
	v_cmp_ne_u32_e32 vcc, 30, v138
	s_xor_b64 s[18:19], s[14:15], -1
	s_and_b64 s[22:23], s[18:19], vcc
	s_and_saveexec_b64 s[18:19], s[22:23]
	s_cbranch_execz .LBB62_644
; %bb.643:
	v_ashrrev_i32_e32 v139, 31, v138
	v_lshl_add_u64 v[144:145], v[138:139], 2, v[136:137]
	global_load_dword v139, v[144:145], off
	global_load_dword v141, v[136:137], off offset:120
	s_waitcnt vmcnt(1)
	global_store_dword v[136:137], v139, off offset:120
	s_waitcnt vmcnt(1)
	global_store_dword v[144:145], v141, off
.LBB62_644:
	s_or_b64 exec, exec, s[18:19]
	v_mov_b32_e32 v141, v138
	v_mov_b32_e32 v143, v138
.LBB62_645:
	s_or_b64 exec, exec, s[16:17]
.LBB62_646:
	s_andn2_saveexec_b64 s[0:1], s[0:1]
	s_cbranch_execz .LBB62_648
; %bb.647:
	v_mov_b32_e32 v141, 30
	s_waitcnt vmcnt(0)
	ds_write2_b64 v140, v[124:125], v[126:127] offset0:62 offset1:63
.LBB62_648:
	s_or_b64 exec, exec, s[0:1]
	v_cmp_lt_i32_e32 vcc, 30, v141
	s_waitcnt lgkmcnt(0)
	s_barrier
	s_and_saveexec_b64 s[0:1], vcc
	s_cbranch_execz .LBB62_650
; %bb.649:
	ds_read2_b64 v[144:147], v140 offset0:62 offset1:63
	v_mul_f64 v[138:139], v[128:129], v[2:3]
	v_mul_f64 v[2:3], v[130:131], v[2:3]
	v_fmac_f64_e32 v[138:139], v[130:131], v[0:1]
	v_fma_f64 v[0:1], v[128:129], v[0:1], -v[2:3]
	s_waitcnt lgkmcnt(0)
	v_mul_f64 v[2:3], v[146:147], v[138:139]
	v_mul_f64 v[128:129], v[144:145], v[138:139]
	v_fma_f64 v[2:3], v[144:145], v[0:1], -v[2:3]
	v_fmac_f64_e32 v[128:129], v[146:147], v[0:1]
	s_waitcnt vmcnt(0)
	v_add_f64 v[124:125], v[124:125], -v[2:3]
	v_add_f64 v[126:127], v[126:127], -v[128:129]
	v_mov_b64_e32 v[2:3], v[138:139]
.LBB62_650:
	s_or_b64 exec, exec, s[0:1]
	v_lshl_add_u32 v128, v141, 4, v140
	s_barrier
	s_waitcnt vmcnt(0)
	ds_write2_b64 v128, v[124:125], v[126:127] offset1:1
	s_waitcnt lgkmcnt(0)
	s_barrier
	ds_read2_b64 v[128:131], v140 offset0:62 offset1:63
	s_cmp_lt_i32 s20, 33
	v_mov_b32_e32 v138, 31
	s_cbranch_scc1 .LBB62_653
; %bb.651:
	v_add_u32_e32 v139, 0x200, v140
	s_mov_b32 s16, 32
	v_mov_b32_e32 v138, 31
.LBB62_652:                             ; =>This Inner Loop Header: Depth=1
	ds_read2_b64 v[144:147], v139 offset1:1
	s_waitcnt lgkmcnt(1)
	v_xor_b32_e32 v140, 0x80000000, v129
	v_xor_b32_e32 v151, 0x80000000, v131
	v_cmp_gt_f64_e32 vcc, 0, v[130:131]
	v_cmp_gt_f64_e64 s[0:1], 0, v[128:129]
	v_mov_b32_e32 v148, v128
	v_mov_b32_e32 v150, v130
	v_cndmask_b32_e64 v149, v129, v140, s[0:1]
	v_cndmask_b32_e32 v151, v131, v151, vcc
	s_waitcnt lgkmcnt(0)
	v_xor_b32_e32 v140, 0x80000000, v145
	v_xor_b32_e32 v153, 0x80000000, v147
	v_cmp_gt_f64_e32 vcc, 0, v[146:147]
	v_cmp_gt_f64_e64 s[0:1], 0, v[144:145]
	v_add_f64 v[148:149], v[148:149], v[150:151]
	v_mov_b32_e32 v150, v144
	v_mov_b32_e32 v152, v146
	v_cndmask_b32_e64 v151, v145, v140, s[0:1]
	v_cndmask_b32_e32 v153, v147, v153, vcc
	v_add_f64 v[150:151], v[150:151], v[152:153]
	v_mov_b32_e32 v154, s16
	s_add_i32 s16, s16, 1
	v_cmp_lt_f64_e32 vcc, v[148:149], v[150:151]
	v_add_u32_e32 v139, 16, v139
	s_cmp_lg_u32 s20, s16
	v_cndmask_b32_e32 v129, v129, v145, vcc
	v_cndmask_b32_e32 v128, v128, v144, vcc
	;; [unrolled: 1-line block ×5, first 2 shown]
	s_cbranch_scc1 .LBB62_652
.LBB62_653:
	s_waitcnt lgkmcnt(0)
	v_cmp_eq_f64_e32 vcc, 0, v[128:129]
	v_cmp_eq_f64_e64 s[0:1], 0, v[130:131]
	s_and_b64 s[0:1], vcc, s[0:1]
	s_and_saveexec_b64 s[16:17], s[0:1]
	s_xor_b64 s[0:1], exec, s[16:17]
; %bb.654:
	v_cmp_ne_u32_e32 vcc, 0, v142
	s_nop 1
	v_cndmask_b32_e32 v142, 32, v142, vcc
; %bb.655:
	s_andn2_saveexec_b64 s[0:1], s[0:1]
	s_cbranch_execz .LBB62_661
; %bb.656:
	v_cmp_ngt_f64_e64 s[16:17], |v[128:129]|, |v[130:131]|
	s_and_saveexec_b64 s[18:19], s[16:17]
	s_xor_b64 s[16:17], exec, s[18:19]
	s_cbranch_execz .LBB62_658
; %bb.657:
	v_div_scale_f64 v[144:145], s[18:19], v[130:131], v[130:131], v[128:129]
	v_rcp_f64_e32 v[146:147], v[144:145]
	v_div_scale_f64 v[148:149], vcc, v[128:129], v[130:131], v[128:129]
	v_fma_f64 v[150:151], -v[144:145], v[146:147], 1.0
	v_fmac_f64_e32 v[146:147], v[146:147], v[150:151]
	v_fma_f64 v[150:151], -v[144:145], v[146:147], 1.0
	v_fmac_f64_e32 v[146:147], v[146:147], v[150:151]
	v_mul_f64 v[150:151], v[148:149], v[146:147]
	v_fma_f64 v[144:145], -v[144:145], v[150:151], v[148:149]
	v_div_fmas_f64 v[144:145], v[144:145], v[146:147], v[150:151]
	v_div_fixup_f64 v[144:145], v[144:145], v[130:131], v[128:129]
	v_fmac_f64_e32 v[130:131], v[128:129], v[144:145]
	v_div_scale_f64 v[128:129], s[18:19], v[130:131], v[130:131], 1.0
	v_rcp_f64_e32 v[146:147], v[128:129]
	s_nop 0
	v_fma_f64 v[148:149], -v[128:129], v[146:147], 1.0
	v_fmac_f64_e32 v[146:147], v[146:147], v[148:149]
	v_fma_f64 v[148:149], -v[128:129], v[146:147], 1.0
	v_fmac_f64_e32 v[146:147], v[146:147], v[148:149]
	v_div_scale_f64 v[148:149], vcc, 1.0, v[130:131], 1.0
	v_mul_f64 v[150:151], v[148:149], v[146:147]
	v_fma_f64 v[128:129], -v[128:129], v[150:151], v[148:149]
	s_nop 1
	v_div_fmas_f64 v[128:129], v[128:129], v[146:147], v[150:151]
	v_div_fixup_f64 v[130:131], v[128:129], v[130:131], 1.0
	v_mul_f64 v[128:129], v[144:145], v[130:131]
	v_xor_b32_e32 v131, 0x80000000, v131
.LBB62_658:
	s_andn2_saveexec_b64 s[16:17], s[16:17]
	s_cbranch_execz .LBB62_660
; %bb.659:
	v_div_scale_f64 v[144:145], s[18:19], v[128:129], v[128:129], v[130:131]
	v_rcp_f64_e32 v[146:147], v[144:145]
	v_div_scale_f64 v[148:149], vcc, v[130:131], v[128:129], v[130:131]
	v_fma_f64 v[150:151], -v[144:145], v[146:147], 1.0
	v_fmac_f64_e32 v[146:147], v[146:147], v[150:151]
	v_fma_f64 v[150:151], -v[144:145], v[146:147], 1.0
	v_fmac_f64_e32 v[146:147], v[146:147], v[150:151]
	v_mul_f64 v[150:151], v[148:149], v[146:147]
	v_fma_f64 v[144:145], -v[144:145], v[150:151], v[148:149]
	v_div_fmas_f64 v[144:145], v[144:145], v[146:147], v[150:151]
	v_div_fixup_f64 v[144:145], v[144:145], v[128:129], v[130:131]
	v_fmac_f64_e32 v[128:129], v[130:131], v[144:145]
	v_div_scale_f64 v[130:131], s[18:19], v[128:129], v[128:129], 1.0
	v_rcp_f64_e32 v[146:147], v[130:131]
	s_nop 0
	v_fma_f64 v[148:149], -v[130:131], v[146:147], 1.0
	v_fmac_f64_e32 v[146:147], v[146:147], v[148:149]
	v_fma_f64 v[148:149], -v[130:131], v[146:147], 1.0
	v_fmac_f64_e32 v[146:147], v[146:147], v[148:149]
	v_div_scale_f64 v[148:149], vcc, 1.0, v[128:129], 1.0
	v_mul_f64 v[150:151], v[148:149], v[146:147]
	v_fma_f64 v[130:131], -v[130:131], v[150:151], v[148:149]
	s_nop 1
	v_div_fmas_f64 v[130:131], v[130:131], v[146:147], v[150:151]
	v_div_fixup_f64 v[128:129], v[130:131], v[128:129], 1.0
	v_mul_f64 v[130:131], v[144:145], -v[128:129]
.LBB62_660:
	s_or_b64 exec, exec, s[16:17]
.LBB62_661:
	s_or_b64 exec, exec, s[0:1]
	v_cmp_ne_u32_e32 vcc, v141, v138
	v_mov_b32_e32 v140, 31
	s_and_saveexec_b64 s[0:1], vcc
	s_cbranch_execz .LBB62_667
; %bb.662:
	v_cmp_eq_u32_e32 vcc, 31, v141
	s_and_saveexec_b64 s[16:17], vcc
	s_cbranch_execz .LBB62_666
; %bb.663:
	v_cmp_ne_u32_e32 vcc, 31, v138
	s_xor_b64 s[14:15], s[14:15], -1
	s_and_b64 s[18:19], s[14:15], vcc
	s_and_saveexec_b64 s[14:15], s[18:19]
	s_cbranch_execz .LBB62_665
; %bb.664:
	v_ashrrev_i32_e32 v139, 31, v138
	v_lshl_add_u64 v[140:141], v[138:139], 2, v[136:137]
	global_load_dword v139, v[140:141], off
	global_load_dword v143, v[136:137], off offset:124
	s_waitcnt vmcnt(1)
	global_store_dword v[136:137], v139, off offset:124
	s_waitcnt vmcnt(1)
	global_store_dword v[140:141], v143, off
.LBB62_665:
	s_or_b64 exec, exec, s[14:15]
	v_mov_b32_e32 v141, v138
	v_mov_b32_e32 v143, v138
.LBB62_666:
	s_or_b64 exec, exec, s[16:17]
	v_mov_b32_e32 v140, v141
.LBB62_667:
	s_or_b64 exec, exec, s[0:1]
	v_cmp_gt_i32_e32 vcc, 32, v140
	v_ashrrev_i32_e32 v141, 31, v140
	s_barrier
	s_barrier
	s_and_saveexec_b64 s[0:1], vcc
	s_cbranch_execz .LBB62_669
; %bb.668:
	v_mov_b32_e32 v136, s6
	v_mov_b32_e32 v137, s7
	v_mul_lo_u32 v144, s11, v134
	v_mul_lo_u32 v145, s10, v135
	v_mad_u64_u32 v[138:139], s[6:7], s10, v134, 0
	v_add3_u32 v139, v139, v145, v144
	v_lshl_add_u64 v[136:137], v[138:139], 2, v[136:137]
	v_lshl_add_u64 v[136:137], s[8:9], 2, v[136:137]
	;; [unrolled: 1-line block ×3, first 2 shown]
	v_add3_u32 v138, v143, s13, 1
	global_store_dword v[136:137], v138, off
.LBB62_669:
	s_or_b64 exec, exec, s[0:1]
	v_cmp_eq_u32_e32 vcc, 0, v140
	s_and_saveexec_b64 s[6:7], vcc
	s_cbranch_execz .LBB62_672
; %bb.670:
	v_mov_b32_e32 v136, s4
	v_mov_b32_e32 v137, s5
	v_lshl_add_u64 v[134:135], v[134:135], 2, v[136:137]
	global_load_dword v136, v[134:135], off
	v_cmp_ne_u32_e64 s[0:1], 0, v142
	s_waitcnt vmcnt(0)
	v_cmp_eq_u32_e32 vcc, 0, v136
	s_and_b64 s[0:1], vcc, s[0:1]
	s_and_b64 exec, exec, s[0:1]
	s_cbranch_execz .LBB62_672
; %bb.671:
	v_add_u32_e32 v136, s13, v142
	global_store_dword v[134:135], v136, off
.LBB62_672:
	s_or_b64 exec, exec, s[6:7]
	v_mul_f64 v[134:135], v[130:131], v[126:127]
	v_fma_f64 v[134:135], v[128:129], v[124:125], -v[134:135]
	v_mul_f64 v[128:129], v[128:129], v[126:127]
	v_fmac_f64_e32 v[128:129], v[130:131], v[124:125]
	v_cmp_lt_i32_e32 vcc, 31, v140
	s_nop 1
	v_cndmask_b32_e32 v127, v127, v129, vcc
	v_cndmask_b32_e32 v126, v126, v128, vcc
	v_lshl_add_u64 v[128:129], v[140:141], 4, v[132:133]
	global_store_dwordx4 v[128:129], v[88:91], off
	v_cndmask_b32_e32 v125, v125, v135, vcc
	v_cndmask_b32_e32 v124, v124, v134, vcc
	v_lshl_add_u64 v[88:89], s[2:3], 4, v[128:129]
	global_store_dwordx4 v[88:89], v[80:83], off
	s_nop 1
	v_add_u32_e32 v80, s12, v140
	v_ashrrev_i32_e32 v81, 31, v80
	v_lshl_add_u64 v[82:83], v[80:81], 4, v[132:133]
	v_add_u32_e32 v80, s2, v80
	v_ashrrev_i32_e32 v81, 31, v80
	global_store_dwordx4 v[82:83], v[120:123], off
	v_lshl_add_u64 v[82:83], v[80:81], 4, v[132:133]
	v_add_u32_e32 v80, s2, v80
	v_ashrrev_i32_e32 v81, 31, v80
	global_store_dwordx4 v[82:83], v[116:119], off
	;; [unrolled: 4-line block ×9, first 2 shown]
	v_lshl_add_u64 v[82:83], v[80:81], 4, v[132:133]
	global_store_dwordx4 v[82:83], v[76:79], off
	s_nop 1
	v_add_u32_e32 v76, s2, v80
	v_ashrrev_i32_e32 v77, 31, v76
	v_lshl_add_u64 v[78:79], v[76:77], 4, v[132:133]
	global_store_dwordx4 v[78:79], v[72:75], off
	s_nop 1
	v_add_u32_e32 v72, s2, v76
	v_ashrrev_i32_e32 v73, 31, v72
	;; [unrolled: 5-line block ×3, first 2 shown]
	v_lshl_add_u64 v[66:67], v[64:65], 4, v[132:133]
	v_add_u32_e32 v64, s2, v64
	v_ashrrev_i32_e32 v65, 31, v64
	global_store_dwordx4 v[66:67], v[68:71], off
	v_lshl_add_u64 v[66:67], v[64:65], 4, v[132:133]
	global_store_dwordx4 v[66:67], v[60:63], off
	s_nop 1
	v_add_u32_e32 v60, s2, v64
	v_ashrrev_i32_e32 v61, 31, v60
	v_lshl_add_u64 v[62:63], v[60:61], 4, v[132:133]
	global_store_dwordx4 v[62:63], v[56:59], off
	s_nop 1
	v_add_u32_e32 v56, s2, v60
	v_ashrrev_i32_e32 v57, 31, v56
	;; [unrolled: 5-line block ×16, first 2 shown]
	v_lshl_add_u64 v[0:1], v[0:1], 4, v[132:133]
	global_store_dwordx4 v[0:1], v[124:127], off
.LBB62_673:
	s_endpgm
	.section	.rodata,"a",@progbits
	.p2align	6, 0x0
	.amdhsa_kernel _ZN9rocsolver6v33100L18getf2_small_kernelILi32E19rocblas_complex_numIdEiiPS3_EEvT1_T3_lS5_lPS5_llPT2_S5_S5_S7_l
		.amdhsa_group_segment_fixed_size 0
		.amdhsa_private_segment_fixed_size 0
		.amdhsa_kernarg_size 352
		.amdhsa_user_sgpr_count 2
		.amdhsa_user_sgpr_dispatch_ptr 0
		.amdhsa_user_sgpr_queue_ptr 0
		.amdhsa_user_sgpr_kernarg_segment_ptr 1
		.amdhsa_user_sgpr_dispatch_id 0
		.amdhsa_user_sgpr_kernarg_preload_length 0
		.amdhsa_user_sgpr_kernarg_preload_offset 0
		.amdhsa_user_sgpr_private_segment_size 0
		.amdhsa_uses_dynamic_stack 0
		.amdhsa_enable_private_segment 0
		.amdhsa_system_sgpr_workgroup_id_x 1
		.amdhsa_system_sgpr_workgroup_id_y 1
		.amdhsa_system_sgpr_workgroup_id_z 0
		.amdhsa_system_sgpr_workgroup_info 0
		.amdhsa_system_vgpr_workitem_id 1
		.amdhsa_next_free_vgpr 160
		.amdhsa_next_free_sgpr 24
		.amdhsa_accum_offset 160
		.amdhsa_reserve_vcc 1
		.amdhsa_float_round_mode_32 0
		.amdhsa_float_round_mode_16_64 0
		.amdhsa_float_denorm_mode_32 3
		.amdhsa_float_denorm_mode_16_64 3
		.amdhsa_dx10_clamp 1
		.amdhsa_ieee_mode 1
		.amdhsa_fp16_overflow 0
		.amdhsa_tg_split 0
		.amdhsa_exception_fp_ieee_invalid_op 0
		.amdhsa_exception_fp_denorm_src 0
		.amdhsa_exception_fp_ieee_div_zero 0
		.amdhsa_exception_fp_ieee_overflow 0
		.amdhsa_exception_fp_ieee_underflow 0
		.amdhsa_exception_fp_ieee_inexact 0
		.amdhsa_exception_int_div_zero 0
	.end_amdhsa_kernel
	.section	.text._ZN9rocsolver6v33100L18getf2_small_kernelILi32E19rocblas_complex_numIdEiiPS3_EEvT1_T3_lS5_lPS5_llPT2_S5_S5_S7_l,"axG",@progbits,_ZN9rocsolver6v33100L18getf2_small_kernelILi32E19rocblas_complex_numIdEiiPS3_EEvT1_T3_lS5_lPS5_llPT2_S5_S5_S7_l,comdat
.Lfunc_end62:
	.size	_ZN9rocsolver6v33100L18getf2_small_kernelILi32E19rocblas_complex_numIdEiiPS3_EEvT1_T3_lS5_lPS5_llPT2_S5_S5_S7_l, .Lfunc_end62-_ZN9rocsolver6v33100L18getf2_small_kernelILi32E19rocblas_complex_numIdEiiPS3_EEvT1_T3_lS5_lPS5_llPT2_S5_S5_S7_l
                                        ; -- End function
	.set _ZN9rocsolver6v33100L18getf2_small_kernelILi32E19rocblas_complex_numIdEiiPS3_EEvT1_T3_lS5_lPS5_llPT2_S5_S5_S7_l.num_vgpr, 160
	.set _ZN9rocsolver6v33100L18getf2_small_kernelILi32E19rocblas_complex_numIdEiiPS3_EEvT1_T3_lS5_lPS5_llPT2_S5_S5_S7_l.num_agpr, 0
	.set _ZN9rocsolver6v33100L18getf2_small_kernelILi32E19rocblas_complex_numIdEiiPS3_EEvT1_T3_lS5_lPS5_llPT2_S5_S5_S7_l.numbered_sgpr, 24
	.set _ZN9rocsolver6v33100L18getf2_small_kernelILi32E19rocblas_complex_numIdEiiPS3_EEvT1_T3_lS5_lPS5_llPT2_S5_S5_S7_l.num_named_barrier, 0
	.set _ZN9rocsolver6v33100L18getf2_small_kernelILi32E19rocblas_complex_numIdEiiPS3_EEvT1_T3_lS5_lPS5_llPT2_S5_S5_S7_l.private_seg_size, 0
	.set _ZN9rocsolver6v33100L18getf2_small_kernelILi32E19rocblas_complex_numIdEiiPS3_EEvT1_T3_lS5_lPS5_llPT2_S5_S5_S7_l.uses_vcc, 1
	.set _ZN9rocsolver6v33100L18getf2_small_kernelILi32E19rocblas_complex_numIdEiiPS3_EEvT1_T3_lS5_lPS5_llPT2_S5_S5_S7_l.uses_flat_scratch, 0
	.set _ZN9rocsolver6v33100L18getf2_small_kernelILi32E19rocblas_complex_numIdEiiPS3_EEvT1_T3_lS5_lPS5_llPT2_S5_S5_S7_l.has_dyn_sized_stack, 0
	.set _ZN9rocsolver6v33100L18getf2_small_kernelILi32E19rocblas_complex_numIdEiiPS3_EEvT1_T3_lS5_lPS5_llPT2_S5_S5_S7_l.has_recursion, 0
	.set _ZN9rocsolver6v33100L18getf2_small_kernelILi32E19rocblas_complex_numIdEiiPS3_EEvT1_T3_lS5_lPS5_llPT2_S5_S5_S7_l.has_indirect_call, 0
	.section	.AMDGPU.csdata,"",@progbits
; Kernel info:
; codeLenInByte = 65380
; TotalNumSgprs: 30
; NumVgprs: 160
; NumAgprs: 0
; TotalNumVgprs: 160
; ScratchSize: 0
; MemoryBound: 0
; FloatMode: 240
; IeeeMode: 1
; LDSByteSize: 0 bytes/workgroup (compile time only)
; SGPRBlocks: 3
; VGPRBlocks: 19
; NumSGPRsForWavesPerEU: 30
; NumVGPRsForWavesPerEU: 160
; AccumOffset: 160
; Occupancy: 3
; WaveLimiterHint : 0
; COMPUTE_PGM_RSRC2:SCRATCH_EN: 0
; COMPUTE_PGM_RSRC2:USER_SGPR: 2
; COMPUTE_PGM_RSRC2:TRAP_HANDLER: 0
; COMPUTE_PGM_RSRC2:TGID_X_EN: 1
; COMPUTE_PGM_RSRC2:TGID_Y_EN: 1
; COMPUTE_PGM_RSRC2:TGID_Z_EN: 0
; COMPUTE_PGM_RSRC2:TIDIG_COMP_CNT: 1
; COMPUTE_PGM_RSRC3_GFX90A:ACCUM_OFFSET: 39
; COMPUTE_PGM_RSRC3_GFX90A:TG_SPLIT: 0
	.section	.text._ZN9rocsolver6v33100L23getf2_npvt_small_kernelILi32E19rocblas_complex_numIdEiiPS3_EEvT1_T3_lS5_lPT2_S5_S5_,"axG",@progbits,_ZN9rocsolver6v33100L23getf2_npvt_small_kernelILi32E19rocblas_complex_numIdEiiPS3_EEvT1_T3_lS5_lPT2_S5_S5_,comdat
	.globl	_ZN9rocsolver6v33100L23getf2_npvt_small_kernelILi32E19rocblas_complex_numIdEiiPS3_EEvT1_T3_lS5_lPT2_S5_S5_ ; -- Begin function _ZN9rocsolver6v33100L23getf2_npvt_small_kernelILi32E19rocblas_complex_numIdEiiPS3_EEvT1_T3_lS5_lPT2_S5_S5_
	.p2align	8
	.type	_ZN9rocsolver6v33100L23getf2_npvt_small_kernelILi32E19rocblas_complex_numIdEiiPS3_EEvT1_T3_lS5_lPT2_S5_S5_,@function
_ZN9rocsolver6v33100L23getf2_npvt_small_kernelILi32E19rocblas_complex_numIdEiiPS3_EEvT1_T3_lS5_lPT2_S5_S5_: ; @_ZN9rocsolver6v33100L23getf2_npvt_small_kernelILi32E19rocblas_complex_numIdEiiPS3_EEvT1_T3_lS5_lPT2_S5_S5_
; %bb.0:
	s_load_dword s2, s[0:1], 0x44
	s_load_dwordx2 s[8:9], s[0:1], 0x30
	v_bfe_u32 v121, v0, 10, 10
	s_waitcnt lgkmcnt(0)
	s_lshr_b32 s10, s2, 16
	s_mul_i32 s3, s3, s10
	v_add_u32_e32 v2, s3, v121
	v_cmp_gt_i32_e32 vcc, s8, v2
	s_and_saveexec_b64 s[2:3], vcc
	s_cbranch_execz .LBB63_291
; %bb.1:
	s_load_dwordx4 s[12:15], s[0:1], 0x8
	s_load_dword s2, s[0:1], 0x18
	s_load_dwordx4 s[4:7], s[0:1], 0x20
	v_ashrrev_i32_e32 v3, 31, v2
	scratch_store_dwordx2 off, v[2:3], off offset:336 ; 8-byte Folded Spill
	v_and_b32_e32 v120, 0x3ff, v0
	s_waitcnt lgkmcnt(0)
	v_mov_b32_e32 v0, s12
	v_mul_lo_u32 v4, s5, v2
	v_mul_lo_u32 v5, s4, v3
	v_mad_u64_u32 v[2:3], s[0:1], s4, v2, 0
	v_mov_b32_e32 v1, s13
	v_add3_u32 v3, v3, v5, v4
	v_lshl_add_u64 v[0:1], v[2:3], 4, v[0:1]
	v_lshl_add_u64 v[0:1], s[14:15], 4, v[0:1]
	v_lshlrev_b32_e32 v2, 4, v120
	v_mov_b32_e32 v3, 0
	s_add_i32 s0, s2, s2
	v_lshl_add_u64 v[4:5], v[0:1], 0, v[2:3]
	v_add_u32_e32 v2, s0, v120
	v_ashrrev_i32_e32 v3, 31, v2
	v_lshl_add_u64 v[6:7], v[2:3], 4, v[0:1]
	v_add_u32_e32 v2, s2, v2
	v_ashrrev_i32_e32 v3, 31, v2
	;; [unrolled: 3-line block ×30, first 2 shown]
	s_ashr_i32 s3, s2, 31
	v_lshl_add_u64 v[142:143], v[2:3], 4, v[0:1]
	v_lshl_add_u64 v[0:1], s[2:3], 4, v[4:5]
	scratch_store_dwordx2 off, v[4:5], off offset:64 ; 8-byte Folded Spill
	global_load_dwordx4 v[2:5], v[4:5], off
	s_lshl_b32 s0, s10, 9
	s_add_i32 s0, s0, 0
	v_cmp_ne_u32_e64 s[2:3], 0, v120
	s_waitcnt vmcnt(0)
	scratch_store_dwordx4 off, v[2:5], off offset:48 ; 16-byte Folded Spill
	scratch_store_dwordx2 off, v[0:1], off offset:312 ; 8-byte Folded Spill
	global_load_dwordx4 v[0:3], v[0:1], off
	s_waitcnt vmcnt(0)
	scratch_store_dwordx4 off, v[0:3], off offset:32 ; 16-byte Folded Spill
	scratch_store_dwordx2 off, v[6:7], off offset:72 ; 8-byte Folded Spill
	global_load_dwordx4 v[0:3], v[10:11], off
	s_nop 0
	global_load_dwordx4 v[112:115], v[6:7], off
	global_load_dwordx4 v[108:111], v[8:9], off
	s_nop 0
	scratch_store_dwordx2 off, v[8:9], off offset:80 ; 8-byte Folded Spill
	scratch_store_dwordx2 off, v[10:11], off offset:88 ; 8-byte Folded Spill
	s_waitcnt vmcnt(4)
	scratch_store_dwordx4 off, v[0:3], off offset:16 ; 16-byte Folded Spill
	scratch_store_dwordx2 off, v[12:13], off offset:96 ; 8-byte Folded Spill
	global_load_dwordx4 v[0:3], v[12:13], off
	s_waitcnt vmcnt(0)
	scratch_store_dwordx4 off, v[0:3], off  ; 16-byte Folded Spill
	scratch_store_dwordx2 off, v[14:15], off offset:104 ; 8-byte Folded Spill
	global_load_dwordx4 v[96:99], v[14:15], off
	global_load_dwordx4 v[92:95], v[16:17], off
	;; [unrolled: 1-line block ×18, first 2 shown]
	s_nop 0
	scratch_store_dwordx2 off, v[16:17], off offset:112 ; 8-byte Folded Spill
	scratch_store_dwordx2 off, v[18:19], off offset:120 ; 8-byte Folded Spill
	;; [unrolled: 1-line block ×14, first 2 shown]
	global_load_dwordx4 v[40:43], v[42:43], off
	s_nop 0
	global_load_dwordx4 v[36:39], v[122:123], off
	global_load_dwordx4 v[32:35], v[124:125], off
	;; [unrolled: 1-line block ×6, first 2 shown]
	s_nop 0
	scratch_store_dwordx2 off, v[124:125], off offset:232 ; 8-byte Folded Spill
	scratch_store_dwordx2 off, v[126:127], off offset:240 ; 8-byte Folded Spill
	global_load_dwordx4 v[124:127], v[142:143], off
	s_nop 0
	scratch_store_dwordx2 off, v[122:123], off offset:224 ; 8-byte Folded Spill
	v_lshl_add_u32 v122, v121, 9, 0
	v_lshl_add_u32 v121, v121, 4, s0
	v_cmp_eq_u32_e64 s[0:1], 0, v120
	scratch_store_dwordx2 off, v[128:129], off offset:248 ; 8-byte Folded Spill
	scratch_store_dwordx2 off, v[130:131], off offset:256 ; 8-byte Folded Spill
	scratch_store_dwordx2 off, v[132:133], off offset:264 ; 8-byte Folded Spill
	scratch_store_dwordx2 off, v[134:135], off offset:272 ; 8-byte Folded Spill
	scratch_store_dwordx2 off, v[136:137], off offset:280 ; 8-byte Folded Spill
	scratch_store_dwordx2 off, v[138:139], off offset:288 ; 8-byte Folded Spill
	scratch_store_dwordx2 off, v[140:141], off offset:296 ; 8-byte Folded Spill
	scratch_store_dwordx2 off, v[142:143], off offset:304 ; 8-byte Folded Spill
	s_and_saveexec_b64 s[10:11], s[0:1]
	s_cbranch_execz .LBB63_8
; %bb.2:
	scratch_load_dwordx4 v[128:131], off, off offset:48 ; 16-byte Folded Reload
	scratch_load_dwordx4 v[116:119], off, off offset:32 ; 16-byte Folded Reload
	s_waitcnt vmcnt(1)
	ds_write2_b64 v121, v[128:129], v[130:131] offset1:1
	s_waitcnt vmcnt(0)
	ds_write2_b64 v122, v[116:117], v[118:119] offset0:2 offset1:3
	ds_write2_b64 v122, v[112:113], v[114:115] offset0:4 offset1:5
	;; [unrolled: 1-line block ×3, first 2 shown]
	scratch_load_dwordx4 v[100:103], off, off offset:16 ; 16-byte Folded Reload
	s_waitcnt vmcnt(0)
	ds_write2_b64 v122, v[100:101], v[102:103] offset0:8 offset1:9
	scratch_load_dwordx4 v[100:103], off, off ; 16-byte Folded Reload
	s_waitcnt vmcnt(0)
	ds_write2_b64 v122, v[100:101], v[102:103] offset0:10 offset1:11
	ds_write2_b64 v122, v[96:97], v[98:99] offset0:12 offset1:13
	ds_write2_b64 v122, v[92:93], v[94:95] offset0:14 offset1:15
	ds_write2_b64 v122, v[88:89], v[90:91] offset0:16 offset1:17
	ds_write2_b64 v122, v[84:85], v[86:87] offset0:18 offset1:19
	ds_write2_b64 v122, v[80:81], v[82:83] offset0:20 offset1:21
	ds_write2_b64 v122, v[76:77], v[78:79] offset0:22 offset1:23
	ds_write2_b64 v122, v[72:73], v[74:75] offset0:24 offset1:25
	ds_write2_b64 v122, v[68:69], v[70:71] offset0:26 offset1:27
	ds_write2_b64 v122, v[64:65], v[66:67] offset0:28 offset1:29
	ds_write2_b64 v122, v[60:61], v[62:63] offset0:30 offset1:31
	ds_write2_b64 v122, v[56:57], v[58:59] offset0:32 offset1:33
	ds_write2_b64 v122, v[52:53], v[54:55] offset0:34 offset1:35
	ds_write2_b64 v122, v[48:49], v[50:51] offset0:36 offset1:37
	ds_write2_b64 v122, v[44:45], v[46:47] offset0:38 offset1:39
	ds_write2_b64 v122, v[40:41], v[42:43] offset0:40 offset1:41
	ds_write2_b64 v122, v[36:37], v[38:39] offset0:42 offset1:43
	ds_write2_b64 v122, v[32:33], v[34:35] offset0:44 offset1:45
	ds_write2_b64 v122, v[28:29], v[30:31] offset0:46 offset1:47
	ds_write2_b64 v122, v[24:25], v[26:27] offset0:48 offset1:49
	ds_write2_b64 v122, v[20:21], v[22:23] offset0:50 offset1:51
	ds_write2_b64 v122, v[16:17], v[18:19] offset0:52 offset1:53
	ds_write2_b64 v122, v[12:13], v[14:15] offset0:54 offset1:55
	ds_write2_b64 v122, v[8:9], v[10:11] offset0:56 offset1:57
	ds_write2_b64 v122, v[4:5], v[6:7] offset0:58 offset1:59
	ds_write2_b64 v122, v[0:1], v[2:3] offset0:60 offset1:61
	ds_write2_b64 v122, v[124:125], v[126:127] offset0:62 offset1:63
	ds_read2_b64 v[128:131], v121 offset1:1
	s_waitcnt lgkmcnt(0)
	v_cmp_neq_f64_e32 vcc, 0, v[128:129]
	v_cmp_neq_f64_e64 s[4:5], 0, v[130:131]
	s_or_b64 s[4:5], vcc, s[4:5]
	s_and_b64 exec, exec, s[4:5]
	s_cbranch_execz .LBB63_8
; %bb.3:
	v_cmp_ngt_f64_e64 s[4:5], |v[128:129]|, |v[130:131]|
                                        ; implicit-def: $vgpr132_vgpr133
	s_and_saveexec_b64 s[12:13], s[4:5]
	s_xor_b64 s[4:5], exec, s[12:13]
                                        ; implicit-def: $vgpr134_vgpr135
	s_cbranch_execz .LBB63_5
; %bb.4:
	v_div_scale_f64 v[132:133], s[12:13], v[130:131], v[130:131], v[128:129]
	v_rcp_f64_e32 v[134:135], v[132:133]
	v_div_scale_f64 v[136:137], vcc, v[128:129], v[130:131], v[128:129]
	v_fma_f64 v[138:139], -v[132:133], v[134:135], 1.0
	v_fmac_f64_e32 v[134:135], v[134:135], v[138:139]
	v_fma_f64 v[138:139], -v[132:133], v[134:135], 1.0
	v_fmac_f64_e32 v[134:135], v[134:135], v[138:139]
	v_mul_f64 v[138:139], v[136:137], v[134:135]
	v_fma_f64 v[132:133], -v[132:133], v[138:139], v[136:137]
	v_div_fmas_f64 v[132:133], v[132:133], v[134:135], v[138:139]
	v_div_fixup_f64 v[132:133], v[132:133], v[130:131], v[128:129]
	v_fmac_f64_e32 v[130:131], v[128:129], v[132:133]
	v_div_scale_f64 v[128:129], s[12:13], v[130:131], v[130:131], 1.0
	v_rcp_f64_e32 v[134:135], v[128:129]
	s_nop 0
	v_fma_f64 v[136:137], -v[128:129], v[134:135], 1.0
	v_fmac_f64_e32 v[134:135], v[134:135], v[136:137]
	v_fma_f64 v[136:137], -v[128:129], v[134:135], 1.0
	v_fmac_f64_e32 v[134:135], v[134:135], v[136:137]
	v_div_scale_f64 v[136:137], vcc, 1.0, v[130:131], 1.0
	v_mul_f64 v[138:139], v[136:137], v[134:135]
	v_fma_f64 v[128:129], -v[128:129], v[138:139], v[136:137]
	s_nop 1
	v_div_fmas_f64 v[128:129], v[128:129], v[134:135], v[138:139]
	v_div_fixup_f64 v[134:135], v[128:129], v[130:131], 1.0
	v_mul_f64 v[132:133], v[132:133], v[134:135]
	v_xor_b32_e32 v135, 0x80000000, v135
                                        ; implicit-def: $vgpr128_vgpr129
.LBB63_5:
	s_andn2_saveexec_b64 s[4:5], s[4:5]
	s_cbranch_execz .LBB63_7
; %bb.6:
	v_div_scale_f64 v[132:133], s[12:13], v[128:129], v[128:129], v[130:131]
	v_rcp_f64_e32 v[134:135], v[132:133]
	v_div_scale_f64 v[136:137], vcc, v[130:131], v[128:129], v[130:131]
	v_fma_f64 v[138:139], -v[132:133], v[134:135], 1.0
	v_fmac_f64_e32 v[134:135], v[134:135], v[138:139]
	v_fma_f64 v[138:139], -v[132:133], v[134:135], 1.0
	v_fmac_f64_e32 v[134:135], v[134:135], v[138:139]
	v_mul_f64 v[138:139], v[136:137], v[134:135]
	v_fma_f64 v[132:133], -v[132:133], v[138:139], v[136:137]
	v_div_fmas_f64 v[132:133], v[132:133], v[134:135], v[138:139]
	v_div_fixup_f64 v[134:135], v[132:133], v[128:129], v[130:131]
	v_fmac_f64_e32 v[128:129], v[130:131], v[134:135]
	v_div_scale_f64 v[130:131], s[12:13], v[128:129], v[128:129], 1.0
	v_rcp_f64_e32 v[132:133], v[130:131]
	s_nop 0
	v_fma_f64 v[136:137], -v[130:131], v[132:133], 1.0
	v_fmac_f64_e32 v[132:133], v[132:133], v[136:137]
	v_fma_f64 v[136:137], -v[130:131], v[132:133], 1.0
	v_fmac_f64_e32 v[132:133], v[132:133], v[136:137]
	v_div_scale_f64 v[136:137], vcc, 1.0, v[128:129], 1.0
	v_mul_f64 v[138:139], v[136:137], v[132:133]
	v_fma_f64 v[130:131], -v[130:131], v[138:139], v[136:137]
	s_nop 1
	v_div_fmas_f64 v[130:131], v[130:131], v[132:133], v[138:139]
	v_div_fixup_f64 v[132:133], v[130:131], v[128:129], 1.0
	v_mul_f64 v[134:135], v[134:135], -v[132:133]
.LBB63_7:
	s_or_b64 exec, exec, s[4:5]
	ds_write2_b64 v121, v[132:133], v[134:135] offset1:1
.LBB63_8:
	s_or_b64 exec, exec, s[10:11]
	s_waitcnt lgkmcnt(0)
	s_barrier
	ds_read2_b64 v[128:131], v121 offset1:1
	s_waitcnt lgkmcnt(0)
	scratch_store_dwordx4 off, v[128:131], off offset:320 ; 16-byte Folded Spill
	s_and_saveexec_b64 s[4:5], s[2:3]
	s_cbranch_execz .LBB63_10
; %bb.9:
	scratch_load_dwordx4 v[128:131], off, off offset:48 ; 16-byte Folded Reload
	scratch_load_dwordx4 v[138:141], off, off offset:320 ; 16-byte Folded Reload
	;; [unrolled: 1-line block ×4, first 2 shown]
	ds_read2_b64 v[134:137], v122 offset0:2 offset1:3
	s_waitcnt vmcnt(2)
	v_mul_f64 v[132:133], v[140:141], v[130:131]
	v_mul_f64 v[130:131], v[138:139], v[130:131]
	v_fma_f64 v[132:133], v[138:139], v[128:129], -v[132:133]
	v_fmac_f64_e32 v[130:131], v[140:141], v[128:129]
	ds_read2_b64 v[138:141], v122 offset0:4 offset1:5
	s_waitcnt lgkmcnt(1)
	v_mul_f64 v[142:143], v[136:137], v[130:131]
	v_fma_f64 v[142:143], v[134:135], v[132:133], -v[142:143]
	v_mul_f64 v[134:135], v[134:135], v[130:131]
	v_fmac_f64_e32 v[134:135], v[136:137], v[132:133]
	s_waitcnt vmcnt(1)
	v_add_f64 v[118:119], v[118:119], -v[134:135]
	s_waitcnt lgkmcnt(0)
	v_mul_f64 v[134:135], v[140:141], v[130:131]
	v_add_f64 v[116:117], v[116:117], -v[142:143]
	v_fma_f64 v[142:143], v[138:139], v[132:133], -v[134:135]
	ds_read2_b64 v[134:137], v122 offset0:6 offset1:7
	v_mul_f64 v[138:139], v[138:139], v[130:131]
	v_fmac_f64_e32 v[138:139], v[140:141], v[132:133]
	v_add_f64 v[114:115], v[114:115], -v[138:139]
	ds_read2_b64 v[138:141], v122 offset0:8 offset1:9
	v_add_f64 v[112:113], v[112:113], -v[142:143]
	s_waitcnt lgkmcnt(1)
	v_mul_f64 v[142:143], v[136:137], v[130:131]
	v_fma_f64 v[142:143], v[134:135], v[132:133], -v[142:143]
	v_mul_f64 v[134:135], v[134:135], v[130:131]
	v_fmac_f64_e32 v[134:135], v[136:137], v[132:133]
	v_add_f64 v[110:111], v[110:111], -v[134:135]
	s_waitcnt lgkmcnt(0)
	v_mul_f64 v[134:135], v[140:141], v[130:131]
	v_add_f64 v[108:109], v[108:109], -v[142:143]
	v_fma_f64 v[142:143], v[138:139], v[132:133], -v[134:135]
	v_mul_f64 v[138:139], v[138:139], v[130:131]
	v_fmac_f64_e32 v[138:139], v[140:141], v[132:133]
	s_waitcnt vmcnt(0)
	v_add_f64 v[100:101], v[100:101], -v[142:143]
	v_add_f64 v[102:103], v[102:103], -v[138:139]
	scratch_store_dwordx4 off, v[100:103], off offset:16 ; 16-byte Folded Spill
	scratch_load_dwordx4 v[100:103], off, off ; 16-byte Folded Reload
	ds_read2_b64 v[134:137], v122 offset0:10 offset1:11
	ds_read2_b64 v[138:141], v122 offset0:12 offset1:13
	v_mov_b64_e32 v[128:129], v[132:133]
	scratch_store_dwordx4 off, v[116:119], off offset:32 ; 16-byte Folded Spill
	scratch_store_dwordx4 off, v[128:131], off offset:48 ; 16-byte Folded Spill
	s_waitcnt lgkmcnt(1)
	v_mul_f64 v[142:143], v[136:137], v[130:131]
	v_fma_f64 v[142:143], v[134:135], v[132:133], -v[142:143]
	v_mul_f64 v[134:135], v[134:135], v[130:131]
	v_fmac_f64_e32 v[134:135], v[136:137], v[132:133]
	s_waitcnt vmcnt(2)
	v_add_f64 v[102:103], v[102:103], -v[134:135]
	s_waitcnt lgkmcnt(0)
	v_mul_f64 v[134:135], v[140:141], v[130:131]
	v_add_f64 v[100:101], v[100:101], -v[142:143]
	v_fma_f64 v[142:143], v[138:139], v[132:133], -v[134:135]
	ds_read2_b64 v[134:137], v122 offset0:14 offset1:15
	v_mul_f64 v[138:139], v[138:139], v[130:131]
	v_fmac_f64_e32 v[138:139], v[140:141], v[132:133]
	v_add_f64 v[98:99], v[98:99], -v[138:139]
	ds_read2_b64 v[138:141], v122 offset0:16 offset1:17
	v_add_f64 v[96:97], v[96:97], -v[142:143]
	s_waitcnt lgkmcnt(1)
	v_mul_f64 v[142:143], v[136:137], v[130:131]
	v_fma_f64 v[142:143], v[134:135], v[132:133], -v[142:143]
	v_mul_f64 v[134:135], v[134:135], v[130:131]
	v_fmac_f64_e32 v[134:135], v[136:137], v[132:133]
	v_add_f64 v[94:95], v[94:95], -v[134:135]
	s_waitcnt lgkmcnt(0)
	v_mul_f64 v[134:135], v[140:141], v[130:131]
	v_add_f64 v[92:93], v[92:93], -v[142:143]
	v_fma_f64 v[142:143], v[138:139], v[132:133], -v[134:135]
	ds_read2_b64 v[134:137], v122 offset0:18 offset1:19
	v_mul_f64 v[138:139], v[138:139], v[130:131]
	v_fmac_f64_e32 v[138:139], v[140:141], v[132:133]
	v_add_f64 v[90:91], v[90:91], -v[138:139]
	ds_read2_b64 v[138:141], v122 offset0:20 offset1:21
	v_add_f64 v[88:89], v[88:89], -v[142:143]
	s_waitcnt lgkmcnt(1)
	v_mul_f64 v[142:143], v[136:137], v[130:131]
	v_fma_f64 v[142:143], v[134:135], v[132:133], -v[142:143]
	v_mul_f64 v[134:135], v[134:135], v[130:131]
	v_fmac_f64_e32 v[134:135], v[136:137], v[132:133]
	;; [unrolled: 16-line block ×12, first 2 shown]
	v_add_f64 v[6:7], v[6:7], -v[134:135]
	s_waitcnt lgkmcnt(0)
	v_mul_f64 v[134:135], v[140:141], v[130:131]
	v_add_f64 v[4:5], v[4:5], -v[142:143]
	v_fma_f64 v[142:143], v[138:139], v[132:133], -v[134:135]
	ds_read2_b64 v[134:137], v122 offset0:62 offset1:63
	v_mul_f64 v[138:139], v[138:139], v[130:131]
	v_fmac_f64_e32 v[138:139], v[140:141], v[132:133]
	v_add_f64 v[2:3], v[2:3], -v[138:139]
	v_add_f64 v[0:1], v[0:1], -v[142:143]
	s_waitcnt lgkmcnt(0)
	v_mul_f64 v[138:139], v[136:137], v[130:131]
	v_fma_f64 v[138:139], v[134:135], v[132:133], -v[138:139]
	v_mul_f64 v[134:135], v[134:135], v[130:131]
	v_fmac_f64_e32 v[134:135], v[136:137], v[132:133]
	v_add_f64 v[124:125], v[124:125], -v[138:139]
	v_add_f64 v[126:127], v[126:127], -v[134:135]
	scratch_store_dwordx4 off, v[100:103], off ; 16-byte Folded Spill
.LBB63_10:
	s_or_b64 exec, exec, s[4:5]
	v_cmp_eq_u32_e32 vcc, 1, v120
	s_barrier
	s_and_saveexec_b64 s[4:5], vcc
	s_cbranch_execz .LBB63_17
; %bb.11:
	scratch_load_dwordx4 v[116:119], off, off offset:32 ; 16-byte Folded Reload
	s_waitcnt vmcnt(0)
	ds_write2_b64 v121, v[116:117], v[118:119] offset1:1
	ds_write2_b64 v122, v[112:113], v[114:115] offset0:4 offset1:5
	ds_write2_b64 v122, v[108:109], v[110:111] offset0:6 offset1:7
	scratch_load_dwordx4 v[100:103], off, off offset:16 ; 16-byte Folded Reload
	s_waitcnt vmcnt(0)
	ds_write2_b64 v122, v[100:101], v[102:103] offset0:8 offset1:9
	scratch_load_dwordx4 v[100:103], off, off ; 16-byte Folded Reload
	s_waitcnt vmcnt(0)
	ds_write2_b64 v122, v[100:101], v[102:103] offset0:10 offset1:11
	ds_write2_b64 v122, v[96:97], v[98:99] offset0:12 offset1:13
	;; [unrolled: 1-line block ×27, first 2 shown]
	ds_read2_b64 v[132:135], v121 offset1:1
	s_waitcnt lgkmcnt(0)
	v_cmp_neq_f64_e32 vcc, 0, v[132:133]
	v_cmp_neq_f64_e64 s[2:3], 0, v[134:135]
	s_or_b64 s[2:3], vcc, s[2:3]
	s_and_b64 exec, exec, s[2:3]
	s_cbranch_execz .LBB63_17
; %bb.12:
	v_cmp_ngt_f64_e64 s[2:3], |v[132:133]|, |v[134:135]|
                                        ; implicit-def: $vgpr136_vgpr137
	s_and_saveexec_b64 s[10:11], s[2:3]
	s_xor_b64 s[2:3], exec, s[10:11]
                                        ; implicit-def: $vgpr138_vgpr139
	s_cbranch_execz .LBB63_14
; %bb.13:
	v_div_scale_f64 v[136:137], s[10:11], v[134:135], v[134:135], v[132:133]
	v_rcp_f64_e32 v[138:139], v[136:137]
	v_div_scale_f64 v[140:141], vcc, v[132:133], v[134:135], v[132:133]
	v_fma_f64 v[142:143], -v[136:137], v[138:139], 1.0
	v_fmac_f64_e32 v[138:139], v[138:139], v[142:143]
	v_fma_f64 v[142:143], -v[136:137], v[138:139], 1.0
	v_fmac_f64_e32 v[138:139], v[138:139], v[142:143]
	v_mul_f64 v[142:143], v[140:141], v[138:139]
	v_fma_f64 v[136:137], -v[136:137], v[142:143], v[140:141]
	v_div_fmas_f64 v[136:137], v[136:137], v[138:139], v[142:143]
	v_div_fixup_f64 v[136:137], v[136:137], v[134:135], v[132:133]
	v_fmac_f64_e32 v[134:135], v[132:133], v[136:137]
	v_div_scale_f64 v[132:133], s[10:11], v[134:135], v[134:135], 1.0
	v_rcp_f64_e32 v[138:139], v[132:133]
	s_nop 0
	v_fma_f64 v[140:141], -v[132:133], v[138:139], 1.0
	v_fmac_f64_e32 v[138:139], v[138:139], v[140:141]
	v_fma_f64 v[140:141], -v[132:133], v[138:139], 1.0
	v_fmac_f64_e32 v[138:139], v[138:139], v[140:141]
	v_div_scale_f64 v[140:141], vcc, 1.0, v[134:135], 1.0
	v_mul_f64 v[142:143], v[140:141], v[138:139]
	v_fma_f64 v[132:133], -v[132:133], v[142:143], v[140:141]
	s_nop 1
	v_div_fmas_f64 v[132:133], v[132:133], v[138:139], v[142:143]
	v_div_fixup_f64 v[138:139], v[132:133], v[134:135], 1.0
	v_mul_f64 v[136:137], v[136:137], v[138:139]
	v_xor_b32_e32 v139, 0x80000000, v139
                                        ; implicit-def: $vgpr132_vgpr133
.LBB63_14:
	s_andn2_saveexec_b64 s[2:3], s[2:3]
	s_cbranch_execz .LBB63_16
; %bb.15:
	v_div_scale_f64 v[136:137], s[10:11], v[132:133], v[132:133], v[134:135]
	v_rcp_f64_e32 v[138:139], v[136:137]
	v_div_scale_f64 v[140:141], vcc, v[134:135], v[132:133], v[134:135]
	v_fma_f64 v[142:143], -v[136:137], v[138:139], 1.0
	v_fmac_f64_e32 v[138:139], v[138:139], v[142:143]
	v_fma_f64 v[142:143], -v[136:137], v[138:139], 1.0
	v_fmac_f64_e32 v[138:139], v[138:139], v[142:143]
	v_mul_f64 v[142:143], v[140:141], v[138:139]
	v_fma_f64 v[136:137], -v[136:137], v[142:143], v[140:141]
	v_div_fmas_f64 v[136:137], v[136:137], v[138:139], v[142:143]
	v_div_fixup_f64 v[138:139], v[136:137], v[132:133], v[134:135]
	v_fmac_f64_e32 v[132:133], v[134:135], v[138:139]
	v_div_scale_f64 v[134:135], s[10:11], v[132:133], v[132:133], 1.0
	v_rcp_f64_e32 v[136:137], v[134:135]
	s_nop 0
	v_fma_f64 v[140:141], -v[134:135], v[136:137], 1.0
	v_fmac_f64_e32 v[136:137], v[136:137], v[140:141]
	v_fma_f64 v[140:141], -v[134:135], v[136:137], 1.0
	v_fmac_f64_e32 v[136:137], v[136:137], v[140:141]
	v_div_scale_f64 v[140:141], vcc, 1.0, v[132:133], 1.0
	v_mul_f64 v[142:143], v[140:141], v[136:137]
	v_fma_f64 v[134:135], -v[134:135], v[142:143], v[140:141]
	s_nop 1
	v_div_fmas_f64 v[134:135], v[134:135], v[136:137], v[142:143]
	v_div_fixup_f64 v[136:137], v[134:135], v[132:133], 1.0
	v_mul_f64 v[138:139], v[138:139], -v[136:137]
.LBB63_16:
	s_or_b64 exec, exec, s[2:3]
	ds_write2_b64 v121, v[136:137], v[138:139] offset1:1
.LBB63_17:
	s_or_b64 exec, exec, s[4:5]
	s_waitcnt lgkmcnt(0)
	s_barrier
	ds_read2_b64 v[132:135], v121 offset1:1
	v_cmp_lt_u32_e32 vcc, 1, v120
	s_and_saveexec_b64 s[2:3], vcc
	s_cbranch_execz .LBB63_19
; %bb.18:
	scratch_load_dwordx4 v[116:119], off, off offset:32 ; 16-byte Folded Reload
	scratch_load_dwordx4 v[100:103], off, off offset:16 ; 16-byte Folded Reload
	ds_read2_b64 v[138:141], v122 offset0:4 offset1:5
	ds_read2_b64 v[142:145], v122 offset0:6 offset1:7
	s_waitcnt vmcnt(1) lgkmcnt(2)
	v_mul_f64 v[136:137], v[134:135], v[118:119]
	v_mul_f64 v[118:119], v[132:133], v[118:119]
	v_fmac_f64_e32 v[118:119], v[134:135], v[116:117]
	v_fma_f64 v[136:137], v[132:133], v[116:117], -v[136:137]
	s_waitcnt lgkmcnt(1)
	v_mul_f64 v[116:117], v[140:141], v[118:119]
	v_fma_f64 v[116:117], v[138:139], v[136:137], -v[116:117]
	v_mul_f64 v[138:139], v[138:139], v[118:119]
	v_fmac_f64_e32 v[138:139], v[140:141], v[136:137]
	v_add_f64 v[114:115], v[114:115], -v[138:139]
	ds_read2_b64 v[138:141], v122 offset0:8 offset1:9
	v_add_f64 v[112:113], v[112:113], -v[116:117]
	s_waitcnt lgkmcnt(1)
	v_mul_f64 v[116:117], v[144:145], v[118:119]
	v_fma_f64 v[116:117], v[142:143], v[136:137], -v[116:117]
	v_mul_f64 v[142:143], v[142:143], v[118:119]
	v_fmac_f64_e32 v[142:143], v[144:145], v[136:137]
	v_add_f64 v[108:109], v[108:109], -v[116:117]
	v_add_f64 v[110:111], v[110:111], -v[142:143]
	ds_read2_b64 v[142:145], v122 offset0:10 offset1:11
	s_waitcnt lgkmcnt(1)
	v_mul_f64 v[116:117], v[140:141], v[118:119]
	v_fma_f64 v[116:117], v[138:139], v[136:137], -v[116:117]
	v_mul_f64 v[138:139], v[138:139], v[118:119]
	v_fmac_f64_e32 v[138:139], v[140:141], v[136:137]
	s_waitcnt vmcnt(0)
	v_add_f64 v[100:101], v[100:101], -v[116:117]
	v_add_f64 v[102:103], v[102:103], -v[138:139]
	scratch_store_dwordx4 off, v[100:103], off offset:16 ; 16-byte Folded Spill
	scratch_load_dwordx4 v[100:103], off, off ; 16-byte Folded Reload
	s_waitcnt lgkmcnt(0)
	v_mul_f64 v[116:117], v[144:145], v[118:119]
	ds_read2_b64 v[138:141], v122 offset0:12 offset1:13
	v_fma_f64 v[116:117], v[142:143], v[136:137], -v[116:117]
	v_mul_f64 v[142:143], v[142:143], v[118:119]
	v_fmac_f64_e32 v[142:143], v[144:145], v[136:137]
	s_waitcnt vmcnt(0)
	v_add_f64 v[102:103], v[102:103], -v[142:143]
	ds_read2_b64 v[142:145], v122 offset0:14 offset1:15
	v_add_f64 v[100:101], v[100:101], -v[116:117]
	s_waitcnt lgkmcnt(1)
	v_mul_f64 v[116:117], v[140:141], v[118:119]
	v_fma_f64 v[116:117], v[138:139], v[136:137], -v[116:117]
	v_mul_f64 v[138:139], v[138:139], v[118:119]
	v_fmac_f64_e32 v[138:139], v[140:141], v[136:137]
	v_add_f64 v[96:97], v[96:97], -v[116:117]
	v_add_f64 v[98:99], v[98:99], -v[138:139]
	s_waitcnt lgkmcnt(0)
	v_mul_f64 v[116:117], v[144:145], v[118:119]
	ds_read2_b64 v[138:141], v122 offset0:16 offset1:17
	v_fma_f64 v[116:117], v[142:143], v[136:137], -v[116:117]
	v_mul_f64 v[142:143], v[142:143], v[118:119]
	v_fmac_f64_e32 v[142:143], v[144:145], v[136:137]
	v_add_f64 v[94:95], v[94:95], -v[142:143]
	ds_read2_b64 v[142:145], v122 offset0:18 offset1:19
	v_add_f64 v[92:93], v[92:93], -v[116:117]
	s_waitcnt lgkmcnt(1)
	v_mul_f64 v[116:117], v[140:141], v[118:119]
	v_fma_f64 v[116:117], v[138:139], v[136:137], -v[116:117]
	v_mul_f64 v[138:139], v[138:139], v[118:119]
	v_fmac_f64_e32 v[138:139], v[140:141], v[136:137]
	v_add_f64 v[88:89], v[88:89], -v[116:117]
	v_add_f64 v[90:91], v[90:91], -v[138:139]
	s_waitcnt lgkmcnt(0)
	v_mul_f64 v[116:117], v[144:145], v[118:119]
	ds_read2_b64 v[138:141], v122 offset0:20 offset1:21
	v_fma_f64 v[116:117], v[142:143], v[136:137], -v[116:117]
	v_mul_f64 v[142:143], v[142:143], v[118:119]
	v_fmac_f64_e32 v[142:143], v[144:145], v[136:137]
	;; [unrolled: 16-line block ×12, first 2 shown]
	v_add_f64 v[6:7], v[6:7], -v[142:143]
	ds_read2_b64 v[142:145], v122 offset0:62 offset1:63
	v_add_f64 v[4:5], v[4:5], -v[116:117]
	s_waitcnt lgkmcnt(1)
	v_mul_f64 v[116:117], v[140:141], v[118:119]
	v_fma_f64 v[116:117], v[138:139], v[136:137], -v[116:117]
	v_mul_f64 v[138:139], v[138:139], v[118:119]
	v_fmac_f64_e32 v[138:139], v[140:141], v[136:137]
	v_add_f64 v[0:1], v[0:1], -v[116:117]
	v_add_f64 v[2:3], v[2:3], -v[138:139]
	s_waitcnt lgkmcnt(0)
	v_mul_f64 v[116:117], v[144:145], v[118:119]
	v_mul_f64 v[138:139], v[142:143], v[118:119]
	v_fma_f64 v[116:117], v[142:143], v[136:137], -v[116:117]
	v_fmac_f64_e32 v[138:139], v[144:145], v[136:137]
	v_add_f64 v[124:125], v[124:125], -v[116:117]
	v_add_f64 v[126:127], v[126:127], -v[138:139]
	v_mov_b64_e32 v[116:117], v[136:137]
	scratch_store_dwordx4 off, v[100:103], off ; 16-byte Folded Spill
	scratch_store_dwordx4 off, v[116:119], off offset:32 ; 16-byte Folded Spill
.LBB63_19:
	s_or_b64 exec, exec, s[2:3]
	v_cmp_eq_u32_e32 vcc, 2, v120
	s_waitcnt lgkmcnt(0)
	s_barrier
	s_and_saveexec_b64 s[4:5], vcc
	s_cbranch_execz .LBB63_26
; %bb.20:
	ds_write2_b64 v121, v[112:113], v[114:115] offset1:1
	ds_write2_b64 v122, v[108:109], v[110:111] offset0:6 offset1:7
	scratch_load_dwordx4 v[100:103], off, off offset:16 ; 16-byte Folded Reload
	s_waitcnt vmcnt(0)
	ds_write2_b64 v122, v[100:101], v[102:103] offset0:8 offset1:9
	scratch_load_dwordx4 v[100:103], off, off ; 16-byte Folded Reload
	s_waitcnt vmcnt(0)
	ds_write2_b64 v122, v[100:101], v[102:103] offset0:10 offset1:11
	ds_write2_b64 v122, v[96:97], v[98:99] offset0:12 offset1:13
	;; [unrolled: 1-line block ×27, first 2 shown]
	ds_read2_b64 v[136:139], v121 offset1:1
	s_waitcnt lgkmcnt(0)
	v_cmp_neq_f64_e32 vcc, 0, v[136:137]
	v_cmp_neq_f64_e64 s[2:3], 0, v[138:139]
	s_or_b64 s[2:3], vcc, s[2:3]
	s_and_b64 exec, exec, s[2:3]
	s_cbranch_execz .LBB63_26
; %bb.21:
	v_cmp_ngt_f64_e64 s[2:3], |v[136:137]|, |v[138:139]|
                                        ; implicit-def: $vgpr140_vgpr141
	s_and_saveexec_b64 s[10:11], s[2:3]
	s_xor_b64 s[2:3], exec, s[10:11]
                                        ; implicit-def: $vgpr142_vgpr143
	s_cbranch_execz .LBB63_23
; %bb.22:
	v_div_scale_f64 v[140:141], s[10:11], v[138:139], v[138:139], v[136:137]
	v_rcp_f64_e32 v[142:143], v[140:141]
	v_div_scale_f64 v[144:145], vcc, v[136:137], v[138:139], v[136:137]
	v_fma_f64 v[146:147], -v[140:141], v[142:143], 1.0
	v_fmac_f64_e32 v[142:143], v[142:143], v[146:147]
	v_fma_f64 v[146:147], -v[140:141], v[142:143], 1.0
	v_fmac_f64_e32 v[142:143], v[142:143], v[146:147]
	v_mul_f64 v[146:147], v[144:145], v[142:143]
	v_fma_f64 v[140:141], -v[140:141], v[146:147], v[144:145]
	v_div_fmas_f64 v[140:141], v[140:141], v[142:143], v[146:147]
	v_div_fixup_f64 v[140:141], v[140:141], v[138:139], v[136:137]
	v_fmac_f64_e32 v[138:139], v[136:137], v[140:141]
	v_div_scale_f64 v[136:137], s[10:11], v[138:139], v[138:139], 1.0
	v_rcp_f64_e32 v[142:143], v[136:137]
	s_nop 0
	v_fma_f64 v[144:145], -v[136:137], v[142:143], 1.0
	v_fmac_f64_e32 v[142:143], v[142:143], v[144:145]
	v_fma_f64 v[144:145], -v[136:137], v[142:143], 1.0
	v_fmac_f64_e32 v[142:143], v[142:143], v[144:145]
	v_div_scale_f64 v[144:145], vcc, 1.0, v[138:139], 1.0
	v_mul_f64 v[146:147], v[144:145], v[142:143]
	v_fma_f64 v[136:137], -v[136:137], v[146:147], v[144:145]
	s_nop 1
	v_div_fmas_f64 v[136:137], v[136:137], v[142:143], v[146:147]
	v_div_fixup_f64 v[142:143], v[136:137], v[138:139], 1.0
	v_mul_f64 v[140:141], v[140:141], v[142:143]
	v_xor_b32_e32 v143, 0x80000000, v143
                                        ; implicit-def: $vgpr136_vgpr137
.LBB63_23:
	s_andn2_saveexec_b64 s[2:3], s[2:3]
	s_cbranch_execz .LBB63_25
; %bb.24:
	v_div_scale_f64 v[140:141], s[10:11], v[136:137], v[136:137], v[138:139]
	v_rcp_f64_e32 v[142:143], v[140:141]
	v_div_scale_f64 v[144:145], vcc, v[138:139], v[136:137], v[138:139]
	v_fma_f64 v[146:147], -v[140:141], v[142:143], 1.0
	v_fmac_f64_e32 v[142:143], v[142:143], v[146:147]
	v_fma_f64 v[146:147], -v[140:141], v[142:143], 1.0
	v_fmac_f64_e32 v[142:143], v[142:143], v[146:147]
	v_mul_f64 v[146:147], v[144:145], v[142:143]
	v_fma_f64 v[140:141], -v[140:141], v[146:147], v[144:145]
	v_div_fmas_f64 v[140:141], v[140:141], v[142:143], v[146:147]
	v_div_fixup_f64 v[142:143], v[140:141], v[136:137], v[138:139]
	v_fmac_f64_e32 v[136:137], v[138:139], v[142:143]
	v_div_scale_f64 v[138:139], s[10:11], v[136:137], v[136:137], 1.0
	v_rcp_f64_e32 v[140:141], v[138:139]
	s_nop 0
	v_fma_f64 v[144:145], -v[138:139], v[140:141], 1.0
	v_fmac_f64_e32 v[140:141], v[140:141], v[144:145]
	v_fma_f64 v[144:145], -v[138:139], v[140:141], 1.0
	v_fmac_f64_e32 v[140:141], v[140:141], v[144:145]
	v_div_scale_f64 v[144:145], vcc, 1.0, v[136:137], 1.0
	v_mul_f64 v[146:147], v[144:145], v[140:141]
	v_fma_f64 v[138:139], -v[138:139], v[146:147], v[144:145]
	s_nop 1
	v_div_fmas_f64 v[138:139], v[138:139], v[140:141], v[146:147]
	v_div_fixup_f64 v[140:141], v[138:139], v[136:137], 1.0
	v_mul_f64 v[142:143], v[142:143], -v[140:141]
.LBB63_25:
	s_or_b64 exec, exec, s[2:3]
	ds_write2_b64 v121, v[140:141], v[142:143] offset1:1
.LBB63_26:
	s_or_b64 exec, exec, s[4:5]
	s_waitcnt lgkmcnt(0)
	s_barrier
	ds_read2_b64 v[136:139], v121 offset1:1
	v_cmp_lt_u32_e32 vcc, 2, v120
	s_and_saveexec_b64 s[2:3], vcc
	s_cbranch_execz .LBB63_28
; %bb.27:
	scratch_load_dwordx4 v[100:103], off, off offset:16 ; 16-byte Folded Reload
	ds_read2_b64 v[142:145], v122 offset0:6 offset1:7
	ds_read2_b64 v[146:149], v122 offset0:8 offset1:9
	s_waitcnt lgkmcnt(2)
	v_mul_f64 v[140:141], v[138:139], v[114:115]
	v_mul_f64 v[114:115], v[136:137], v[114:115]
	v_fmac_f64_e32 v[114:115], v[138:139], v[112:113]
	v_fma_f64 v[140:141], v[136:137], v[112:113], -v[140:141]
	s_waitcnt lgkmcnt(1)
	v_mul_f64 v[112:113], v[144:145], v[114:115]
	v_fma_f64 v[112:113], v[142:143], v[140:141], -v[112:113]
	v_add_f64 v[108:109], v[108:109], -v[112:113]
	s_waitcnt lgkmcnt(0)
	v_mul_f64 v[112:113], v[148:149], v[114:115]
	v_fma_f64 v[112:113], v[146:147], v[140:141], -v[112:113]
	v_mul_f64 v[146:147], v[146:147], v[114:115]
	v_fmac_f64_e32 v[146:147], v[148:149], v[140:141]
	v_mul_f64 v[142:143], v[142:143], v[114:115]
	v_fmac_f64_e32 v[142:143], v[144:145], v[140:141]
	v_add_f64 v[110:111], v[110:111], -v[142:143]
	ds_read2_b64 v[142:145], v122 offset0:10 offset1:11
	s_waitcnt vmcnt(0)
	v_add_f64 v[100:101], v[100:101], -v[112:113]
	v_add_f64 v[102:103], v[102:103], -v[146:147]
	scratch_store_dwordx4 off, v[100:103], off offset:16 ; 16-byte Folded Spill
	scratch_load_dwordx4 v[100:103], off, off ; 16-byte Folded Reload
	ds_read2_b64 v[146:149], v122 offset0:12 offset1:13
	s_waitcnt lgkmcnt(1)
	v_mul_f64 v[112:113], v[144:145], v[114:115]
	v_fma_f64 v[112:113], v[142:143], v[140:141], -v[112:113]
	v_mul_f64 v[142:143], v[142:143], v[114:115]
	v_fmac_f64_e32 v[142:143], v[144:145], v[140:141]
	s_waitcnt vmcnt(0)
	v_add_f64 v[102:103], v[102:103], -v[142:143]
	ds_read2_b64 v[142:145], v122 offset0:14 offset1:15
	v_add_f64 v[100:101], v[100:101], -v[112:113]
	s_waitcnt lgkmcnt(1)
	v_mul_f64 v[112:113], v[148:149], v[114:115]
	v_fma_f64 v[112:113], v[146:147], v[140:141], -v[112:113]
	v_mul_f64 v[146:147], v[146:147], v[114:115]
	v_fmac_f64_e32 v[146:147], v[148:149], v[140:141]
	v_add_f64 v[96:97], v[96:97], -v[112:113]
	v_add_f64 v[98:99], v[98:99], -v[146:147]
	ds_read2_b64 v[146:149], v122 offset0:16 offset1:17
	s_waitcnt lgkmcnt(1)
	v_mul_f64 v[112:113], v[144:145], v[114:115]
	v_fma_f64 v[112:113], v[142:143], v[140:141], -v[112:113]
	v_mul_f64 v[142:143], v[142:143], v[114:115]
	v_fmac_f64_e32 v[142:143], v[144:145], v[140:141]
	v_add_f64 v[94:95], v[94:95], -v[142:143]
	ds_read2_b64 v[142:145], v122 offset0:18 offset1:19
	v_add_f64 v[92:93], v[92:93], -v[112:113]
	s_waitcnt lgkmcnt(1)
	v_mul_f64 v[112:113], v[148:149], v[114:115]
	v_fma_f64 v[112:113], v[146:147], v[140:141], -v[112:113]
	v_mul_f64 v[146:147], v[146:147], v[114:115]
	v_fmac_f64_e32 v[146:147], v[148:149], v[140:141]
	v_add_f64 v[88:89], v[88:89], -v[112:113]
	v_add_f64 v[90:91], v[90:91], -v[146:147]
	ds_read2_b64 v[146:149], v122 offset0:20 offset1:21
	s_waitcnt lgkmcnt(1)
	v_mul_f64 v[112:113], v[144:145], v[114:115]
	v_fma_f64 v[112:113], v[142:143], v[140:141], -v[112:113]
	v_mul_f64 v[142:143], v[142:143], v[114:115]
	v_fmac_f64_e32 v[142:143], v[144:145], v[140:141]
	v_add_f64 v[86:87], v[86:87], -v[142:143]
	ds_read2_b64 v[142:145], v122 offset0:22 offset1:23
	v_add_f64 v[84:85], v[84:85], -v[112:113]
	s_waitcnt lgkmcnt(1)
	v_mul_f64 v[112:113], v[148:149], v[114:115]
	v_fma_f64 v[112:113], v[146:147], v[140:141], -v[112:113]
	v_mul_f64 v[146:147], v[146:147], v[114:115]
	v_fmac_f64_e32 v[146:147], v[148:149], v[140:141]
	v_add_f64 v[80:81], v[80:81], -v[112:113]
	v_add_f64 v[82:83], v[82:83], -v[146:147]
	ds_read2_b64 v[146:149], v122 offset0:24 offset1:25
	s_waitcnt lgkmcnt(1)
	v_mul_f64 v[112:113], v[144:145], v[114:115]
	v_fma_f64 v[112:113], v[142:143], v[140:141], -v[112:113]
	v_mul_f64 v[142:143], v[142:143], v[114:115]
	v_fmac_f64_e32 v[142:143], v[144:145], v[140:141]
	v_add_f64 v[78:79], v[78:79], -v[142:143]
	ds_read2_b64 v[142:145], v122 offset0:26 offset1:27
	v_add_f64 v[76:77], v[76:77], -v[112:113]
	s_waitcnt lgkmcnt(1)
	v_mul_f64 v[112:113], v[148:149], v[114:115]
	v_fma_f64 v[112:113], v[146:147], v[140:141], -v[112:113]
	v_mul_f64 v[146:147], v[146:147], v[114:115]
	v_fmac_f64_e32 v[146:147], v[148:149], v[140:141]
	v_add_f64 v[72:73], v[72:73], -v[112:113]
	v_add_f64 v[74:75], v[74:75], -v[146:147]
	ds_read2_b64 v[146:149], v122 offset0:28 offset1:29
	s_waitcnt lgkmcnt(1)
	v_mul_f64 v[112:113], v[144:145], v[114:115]
	v_fma_f64 v[112:113], v[142:143], v[140:141], -v[112:113]
	v_mul_f64 v[142:143], v[142:143], v[114:115]
	v_fmac_f64_e32 v[142:143], v[144:145], v[140:141]
	v_add_f64 v[70:71], v[70:71], -v[142:143]
	ds_read2_b64 v[142:145], v122 offset0:30 offset1:31
	v_add_f64 v[68:69], v[68:69], -v[112:113]
	s_waitcnt lgkmcnt(1)
	v_mul_f64 v[112:113], v[148:149], v[114:115]
	v_fma_f64 v[112:113], v[146:147], v[140:141], -v[112:113]
	v_mul_f64 v[146:147], v[146:147], v[114:115]
	v_fmac_f64_e32 v[146:147], v[148:149], v[140:141]
	v_add_f64 v[64:65], v[64:65], -v[112:113]
	v_add_f64 v[66:67], v[66:67], -v[146:147]
	ds_read2_b64 v[146:149], v122 offset0:32 offset1:33
	s_waitcnt lgkmcnt(1)
	v_mul_f64 v[112:113], v[144:145], v[114:115]
	v_fma_f64 v[112:113], v[142:143], v[140:141], -v[112:113]
	v_mul_f64 v[142:143], v[142:143], v[114:115]
	v_fmac_f64_e32 v[142:143], v[144:145], v[140:141]
	v_add_f64 v[62:63], v[62:63], -v[142:143]
	ds_read2_b64 v[142:145], v122 offset0:34 offset1:35
	v_add_f64 v[60:61], v[60:61], -v[112:113]
	s_waitcnt lgkmcnt(1)
	v_mul_f64 v[112:113], v[148:149], v[114:115]
	v_fma_f64 v[112:113], v[146:147], v[140:141], -v[112:113]
	v_mul_f64 v[146:147], v[146:147], v[114:115]
	v_fmac_f64_e32 v[146:147], v[148:149], v[140:141]
	v_add_f64 v[56:57], v[56:57], -v[112:113]
	v_add_f64 v[58:59], v[58:59], -v[146:147]
	ds_read2_b64 v[146:149], v122 offset0:36 offset1:37
	s_waitcnt lgkmcnt(1)
	v_mul_f64 v[112:113], v[144:145], v[114:115]
	v_fma_f64 v[112:113], v[142:143], v[140:141], -v[112:113]
	v_mul_f64 v[142:143], v[142:143], v[114:115]
	v_fmac_f64_e32 v[142:143], v[144:145], v[140:141]
	v_add_f64 v[54:55], v[54:55], -v[142:143]
	ds_read2_b64 v[142:145], v122 offset0:38 offset1:39
	v_add_f64 v[52:53], v[52:53], -v[112:113]
	s_waitcnt lgkmcnt(1)
	v_mul_f64 v[112:113], v[148:149], v[114:115]
	v_fma_f64 v[112:113], v[146:147], v[140:141], -v[112:113]
	v_mul_f64 v[146:147], v[146:147], v[114:115]
	v_fmac_f64_e32 v[146:147], v[148:149], v[140:141]
	v_add_f64 v[48:49], v[48:49], -v[112:113]
	v_add_f64 v[50:51], v[50:51], -v[146:147]
	ds_read2_b64 v[146:149], v122 offset0:40 offset1:41
	s_waitcnt lgkmcnt(1)
	v_mul_f64 v[112:113], v[144:145], v[114:115]
	v_fma_f64 v[112:113], v[142:143], v[140:141], -v[112:113]
	v_mul_f64 v[142:143], v[142:143], v[114:115]
	v_fmac_f64_e32 v[142:143], v[144:145], v[140:141]
	v_add_f64 v[46:47], v[46:47], -v[142:143]
	ds_read2_b64 v[142:145], v122 offset0:42 offset1:43
	v_add_f64 v[44:45], v[44:45], -v[112:113]
	s_waitcnt lgkmcnt(1)
	v_mul_f64 v[112:113], v[148:149], v[114:115]
	v_fma_f64 v[112:113], v[146:147], v[140:141], -v[112:113]
	v_mul_f64 v[146:147], v[146:147], v[114:115]
	v_fmac_f64_e32 v[146:147], v[148:149], v[140:141]
	v_add_f64 v[40:41], v[40:41], -v[112:113]
	v_add_f64 v[42:43], v[42:43], -v[146:147]
	ds_read2_b64 v[146:149], v122 offset0:44 offset1:45
	s_waitcnt lgkmcnt(1)
	v_mul_f64 v[112:113], v[144:145], v[114:115]
	v_fma_f64 v[112:113], v[142:143], v[140:141], -v[112:113]
	v_mul_f64 v[142:143], v[142:143], v[114:115]
	v_fmac_f64_e32 v[142:143], v[144:145], v[140:141]
	v_add_f64 v[38:39], v[38:39], -v[142:143]
	ds_read2_b64 v[142:145], v122 offset0:46 offset1:47
	v_add_f64 v[36:37], v[36:37], -v[112:113]
	s_waitcnt lgkmcnt(1)
	v_mul_f64 v[112:113], v[148:149], v[114:115]
	v_fma_f64 v[112:113], v[146:147], v[140:141], -v[112:113]
	v_mul_f64 v[146:147], v[146:147], v[114:115]
	v_fmac_f64_e32 v[146:147], v[148:149], v[140:141]
	v_add_f64 v[32:33], v[32:33], -v[112:113]
	v_add_f64 v[34:35], v[34:35], -v[146:147]
	ds_read2_b64 v[146:149], v122 offset0:48 offset1:49
	s_waitcnt lgkmcnt(1)
	v_mul_f64 v[112:113], v[144:145], v[114:115]
	v_fma_f64 v[112:113], v[142:143], v[140:141], -v[112:113]
	v_mul_f64 v[142:143], v[142:143], v[114:115]
	v_fmac_f64_e32 v[142:143], v[144:145], v[140:141]
	v_add_f64 v[30:31], v[30:31], -v[142:143]
	ds_read2_b64 v[142:145], v122 offset0:50 offset1:51
	v_add_f64 v[28:29], v[28:29], -v[112:113]
	s_waitcnt lgkmcnt(1)
	v_mul_f64 v[112:113], v[148:149], v[114:115]
	v_fma_f64 v[112:113], v[146:147], v[140:141], -v[112:113]
	v_mul_f64 v[146:147], v[146:147], v[114:115]
	v_fmac_f64_e32 v[146:147], v[148:149], v[140:141]
	v_add_f64 v[24:25], v[24:25], -v[112:113]
	v_add_f64 v[26:27], v[26:27], -v[146:147]
	ds_read2_b64 v[146:149], v122 offset0:52 offset1:53
	s_waitcnt lgkmcnt(1)
	v_mul_f64 v[112:113], v[144:145], v[114:115]
	v_fma_f64 v[112:113], v[142:143], v[140:141], -v[112:113]
	v_mul_f64 v[142:143], v[142:143], v[114:115]
	v_fmac_f64_e32 v[142:143], v[144:145], v[140:141]
	v_add_f64 v[22:23], v[22:23], -v[142:143]
	ds_read2_b64 v[142:145], v122 offset0:54 offset1:55
	v_add_f64 v[20:21], v[20:21], -v[112:113]
	s_waitcnt lgkmcnt(1)
	v_mul_f64 v[112:113], v[148:149], v[114:115]
	v_fma_f64 v[112:113], v[146:147], v[140:141], -v[112:113]
	v_mul_f64 v[146:147], v[146:147], v[114:115]
	v_fmac_f64_e32 v[146:147], v[148:149], v[140:141]
	v_add_f64 v[16:17], v[16:17], -v[112:113]
	v_add_f64 v[18:19], v[18:19], -v[146:147]
	ds_read2_b64 v[146:149], v122 offset0:56 offset1:57
	s_waitcnt lgkmcnt(1)
	v_mul_f64 v[112:113], v[144:145], v[114:115]
	v_fma_f64 v[112:113], v[142:143], v[140:141], -v[112:113]
	v_mul_f64 v[142:143], v[142:143], v[114:115]
	v_fmac_f64_e32 v[142:143], v[144:145], v[140:141]
	v_add_f64 v[14:15], v[14:15], -v[142:143]
	ds_read2_b64 v[142:145], v122 offset0:58 offset1:59
	v_add_f64 v[12:13], v[12:13], -v[112:113]
	s_waitcnt lgkmcnt(1)
	v_mul_f64 v[112:113], v[148:149], v[114:115]
	v_fma_f64 v[112:113], v[146:147], v[140:141], -v[112:113]
	v_mul_f64 v[146:147], v[146:147], v[114:115]
	v_fmac_f64_e32 v[146:147], v[148:149], v[140:141]
	v_add_f64 v[8:9], v[8:9], -v[112:113]
	v_add_f64 v[10:11], v[10:11], -v[146:147]
	ds_read2_b64 v[146:149], v122 offset0:60 offset1:61
	s_waitcnt lgkmcnt(1)
	v_mul_f64 v[112:113], v[144:145], v[114:115]
	v_fma_f64 v[112:113], v[142:143], v[140:141], -v[112:113]
	v_mul_f64 v[142:143], v[142:143], v[114:115]
	v_fmac_f64_e32 v[142:143], v[144:145], v[140:141]
	v_add_f64 v[6:7], v[6:7], -v[142:143]
	ds_read2_b64 v[142:145], v122 offset0:62 offset1:63
	v_add_f64 v[4:5], v[4:5], -v[112:113]
	s_waitcnt lgkmcnt(1)
	v_mul_f64 v[112:113], v[148:149], v[114:115]
	v_fma_f64 v[112:113], v[146:147], v[140:141], -v[112:113]
	v_add_f64 v[0:1], v[0:1], -v[112:113]
	s_waitcnt lgkmcnt(0)
	v_mul_f64 v[112:113], v[144:145], v[114:115]
	v_mul_f64 v[146:147], v[146:147], v[114:115]
	v_fma_f64 v[112:113], v[142:143], v[140:141], -v[112:113]
	v_mul_f64 v[142:143], v[142:143], v[114:115]
	v_fmac_f64_e32 v[146:147], v[148:149], v[140:141]
	v_fmac_f64_e32 v[142:143], v[144:145], v[140:141]
	v_add_f64 v[2:3], v[2:3], -v[146:147]
	v_add_f64 v[124:125], v[124:125], -v[112:113]
	;; [unrolled: 1-line block ×3, first 2 shown]
	v_mov_b64_e32 v[112:113], v[140:141]
	scratch_store_dwordx4 off, v[100:103], off ; 16-byte Folded Spill
.LBB63_28:
	s_or_b64 exec, exec, s[2:3]
	v_cmp_eq_u32_e32 vcc, 3, v120
	s_waitcnt lgkmcnt(0)
	s_barrier
	s_and_saveexec_b64 s[4:5], vcc
	s_cbranch_execz .LBB63_35
; %bb.29:
	scratch_load_dwordx4 v[100:103], off, off offset:16 ; 16-byte Folded Reload
	ds_write2_b64 v121, v[108:109], v[110:111] offset1:1
	s_waitcnt vmcnt(0)
	ds_write2_b64 v122, v[100:101], v[102:103] offset0:8 offset1:9
	scratch_load_dwordx4 v[100:103], off, off ; 16-byte Folded Reload
	s_waitcnt vmcnt(0)
	ds_write2_b64 v122, v[100:101], v[102:103] offset0:10 offset1:11
	ds_write2_b64 v122, v[96:97], v[98:99] offset0:12 offset1:13
	ds_write2_b64 v122, v[92:93], v[94:95] offset0:14 offset1:15
	ds_write2_b64 v122, v[88:89], v[90:91] offset0:16 offset1:17
	ds_write2_b64 v122, v[84:85], v[86:87] offset0:18 offset1:19
	ds_write2_b64 v122, v[80:81], v[82:83] offset0:20 offset1:21
	ds_write2_b64 v122, v[76:77], v[78:79] offset0:22 offset1:23
	ds_write2_b64 v122, v[72:73], v[74:75] offset0:24 offset1:25
	ds_write2_b64 v122, v[68:69], v[70:71] offset0:26 offset1:27
	ds_write2_b64 v122, v[64:65], v[66:67] offset0:28 offset1:29
	ds_write2_b64 v122, v[60:61], v[62:63] offset0:30 offset1:31
	ds_write2_b64 v122, v[56:57], v[58:59] offset0:32 offset1:33
	ds_write2_b64 v122, v[52:53], v[54:55] offset0:34 offset1:35
	ds_write2_b64 v122, v[48:49], v[50:51] offset0:36 offset1:37
	ds_write2_b64 v122, v[44:45], v[46:47] offset0:38 offset1:39
	ds_write2_b64 v122, v[40:41], v[42:43] offset0:40 offset1:41
	ds_write2_b64 v122, v[36:37], v[38:39] offset0:42 offset1:43
	ds_write2_b64 v122, v[32:33], v[34:35] offset0:44 offset1:45
	ds_write2_b64 v122, v[28:29], v[30:31] offset0:46 offset1:47
	ds_write2_b64 v122, v[24:25], v[26:27] offset0:48 offset1:49
	ds_write2_b64 v122, v[20:21], v[22:23] offset0:50 offset1:51
	ds_write2_b64 v122, v[16:17], v[18:19] offset0:52 offset1:53
	ds_write2_b64 v122, v[12:13], v[14:15] offset0:54 offset1:55
	ds_write2_b64 v122, v[8:9], v[10:11] offset0:56 offset1:57
	ds_write2_b64 v122, v[4:5], v[6:7] offset0:58 offset1:59
	ds_write2_b64 v122, v[0:1], v[2:3] offset0:60 offset1:61
	ds_write2_b64 v122, v[124:125], v[126:127] offset0:62 offset1:63
	ds_read2_b64 v[140:143], v121 offset1:1
	s_waitcnt lgkmcnt(0)
	v_cmp_neq_f64_e32 vcc, 0, v[140:141]
	v_cmp_neq_f64_e64 s[2:3], 0, v[142:143]
	s_or_b64 s[2:3], vcc, s[2:3]
	s_and_b64 exec, exec, s[2:3]
	s_cbranch_execz .LBB63_35
; %bb.30:
	v_cmp_ngt_f64_e64 s[2:3], |v[140:141]|, |v[142:143]|
                                        ; implicit-def: $vgpr144_vgpr145
	s_and_saveexec_b64 s[10:11], s[2:3]
	s_xor_b64 s[2:3], exec, s[10:11]
                                        ; implicit-def: $vgpr146_vgpr147
	s_cbranch_execz .LBB63_32
; %bb.31:
	v_div_scale_f64 v[144:145], s[10:11], v[142:143], v[142:143], v[140:141]
	v_rcp_f64_e32 v[146:147], v[144:145]
	v_div_scale_f64 v[148:149], vcc, v[140:141], v[142:143], v[140:141]
	v_fma_f64 v[150:151], -v[144:145], v[146:147], 1.0
	v_fmac_f64_e32 v[146:147], v[146:147], v[150:151]
	v_fma_f64 v[150:151], -v[144:145], v[146:147], 1.0
	v_fmac_f64_e32 v[146:147], v[146:147], v[150:151]
	v_mul_f64 v[150:151], v[148:149], v[146:147]
	v_fma_f64 v[144:145], -v[144:145], v[150:151], v[148:149]
	v_div_fmas_f64 v[144:145], v[144:145], v[146:147], v[150:151]
	v_div_fixup_f64 v[144:145], v[144:145], v[142:143], v[140:141]
	v_fmac_f64_e32 v[142:143], v[140:141], v[144:145]
	v_div_scale_f64 v[140:141], s[10:11], v[142:143], v[142:143], 1.0
	v_rcp_f64_e32 v[146:147], v[140:141]
	s_nop 0
	v_fma_f64 v[148:149], -v[140:141], v[146:147], 1.0
	v_fmac_f64_e32 v[146:147], v[146:147], v[148:149]
	v_fma_f64 v[148:149], -v[140:141], v[146:147], 1.0
	v_fmac_f64_e32 v[146:147], v[146:147], v[148:149]
	v_div_scale_f64 v[148:149], vcc, 1.0, v[142:143], 1.0
	v_mul_f64 v[150:151], v[148:149], v[146:147]
	v_fma_f64 v[140:141], -v[140:141], v[150:151], v[148:149]
	s_nop 1
	v_div_fmas_f64 v[140:141], v[140:141], v[146:147], v[150:151]
	v_div_fixup_f64 v[146:147], v[140:141], v[142:143], 1.0
	v_mul_f64 v[144:145], v[144:145], v[146:147]
	v_xor_b32_e32 v147, 0x80000000, v147
                                        ; implicit-def: $vgpr140_vgpr141
.LBB63_32:
	s_andn2_saveexec_b64 s[2:3], s[2:3]
	s_cbranch_execz .LBB63_34
; %bb.33:
	v_div_scale_f64 v[144:145], s[10:11], v[140:141], v[140:141], v[142:143]
	v_rcp_f64_e32 v[146:147], v[144:145]
	v_div_scale_f64 v[148:149], vcc, v[142:143], v[140:141], v[142:143]
	v_fma_f64 v[150:151], -v[144:145], v[146:147], 1.0
	v_fmac_f64_e32 v[146:147], v[146:147], v[150:151]
	v_fma_f64 v[150:151], -v[144:145], v[146:147], 1.0
	v_fmac_f64_e32 v[146:147], v[146:147], v[150:151]
	v_mul_f64 v[150:151], v[148:149], v[146:147]
	v_fma_f64 v[144:145], -v[144:145], v[150:151], v[148:149]
	v_div_fmas_f64 v[144:145], v[144:145], v[146:147], v[150:151]
	v_div_fixup_f64 v[146:147], v[144:145], v[140:141], v[142:143]
	v_fmac_f64_e32 v[140:141], v[142:143], v[146:147]
	v_div_scale_f64 v[142:143], s[10:11], v[140:141], v[140:141], 1.0
	v_rcp_f64_e32 v[144:145], v[142:143]
	s_nop 0
	v_fma_f64 v[148:149], -v[142:143], v[144:145], 1.0
	v_fmac_f64_e32 v[144:145], v[144:145], v[148:149]
	v_fma_f64 v[148:149], -v[142:143], v[144:145], 1.0
	v_fmac_f64_e32 v[144:145], v[144:145], v[148:149]
	v_div_scale_f64 v[148:149], vcc, 1.0, v[140:141], 1.0
	v_mul_f64 v[150:151], v[148:149], v[144:145]
	v_fma_f64 v[142:143], -v[142:143], v[150:151], v[148:149]
	s_nop 1
	v_div_fmas_f64 v[142:143], v[142:143], v[144:145], v[150:151]
	v_div_fixup_f64 v[144:145], v[142:143], v[140:141], 1.0
	v_mul_f64 v[146:147], v[146:147], -v[144:145]
.LBB63_34:
	s_or_b64 exec, exec, s[2:3]
	ds_write2_b64 v121, v[144:145], v[146:147] offset1:1
.LBB63_35:
	s_or_b64 exec, exec, s[4:5]
	s_waitcnt lgkmcnt(0)
	s_barrier
	ds_read2_b64 v[140:143], v121 offset1:1
	v_cmp_lt_u32_e32 vcc, 3, v120
	s_and_saveexec_b64 s[2:3], vcc
	s_cbranch_execz .LBB63_37
; %bb.36:
	scratch_load_dwordx4 v[100:103], off, off offset:16 ; 16-byte Folded Reload
	ds_read2_b64 v[146:149], v122 offset0:8 offset1:9
	ds_read2_b64 v[150:153], v122 offset0:10 offset1:11
	s_waitcnt lgkmcnt(2)
	v_mul_f64 v[144:145], v[142:143], v[110:111]
	v_mul_f64 v[110:111], v[140:141], v[110:111]
	v_fmac_f64_e32 v[110:111], v[142:143], v[108:109]
	v_fma_f64 v[144:145], v[140:141], v[108:109], -v[144:145]
	s_waitcnt lgkmcnt(1)
	v_mul_f64 v[108:109], v[148:149], v[110:111]
	v_fma_f64 v[108:109], v[146:147], v[144:145], -v[108:109]
	v_mul_f64 v[146:147], v[146:147], v[110:111]
	v_fmac_f64_e32 v[146:147], v[148:149], v[144:145]
	s_waitcnt vmcnt(0)
	v_add_f64 v[100:101], v[100:101], -v[108:109]
	v_add_f64 v[102:103], v[102:103], -v[146:147]
	scratch_store_dwordx4 off, v[100:103], off offset:16 ; 16-byte Folded Spill
	scratch_load_dwordx4 v[100:103], off, off ; 16-byte Folded Reload
	s_waitcnt lgkmcnt(0)
	v_mul_f64 v[108:109], v[152:153], v[110:111]
	ds_read2_b64 v[146:149], v122 offset0:12 offset1:13
	v_fma_f64 v[108:109], v[150:151], v[144:145], -v[108:109]
	v_mul_f64 v[150:151], v[150:151], v[110:111]
	v_fmac_f64_e32 v[150:151], v[152:153], v[144:145]
	s_waitcnt vmcnt(0)
	v_add_f64 v[102:103], v[102:103], -v[150:151]
	ds_read2_b64 v[150:153], v122 offset0:14 offset1:15
	v_add_f64 v[100:101], v[100:101], -v[108:109]
	s_waitcnt lgkmcnt(1)
	v_mul_f64 v[108:109], v[148:149], v[110:111]
	v_fma_f64 v[108:109], v[146:147], v[144:145], -v[108:109]
	v_mul_f64 v[146:147], v[146:147], v[110:111]
	v_fmac_f64_e32 v[146:147], v[148:149], v[144:145]
	v_add_f64 v[96:97], v[96:97], -v[108:109]
	v_add_f64 v[98:99], v[98:99], -v[146:147]
	s_waitcnt lgkmcnt(0)
	v_mul_f64 v[108:109], v[152:153], v[110:111]
	ds_read2_b64 v[146:149], v122 offset0:16 offset1:17
	v_fma_f64 v[108:109], v[150:151], v[144:145], -v[108:109]
	v_mul_f64 v[150:151], v[150:151], v[110:111]
	v_fmac_f64_e32 v[150:151], v[152:153], v[144:145]
	v_add_f64 v[94:95], v[94:95], -v[150:151]
	ds_read2_b64 v[150:153], v122 offset0:18 offset1:19
	v_add_f64 v[92:93], v[92:93], -v[108:109]
	s_waitcnt lgkmcnt(1)
	v_mul_f64 v[108:109], v[148:149], v[110:111]
	v_fma_f64 v[108:109], v[146:147], v[144:145], -v[108:109]
	v_mul_f64 v[146:147], v[146:147], v[110:111]
	v_fmac_f64_e32 v[146:147], v[148:149], v[144:145]
	v_add_f64 v[88:89], v[88:89], -v[108:109]
	v_add_f64 v[90:91], v[90:91], -v[146:147]
	s_waitcnt lgkmcnt(0)
	v_mul_f64 v[108:109], v[152:153], v[110:111]
	ds_read2_b64 v[146:149], v122 offset0:20 offset1:21
	v_fma_f64 v[108:109], v[150:151], v[144:145], -v[108:109]
	v_mul_f64 v[150:151], v[150:151], v[110:111]
	v_fmac_f64_e32 v[150:151], v[152:153], v[144:145]
	;; [unrolled: 16-line block ×12, first 2 shown]
	v_add_f64 v[6:7], v[6:7], -v[150:151]
	ds_read2_b64 v[150:153], v122 offset0:62 offset1:63
	v_add_f64 v[4:5], v[4:5], -v[108:109]
	s_waitcnt lgkmcnt(1)
	v_mul_f64 v[108:109], v[148:149], v[110:111]
	v_fma_f64 v[108:109], v[146:147], v[144:145], -v[108:109]
	v_mul_f64 v[146:147], v[146:147], v[110:111]
	v_fmac_f64_e32 v[146:147], v[148:149], v[144:145]
	v_add_f64 v[0:1], v[0:1], -v[108:109]
	v_add_f64 v[2:3], v[2:3], -v[146:147]
	s_waitcnt lgkmcnt(0)
	v_mul_f64 v[108:109], v[152:153], v[110:111]
	v_mul_f64 v[146:147], v[150:151], v[110:111]
	v_fma_f64 v[108:109], v[150:151], v[144:145], -v[108:109]
	v_fmac_f64_e32 v[146:147], v[152:153], v[144:145]
	v_add_f64 v[124:125], v[124:125], -v[108:109]
	v_add_f64 v[126:127], v[126:127], -v[146:147]
	v_mov_b64_e32 v[108:109], v[144:145]
	scratch_store_dwordx4 off, v[100:103], off ; 16-byte Folded Spill
.LBB63_37:
	s_or_b64 exec, exec, s[2:3]
	v_cmp_eq_u32_e32 vcc, 4, v120
	s_waitcnt lgkmcnt(0)
	s_barrier
	s_and_saveexec_b64 s[4:5], vcc
	s_cbranch_execz .LBB63_44
; %bb.38:
	scratch_load_dwordx4 v[100:103], off, off offset:16 ; 16-byte Folded Reload
	s_waitcnt vmcnt(0)
	ds_write2_b64 v121, v[100:101], v[102:103] offset1:1
	scratch_load_dwordx4 v[100:103], off, off ; 16-byte Folded Reload
	s_waitcnt vmcnt(0)
	ds_write2_b64 v122, v[100:101], v[102:103] offset0:10 offset1:11
	ds_write2_b64 v122, v[96:97], v[98:99] offset0:12 offset1:13
	;; [unrolled: 1-line block ×27, first 2 shown]
	ds_read2_b64 v[144:147], v121 offset1:1
	s_waitcnt lgkmcnt(0)
	v_cmp_neq_f64_e32 vcc, 0, v[144:145]
	v_cmp_neq_f64_e64 s[2:3], 0, v[146:147]
	s_or_b64 s[2:3], vcc, s[2:3]
	s_and_b64 exec, exec, s[2:3]
	s_cbranch_execz .LBB63_44
; %bb.39:
	v_cmp_ngt_f64_e64 s[2:3], |v[144:145]|, |v[146:147]|
                                        ; implicit-def: $vgpr148_vgpr149
	s_and_saveexec_b64 s[10:11], s[2:3]
	s_xor_b64 s[2:3], exec, s[10:11]
                                        ; implicit-def: $vgpr150_vgpr151
	s_cbranch_execz .LBB63_41
; %bb.40:
	v_div_scale_f64 v[148:149], s[10:11], v[146:147], v[146:147], v[144:145]
	v_rcp_f64_e32 v[150:151], v[148:149]
	v_div_scale_f64 v[152:153], vcc, v[144:145], v[146:147], v[144:145]
	v_fma_f64 v[154:155], -v[148:149], v[150:151], 1.0
	v_fmac_f64_e32 v[150:151], v[150:151], v[154:155]
	v_fma_f64 v[154:155], -v[148:149], v[150:151], 1.0
	v_fmac_f64_e32 v[150:151], v[150:151], v[154:155]
	v_mul_f64 v[154:155], v[152:153], v[150:151]
	v_fma_f64 v[148:149], -v[148:149], v[154:155], v[152:153]
	v_div_fmas_f64 v[148:149], v[148:149], v[150:151], v[154:155]
	v_div_fixup_f64 v[148:149], v[148:149], v[146:147], v[144:145]
	v_fmac_f64_e32 v[146:147], v[144:145], v[148:149]
	v_div_scale_f64 v[144:145], s[10:11], v[146:147], v[146:147], 1.0
	v_rcp_f64_e32 v[150:151], v[144:145]
	s_nop 0
	v_fma_f64 v[152:153], -v[144:145], v[150:151], 1.0
	v_fmac_f64_e32 v[150:151], v[150:151], v[152:153]
	v_fma_f64 v[152:153], -v[144:145], v[150:151], 1.0
	v_fmac_f64_e32 v[150:151], v[150:151], v[152:153]
	v_div_scale_f64 v[152:153], vcc, 1.0, v[146:147], 1.0
	v_mul_f64 v[154:155], v[152:153], v[150:151]
	v_fma_f64 v[144:145], -v[144:145], v[154:155], v[152:153]
	s_nop 1
	v_div_fmas_f64 v[144:145], v[144:145], v[150:151], v[154:155]
	v_div_fixup_f64 v[150:151], v[144:145], v[146:147], 1.0
	v_mul_f64 v[148:149], v[148:149], v[150:151]
	v_xor_b32_e32 v151, 0x80000000, v151
                                        ; implicit-def: $vgpr144_vgpr145
.LBB63_41:
	s_andn2_saveexec_b64 s[2:3], s[2:3]
	s_cbranch_execz .LBB63_43
; %bb.42:
	v_div_scale_f64 v[148:149], s[10:11], v[144:145], v[144:145], v[146:147]
	v_rcp_f64_e32 v[150:151], v[148:149]
	v_div_scale_f64 v[152:153], vcc, v[146:147], v[144:145], v[146:147]
	v_fma_f64 v[154:155], -v[148:149], v[150:151], 1.0
	v_fmac_f64_e32 v[150:151], v[150:151], v[154:155]
	v_fma_f64 v[154:155], -v[148:149], v[150:151], 1.0
	v_fmac_f64_e32 v[150:151], v[150:151], v[154:155]
	v_mul_f64 v[154:155], v[152:153], v[150:151]
	v_fma_f64 v[148:149], -v[148:149], v[154:155], v[152:153]
	v_div_fmas_f64 v[148:149], v[148:149], v[150:151], v[154:155]
	v_div_fixup_f64 v[150:151], v[148:149], v[144:145], v[146:147]
	v_fmac_f64_e32 v[144:145], v[146:147], v[150:151]
	v_div_scale_f64 v[146:147], s[10:11], v[144:145], v[144:145], 1.0
	v_rcp_f64_e32 v[148:149], v[146:147]
	s_nop 0
	v_fma_f64 v[152:153], -v[146:147], v[148:149], 1.0
	v_fmac_f64_e32 v[148:149], v[148:149], v[152:153]
	v_fma_f64 v[152:153], -v[146:147], v[148:149], 1.0
	v_fmac_f64_e32 v[148:149], v[148:149], v[152:153]
	v_div_scale_f64 v[152:153], vcc, 1.0, v[144:145], 1.0
	v_mul_f64 v[154:155], v[152:153], v[148:149]
	v_fma_f64 v[146:147], -v[146:147], v[154:155], v[152:153]
	s_nop 1
	v_div_fmas_f64 v[146:147], v[146:147], v[148:149], v[154:155]
	v_div_fixup_f64 v[148:149], v[146:147], v[144:145], 1.0
	v_mul_f64 v[150:151], v[150:151], -v[148:149]
.LBB63_43:
	s_or_b64 exec, exec, s[2:3]
	ds_write2_b64 v121, v[148:149], v[150:151] offset1:1
.LBB63_44:
	s_or_b64 exec, exec, s[4:5]
	s_waitcnt lgkmcnt(0)
	s_barrier
	ds_read2_b64 v[144:147], v121 offset1:1
	v_cmp_lt_u32_e32 vcc, 4, v120
	s_and_saveexec_b64 s[2:3], vcc
	s_cbranch_execz .LBB63_46
; %bb.45:
	scratch_load_dwordx4 v[104:107], off, off offset:16 ; 16-byte Folded Reload
	scratch_load_dwordx4 v[100:103], off, off ; 16-byte Folded Reload
	ds_read2_b64 v[150:153], v122 offset0:10 offset1:11
	ds_read2_b64 v[154:157], v122 offset0:12 offset1:13
	s_waitcnt vmcnt(1) lgkmcnt(2)
	v_mul_f64 v[148:149], v[146:147], v[106:107]
	v_mul_f64 v[106:107], v[144:145], v[106:107]
	v_fmac_f64_e32 v[106:107], v[146:147], v[104:105]
	v_fma_f64 v[148:149], v[144:145], v[104:105], -v[148:149]
	s_waitcnt lgkmcnt(1)
	v_mul_f64 v[104:105], v[152:153], v[106:107]
	v_fma_f64 v[104:105], v[150:151], v[148:149], -v[104:105]
	v_mul_f64 v[150:151], v[150:151], v[106:107]
	v_fmac_f64_e32 v[150:151], v[152:153], v[148:149]
	s_waitcnt vmcnt(0)
	v_add_f64 v[102:103], v[102:103], -v[150:151]
	ds_read2_b64 v[150:153], v122 offset0:14 offset1:15
	v_add_f64 v[100:101], v[100:101], -v[104:105]
	s_waitcnt lgkmcnt(1)
	v_mul_f64 v[104:105], v[156:157], v[106:107]
	v_fma_f64 v[104:105], v[154:155], v[148:149], -v[104:105]
	v_mul_f64 v[154:155], v[154:155], v[106:107]
	v_fmac_f64_e32 v[154:155], v[156:157], v[148:149]
	v_add_f64 v[96:97], v[96:97], -v[104:105]
	v_add_f64 v[98:99], v[98:99], -v[154:155]
	ds_read2_b64 v[154:157], v122 offset0:16 offset1:17
	s_waitcnt lgkmcnt(1)
	v_mul_f64 v[104:105], v[152:153], v[106:107]
	v_fma_f64 v[104:105], v[150:151], v[148:149], -v[104:105]
	v_mul_f64 v[150:151], v[150:151], v[106:107]
	v_fmac_f64_e32 v[150:151], v[152:153], v[148:149]
	v_add_f64 v[94:95], v[94:95], -v[150:151]
	ds_read2_b64 v[150:153], v122 offset0:18 offset1:19
	v_add_f64 v[92:93], v[92:93], -v[104:105]
	s_waitcnt lgkmcnt(1)
	v_mul_f64 v[104:105], v[156:157], v[106:107]
	v_fma_f64 v[104:105], v[154:155], v[148:149], -v[104:105]
	v_mul_f64 v[154:155], v[154:155], v[106:107]
	v_fmac_f64_e32 v[154:155], v[156:157], v[148:149]
	v_add_f64 v[88:89], v[88:89], -v[104:105]
	v_add_f64 v[90:91], v[90:91], -v[154:155]
	ds_read2_b64 v[154:157], v122 offset0:20 offset1:21
	s_waitcnt lgkmcnt(1)
	v_mul_f64 v[104:105], v[152:153], v[106:107]
	v_fma_f64 v[104:105], v[150:151], v[148:149], -v[104:105]
	v_mul_f64 v[150:151], v[150:151], v[106:107]
	v_fmac_f64_e32 v[150:151], v[152:153], v[148:149]
	;; [unrolled: 16-line block ×12, first 2 shown]
	v_add_f64 v[6:7], v[6:7], -v[150:151]
	ds_read2_b64 v[150:153], v122 offset0:62 offset1:63
	v_add_f64 v[4:5], v[4:5], -v[104:105]
	s_waitcnt lgkmcnt(1)
	v_mul_f64 v[104:105], v[156:157], v[106:107]
	v_fma_f64 v[104:105], v[154:155], v[148:149], -v[104:105]
	v_add_f64 v[0:1], v[0:1], -v[104:105]
	s_waitcnt lgkmcnt(0)
	v_mul_f64 v[104:105], v[152:153], v[106:107]
	v_mul_f64 v[154:155], v[154:155], v[106:107]
	v_fma_f64 v[104:105], v[150:151], v[148:149], -v[104:105]
	v_mul_f64 v[150:151], v[150:151], v[106:107]
	v_fmac_f64_e32 v[154:155], v[156:157], v[148:149]
	v_fmac_f64_e32 v[150:151], v[152:153], v[148:149]
	v_add_f64 v[2:3], v[2:3], -v[154:155]
	v_add_f64 v[124:125], v[124:125], -v[104:105]
	;; [unrolled: 1-line block ×3, first 2 shown]
	v_mov_b64_e32 v[104:105], v[148:149]
	scratch_store_dwordx4 off, v[100:103], off ; 16-byte Folded Spill
	scratch_store_dwordx4 off, v[104:107], off offset:16 ; 16-byte Folded Spill
.LBB63_46:
	s_or_b64 exec, exec, s[2:3]
	v_cmp_eq_u32_e32 vcc, 5, v120
	s_waitcnt lgkmcnt(0)
	s_barrier
	s_and_saveexec_b64 s[4:5], vcc
	s_cbranch_execz .LBB63_53
; %bb.47:
	scratch_load_dwordx4 v[100:103], off, off ; 16-byte Folded Reload
	s_waitcnt vmcnt(0)
	ds_write2_b64 v121, v[100:101], v[102:103] offset1:1
	ds_write2_b64 v122, v[96:97], v[98:99] offset0:12 offset1:13
	ds_write2_b64 v122, v[92:93], v[94:95] offset0:14 offset1:15
	;; [unrolled: 1-line block ×26, first 2 shown]
	ds_read2_b64 v[148:151], v121 offset1:1
	s_waitcnt lgkmcnt(0)
	v_cmp_neq_f64_e32 vcc, 0, v[148:149]
	v_cmp_neq_f64_e64 s[2:3], 0, v[150:151]
	s_or_b64 s[2:3], vcc, s[2:3]
	s_and_b64 exec, exec, s[2:3]
	s_cbranch_execz .LBB63_53
; %bb.48:
	v_cmp_ngt_f64_e64 s[2:3], |v[148:149]|, |v[150:151]|
                                        ; implicit-def: $vgpr152_vgpr153
	s_and_saveexec_b64 s[10:11], s[2:3]
	s_xor_b64 s[2:3], exec, s[10:11]
                                        ; implicit-def: $vgpr154_vgpr155
	s_cbranch_execz .LBB63_50
; %bb.49:
	v_div_scale_f64 v[152:153], s[10:11], v[150:151], v[150:151], v[148:149]
	v_rcp_f64_e32 v[154:155], v[152:153]
	v_div_scale_f64 v[156:157], vcc, v[148:149], v[150:151], v[148:149]
	v_fma_f64 v[158:159], -v[152:153], v[154:155], 1.0
	v_fmac_f64_e32 v[154:155], v[154:155], v[158:159]
	v_fma_f64 v[158:159], -v[152:153], v[154:155], 1.0
	v_fmac_f64_e32 v[154:155], v[154:155], v[158:159]
	v_mul_f64 v[158:159], v[156:157], v[154:155]
	v_fma_f64 v[152:153], -v[152:153], v[158:159], v[156:157]
	v_div_fmas_f64 v[152:153], v[152:153], v[154:155], v[158:159]
	v_div_fixup_f64 v[152:153], v[152:153], v[150:151], v[148:149]
	v_fmac_f64_e32 v[150:151], v[148:149], v[152:153]
	v_div_scale_f64 v[148:149], s[10:11], v[150:151], v[150:151], 1.0
	v_rcp_f64_e32 v[154:155], v[148:149]
	s_nop 0
	v_fma_f64 v[156:157], -v[148:149], v[154:155], 1.0
	v_fmac_f64_e32 v[154:155], v[154:155], v[156:157]
	v_fma_f64 v[156:157], -v[148:149], v[154:155], 1.0
	v_fmac_f64_e32 v[154:155], v[154:155], v[156:157]
	v_div_scale_f64 v[156:157], vcc, 1.0, v[150:151], 1.0
	v_mul_f64 v[158:159], v[156:157], v[154:155]
	v_fma_f64 v[148:149], -v[148:149], v[158:159], v[156:157]
	s_nop 1
	v_div_fmas_f64 v[148:149], v[148:149], v[154:155], v[158:159]
	v_div_fixup_f64 v[154:155], v[148:149], v[150:151], 1.0
	v_mul_f64 v[152:153], v[152:153], v[154:155]
	v_xor_b32_e32 v155, 0x80000000, v155
                                        ; implicit-def: $vgpr148_vgpr149
.LBB63_50:
	s_andn2_saveexec_b64 s[2:3], s[2:3]
	s_cbranch_execz .LBB63_52
; %bb.51:
	v_div_scale_f64 v[152:153], s[10:11], v[148:149], v[148:149], v[150:151]
	v_rcp_f64_e32 v[154:155], v[152:153]
	v_div_scale_f64 v[156:157], vcc, v[150:151], v[148:149], v[150:151]
	v_fma_f64 v[158:159], -v[152:153], v[154:155], 1.0
	v_fmac_f64_e32 v[154:155], v[154:155], v[158:159]
	v_fma_f64 v[158:159], -v[152:153], v[154:155], 1.0
	v_fmac_f64_e32 v[154:155], v[154:155], v[158:159]
	v_mul_f64 v[158:159], v[156:157], v[154:155]
	v_fma_f64 v[152:153], -v[152:153], v[158:159], v[156:157]
	v_div_fmas_f64 v[152:153], v[152:153], v[154:155], v[158:159]
	v_div_fixup_f64 v[154:155], v[152:153], v[148:149], v[150:151]
	v_fmac_f64_e32 v[148:149], v[150:151], v[154:155]
	v_div_scale_f64 v[150:151], s[10:11], v[148:149], v[148:149], 1.0
	v_rcp_f64_e32 v[152:153], v[150:151]
	s_nop 0
	v_fma_f64 v[156:157], -v[150:151], v[152:153], 1.0
	v_fmac_f64_e32 v[152:153], v[152:153], v[156:157]
	v_fma_f64 v[156:157], -v[150:151], v[152:153], 1.0
	v_fmac_f64_e32 v[152:153], v[152:153], v[156:157]
	v_div_scale_f64 v[156:157], vcc, 1.0, v[148:149], 1.0
	v_mul_f64 v[158:159], v[156:157], v[152:153]
	v_fma_f64 v[150:151], -v[150:151], v[158:159], v[156:157]
	s_nop 1
	v_div_fmas_f64 v[150:151], v[150:151], v[152:153], v[158:159]
	v_div_fixup_f64 v[152:153], v[150:151], v[148:149], 1.0
	v_mul_f64 v[154:155], v[154:155], -v[152:153]
.LBB63_52:
	s_or_b64 exec, exec, s[2:3]
	ds_write2_b64 v121, v[152:153], v[154:155] offset1:1
.LBB63_53:
	s_or_b64 exec, exec, s[4:5]
	s_waitcnt lgkmcnt(0)
	s_barrier
	ds_read2_b64 v[148:151], v121 offset1:1
	v_cmp_lt_u32_e32 vcc, 5, v120
	s_and_saveexec_b64 s[2:3], vcc
	s_cbranch_execz .LBB63_55
; %bb.54:
	scratch_load_dwordx4 v[100:103], off, off ; 16-byte Folded Reload
	ds_read2_b64 v[154:157], v122 offset0:12 offset1:13
	ds_read2_b64 v[158:161], v122 offset0:14 offset1:15
	s_waitcnt vmcnt(0) lgkmcnt(2)
	v_mul_f64 v[152:153], v[150:151], v[102:103]
	v_mul_f64 v[102:103], v[148:149], v[102:103]
	v_fmac_f64_e32 v[102:103], v[150:151], v[100:101]
	v_fma_f64 v[152:153], v[148:149], v[100:101], -v[152:153]
	s_waitcnt lgkmcnt(1)
	v_mul_f64 v[100:101], v[156:157], v[102:103]
	v_fma_f64 v[100:101], v[154:155], v[152:153], -v[100:101]
	v_mul_f64 v[154:155], v[154:155], v[102:103]
	v_fmac_f64_e32 v[154:155], v[156:157], v[152:153]
	v_add_f64 v[96:97], v[96:97], -v[100:101]
	v_add_f64 v[98:99], v[98:99], -v[154:155]
	s_waitcnt lgkmcnt(0)
	v_mul_f64 v[100:101], v[160:161], v[102:103]
	ds_read2_b64 v[154:157], v122 offset0:16 offset1:17
	v_fma_f64 v[100:101], v[158:159], v[152:153], -v[100:101]
	v_mul_f64 v[158:159], v[158:159], v[102:103]
	v_fmac_f64_e32 v[158:159], v[160:161], v[152:153]
	v_add_f64 v[94:95], v[94:95], -v[158:159]
	ds_read2_b64 v[158:161], v122 offset0:18 offset1:19
	v_add_f64 v[92:93], v[92:93], -v[100:101]
	s_waitcnt lgkmcnt(1)
	v_mul_f64 v[100:101], v[156:157], v[102:103]
	v_fma_f64 v[100:101], v[154:155], v[152:153], -v[100:101]
	v_mul_f64 v[154:155], v[154:155], v[102:103]
	v_fmac_f64_e32 v[154:155], v[156:157], v[152:153]
	v_add_f64 v[88:89], v[88:89], -v[100:101]
	v_add_f64 v[90:91], v[90:91], -v[154:155]
	s_waitcnt lgkmcnt(0)
	v_mul_f64 v[100:101], v[160:161], v[102:103]
	ds_read2_b64 v[154:157], v122 offset0:20 offset1:21
	v_fma_f64 v[100:101], v[158:159], v[152:153], -v[100:101]
	v_mul_f64 v[158:159], v[158:159], v[102:103]
	v_fmac_f64_e32 v[158:159], v[160:161], v[152:153]
	v_add_f64 v[86:87], v[86:87], -v[158:159]
	ds_read2_b64 v[158:161], v122 offset0:22 offset1:23
	v_add_f64 v[84:85], v[84:85], -v[100:101]
	;; [unrolled: 16-line block ×12, first 2 shown]
	s_waitcnt lgkmcnt(1)
	v_mul_f64 v[100:101], v[156:157], v[102:103]
	v_fma_f64 v[100:101], v[154:155], v[152:153], -v[100:101]
	v_mul_f64 v[154:155], v[154:155], v[102:103]
	v_fmac_f64_e32 v[154:155], v[156:157], v[152:153]
	v_add_f64 v[0:1], v[0:1], -v[100:101]
	v_add_f64 v[2:3], v[2:3], -v[154:155]
	s_waitcnt lgkmcnt(0)
	v_mul_f64 v[100:101], v[160:161], v[102:103]
	v_mul_f64 v[154:155], v[158:159], v[102:103]
	v_fma_f64 v[100:101], v[158:159], v[152:153], -v[100:101]
	v_fmac_f64_e32 v[154:155], v[160:161], v[152:153]
	v_add_f64 v[124:125], v[124:125], -v[100:101]
	v_add_f64 v[126:127], v[126:127], -v[154:155]
	v_mov_b64_e32 v[100:101], v[152:153]
	scratch_store_dwordx4 off, v[100:103], off ; 16-byte Folded Spill
.LBB63_55:
	s_or_b64 exec, exec, s[2:3]
	v_cmp_eq_u32_e32 vcc, 6, v120
	s_waitcnt lgkmcnt(0)
	s_barrier
	s_and_saveexec_b64 s[4:5], vcc
	s_cbranch_execz .LBB63_62
; %bb.56:
	s_waitcnt vmcnt(51)
	ds_write2_b64 v121, v[96:97], v[98:99] offset1:1
	s_waitcnt vmcnt(50)
	ds_write2_b64 v122, v[92:93], v[94:95] offset0:14 offset1:15
	s_waitcnt vmcnt(49)
	ds_write2_b64 v122, v[88:89], v[90:91] offset0:16 offset1:17
	s_waitcnt vmcnt(48)
	ds_write2_b64 v122, v[84:85], v[86:87] offset0:18 offset1:19
	s_waitcnt vmcnt(47)
	ds_write2_b64 v122, v[80:81], v[82:83] offset0:20 offset1:21
	s_waitcnt vmcnt(46)
	ds_write2_b64 v122, v[76:77], v[78:79] offset0:22 offset1:23
	s_waitcnt vmcnt(45)
	ds_write2_b64 v122, v[72:73], v[74:75] offset0:24 offset1:25
	s_waitcnt vmcnt(44)
	ds_write2_b64 v122, v[68:69], v[70:71] offset0:26 offset1:27
	s_waitcnt vmcnt(43)
	ds_write2_b64 v122, v[64:65], v[66:67] offset0:28 offset1:29
	s_waitcnt vmcnt(42)
	ds_write2_b64 v122, v[60:61], v[62:63] offset0:30 offset1:31
	s_waitcnt vmcnt(41)
	ds_write2_b64 v122, v[56:57], v[58:59] offset0:32 offset1:33
	s_waitcnt vmcnt(40)
	ds_write2_b64 v122, v[52:53], v[54:55] offset0:34 offset1:35
	s_waitcnt vmcnt(39)
	ds_write2_b64 v122, v[48:49], v[50:51] offset0:36 offset1:37
	s_waitcnt vmcnt(38)
	ds_write2_b64 v122, v[44:45], v[46:47] offset0:38 offset1:39
	s_waitcnt vmcnt(19)
	ds_write2_b64 v122, v[40:41], v[42:43] offset0:40 offset1:41
	s_waitcnt vmcnt(18)
	ds_write2_b64 v122, v[36:37], v[38:39] offset0:42 offset1:43
	s_waitcnt vmcnt(17)
	ds_write2_b64 v122, v[32:33], v[34:35] offset0:44 offset1:45
	s_waitcnt vmcnt(16)
	ds_write2_b64 v122, v[28:29], v[30:31] offset0:46 offset1:47
	s_waitcnt vmcnt(15)
	ds_write2_b64 v122, v[24:25], v[26:27] offset0:48 offset1:49
	s_waitcnt vmcnt(14)
	ds_write2_b64 v122, v[20:21], v[22:23] offset0:50 offset1:51
	s_waitcnt vmcnt(13)
	ds_write2_b64 v122, v[16:17], v[18:19] offset0:52 offset1:53
	ds_write2_b64 v122, v[12:13], v[14:15] offset0:54 offset1:55
	ds_write2_b64 v122, v[8:9], v[10:11] offset0:56 offset1:57
	;; [unrolled: 1-line block ×4, first 2 shown]
	s_waitcnt vmcnt(10)
	ds_write2_b64 v122, v[124:125], v[126:127] offset0:62 offset1:63
	ds_read2_b64 v[152:155], v121 offset1:1
	s_waitcnt lgkmcnt(0)
	v_cmp_neq_f64_e32 vcc, 0, v[152:153]
	v_cmp_neq_f64_e64 s[2:3], 0, v[154:155]
	s_or_b64 s[2:3], vcc, s[2:3]
	s_and_b64 exec, exec, s[2:3]
	s_cbranch_execz .LBB63_62
; %bb.57:
	v_cmp_ngt_f64_e64 s[2:3], |v[152:153]|, |v[154:155]|
                                        ; implicit-def: $vgpr156_vgpr157
	s_and_saveexec_b64 s[10:11], s[2:3]
	s_xor_b64 s[2:3], exec, s[10:11]
                                        ; implicit-def: $vgpr158_vgpr159
	s_cbranch_execz .LBB63_59
; %bb.58:
	v_div_scale_f64 v[156:157], s[10:11], v[154:155], v[154:155], v[152:153]
	v_rcp_f64_e32 v[158:159], v[156:157]
	v_div_scale_f64 v[160:161], vcc, v[152:153], v[154:155], v[152:153]
	v_fma_f64 v[162:163], -v[156:157], v[158:159], 1.0
	v_fmac_f64_e32 v[158:159], v[158:159], v[162:163]
	v_fma_f64 v[162:163], -v[156:157], v[158:159], 1.0
	v_fmac_f64_e32 v[158:159], v[158:159], v[162:163]
	v_mul_f64 v[162:163], v[160:161], v[158:159]
	v_fma_f64 v[156:157], -v[156:157], v[162:163], v[160:161]
	v_div_fmas_f64 v[156:157], v[156:157], v[158:159], v[162:163]
	v_div_fixup_f64 v[156:157], v[156:157], v[154:155], v[152:153]
	v_fmac_f64_e32 v[154:155], v[152:153], v[156:157]
	v_div_scale_f64 v[152:153], s[10:11], v[154:155], v[154:155], 1.0
	v_rcp_f64_e32 v[158:159], v[152:153]
	s_nop 0
	v_fma_f64 v[160:161], -v[152:153], v[158:159], 1.0
	v_fmac_f64_e32 v[158:159], v[158:159], v[160:161]
	v_fma_f64 v[160:161], -v[152:153], v[158:159], 1.0
	v_fmac_f64_e32 v[158:159], v[158:159], v[160:161]
	v_div_scale_f64 v[160:161], vcc, 1.0, v[154:155], 1.0
	v_mul_f64 v[162:163], v[160:161], v[158:159]
	v_fma_f64 v[152:153], -v[152:153], v[162:163], v[160:161]
	s_nop 1
	v_div_fmas_f64 v[152:153], v[152:153], v[158:159], v[162:163]
	v_div_fixup_f64 v[158:159], v[152:153], v[154:155], 1.0
	v_mul_f64 v[156:157], v[156:157], v[158:159]
	v_xor_b32_e32 v159, 0x80000000, v159
                                        ; implicit-def: $vgpr152_vgpr153
.LBB63_59:
	s_andn2_saveexec_b64 s[2:3], s[2:3]
	s_cbranch_execz .LBB63_61
; %bb.60:
	v_div_scale_f64 v[156:157], s[10:11], v[152:153], v[152:153], v[154:155]
	v_rcp_f64_e32 v[158:159], v[156:157]
	v_div_scale_f64 v[160:161], vcc, v[154:155], v[152:153], v[154:155]
	v_fma_f64 v[162:163], -v[156:157], v[158:159], 1.0
	v_fmac_f64_e32 v[158:159], v[158:159], v[162:163]
	v_fma_f64 v[162:163], -v[156:157], v[158:159], 1.0
	v_fmac_f64_e32 v[158:159], v[158:159], v[162:163]
	v_mul_f64 v[162:163], v[160:161], v[158:159]
	v_fma_f64 v[156:157], -v[156:157], v[162:163], v[160:161]
	v_div_fmas_f64 v[156:157], v[156:157], v[158:159], v[162:163]
	v_div_fixup_f64 v[158:159], v[156:157], v[152:153], v[154:155]
	v_fmac_f64_e32 v[152:153], v[154:155], v[158:159]
	v_div_scale_f64 v[154:155], s[10:11], v[152:153], v[152:153], 1.0
	v_rcp_f64_e32 v[156:157], v[154:155]
	s_nop 0
	v_fma_f64 v[160:161], -v[154:155], v[156:157], 1.0
	v_fmac_f64_e32 v[156:157], v[156:157], v[160:161]
	v_fma_f64 v[160:161], -v[154:155], v[156:157], 1.0
	v_fmac_f64_e32 v[156:157], v[156:157], v[160:161]
	v_div_scale_f64 v[160:161], vcc, 1.0, v[152:153], 1.0
	v_mul_f64 v[162:163], v[160:161], v[156:157]
	v_fma_f64 v[154:155], -v[154:155], v[162:163], v[160:161]
	s_nop 1
	v_div_fmas_f64 v[154:155], v[154:155], v[156:157], v[162:163]
	v_div_fixup_f64 v[156:157], v[154:155], v[152:153], 1.0
	v_mul_f64 v[158:159], v[158:159], -v[156:157]
.LBB63_61:
	s_or_b64 exec, exec, s[2:3]
	ds_write2_b64 v121, v[156:157], v[158:159] offset1:1
.LBB63_62:
	s_or_b64 exec, exec, s[4:5]
	s_waitcnt lgkmcnt(0)
	s_barrier
	ds_read2_b64 v[152:155], v121 offset1:1
	v_cmp_lt_u32_e32 vcc, 6, v120
	s_and_saveexec_b64 s[2:3], vcc
	s_cbranch_execz .LBB63_64
; %bb.63:
	ds_read2_b64 v[158:161], v122 offset0:14 offset1:15
	ds_read2_b64 v[162:165], v122 offset0:16 offset1:17
	s_waitcnt vmcnt(51) lgkmcnt(2)
	v_mul_f64 v[156:157], v[154:155], v[98:99]
	v_mul_f64 v[98:99], v[152:153], v[98:99]
	v_fmac_f64_e32 v[98:99], v[154:155], v[96:97]
	v_fma_f64 v[156:157], v[152:153], v[96:97], -v[156:157]
	s_waitcnt lgkmcnt(1)
	v_mul_f64 v[96:97], v[160:161], v[98:99]
	v_fma_f64 v[96:97], v[158:159], v[156:157], -v[96:97]
	v_mul_f64 v[158:159], v[158:159], v[98:99]
	v_fmac_f64_e32 v[158:159], v[160:161], v[156:157]
	s_waitcnt vmcnt(50)
	v_add_f64 v[94:95], v[94:95], -v[158:159]
	ds_read2_b64 v[158:161], v122 offset0:18 offset1:19
	v_add_f64 v[92:93], v[92:93], -v[96:97]
	s_waitcnt lgkmcnt(1)
	v_mul_f64 v[96:97], v[164:165], v[98:99]
	v_fma_f64 v[96:97], v[162:163], v[156:157], -v[96:97]
	v_mul_f64 v[162:163], v[162:163], v[98:99]
	v_fmac_f64_e32 v[162:163], v[164:165], v[156:157]
	s_waitcnt vmcnt(49)
	v_add_f64 v[88:89], v[88:89], -v[96:97]
	v_add_f64 v[90:91], v[90:91], -v[162:163]
	ds_read2_b64 v[162:165], v122 offset0:20 offset1:21
	s_waitcnt lgkmcnt(1)
	v_mul_f64 v[96:97], v[160:161], v[98:99]
	v_fma_f64 v[96:97], v[158:159], v[156:157], -v[96:97]
	v_mul_f64 v[158:159], v[158:159], v[98:99]
	v_fmac_f64_e32 v[158:159], v[160:161], v[156:157]
	s_waitcnt vmcnt(48)
	v_add_f64 v[86:87], v[86:87], -v[158:159]
	ds_read2_b64 v[158:161], v122 offset0:22 offset1:23
	v_add_f64 v[84:85], v[84:85], -v[96:97]
	s_waitcnt lgkmcnt(1)
	v_mul_f64 v[96:97], v[164:165], v[98:99]
	v_fma_f64 v[96:97], v[162:163], v[156:157], -v[96:97]
	v_mul_f64 v[162:163], v[162:163], v[98:99]
	v_fmac_f64_e32 v[162:163], v[164:165], v[156:157]
	s_waitcnt vmcnt(47)
	v_add_f64 v[80:81], v[80:81], -v[96:97]
	v_add_f64 v[82:83], v[82:83], -v[162:163]
	ds_read2_b64 v[162:165], v122 offset0:24 offset1:25
	;; [unrolled: 18-line block ×10, first 2 shown]
	s_waitcnt lgkmcnt(1)
	v_mul_f64 v[96:97], v[160:161], v[98:99]
	v_fma_f64 v[96:97], v[158:159], v[156:157], -v[96:97]
	v_mul_f64 v[158:159], v[158:159], v[98:99]
	v_fmac_f64_e32 v[158:159], v[160:161], v[156:157]
	v_add_f64 v[14:15], v[14:15], -v[158:159]
	ds_read2_b64 v[158:161], v122 offset0:58 offset1:59
	v_add_f64 v[12:13], v[12:13], -v[96:97]
	s_waitcnt lgkmcnt(1)
	v_mul_f64 v[96:97], v[164:165], v[98:99]
	v_fma_f64 v[96:97], v[162:163], v[156:157], -v[96:97]
	v_mul_f64 v[162:163], v[162:163], v[98:99]
	v_fmac_f64_e32 v[162:163], v[164:165], v[156:157]
	v_add_f64 v[8:9], v[8:9], -v[96:97]
	v_add_f64 v[10:11], v[10:11], -v[162:163]
	ds_read2_b64 v[162:165], v122 offset0:60 offset1:61
	s_waitcnt lgkmcnt(1)
	v_mul_f64 v[96:97], v[160:161], v[98:99]
	v_fma_f64 v[96:97], v[158:159], v[156:157], -v[96:97]
	v_mul_f64 v[158:159], v[158:159], v[98:99]
	v_fmac_f64_e32 v[158:159], v[160:161], v[156:157]
	v_add_f64 v[6:7], v[6:7], -v[158:159]
	ds_read2_b64 v[158:161], v122 offset0:62 offset1:63
	v_add_f64 v[4:5], v[4:5], -v[96:97]
	s_waitcnt lgkmcnt(1)
	v_mul_f64 v[96:97], v[164:165], v[98:99]
	v_fma_f64 v[96:97], v[162:163], v[156:157], -v[96:97]
	v_add_f64 v[0:1], v[0:1], -v[96:97]
	s_waitcnt lgkmcnt(0)
	v_mul_f64 v[96:97], v[160:161], v[98:99]
	v_mul_f64 v[162:163], v[162:163], v[98:99]
	v_fma_f64 v[96:97], v[158:159], v[156:157], -v[96:97]
	v_mul_f64 v[158:159], v[158:159], v[98:99]
	v_fmac_f64_e32 v[162:163], v[164:165], v[156:157]
	v_fmac_f64_e32 v[158:159], v[160:161], v[156:157]
	v_add_f64 v[2:3], v[2:3], -v[162:163]
	s_waitcnt vmcnt(10)
	v_add_f64 v[124:125], v[124:125], -v[96:97]
	v_add_f64 v[126:127], v[126:127], -v[158:159]
	v_mov_b64_e32 v[96:97], v[156:157]
.LBB63_64:
	s_or_b64 exec, exec, s[2:3]
	v_cmp_eq_u32_e32 vcc, 7, v120
	s_waitcnt lgkmcnt(0)
	s_barrier
	s_and_saveexec_b64 s[4:5], vcc
	s_cbranch_execz .LBB63_71
; %bb.65:
	s_waitcnt vmcnt(50)
	ds_write2_b64 v121, v[92:93], v[94:95] offset1:1
	s_waitcnt vmcnt(49)
	ds_write2_b64 v122, v[88:89], v[90:91] offset0:16 offset1:17
	s_waitcnt vmcnt(48)
	ds_write2_b64 v122, v[84:85], v[86:87] offset0:18 offset1:19
	;; [unrolled: 2-line block ×19, first 2 shown]
	ds_write2_b64 v122, v[12:13], v[14:15] offset0:54 offset1:55
	ds_write2_b64 v122, v[8:9], v[10:11] offset0:56 offset1:57
	;; [unrolled: 1-line block ×4, first 2 shown]
	s_waitcnt vmcnt(10)
	ds_write2_b64 v122, v[124:125], v[126:127] offset0:62 offset1:63
	ds_read2_b64 v[156:159], v121 offset1:1
	s_waitcnt lgkmcnt(0)
	v_cmp_neq_f64_e32 vcc, 0, v[156:157]
	v_cmp_neq_f64_e64 s[2:3], 0, v[158:159]
	s_or_b64 s[2:3], vcc, s[2:3]
	s_and_b64 exec, exec, s[2:3]
	s_cbranch_execz .LBB63_71
; %bb.66:
	v_cmp_ngt_f64_e64 s[2:3], |v[156:157]|, |v[158:159]|
                                        ; implicit-def: $vgpr160_vgpr161
	s_and_saveexec_b64 s[10:11], s[2:3]
	s_xor_b64 s[2:3], exec, s[10:11]
                                        ; implicit-def: $vgpr162_vgpr163
	s_cbranch_execz .LBB63_68
; %bb.67:
	v_div_scale_f64 v[160:161], s[10:11], v[158:159], v[158:159], v[156:157]
	v_rcp_f64_e32 v[162:163], v[160:161]
	v_div_scale_f64 v[164:165], vcc, v[156:157], v[158:159], v[156:157]
	v_fma_f64 v[166:167], -v[160:161], v[162:163], 1.0
	v_fmac_f64_e32 v[162:163], v[162:163], v[166:167]
	v_fma_f64 v[166:167], -v[160:161], v[162:163], 1.0
	v_fmac_f64_e32 v[162:163], v[162:163], v[166:167]
	v_mul_f64 v[166:167], v[164:165], v[162:163]
	v_fma_f64 v[160:161], -v[160:161], v[166:167], v[164:165]
	v_div_fmas_f64 v[160:161], v[160:161], v[162:163], v[166:167]
	v_div_fixup_f64 v[160:161], v[160:161], v[158:159], v[156:157]
	v_fmac_f64_e32 v[158:159], v[156:157], v[160:161]
	v_div_scale_f64 v[156:157], s[10:11], v[158:159], v[158:159], 1.0
	v_rcp_f64_e32 v[162:163], v[156:157]
	s_nop 0
	v_fma_f64 v[164:165], -v[156:157], v[162:163], 1.0
	v_fmac_f64_e32 v[162:163], v[162:163], v[164:165]
	v_fma_f64 v[164:165], -v[156:157], v[162:163], 1.0
	v_fmac_f64_e32 v[162:163], v[162:163], v[164:165]
	v_div_scale_f64 v[164:165], vcc, 1.0, v[158:159], 1.0
	v_mul_f64 v[166:167], v[164:165], v[162:163]
	v_fma_f64 v[156:157], -v[156:157], v[166:167], v[164:165]
	s_nop 1
	v_div_fmas_f64 v[156:157], v[156:157], v[162:163], v[166:167]
	v_div_fixup_f64 v[162:163], v[156:157], v[158:159], 1.0
	v_mul_f64 v[160:161], v[160:161], v[162:163]
	v_xor_b32_e32 v163, 0x80000000, v163
                                        ; implicit-def: $vgpr156_vgpr157
.LBB63_68:
	s_andn2_saveexec_b64 s[2:3], s[2:3]
	s_cbranch_execz .LBB63_70
; %bb.69:
	v_div_scale_f64 v[160:161], s[10:11], v[156:157], v[156:157], v[158:159]
	v_rcp_f64_e32 v[162:163], v[160:161]
	v_div_scale_f64 v[164:165], vcc, v[158:159], v[156:157], v[158:159]
	v_fma_f64 v[166:167], -v[160:161], v[162:163], 1.0
	v_fmac_f64_e32 v[162:163], v[162:163], v[166:167]
	v_fma_f64 v[166:167], -v[160:161], v[162:163], 1.0
	v_fmac_f64_e32 v[162:163], v[162:163], v[166:167]
	v_mul_f64 v[166:167], v[164:165], v[162:163]
	v_fma_f64 v[160:161], -v[160:161], v[166:167], v[164:165]
	v_div_fmas_f64 v[160:161], v[160:161], v[162:163], v[166:167]
	v_div_fixup_f64 v[162:163], v[160:161], v[156:157], v[158:159]
	v_fmac_f64_e32 v[156:157], v[158:159], v[162:163]
	v_div_scale_f64 v[158:159], s[10:11], v[156:157], v[156:157], 1.0
	v_rcp_f64_e32 v[160:161], v[158:159]
	s_nop 0
	v_fma_f64 v[164:165], -v[158:159], v[160:161], 1.0
	v_fmac_f64_e32 v[160:161], v[160:161], v[164:165]
	v_fma_f64 v[164:165], -v[158:159], v[160:161], 1.0
	v_fmac_f64_e32 v[160:161], v[160:161], v[164:165]
	v_div_scale_f64 v[164:165], vcc, 1.0, v[156:157], 1.0
	v_mul_f64 v[166:167], v[164:165], v[160:161]
	v_fma_f64 v[158:159], -v[158:159], v[166:167], v[164:165]
	s_nop 1
	v_div_fmas_f64 v[158:159], v[158:159], v[160:161], v[166:167]
	v_div_fixup_f64 v[160:161], v[158:159], v[156:157], 1.0
	v_mul_f64 v[162:163], v[162:163], -v[160:161]
.LBB63_70:
	s_or_b64 exec, exec, s[2:3]
	ds_write2_b64 v121, v[160:161], v[162:163] offset1:1
.LBB63_71:
	s_or_b64 exec, exec, s[4:5]
	s_waitcnt lgkmcnt(0)
	s_barrier
	ds_read2_b64 v[156:159], v121 offset1:1
	v_cmp_lt_u32_e32 vcc, 7, v120
	s_and_saveexec_b64 s[2:3], vcc
	s_cbranch_execz .LBB63_73
; %bb.72:
	ds_read2_b64 v[162:165], v122 offset0:16 offset1:17
	ds_read2_b64 v[166:169], v122 offset0:18 offset1:19
	s_waitcnt vmcnt(50) lgkmcnt(2)
	v_mul_f64 v[160:161], v[158:159], v[94:95]
	v_mul_f64 v[94:95], v[156:157], v[94:95]
	v_fmac_f64_e32 v[94:95], v[158:159], v[92:93]
	v_fma_f64 v[160:161], v[156:157], v[92:93], -v[160:161]
	s_waitcnt lgkmcnt(1)
	v_mul_f64 v[92:93], v[164:165], v[94:95]
	v_fma_f64 v[92:93], v[162:163], v[160:161], -v[92:93]
	v_mul_f64 v[162:163], v[162:163], v[94:95]
	v_fmac_f64_e32 v[162:163], v[164:165], v[160:161]
	s_waitcnt vmcnt(49)
	v_add_f64 v[88:89], v[88:89], -v[92:93]
	v_add_f64 v[90:91], v[90:91], -v[162:163]
	s_waitcnt lgkmcnt(0)
	v_mul_f64 v[92:93], v[168:169], v[94:95]
	ds_read2_b64 v[162:165], v122 offset0:20 offset1:21
	v_fma_f64 v[92:93], v[166:167], v[160:161], -v[92:93]
	v_mul_f64 v[166:167], v[166:167], v[94:95]
	v_fmac_f64_e32 v[166:167], v[168:169], v[160:161]
	s_waitcnt vmcnt(48)
	v_add_f64 v[86:87], v[86:87], -v[166:167]
	ds_read2_b64 v[166:169], v122 offset0:22 offset1:23
	v_add_f64 v[84:85], v[84:85], -v[92:93]
	s_waitcnt lgkmcnt(1)
	v_mul_f64 v[92:93], v[164:165], v[94:95]
	v_fma_f64 v[92:93], v[162:163], v[160:161], -v[92:93]
	v_mul_f64 v[162:163], v[162:163], v[94:95]
	v_fmac_f64_e32 v[162:163], v[164:165], v[160:161]
	s_waitcnt vmcnt(47)
	v_add_f64 v[80:81], v[80:81], -v[92:93]
	v_add_f64 v[82:83], v[82:83], -v[162:163]
	s_waitcnt lgkmcnt(0)
	v_mul_f64 v[92:93], v[168:169], v[94:95]
	ds_read2_b64 v[162:165], v122 offset0:24 offset1:25
	v_fma_f64 v[92:93], v[166:167], v[160:161], -v[92:93]
	v_mul_f64 v[166:167], v[166:167], v[94:95]
	v_fmac_f64_e32 v[166:167], v[168:169], v[160:161]
	s_waitcnt vmcnt(46)
	v_add_f64 v[78:79], v[78:79], -v[166:167]
	ds_read2_b64 v[166:169], v122 offset0:26 offset1:27
	v_add_f64 v[76:77], v[76:77], -v[92:93]
	;; [unrolled: 18-line block ×9, first 2 shown]
	s_waitcnt lgkmcnt(1)
	v_mul_f64 v[92:93], v[164:165], v[94:95]
	v_fma_f64 v[92:93], v[162:163], v[160:161], -v[92:93]
	v_mul_f64 v[162:163], v[162:163], v[94:95]
	v_fmac_f64_e32 v[162:163], v[164:165], v[160:161]
	s_waitcnt vmcnt(13)
	v_add_f64 v[16:17], v[16:17], -v[92:93]
	v_add_f64 v[18:19], v[18:19], -v[162:163]
	s_waitcnt lgkmcnt(0)
	v_mul_f64 v[92:93], v[168:169], v[94:95]
	ds_read2_b64 v[162:165], v122 offset0:56 offset1:57
	v_fma_f64 v[92:93], v[166:167], v[160:161], -v[92:93]
	v_mul_f64 v[166:167], v[166:167], v[94:95]
	v_fmac_f64_e32 v[166:167], v[168:169], v[160:161]
	v_add_f64 v[14:15], v[14:15], -v[166:167]
	ds_read2_b64 v[166:169], v122 offset0:58 offset1:59
	v_add_f64 v[12:13], v[12:13], -v[92:93]
	s_waitcnt lgkmcnt(1)
	v_mul_f64 v[92:93], v[164:165], v[94:95]
	v_fma_f64 v[92:93], v[162:163], v[160:161], -v[92:93]
	v_mul_f64 v[162:163], v[162:163], v[94:95]
	v_fmac_f64_e32 v[162:163], v[164:165], v[160:161]
	v_add_f64 v[8:9], v[8:9], -v[92:93]
	v_add_f64 v[10:11], v[10:11], -v[162:163]
	s_waitcnt lgkmcnt(0)
	v_mul_f64 v[92:93], v[168:169], v[94:95]
	ds_read2_b64 v[162:165], v122 offset0:60 offset1:61
	v_fma_f64 v[92:93], v[166:167], v[160:161], -v[92:93]
	v_mul_f64 v[166:167], v[166:167], v[94:95]
	v_fmac_f64_e32 v[166:167], v[168:169], v[160:161]
	v_add_f64 v[6:7], v[6:7], -v[166:167]
	ds_read2_b64 v[166:169], v122 offset0:62 offset1:63
	v_add_f64 v[4:5], v[4:5], -v[92:93]
	s_waitcnt lgkmcnt(1)
	v_mul_f64 v[92:93], v[164:165], v[94:95]
	v_fma_f64 v[92:93], v[162:163], v[160:161], -v[92:93]
	v_mul_f64 v[162:163], v[162:163], v[94:95]
	v_fmac_f64_e32 v[162:163], v[164:165], v[160:161]
	v_add_f64 v[0:1], v[0:1], -v[92:93]
	v_add_f64 v[2:3], v[2:3], -v[162:163]
	s_waitcnt lgkmcnt(0)
	v_mul_f64 v[92:93], v[168:169], v[94:95]
	v_mul_f64 v[162:163], v[166:167], v[94:95]
	v_fma_f64 v[92:93], v[166:167], v[160:161], -v[92:93]
	v_fmac_f64_e32 v[162:163], v[168:169], v[160:161]
	s_waitcnt vmcnt(10)
	v_add_f64 v[124:125], v[124:125], -v[92:93]
	v_add_f64 v[126:127], v[126:127], -v[162:163]
	v_mov_b64_e32 v[92:93], v[160:161]
.LBB63_73:
	s_or_b64 exec, exec, s[2:3]
	v_cmp_eq_u32_e32 vcc, 8, v120
	s_waitcnt lgkmcnt(0)
	s_barrier
	s_and_saveexec_b64 s[4:5], vcc
	s_cbranch_execz .LBB63_80
; %bb.74:
	s_waitcnt vmcnt(49)
	ds_write2_b64 v121, v[88:89], v[90:91] offset1:1
	s_waitcnt vmcnt(48)
	ds_write2_b64 v122, v[84:85], v[86:87] offset0:18 offset1:19
	s_waitcnt vmcnt(47)
	ds_write2_b64 v122, v[80:81], v[82:83] offset0:20 offset1:21
	;; [unrolled: 2-line block ×18, first 2 shown]
	ds_write2_b64 v122, v[12:13], v[14:15] offset0:54 offset1:55
	ds_write2_b64 v122, v[8:9], v[10:11] offset0:56 offset1:57
	;; [unrolled: 1-line block ×4, first 2 shown]
	s_waitcnt vmcnt(10)
	ds_write2_b64 v122, v[124:125], v[126:127] offset0:62 offset1:63
	ds_read2_b64 v[160:163], v121 offset1:1
	s_waitcnt lgkmcnt(0)
	v_cmp_neq_f64_e32 vcc, 0, v[160:161]
	v_cmp_neq_f64_e64 s[2:3], 0, v[162:163]
	s_or_b64 s[2:3], vcc, s[2:3]
	s_and_b64 exec, exec, s[2:3]
	s_cbranch_execz .LBB63_80
; %bb.75:
	v_cmp_ngt_f64_e64 s[2:3], |v[160:161]|, |v[162:163]|
                                        ; implicit-def: $vgpr164_vgpr165
	s_and_saveexec_b64 s[10:11], s[2:3]
	s_xor_b64 s[2:3], exec, s[10:11]
                                        ; implicit-def: $vgpr166_vgpr167
	s_cbranch_execz .LBB63_77
; %bb.76:
	v_div_scale_f64 v[164:165], s[10:11], v[162:163], v[162:163], v[160:161]
	v_rcp_f64_e32 v[166:167], v[164:165]
	v_div_scale_f64 v[168:169], vcc, v[160:161], v[162:163], v[160:161]
	v_fma_f64 v[170:171], -v[164:165], v[166:167], 1.0
	v_fmac_f64_e32 v[166:167], v[166:167], v[170:171]
	v_fma_f64 v[170:171], -v[164:165], v[166:167], 1.0
	v_fmac_f64_e32 v[166:167], v[166:167], v[170:171]
	v_mul_f64 v[170:171], v[168:169], v[166:167]
	v_fma_f64 v[164:165], -v[164:165], v[170:171], v[168:169]
	v_div_fmas_f64 v[164:165], v[164:165], v[166:167], v[170:171]
	v_div_fixup_f64 v[164:165], v[164:165], v[162:163], v[160:161]
	v_fmac_f64_e32 v[162:163], v[160:161], v[164:165]
	v_div_scale_f64 v[160:161], s[10:11], v[162:163], v[162:163], 1.0
	v_rcp_f64_e32 v[166:167], v[160:161]
	s_nop 0
	v_fma_f64 v[168:169], -v[160:161], v[166:167], 1.0
	v_fmac_f64_e32 v[166:167], v[166:167], v[168:169]
	v_fma_f64 v[168:169], -v[160:161], v[166:167], 1.0
	v_fmac_f64_e32 v[166:167], v[166:167], v[168:169]
	v_div_scale_f64 v[168:169], vcc, 1.0, v[162:163], 1.0
	v_mul_f64 v[170:171], v[168:169], v[166:167]
	v_fma_f64 v[160:161], -v[160:161], v[170:171], v[168:169]
	s_nop 1
	v_div_fmas_f64 v[160:161], v[160:161], v[166:167], v[170:171]
	v_div_fixup_f64 v[166:167], v[160:161], v[162:163], 1.0
	v_mul_f64 v[164:165], v[164:165], v[166:167]
	v_xor_b32_e32 v167, 0x80000000, v167
                                        ; implicit-def: $vgpr160_vgpr161
.LBB63_77:
	s_andn2_saveexec_b64 s[2:3], s[2:3]
	s_cbranch_execz .LBB63_79
; %bb.78:
	v_div_scale_f64 v[164:165], s[10:11], v[160:161], v[160:161], v[162:163]
	v_rcp_f64_e32 v[166:167], v[164:165]
	v_div_scale_f64 v[168:169], vcc, v[162:163], v[160:161], v[162:163]
	v_fma_f64 v[170:171], -v[164:165], v[166:167], 1.0
	v_fmac_f64_e32 v[166:167], v[166:167], v[170:171]
	v_fma_f64 v[170:171], -v[164:165], v[166:167], 1.0
	v_fmac_f64_e32 v[166:167], v[166:167], v[170:171]
	v_mul_f64 v[170:171], v[168:169], v[166:167]
	v_fma_f64 v[164:165], -v[164:165], v[170:171], v[168:169]
	v_div_fmas_f64 v[164:165], v[164:165], v[166:167], v[170:171]
	v_div_fixup_f64 v[166:167], v[164:165], v[160:161], v[162:163]
	v_fmac_f64_e32 v[160:161], v[162:163], v[166:167]
	v_div_scale_f64 v[162:163], s[10:11], v[160:161], v[160:161], 1.0
	v_rcp_f64_e32 v[164:165], v[162:163]
	s_nop 0
	v_fma_f64 v[168:169], -v[162:163], v[164:165], 1.0
	v_fmac_f64_e32 v[164:165], v[164:165], v[168:169]
	v_fma_f64 v[168:169], -v[162:163], v[164:165], 1.0
	v_fmac_f64_e32 v[164:165], v[164:165], v[168:169]
	v_div_scale_f64 v[168:169], vcc, 1.0, v[160:161], 1.0
	v_mul_f64 v[170:171], v[168:169], v[164:165]
	v_fma_f64 v[162:163], -v[162:163], v[170:171], v[168:169]
	s_nop 1
	v_div_fmas_f64 v[162:163], v[162:163], v[164:165], v[170:171]
	v_div_fixup_f64 v[164:165], v[162:163], v[160:161], 1.0
	v_mul_f64 v[166:167], v[166:167], -v[164:165]
.LBB63_79:
	s_or_b64 exec, exec, s[2:3]
	ds_write2_b64 v121, v[164:165], v[166:167] offset1:1
.LBB63_80:
	s_or_b64 exec, exec, s[4:5]
	s_waitcnt lgkmcnt(0)
	s_barrier
	ds_read2_b64 v[160:163], v121 offset1:1
	v_cmp_lt_u32_e32 vcc, 8, v120
	s_and_saveexec_b64 s[2:3], vcc
	s_cbranch_execz .LBB63_82
; %bb.81:
	ds_read2_b64 v[166:169], v122 offset0:18 offset1:19
	ds_read2_b64 v[170:173], v122 offset0:20 offset1:21
	s_waitcnt vmcnt(49) lgkmcnt(2)
	v_mul_f64 v[164:165], v[162:163], v[90:91]
	v_mul_f64 v[90:91], v[160:161], v[90:91]
	v_fmac_f64_e32 v[90:91], v[162:163], v[88:89]
	v_fma_f64 v[164:165], v[160:161], v[88:89], -v[164:165]
	s_waitcnt lgkmcnt(1)
	v_mul_f64 v[88:89], v[168:169], v[90:91]
	v_fma_f64 v[88:89], v[166:167], v[164:165], -v[88:89]
	v_mul_f64 v[166:167], v[166:167], v[90:91]
	v_fmac_f64_e32 v[166:167], v[168:169], v[164:165]
	s_waitcnt vmcnt(48)
	v_add_f64 v[86:87], v[86:87], -v[166:167]
	ds_read2_b64 v[166:169], v122 offset0:22 offset1:23
	v_add_f64 v[84:85], v[84:85], -v[88:89]
	s_waitcnt lgkmcnt(1)
	v_mul_f64 v[88:89], v[172:173], v[90:91]
	v_fma_f64 v[88:89], v[170:171], v[164:165], -v[88:89]
	v_mul_f64 v[170:171], v[170:171], v[90:91]
	v_fmac_f64_e32 v[170:171], v[172:173], v[164:165]
	s_waitcnt vmcnt(47)
	v_add_f64 v[80:81], v[80:81], -v[88:89]
	v_add_f64 v[82:83], v[82:83], -v[170:171]
	ds_read2_b64 v[170:173], v122 offset0:24 offset1:25
	s_waitcnt lgkmcnt(1)
	v_mul_f64 v[88:89], v[168:169], v[90:91]
	v_fma_f64 v[88:89], v[166:167], v[164:165], -v[88:89]
	v_mul_f64 v[166:167], v[166:167], v[90:91]
	v_fmac_f64_e32 v[166:167], v[168:169], v[164:165]
	s_waitcnt vmcnt(46)
	v_add_f64 v[78:79], v[78:79], -v[166:167]
	ds_read2_b64 v[166:169], v122 offset0:26 offset1:27
	v_add_f64 v[76:77], v[76:77], -v[88:89]
	s_waitcnt lgkmcnt(1)
	v_mul_f64 v[88:89], v[172:173], v[90:91]
	v_fma_f64 v[88:89], v[170:171], v[164:165], -v[88:89]
	v_mul_f64 v[170:171], v[170:171], v[90:91]
	v_fmac_f64_e32 v[170:171], v[172:173], v[164:165]
	s_waitcnt vmcnt(45)
	v_add_f64 v[72:73], v[72:73], -v[88:89]
	v_add_f64 v[74:75], v[74:75], -v[170:171]
	ds_read2_b64 v[170:173], v122 offset0:28 offset1:29
	;; [unrolled: 18-line block ×9, first 2 shown]
	s_waitcnt lgkmcnt(1)
	v_mul_f64 v[88:89], v[168:169], v[90:91]
	v_fma_f64 v[88:89], v[166:167], v[164:165], -v[88:89]
	v_mul_f64 v[166:167], v[166:167], v[90:91]
	v_fmac_f64_e32 v[166:167], v[168:169], v[164:165]
	v_add_f64 v[14:15], v[14:15], -v[166:167]
	ds_read2_b64 v[166:169], v122 offset0:58 offset1:59
	v_add_f64 v[12:13], v[12:13], -v[88:89]
	s_waitcnt lgkmcnt(1)
	v_mul_f64 v[88:89], v[172:173], v[90:91]
	v_fma_f64 v[88:89], v[170:171], v[164:165], -v[88:89]
	v_mul_f64 v[170:171], v[170:171], v[90:91]
	v_fmac_f64_e32 v[170:171], v[172:173], v[164:165]
	v_add_f64 v[8:9], v[8:9], -v[88:89]
	v_add_f64 v[10:11], v[10:11], -v[170:171]
	ds_read2_b64 v[170:173], v122 offset0:60 offset1:61
	s_waitcnt lgkmcnt(1)
	v_mul_f64 v[88:89], v[168:169], v[90:91]
	v_fma_f64 v[88:89], v[166:167], v[164:165], -v[88:89]
	v_mul_f64 v[166:167], v[166:167], v[90:91]
	v_fmac_f64_e32 v[166:167], v[168:169], v[164:165]
	v_add_f64 v[6:7], v[6:7], -v[166:167]
	ds_read2_b64 v[166:169], v122 offset0:62 offset1:63
	v_add_f64 v[4:5], v[4:5], -v[88:89]
	s_waitcnt lgkmcnt(1)
	v_mul_f64 v[88:89], v[172:173], v[90:91]
	v_fma_f64 v[88:89], v[170:171], v[164:165], -v[88:89]
	v_add_f64 v[0:1], v[0:1], -v[88:89]
	s_waitcnt lgkmcnt(0)
	v_mul_f64 v[88:89], v[168:169], v[90:91]
	v_mul_f64 v[170:171], v[170:171], v[90:91]
	v_fma_f64 v[88:89], v[166:167], v[164:165], -v[88:89]
	v_mul_f64 v[166:167], v[166:167], v[90:91]
	v_fmac_f64_e32 v[170:171], v[172:173], v[164:165]
	v_fmac_f64_e32 v[166:167], v[168:169], v[164:165]
	v_add_f64 v[2:3], v[2:3], -v[170:171]
	s_waitcnt vmcnt(10)
	v_add_f64 v[124:125], v[124:125], -v[88:89]
	v_add_f64 v[126:127], v[126:127], -v[166:167]
	v_mov_b64_e32 v[88:89], v[164:165]
.LBB63_82:
	s_or_b64 exec, exec, s[2:3]
	v_cmp_eq_u32_e32 vcc, 9, v120
	s_waitcnt lgkmcnt(0)
	s_barrier
	s_and_saveexec_b64 s[4:5], vcc
	s_cbranch_execz .LBB63_89
; %bb.83:
	s_waitcnt vmcnt(48)
	ds_write2_b64 v121, v[84:85], v[86:87] offset1:1
	s_waitcnt vmcnt(47)
	ds_write2_b64 v122, v[80:81], v[82:83] offset0:20 offset1:21
	s_waitcnt vmcnt(46)
	ds_write2_b64 v122, v[76:77], v[78:79] offset0:22 offset1:23
	;; [unrolled: 2-line block ×17, first 2 shown]
	ds_write2_b64 v122, v[12:13], v[14:15] offset0:54 offset1:55
	ds_write2_b64 v122, v[8:9], v[10:11] offset0:56 offset1:57
	;; [unrolled: 1-line block ×4, first 2 shown]
	s_waitcnt vmcnt(10)
	ds_write2_b64 v122, v[124:125], v[126:127] offset0:62 offset1:63
	ds_read2_b64 v[164:167], v121 offset1:1
	s_waitcnt lgkmcnt(0)
	v_cmp_neq_f64_e32 vcc, 0, v[164:165]
	v_cmp_neq_f64_e64 s[2:3], 0, v[166:167]
	s_or_b64 s[2:3], vcc, s[2:3]
	s_and_b64 exec, exec, s[2:3]
	s_cbranch_execz .LBB63_89
; %bb.84:
	v_cmp_ngt_f64_e64 s[2:3], |v[164:165]|, |v[166:167]|
                                        ; implicit-def: $vgpr168_vgpr169
	s_and_saveexec_b64 s[10:11], s[2:3]
	s_xor_b64 s[2:3], exec, s[10:11]
                                        ; implicit-def: $vgpr170_vgpr171
	s_cbranch_execz .LBB63_86
; %bb.85:
	v_div_scale_f64 v[168:169], s[10:11], v[166:167], v[166:167], v[164:165]
	v_rcp_f64_e32 v[170:171], v[168:169]
	v_div_scale_f64 v[172:173], vcc, v[164:165], v[166:167], v[164:165]
	v_fma_f64 v[174:175], -v[168:169], v[170:171], 1.0
	v_fmac_f64_e32 v[170:171], v[170:171], v[174:175]
	v_fma_f64 v[174:175], -v[168:169], v[170:171], 1.0
	v_fmac_f64_e32 v[170:171], v[170:171], v[174:175]
	v_mul_f64 v[174:175], v[172:173], v[170:171]
	v_fma_f64 v[168:169], -v[168:169], v[174:175], v[172:173]
	v_div_fmas_f64 v[168:169], v[168:169], v[170:171], v[174:175]
	v_div_fixup_f64 v[168:169], v[168:169], v[166:167], v[164:165]
	v_fmac_f64_e32 v[166:167], v[164:165], v[168:169]
	v_div_scale_f64 v[164:165], s[10:11], v[166:167], v[166:167], 1.0
	v_rcp_f64_e32 v[170:171], v[164:165]
	s_nop 0
	v_fma_f64 v[172:173], -v[164:165], v[170:171], 1.0
	v_fmac_f64_e32 v[170:171], v[170:171], v[172:173]
	v_fma_f64 v[172:173], -v[164:165], v[170:171], 1.0
	v_fmac_f64_e32 v[170:171], v[170:171], v[172:173]
	v_div_scale_f64 v[172:173], vcc, 1.0, v[166:167], 1.0
	v_mul_f64 v[174:175], v[172:173], v[170:171]
	v_fma_f64 v[164:165], -v[164:165], v[174:175], v[172:173]
	s_nop 1
	v_div_fmas_f64 v[164:165], v[164:165], v[170:171], v[174:175]
	v_div_fixup_f64 v[170:171], v[164:165], v[166:167], 1.0
	v_mul_f64 v[168:169], v[168:169], v[170:171]
	v_xor_b32_e32 v171, 0x80000000, v171
                                        ; implicit-def: $vgpr164_vgpr165
.LBB63_86:
	s_andn2_saveexec_b64 s[2:3], s[2:3]
	s_cbranch_execz .LBB63_88
; %bb.87:
	v_div_scale_f64 v[168:169], s[10:11], v[164:165], v[164:165], v[166:167]
	v_rcp_f64_e32 v[170:171], v[168:169]
	v_div_scale_f64 v[172:173], vcc, v[166:167], v[164:165], v[166:167]
	v_fma_f64 v[174:175], -v[168:169], v[170:171], 1.0
	v_fmac_f64_e32 v[170:171], v[170:171], v[174:175]
	v_fma_f64 v[174:175], -v[168:169], v[170:171], 1.0
	v_fmac_f64_e32 v[170:171], v[170:171], v[174:175]
	v_mul_f64 v[174:175], v[172:173], v[170:171]
	v_fma_f64 v[168:169], -v[168:169], v[174:175], v[172:173]
	v_div_fmas_f64 v[168:169], v[168:169], v[170:171], v[174:175]
	v_div_fixup_f64 v[170:171], v[168:169], v[164:165], v[166:167]
	v_fmac_f64_e32 v[164:165], v[166:167], v[170:171]
	v_div_scale_f64 v[166:167], s[10:11], v[164:165], v[164:165], 1.0
	v_rcp_f64_e32 v[168:169], v[166:167]
	s_nop 0
	v_fma_f64 v[172:173], -v[166:167], v[168:169], 1.0
	v_fmac_f64_e32 v[168:169], v[168:169], v[172:173]
	v_fma_f64 v[172:173], -v[166:167], v[168:169], 1.0
	v_fmac_f64_e32 v[168:169], v[168:169], v[172:173]
	v_div_scale_f64 v[172:173], vcc, 1.0, v[164:165], 1.0
	v_mul_f64 v[174:175], v[172:173], v[168:169]
	v_fma_f64 v[166:167], -v[166:167], v[174:175], v[172:173]
	s_nop 1
	v_div_fmas_f64 v[166:167], v[166:167], v[168:169], v[174:175]
	v_div_fixup_f64 v[168:169], v[166:167], v[164:165], 1.0
	v_mul_f64 v[170:171], v[170:171], -v[168:169]
.LBB63_88:
	s_or_b64 exec, exec, s[2:3]
	ds_write2_b64 v121, v[168:169], v[170:171] offset1:1
.LBB63_89:
	s_or_b64 exec, exec, s[4:5]
	s_waitcnt lgkmcnt(0)
	s_barrier
	ds_read2_b64 v[164:167], v121 offset1:1
	v_cmp_lt_u32_e32 vcc, 9, v120
	s_and_saveexec_b64 s[2:3], vcc
	s_cbranch_execz .LBB63_91
; %bb.90:
	ds_read2_b64 v[170:173], v122 offset0:20 offset1:21
	ds_read2_b64 v[174:177], v122 offset0:22 offset1:23
	s_waitcnt vmcnt(48) lgkmcnt(2)
	v_mul_f64 v[168:169], v[166:167], v[86:87]
	v_mul_f64 v[86:87], v[164:165], v[86:87]
	v_fmac_f64_e32 v[86:87], v[166:167], v[84:85]
	v_fma_f64 v[168:169], v[164:165], v[84:85], -v[168:169]
	s_waitcnt lgkmcnt(1)
	v_mul_f64 v[84:85], v[172:173], v[86:87]
	v_fma_f64 v[84:85], v[170:171], v[168:169], -v[84:85]
	v_mul_f64 v[170:171], v[170:171], v[86:87]
	v_fmac_f64_e32 v[170:171], v[172:173], v[168:169]
	s_waitcnt vmcnt(47)
	v_add_f64 v[80:81], v[80:81], -v[84:85]
	v_add_f64 v[82:83], v[82:83], -v[170:171]
	s_waitcnt lgkmcnt(0)
	v_mul_f64 v[84:85], v[176:177], v[86:87]
	ds_read2_b64 v[170:173], v122 offset0:24 offset1:25
	v_fma_f64 v[84:85], v[174:175], v[168:169], -v[84:85]
	v_mul_f64 v[174:175], v[174:175], v[86:87]
	v_fmac_f64_e32 v[174:175], v[176:177], v[168:169]
	s_waitcnt vmcnt(46)
	v_add_f64 v[78:79], v[78:79], -v[174:175]
	ds_read2_b64 v[174:177], v122 offset0:26 offset1:27
	v_add_f64 v[76:77], v[76:77], -v[84:85]
	s_waitcnt lgkmcnt(1)
	v_mul_f64 v[84:85], v[172:173], v[86:87]
	v_fma_f64 v[84:85], v[170:171], v[168:169], -v[84:85]
	v_mul_f64 v[170:171], v[170:171], v[86:87]
	v_fmac_f64_e32 v[170:171], v[172:173], v[168:169]
	s_waitcnt vmcnt(45)
	v_add_f64 v[72:73], v[72:73], -v[84:85]
	v_add_f64 v[74:75], v[74:75], -v[170:171]
	s_waitcnt lgkmcnt(0)
	v_mul_f64 v[84:85], v[176:177], v[86:87]
	ds_read2_b64 v[170:173], v122 offset0:28 offset1:29
	v_fma_f64 v[84:85], v[174:175], v[168:169], -v[84:85]
	v_mul_f64 v[174:175], v[174:175], v[86:87]
	v_fmac_f64_e32 v[174:175], v[176:177], v[168:169]
	s_waitcnt vmcnt(44)
	v_add_f64 v[70:71], v[70:71], -v[174:175]
	ds_read2_b64 v[174:177], v122 offset0:30 offset1:31
	v_add_f64 v[68:69], v[68:69], -v[84:85]
	;; [unrolled: 18-line block ×8, first 2 shown]
	s_waitcnt lgkmcnt(1)
	v_mul_f64 v[84:85], v[172:173], v[86:87]
	v_fma_f64 v[84:85], v[170:171], v[168:169], -v[84:85]
	v_mul_f64 v[170:171], v[170:171], v[86:87]
	v_fmac_f64_e32 v[170:171], v[172:173], v[168:169]
	s_waitcnt vmcnt(13)
	v_add_f64 v[16:17], v[16:17], -v[84:85]
	v_add_f64 v[18:19], v[18:19], -v[170:171]
	s_waitcnt lgkmcnt(0)
	v_mul_f64 v[84:85], v[176:177], v[86:87]
	ds_read2_b64 v[170:173], v122 offset0:56 offset1:57
	v_fma_f64 v[84:85], v[174:175], v[168:169], -v[84:85]
	v_mul_f64 v[174:175], v[174:175], v[86:87]
	v_fmac_f64_e32 v[174:175], v[176:177], v[168:169]
	v_add_f64 v[14:15], v[14:15], -v[174:175]
	ds_read2_b64 v[174:177], v122 offset0:58 offset1:59
	v_add_f64 v[12:13], v[12:13], -v[84:85]
	s_waitcnt lgkmcnt(1)
	v_mul_f64 v[84:85], v[172:173], v[86:87]
	v_fma_f64 v[84:85], v[170:171], v[168:169], -v[84:85]
	v_mul_f64 v[170:171], v[170:171], v[86:87]
	v_fmac_f64_e32 v[170:171], v[172:173], v[168:169]
	v_add_f64 v[8:9], v[8:9], -v[84:85]
	v_add_f64 v[10:11], v[10:11], -v[170:171]
	s_waitcnt lgkmcnt(0)
	v_mul_f64 v[84:85], v[176:177], v[86:87]
	ds_read2_b64 v[170:173], v122 offset0:60 offset1:61
	v_fma_f64 v[84:85], v[174:175], v[168:169], -v[84:85]
	v_mul_f64 v[174:175], v[174:175], v[86:87]
	v_fmac_f64_e32 v[174:175], v[176:177], v[168:169]
	v_add_f64 v[6:7], v[6:7], -v[174:175]
	ds_read2_b64 v[174:177], v122 offset0:62 offset1:63
	v_add_f64 v[4:5], v[4:5], -v[84:85]
	s_waitcnt lgkmcnt(1)
	v_mul_f64 v[84:85], v[172:173], v[86:87]
	v_fma_f64 v[84:85], v[170:171], v[168:169], -v[84:85]
	v_mul_f64 v[170:171], v[170:171], v[86:87]
	v_fmac_f64_e32 v[170:171], v[172:173], v[168:169]
	v_add_f64 v[0:1], v[0:1], -v[84:85]
	v_add_f64 v[2:3], v[2:3], -v[170:171]
	s_waitcnt lgkmcnt(0)
	v_mul_f64 v[84:85], v[176:177], v[86:87]
	v_mul_f64 v[170:171], v[174:175], v[86:87]
	v_fma_f64 v[84:85], v[174:175], v[168:169], -v[84:85]
	v_fmac_f64_e32 v[170:171], v[176:177], v[168:169]
	s_waitcnt vmcnt(10)
	v_add_f64 v[124:125], v[124:125], -v[84:85]
	v_add_f64 v[126:127], v[126:127], -v[170:171]
	v_mov_b64_e32 v[84:85], v[168:169]
.LBB63_91:
	s_or_b64 exec, exec, s[2:3]
	v_cmp_eq_u32_e32 vcc, 10, v120
	s_waitcnt lgkmcnt(0)
	s_barrier
	s_and_saveexec_b64 s[4:5], vcc
	s_cbranch_execz .LBB63_98
; %bb.92:
	s_waitcnt vmcnt(47)
	ds_write2_b64 v121, v[80:81], v[82:83] offset1:1
	s_waitcnt vmcnt(46)
	ds_write2_b64 v122, v[76:77], v[78:79] offset0:22 offset1:23
	s_waitcnt vmcnt(45)
	ds_write2_b64 v122, v[72:73], v[74:75] offset0:24 offset1:25
	;; [unrolled: 2-line block ×16, first 2 shown]
	ds_write2_b64 v122, v[12:13], v[14:15] offset0:54 offset1:55
	ds_write2_b64 v122, v[8:9], v[10:11] offset0:56 offset1:57
	;; [unrolled: 1-line block ×4, first 2 shown]
	s_waitcnt vmcnt(10)
	ds_write2_b64 v122, v[124:125], v[126:127] offset0:62 offset1:63
	ds_read2_b64 v[168:171], v121 offset1:1
	s_waitcnt lgkmcnt(0)
	v_cmp_neq_f64_e32 vcc, 0, v[168:169]
	v_cmp_neq_f64_e64 s[2:3], 0, v[170:171]
	s_or_b64 s[2:3], vcc, s[2:3]
	s_and_b64 exec, exec, s[2:3]
	s_cbranch_execz .LBB63_98
; %bb.93:
	v_cmp_ngt_f64_e64 s[2:3], |v[168:169]|, |v[170:171]|
                                        ; implicit-def: $vgpr172_vgpr173
	s_and_saveexec_b64 s[10:11], s[2:3]
	s_xor_b64 s[2:3], exec, s[10:11]
                                        ; implicit-def: $vgpr174_vgpr175
	s_cbranch_execz .LBB63_95
; %bb.94:
	v_div_scale_f64 v[172:173], s[10:11], v[170:171], v[170:171], v[168:169]
	v_rcp_f64_e32 v[174:175], v[172:173]
	v_div_scale_f64 v[176:177], vcc, v[168:169], v[170:171], v[168:169]
	v_fma_f64 v[178:179], -v[172:173], v[174:175], 1.0
	v_fmac_f64_e32 v[174:175], v[174:175], v[178:179]
	v_fma_f64 v[178:179], -v[172:173], v[174:175], 1.0
	v_fmac_f64_e32 v[174:175], v[174:175], v[178:179]
	v_mul_f64 v[178:179], v[176:177], v[174:175]
	v_fma_f64 v[172:173], -v[172:173], v[178:179], v[176:177]
	v_div_fmas_f64 v[172:173], v[172:173], v[174:175], v[178:179]
	v_div_fixup_f64 v[172:173], v[172:173], v[170:171], v[168:169]
	v_fmac_f64_e32 v[170:171], v[168:169], v[172:173]
	v_div_scale_f64 v[168:169], s[10:11], v[170:171], v[170:171], 1.0
	v_rcp_f64_e32 v[174:175], v[168:169]
	s_nop 0
	v_fma_f64 v[176:177], -v[168:169], v[174:175], 1.0
	v_fmac_f64_e32 v[174:175], v[174:175], v[176:177]
	v_fma_f64 v[176:177], -v[168:169], v[174:175], 1.0
	v_fmac_f64_e32 v[174:175], v[174:175], v[176:177]
	v_div_scale_f64 v[176:177], vcc, 1.0, v[170:171], 1.0
	v_mul_f64 v[178:179], v[176:177], v[174:175]
	v_fma_f64 v[168:169], -v[168:169], v[178:179], v[176:177]
	s_nop 1
	v_div_fmas_f64 v[168:169], v[168:169], v[174:175], v[178:179]
	v_div_fixup_f64 v[174:175], v[168:169], v[170:171], 1.0
	v_mul_f64 v[172:173], v[172:173], v[174:175]
	v_xor_b32_e32 v175, 0x80000000, v175
                                        ; implicit-def: $vgpr168_vgpr169
.LBB63_95:
	s_andn2_saveexec_b64 s[2:3], s[2:3]
	s_cbranch_execz .LBB63_97
; %bb.96:
	v_div_scale_f64 v[172:173], s[10:11], v[168:169], v[168:169], v[170:171]
	v_rcp_f64_e32 v[174:175], v[172:173]
	v_div_scale_f64 v[176:177], vcc, v[170:171], v[168:169], v[170:171]
	v_fma_f64 v[178:179], -v[172:173], v[174:175], 1.0
	v_fmac_f64_e32 v[174:175], v[174:175], v[178:179]
	v_fma_f64 v[178:179], -v[172:173], v[174:175], 1.0
	v_fmac_f64_e32 v[174:175], v[174:175], v[178:179]
	v_mul_f64 v[178:179], v[176:177], v[174:175]
	v_fma_f64 v[172:173], -v[172:173], v[178:179], v[176:177]
	v_div_fmas_f64 v[172:173], v[172:173], v[174:175], v[178:179]
	v_div_fixup_f64 v[174:175], v[172:173], v[168:169], v[170:171]
	v_fmac_f64_e32 v[168:169], v[170:171], v[174:175]
	v_div_scale_f64 v[170:171], s[10:11], v[168:169], v[168:169], 1.0
	v_rcp_f64_e32 v[172:173], v[170:171]
	s_nop 0
	v_fma_f64 v[176:177], -v[170:171], v[172:173], 1.0
	v_fmac_f64_e32 v[172:173], v[172:173], v[176:177]
	v_fma_f64 v[176:177], -v[170:171], v[172:173], 1.0
	v_fmac_f64_e32 v[172:173], v[172:173], v[176:177]
	v_div_scale_f64 v[176:177], vcc, 1.0, v[168:169], 1.0
	v_mul_f64 v[178:179], v[176:177], v[172:173]
	v_fma_f64 v[170:171], -v[170:171], v[178:179], v[176:177]
	s_nop 1
	v_div_fmas_f64 v[170:171], v[170:171], v[172:173], v[178:179]
	v_div_fixup_f64 v[172:173], v[170:171], v[168:169], 1.0
	v_mul_f64 v[174:175], v[174:175], -v[172:173]
.LBB63_97:
	s_or_b64 exec, exec, s[2:3]
	ds_write2_b64 v121, v[172:173], v[174:175] offset1:1
.LBB63_98:
	s_or_b64 exec, exec, s[4:5]
	s_waitcnt lgkmcnt(0)
	s_barrier
	ds_read2_b64 v[168:171], v121 offset1:1
	v_cmp_lt_u32_e32 vcc, 10, v120
	s_and_saveexec_b64 s[2:3], vcc
	s_cbranch_execz .LBB63_100
; %bb.99:
	ds_read2_b64 v[174:177], v122 offset0:22 offset1:23
	ds_read2_b64 v[178:181], v122 offset0:24 offset1:25
	s_waitcnt vmcnt(47) lgkmcnt(2)
	v_mul_f64 v[172:173], v[170:171], v[82:83]
	v_mul_f64 v[82:83], v[168:169], v[82:83]
	v_fmac_f64_e32 v[82:83], v[170:171], v[80:81]
	v_fma_f64 v[172:173], v[168:169], v[80:81], -v[172:173]
	s_waitcnt lgkmcnt(1)
	v_mul_f64 v[80:81], v[176:177], v[82:83]
	v_fma_f64 v[80:81], v[174:175], v[172:173], -v[80:81]
	v_mul_f64 v[174:175], v[174:175], v[82:83]
	v_fmac_f64_e32 v[174:175], v[176:177], v[172:173]
	s_waitcnt vmcnt(46)
	v_add_f64 v[78:79], v[78:79], -v[174:175]
	ds_read2_b64 v[174:177], v122 offset0:26 offset1:27
	v_add_f64 v[76:77], v[76:77], -v[80:81]
	s_waitcnt lgkmcnt(1)
	v_mul_f64 v[80:81], v[180:181], v[82:83]
	v_fma_f64 v[80:81], v[178:179], v[172:173], -v[80:81]
	v_mul_f64 v[178:179], v[178:179], v[82:83]
	v_fmac_f64_e32 v[178:179], v[180:181], v[172:173]
	s_waitcnt vmcnt(45)
	v_add_f64 v[72:73], v[72:73], -v[80:81]
	v_add_f64 v[74:75], v[74:75], -v[178:179]
	ds_read2_b64 v[178:181], v122 offset0:28 offset1:29
	s_waitcnt lgkmcnt(1)
	v_mul_f64 v[80:81], v[176:177], v[82:83]
	v_fma_f64 v[80:81], v[174:175], v[172:173], -v[80:81]
	v_mul_f64 v[174:175], v[174:175], v[82:83]
	v_fmac_f64_e32 v[174:175], v[176:177], v[172:173]
	s_waitcnt vmcnt(44)
	v_add_f64 v[70:71], v[70:71], -v[174:175]
	ds_read2_b64 v[174:177], v122 offset0:30 offset1:31
	v_add_f64 v[68:69], v[68:69], -v[80:81]
	s_waitcnt lgkmcnt(1)
	v_mul_f64 v[80:81], v[180:181], v[82:83]
	v_fma_f64 v[80:81], v[178:179], v[172:173], -v[80:81]
	v_mul_f64 v[178:179], v[178:179], v[82:83]
	v_fmac_f64_e32 v[178:179], v[180:181], v[172:173]
	s_waitcnt vmcnt(43)
	v_add_f64 v[64:65], v[64:65], -v[80:81]
	v_add_f64 v[66:67], v[66:67], -v[178:179]
	ds_read2_b64 v[178:181], v122 offset0:32 offset1:33
	s_waitcnt lgkmcnt(1)
	v_mul_f64 v[80:81], v[176:177], v[82:83]
	v_fma_f64 v[80:81], v[174:175], v[172:173], -v[80:81]
	v_mul_f64 v[174:175], v[174:175], v[82:83]
	v_fmac_f64_e32 v[174:175], v[176:177], v[172:173]
	s_waitcnt vmcnt(42)
	v_add_f64 v[62:63], v[62:63], -v[174:175]
	ds_read2_b64 v[174:177], v122 offset0:34 offset1:35
	v_add_f64 v[60:61], v[60:61], -v[80:81]
	s_waitcnt lgkmcnt(1)
	v_mul_f64 v[80:81], v[180:181], v[82:83]
	v_fma_f64 v[80:81], v[178:179], v[172:173], -v[80:81]
	v_mul_f64 v[178:179], v[178:179], v[82:83]
	v_fmac_f64_e32 v[178:179], v[180:181], v[172:173]
	s_waitcnt vmcnt(41)
	v_add_f64 v[56:57], v[56:57], -v[80:81]
	v_add_f64 v[58:59], v[58:59], -v[178:179]
	ds_read2_b64 v[178:181], v122 offset0:36 offset1:37
	s_waitcnt lgkmcnt(1)
	v_mul_f64 v[80:81], v[176:177], v[82:83]
	v_fma_f64 v[80:81], v[174:175], v[172:173], -v[80:81]
	v_mul_f64 v[174:175], v[174:175], v[82:83]
	v_fmac_f64_e32 v[174:175], v[176:177], v[172:173]
	s_waitcnt vmcnt(40)
	v_add_f64 v[54:55], v[54:55], -v[174:175]
	ds_read2_b64 v[174:177], v122 offset0:38 offset1:39
	v_add_f64 v[52:53], v[52:53], -v[80:81]
	s_waitcnt lgkmcnt(1)
	v_mul_f64 v[80:81], v[180:181], v[82:83]
	v_fma_f64 v[80:81], v[178:179], v[172:173], -v[80:81]
	v_mul_f64 v[178:179], v[178:179], v[82:83]
	v_fmac_f64_e32 v[178:179], v[180:181], v[172:173]
	s_waitcnt vmcnt(39)
	v_add_f64 v[48:49], v[48:49], -v[80:81]
	v_add_f64 v[50:51], v[50:51], -v[178:179]
	ds_read2_b64 v[178:181], v122 offset0:40 offset1:41
	s_waitcnt lgkmcnt(1)
	v_mul_f64 v[80:81], v[176:177], v[82:83]
	v_fma_f64 v[80:81], v[174:175], v[172:173], -v[80:81]
	v_mul_f64 v[174:175], v[174:175], v[82:83]
	v_fmac_f64_e32 v[174:175], v[176:177], v[172:173]
	s_waitcnt vmcnt(38)
	v_add_f64 v[46:47], v[46:47], -v[174:175]
	ds_read2_b64 v[174:177], v122 offset0:42 offset1:43
	v_add_f64 v[44:45], v[44:45], -v[80:81]
	s_waitcnt lgkmcnt(1)
	v_mul_f64 v[80:81], v[180:181], v[82:83]
	v_fma_f64 v[80:81], v[178:179], v[172:173], -v[80:81]
	v_mul_f64 v[178:179], v[178:179], v[82:83]
	v_fmac_f64_e32 v[178:179], v[180:181], v[172:173]
	s_waitcnt vmcnt(19)
	v_add_f64 v[40:41], v[40:41], -v[80:81]
	v_add_f64 v[42:43], v[42:43], -v[178:179]
	ds_read2_b64 v[178:181], v122 offset0:44 offset1:45
	s_waitcnt lgkmcnt(1)
	v_mul_f64 v[80:81], v[176:177], v[82:83]
	v_fma_f64 v[80:81], v[174:175], v[172:173], -v[80:81]
	v_mul_f64 v[174:175], v[174:175], v[82:83]
	v_fmac_f64_e32 v[174:175], v[176:177], v[172:173]
	s_waitcnt vmcnt(18)
	v_add_f64 v[38:39], v[38:39], -v[174:175]
	ds_read2_b64 v[174:177], v122 offset0:46 offset1:47
	v_add_f64 v[36:37], v[36:37], -v[80:81]
	s_waitcnt lgkmcnt(1)
	v_mul_f64 v[80:81], v[180:181], v[82:83]
	v_fma_f64 v[80:81], v[178:179], v[172:173], -v[80:81]
	v_mul_f64 v[178:179], v[178:179], v[82:83]
	v_fmac_f64_e32 v[178:179], v[180:181], v[172:173]
	s_waitcnt vmcnt(17)
	v_add_f64 v[32:33], v[32:33], -v[80:81]
	v_add_f64 v[34:35], v[34:35], -v[178:179]
	ds_read2_b64 v[178:181], v122 offset0:48 offset1:49
	s_waitcnt lgkmcnt(1)
	v_mul_f64 v[80:81], v[176:177], v[82:83]
	v_fma_f64 v[80:81], v[174:175], v[172:173], -v[80:81]
	v_mul_f64 v[174:175], v[174:175], v[82:83]
	v_fmac_f64_e32 v[174:175], v[176:177], v[172:173]
	s_waitcnt vmcnt(16)
	v_add_f64 v[30:31], v[30:31], -v[174:175]
	ds_read2_b64 v[174:177], v122 offset0:50 offset1:51
	v_add_f64 v[28:29], v[28:29], -v[80:81]
	s_waitcnt lgkmcnt(1)
	v_mul_f64 v[80:81], v[180:181], v[82:83]
	v_fma_f64 v[80:81], v[178:179], v[172:173], -v[80:81]
	v_mul_f64 v[178:179], v[178:179], v[82:83]
	v_fmac_f64_e32 v[178:179], v[180:181], v[172:173]
	s_waitcnt vmcnt(15)
	v_add_f64 v[24:25], v[24:25], -v[80:81]
	v_add_f64 v[26:27], v[26:27], -v[178:179]
	ds_read2_b64 v[178:181], v122 offset0:52 offset1:53
	s_waitcnt lgkmcnt(1)
	v_mul_f64 v[80:81], v[176:177], v[82:83]
	v_fma_f64 v[80:81], v[174:175], v[172:173], -v[80:81]
	v_mul_f64 v[174:175], v[174:175], v[82:83]
	v_fmac_f64_e32 v[174:175], v[176:177], v[172:173]
	s_waitcnt vmcnt(14)
	v_add_f64 v[22:23], v[22:23], -v[174:175]
	ds_read2_b64 v[174:177], v122 offset0:54 offset1:55
	v_add_f64 v[20:21], v[20:21], -v[80:81]
	s_waitcnt lgkmcnt(1)
	v_mul_f64 v[80:81], v[180:181], v[82:83]
	v_fma_f64 v[80:81], v[178:179], v[172:173], -v[80:81]
	v_mul_f64 v[178:179], v[178:179], v[82:83]
	v_fmac_f64_e32 v[178:179], v[180:181], v[172:173]
	s_waitcnt vmcnt(13)
	v_add_f64 v[16:17], v[16:17], -v[80:81]
	v_add_f64 v[18:19], v[18:19], -v[178:179]
	ds_read2_b64 v[178:181], v122 offset0:56 offset1:57
	s_waitcnt lgkmcnt(1)
	v_mul_f64 v[80:81], v[176:177], v[82:83]
	v_fma_f64 v[80:81], v[174:175], v[172:173], -v[80:81]
	v_mul_f64 v[174:175], v[174:175], v[82:83]
	v_fmac_f64_e32 v[174:175], v[176:177], v[172:173]
	v_add_f64 v[14:15], v[14:15], -v[174:175]
	ds_read2_b64 v[174:177], v122 offset0:58 offset1:59
	v_add_f64 v[12:13], v[12:13], -v[80:81]
	s_waitcnt lgkmcnt(1)
	v_mul_f64 v[80:81], v[180:181], v[82:83]
	v_fma_f64 v[80:81], v[178:179], v[172:173], -v[80:81]
	v_mul_f64 v[178:179], v[178:179], v[82:83]
	v_fmac_f64_e32 v[178:179], v[180:181], v[172:173]
	v_add_f64 v[8:9], v[8:9], -v[80:81]
	v_add_f64 v[10:11], v[10:11], -v[178:179]
	ds_read2_b64 v[178:181], v122 offset0:60 offset1:61
	s_waitcnt lgkmcnt(1)
	v_mul_f64 v[80:81], v[176:177], v[82:83]
	v_fma_f64 v[80:81], v[174:175], v[172:173], -v[80:81]
	v_mul_f64 v[174:175], v[174:175], v[82:83]
	v_fmac_f64_e32 v[174:175], v[176:177], v[172:173]
	v_add_f64 v[6:7], v[6:7], -v[174:175]
	ds_read2_b64 v[174:177], v122 offset0:62 offset1:63
	v_add_f64 v[4:5], v[4:5], -v[80:81]
	s_waitcnt lgkmcnt(1)
	v_mul_f64 v[80:81], v[180:181], v[82:83]
	v_fma_f64 v[80:81], v[178:179], v[172:173], -v[80:81]
	v_add_f64 v[0:1], v[0:1], -v[80:81]
	s_waitcnt lgkmcnt(0)
	v_mul_f64 v[80:81], v[176:177], v[82:83]
	v_mul_f64 v[178:179], v[178:179], v[82:83]
	v_fma_f64 v[80:81], v[174:175], v[172:173], -v[80:81]
	v_mul_f64 v[174:175], v[174:175], v[82:83]
	v_fmac_f64_e32 v[178:179], v[180:181], v[172:173]
	v_fmac_f64_e32 v[174:175], v[176:177], v[172:173]
	v_add_f64 v[2:3], v[2:3], -v[178:179]
	s_waitcnt vmcnt(10)
	v_add_f64 v[124:125], v[124:125], -v[80:81]
	v_add_f64 v[126:127], v[126:127], -v[174:175]
	v_mov_b64_e32 v[80:81], v[172:173]
.LBB63_100:
	s_or_b64 exec, exec, s[2:3]
	v_cmp_eq_u32_e32 vcc, 11, v120
	s_waitcnt lgkmcnt(0)
	s_barrier
	s_and_saveexec_b64 s[4:5], vcc
	s_cbranch_execz .LBB63_107
; %bb.101:
	s_waitcnt vmcnt(46)
	ds_write2_b64 v121, v[76:77], v[78:79] offset1:1
	s_waitcnt vmcnt(45)
	ds_write2_b64 v122, v[72:73], v[74:75] offset0:24 offset1:25
	s_waitcnt vmcnt(44)
	ds_write2_b64 v122, v[68:69], v[70:71] offset0:26 offset1:27
	;; [unrolled: 2-line block ×15, first 2 shown]
	ds_write2_b64 v122, v[12:13], v[14:15] offset0:54 offset1:55
	ds_write2_b64 v122, v[8:9], v[10:11] offset0:56 offset1:57
	;; [unrolled: 1-line block ×4, first 2 shown]
	s_waitcnt vmcnt(10)
	ds_write2_b64 v122, v[124:125], v[126:127] offset0:62 offset1:63
	ds_read2_b64 v[172:175], v121 offset1:1
	s_waitcnt lgkmcnt(0)
	v_cmp_neq_f64_e32 vcc, 0, v[172:173]
	v_cmp_neq_f64_e64 s[2:3], 0, v[174:175]
	s_or_b64 s[2:3], vcc, s[2:3]
	s_and_b64 exec, exec, s[2:3]
	s_cbranch_execz .LBB63_107
; %bb.102:
	v_cmp_ngt_f64_e64 s[2:3], |v[172:173]|, |v[174:175]|
                                        ; implicit-def: $vgpr176_vgpr177
	s_and_saveexec_b64 s[10:11], s[2:3]
	s_xor_b64 s[2:3], exec, s[10:11]
                                        ; implicit-def: $vgpr178_vgpr179
	s_cbranch_execz .LBB63_104
; %bb.103:
	v_div_scale_f64 v[176:177], s[10:11], v[174:175], v[174:175], v[172:173]
	v_rcp_f64_e32 v[178:179], v[176:177]
	v_div_scale_f64 v[180:181], vcc, v[172:173], v[174:175], v[172:173]
	v_fma_f64 v[182:183], -v[176:177], v[178:179], 1.0
	v_fmac_f64_e32 v[178:179], v[178:179], v[182:183]
	v_fma_f64 v[182:183], -v[176:177], v[178:179], 1.0
	v_fmac_f64_e32 v[178:179], v[178:179], v[182:183]
	v_mul_f64 v[182:183], v[180:181], v[178:179]
	v_fma_f64 v[176:177], -v[176:177], v[182:183], v[180:181]
	v_div_fmas_f64 v[176:177], v[176:177], v[178:179], v[182:183]
	v_div_fixup_f64 v[176:177], v[176:177], v[174:175], v[172:173]
	v_fmac_f64_e32 v[174:175], v[172:173], v[176:177]
	v_div_scale_f64 v[172:173], s[10:11], v[174:175], v[174:175], 1.0
	v_rcp_f64_e32 v[178:179], v[172:173]
	s_nop 0
	v_fma_f64 v[180:181], -v[172:173], v[178:179], 1.0
	v_fmac_f64_e32 v[178:179], v[178:179], v[180:181]
	v_fma_f64 v[180:181], -v[172:173], v[178:179], 1.0
	v_fmac_f64_e32 v[178:179], v[178:179], v[180:181]
	v_div_scale_f64 v[180:181], vcc, 1.0, v[174:175], 1.0
	v_mul_f64 v[182:183], v[180:181], v[178:179]
	v_fma_f64 v[172:173], -v[172:173], v[182:183], v[180:181]
	s_nop 1
	v_div_fmas_f64 v[172:173], v[172:173], v[178:179], v[182:183]
	v_div_fixup_f64 v[178:179], v[172:173], v[174:175], 1.0
	v_mul_f64 v[176:177], v[176:177], v[178:179]
	v_xor_b32_e32 v179, 0x80000000, v179
                                        ; implicit-def: $vgpr172_vgpr173
.LBB63_104:
	s_andn2_saveexec_b64 s[2:3], s[2:3]
	s_cbranch_execz .LBB63_106
; %bb.105:
	v_div_scale_f64 v[176:177], s[10:11], v[172:173], v[172:173], v[174:175]
	v_rcp_f64_e32 v[178:179], v[176:177]
	v_div_scale_f64 v[180:181], vcc, v[174:175], v[172:173], v[174:175]
	v_fma_f64 v[182:183], -v[176:177], v[178:179], 1.0
	v_fmac_f64_e32 v[178:179], v[178:179], v[182:183]
	v_fma_f64 v[182:183], -v[176:177], v[178:179], 1.0
	v_fmac_f64_e32 v[178:179], v[178:179], v[182:183]
	v_mul_f64 v[182:183], v[180:181], v[178:179]
	v_fma_f64 v[176:177], -v[176:177], v[182:183], v[180:181]
	v_div_fmas_f64 v[176:177], v[176:177], v[178:179], v[182:183]
	v_div_fixup_f64 v[178:179], v[176:177], v[172:173], v[174:175]
	v_fmac_f64_e32 v[172:173], v[174:175], v[178:179]
	v_div_scale_f64 v[174:175], s[10:11], v[172:173], v[172:173], 1.0
	v_rcp_f64_e32 v[176:177], v[174:175]
	s_nop 0
	v_fma_f64 v[180:181], -v[174:175], v[176:177], 1.0
	v_fmac_f64_e32 v[176:177], v[176:177], v[180:181]
	v_fma_f64 v[180:181], -v[174:175], v[176:177], 1.0
	v_fmac_f64_e32 v[176:177], v[176:177], v[180:181]
	v_div_scale_f64 v[180:181], vcc, 1.0, v[172:173], 1.0
	v_mul_f64 v[182:183], v[180:181], v[176:177]
	v_fma_f64 v[174:175], -v[174:175], v[182:183], v[180:181]
	s_nop 1
	v_div_fmas_f64 v[174:175], v[174:175], v[176:177], v[182:183]
	v_div_fixup_f64 v[176:177], v[174:175], v[172:173], 1.0
	v_mul_f64 v[178:179], v[178:179], -v[176:177]
.LBB63_106:
	s_or_b64 exec, exec, s[2:3]
	ds_write2_b64 v121, v[176:177], v[178:179] offset1:1
.LBB63_107:
	s_or_b64 exec, exec, s[4:5]
	s_waitcnt lgkmcnt(0)
	s_barrier
	ds_read2_b64 v[172:175], v121 offset1:1
	v_cmp_lt_u32_e32 vcc, 11, v120
	s_and_saveexec_b64 s[2:3], vcc
	s_cbranch_execz .LBB63_109
; %bb.108:
	ds_read2_b64 v[178:181], v122 offset0:24 offset1:25
	s_waitcnt vmcnt(46) lgkmcnt(1)
	v_mul_f64 v[176:177], v[174:175], v[78:79]
	v_mul_f64 v[78:79], v[172:173], v[78:79]
	v_fmac_f64_e32 v[78:79], v[174:175], v[76:77]
	v_fma_f64 v[176:177], v[172:173], v[76:77], -v[176:177]
	s_waitcnt lgkmcnt(0)
	v_mul_f64 v[76:77], v[180:181], v[78:79]
	v_fma_f64 v[76:77], v[178:179], v[176:177], -v[76:77]
	v_mul_f64 v[178:179], v[178:179], v[78:79]
	v_fmac_f64_e32 v[178:179], v[180:181], v[176:177]
	s_waitcnt vmcnt(45)
	v_add_f64 v[74:75], v[74:75], -v[178:179]
	ds_read2_b64 v[178:181], v122 offset0:26 offset1:27
	v_add_f64 v[72:73], v[72:73], -v[76:77]
	s_waitcnt lgkmcnt(0)
	v_mul_f64 v[76:77], v[180:181], v[78:79]
	v_fma_f64 v[76:77], v[178:179], v[176:177], -v[76:77]
	v_mul_f64 v[178:179], v[178:179], v[78:79]
	v_fmac_f64_e32 v[178:179], v[180:181], v[176:177]
	s_waitcnt vmcnt(44)
	v_add_f64 v[70:71], v[70:71], -v[178:179]
	ds_read2_b64 v[178:181], v122 offset0:28 offset1:29
	v_add_f64 v[68:69], v[68:69], -v[76:77]
	;; [unrolled: 9-line block ×15, first 2 shown]
	s_waitcnt lgkmcnt(0)
	v_mul_f64 v[76:77], v[180:181], v[78:79]
	v_fma_f64 v[76:77], v[178:179], v[176:177], -v[76:77]
	v_mul_f64 v[178:179], v[178:179], v[78:79]
	v_fmac_f64_e32 v[178:179], v[180:181], v[176:177]
	v_add_f64 v[14:15], v[14:15], -v[178:179]
	ds_read2_b64 v[178:181], v122 offset0:56 offset1:57
	v_add_f64 v[12:13], v[12:13], -v[76:77]
	s_waitcnt lgkmcnt(0)
	v_mul_f64 v[76:77], v[180:181], v[78:79]
	v_fma_f64 v[76:77], v[178:179], v[176:177], -v[76:77]
	v_mul_f64 v[178:179], v[178:179], v[78:79]
	v_fmac_f64_e32 v[178:179], v[180:181], v[176:177]
	v_add_f64 v[10:11], v[10:11], -v[178:179]
	ds_read2_b64 v[178:181], v122 offset0:58 offset1:59
	v_add_f64 v[8:9], v[8:9], -v[76:77]
	;; [unrolled: 8-line block ×4, first 2 shown]
	s_waitcnt lgkmcnt(0)
	v_mul_f64 v[76:77], v[180:181], v[78:79]
	v_fma_f64 v[76:77], v[178:179], v[176:177], -v[76:77]
	v_mul_f64 v[178:179], v[178:179], v[78:79]
	v_fmac_f64_e32 v[178:179], v[180:181], v[176:177]
	s_waitcnt vmcnt(10)
	v_add_f64 v[124:125], v[124:125], -v[76:77]
	v_add_f64 v[126:127], v[126:127], -v[178:179]
	v_mov_b64_e32 v[76:77], v[176:177]
.LBB63_109:
	s_or_b64 exec, exec, s[2:3]
	v_cmp_eq_u32_e32 vcc, 12, v120
	s_waitcnt lgkmcnt(0)
	s_barrier
	s_and_saveexec_b64 s[4:5], vcc
	s_cbranch_execz .LBB63_116
; %bb.110:
	s_waitcnt vmcnt(45)
	ds_write2_b64 v121, v[72:73], v[74:75] offset1:1
	s_waitcnt vmcnt(44)
	ds_write2_b64 v122, v[68:69], v[70:71] offset0:26 offset1:27
	s_waitcnt vmcnt(43)
	ds_write2_b64 v122, v[64:65], v[66:67] offset0:28 offset1:29
	;; [unrolled: 2-line block ×14, first 2 shown]
	ds_write2_b64 v122, v[12:13], v[14:15] offset0:54 offset1:55
	ds_write2_b64 v122, v[8:9], v[10:11] offset0:56 offset1:57
	;; [unrolled: 1-line block ×4, first 2 shown]
	s_waitcnt vmcnt(10)
	ds_write2_b64 v122, v[124:125], v[126:127] offset0:62 offset1:63
	ds_read2_b64 v[176:179], v121 offset1:1
	s_waitcnt lgkmcnt(0)
	v_cmp_neq_f64_e32 vcc, 0, v[176:177]
	v_cmp_neq_f64_e64 s[2:3], 0, v[178:179]
	s_or_b64 s[2:3], vcc, s[2:3]
	s_and_b64 exec, exec, s[2:3]
	s_cbranch_execz .LBB63_116
; %bb.111:
	v_cmp_ngt_f64_e64 s[2:3], |v[176:177]|, |v[178:179]|
                                        ; implicit-def: $vgpr180_vgpr181
	s_and_saveexec_b64 s[10:11], s[2:3]
	s_xor_b64 s[2:3], exec, s[10:11]
                                        ; implicit-def: $vgpr182_vgpr183
	s_cbranch_execz .LBB63_113
; %bb.112:
	v_div_scale_f64 v[180:181], s[10:11], v[178:179], v[178:179], v[176:177]
	v_rcp_f64_e32 v[182:183], v[180:181]
	v_div_scale_f64 v[184:185], vcc, v[176:177], v[178:179], v[176:177]
	v_fma_f64 v[186:187], -v[180:181], v[182:183], 1.0
	v_fmac_f64_e32 v[182:183], v[182:183], v[186:187]
	v_fma_f64 v[186:187], -v[180:181], v[182:183], 1.0
	v_fmac_f64_e32 v[182:183], v[182:183], v[186:187]
	v_mul_f64 v[186:187], v[184:185], v[182:183]
	v_fma_f64 v[180:181], -v[180:181], v[186:187], v[184:185]
	v_div_fmas_f64 v[180:181], v[180:181], v[182:183], v[186:187]
	v_div_fixup_f64 v[180:181], v[180:181], v[178:179], v[176:177]
	v_fmac_f64_e32 v[178:179], v[176:177], v[180:181]
	v_div_scale_f64 v[176:177], s[10:11], v[178:179], v[178:179], 1.0
	v_rcp_f64_e32 v[182:183], v[176:177]
	s_nop 0
	v_fma_f64 v[184:185], -v[176:177], v[182:183], 1.0
	v_fmac_f64_e32 v[182:183], v[182:183], v[184:185]
	v_fma_f64 v[184:185], -v[176:177], v[182:183], 1.0
	v_fmac_f64_e32 v[182:183], v[182:183], v[184:185]
	v_div_scale_f64 v[184:185], vcc, 1.0, v[178:179], 1.0
	v_mul_f64 v[186:187], v[184:185], v[182:183]
	v_fma_f64 v[176:177], -v[176:177], v[186:187], v[184:185]
	s_nop 1
	v_div_fmas_f64 v[176:177], v[176:177], v[182:183], v[186:187]
	v_div_fixup_f64 v[182:183], v[176:177], v[178:179], 1.0
	v_mul_f64 v[180:181], v[180:181], v[182:183]
	v_xor_b32_e32 v183, 0x80000000, v183
                                        ; implicit-def: $vgpr176_vgpr177
.LBB63_113:
	s_andn2_saveexec_b64 s[2:3], s[2:3]
	s_cbranch_execz .LBB63_115
; %bb.114:
	v_div_scale_f64 v[180:181], s[10:11], v[176:177], v[176:177], v[178:179]
	v_rcp_f64_e32 v[182:183], v[180:181]
	v_div_scale_f64 v[184:185], vcc, v[178:179], v[176:177], v[178:179]
	v_fma_f64 v[186:187], -v[180:181], v[182:183], 1.0
	v_fmac_f64_e32 v[182:183], v[182:183], v[186:187]
	v_fma_f64 v[186:187], -v[180:181], v[182:183], 1.0
	v_fmac_f64_e32 v[182:183], v[182:183], v[186:187]
	v_mul_f64 v[186:187], v[184:185], v[182:183]
	v_fma_f64 v[180:181], -v[180:181], v[186:187], v[184:185]
	v_div_fmas_f64 v[180:181], v[180:181], v[182:183], v[186:187]
	v_div_fixup_f64 v[182:183], v[180:181], v[176:177], v[178:179]
	v_fmac_f64_e32 v[176:177], v[178:179], v[182:183]
	v_div_scale_f64 v[178:179], s[10:11], v[176:177], v[176:177], 1.0
	v_rcp_f64_e32 v[180:181], v[178:179]
	s_nop 0
	v_fma_f64 v[184:185], -v[178:179], v[180:181], 1.0
	v_fmac_f64_e32 v[180:181], v[180:181], v[184:185]
	v_fma_f64 v[184:185], -v[178:179], v[180:181], 1.0
	v_fmac_f64_e32 v[180:181], v[180:181], v[184:185]
	v_div_scale_f64 v[184:185], vcc, 1.0, v[176:177], 1.0
	v_mul_f64 v[186:187], v[184:185], v[180:181]
	v_fma_f64 v[178:179], -v[178:179], v[186:187], v[184:185]
	s_nop 1
	v_div_fmas_f64 v[178:179], v[178:179], v[180:181], v[186:187]
	v_div_fixup_f64 v[180:181], v[178:179], v[176:177], 1.0
	v_mul_f64 v[182:183], v[182:183], -v[180:181]
.LBB63_115:
	s_or_b64 exec, exec, s[2:3]
	ds_write2_b64 v121, v[180:181], v[182:183] offset1:1
.LBB63_116:
	s_or_b64 exec, exec, s[4:5]
	s_waitcnt lgkmcnt(0)
	s_barrier
	ds_read2_b64 v[176:179], v121 offset1:1
	v_cmp_lt_u32_e32 vcc, 12, v120
	s_and_saveexec_b64 s[2:3], vcc
	s_cbranch_execz .LBB63_118
; %bb.117:
	ds_read2_b64 v[182:185], v122 offset0:26 offset1:27
	s_waitcnt vmcnt(45) lgkmcnt(1)
	v_mul_f64 v[180:181], v[178:179], v[74:75]
	v_mul_f64 v[74:75], v[176:177], v[74:75]
	v_fmac_f64_e32 v[74:75], v[178:179], v[72:73]
	v_fma_f64 v[180:181], v[176:177], v[72:73], -v[180:181]
	s_waitcnt lgkmcnt(0)
	v_mul_f64 v[72:73], v[184:185], v[74:75]
	v_fma_f64 v[72:73], v[182:183], v[180:181], -v[72:73]
	v_mul_f64 v[182:183], v[182:183], v[74:75]
	v_fmac_f64_e32 v[182:183], v[184:185], v[180:181]
	s_waitcnt vmcnt(44)
	v_add_f64 v[70:71], v[70:71], -v[182:183]
	ds_read2_b64 v[182:185], v122 offset0:28 offset1:29
	v_add_f64 v[68:69], v[68:69], -v[72:73]
	s_waitcnt lgkmcnt(0)
	v_mul_f64 v[72:73], v[184:185], v[74:75]
	v_fma_f64 v[72:73], v[182:183], v[180:181], -v[72:73]
	v_mul_f64 v[182:183], v[182:183], v[74:75]
	v_fmac_f64_e32 v[182:183], v[184:185], v[180:181]
	s_waitcnt vmcnt(43)
	v_add_f64 v[66:67], v[66:67], -v[182:183]
	ds_read2_b64 v[182:185], v122 offset0:30 offset1:31
	v_add_f64 v[64:65], v[64:65], -v[72:73]
	;; [unrolled: 9-line block ×14, first 2 shown]
	s_waitcnt lgkmcnt(0)
	v_mul_f64 v[72:73], v[184:185], v[74:75]
	v_fma_f64 v[72:73], v[182:183], v[180:181], -v[72:73]
	v_mul_f64 v[182:183], v[182:183], v[74:75]
	v_fmac_f64_e32 v[182:183], v[184:185], v[180:181]
	v_add_f64 v[14:15], v[14:15], -v[182:183]
	ds_read2_b64 v[182:185], v122 offset0:56 offset1:57
	v_add_f64 v[12:13], v[12:13], -v[72:73]
	s_waitcnt lgkmcnt(0)
	v_mul_f64 v[72:73], v[184:185], v[74:75]
	v_fma_f64 v[72:73], v[182:183], v[180:181], -v[72:73]
	v_mul_f64 v[182:183], v[182:183], v[74:75]
	v_fmac_f64_e32 v[182:183], v[184:185], v[180:181]
	v_add_f64 v[10:11], v[10:11], -v[182:183]
	ds_read2_b64 v[182:185], v122 offset0:58 offset1:59
	v_add_f64 v[8:9], v[8:9], -v[72:73]
	;; [unrolled: 8-line block ×4, first 2 shown]
	s_waitcnt lgkmcnt(0)
	v_mul_f64 v[72:73], v[184:185], v[74:75]
	v_fma_f64 v[72:73], v[182:183], v[180:181], -v[72:73]
	v_mul_f64 v[182:183], v[182:183], v[74:75]
	v_fmac_f64_e32 v[182:183], v[184:185], v[180:181]
	s_waitcnt vmcnt(10)
	v_add_f64 v[124:125], v[124:125], -v[72:73]
	v_add_f64 v[126:127], v[126:127], -v[182:183]
	v_mov_b64_e32 v[72:73], v[180:181]
.LBB63_118:
	s_or_b64 exec, exec, s[2:3]
	v_cmp_eq_u32_e32 vcc, 13, v120
	s_waitcnt lgkmcnt(0)
	s_barrier
	s_and_saveexec_b64 s[4:5], vcc
	s_cbranch_execz .LBB63_125
; %bb.119:
	s_waitcnt vmcnt(44)
	ds_write2_b64 v121, v[68:69], v[70:71] offset1:1
	s_waitcnt vmcnt(43)
	ds_write2_b64 v122, v[64:65], v[66:67] offset0:28 offset1:29
	s_waitcnt vmcnt(42)
	ds_write2_b64 v122, v[60:61], v[62:63] offset0:30 offset1:31
	;; [unrolled: 2-line block ×13, first 2 shown]
	ds_write2_b64 v122, v[12:13], v[14:15] offset0:54 offset1:55
	ds_write2_b64 v122, v[8:9], v[10:11] offset0:56 offset1:57
	;; [unrolled: 1-line block ×4, first 2 shown]
	s_waitcnt vmcnt(10)
	ds_write2_b64 v122, v[124:125], v[126:127] offset0:62 offset1:63
	ds_read2_b64 v[180:183], v121 offset1:1
	s_waitcnt lgkmcnt(0)
	v_cmp_neq_f64_e32 vcc, 0, v[180:181]
	v_cmp_neq_f64_e64 s[2:3], 0, v[182:183]
	s_or_b64 s[2:3], vcc, s[2:3]
	s_and_b64 exec, exec, s[2:3]
	s_cbranch_execz .LBB63_125
; %bb.120:
	v_cmp_ngt_f64_e64 s[2:3], |v[180:181]|, |v[182:183]|
                                        ; implicit-def: $vgpr184_vgpr185
	s_and_saveexec_b64 s[10:11], s[2:3]
	s_xor_b64 s[2:3], exec, s[10:11]
                                        ; implicit-def: $vgpr186_vgpr187
	s_cbranch_execz .LBB63_122
; %bb.121:
	v_div_scale_f64 v[184:185], s[10:11], v[182:183], v[182:183], v[180:181]
	v_rcp_f64_e32 v[186:187], v[184:185]
	v_div_scale_f64 v[188:189], vcc, v[180:181], v[182:183], v[180:181]
	v_fma_f64 v[190:191], -v[184:185], v[186:187], 1.0
	v_fmac_f64_e32 v[186:187], v[186:187], v[190:191]
	v_fma_f64 v[190:191], -v[184:185], v[186:187], 1.0
	v_fmac_f64_e32 v[186:187], v[186:187], v[190:191]
	v_mul_f64 v[190:191], v[188:189], v[186:187]
	v_fma_f64 v[184:185], -v[184:185], v[190:191], v[188:189]
	v_div_fmas_f64 v[184:185], v[184:185], v[186:187], v[190:191]
	v_div_fixup_f64 v[184:185], v[184:185], v[182:183], v[180:181]
	v_fmac_f64_e32 v[182:183], v[180:181], v[184:185]
	v_div_scale_f64 v[180:181], s[10:11], v[182:183], v[182:183], 1.0
	v_rcp_f64_e32 v[186:187], v[180:181]
	s_nop 0
	v_fma_f64 v[188:189], -v[180:181], v[186:187], 1.0
	v_fmac_f64_e32 v[186:187], v[186:187], v[188:189]
	v_fma_f64 v[188:189], -v[180:181], v[186:187], 1.0
	v_fmac_f64_e32 v[186:187], v[186:187], v[188:189]
	v_div_scale_f64 v[188:189], vcc, 1.0, v[182:183], 1.0
	v_mul_f64 v[190:191], v[188:189], v[186:187]
	v_fma_f64 v[180:181], -v[180:181], v[190:191], v[188:189]
	s_nop 1
	v_div_fmas_f64 v[180:181], v[180:181], v[186:187], v[190:191]
	v_div_fixup_f64 v[186:187], v[180:181], v[182:183], 1.0
	v_mul_f64 v[184:185], v[184:185], v[186:187]
	v_xor_b32_e32 v187, 0x80000000, v187
                                        ; implicit-def: $vgpr180_vgpr181
.LBB63_122:
	s_andn2_saveexec_b64 s[2:3], s[2:3]
	s_cbranch_execz .LBB63_124
; %bb.123:
	v_div_scale_f64 v[184:185], s[10:11], v[180:181], v[180:181], v[182:183]
	v_rcp_f64_e32 v[186:187], v[184:185]
	v_div_scale_f64 v[188:189], vcc, v[182:183], v[180:181], v[182:183]
	v_fma_f64 v[190:191], -v[184:185], v[186:187], 1.0
	v_fmac_f64_e32 v[186:187], v[186:187], v[190:191]
	v_fma_f64 v[190:191], -v[184:185], v[186:187], 1.0
	v_fmac_f64_e32 v[186:187], v[186:187], v[190:191]
	v_mul_f64 v[190:191], v[188:189], v[186:187]
	v_fma_f64 v[184:185], -v[184:185], v[190:191], v[188:189]
	v_div_fmas_f64 v[184:185], v[184:185], v[186:187], v[190:191]
	v_div_fixup_f64 v[186:187], v[184:185], v[180:181], v[182:183]
	v_fmac_f64_e32 v[180:181], v[182:183], v[186:187]
	v_div_scale_f64 v[182:183], s[10:11], v[180:181], v[180:181], 1.0
	v_rcp_f64_e32 v[184:185], v[182:183]
	s_nop 0
	v_fma_f64 v[188:189], -v[182:183], v[184:185], 1.0
	v_fmac_f64_e32 v[184:185], v[184:185], v[188:189]
	v_fma_f64 v[188:189], -v[182:183], v[184:185], 1.0
	v_fmac_f64_e32 v[184:185], v[184:185], v[188:189]
	v_div_scale_f64 v[188:189], vcc, 1.0, v[180:181], 1.0
	v_mul_f64 v[190:191], v[188:189], v[184:185]
	v_fma_f64 v[182:183], -v[182:183], v[190:191], v[188:189]
	s_nop 1
	v_div_fmas_f64 v[182:183], v[182:183], v[184:185], v[190:191]
	v_div_fixup_f64 v[184:185], v[182:183], v[180:181], 1.0
	v_mul_f64 v[186:187], v[186:187], -v[184:185]
.LBB63_124:
	s_or_b64 exec, exec, s[2:3]
	ds_write2_b64 v121, v[184:185], v[186:187] offset1:1
.LBB63_125:
	s_or_b64 exec, exec, s[4:5]
	s_waitcnt lgkmcnt(0)
	s_barrier
	ds_read2_b64 v[180:183], v121 offset1:1
	v_cmp_lt_u32_e32 vcc, 13, v120
	s_and_saveexec_b64 s[2:3], vcc
	s_cbranch_execz .LBB63_127
; %bb.126:
	ds_read2_b64 v[186:189], v122 offset0:28 offset1:29
	s_waitcnt vmcnt(44) lgkmcnt(1)
	v_mul_f64 v[184:185], v[182:183], v[70:71]
	v_mul_f64 v[70:71], v[180:181], v[70:71]
	v_fmac_f64_e32 v[70:71], v[182:183], v[68:69]
	v_fma_f64 v[184:185], v[180:181], v[68:69], -v[184:185]
	s_waitcnt lgkmcnt(0)
	v_mul_f64 v[68:69], v[188:189], v[70:71]
	v_fma_f64 v[68:69], v[186:187], v[184:185], -v[68:69]
	v_mul_f64 v[186:187], v[186:187], v[70:71]
	v_fmac_f64_e32 v[186:187], v[188:189], v[184:185]
	s_waitcnt vmcnt(43)
	v_add_f64 v[66:67], v[66:67], -v[186:187]
	ds_read2_b64 v[186:189], v122 offset0:30 offset1:31
	v_add_f64 v[64:65], v[64:65], -v[68:69]
	s_waitcnt lgkmcnt(0)
	v_mul_f64 v[68:69], v[188:189], v[70:71]
	v_fma_f64 v[68:69], v[186:187], v[184:185], -v[68:69]
	v_mul_f64 v[186:187], v[186:187], v[70:71]
	v_fmac_f64_e32 v[186:187], v[188:189], v[184:185]
	s_waitcnt vmcnt(42)
	v_add_f64 v[62:63], v[62:63], -v[186:187]
	ds_read2_b64 v[186:189], v122 offset0:32 offset1:33
	v_add_f64 v[60:61], v[60:61], -v[68:69]
	;; [unrolled: 9-line block ×13, first 2 shown]
	s_waitcnt lgkmcnt(0)
	v_mul_f64 v[68:69], v[188:189], v[70:71]
	v_fma_f64 v[68:69], v[186:187], v[184:185], -v[68:69]
	v_mul_f64 v[186:187], v[186:187], v[70:71]
	v_fmac_f64_e32 v[186:187], v[188:189], v[184:185]
	v_add_f64 v[14:15], v[14:15], -v[186:187]
	ds_read2_b64 v[186:189], v122 offset0:56 offset1:57
	v_add_f64 v[12:13], v[12:13], -v[68:69]
	s_waitcnt lgkmcnt(0)
	v_mul_f64 v[68:69], v[188:189], v[70:71]
	v_fma_f64 v[68:69], v[186:187], v[184:185], -v[68:69]
	v_mul_f64 v[186:187], v[186:187], v[70:71]
	v_fmac_f64_e32 v[186:187], v[188:189], v[184:185]
	v_add_f64 v[10:11], v[10:11], -v[186:187]
	ds_read2_b64 v[186:189], v122 offset0:58 offset1:59
	v_add_f64 v[8:9], v[8:9], -v[68:69]
	s_waitcnt lgkmcnt(0)
	v_mul_f64 v[68:69], v[188:189], v[70:71]
	v_fma_f64 v[68:69], v[186:187], v[184:185], -v[68:69]
	v_mul_f64 v[186:187], v[186:187], v[70:71]
	v_fmac_f64_e32 v[186:187], v[188:189], v[184:185]
	v_add_f64 v[6:7], v[6:7], -v[186:187]
	ds_read2_b64 v[186:189], v122 offset0:60 offset1:61
	v_add_f64 v[4:5], v[4:5], -v[68:69]
	s_waitcnt lgkmcnt(0)
	v_mul_f64 v[68:69], v[188:189], v[70:71]
	v_fma_f64 v[68:69], v[186:187], v[184:185], -v[68:69]
	v_mul_f64 v[186:187], v[186:187], v[70:71]
	v_fmac_f64_e32 v[186:187], v[188:189], v[184:185]
	v_add_f64 v[2:3], v[2:3], -v[186:187]
	ds_read2_b64 v[186:189], v122 offset0:62 offset1:63
	v_add_f64 v[0:1], v[0:1], -v[68:69]
	s_waitcnt lgkmcnt(0)
	v_mul_f64 v[68:69], v[188:189], v[70:71]
	v_fma_f64 v[68:69], v[186:187], v[184:185], -v[68:69]
	v_mul_f64 v[186:187], v[186:187], v[70:71]
	v_fmac_f64_e32 v[186:187], v[188:189], v[184:185]
	s_waitcnt vmcnt(10)
	v_add_f64 v[124:125], v[124:125], -v[68:69]
	v_add_f64 v[126:127], v[126:127], -v[186:187]
	v_mov_b64_e32 v[68:69], v[184:185]
.LBB63_127:
	s_or_b64 exec, exec, s[2:3]
	v_cmp_eq_u32_e32 vcc, 14, v120
	s_waitcnt lgkmcnt(0)
	s_barrier
	s_and_saveexec_b64 s[4:5], vcc
	s_cbranch_execz .LBB63_134
; %bb.128:
	s_waitcnt vmcnt(43)
	ds_write2_b64 v121, v[64:65], v[66:67] offset1:1
	s_waitcnt vmcnt(42)
	ds_write2_b64 v122, v[60:61], v[62:63] offset0:30 offset1:31
	s_waitcnt vmcnt(41)
	ds_write2_b64 v122, v[56:57], v[58:59] offset0:32 offset1:33
	;; [unrolled: 2-line block ×12, first 2 shown]
	ds_write2_b64 v122, v[12:13], v[14:15] offset0:54 offset1:55
	ds_write2_b64 v122, v[8:9], v[10:11] offset0:56 offset1:57
	;; [unrolled: 1-line block ×4, first 2 shown]
	s_waitcnt vmcnt(10)
	ds_write2_b64 v122, v[124:125], v[126:127] offset0:62 offset1:63
	ds_read2_b64 v[184:187], v121 offset1:1
	s_waitcnt lgkmcnt(0)
	v_cmp_neq_f64_e32 vcc, 0, v[184:185]
	v_cmp_neq_f64_e64 s[2:3], 0, v[186:187]
	s_or_b64 s[2:3], vcc, s[2:3]
	s_and_b64 exec, exec, s[2:3]
	s_cbranch_execz .LBB63_134
; %bb.129:
	v_cmp_ngt_f64_e64 s[2:3], |v[184:185]|, |v[186:187]|
                                        ; implicit-def: $vgpr188_vgpr189
	s_and_saveexec_b64 s[10:11], s[2:3]
	s_xor_b64 s[2:3], exec, s[10:11]
                                        ; implicit-def: $vgpr190_vgpr191
	s_cbranch_execz .LBB63_131
; %bb.130:
	v_div_scale_f64 v[188:189], s[10:11], v[186:187], v[186:187], v[184:185]
	v_rcp_f64_e32 v[190:191], v[188:189]
	v_div_scale_f64 v[192:193], vcc, v[184:185], v[186:187], v[184:185]
	v_fma_f64 v[194:195], -v[188:189], v[190:191], 1.0
	v_fmac_f64_e32 v[190:191], v[190:191], v[194:195]
	v_fma_f64 v[194:195], -v[188:189], v[190:191], 1.0
	v_fmac_f64_e32 v[190:191], v[190:191], v[194:195]
	v_mul_f64 v[194:195], v[192:193], v[190:191]
	v_fma_f64 v[188:189], -v[188:189], v[194:195], v[192:193]
	v_div_fmas_f64 v[188:189], v[188:189], v[190:191], v[194:195]
	v_div_fixup_f64 v[188:189], v[188:189], v[186:187], v[184:185]
	v_fmac_f64_e32 v[186:187], v[184:185], v[188:189]
	v_div_scale_f64 v[184:185], s[10:11], v[186:187], v[186:187], 1.0
	v_rcp_f64_e32 v[190:191], v[184:185]
	s_nop 0
	v_fma_f64 v[192:193], -v[184:185], v[190:191], 1.0
	v_fmac_f64_e32 v[190:191], v[190:191], v[192:193]
	v_fma_f64 v[192:193], -v[184:185], v[190:191], 1.0
	v_fmac_f64_e32 v[190:191], v[190:191], v[192:193]
	v_div_scale_f64 v[192:193], vcc, 1.0, v[186:187], 1.0
	v_mul_f64 v[194:195], v[192:193], v[190:191]
	v_fma_f64 v[184:185], -v[184:185], v[194:195], v[192:193]
	s_nop 1
	v_div_fmas_f64 v[184:185], v[184:185], v[190:191], v[194:195]
	v_div_fixup_f64 v[190:191], v[184:185], v[186:187], 1.0
	v_mul_f64 v[188:189], v[188:189], v[190:191]
	v_xor_b32_e32 v191, 0x80000000, v191
                                        ; implicit-def: $vgpr184_vgpr185
.LBB63_131:
	s_andn2_saveexec_b64 s[2:3], s[2:3]
	s_cbranch_execz .LBB63_133
; %bb.132:
	v_div_scale_f64 v[188:189], s[10:11], v[184:185], v[184:185], v[186:187]
	v_rcp_f64_e32 v[190:191], v[188:189]
	v_div_scale_f64 v[192:193], vcc, v[186:187], v[184:185], v[186:187]
	v_fma_f64 v[194:195], -v[188:189], v[190:191], 1.0
	v_fmac_f64_e32 v[190:191], v[190:191], v[194:195]
	v_fma_f64 v[194:195], -v[188:189], v[190:191], 1.0
	v_fmac_f64_e32 v[190:191], v[190:191], v[194:195]
	v_mul_f64 v[194:195], v[192:193], v[190:191]
	v_fma_f64 v[188:189], -v[188:189], v[194:195], v[192:193]
	v_div_fmas_f64 v[188:189], v[188:189], v[190:191], v[194:195]
	v_div_fixup_f64 v[190:191], v[188:189], v[184:185], v[186:187]
	v_fmac_f64_e32 v[184:185], v[186:187], v[190:191]
	v_div_scale_f64 v[186:187], s[10:11], v[184:185], v[184:185], 1.0
	v_rcp_f64_e32 v[188:189], v[186:187]
	s_nop 0
	v_fma_f64 v[192:193], -v[186:187], v[188:189], 1.0
	v_fmac_f64_e32 v[188:189], v[188:189], v[192:193]
	v_fma_f64 v[192:193], -v[186:187], v[188:189], 1.0
	v_fmac_f64_e32 v[188:189], v[188:189], v[192:193]
	v_div_scale_f64 v[192:193], vcc, 1.0, v[184:185], 1.0
	v_mul_f64 v[194:195], v[192:193], v[188:189]
	v_fma_f64 v[186:187], -v[186:187], v[194:195], v[192:193]
	s_nop 1
	v_div_fmas_f64 v[186:187], v[186:187], v[188:189], v[194:195]
	v_div_fixup_f64 v[188:189], v[186:187], v[184:185], 1.0
	v_mul_f64 v[190:191], v[190:191], -v[188:189]
.LBB63_133:
	s_or_b64 exec, exec, s[2:3]
	ds_write2_b64 v121, v[188:189], v[190:191] offset1:1
.LBB63_134:
	s_or_b64 exec, exec, s[4:5]
	s_waitcnt lgkmcnt(0)
	s_barrier
	ds_read2_b64 v[184:187], v121 offset1:1
	v_cmp_lt_u32_e32 vcc, 14, v120
	s_and_saveexec_b64 s[2:3], vcc
	s_cbranch_execz .LBB63_136
; %bb.135:
	ds_read2_b64 v[190:193], v122 offset0:30 offset1:31
	s_waitcnt vmcnt(43) lgkmcnt(1)
	v_mul_f64 v[188:189], v[186:187], v[66:67]
	v_mul_f64 v[66:67], v[184:185], v[66:67]
	v_fmac_f64_e32 v[66:67], v[186:187], v[64:65]
	v_fma_f64 v[188:189], v[184:185], v[64:65], -v[188:189]
	s_waitcnt lgkmcnt(0)
	v_mul_f64 v[64:65], v[192:193], v[66:67]
	v_fma_f64 v[64:65], v[190:191], v[188:189], -v[64:65]
	v_mul_f64 v[190:191], v[190:191], v[66:67]
	v_fmac_f64_e32 v[190:191], v[192:193], v[188:189]
	s_waitcnt vmcnt(42)
	v_add_f64 v[62:63], v[62:63], -v[190:191]
	ds_read2_b64 v[190:193], v122 offset0:32 offset1:33
	v_add_f64 v[60:61], v[60:61], -v[64:65]
	s_waitcnt lgkmcnt(0)
	v_mul_f64 v[64:65], v[192:193], v[66:67]
	v_fma_f64 v[64:65], v[190:191], v[188:189], -v[64:65]
	v_mul_f64 v[190:191], v[190:191], v[66:67]
	v_fmac_f64_e32 v[190:191], v[192:193], v[188:189]
	s_waitcnt vmcnt(41)
	v_add_f64 v[58:59], v[58:59], -v[190:191]
	ds_read2_b64 v[190:193], v122 offset0:34 offset1:35
	v_add_f64 v[56:57], v[56:57], -v[64:65]
	;; [unrolled: 9-line block ×12, first 2 shown]
	s_waitcnt lgkmcnt(0)
	v_mul_f64 v[64:65], v[192:193], v[66:67]
	v_fma_f64 v[64:65], v[190:191], v[188:189], -v[64:65]
	v_mul_f64 v[190:191], v[190:191], v[66:67]
	v_fmac_f64_e32 v[190:191], v[192:193], v[188:189]
	v_add_f64 v[14:15], v[14:15], -v[190:191]
	ds_read2_b64 v[190:193], v122 offset0:56 offset1:57
	v_add_f64 v[12:13], v[12:13], -v[64:65]
	s_waitcnt lgkmcnt(0)
	v_mul_f64 v[64:65], v[192:193], v[66:67]
	v_fma_f64 v[64:65], v[190:191], v[188:189], -v[64:65]
	v_mul_f64 v[190:191], v[190:191], v[66:67]
	v_fmac_f64_e32 v[190:191], v[192:193], v[188:189]
	v_add_f64 v[10:11], v[10:11], -v[190:191]
	ds_read2_b64 v[190:193], v122 offset0:58 offset1:59
	v_add_f64 v[8:9], v[8:9], -v[64:65]
	;; [unrolled: 8-line block ×4, first 2 shown]
	s_waitcnt lgkmcnt(0)
	v_mul_f64 v[64:65], v[192:193], v[66:67]
	v_fma_f64 v[64:65], v[190:191], v[188:189], -v[64:65]
	v_mul_f64 v[190:191], v[190:191], v[66:67]
	v_fmac_f64_e32 v[190:191], v[192:193], v[188:189]
	s_waitcnt vmcnt(10)
	v_add_f64 v[124:125], v[124:125], -v[64:65]
	v_add_f64 v[126:127], v[126:127], -v[190:191]
	v_mov_b64_e32 v[64:65], v[188:189]
.LBB63_136:
	s_or_b64 exec, exec, s[2:3]
	v_cmp_eq_u32_e32 vcc, 15, v120
	s_waitcnt lgkmcnt(0)
	s_barrier
	s_and_saveexec_b64 s[4:5], vcc
	s_cbranch_execz .LBB63_143
; %bb.137:
	s_waitcnt vmcnt(42)
	ds_write2_b64 v121, v[60:61], v[62:63] offset1:1
	s_waitcnt vmcnt(41)
	ds_write2_b64 v122, v[56:57], v[58:59] offset0:32 offset1:33
	s_waitcnt vmcnt(40)
	ds_write2_b64 v122, v[52:53], v[54:55] offset0:34 offset1:35
	;; [unrolled: 2-line block ×11, first 2 shown]
	ds_write2_b64 v122, v[12:13], v[14:15] offset0:54 offset1:55
	ds_write2_b64 v122, v[8:9], v[10:11] offset0:56 offset1:57
	;; [unrolled: 1-line block ×4, first 2 shown]
	s_waitcnt vmcnt(10)
	ds_write2_b64 v122, v[124:125], v[126:127] offset0:62 offset1:63
	ds_read2_b64 v[188:191], v121 offset1:1
	s_waitcnt lgkmcnt(0)
	v_cmp_neq_f64_e32 vcc, 0, v[188:189]
	v_cmp_neq_f64_e64 s[2:3], 0, v[190:191]
	s_or_b64 s[2:3], vcc, s[2:3]
	s_and_b64 exec, exec, s[2:3]
	s_cbranch_execz .LBB63_143
; %bb.138:
	v_cmp_ngt_f64_e64 s[2:3], |v[188:189]|, |v[190:191]|
                                        ; implicit-def: $vgpr192_vgpr193
	s_and_saveexec_b64 s[10:11], s[2:3]
	s_xor_b64 s[2:3], exec, s[10:11]
                                        ; implicit-def: $vgpr194_vgpr195
	s_cbranch_execz .LBB63_140
; %bb.139:
	v_div_scale_f64 v[192:193], s[10:11], v[190:191], v[190:191], v[188:189]
	v_rcp_f64_e32 v[194:195], v[192:193]
	v_div_scale_f64 v[196:197], vcc, v[188:189], v[190:191], v[188:189]
	v_fma_f64 v[198:199], -v[192:193], v[194:195], 1.0
	v_fmac_f64_e32 v[194:195], v[194:195], v[198:199]
	v_fma_f64 v[198:199], -v[192:193], v[194:195], 1.0
	v_fmac_f64_e32 v[194:195], v[194:195], v[198:199]
	v_mul_f64 v[198:199], v[196:197], v[194:195]
	v_fma_f64 v[192:193], -v[192:193], v[198:199], v[196:197]
	v_div_fmas_f64 v[192:193], v[192:193], v[194:195], v[198:199]
	v_div_fixup_f64 v[192:193], v[192:193], v[190:191], v[188:189]
	v_fmac_f64_e32 v[190:191], v[188:189], v[192:193]
	v_div_scale_f64 v[188:189], s[10:11], v[190:191], v[190:191], 1.0
	v_rcp_f64_e32 v[194:195], v[188:189]
	s_nop 0
	v_fma_f64 v[196:197], -v[188:189], v[194:195], 1.0
	v_fmac_f64_e32 v[194:195], v[194:195], v[196:197]
	v_fma_f64 v[196:197], -v[188:189], v[194:195], 1.0
	v_fmac_f64_e32 v[194:195], v[194:195], v[196:197]
	v_div_scale_f64 v[196:197], vcc, 1.0, v[190:191], 1.0
	v_mul_f64 v[198:199], v[196:197], v[194:195]
	v_fma_f64 v[188:189], -v[188:189], v[198:199], v[196:197]
	s_nop 1
	v_div_fmas_f64 v[188:189], v[188:189], v[194:195], v[198:199]
	v_div_fixup_f64 v[194:195], v[188:189], v[190:191], 1.0
	v_mul_f64 v[192:193], v[192:193], v[194:195]
	v_xor_b32_e32 v195, 0x80000000, v195
                                        ; implicit-def: $vgpr188_vgpr189
.LBB63_140:
	s_andn2_saveexec_b64 s[2:3], s[2:3]
	s_cbranch_execz .LBB63_142
; %bb.141:
	v_div_scale_f64 v[192:193], s[10:11], v[188:189], v[188:189], v[190:191]
	v_rcp_f64_e32 v[194:195], v[192:193]
	v_div_scale_f64 v[196:197], vcc, v[190:191], v[188:189], v[190:191]
	v_fma_f64 v[198:199], -v[192:193], v[194:195], 1.0
	v_fmac_f64_e32 v[194:195], v[194:195], v[198:199]
	v_fma_f64 v[198:199], -v[192:193], v[194:195], 1.0
	v_fmac_f64_e32 v[194:195], v[194:195], v[198:199]
	v_mul_f64 v[198:199], v[196:197], v[194:195]
	v_fma_f64 v[192:193], -v[192:193], v[198:199], v[196:197]
	v_div_fmas_f64 v[192:193], v[192:193], v[194:195], v[198:199]
	v_div_fixup_f64 v[194:195], v[192:193], v[188:189], v[190:191]
	v_fmac_f64_e32 v[188:189], v[190:191], v[194:195]
	v_div_scale_f64 v[190:191], s[10:11], v[188:189], v[188:189], 1.0
	v_rcp_f64_e32 v[192:193], v[190:191]
	s_nop 0
	v_fma_f64 v[196:197], -v[190:191], v[192:193], 1.0
	v_fmac_f64_e32 v[192:193], v[192:193], v[196:197]
	v_fma_f64 v[196:197], -v[190:191], v[192:193], 1.0
	v_fmac_f64_e32 v[192:193], v[192:193], v[196:197]
	v_div_scale_f64 v[196:197], vcc, 1.0, v[188:189], 1.0
	v_mul_f64 v[198:199], v[196:197], v[192:193]
	v_fma_f64 v[190:191], -v[190:191], v[198:199], v[196:197]
	s_nop 1
	v_div_fmas_f64 v[190:191], v[190:191], v[192:193], v[198:199]
	v_div_fixup_f64 v[192:193], v[190:191], v[188:189], 1.0
	v_mul_f64 v[194:195], v[194:195], -v[192:193]
.LBB63_142:
	s_or_b64 exec, exec, s[2:3]
	ds_write2_b64 v121, v[192:193], v[194:195] offset1:1
.LBB63_143:
	s_or_b64 exec, exec, s[4:5]
	s_waitcnt lgkmcnt(0)
	s_barrier
	ds_read2_b64 v[188:191], v121 offset1:1
	v_cmp_lt_u32_e32 vcc, 15, v120
	s_and_saveexec_b64 s[2:3], vcc
	s_cbranch_execz .LBB63_145
; %bb.144:
	ds_read2_b64 v[194:197], v122 offset0:32 offset1:33
	s_waitcnt vmcnt(42) lgkmcnt(1)
	v_mul_f64 v[192:193], v[188:189], v[62:63]
	v_fmac_f64_e32 v[192:193], v[190:191], v[60:61]
	v_mul_f64 v[62:63], v[190:191], v[62:63]
	v_fma_f64 v[60:61], v[188:189], v[60:61], -v[62:63]
	s_waitcnt lgkmcnt(0)
	v_mul_f64 v[62:63], v[196:197], v[192:193]
	v_fma_f64 v[62:63], v[194:195], v[60:61], -v[62:63]
	v_mul_f64 v[194:195], v[194:195], v[192:193]
	v_fmac_f64_e32 v[194:195], v[196:197], v[60:61]
	s_waitcnt vmcnt(41)
	v_add_f64 v[58:59], v[58:59], -v[194:195]
	ds_read2_b64 v[194:197], v122 offset0:34 offset1:35
	v_add_f64 v[56:57], v[56:57], -v[62:63]
	s_waitcnt lgkmcnt(0)
	v_mul_f64 v[62:63], v[196:197], v[192:193]
	v_fma_f64 v[62:63], v[194:195], v[60:61], -v[62:63]
	v_mul_f64 v[194:195], v[194:195], v[192:193]
	v_fmac_f64_e32 v[194:195], v[196:197], v[60:61]
	s_waitcnt vmcnt(40)
	v_add_f64 v[54:55], v[54:55], -v[194:195]
	ds_read2_b64 v[194:197], v122 offset0:36 offset1:37
	v_add_f64 v[52:53], v[52:53], -v[62:63]
	;; [unrolled: 9-line block ×11, first 2 shown]
	s_waitcnt lgkmcnt(0)
	v_mul_f64 v[62:63], v[196:197], v[192:193]
	v_fma_f64 v[62:63], v[194:195], v[60:61], -v[62:63]
	v_mul_f64 v[194:195], v[194:195], v[192:193]
	v_fmac_f64_e32 v[194:195], v[196:197], v[60:61]
	v_add_f64 v[14:15], v[14:15], -v[194:195]
	ds_read2_b64 v[194:197], v122 offset0:56 offset1:57
	v_add_f64 v[12:13], v[12:13], -v[62:63]
	s_waitcnt lgkmcnt(0)
	v_mul_f64 v[62:63], v[196:197], v[192:193]
	v_fma_f64 v[62:63], v[194:195], v[60:61], -v[62:63]
	v_mul_f64 v[194:195], v[194:195], v[192:193]
	v_fmac_f64_e32 v[194:195], v[196:197], v[60:61]
	v_add_f64 v[10:11], v[10:11], -v[194:195]
	ds_read2_b64 v[194:197], v122 offset0:58 offset1:59
	v_add_f64 v[8:9], v[8:9], -v[62:63]
	;; [unrolled: 8-line block ×4, first 2 shown]
	s_waitcnt lgkmcnt(0)
	v_mul_f64 v[62:63], v[196:197], v[192:193]
	v_fma_f64 v[62:63], v[194:195], v[60:61], -v[62:63]
	v_mul_f64 v[194:195], v[194:195], v[192:193]
	v_fmac_f64_e32 v[194:195], v[196:197], v[60:61]
	s_waitcnt vmcnt(10)
	v_add_f64 v[124:125], v[124:125], -v[62:63]
	v_add_f64 v[126:127], v[126:127], -v[194:195]
	v_mov_b64_e32 v[62:63], v[192:193]
.LBB63_145:
	s_or_b64 exec, exec, s[2:3]
	v_cmp_eq_u32_e32 vcc, 16, v120
	s_waitcnt lgkmcnt(0)
	s_barrier
	s_and_saveexec_b64 s[4:5], vcc
	s_cbranch_execz .LBB63_152
; %bb.146:
	s_waitcnt vmcnt(41)
	ds_write2_b64 v121, v[56:57], v[58:59] offset1:1
	s_waitcnt vmcnt(40)
	ds_write2_b64 v122, v[52:53], v[54:55] offset0:34 offset1:35
	s_waitcnt vmcnt(39)
	ds_write2_b64 v122, v[48:49], v[50:51] offset0:36 offset1:37
	;; [unrolled: 2-line block ×10, first 2 shown]
	ds_write2_b64 v122, v[12:13], v[14:15] offset0:54 offset1:55
	ds_write2_b64 v122, v[8:9], v[10:11] offset0:56 offset1:57
	ds_write2_b64 v122, v[4:5], v[6:7] offset0:58 offset1:59
	ds_write2_b64 v122, v[0:1], v[2:3] offset0:60 offset1:61
	s_waitcnt vmcnt(10)
	ds_write2_b64 v122, v[124:125], v[126:127] offset0:62 offset1:63
	ds_read2_b64 v[192:195], v121 offset1:1
	s_waitcnt lgkmcnt(0)
	v_cmp_neq_f64_e32 vcc, 0, v[192:193]
	v_cmp_neq_f64_e64 s[2:3], 0, v[194:195]
	s_or_b64 s[2:3], vcc, s[2:3]
	s_and_b64 exec, exec, s[2:3]
	s_cbranch_execz .LBB63_152
; %bb.147:
	v_cmp_ngt_f64_e64 s[2:3], |v[192:193]|, |v[194:195]|
                                        ; implicit-def: $vgpr196_vgpr197
	s_and_saveexec_b64 s[10:11], s[2:3]
	s_xor_b64 s[2:3], exec, s[10:11]
                                        ; implicit-def: $vgpr198_vgpr199
	s_cbranch_execz .LBB63_149
; %bb.148:
	v_div_scale_f64 v[196:197], s[10:11], v[194:195], v[194:195], v[192:193]
	v_rcp_f64_e32 v[198:199], v[196:197]
	v_div_scale_f64 v[200:201], vcc, v[192:193], v[194:195], v[192:193]
	v_fma_f64 v[202:203], -v[196:197], v[198:199], 1.0
	v_fmac_f64_e32 v[198:199], v[198:199], v[202:203]
	v_fma_f64 v[202:203], -v[196:197], v[198:199], 1.0
	v_fmac_f64_e32 v[198:199], v[198:199], v[202:203]
	v_mul_f64 v[202:203], v[200:201], v[198:199]
	v_fma_f64 v[196:197], -v[196:197], v[202:203], v[200:201]
	v_div_fmas_f64 v[196:197], v[196:197], v[198:199], v[202:203]
	v_div_fixup_f64 v[196:197], v[196:197], v[194:195], v[192:193]
	v_fmac_f64_e32 v[194:195], v[192:193], v[196:197]
	v_div_scale_f64 v[192:193], s[10:11], v[194:195], v[194:195], 1.0
	v_rcp_f64_e32 v[198:199], v[192:193]
	s_nop 0
	v_fma_f64 v[200:201], -v[192:193], v[198:199], 1.0
	v_fmac_f64_e32 v[198:199], v[198:199], v[200:201]
	v_fma_f64 v[200:201], -v[192:193], v[198:199], 1.0
	v_fmac_f64_e32 v[198:199], v[198:199], v[200:201]
	v_div_scale_f64 v[200:201], vcc, 1.0, v[194:195], 1.0
	v_mul_f64 v[202:203], v[200:201], v[198:199]
	v_fma_f64 v[192:193], -v[192:193], v[202:203], v[200:201]
	s_nop 1
	v_div_fmas_f64 v[192:193], v[192:193], v[198:199], v[202:203]
	v_div_fixup_f64 v[198:199], v[192:193], v[194:195], 1.0
	v_mul_f64 v[196:197], v[196:197], v[198:199]
	v_xor_b32_e32 v199, 0x80000000, v199
                                        ; implicit-def: $vgpr192_vgpr193
.LBB63_149:
	s_andn2_saveexec_b64 s[2:3], s[2:3]
	s_cbranch_execz .LBB63_151
; %bb.150:
	v_div_scale_f64 v[196:197], s[10:11], v[192:193], v[192:193], v[194:195]
	v_rcp_f64_e32 v[198:199], v[196:197]
	v_div_scale_f64 v[200:201], vcc, v[194:195], v[192:193], v[194:195]
	v_fma_f64 v[202:203], -v[196:197], v[198:199], 1.0
	v_fmac_f64_e32 v[198:199], v[198:199], v[202:203]
	v_fma_f64 v[202:203], -v[196:197], v[198:199], 1.0
	v_fmac_f64_e32 v[198:199], v[198:199], v[202:203]
	v_mul_f64 v[202:203], v[200:201], v[198:199]
	v_fma_f64 v[196:197], -v[196:197], v[202:203], v[200:201]
	v_div_fmas_f64 v[196:197], v[196:197], v[198:199], v[202:203]
	v_div_fixup_f64 v[198:199], v[196:197], v[192:193], v[194:195]
	v_fmac_f64_e32 v[192:193], v[194:195], v[198:199]
	v_div_scale_f64 v[194:195], s[10:11], v[192:193], v[192:193], 1.0
	v_rcp_f64_e32 v[196:197], v[194:195]
	s_nop 0
	v_fma_f64 v[200:201], -v[194:195], v[196:197], 1.0
	v_fmac_f64_e32 v[196:197], v[196:197], v[200:201]
	v_fma_f64 v[200:201], -v[194:195], v[196:197], 1.0
	v_fmac_f64_e32 v[196:197], v[196:197], v[200:201]
	v_div_scale_f64 v[200:201], vcc, 1.0, v[192:193], 1.0
	v_mul_f64 v[202:203], v[200:201], v[196:197]
	v_fma_f64 v[194:195], -v[194:195], v[202:203], v[200:201]
	s_nop 1
	v_div_fmas_f64 v[194:195], v[194:195], v[196:197], v[202:203]
	v_div_fixup_f64 v[196:197], v[194:195], v[192:193], 1.0
	v_mul_f64 v[198:199], v[198:199], -v[196:197]
.LBB63_151:
	s_or_b64 exec, exec, s[2:3]
	ds_write2_b64 v121, v[196:197], v[198:199] offset1:1
.LBB63_152:
	s_or_b64 exec, exec, s[4:5]
	s_waitcnt lgkmcnt(0)
	s_barrier
	ds_read2_b64 v[192:195], v121 offset1:1
	v_cmp_lt_u32_e32 vcc, 16, v120
	s_and_saveexec_b64 s[2:3], vcc
	s_cbranch_execz .LBB63_154
; %bb.153:
	ds_read2_b64 v[198:201], v122 offset0:34 offset1:35
	s_waitcnt vmcnt(41) lgkmcnt(1)
	v_mul_f64 v[196:197], v[192:193], v[58:59]
	v_fmac_f64_e32 v[196:197], v[194:195], v[56:57]
	v_mul_f64 v[58:59], v[194:195], v[58:59]
	v_fma_f64 v[56:57], v[192:193], v[56:57], -v[58:59]
	s_waitcnt lgkmcnt(0)
	v_mul_f64 v[58:59], v[200:201], v[196:197]
	v_fma_f64 v[58:59], v[198:199], v[56:57], -v[58:59]
	v_mul_f64 v[198:199], v[198:199], v[196:197]
	v_fmac_f64_e32 v[198:199], v[200:201], v[56:57]
	s_waitcnt vmcnt(40)
	v_add_f64 v[54:55], v[54:55], -v[198:199]
	ds_read2_b64 v[198:201], v122 offset0:36 offset1:37
	v_add_f64 v[52:53], v[52:53], -v[58:59]
	s_waitcnt lgkmcnt(0)
	v_mul_f64 v[58:59], v[200:201], v[196:197]
	v_fma_f64 v[58:59], v[198:199], v[56:57], -v[58:59]
	v_mul_f64 v[198:199], v[198:199], v[196:197]
	v_fmac_f64_e32 v[198:199], v[200:201], v[56:57]
	s_waitcnt vmcnt(39)
	v_add_f64 v[50:51], v[50:51], -v[198:199]
	ds_read2_b64 v[198:201], v122 offset0:38 offset1:39
	v_add_f64 v[48:49], v[48:49], -v[58:59]
	;; [unrolled: 9-line block ×10, first 2 shown]
	s_waitcnt lgkmcnt(0)
	v_mul_f64 v[58:59], v[200:201], v[196:197]
	v_fma_f64 v[58:59], v[198:199], v[56:57], -v[58:59]
	v_mul_f64 v[198:199], v[198:199], v[196:197]
	v_fmac_f64_e32 v[198:199], v[200:201], v[56:57]
	v_add_f64 v[14:15], v[14:15], -v[198:199]
	ds_read2_b64 v[198:201], v122 offset0:56 offset1:57
	v_add_f64 v[12:13], v[12:13], -v[58:59]
	s_waitcnt lgkmcnt(0)
	v_mul_f64 v[58:59], v[200:201], v[196:197]
	v_fma_f64 v[58:59], v[198:199], v[56:57], -v[58:59]
	v_mul_f64 v[198:199], v[198:199], v[196:197]
	v_fmac_f64_e32 v[198:199], v[200:201], v[56:57]
	v_add_f64 v[10:11], v[10:11], -v[198:199]
	ds_read2_b64 v[198:201], v122 offset0:58 offset1:59
	v_add_f64 v[8:9], v[8:9], -v[58:59]
	;; [unrolled: 8-line block ×4, first 2 shown]
	s_waitcnt lgkmcnt(0)
	v_mul_f64 v[58:59], v[200:201], v[196:197]
	v_fma_f64 v[58:59], v[198:199], v[56:57], -v[58:59]
	v_mul_f64 v[198:199], v[198:199], v[196:197]
	v_fmac_f64_e32 v[198:199], v[200:201], v[56:57]
	s_waitcnt vmcnt(10)
	v_add_f64 v[124:125], v[124:125], -v[58:59]
	v_add_f64 v[126:127], v[126:127], -v[198:199]
	v_mov_b64_e32 v[58:59], v[196:197]
.LBB63_154:
	s_or_b64 exec, exec, s[2:3]
	v_cmp_eq_u32_e32 vcc, 17, v120
	s_waitcnt lgkmcnt(0)
	s_barrier
	s_and_saveexec_b64 s[4:5], vcc
	s_cbranch_execz .LBB63_161
; %bb.155:
	s_waitcnt vmcnt(40)
	ds_write2_b64 v121, v[52:53], v[54:55] offset1:1
	s_waitcnt vmcnt(39)
	ds_write2_b64 v122, v[48:49], v[50:51] offset0:36 offset1:37
	s_waitcnt vmcnt(38)
	ds_write2_b64 v122, v[44:45], v[46:47] offset0:38 offset1:39
	;; [unrolled: 2-line block ×9, first 2 shown]
	ds_write2_b64 v122, v[12:13], v[14:15] offset0:54 offset1:55
	ds_write2_b64 v122, v[8:9], v[10:11] offset0:56 offset1:57
	;; [unrolled: 1-line block ×4, first 2 shown]
	s_waitcnt vmcnt(10)
	ds_write2_b64 v122, v[124:125], v[126:127] offset0:62 offset1:63
	ds_read2_b64 v[196:199], v121 offset1:1
	s_waitcnt lgkmcnt(0)
	v_cmp_neq_f64_e32 vcc, 0, v[196:197]
	v_cmp_neq_f64_e64 s[2:3], 0, v[198:199]
	s_or_b64 s[2:3], vcc, s[2:3]
	s_and_b64 exec, exec, s[2:3]
	s_cbranch_execz .LBB63_161
; %bb.156:
	v_cmp_ngt_f64_e64 s[2:3], |v[196:197]|, |v[198:199]|
                                        ; implicit-def: $vgpr200_vgpr201
	s_and_saveexec_b64 s[10:11], s[2:3]
	s_xor_b64 s[2:3], exec, s[10:11]
                                        ; implicit-def: $vgpr202_vgpr203
	s_cbranch_execz .LBB63_158
; %bb.157:
	v_div_scale_f64 v[200:201], s[10:11], v[198:199], v[198:199], v[196:197]
	v_rcp_f64_e32 v[202:203], v[200:201]
	v_div_scale_f64 v[204:205], vcc, v[196:197], v[198:199], v[196:197]
	v_fma_f64 v[206:207], -v[200:201], v[202:203], 1.0
	v_fmac_f64_e32 v[202:203], v[202:203], v[206:207]
	v_fma_f64 v[206:207], -v[200:201], v[202:203], 1.0
	v_fmac_f64_e32 v[202:203], v[202:203], v[206:207]
	v_mul_f64 v[206:207], v[204:205], v[202:203]
	v_fma_f64 v[200:201], -v[200:201], v[206:207], v[204:205]
	v_div_fmas_f64 v[200:201], v[200:201], v[202:203], v[206:207]
	v_div_fixup_f64 v[200:201], v[200:201], v[198:199], v[196:197]
	v_fmac_f64_e32 v[198:199], v[196:197], v[200:201]
	v_div_scale_f64 v[196:197], s[10:11], v[198:199], v[198:199], 1.0
	v_rcp_f64_e32 v[202:203], v[196:197]
	s_nop 0
	v_fma_f64 v[204:205], -v[196:197], v[202:203], 1.0
	v_fmac_f64_e32 v[202:203], v[202:203], v[204:205]
	v_fma_f64 v[204:205], -v[196:197], v[202:203], 1.0
	v_fmac_f64_e32 v[202:203], v[202:203], v[204:205]
	v_div_scale_f64 v[204:205], vcc, 1.0, v[198:199], 1.0
	v_mul_f64 v[206:207], v[204:205], v[202:203]
	v_fma_f64 v[196:197], -v[196:197], v[206:207], v[204:205]
	s_nop 1
	v_div_fmas_f64 v[196:197], v[196:197], v[202:203], v[206:207]
	v_div_fixup_f64 v[202:203], v[196:197], v[198:199], 1.0
	v_mul_f64 v[200:201], v[200:201], v[202:203]
	v_xor_b32_e32 v203, 0x80000000, v203
                                        ; implicit-def: $vgpr196_vgpr197
.LBB63_158:
	s_andn2_saveexec_b64 s[2:3], s[2:3]
	s_cbranch_execz .LBB63_160
; %bb.159:
	v_div_scale_f64 v[200:201], s[10:11], v[196:197], v[196:197], v[198:199]
	v_rcp_f64_e32 v[202:203], v[200:201]
	v_div_scale_f64 v[204:205], vcc, v[198:199], v[196:197], v[198:199]
	v_fma_f64 v[206:207], -v[200:201], v[202:203], 1.0
	v_fmac_f64_e32 v[202:203], v[202:203], v[206:207]
	v_fma_f64 v[206:207], -v[200:201], v[202:203], 1.0
	v_fmac_f64_e32 v[202:203], v[202:203], v[206:207]
	v_mul_f64 v[206:207], v[204:205], v[202:203]
	v_fma_f64 v[200:201], -v[200:201], v[206:207], v[204:205]
	v_div_fmas_f64 v[200:201], v[200:201], v[202:203], v[206:207]
	v_div_fixup_f64 v[202:203], v[200:201], v[196:197], v[198:199]
	v_fmac_f64_e32 v[196:197], v[198:199], v[202:203]
	v_div_scale_f64 v[198:199], s[10:11], v[196:197], v[196:197], 1.0
	v_rcp_f64_e32 v[200:201], v[198:199]
	s_nop 0
	v_fma_f64 v[204:205], -v[198:199], v[200:201], 1.0
	v_fmac_f64_e32 v[200:201], v[200:201], v[204:205]
	v_fma_f64 v[204:205], -v[198:199], v[200:201], 1.0
	v_fmac_f64_e32 v[200:201], v[200:201], v[204:205]
	v_div_scale_f64 v[204:205], vcc, 1.0, v[196:197], 1.0
	v_mul_f64 v[206:207], v[204:205], v[200:201]
	v_fma_f64 v[198:199], -v[198:199], v[206:207], v[204:205]
	s_nop 1
	v_div_fmas_f64 v[198:199], v[198:199], v[200:201], v[206:207]
	v_div_fixup_f64 v[200:201], v[198:199], v[196:197], 1.0
	v_mul_f64 v[202:203], v[202:203], -v[200:201]
.LBB63_160:
	s_or_b64 exec, exec, s[2:3]
	ds_write2_b64 v121, v[200:201], v[202:203] offset1:1
.LBB63_161:
	s_or_b64 exec, exec, s[4:5]
	s_waitcnt lgkmcnt(0)
	s_barrier
	ds_read2_b64 v[196:199], v121 offset1:1
	v_cmp_lt_u32_e32 vcc, 17, v120
	s_and_saveexec_b64 s[2:3], vcc
	s_cbranch_execz .LBB63_163
; %bb.162:
	ds_read2_b64 v[202:205], v122 offset0:36 offset1:37
	s_waitcnt vmcnt(40) lgkmcnt(1)
	v_mul_f64 v[200:201], v[196:197], v[54:55]
	v_fmac_f64_e32 v[200:201], v[198:199], v[52:53]
	v_mul_f64 v[54:55], v[198:199], v[54:55]
	v_fma_f64 v[52:53], v[196:197], v[52:53], -v[54:55]
	s_waitcnt lgkmcnt(0)
	v_mul_f64 v[54:55], v[204:205], v[200:201]
	v_fma_f64 v[54:55], v[202:203], v[52:53], -v[54:55]
	v_mul_f64 v[202:203], v[202:203], v[200:201]
	v_fmac_f64_e32 v[202:203], v[204:205], v[52:53]
	s_waitcnt vmcnt(39)
	v_add_f64 v[50:51], v[50:51], -v[202:203]
	ds_read2_b64 v[202:205], v122 offset0:38 offset1:39
	v_add_f64 v[48:49], v[48:49], -v[54:55]
	s_waitcnt lgkmcnt(0)
	v_mul_f64 v[54:55], v[204:205], v[200:201]
	v_fma_f64 v[54:55], v[202:203], v[52:53], -v[54:55]
	v_mul_f64 v[202:203], v[202:203], v[200:201]
	v_fmac_f64_e32 v[202:203], v[204:205], v[52:53]
	s_waitcnt vmcnt(38)
	v_add_f64 v[46:47], v[46:47], -v[202:203]
	ds_read2_b64 v[202:205], v122 offset0:40 offset1:41
	v_add_f64 v[44:45], v[44:45], -v[54:55]
	;; [unrolled: 9-line block ×9, first 2 shown]
	s_waitcnt lgkmcnt(0)
	v_mul_f64 v[54:55], v[204:205], v[200:201]
	v_fma_f64 v[54:55], v[202:203], v[52:53], -v[54:55]
	v_mul_f64 v[202:203], v[202:203], v[200:201]
	v_fmac_f64_e32 v[202:203], v[204:205], v[52:53]
	v_add_f64 v[14:15], v[14:15], -v[202:203]
	ds_read2_b64 v[202:205], v122 offset0:56 offset1:57
	v_add_f64 v[12:13], v[12:13], -v[54:55]
	s_waitcnt lgkmcnt(0)
	v_mul_f64 v[54:55], v[204:205], v[200:201]
	v_fma_f64 v[54:55], v[202:203], v[52:53], -v[54:55]
	v_mul_f64 v[202:203], v[202:203], v[200:201]
	v_fmac_f64_e32 v[202:203], v[204:205], v[52:53]
	v_add_f64 v[10:11], v[10:11], -v[202:203]
	ds_read2_b64 v[202:205], v122 offset0:58 offset1:59
	v_add_f64 v[8:9], v[8:9], -v[54:55]
	;; [unrolled: 8-line block ×4, first 2 shown]
	s_waitcnt lgkmcnt(0)
	v_mul_f64 v[54:55], v[204:205], v[200:201]
	v_fma_f64 v[54:55], v[202:203], v[52:53], -v[54:55]
	v_mul_f64 v[202:203], v[202:203], v[200:201]
	v_fmac_f64_e32 v[202:203], v[204:205], v[52:53]
	s_waitcnt vmcnt(10)
	v_add_f64 v[124:125], v[124:125], -v[54:55]
	v_add_f64 v[126:127], v[126:127], -v[202:203]
	v_mov_b64_e32 v[54:55], v[200:201]
.LBB63_163:
	s_or_b64 exec, exec, s[2:3]
	v_cmp_eq_u32_e32 vcc, 18, v120
	s_waitcnt lgkmcnt(0)
	s_barrier
	s_and_saveexec_b64 s[4:5], vcc
	s_cbranch_execz .LBB63_170
; %bb.164:
	s_waitcnt vmcnt(39)
	ds_write2_b64 v121, v[48:49], v[50:51] offset1:1
	s_waitcnt vmcnt(38)
	ds_write2_b64 v122, v[44:45], v[46:47] offset0:38 offset1:39
	s_waitcnt vmcnt(19)
	ds_write2_b64 v122, v[40:41], v[42:43] offset0:40 offset1:41
	s_waitcnt vmcnt(18)
	ds_write2_b64 v122, v[36:37], v[38:39] offset0:42 offset1:43
	s_waitcnt vmcnt(17)
	ds_write2_b64 v122, v[32:33], v[34:35] offset0:44 offset1:45
	s_waitcnt vmcnt(16)
	ds_write2_b64 v122, v[28:29], v[30:31] offset0:46 offset1:47
	s_waitcnt vmcnt(15)
	ds_write2_b64 v122, v[24:25], v[26:27] offset0:48 offset1:49
	s_waitcnt vmcnt(14)
	ds_write2_b64 v122, v[20:21], v[22:23] offset0:50 offset1:51
	s_waitcnt vmcnt(13)
	ds_write2_b64 v122, v[16:17], v[18:19] offset0:52 offset1:53
	ds_write2_b64 v122, v[12:13], v[14:15] offset0:54 offset1:55
	ds_write2_b64 v122, v[8:9], v[10:11] offset0:56 offset1:57
	;; [unrolled: 1-line block ×4, first 2 shown]
	s_waitcnt vmcnt(10)
	ds_write2_b64 v122, v[124:125], v[126:127] offset0:62 offset1:63
	ds_read2_b64 v[200:203], v121 offset1:1
	s_waitcnt lgkmcnt(0)
	v_cmp_neq_f64_e32 vcc, 0, v[200:201]
	v_cmp_neq_f64_e64 s[2:3], 0, v[202:203]
	s_or_b64 s[2:3], vcc, s[2:3]
	s_and_b64 exec, exec, s[2:3]
	s_cbranch_execz .LBB63_170
; %bb.165:
	v_cmp_ngt_f64_e64 s[2:3], |v[200:201]|, |v[202:203]|
                                        ; implicit-def: $vgpr204_vgpr205
	s_and_saveexec_b64 s[10:11], s[2:3]
	s_xor_b64 s[2:3], exec, s[10:11]
                                        ; implicit-def: $vgpr206_vgpr207
	s_cbranch_execz .LBB63_167
; %bb.166:
	v_div_scale_f64 v[204:205], s[10:11], v[202:203], v[202:203], v[200:201]
	v_rcp_f64_e32 v[206:207], v[204:205]
	v_div_scale_f64 v[208:209], vcc, v[200:201], v[202:203], v[200:201]
	v_fma_f64 v[210:211], -v[204:205], v[206:207], 1.0
	v_fmac_f64_e32 v[206:207], v[206:207], v[210:211]
	v_fma_f64 v[210:211], -v[204:205], v[206:207], 1.0
	v_fmac_f64_e32 v[206:207], v[206:207], v[210:211]
	v_mul_f64 v[210:211], v[208:209], v[206:207]
	v_fma_f64 v[204:205], -v[204:205], v[210:211], v[208:209]
	v_div_fmas_f64 v[204:205], v[204:205], v[206:207], v[210:211]
	v_div_fixup_f64 v[204:205], v[204:205], v[202:203], v[200:201]
	v_fmac_f64_e32 v[202:203], v[200:201], v[204:205]
	v_div_scale_f64 v[200:201], s[10:11], v[202:203], v[202:203], 1.0
	v_rcp_f64_e32 v[206:207], v[200:201]
	s_nop 0
	v_fma_f64 v[208:209], -v[200:201], v[206:207], 1.0
	v_fmac_f64_e32 v[206:207], v[206:207], v[208:209]
	v_fma_f64 v[208:209], -v[200:201], v[206:207], 1.0
	v_fmac_f64_e32 v[206:207], v[206:207], v[208:209]
	v_div_scale_f64 v[208:209], vcc, 1.0, v[202:203], 1.0
	v_mul_f64 v[210:211], v[208:209], v[206:207]
	v_fma_f64 v[200:201], -v[200:201], v[210:211], v[208:209]
	s_nop 1
	v_div_fmas_f64 v[200:201], v[200:201], v[206:207], v[210:211]
	v_div_fixup_f64 v[206:207], v[200:201], v[202:203], 1.0
	v_mul_f64 v[204:205], v[204:205], v[206:207]
	v_xor_b32_e32 v207, 0x80000000, v207
                                        ; implicit-def: $vgpr200_vgpr201
.LBB63_167:
	s_andn2_saveexec_b64 s[2:3], s[2:3]
	s_cbranch_execz .LBB63_169
; %bb.168:
	v_div_scale_f64 v[204:205], s[10:11], v[200:201], v[200:201], v[202:203]
	v_rcp_f64_e32 v[206:207], v[204:205]
	v_div_scale_f64 v[208:209], vcc, v[202:203], v[200:201], v[202:203]
	v_fma_f64 v[210:211], -v[204:205], v[206:207], 1.0
	v_fmac_f64_e32 v[206:207], v[206:207], v[210:211]
	v_fma_f64 v[210:211], -v[204:205], v[206:207], 1.0
	v_fmac_f64_e32 v[206:207], v[206:207], v[210:211]
	v_mul_f64 v[210:211], v[208:209], v[206:207]
	v_fma_f64 v[204:205], -v[204:205], v[210:211], v[208:209]
	v_div_fmas_f64 v[204:205], v[204:205], v[206:207], v[210:211]
	v_div_fixup_f64 v[206:207], v[204:205], v[200:201], v[202:203]
	v_fmac_f64_e32 v[200:201], v[202:203], v[206:207]
	v_div_scale_f64 v[202:203], s[10:11], v[200:201], v[200:201], 1.0
	v_rcp_f64_e32 v[204:205], v[202:203]
	s_nop 0
	v_fma_f64 v[208:209], -v[202:203], v[204:205], 1.0
	v_fmac_f64_e32 v[204:205], v[204:205], v[208:209]
	v_fma_f64 v[208:209], -v[202:203], v[204:205], 1.0
	v_fmac_f64_e32 v[204:205], v[204:205], v[208:209]
	v_div_scale_f64 v[208:209], vcc, 1.0, v[200:201], 1.0
	v_mul_f64 v[210:211], v[208:209], v[204:205]
	v_fma_f64 v[202:203], -v[202:203], v[210:211], v[208:209]
	s_nop 1
	v_div_fmas_f64 v[202:203], v[202:203], v[204:205], v[210:211]
	v_div_fixup_f64 v[204:205], v[202:203], v[200:201], 1.0
	v_mul_f64 v[206:207], v[206:207], -v[204:205]
.LBB63_169:
	s_or_b64 exec, exec, s[2:3]
	ds_write2_b64 v121, v[204:205], v[206:207] offset1:1
.LBB63_170:
	s_or_b64 exec, exec, s[4:5]
	s_waitcnt lgkmcnt(0)
	s_barrier
	ds_read2_b64 v[200:203], v121 offset1:1
	v_cmp_lt_u32_e32 vcc, 18, v120
	s_and_saveexec_b64 s[2:3], vcc
	s_cbranch_execz .LBB63_172
; %bb.171:
	ds_read2_b64 v[206:209], v122 offset0:38 offset1:39
	s_waitcnt vmcnt(39) lgkmcnt(1)
	v_mul_f64 v[204:205], v[200:201], v[50:51]
	v_fmac_f64_e32 v[204:205], v[202:203], v[48:49]
	v_mul_f64 v[50:51], v[202:203], v[50:51]
	v_fma_f64 v[48:49], v[200:201], v[48:49], -v[50:51]
	s_waitcnt lgkmcnt(0)
	v_mul_f64 v[50:51], v[208:209], v[204:205]
	v_fma_f64 v[50:51], v[206:207], v[48:49], -v[50:51]
	v_mul_f64 v[206:207], v[206:207], v[204:205]
	v_fmac_f64_e32 v[206:207], v[208:209], v[48:49]
	s_waitcnt vmcnt(38)
	v_add_f64 v[46:47], v[46:47], -v[206:207]
	ds_read2_b64 v[206:209], v122 offset0:40 offset1:41
	v_add_f64 v[44:45], v[44:45], -v[50:51]
	s_waitcnt lgkmcnt(0)
	v_mul_f64 v[50:51], v[208:209], v[204:205]
	v_fma_f64 v[50:51], v[206:207], v[48:49], -v[50:51]
	v_mul_f64 v[206:207], v[206:207], v[204:205]
	v_fmac_f64_e32 v[206:207], v[208:209], v[48:49]
	s_waitcnt vmcnt(19)
	v_add_f64 v[42:43], v[42:43], -v[206:207]
	ds_read2_b64 v[206:209], v122 offset0:42 offset1:43
	v_add_f64 v[40:41], v[40:41], -v[50:51]
	s_waitcnt lgkmcnt(0)
	v_mul_f64 v[50:51], v[208:209], v[204:205]
	v_fma_f64 v[50:51], v[206:207], v[48:49], -v[50:51]
	v_mul_f64 v[206:207], v[206:207], v[204:205]
	v_fmac_f64_e32 v[206:207], v[208:209], v[48:49]
	s_waitcnt vmcnt(18)
	v_add_f64 v[38:39], v[38:39], -v[206:207]
	ds_read2_b64 v[206:209], v122 offset0:44 offset1:45
	v_add_f64 v[36:37], v[36:37], -v[50:51]
	s_waitcnt lgkmcnt(0)
	v_mul_f64 v[50:51], v[208:209], v[204:205]
	v_fma_f64 v[50:51], v[206:207], v[48:49], -v[50:51]
	v_mul_f64 v[206:207], v[206:207], v[204:205]
	v_fmac_f64_e32 v[206:207], v[208:209], v[48:49]
	s_waitcnt vmcnt(17)
	v_add_f64 v[34:35], v[34:35], -v[206:207]
	ds_read2_b64 v[206:209], v122 offset0:46 offset1:47
	v_add_f64 v[32:33], v[32:33], -v[50:51]
	s_waitcnt lgkmcnt(0)
	v_mul_f64 v[50:51], v[208:209], v[204:205]
	v_fma_f64 v[50:51], v[206:207], v[48:49], -v[50:51]
	v_mul_f64 v[206:207], v[206:207], v[204:205]
	v_fmac_f64_e32 v[206:207], v[208:209], v[48:49]
	s_waitcnt vmcnt(16)
	v_add_f64 v[30:31], v[30:31], -v[206:207]
	ds_read2_b64 v[206:209], v122 offset0:48 offset1:49
	v_add_f64 v[28:29], v[28:29], -v[50:51]
	s_waitcnt lgkmcnt(0)
	v_mul_f64 v[50:51], v[208:209], v[204:205]
	v_fma_f64 v[50:51], v[206:207], v[48:49], -v[50:51]
	v_mul_f64 v[206:207], v[206:207], v[204:205]
	v_fmac_f64_e32 v[206:207], v[208:209], v[48:49]
	s_waitcnt vmcnt(15)
	v_add_f64 v[26:27], v[26:27], -v[206:207]
	ds_read2_b64 v[206:209], v122 offset0:50 offset1:51
	v_add_f64 v[24:25], v[24:25], -v[50:51]
	s_waitcnt lgkmcnt(0)
	v_mul_f64 v[50:51], v[208:209], v[204:205]
	v_fma_f64 v[50:51], v[206:207], v[48:49], -v[50:51]
	v_mul_f64 v[206:207], v[206:207], v[204:205]
	v_fmac_f64_e32 v[206:207], v[208:209], v[48:49]
	s_waitcnt vmcnt(14)
	v_add_f64 v[22:23], v[22:23], -v[206:207]
	ds_read2_b64 v[206:209], v122 offset0:52 offset1:53
	v_add_f64 v[20:21], v[20:21], -v[50:51]
	s_waitcnt lgkmcnt(0)
	v_mul_f64 v[50:51], v[208:209], v[204:205]
	v_fma_f64 v[50:51], v[206:207], v[48:49], -v[50:51]
	v_mul_f64 v[206:207], v[206:207], v[204:205]
	v_fmac_f64_e32 v[206:207], v[208:209], v[48:49]
	s_waitcnt vmcnt(13)
	v_add_f64 v[18:19], v[18:19], -v[206:207]
	ds_read2_b64 v[206:209], v122 offset0:54 offset1:55
	v_add_f64 v[16:17], v[16:17], -v[50:51]
	s_waitcnt lgkmcnt(0)
	v_mul_f64 v[50:51], v[208:209], v[204:205]
	v_fma_f64 v[50:51], v[206:207], v[48:49], -v[50:51]
	v_mul_f64 v[206:207], v[206:207], v[204:205]
	v_fmac_f64_e32 v[206:207], v[208:209], v[48:49]
	v_add_f64 v[14:15], v[14:15], -v[206:207]
	ds_read2_b64 v[206:209], v122 offset0:56 offset1:57
	v_add_f64 v[12:13], v[12:13], -v[50:51]
	s_waitcnt lgkmcnt(0)
	v_mul_f64 v[50:51], v[208:209], v[204:205]
	v_fma_f64 v[50:51], v[206:207], v[48:49], -v[50:51]
	v_mul_f64 v[206:207], v[206:207], v[204:205]
	v_fmac_f64_e32 v[206:207], v[208:209], v[48:49]
	v_add_f64 v[10:11], v[10:11], -v[206:207]
	ds_read2_b64 v[206:209], v122 offset0:58 offset1:59
	v_add_f64 v[8:9], v[8:9], -v[50:51]
	;; [unrolled: 8-line block ×4, first 2 shown]
	s_waitcnt lgkmcnt(0)
	v_mul_f64 v[50:51], v[208:209], v[204:205]
	v_fma_f64 v[50:51], v[206:207], v[48:49], -v[50:51]
	v_mul_f64 v[206:207], v[206:207], v[204:205]
	v_fmac_f64_e32 v[206:207], v[208:209], v[48:49]
	s_waitcnt vmcnt(10)
	v_add_f64 v[124:125], v[124:125], -v[50:51]
	v_add_f64 v[126:127], v[126:127], -v[206:207]
	v_mov_b64_e32 v[50:51], v[204:205]
.LBB63_172:
	s_or_b64 exec, exec, s[2:3]
	v_cmp_eq_u32_e32 vcc, 19, v120
	s_waitcnt lgkmcnt(0)
	s_barrier
	s_and_saveexec_b64 s[4:5], vcc
	s_cbranch_execz .LBB63_179
; %bb.173:
	s_waitcnt vmcnt(38)
	ds_write2_b64 v121, v[44:45], v[46:47] offset1:1
	s_waitcnt vmcnt(19)
	ds_write2_b64 v122, v[40:41], v[42:43] offset0:40 offset1:41
	s_waitcnt vmcnt(18)
	ds_write2_b64 v122, v[36:37], v[38:39] offset0:42 offset1:43
	;; [unrolled: 2-line block ×7, first 2 shown]
	ds_write2_b64 v122, v[12:13], v[14:15] offset0:54 offset1:55
	ds_write2_b64 v122, v[8:9], v[10:11] offset0:56 offset1:57
	;; [unrolled: 1-line block ×4, first 2 shown]
	s_waitcnt vmcnt(10)
	ds_write2_b64 v122, v[124:125], v[126:127] offset0:62 offset1:63
	ds_read2_b64 v[204:207], v121 offset1:1
	s_waitcnt lgkmcnt(0)
	v_cmp_neq_f64_e32 vcc, 0, v[204:205]
	v_cmp_neq_f64_e64 s[2:3], 0, v[206:207]
	s_or_b64 s[2:3], vcc, s[2:3]
	s_and_b64 exec, exec, s[2:3]
	s_cbranch_execz .LBB63_179
; %bb.174:
	v_cmp_ngt_f64_e64 s[2:3], |v[204:205]|, |v[206:207]|
                                        ; implicit-def: $vgpr208_vgpr209
	s_and_saveexec_b64 s[10:11], s[2:3]
	s_xor_b64 s[2:3], exec, s[10:11]
                                        ; implicit-def: $vgpr210_vgpr211
	s_cbranch_execz .LBB63_176
; %bb.175:
	v_div_scale_f64 v[208:209], s[10:11], v[206:207], v[206:207], v[204:205]
	v_rcp_f64_e32 v[210:211], v[208:209]
	v_div_scale_f64 v[212:213], vcc, v[204:205], v[206:207], v[204:205]
	v_fma_f64 v[214:215], -v[208:209], v[210:211], 1.0
	v_fmac_f64_e32 v[210:211], v[210:211], v[214:215]
	v_fma_f64 v[214:215], -v[208:209], v[210:211], 1.0
	v_fmac_f64_e32 v[210:211], v[210:211], v[214:215]
	v_mul_f64 v[214:215], v[212:213], v[210:211]
	v_fma_f64 v[208:209], -v[208:209], v[214:215], v[212:213]
	v_div_fmas_f64 v[208:209], v[208:209], v[210:211], v[214:215]
	v_div_fixup_f64 v[208:209], v[208:209], v[206:207], v[204:205]
	v_fmac_f64_e32 v[206:207], v[204:205], v[208:209]
	v_div_scale_f64 v[204:205], s[10:11], v[206:207], v[206:207], 1.0
	v_rcp_f64_e32 v[210:211], v[204:205]
	s_nop 0
	v_fma_f64 v[212:213], -v[204:205], v[210:211], 1.0
	v_fmac_f64_e32 v[210:211], v[210:211], v[212:213]
	v_fma_f64 v[212:213], -v[204:205], v[210:211], 1.0
	v_fmac_f64_e32 v[210:211], v[210:211], v[212:213]
	v_div_scale_f64 v[212:213], vcc, 1.0, v[206:207], 1.0
	v_mul_f64 v[214:215], v[212:213], v[210:211]
	v_fma_f64 v[204:205], -v[204:205], v[214:215], v[212:213]
	s_nop 1
	v_div_fmas_f64 v[204:205], v[204:205], v[210:211], v[214:215]
	v_div_fixup_f64 v[210:211], v[204:205], v[206:207], 1.0
	v_mul_f64 v[208:209], v[208:209], v[210:211]
	v_xor_b32_e32 v211, 0x80000000, v211
                                        ; implicit-def: $vgpr204_vgpr205
.LBB63_176:
	s_andn2_saveexec_b64 s[2:3], s[2:3]
	s_cbranch_execz .LBB63_178
; %bb.177:
	v_div_scale_f64 v[208:209], s[10:11], v[204:205], v[204:205], v[206:207]
	v_rcp_f64_e32 v[210:211], v[208:209]
	v_div_scale_f64 v[212:213], vcc, v[206:207], v[204:205], v[206:207]
	v_fma_f64 v[214:215], -v[208:209], v[210:211], 1.0
	v_fmac_f64_e32 v[210:211], v[210:211], v[214:215]
	v_fma_f64 v[214:215], -v[208:209], v[210:211], 1.0
	v_fmac_f64_e32 v[210:211], v[210:211], v[214:215]
	v_mul_f64 v[214:215], v[212:213], v[210:211]
	v_fma_f64 v[208:209], -v[208:209], v[214:215], v[212:213]
	v_div_fmas_f64 v[208:209], v[208:209], v[210:211], v[214:215]
	v_div_fixup_f64 v[210:211], v[208:209], v[204:205], v[206:207]
	v_fmac_f64_e32 v[204:205], v[206:207], v[210:211]
	v_div_scale_f64 v[206:207], s[10:11], v[204:205], v[204:205], 1.0
	v_rcp_f64_e32 v[208:209], v[206:207]
	s_nop 0
	v_fma_f64 v[212:213], -v[206:207], v[208:209], 1.0
	v_fmac_f64_e32 v[208:209], v[208:209], v[212:213]
	v_fma_f64 v[212:213], -v[206:207], v[208:209], 1.0
	v_fmac_f64_e32 v[208:209], v[208:209], v[212:213]
	v_div_scale_f64 v[212:213], vcc, 1.0, v[204:205], 1.0
	v_mul_f64 v[214:215], v[212:213], v[208:209]
	v_fma_f64 v[206:207], -v[206:207], v[214:215], v[212:213]
	s_nop 1
	v_div_fmas_f64 v[206:207], v[206:207], v[208:209], v[214:215]
	v_div_fixup_f64 v[208:209], v[206:207], v[204:205], 1.0
	v_mul_f64 v[210:211], v[210:211], -v[208:209]
.LBB63_178:
	s_or_b64 exec, exec, s[2:3]
	ds_write2_b64 v121, v[208:209], v[210:211] offset1:1
.LBB63_179:
	s_or_b64 exec, exec, s[4:5]
	s_waitcnt lgkmcnt(0)
	s_barrier
	ds_read2_b64 v[204:207], v121 offset1:1
	v_cmp_lt_u32_e32 vcc, 19, v120
	s_and_saveexec_b64 s[2:3], vcc
	s_cbranch_execz .LBB63_181
; %bb.180:
	ds_read2_b64 v[210:213], v122 offset0:40 offset1:41
	s_waitcnt vmcnt(38) lgkmcnt(1)
	v_mul_f64 v[208:209], v[204:205], v[46:47]
	v_fmac_f64_e32 v[208:209], v[206:207], v[44:45]
	v_mul_f64 v[46:47], v[206:207], v[46:47]
	v_fma_f64 v[44:45], v[204:205], v[44:45], -v[46:47]
	s_waitcnt lgkmcnt(0)
	v_mul_f64 v[46:47], v[212:213], v[208:209]
	v_fma_f64 v[46:47], v[210:211], v[44:45], -v[46:47]
	v_mul_f64 v[210:211], v[210:211], v[208:209]
	v_fmac_f64_e32 v[210:211], v[212:213], v[44:45]
	s_waitcnt vmcnt(19)
	v_add_f64 v[42:43], v[42:43], -v[210:211]
	ds_read2_b64 v[210:213], v122 offset0:42 offset1:43
	v_add_f64 v[40:41], v[40:41], -v[46:47]
	s_waitcnt lgkmcnt(0)
	v_mul_f64 v[46:47], v[212:213], v[208:209]
	v_fma_f64 v[46:47], v[210:211], v[44:45], -v[46:47]
	v_mul_f64 v[210:211], v[210:211], v[208:209]
	v_fmac_f64_e32 v[210:211], v[212:213], v[44:45]
	s_waitcnt vmcnt(18)
	v_add_f64 v[38:39], v[38:39], -v[210:211]
	ds_read2_b64 v[210:213], v122 offset0:44 offset1:45
	v_add_f64 v[36:37], v[36:37], -v[46:47]
	;; [unrolled: 9-line block ×7, first 2 shown]
	s_waitcnt lgkmcnt(0)
	v_mul_f64 v[46:47], v[212:213], v[208:209]
	v_fma_f64 v[46:47], v[210:211], v[44:45], -v[46:47]
	v_mul_f64 v[210:211], v[210:211], v[208:209]
	v_fmac_f64_e32 v[210:211], v[212:213], v[44:45]
	v_add_f64 v[14:15], v[14:15], -v[210:211]
	ds_read2_b64 v[210:213], v122 offset0:56 offset1:57
	v_add_f64 v[12:13], v[12:13], -v[46:47]
	s_waitcnt lgkmcnt(0)
	v_mul_f64 v[46:47], v[212:213], v[208:209]
	v_fma_f64 v[46:47], v[210:211], v[44:45], -v[46:47]
	v_mul_f64 v[210:211], v[210:211], v[208:209]
	v_fmac_f64_e32 v[210:211], v[212:213], v[44:45]
	v_add_f64 v[10:11], v[10:11], -v[210:211]
	ds_read2_b64 v[210:213], v122 offset0:58 offset1:59
	v_add_f64 v[8:9], v[8:9], -v[46:47]
	;; [unrolled: 8-line block ×4, first 2 shown]
	s_waitcnt lgkmcnt(0)
	v_mul_f64 v[46:47], v[212:213], v[208:209]
	v_fma_f64 v[46:47], v[210:211], v[44:45], -v[46:47]
	v_mul_f64 v[210:211], v[210:211], v[208:209]
	v_fmac_f64_e32 v[210:211], v[212:213], v[44:45]
	s_waitcnt vmcnt(10)
	v_add_f64 v[124:125], v[124:125], -v[46:47]
	v_add_f64 v[126:127], v[126:127], -v[210:211]
	v_mov_b64_e32 v[46:47], v[208:209]
.LBB63_181:
	s_or_b64 exec, exec, s[2:3]
	v_cmp_eq_u32_e32 vcc, 20, v120
	s_waitcnt lgkmcnt(0)
	s_barrier
	s_and_saveexec_b64 s[4:5], vcc
	s_cbranch_execz .LBB63_188
; %bb.182:
	s_waitcnt vmcnt(19)
	ds_write2_b64 v121, v[40:41], v[42:43] offset1:1
	s_waitcnt vmcnt(18)
	ds_write2_b64 v122, v[36:37], v[38:39] offset0:42 offset1:43
	s_waitcnt vmcnt(17)
	ds_write2_b64 v122, v[32:33], v[34:35] offset0:44 offset1:45
	s_waitcnt vmcnt(16)
	ds_write2_b64 v122, v[28:29], v[30:31] offset0:46 offset1:47
	s_waitcnt vmcnt(15)
	ds_write2_b64 v122, v[24:25], v[26:27] offset0:48 offset1:49
	s_waitcnt vmcnt(14)
	ds_write2_b64 v122, v[20:21], v[22:23] offset0:50 offset1:51
	s_waitcnt vmcnt(13)
	ds_write2_b64 v122, v[16:17], v[18:19] offset0:52 offset1:53
	ds_write2_b64 v122, v[12:13], v[14:15] offset0:54 offset1:55
	ds_write2_b64 v122, v[8:9], v[10:11] offset0:56 offset1:57
	;; [unrolled: 1-line block ×4, first 2 shown]
	s_waitcnt vmcnt(10)
	ds_write2_b64 v122, v[124:125], v[126:127] offset0:62 offset1:63
	ds_read2_b64 v[208:211], v121 offset1:1
	s_waitcnt lgkmcnt(0)
	v_cmp_neq_f64_e32 vcc, 0, v[208:209]
	v_cmp_neq_f64_e64 s[2:3], 0, v[210:211]
	s_or_b64 s[2:3], vcc, s[2:3]
	s_and_b64 exec, exec, s[2:3]
	s_cbranch_execz .LBB63_188
; %bb.183:
	v_cmp_ngt_f64_e64 s[2:3], |v[208:209]|, |v[210:211]|
                                        ; implicit-def: $vgpr212_vgpr213
	s_and_saveexec_b64 s[10:11], s[2:3]
	s_xor_b64 s[2:3], exec, s[10:11]
                                        ; implicit-def: $vgpr214_vgpr215
	s_cbranch_execz .LBB63_185
; %bb.184:
	v_div_scale_f64 v[212:213], s[10:11], v[210:211], v[210:211], v[208:209]
	v_rcp_f64_e32 v[214:215], v[212:213]
	v_div_scale_f64 v[216:217], vcc, v[208:209], v[210:211], v[208:209]
	v_fma_f64 v[218:219], -v[212:213], v[214:215], 1.0
	v_fmac_f64_e32 v[214:215], v[214:215], v[218:219]
	v_fma_f64 v[218:219], -v[212:213], v[214:215], 1.0
	v_fmac_f64_e32 v[214:215], v[214:215], v[218:219]
	v_mul_f64 v[218:219], v[216:217], v[214:215]
	v_fma_f64 v[212:213], -v[212:213], v[218:219], v[216:217]
	v_div_fmas_f64 v[212:213], v[212:213], v[214:215], v[218:219]
	v_div_fixup_f64 v[212:213], v[212:213], v[210:211], v[208:209]
	v_fmac_f64_e32 v[210:211], v[208:209], v[212:213]
	v_div_scale_f64 v[208:209], s[10:11], v[210:211], v[210:211], 1.0
	v_rcp_f64_e32 v[214:215], v[208:209]
	s_nop 0
	v_fma_f64 v[216:217], -v[208:209], v[214:215], 1.0
	v_fmac_f64_e32 v[214:215], v[214:215], v[216:217]
	v_fma_f64 v[216:217], -v[208:209], v[214:215], 1.0
	v_fmac_f64_e32 v[214:215], v[214:215], v[216:217]
	v_div_scale_f64 v[216:217], vcc, 1.0, v[210:211], 1.0
	v_mul_f64 v[218:219], v[216:217], v[214:215]
	v_fma_f64 v[208:209], -v[208:209], v[218:219], v[216:217]
	s_nop 1
	v_div_fmas_f64 v[208:209], v[208:209], v[214:215], v[218:219]
	v_div_fixup_f64 v[214:215], v[208:209], v[210:211], 1.0
	v_mul_f64 v[212:213], v[212:213], v[214:215]
	v_xor_b32_e32 v215, 0x80000000, v215
                                        ; implicit-def: $vgpr208_vgpr209
.LBB63_185:
	s_andn2_saveexec_b64 s[2:3], s[2:3]
	s_cbranch_execz .LBB63_187
; %bb.186:
	v_div_scale_f64 v[212:213], s[10:11], v[208:209], v[208:209], v[210:211]
	v_rcp_f64_e32 v[214:215], v[212:213]
	v_div_scale_f64 v[216:217], vcc, v[210:211], v[208:209], v[210:211]
	v_fma_f64 v[218:219], -v[212:213], v[214:215], 1.0
	v_fmac_f64_e32 v[214:215], v[214:215], v[218:219]
	v_fma_f64 v[218:219], -v[212:213], v[214:215], 1.0
	v_fmac_f64_e32 v[214:215], v[214:215], v[218:219]
	v_mul_f64 v[218:219], v[216:217], v[214:215]
	v_fma_f64 v[212:213], -v[212:213], v[218:219], v[216:217]
	v_div_fmas_f64 v[212:213], v[212:213], v[214:215], v[218:219]
	v_div_fixup_f64 v[214:215], v[212:213], v[208:209], v[210:211]
	v_fmac_f64_e32 v[208:209], v[210:211], v[214:215]
	v_div_scale_f64 v[210:211], s[10:11], v[208:209], v[208:209], 1.0
	v_rcp_f64_e32 v[212:213], v[210:211]
	s_nop 0
	v_fma_f64 v[216:217], -v[210:211], v[212:213], 1.0
	v_fmac_f64_e32 v[212:213], v[212:213], v[216:217]
	v_fma_f64 v[216:217], -v[210:211], v[212:213], 1.0
	v_fmac_f64_e32 v[212:213], v[212:213], v[216:217]
	v_div_scale_f64 v[216:217], vcc, 1.0, v[208:209], 1.0
	v_mul_f64 v[218:219], v[216:217], v[212:213]
	v_fma_f64 v[210:211], -v[210:211], v[218:219], v[216:217]
	s_nop 1
	v_div_fmas_f64 v[210:211], v[210:211], v[212:213], v[218:219]
	v_div_fixup_f64 v[212:213], v[210:211], v[208:209], 1.0
	v_mul_f64 v[214:215], v[214:215], -v[212:213]
.LBB63_187:
	s_or_b64 exec, exec, s[2:3]
	ds_write2_b64 v121, v[212:213], v[214:215] offset1:1
.LBB63_188:
	s_or_b64 exec, exec, s[4:5]
	s_waitcnt lgkmcnt(0)
	s_barrier
	ds_read2_b64 v[208:211], v121 offset1:1
	v_cmp_lt_u32_e32 vcc, 20, v120
	s_and_saveexec_b64 s[2:3], vcc
	s_cbranch_execz .LBB63_190
; %bb.189:
	ds_read2_b64 v[214:217], v122 offset0:42 offset1:43
	s_waitcnt vmcnt(19) lgkmcnt(1)
	v_mul_f64 v[212:213], v[208:209], v[42:43]
	v_fmac_f64_e32 v[212:213], v[210:211], v[40:41]
	v_mul_f64 v[42:43], v[210:211], v[42:43]
	v_fma_f64 v[40:41], v[208:209], v[40:41], -v[42:43]
	s_waitcnt lgkmcnt(0)
	v_mul_f64 v[42:43], v[216:217], v[212:213]
	v_fma_f64 v[42:43], v[214:215], v[40:41], -v[42:43]
	v_mul_f64 v[214:215], v[214:215], v[212:213]
	v_fmac_f64_e32 v[214:215], v[216:217], v[40:41]
	s_waitcnt vmcnt(18)
	v_add_f64 v[38:39], v[38:39], -v[214:215]
	ds_read2_b64 v[214:217], v122 offset0:44 offset1:45
	v_add_f64 v[36:37], v[36:37], -v[42:43]
	s_waitcnt lgkmcnt(0)
	v_mul_f64 v[42:43], v[216:217], v[212:213]
	v_fma_f64 v[42:43], v[214:215], v[40:41], -v[42:43]
	v_mul_f64 v[214:215], v[214:215], v[212:213]
	v_fmac_f64_e32 v[214:215], v[216:217], v[40:41]
	s_waitcnt vmcnt(17)
	v_add_f64 v[34:35], v[34:35], -v[214:215]
	ds_read2_b64 v[214:217], v122 offset0:46 offset1:47
	v_add_f64 v[32:33], v[32:33], -v[42:43]
	;; [unrolled: 9-line block ×6, first 2 shown]
	s_waitcnt lgkmcnt(0)
	v_mul_f64 v[42:43], v[216:217], v[212:213]
	v_fma_f64 v[42:43], v[214:215], v[40:41], -v[42:43]
	v_mul_f64 v[214:215], v[214:215], v[212:213]
	v_fmac_f64_e32 v[214:215], v[216:217], v[40:41]
	v_add_f64 v[14:15], v[14:15], -v[214:215]
	ds_read2_b64 v[214:217], v122 offset0:56 offset1:57
	v_add_f64 v[12:13], v[12:13], -v[42:43]
	s_waitcnt lgkmcnt(0)
	v_mul_f64 v[42:43], v[216:217], v[212:213]
	v_fma_f64 v[42:43], v[214:215], v[40:41], -v[42:43]
	v_mul_f64 v[214:215], v[214:215], v[212:213]
	v_fmac_f64_e32 v[214:215], v[216:217], v[40:41]
	v_add_f64 v[10:11], v[10:11], -v[214:215]
	ds_read2_b64 v[214:217], v122 offset0:58 offset1:59
	v_add_f64 v[8:9], v[8:9], -v[42:43]
	;; [unrolled: 8-line block ×4, first 2 shown]
	s_waitcnt lgkmcnt(0)
	v_mul_f64 v[42:43], v[216:217], v[212:213]
	v_fma_f64 v[42:43], v[214:215], v[40:41], -v[42:43]
	v_mul_f64 v[214:215], v[214:215], v[212:213]
	v_fmac_f64_e32 v[214:215], v[216:217], v[40:41]
	s_waitcnt vmcnt(10)
	v_add_f64 v[124:125], v[124:125], -v[42:43]
	v_add_f64 v[126:127], v[126:127], -v[214:215]
	v_mov_b64_e32 v[42:43], v[212:213]
.LBB63_190:
	s_or_b64 exec, exec, s[2:3]
	v_cmp_eq_u32_e32 vcc, 21, v120
	s_waitcnt lgkmcnt(0)
	s_barrier
	s_and_saveexec_b64 s[4:5], vcc
	s_cbranch_execz .LBB63_197
; %bb.191:
	s_waitcnt vmcnt(18)
	ds_write2_b64 v121, v[36:37], v[38:39] offset1:1
	s_waitcnt vmcnt(17)
	ds_write2_b64 v122, v[32:33], v[34:35] offset0:44 offset1:45
	s_waitcnt vmcnt(16)
	ds_write2_b64 v122, v[28:29], v[30:31] offset0:46 offset1:47
	s_waitcnt vmcnt(15)
	ds_write2_b64 v122, v[24:25], v[26:27] offset0:48 offset1:49
	s_waitcnt vmcnt(14)
	ds_write2_b64 v122, v[20:21], v[22:23] offset0:50 offset1:51
	s_waitcnt vmcnt(13)
	ds_write2_b64 v122, v[16:17], v[18:19] offset0:52 offset1:53
	ds_write2_b64 v122, v[12:13], v[14:15] offset0:54 offset1:55
	ds_write2_b64 v122, v[8:9], v[10:11] offset0:56 offset1:57
	;; [unrolled: 1-line block ×4, first 2 shown]
	s_waitcnt vmcnt(10)
	ds_write2_b64 v122, v[124:125], v[126:127] offset0:62 offset1:63
	ds_read2_b64 v[212:215], v121 offset1:1
	s_waitcnt lgkmcnt(0)
	v_cmp_neq_f64_e32 vcc, 0, v[212:213]
	v_cmp_neq_f64_e64 s[2:3], 0, v[214:215]
	s_or_b64 s[2:3], vcc, s[2:3]
	s_and_b64 exec, exec, s[2:3]
	s_cbranch_execz .LBB63_197
; %bb.192:
	v_cmp_ngt_f64_e64 s[2:3], |v[212:213]|, |v[214:215]|
                                        ; implicit-def: $vgpr216_vgpr217
	s_and_saveexec_b64 s[10:11], s[2:3]
	s_xor_b64 s[2:3], exec, s[10:11]
                                        ; implicit-def: $vgpr218_vgpr219
	s_cbranch_execz .LBB63_194
; %bb.193:
	v_div_scale_f64 v[216:217], s[10:11], v[214:215], v[214:215], v[212:213]
	v_rcp_f64_e32 v[218:219], v[216:217]
	v_div_scale_f64 v[220:221], vcc, v[212:213], v[214:215], v[212:213]
	v_fma_f64 v[222:223], -v[216:217], v[218:219], 1.0
	v_fmac_f64_e32 v[218:219], v[218:219], v[222:223]
	v_fma_f64 v[222:223], -v[216:217], v[218:219], 1.0
	v_fmac_f64_e32 v[218:219], v[218:219], v[222:223]
	v_mul_f64 v[222:223], v[220:221], v[218:219]
	v_fma_f64 v[216:217], -v[216:217], v[222:223], v[220:221]
	v_div_fmas_f64 v[216:217], v[216:217], v[218:219], v[222:223]
	v_div_fixup_f64 v[216:217], v[216:217], v[214:215], v[212:213]
	v_fmac_f64_e32 v[214:215], v[212:213], v[216:217]
	v_div_scale_f64 v[212:213], s[10:11], v[214:215], v[214:215], 1.0
	v_rcp_f64_e32 v[218:219], v[212:213]
	s_nop 0
	v_fma_f64 v[220:221], -v[212:213], v[218:219], 1.0
	v_fmac_f64_e32 v[218:219], v[218:219], v[220:221]
	v_fma_f64 v[220:221], -v[212:213], v[218:219], 1.0
	v_fmac_f64_e32 v[218:219], v[218:219], v[220:221]
	v_div_scale_f64 v[220:221], vcc, 1.0, v[214:215], 1.0
	v_mul_f64 v[222:223], v[220:221], v[218:219]
	v_fma_f64 v[212:213], -v[212:213], v[222:223], v[220:221]
	s_nop 1
	v_div_fmas_f64 v[212:213], v[212:213], v[218:219], v[222:223]
	v_div_fixup_f64 v[218:219], v[212:213], v[214:215], 1.0
	v_mul_f64 v[216:217], v[216:217], v[218:219]
	v_xor_b32_e32 v219, 0x80000000, v219
                                        ; implicit-def: $vgpr212_vgpr213
.LBB63_194:
	s_andn2_saveexec_b64 s[2:3], s[2:3]
	s_cbranch_execz .LBB63_196
; %bb.195:
	v_div_scale_f64 v[216:217], s[10:11], v[212:213], v[212:213], v[214:215]
	v_rcp_f64_e32 v[218:219], v[216:217]
	v_div_scale_f64 v[220:221], vcc, v[214:215], v[212:213], v[214:215]
	v_fma_f64 v[222:223], -v[216:217], v[218:219], 1.0
	v_fmac_f64_e32 v[218:219], v[218:219], v[222:223]
	v_fma_f64 v[222:223], -v[216:217], v[218:219], 1.0
	v_fmac_f64_e32 v[218:219], v[218:219], v[222:223]
	v_mul_f64 v[222:223], v[220:221], v[218:219]
	v_fma_f64 v[216:217], -v[216:217], v[222:223], v[220:221]
	v_div_fmas_f64 v[216:217], v[216:217], v[218:219], v[222:223]
	v_div_fixup_f64 v[218:219], v[216:217], v[212:213], v[214:215]
	v_fmac_f64_e32 v[212:213], v[214:215], v[218:219]
	v_div_scale_f64 v[214:215], s[10:11], v[212:213], v[212:213], 1.0
	v_rcp_f64_e32 v[216:217], v[214:215]
	s_nop 0
	v_fma_f64 v[220:221], -v[214:215], v[216:217], 1.0
	v_fmac_f64_e32 v[216:217], v[216:217], v[220:221]
	v_fma_f64 v[220:221], -v[214:215], v[216:217], 1.0
	v_fmac_f64_e32 v[216:217], v[216:217], v[220:221]
	v_div_scale_f64 v[220:221], vcc, 1.0, v[212:213], 1.0
	v_mul_f64 v[222:223], v[220:221], v[216:217]
	v_fma_f64 v[214:215], -v[214:215], v[222:223], v[220:221]
	s_nop 1
	v_div_fmas_f64 v[214:215], v[214:215], v[216:217], v[222:223]
	v_div_fixup_f64 v[216:217], v[214:215], v[212:213], 1.0
	v_mul_f64 v[218:219], v[218:219], -v[216:217]
.LBB63_196:
	s_or_b64 exec, exec, s[2:3]
	ds_write2_b64 v121, v[216:217], v[218:219] offset1:1
.LBB63_197:
	s_or_b64 exec, exec, s[4:5]
	s_waitcnt lgkmcnt(0)
	s_barrier
	ds_read2_b64 v[212:215], v121 offset1:1
	v_cmp_lt_u32_e32 vcc, 21, v120
	s_and_saveexec_b64 s[2:3], vcc
	s_cbranch_execz .LBB63_199
; %bb.198:
	ds_read2_b64 v[218:221], v122 offset0:44 offset1:45
	s_waitcnt vmcnt(18) lgkmcnt(1)
	v_mul_f64 v[216:217], v[212:213], v[38:39]
	v_fmac_f64_e32 v[216:217], v[214:215], v[36:37]
	v_mul_f64 v[38:39], v[214:215], v[38:39]
	v_fma_f64 v[36:37], v[212:213], v[36:37], -v[38:39]
	s_waitcnt lgkmcnt(0)
	v_mul_f64 v[38:39], v[220:221], v[216:217]
	v_fma_f64 v[38:39], v[218:219], v[36:37], -v[38:39]
	v_mul_f64 v[218:219], v[218:219], v[216:217]
	v_fmac_f64_e32 v[218:219], v[220:221], v[36:37]
	s_waitcnt vmcnt(17)
	v_add_f64 v[34:35], v[34:35], -v[218:219]
	ds_read2_b64 v[218:221], v122 offset0:46 offset1:47
	v_add_f64 v[32:33], v[32:33], -v[38:39]
	s_waitcnt lgkmcnt(0)
	v_mul_f64 v[38:39], v[220:221], v[216:217]
	v_fma_f64 v[38:39], v[218:219], v[36:37], -v[38:39]
	v_mul_f64 v[218:219], v[218:219], v[216:217]
	v_fmac_f64_e32 v[218:219], v[220:221], v[36:37]
	s_waitcnt vmcnt(16)
	v_add_f64 v[30:31], v[30:31], -v[218:219]
	ds_read2_b64 v[218:221], v122 offset0:48 offset1:49
	v_add_f64 v[28:29], v[28:29], -v[38:39]
	;; [unrolled: 9-line block ×5, first 2 shown]
	s_waitcnt lgkmcnt(0)
	v_mul_f64 v[38:39], v[220:221], v[216:217]
	v_fma_f64 v[38:39], v[218:219], v[36:37], -v[38:39]
	v_mul_f64 v[218:219], v[218:219], v[216:217]
	v_fmac_f64_e32 v[218:219], v[220:221], v[36:37]
	v_add_f64 v[14:15], v[14:15], -v[218:219]
	ds_read2_b64 v[218:221], v122 offset0:56 offset1:57
	v_add_f64 v[12:13], v[12:13], -v[38:39]
	s_waitcnt lgkmcnt(0)
	v_mul_f64 v[38:39], v[220:221], v[216:217]
	v_fma_f64 v[38:39], v[218:219], v[36:37], -v[38:39]
	v_mul_f64 v[218:219], v[218:219], v[216:217]
	v_fmac_f64_e32 v[218:219], v[220:221], v[36:37]
	v_add_f64 v[10:11], v[10:11], -v[218:219]
	ds_read2_b64 v[218:221], v122 offset0:58 offset1:59
	v_add_f64 v[8:9], v[8:9], -v[38:39]
	;; [unrolled: 8-line block ×4, first 2 shown]
	s_waitcnt lgkmcnt(0)
	v_mul_f64 v[38:39], v[220:221], v[216:217]
	v_fma_f64 v[38:39], v[218:219], v[36:37], -v[38:39]
	v_mul_f64 v[218:219], v[218:219], v[216:217]
	v_fmac_f64_e32 v[218:219], v[220:221], v[36:37]
	s_waitcnt vmcnt(10)
	v_add_f64 v[124:125], v[124:125], -v[38:39]
	v_add_f64 v[126:127], v[126:127], -v[218:219]
	v_mov_b64_e32 v[38:39], v[216:217]
.LBB63_199:
	s_or_b64 exec, exec, s[2:3]
	v_cmp_eq_u32_e32 vcc, 22, v120
	s_waitcnt lgkmcnt(0)
	s_barrier
	s_and_saveexec_b64 s[4:5], vcc
	s_cbranch_execz .LBB63_206
; %bb.200:
	s_waitcnt vmcnt(17)
	ds_write2_b64 v121, v[32:33], v[34:35] offset1:1
	s_waitcnt vmcnt(16)
	ds_write2_b64 v122, v[28:29], v[30:31] offset0:46 offset1:47
	s_waitcnt vmcnt(15)
	ds_write2_b64 v122, v[24:25], v[26:27] offset0:48 offset1:49
	;; [unrolled: 2-line block ×4, first 2 shown]
	ds_write2_b64 v122, v[12:13], v[14:15] offset0:54 offset1:55
	ds_write2_b64 v122, v[8:9], v[10:11] offset0:56 offset1:57
	;; [unrolled: 1-line block ×4, first 2 shown]
	s_waitcnt vmcnt(10)
	ds_write2_b64 v122, v[124:125], v[126:127] offset0:62 offset1:63
	ds_read2_b64 v[216:219], v121 offset1:1
	s_waitcnt lgkmcnt(0)
	v_cmp_neq_f64_e32 vcc, 0, v[216:217]
	v_cmp_neq_f64_e64 s[2:3], 0, v[218:219]
	s_or_b64 s[2:3], vcc, s[2:3]
	s_and_b64 exec, exec, s[2:3]
	s_cbranch_execz .LBB63_206
; %bb.201:
	v_cmp_ngt_f64_e64 s[2:3], |v[216:217]|, |v[218:219]|
                                        ; implicit-def: $vgpr220_vgpr221
	s_and_saveexec_b64 s[10:11], s[2:3]
	s_xor_b64 s[2:3], exec, s[10:11]
                                        ; implicit-def: $vgpr222_vgpr223
	s_cbranch_execz .LBB63_203
; %bb.202:
	v_div_scale_f64 v[220:221], s[10:11], v[218:219], v[218:219], v[216:217]
	v_rcp_f64_e32 v[222:223], v[220:221]
	v_div_scale_f64 v[224:225], vcc, v[216:217], v[218:219], v[216:217]
	v_fma_f64 v[226:227], -v[220:221], v[222:223], 1.0
	v_fmac_f64_e32 v[222:223], v[222:223], v[226:227]
	v_fma_f64 v[226:227], -v[220:221], v[222:223], 1.0
	v_fmac_f64_e32 v[222:223], v[222:223], v[226:227]
	v_mul_f64 v[226:227], v[224:225], v[222:223]
	v_fma_f64 v[220:221], -v[220:221], v[226:227], v[224:225]
	v_div_fmas_f64 v[220:221], v[220:221], v[222:223], v[226:227]
	v_div_fixup_f64 v[220:221], v[220:221], v[218:219], v[216:217]
	v_fmac_f64_e32 v[218:219], v[216:217], v[220:221]
	v_div_scale_f64 v[216:217], s[10:11], v[218:219], v[218:219], 1.0
	v_rcp_f64_e32 v[222:223], v[216:217]
	s_nop 0
	v_fma_f64 v[224:225], -v[216:217], v[222:223], 1.0
	v_fmac_f64_e32 v[222:223], v[222:223], v[224:225]
	v_fma_f64 v[224:225], -v[216:217], v[222:223], 1.0
	v_fmac_f64_e32 v[222:223], v[222:223], v[224:225]
	v_div_scale_f64 v[224:225], vcc, 1.0, v[218:219], 1.0
	v_mul_f64 v[226:227], v[224:225], v[222:223]
	v_fma_f64 v[216:217], -v[216:217], v[226:227], v[224:225]
	s_nop 1
	v_div_fmas_f64 v[216:217], v[216:217], v[222:223], v[226:227]
	v_div_fixup_f64 v[222:223], v[216:217], v[218:219], 1.0
	v_mul_f64 v[220:221], v[220:221], v[222:223]
	v_xor_b32_e32 v223, 0x80000000, v223
                                        ; implicit-def: $vgpr216_vgpr217
.LBB63_203:
	s_andn2_saveexec_b64 s[2:3], s[2:3]
	s_cbranch_execz .LBB63_205
; %bb.204:
	v_div_scale_f64 v[220:221], s[10:11], v[216:217], v[216:217], v[218:219]
	v_rcp_f64_e32 v[222:223], v[220:221]
	v_div_scale_f64 v[224:225], vcc, v[218:219], v[216:217], v[218:219]
	v_fma_f64 v[226:227], -v[220:221], v[222:223], 1.0
	v_fmac_f64_e32 v[222:223], v[222:223], v[226:227]
	v_fma_f64 v[226:227], -v[220:221], v[222:223], 1.0
	v_fmac_f64_e32 v[222:223], v[222:223], v[226:227]
	v_mul_f64 v[226:227], v[224:225], v[222:223]
	v_fma_f64 v[220:221], -v[220:221], v[226:227], v[224:225]
	v_div_fmas_f64 v[220:221], v[220:221], v[222:223], v[226:227]
	v_div_fixup_f64 v[222:223], v[220:221], v[216:217], v[218:219]
	v_fmac_f64_e32 v[216:217], v[218:219], v[222:223]
	v_div_scale_f64 v[218:219], s[10:11], v[216:217], v[216:217], 1.0
	v_rcp_f64_e32 v[220:221], v[218:219]
	s_nop 0
	v_fma_f64 v[224:225], -v[218:219], v[220:221], 1.0
	v_fmac_f64_e32 v[220:221], v[220:221], v[224:225]
	v_fma_f64 v[224:225], -v[218:219], v[220:221], 1.0
	v_fmac_f64_e32 v[220:221], v[220:221], v[224:225]
	v_div_scale_f64 v[224:225], vcc, 1.0, v[216:217], 1.0
	v_mul_f64 v[226:227], v[224:225], v[220:221]
	v_fma_f64 v[218:219], -v[218:219], v[226:227], v[224:225]
	s_nop 1
	v_div_fmas_f64 v[218:219], v[218:219], v[220:221], v[226:227]
	v_div_fixup_f64 v[220:221], v[218:219], v[216:217], 1.0
	v_mul_f64 v[222:223], v[222:223], -v[220:221]
.LBB63_205:
	s_or_b64 exec, exec, s[2:3]
	ds_write2_b64 v121, v[220:221], v[222:223] offset1:1
.LBB63_206:
	s_or_b64 exec, exec, s[4:5]
	s_waitcnt lgkmcnt(0)
	s_barrier
	ds_read2_b64 v[216:219], v121 offset1:1
	v_cmp_lt_u32_e32 vcc, 22, v120
	s_and_saveexec_b64 s[2:3], vcc
	s_cbranch_execz .LBB63_208
; %bb.207:
	ds_read2_b64 v[222:225], v122 offset0:46 offset1:47
	s_waitcnt vmcnt(17) lgkmcnt(1)
	v_mul_f64 v[220:221], v[216:217], v[34:35]
	v_fmac_f64_e32 v[220:221], v[218:219], v[32:33]
	v_mul_f64 v[34:35], v[218:219], v[34:35]
	v_fma_f64 v[32:33], v[216:217], v[32:33], -v[34:35]
	s_waitcnt lgkmcnt(0)
	v_mul_f64 v[34:35], v[224:225], v[220:221]
	v_fma_f64 v[34:35], v[222:223], v[32:33], -v[34:35]
	v_mul_f64 v[222:223], v[222:223], v[220:221]
	v_fmac_f64_e32 v[222:223], v[224:225], v[32:33]
	s_waitcnt vmcnt(16)
	v_add_f64 v[30:31], v[30:31], -v[222:223]
	ds_read2_b64 v[222:225], v122 offset0:48 offset1:49
	v_add_f64 v[28:29], v[28:29], -v[34:35]
	s_waitcnt lgkmcnt(0)
	v_mul_f64 v[34:35], v[224:225], v[220:221]
	v_fma_f64 v[34:35], v[222:223], v[32:33], -v[34:35]
	v_mul_f64 v[222:223], v[222:223], v[220:221]
	v_fmac_f64_e32 v[222:223], v[224:225], v[32:33]
	s_waitcnt vmcnt(15)
	v_add_f64 v[26:27], v[26:27], -v[222:223]
	ds_read2_b64 v[222:225], v122 offset0:50 offset1:51
	v_add_f64 v[24:25], v[24:25], -v[34:35]
	;; [unrolled: 9-line block ×4, first 2 shown]
	s_waitcnt lgkmcnt(0)
	v_mul_f64 v[34:35], v[224:225], v[220:221]
	v_fma_f64 v[34:35], v[222:223], v[32:33], -v[34:35]
	v_mul_f64 v[222:223], v[222:223], v[220:221]
	v_fmac_f64_e32 v[222:223], v[224:225], v[32:33]
	v_add_f64 v[14:15], v[14:15], -v[222:223]
	ds_read2_b64 v[222:225], v122 offset0:56 offset1:57
	v_add_f64 v[12:13], v[12:13], -v[34:35]
	s_waitcnt lgkmcnt(0)
	v_mul_f64 v[34:35], v[224:225], v[220:221]
	v_fma_f64 v[34:35], v[222:223], v[32:33], -v[34:35]
	v_mul_f64 v[222:223], v[222:223], v[220:221]
	v_fmac_f64_e32 v[222:223], v[224:225], v[32:33]
	v_add_f64 v[10:11], v[10:11], -v[222:223]
	ds_read2_b64 v[222:225], v122 offset0:58 offset1:59
	v_add_f64 v[8:9], v[8:9], -v[34:35]
	;; [unrolled: 8-line block ×4, first 2 shown]
	s_waitcnt lgkmcnt(0)
	v_mul_f64 v[34:35], v[224:225], v[220:221]
	v_fma_f64 v[34:35], v[222:223], v[32:33], -v[34:35]
	v_mul_f64 v[222:223], v[222:223], v[220:221]
	v_fmac_f64_e32 v[222:223], v[224:225], v[32:33]
	s_waitcnt vmcnt(10)
	v_add_f64 v[124:125], v[124:125], -v[34:35]
	v_add_f64 v[126:127], v[126:127], -v[222:223]
	v_mov_b64_e32 v[34:35], v[220:221]
.LBB63_208:
	s_or_b64 exec, exec, s[2:3]
	v_cmp_eq_u32_e32 vcc, 23, v120
	s_waitcnt lgkmcnt(0)
	s_barrier
	s_and_saveexec_b64 s[4:5], vcc
	s_cbranch_execz .LBB63_215
; %bb.209:
	s_waitcnt vmcnt(16)
	ds_write2_b64 v121, v[28:29], v[30:31] offset1:1
	s_waitcnt vmcnt(15)
	ds_write2_b64 v122, v[24:25], v[26:27] offset0:48 offset1:49
	s_waitcnt vmcnt(14)
	ds_write2_b64 v122, v[20:21], v[22:23] offset0:50 offset1:51
	;; [unrolled: 2-line block ×3, first 2 shown]
	ds_write2_b64 v122, v[12:13], v[14:15] offset0:54 offset1:55
	ds_write2_b64 v122, v[8:9], v[10:11] offset0:56 offset1:57
	;; [unrolled: 1-line block ×4, first 2 shown]
	s_waitcnt vmcnt(10)
	ds_write2_b64 v122, v[124:125], v[126:127] offset0:62 offset1:63
	ds_read2_b64 v[220:223], v121 offset1:1
	s_waitcnt lgkmcnt(0)
	v_cmp_neq_f64_e32 vcc, 0, v[220:221]
	v_cmp_neq_f64_e64 s[2:3], 0, v[222:223]
	s_or_b64 s[2:3], vcc, s[2:3]
	s_and_b64 exec, exec, s[2:3]
	s_cbranch_execz .LBB63_215
; %bb.210:
	v_cmp_ngt_f64_e64 s[2:3], |v[220:221]|, |v[222:223]|
                                        ; implicit-def: $vgpr224_vgpr225
	s_and_saveexec_b64 s[10:11], s[2:3]
	s_xor_b64 s[2:3], exec, s[10:11]
                                        ; implicit-def: $vgpr226_vgpr227
	s_cbranch_execz .LBB63_212
; %bb.211:
	v_div_scale_f64 v[224:225], s[10:11], v[222:223], v[222:223], v[220:221]
	v_rcp_f64_e32 v[226:227], v[224:225]
	v_div_scale_f64 v[228:229], vcc, v[220:221], v[222:223], v[220:221]
	v_fma_f64 v[230:231], -v[224:225], v[226:227], 1.0
	v_fmac_f64_e32 v[226:227], v[226:227], v[230:231]
	v_fma_f64 v[230:231], -v[224:225], v[226:227], 1.0
	v_fmac_f64_e32 v[226:227], v[226:227], v[230:231]
	v_mul_f64 v[230:231], v[228:229], v[226:227]
	v_fma_f64 v[224:225], -v[224:225], v[230:231], v[228:229]
	v_div_fmas_f64 v[224:225], v[224:225], v[226:227], v[230:231]
	v_div_fixup_f64 v[224:225], v[224:225], v[222:223], v[220:221]
	v_fmac_f64_e32 v[222:223], v[220:221], v[224:225]
	v_div_scale_f64 v[220:221], s[10:11], v[222:223], v[222:223], 1.0
	v_rcp_f64_e32 v[226:227], v[220:221]
	s_nop 0
	v_fma_f64 v[228:229], -v[220:221], v[226:227], 1.0
	v_fmac_f64_e32 v[226:227], v[226:227], v[228:229]
	v_fma_f64 v[228:229], -v[220:221], v[226:227], 1.0
	v_fmac_f64_e32 v[226:227], v[226:227], v[228:229]
	v_div_scale_f64 v[228:229], vcc, 1.0, v[222:223], 1.0
	v_mul_f64 v[230:231], v[228:229], v[226:227]
	v_fma_f64 v[220:221], -v[220:221], v[230:231], v[228:229]
	s_nop 1
	v_div_fmas_f64 v[220:221], v[220:221], v[226:227], v[230:231]
	v_div_fixup_f64 v[226:227], v[220:221], v[222:223], 1.0
	v_mul_f64 v[224:225], v[224:225], v[226:227]
	v_xor_b32_e32 v227, 0x80000000, v227
                                        ; implicit-def: $vgpr220_vgpr221
.LBB63_212:
	s_andn2_saveexec_b64 s[2:3], s[2:3]
	s_cbranch_execz .LBB63_214
; %bb.213:
	v_div_scale_f64 v[224:225], s[10:11], v[220:221], v[220:221], v[222:223]
	v_rcp_f64_e32 v[226:227], v[224:225]
	v_div_scale_f64 v[228:229], vcc, v[222:223], v[220:221], v[222:223]
	v_fma_f64 v[230:231], -v[224:225], v[226:227], 1.0
	v_fmac_f64_e32 v[226:227], v[226:227], v[230:231]
	v_fma_f64 v[230:231], -v[224:225], v[226:227], 1.0
	v_fmac_f64_e32 v[226:227], v[226:227], v[230:231]
	v_mul_f64 v[230:231], v[228:229], v[226:227]
	v_fma_f64 v[224:225], -v[224:225], v[230:231], v[228:229]
	v_div_fmas_f64 v[224:225], v[224:225], v[226:227], v[230:231]
	v_div_fixup_f64 v[226:227], v[224:225], v[220:221], v[222:223]
	v_fmac_f64_e32 v[220:221], v[222:223], v[226:227]
	v_div_scale_f64 v[222:223], s[10:11], v[220:221], v[220:221], 1.0
	v_rcp_f64_e32 v[224:225], v[222:223]
	s_nop 0
	v_fma_f64 v[228:229], -v[222:223], v[224:225], 1.0
	v_fmac_f64_e32 v[224:225], v[224:225], v[228:229]
	v_fma_f64 v[228:229], -v[222:223], v[224:225], 1.0
	v_fmac_f64_e32 v[224:225], v[224:225], v[228:229]
	v_div_scale_f64 v[228:229], vcc, 1.0, v[220:221], 1.0
	v_mul_f64 v[230:231], v[228:229], v[224:225]
	v_fma_f64 v[222:223], -v[222:223], v[230:231], v[228:229]
	s_nop 1
	v_div_fmas_f64 v[222:223], v[222:223], v[224:225], v[230:231]
	v_div_fixup_f64 v[224:225], v[222:223], v[220:221], 1.0
	v_mul_f64 v[226:227], v[226:227], -v[224:225]
.LBB63_214:
	s_or_b64 exec, exec, s[2:3]
	ds_write2_b64 v121, v[224:225], v[226:227] offset1:1
.LBB63_215:
	s_or_b64 exec, exec, s[4:5]
	s_waitcnt lgkmcnt(0)
	s_barrier
	ds_read2_b64 v[220:223], v121 offset1:1
	v_cmp_lt_u32_e32 vcc, 23, v120
	s_and_saveexec_b64 s[2:3], vcc
	s_cbranch_execz .LBB63_217
; %bb.216:
	ds_read2_b64 v[226:229], v122 offset0:48 offset1:49
	s_waitcnt vmcnt(16) lgkmcnt(1)
	v_mul_f64 v[224:225], v[220:221], v[30:31]
	v_fmac_f64_e32 v[224:225], v[222:223], v[28:29]
	v_mul_f64 v[30:31], v[222:223], v[30:31]
	v_fma_f64 v[28:29], v[220:221], v[28:29], -v[30:31]
	s_waitcnt lgkmcnt(0)
	v_mul_f64 v[30:31], v[228:229], v[224:225]
	v_fma_f64 v[30:31], v[226:227], v[28:29], -v[30:31]
	v_mul_f64 v[226:227], v[226:227], v[224:225]
	v_fmac_f64_e32 v[226:227], v[228:229], v[28:29]
	s_waitcnt vmcnt(15)
	v_add_f64 v[26:27], v[26:27], -v[226:227]
	ds_read2_b64 v[226:229], v122 offset0:50 offset1:51
	v_add_f64 v[24:25], v[24:25], -v[30:31]
	s_waitcnt lgkmcnt(0)
	v_mul_f64 v[30:31], v[228:229], v[224:225]
	v_fma_f64 v[30:31], v[226:227], v[28:29], -v[30:31]
	v_mul_f64 v[226:227], v[226:227], v[224:225]
	v_fmac_f64_e32 v[226:227], v[228:229], v[28:29]
	s_waitcnt vmcnt(14)
	v_add_f64 v[22:23], v[22:23], -v[226:227]
	ds_read2_b64 v[226:229], v122 offset0:52 offset1:53
	v_add_f64 v[20:21], v[20:21], -v[30:31]
	;; [unrolled: 9-line block ×3, first 2 shown]
	s_waitcnt lgkmcnt(0)
	v_mul_f64 v[30:31], v[228:229], v[224:225]
	v_fma_f64 v[30:31], v[226:227], v[28:29], -v[30:31]
	v_mul_f64 v[226:227], v[226:227], v[224:225]
	v_fmac_f64_e32 v[226:227], v[228:229], v[28:29]
	v_add_f64 v[14:15], v[14:15], -v[226:227]
	ds_read2_b64 v[226:229], v122 offset0:56 offset1:57
	v_add_f64 v[12:13], v[12:13], -v[30:31]
	s_waitcnt lgkmcnt(0)
	v_mul_f64 v[30:31], v[228:229], v[224:225]
	v_fma_f64 v[30:31], v[226:227], v[28:29], -v[30:31]
	v_mul_f64 v[226:227], v[226:227], v[224:225]
	v_fmac_f64_e32 v[226:227], v[228:229], v[28:29]
	v_add_f64 v[10:11], v[10:11], -v[226:227]
	ds_read2_b64 v[226:229], v122 offset0:58 offset1:59
	v_add_f64 v[8:9], v[8:9], -v[30:31]
	;; [unrolled: 8-line block ×4, first 2 shown]
	s_waitcnt lgkmcnt(0)
	v_mul_f64 v[30:31], v[228:229], v[224:225]
	v_fma_f64 v[30:31], v[226:227], v[28:29], -v[30:31]
	v_mul_f64 v[226:227], v[226:227], v[224:225]
	v_fmac_f64_e32 v[226:227], v[228:229], v[28:29]
	s_waitcnt vmcnt(10)
	v_add_f64 v[124:125], v[124:125], -v[30:31]
	v_add_f64 v[126:127], v[126:127], -v[226:227]
	v_mov_b64_e32 v[30:31], v[224:225]
.LBB63_217:
	s_or_b64 exec, exec, s[2:3]
	v_cmp_eq_u32_e32 vcc, 24, v120
	s_waitcnt lgkmcnt(0)
	s_barrier
	s_and_saveexec_b64 s[4:5], vcc
	s_cbranch_execz .LBB63_224
; %bb.218:
	s_waitcnt vmcnt(15)
	ds_write2_b64 v121, v[24:25], v[26:27] offset1:1
	s_waitcnt vmcnt(14)
	ds_write2_b64 v122, v[20:21], v[22:23] offset0:50 offset1:51
	s_waitcnt vmcnt(13)
	ds_write2_b64 v122, v[16:17], v[18:19] offset0:52 offset1:53
	ds_write2_b64 v122, v[12:13], v[14:15] offset0:54 offset1:55
	;; [unrolled: 1-line block ×5, first 2 shown]
	s_waitcnt vmcnt(10)
	ds_write2_b64 v122, v[124:125], v[126:127] offset0:62 offset1:63
	ds_read2_b64 v[224:227], v121 offset1:1
	s_waitcnt lgkmcnt(0)
	v_cmp_neq_f64_e32 vcc, 0, v[224:225]
	v_cmp_neq_f64_e64 s[2:3], 0, v[226:227]
	s_or_b64 s[2:3], vcc, s[2:3]
	s_and_b64 exec, exec, s[2:3]
	s_cbranch_execz .LBB63_224
; %bb.219:
	v_cmp_ngt_f64_e64 s[2:3], |v[224:225]|, |v[226:227]|
                                        ; implicit-def: $vgpr228_vgpr229
	s_and_saveexec_b64 s[10:11], s[2:3]
	s_xor_b64 s[2:3], exec, s[10:11]
                                        ; implicit-def: $vgpr230_vgpr231
	s_cbranch_execz .LBB63_221
; %bb.220:
	v_div_scale_f64 v[228:229], s[10:11], v[226:227], v[226:227], v[224:225]
	v_rcp_f64_e32 v[230:231], v[228:229]
	v_div_scale_f64 v[232:233], vcc, v[224:225], v[226:227], v[224:225]
	v_fma_f64 v[234:235], -v[228:229], v[230:231], 1.0
	v_fmac_f64_e32 v[230:231], v[230:231], v[234:235]
	v_fma_f64 v[234:235], -v[228:229], v[230:231], 1.0
	v_fmac_f64_e32 v[230:231], v[230:231], v[234:235]
	v_mul_f64 v[234:235], v[232:233], v[230:231]
	v_fma_f64 v[228:229], -v[228:229], v[234:235], v[232:233]
	v_div_fmas_f64 v[228:229], v[228:229], v[230:231], v[234:235]
	v_div_fixup_f64 v[228:229], v[228:229], v[226:227], v[224:225]
	v_fmac_f64_e32 v[226:227], v[224:225], v[228:229]
	v_div_scale_f64 v[224:225], s[10:11], v[226:227], v[226:227], 1.0
	v_rcp_f64_e32 v[230:231], v[224:225]
	s_nop 0
	v_fma_f64 v[232:233], -v[224:225], v[230:231], 1.0
	v_fmac_f64_e32 v[230:231], v[230:231], v[232:233]
	v_fma_f64 v[232:233], -v[224:225], v[230:231], 1.0
	v_fmac_f64_e32 v[230:231], v[230:231], v[232:233]
	v_div_scale_f64 v[232:233], vcc, 1.0, v[226:227], 1.0
	v_mul_f64 v[234:235], v[232:233], v[230:231]
	v_fma_f64 v[224:225], -v[224:225], v[234:235], v[232:233]
	s_nop 1
	v_div_fmas_f64 v[224:225], v[224:225], v[230:231], v[234:235]
	v_div_fixup_f64 v[230:231], v[224:225], v[226:227], 1.0
	v_mul_f64 v[228:229], v[228:229], v[230:231]
	v_xor_b32_e32 v231, 0x80000000, v231
                                        ; implicit-def: $vgpr224_vgpr225
.LBB63_221:
	s_andn2_saveexec_b64 s[2:3], s[2:3]
	s_cbranch_execz .LBB63_223
; %bb.222:
	v_div_scale_f64 v[228:229], s[10:11], v[224:225], v[224:225], v[226:227]
	v_rcp_f64_e32 v[230:231], v[228:229]
	v_div_scale_f64 v[232:233], vcc, v[226:227], v[224:225], v[226:227]
	v_fma_f64 v[234:235], -v[228:229], v[230:231], 1.0
	v_fmac_f64_e32 v[230:231], v[230:231], v[234:235]
	v_fma_f64 v[234:235], -v[228:229], v[230:231], 1.0
	v_fmac_f64_e32 v[230:231], v[230:231], v[234:235]
	v_mul_f64 v[234:235], v[232:233], v[230:231]
	v_fma_f64 v[228:229], -v[228:229], v[234:235], v[232:233]
	v_div_fmas_f64 v[228:229], v[228:229], v[230:231], v[234:235]
	v_div_fixup_f64 v[230:231], v[228:229], v[224:225], v[226:227]
	v_fmac_f64_e32 v[224:225], v[226:227], v[230:231]
	v_div_scale_f64 v[226:227], s[10:11], v[224:225], v[224:225], 1.0
	v_rcp_f64_e32 v[228:229], v[226:227]
	s_nop 0
	v_fma_f64 v[232:233], -v[226:227], v[228:229], 1.0
	v_fmac_f64_e32 v[228:229], v[228:229], v[232:233]
	v_fma_f64 v[232:233], -v[226:227], v[228:229], 1.0
	v_fmac_f64_e32 v[228:229], v[228:229], v[232:233]
	v_div_scale_f64 v[232:233], vcc, 1.0, v[224:225], 1.0
	v_mul_f64 v[234:235], v[232:233], v[228:229]
	v_fma_f64 v[226:227], -v[226:227], v[234:235], v[232:233]
	s_nop 1
	v_div_fmas_f64 v[226:227], v[226:227], v[228:229], v[234:235]
	v_div_fixup_f64 v[228:229], v[226:227], v[224:225], 1.0
	v_mul_f64 v[230:231], v[230:231], -v[228:229]
.LBB63_223:
	s_or_b64 exec, exec, s[2:3]
	ds_write2_b64 v121, v[228:229], v[230:231] offset1:1
.LBB63_224:
	s_or_b64 exec, exec, s[4:5]
	s_waitcnt lgkmcnt(0)
	s_barrier
	ds_read2_b64 v[116:119], v121 offset1:1
	v_cmp_lt_u32_e32 vcc, 24, v120
	s_and_saveexec_b64 s[2:3], vcc
	s_cbranch_execz .LBB63_226
; %bb.225:
	ds_read2_b64 v[230:233], v122 offset0:50 offset1:51
	s_waitcnt vmcnt(15) lgkmcnt(1)
	v_mul_f64 v[228:229], v[116:117], v[26:27]
	v_fmac_f64_e32 v[228:229], v[118:119], v[24:25]
	v_mul_f64 v[26:27], v[118:119], v[26:27]
	v_fma_f64 v[24:25], v[116:117], v[24:25], -v[26:27]
	s_waitcnt lgkmcnt(0)
	v_mul_f64 v[26:27], v[232:233], v[228:229]
	v_fma_f64 v[26:27], v[230:231], v[24:25], -v[26:27]
	v_mul_f64 v[230:231], v[230:231], v[228:229]
	v_fmac_f64_e32 v[230:231], v[232:233], v[24:25]
	s_waitcnt vmcnt(14)
	v_add_f64 v[22:23], v[22:23], -v[230:231]
	ds_read2_b64 v[230:233], v122 offset0:52 offset1:53
	v_add_f64 v[20:21], v[20:21], -v[26:27]
	s_waitcnt lgkmcnt(0)
	v_mul_f64 v[26:27], v[232:233], v[228:229]
	v_fma_f64 v[26:27], v[230:231], v[24:25], -v[26:27]
	v_mul_f64 v[230:231], v[230:231], v[228:229]
	v_fmac_f64_e32 v[230:231], v[232:233], v[24:25]
	s_waitcnt vmcnt(13)
	v_add_f64 v[18:19], v[18:19], -v[230:231]
	ds_read2_b64 v[230:233], v122 offset0:54 offset1:55
	v_add_f64 v[16:17], v[16:17], -v[26:27]
	s_waitcnt lgkmcnt(0)
	v_mul_f64 v[26:27], v[232:233], v[228:229]
	v_fma_f64 v[26:27], v[230:231], v[24:25], -v[26:27]
	v_mul_f64 v[230:231], v[230:231], v[228:229]
	v_fmac_f64_e32 v[230:231], v[232:233], v[24:25]
	v_add_f64 v[14:15], v[14:15], -v[230:231]
	ds_read2_b64 v[230:233], v122 offset0:56 offset1:57
	v_add_f64 v[12:13], v[12:13], -v[26:27]
	s_waitcnt lgkmcnt(0)
	v_mul_f64 v[26:27], v[232:233], v[228:229]
	v_fma_f64 v[26:27], v[230:231], v[24:25], -v[26:27]
	v_mul_f64 v[230:231], v[230:231], v[228:229]
	v_fmac_f64_e32 v[230:231], v[232:233], v[24:25]
	;; [unrolled: 8-line block ×5, first 2 shown]
	s_waitcnt vmcnt(10)
	v_add_f64 v[124:125], v[124:125], -v[26:27]
	v_add_f64 v[126:127], v[126:127], -v[230:231]
	v_mov_b64_e32 v[26:27], v[228:229]
.LBB63_226:
	s_or_b64 exec, exec, s[2:3]
	v_cmp_eq_u32_e32 vcc, 25, v120
	s_waitcnt lgkmcnt(0)
	s_barrier
	s_and_saveexec_b64 s[4:5], vcc
	s_cbranch_execz .LBB63_233
; %bb.227:
	s_waitcnt vmcnt(14)
	ds_write2_b64 v121, v[20:21], v[22:23] offset1:1
	s_waitcnt vmcnt(13)
	ds_write2_b64 v122, v[16:17], v[18:19] offset0:52 offset1:53
	ds_write2_b64 v122, v[12:13], v[14:15] offset0:54 offset1:55
	;; [unrolled: 1-line block ×5, first 2 shown]
	s_waitcnt vmcnt(10)
	ds_write2_b64 v122, v[124:125], v[126:127] offset0:62 offset1:63
	ds_read2_b64 v[228:231], v121 offset1:1
	s_waitcnt lgkmcnt(0)
	v_cmp_neq_f64_e32 vcc, 0, v[228:229]
	v_cmp_neq_f64_e64 s[2:3], 0, v[230:231]
	s_or_b64 s[2:3], vcc, s[2:3]
	s_and_b64 exec, exec, s[2:3]
	s_cbranch_execz .LBB63_233
; %bb.228:
	v_cmp_ngt_f64_e64 s[2:3], |v[228:229]|, |v[230:231]|
                                        ; implicit-def: $vgpr232_vgpr233
	s_and_saveexec_b64 s[10:11], s[2:3]
	s_xor_b64 s[2:3], exec, s[10:11]
                                        ; implicit-def: $vgpr234_vgpr235
	s_cbranch_execz .LBB63_230
; %bb.229:
	v_div_scale_f64 v[232:233], s[10:11], v[230:231], v[230:231], v[228:229]
	v_rcp_f64_e32 v[234:235], v[232:233]
	v_div_scale_f64 v[236:237], vcc, v[228:229], v[230:231], v[228:229]
	v_fma_f64 v[238:239], -v[232:233], v[234:235], 1.0
	v_fmac_f64_e32 v[234:235], v[234:235], v[238:239]
	v_fma_f64 v[238:239], -v[232:233], v[234:235], 1.0
	v_fmac_f64_e32 v[234:235], v[234:235], v[238:239]
	v_mul_f64 v[238:239], v[236:237], v[234:235]
	v_fma_f64 v[232:233], -v[232:233], v[238:239], v[236:237]
	v_div_fmas_f64 v[232:233], v[232:233], v[234:235], v[238:239]
	v_div_fixup_f64 v[232:233], v[232:233], v[230:231], v[228:229]
	v_fmac_f64_e32 v[230:231], v[228:229], v[232:233]
	v_div_scale_f64 v[228:229], s[10:11], v[230:231], v[230:231], 1.0
	v_rcp_f64_e32 v[234:235], v[228:229]
	s_nop 0
	v_fma_f64 v[236:237], -v[228:229], v[234:235], 1.0
	v_fmac_f64_e32 v[234:235], v[234:235], v[236:237]
	v_fma_f64 v[236:237], -v[228:229], v[234:235], 1.0
	v_fmac_f64_e32 v[234:235], v[234:235], v[236:237]
	v_div_scale_f64 v[236:237], vcc, 1.0, v[230:231], 1.0
	v_mul_f64 v[238:239], v[236:237], v[234:235]
	v_fma_f64 v[228:229], -v[228:229], v[238:239], v[236:237]
	s_nop 1
	v_div_fmas_f64 v[228:229], v[228:229], v[234:235], v[238:239]
	v_div_fixup_f64 v[234:235], v[228:229], v[230:231], 1.0
	v_mul_f64 v[232:233], v[232:233], v[234:235]
	v_xor_b32_e32 v235, 0x80000000, v235
                                        ; implicit-def: $vgpr228_vgpr229
.LBB63_230:
	s_andn2_saveexec_b64 s[2:3], s[2:3]
	s_cbranch_execz .LBB63_232
; %bb.231:
	v_div_scale_f64 v[232:233], s[10:11], v[228:229], v[228:229], v[230:231]
	v_rcp_f64_e32 v[234:235], v[232:233]
	v_div_scale_f64 v[236:237], vcc, v[230:231], v[228:229], v[230:231]
	v_fma_f64 v[238:239], -v[232:233], v[234:235], 1.0
	v_fmac_f64_e32 v[234:235], v[234:235], v[238:239]
	v_fma_f64 v[238:239], -v[232:233], v[234:235], 1.0
	v_fmac_f64_e32 v[234:235], v[234:235], v[238:239]
	v_mul_f64 v[238:239], v[236:237], v[234:235]
	v_fma_f64 v[232:233], -v[232:233], v[238:239], v[236:237]
	v_div_fmas_f64 v[232:233], v[232:233], v[234:235], v[238:239]
	v_div_fixup_f64 v[234:235], v[232:233], v[228:229], v[230:231]
	v_fmac_f64_e32 v[228:229], v[230:231], v[234:235]
	v_div_scale_f64 v[230:231], s[10:11], v[228:229], v[228:229], 1.0
	v_rcp_f64_e32 v[232:233], v[230:231]
	s_nop 0
	v_fma_f64 v[236:237], -v[230:231], v[232:233], 1.0
	v_fmac_f64_e32 v[232:233], v[232:233], v[236:237]
	v_fma_f64 v[236:237], -v[230:231], v[232:233], 1.0
	v_fmac_f64_e32 v[232:233], v[232:233], v[236:237]
	v_div_scale_f64 v[236:237], vcc, 1.0, v[228:229], 1.0
	v_mul_f64 v[238:239], v[236:237], v[232:233]
	v_fma_f64 v[230:231], -v[230:231], v[238:239], v[236:237]
	s_nop 1
	v_div_fmas_f64 v[230:231], v[230:231], v[232:233], v[238:239]
	v_div_fixup_f64 v[232:233], v[230:231], v[228:229], 1.0
	v_mul_f64 v[234:235], v[234:235], -v[232:233]
.LBB63_232:
	s_or_b64 exec, exec, s[2:3]
	ds_write2_b64 v121, v[232:233], v[234:235] offset1:1
.LBB63_233:
	s_or_b64 exec, exec, s[4:5]
	s_waitcnt lgkmcnt(0)
	s_barrier
	ds_read2_b64 v[104:107], v121 offset1:1
	v_cmp_lt_u32_e32 vcc, 25, v120
	s_and_saveexec_b64 s[2:3], vcc
	s_cbranch_execz .LBB63_235
; %bb.234:
	ds_read2_b64 v[232:235], v122 offset0:52 offset1:53
	s_waitcnt vmcnt(14) lgkmcnt(1)
	v_mul_f64 v[236:237], v[104:105], v[22:23]
	v_fmac_f64_e32 v[236:237], v[106:107], v[20:21]
	v_mul_f64 v[22:23], v[106:107], v[22:23]
	v_fma_f64 v[20:21], v[104:105], v[20:21], -v[22:23]
	s_waitcnt lgkmcnt(0)
	v_mul_f64 v[22:23], v[234:235], v[236:237]
	v_fma_f64 v[22:23], v[232:233], v[20:21], -v[22:23]
	v_mul_f64 v[232:233], v[232:233], v[236:237]
	v_fmac_f64_e32 v[232:233], v[234:235], v[20:21]
	s_waitcnt vmcnt(13)
	v_add_f64 v[18:19], v[18:19], -v[232:233]
	ds_read2_b64 v[232:235], v122 offset0:54 offset1:55
	v_add_f64 v[16:17], v[16:17], -v[22:23]
	s_waitcnt lgkmcnt(0)
	v_mul_f64 v[22:23], v[234:235], v[236:237]
	v_fma_f64 v[22:23], v[232:233], v[20:21], -v[22:23]
	v_mul_f64 v[232:233], v[232:233], v[236:237]
	v_fmac_f64_e32 v[232:233], v[234:235], v[20:21]
	v_add_f64 v[14:15], v[14:15], -v[232:233]
	ds_read2_b64 v[232:235], v122 offset0:56 offset1:57
	v_add_f64 v[12:13], v[12:13], -v[22:23]
	s_waitcnt lgkmcnt(0)
	v_mul_f64 v[22:23], v[234:235], v[236:237]
	v_fma_f64 v[22:23], v[232:233], v[20:21], -v[22:23]
	v_mul_f64 v[232:233], v[232:233], v[236:237]
	v_fmac_f64_e32 v[232:233], v[234:235], v[20:21]
	;; [unrolled: 8-line block ×5, first 2 shown]
	s_waitcnt vmcnt(10)
	v_add_f64 v[124:125], v[124:125], -v[22:23]
	v_add_f64 v[126:127], v[126:127], -v[232:233]
	v_mov_b64_e32 v[22:23], v[236:237]
.LBB63_235:
	s_or_b64 exec, exec, s[2:3]
	v_cmp_eq_u32_e32 vcc, 26, v120
	s_waitcnt lgkmcnt(0)
	s_barrier
	s_and_saveexec_b64 s[4:5], vcc
	s_cbranch_execz .LBB63_242
; %bb.236:
	s_waitcnt vmcnt(13)
	ds_write2_b64 v121, v[16:17], v[18:19] offset1:1
	ds_write2_b64 v122, v[12:13], v[14:15] offset0:54 offset1:55
	ds_write2_b64 v122, v[8:9], v[10:11] offset0:56 offset1:57
	;; [unrolled: 1-line block ×4, first 2 shown]
	s_waitcnt vmcnt(10)
	ds_write2_b64 v122, v[124:125], v[126:127] offset0:62 offset1:63
	ds_read2_b64 v[232:235], v121 offset1:1
	s_waitcnt lgkmcnt(0)
	v_cmp_neq_f64_e32 vcc, 0, v[232:233]
	v_cmp_neq_f64_e64 s[2:3], 0, v[234:235]
	s_or_b64 s[2:3], vcc, s[2:3]
	s_and_b64 exec, exec, s[2:3]
	s_cbranch_execz .LBB63_242
; %bb.237:
	v_cmp_ngt_f64_e64 s[2:3], |v[232:233]|, |v[234:235]|
                                        ; implicit-def: $vgpr236_vgpr237
	s_and_saveexec_b64 s[10:11], s[2:3]
	s_xor_b64 s[2:3], exec, s[10:11]
                                        ; implicit-def: $vgpr238_vgpr239
	s_cbranch_execz .LBB63_239
; %bb.238:
	v_div_scale_f64 v[236:237], s[10:11], v[234:235], v[234:235], v[232:233]
	v_rcp_f64_e32 v[238:239], v[236:237]
	v_div_scale_f64 v[240:241], vcc, v[232:233], v[234:235], v[232:233]
	v_fma_f64 v[242:243], -v[236:237], v[238:239], 1.0
	v_fmac_f64_e32 v[238:239], v[238:239], v[242:243]
	v_fma_f64 v[242:243], -v[236:237], v[238:239], 1.0
	v_fmac_f64_e32 v[238:239], v[238:239], v[242:243]
	v_mul_f64 v[242:243], v[240:241], v[238:239]
	v_fma_f64 v[236:237], -v[236:237], v[242:243], v[240:241]
	v_div_fmas_f64 v[236:237], v[236:237], v[238:239], v[242:243]
	v_div_fixup_f64 v[236:237], v[236:237], v[234:235], v[232:233]
	v_fmac_f64_e32 v[234:235], v[232:233], v[236:237]
	v_div_scale_f64 v[232:233], s[10:11], v[234:235], v[234:235], 1.0
	v_rcp_f64_e32 v[238:239], v[232:233]
	s_nop 0
	v_fma_f64 v[240:241], -v[232:233], v[238:239], 1.0
	v_fmac_f64_e32 v[238:239], v[238:239], v[240:241]
	v_fma_f64 v[240:241], -v[232:233], v[238:239], 1.0
	v_fmac_f64_e32 v[238:239], v[238:239], v[240:241]
	v_div_scale_f64 v[240:241], vcc, 1.0, v[234:235], 1.0
	v_mul_f64 v[242:243], v[240:241], v[238:239]
	v_fma_f64 v[232:233], -v[232:233], v[242:243], v[240:241]
	s_nop 1
	v_div_fmas_f64 v[232:233], v[232:233], v[238:239], v[242:243]
	v_div_fixup_f64 v[238:239], v[232:233], v[234:235], 1.0
	v_mul_f64 v[236:237], v[236:237], v[238:239]
	v_xor_b32_e32 v239, 0x80000000, v239
                                        ; implicit-def: $vgpr232_vgpr233
.LBB63_239:
	s_andn2_saveexec_b64 s[2:3], s[2:3]
	s_cbranch_execz .LBB63_241
; %bb.240:
	v_div_scale_f64 v[236:237], s[10:11], v[232:233], v[232:233], v[234:235]
	v_rcp_f64_e32 v[238:239], v[236:237]
	v_div_scale_f64 v[240:241], vcc, v[234:235], v[232:233], v[234:235]
	v_fma_f64 v[242:243], -v[236:237], v[238:239], 1.0
	v_fmac_f64_e32 v[238:239], v[238:239], v[242:243]
	v_fma_f64 v[242:243], -v[236:237], v[238:239], 1.0
	v_fmac_f64_e32 v[238:239], v[238:239], v[242:243]
	v_mul_f64 v[242:243], v[240:241], v[238:239]
	v_fma_f64 v[236:237], -v[236:237], v[242:243], v[240:241]
	v_div_fmas_f64 v[236:237], v[236:237], v[238:239], v[242:243]
	v_div_fixup_f64 v[238:239], v[236:237], v[232:233], v[234:235]
	v_fmac_f64_e32 v[232:233], v[234:235], v[238:239]
	v_div_scale_f64 v[234:235], s[10:11], v[232:233], v[232:233], 1.0
	v_rcp_f64_e32 v[236:237], v[234:235]
	s_nop 0
	v_fma_f64 v[240:241], -v[234:235], v[236:237], 1.0
	v_fmac_f64_e32 v[236:237], v[236:237], v[240:241]
	v_fma_f64 v[240:241], -v[234:235], v[236:237], 1.0
	v_fmac_f64_e32 v[236:237], v[236:237], v[240:241]
	v_div_scale_f64 v[240:241], vcc, 1.0, v[232:233], 1.0
	v_mul_f64 v[242:243], v[240:241], v[236:237]
	v_fma_f64 v[234:235], -v[234:235], v[242:243], v[240:241]
	s_nop 1
	v_div_fmas_f64 v[234:235], v[234:235], v[236:237], v[242:243]
	v_div_fixup_f64 v[236:237], v[234:235], v[232:233], 1.0
	v_mul_f64 v[238:239], v[238:239], -v[236:237]
.LBB63_241:
	s_or_b64 exec, exec, s[2:3]
	ds_write2_b64 v121, v[236:237], v[238:239] offset1:1
.LBB63_242:
	s_or_b64 exec, exec, s[4:5]
	s_waitcnt lgkmcnt(0)
	s_barrier
	ds_read2_b64 v[100:103], v121 offset1:1
	v_cmp_lt_u32_e32 vcc, 26, v120
	s_and_saveexec_b64 s[2:3], vcc
	s_cbranch_execz .LBB63_244
; %bb.243:
	ds_read2_b64 v[236:239], v122 offset0:54 offset1:55
	s_waitcnt vmcnt(13) lgkmcnt(1)
	v_mul_f64 v[240:241], v[100:101], v[18:19]
	v_fmac_f64_e32 v[240:241], v[102:103], v[16:17]
	v_mul_f64 v[18:19], v[102:103], v[18:19]
	v_fma_f64 v[16:17], v[100:101], v[16:17], -v[18:19]
	s_waitcnt lgkmcnt(0)
	v_mul_f64 v[18:19], v[238:239], v[240:241]
	v_fma_f64 v[18:19], v[236:237], v[16:17], -v[18:19]
	v_mul_f64 v[236:237], v[236:237], v[240:241]
	v_fmac_f64_e32 v[236:237], v[238:239], v[16:17]
	v_add_f64 v[14:15], v[14:15], -v[236:237]
	ds_read2_b64 v[236:239], v122 offset0:56 offset1:57
	v_add_f64 v[12:13], v[12:13], -v[18:19]
	s_waitcnt lgkmcnt(0)
	v_mul_f64 v[18:19], v[238:239], v[240:241]
	v_fma_f64 v[18:19], v[236:237], v[16:17], -v[18:19]
	v_mul_f64 v[236:237], v[236:237], v[240:241]
	v_fmac_f64_e32 v[236:237], v[238:239], v[16:17]
	v_add_f64 v[10:11], v[10:11], -v[236:237]
	ds_read2_b64 v[236:239], v122 offset0:58 offset1:59
	v_add_f64 v[8:9], v[8:9], -v[18:19]
	;; [unrolled: 8-line block ×4, first 2 shown]
	s_waitcnt lgkmcnt(0)
	v_mul_f64 v[18:19], v[238:239], v[240:241]
	v_fma_f64 v[18:19], v[236:237], v[16:17], -v[18:19]
	v_mul_f64 v[236:237], v[236:237], v[240:241]
	v_fmac_f64_e32 v[236:237], v[238:239], v[16:17]
	s_waitcnt vmcnt(10)
	v_add_f64 v[124:125], v[124:125], -v[18:19]
	v_add_f64 v[126:127], v[126:127], -v[236:237]
	v_mov_b64_e32 v[18:19], v[240:241]
.LBB63_244:
	s_or_b64 exec, exec, s[2:3]
	v_cmp_eq_u32_e32 vcc, 27, v120
	s_waitcnt lgkmcnt(0)
	s_barrier
	s_and_saveexec_b64 s[4:5], vcc
	s_cbranch_execz .LBB63_251
; %bb.245:
	s_waitcnt vmcnt(37)
	ds_write2_b64 v121, v[12:13], v[14:15] offset1:1
	s_waitcnt vmcnt(36)
	ds_write2_b64 v122, v[8:9], v[10:11] offset0:56 offset1:57
	s_waitcnt vmcnt(35)
	ds_write2_b64 v122, v[4:5], v[6:7] offset0:58 offset1:59
	;; [unrolled: 2-line block ×4, first 2 shown]
	ds_read2_b64 v[236:239], v121 offset1:1
	s_waitcnt lgkmcnt(0)
	v_cmp_neq_f64_e32 vcc, 0, v[236:237]
	v_cmp_neq_f64_e64 s[2:3], 0, v[238:239]
	s_or_b64 s[2:3], vcc, s[2:3]
	s_and_b64 exec, exec, s[2:3]
	s_cbranch_execz .LBB63_251
; %bb.246:
	v_cmp_ngt_f64_e64 s[2:3], |v[236:237]|, |v[238:239]|
                                        ; implicit-def: $vgpr240_vgpr241
	s_and_saveexec_b64 s[10:11], s[2:3]
	s_xor_b64 s[2:3], exec, s[10:11]
                                        ; implicit-def: $vgpr242_vgpr243
	s_cbranch_execz .LBB63_248
; %bb.247:
	v_div_scale_f64 v[240:241], s[10:11], v[238:239], v[238:239], v[236:237]
	v_rcp_f64_e32 v[242:243], v[240:241]
	v_div_scale_f64 v[244:245], vcc, v[236:237], v[238:239], v[236:237]
	v_fma_f64 v[246:247], -v[240:241], v[242:243], 1.0
	v_fmac_f64_e32 v[242:243], v[242:243], v[246:247]
	v_fma_f64 v[246:247], -v[240:241], v[242:243], 1.0
	v_fmac_f64_e32 v[242:243], v[242:243], v[246:247]
	v_mul_f64 v[246:247], v[244:245], v[242:243]
	v_fma_f64 v[240:241], -v[240:241], v[246:247], v[244:245]
	v_div_fmas_f64 v[240:241], v[240:241], v[242:243], v[246:247]
	v_div_fixup_f64 v[240:241], v[240:241], v[238:239], v[236:237]
	v_fmac_f64_e32 v[238:239], v[236:237], v[240:241]
	v_div_scale_f64 v[236:237], s[10:11], v[238:239], v[238:239], 1.0
	v_rcp_f64_e32 v[242:243], v[236:237]
	s_nop 0
	v_fma_f64 v[244:245], -v[236:237], v[242:243], 1.0
	v_fmac_f64_e32 v[242:243], v[242:243], v[244:245]
	v_fma_f64 v[244:245], -v[236:237], v[242:243], 1.0
	v_fmac_f64_e32 v[242:243], v[242:243], v[244:245]
	v_div_scale_f64 v[244:245], vcc, 1.0, v[238:239], 1.0
	v_mul_f64 v[246:247], v[244:245], v[242:243]
	v_fma_f64 v[236:237], -v[236:237], v[246:247], v[244:245]
	s_nop 1
	v_div_fmas_f64 v[236:237], v[236:237], v[242:243], v[246:247]
	v_div_fixup_f64 v[242:243], v[236:237], v[238:239], 1.0
	v_mul_f64 v[240:241], v[240:241], v[242:243]
	v_xor_b32_e32 v243, 0x80000000, v243
                                        ; implicit-def: $vgpr236_vgpr237
.LBB63_248:
	s_andn2_saveexec_b64 s[2:3], s[2:3]
	s_cbranch_execz .LBB63_250
; %bb.249:
	v_div_scale_f64 v[240:241], s[10:11], v[236:237], v[236:237], v[238:239]
	v_rcp_f64_e32 v[242:243], v[240:241]
	v_div_scale_f64 v[244:245], vcc, v[238:239], v[236:237], v[238:239]
	v_fma_f64 v[246:247], -v[240:241], v[242:243], 1.0
	v_fmac_f64_e32 v[242:243], v[242:243], v[246:247]
	v_fma_f64 v[246:247], -v[240:241], v[242:243], 1.0
	v_fmac_f64_e32 v[242:243], v[242:243], v[246:247]
	v_mul_f64 v[246:247], v[244:245], v[242:243]
	v_fma_f64 v[240:241], -v[240:241], v[246:247], v[244:245]
	v_div_fmas_f64 v[240:241], v[240:241], v[242:243], v[246:247]
	v_div_fixup_f64 v[242:243], v[240:241], v[236:237], v[238:239]
	v_fmac_f64_e32 v[236:237], v[238:239], v[242:243]
	v_div_scale_f64 v[238:239], s[10:11], v[236:237], v[236:237], 1.0
	v_rcp_f64_e32 v[240:241], v[238:239]
	s_nop 0
	v_fma_f64 v[244:245], -v[238:239], v[240:241], 1.0
	v_fmac_f64_e32 v[240:241], v[240:241], v[244:245]
	v_fma_f64 v[244:245], -v[238:239], v[240:241], 1.0
	v_fmac_f64_e32 v[240:241], v[240:241], v[244:245]
	v_div_scale_f64 v[244:245], vcc, 1.0, v[236:237], 1.0
	v_mul_f64 v[246:247], v[244:245], v[240:241]
	v_fma_f64 v[238:239], -v[238:239], v[246:247], v[244:245]
	s_nop 1
	v_div_fmas_f64 v[238:239], v[238:239], v[240:241], v[246:247]
	v_div_fixup_f64 v[240:241], v[238:239], v[236:237], 1.0
	v_mul_f64 v[242:243], v[242:243], -v[240:241]
.LBB63_250:
	s_or_b64 exec, exec, s[2:3]
	ds_write2_b64 v121, v[240:241], v[242:243] offset1:1
.LBB63_251:
	s_or_b64 exec, exec, s[4:5]
	s_waitcnt lgkmcnt(0)
	s_barrier
	ds_read2_b64 v[236:239], v121 offset1:1
	v_cmp_lt_u32_e32 vcc, 27, v120
	s_and_saveexec_b64 s[2:3], vcc
	s_cbranch_execz .LBB63_253
; %bb.252:
	ds_read2_b64 v[240:243], v122 offset0:56 offset1:57
	s_waitcnt vmcnt(37) lgkmcnt(1)
	v_mul_f64 v[244:245], v[236:237], v[14:15]
	v_fmac_f64_e32 v[244:245], v[238:239], v[12:13]
	v_mul_f64 v[14:15], v[238:239], v[14:15]
	v_fma_f64 v[12:13], v[236:237], v[12:13], -v[14:15]
	s_waitcnt lgkmcnt(0)
	v_mul_f64 v[14:15], v[242:243], v[244:245]
	v_fma_f64 v[14:15], v[240:241], v[12:13], -v[14:15]
	v_mul_f64 v[240:241], v[240:241], v[244:245]
	v_fmac_f64_e32 v[240:241], v[242:243], v[12:13]
	s_waitcnt vmcnt(36)
	v_add_f64 v[10:11], v[10:11], -v[240:241]
	ds_read2_b64 v[240:243], v122 offset0:58 offset1:59
	v_add_f64 v[8:9], v[8:9], -v[14:15]
	s_waitcnt lgkmcnt(0)
	v_mul_f64 v[14:15], v[242:243], v[244:245]
	v_fma_f64 v[14:15], v[240:241], v[12:13], -v[14:15]
	v_mul_f64 v[240:241], v[240:241], v[244:245]
	v_fmac_f64_e32 v[240:241], v[242:243], v[12:13]
	s_waitcnt vmcnt(35)
	v_add_f64 v[6:7], v[6:7], -v[240:241]
	ds_read2_b64 v[240:243], v122 offset0:60 offset1:61
	v_add_f64 v[4:5], v[4:5], -v[14:15]
	;; [unrolled: 9-line block ×3, first 2 shown]
	s_waitcnt lgkmcnt(0)
	v_mul_f64 v[14:15], v[242:243], v[244:245]
	v_fma_f64 v[14:15], v[240:241], v[12:13], -v[14:15]
	v_mul_f64 v[240:241], v[240:241], v[244:245]
	v_fmac_f64_e32 v[240:241], v[242:243], v[12:13]
	s_waitcnt vmcnt(10)
	v_add_f64 v[124:125], v[124:125], -v[14:15]
	v_add_f64 v[126:127], v[126:127], -v[240:241]
	v_mov_b64_e32 v[14:15], v[244:245]
.LBB63_253:
	s_or_b64 exec, exec, s[2:3]
	v_cmp_eq_u32_e32 vcc, 28, v120
	s_waitcnt lgkmcnt(0)
	s_barrier
	s_and_saveexec_b64 s[4:5], vcc
	s_cbranch_execz .LBB63_260
; %bb.254:
	s_waitcnt vmcnt(36)
	ds_write2_b64 v121, v[8:9], v[10:11] offset1:1
	s_waitcnt vmcnt(35)
	ds_write2_b64 v122, v[4:5], v[6:7] offset0:58 offset1:59
	s_waitcnt vmcnt(34)
	ds_write2_b64 v122, v[0:1], v[2:3] offset0:60 offset1:61
	;; [unrolled: 2-line block ×3, first 2 shown]
	ds_read2_b64 v[240:243], v121 offset1:1
	s_waitcnt lgkmcnt(0)
	v_cmp_neq_f64_e32 vcc, 0, v[240:241]
	v_cmp_neq_f64_e64 s[2:3], 0, v[242:243]
	s_or_b64 s[2:3], vcc, s[2:3]
	s_and_b64 exec, exec, s[2:3]
	s_cbranch_execz .LBB63_260
; %bb.255:
	v_cmp_ngt_f64_e64 s[2:3], |v[240:241]|, |v[242:243]|
                                        ; implicit-def: $vgpr244_vgpr245
	s_and_saveexec_b64 s[10:11], s[2:3]
	s_xor_b64 s[2:3], exec, s[10:11]
                                        ; implicit-def: $vgpr246_vgpr247
	s_cbranch_execz .LBB63_257
; %bb.256:
	v_div_scale_f64 v[244:245], s[10:11], v[242:243], v[242:243], v[240:241]
	v_rcp_f64_e32 v[246:247], v[244:245]
	v_div_scale_f64 v[248:249], vcc, v[240:241], v[242:243], v[240:241]
	v_fma_f64 v[250:251], -v[244:245], v[246:247], 1.0
	v_fmac_f64_e32 v[246:247], v[246:247], v[250:251]
	v_fma_f64 v[250:251], -v[244:245], v[246:247], 1.0
	v_fmac_f64_e32 v[246:247], v[246:247], v[250:251]
	v_mul_f64 v[250:251], v[248:249], v[246:247]
	v_fma_f64 v[244:245], -v[244:245], v[250:251], v[248:249]
	v_div_fmas_f64 v[244:245], v[244:245], v[246:247], v[250:251]
	v_div_fixup_f64 v[244:245], v[244:245], v[242:243], v[240:241]
	v_fmac_f64_e32 v[242:243], v[240:241], v[244:245]
	v_div_scale_f64 v[240:241], s[10:11], v[242:243], v[242:243], 1.0
	v_rcp_f64_e32 v[246:247], v[240:241]
	s_nop 0
	v_fma_f64 v[248:249], -v[240:241], v[246:247], 1.0
	v_fmac_f64_e32 v[246:247], v[246:247], v[248:249]
	v_fma_f64 v[248:249], -v[240:241], v[246:247], 1.0
	v_fmac_f64_e32 v[246:247], v[246:247], v[248:249]
	v_div_scale_f64 v[248:249], vcc, 1.0, v[242:243], 1.0
	v_mul_f64 v[250:251], v[248:249], v[246:247]
	v_fma_f64 v[240:241], -v[240:241], v[250:251], v[248:249]
	s_nop 1
	v_div_fmas_f64 v[240:241], v[240:241], v[246:247], v[250:251]
	v_div_fixup_f64 v[246:247], v[240:241], v[242:243], 1.0
	v_mul_f64 v[244:245], v[244:245], v[246:247]
	v_xor_b32_e32 v247, 0x80000000, v247
                                        ; implicit-def: $vgpr240_vgpr241
.LBB63_257:
	s_andn2_saveexec_b64 s[2:3], s[2:3]
	s_cbranch_execz .LBB63_259
; %bb.258:
	v_div_scale_f64 v[244:245], s[10:11], v[240:241], v[240:241], v[242:243]
	v_rcp_f64_e32 v[246:247], v[244:245]
	v_div_scale_f64 v[248:249], vcc, v[242:243], v[240:241], v[242:243]
	v_fma_f64 v[250:251], -v[244:245], v[246:247], 1.0
	v_fmac_f64_e32 v[246:247], v[246:247], v[250:251]
	v_fma_f64 v[250:251], -v[244:245], v[246:247], 1.0
	v_fmac_f64_e32 v[246:247], v[246:247], v[250:251]
	v_mul_f64 v[250:251], v[248:249], v[246:247]
	v_fma_f64 v[244:245], -v[244:245], v[250:251], v[248:249]
	v_div_fmas_f64 v[244:245], v[244:245], v[246:247], v[250:251]
	v_div_fixup_f64 v[246:247], v[244:245], v[240:241], v[242:243]
	v_fmac_f64_e32 v[240:241], v[242:243], v[246:247]
	v_div_scale_f64 v[242:243], s[10:11], v[240:241], v[240:241], 1.0
	v_rcp_f64_e32 v[244:245], v[242:243]
	s_nop 0
	v_fma_f64 v[248:249], -v[242:243], v[244:245], 1.0
	v_fmac_f64_e32 v[244:245], v[244:245], v[248:249]
	v_fma_f64 v[248:249], -v[242:243], v[244:245], 1.0
	v_fmac_f64_e32 v[244:245], v[244:245], v[248:249]
	v_div_scale_f64 v[248:249], vcc, 1.0, v[240:241], 1.0
	v_mul_f64 v[250:251], v[248:249], v[244:245]
	v_fma_f64 v[242:243], -v[242:243], v[250:251], v[248:249]
	s_nop 1
	v_div_fmas_f64 v[242:243], v[242:243], v[244:245], v[250:251]
	v_div_fixup_f64 v[244:245], v[242:243], v[240:241], 1.0
	v_mul_f64 v[246:247], v[246:247], -v[244:245]
.LBB63_259:
	s_or_b64 exec, exec, s[2:3]
	ds_write2_b64 v121, v[244:245], v[246:247] offset1:1
.LBB63_260:
	s_or_b64 exec, exec, s[4:5]
	s_waitcnt lgkmcnt(0)
	s_barrier
	ds_read2_b64 v[240:243], v121 offset1:1
	v_cmp_lt_u32_e32 vcc, 28, v120
	s_and_saveexec_b64 s[2:3], vcc
	s_cbranch_execz .LBB63_262
; %bb.261:
	ds_read2_b64 v[244:247], v122 offset0:58 offset1:59
	s_waitcnt vmcnt(36) lgkmcnt(1)
	v_mul_f64 v[248:249], v[240:241], v[10:11]
	v_fmac_f64_e32 v[248:249], v[242:243], v[8:9]
	v_mul_f64 v[10:11], v[242:243], v[10:11]
	v_fma_f64 v[8:9], v[240:241], v[8:9], -v[10:11]
	s_waitcnt lgkmcnt(0)
	v_mul_f64 v[10:11], v[246:247], v[248:249]
	v_fma_f64 v[10:11], v[244:245], v[8:9], -v[10:11]
	v_mul_f64 v[244:245], v[244:245], v[248:249]
	v_fmac_f64_e32 v[244:245], v[246:247], v[8:9]
	s_waitcnt vmcnt(35)
	v_add_f64 v[6:7], v[6:7], -v[244:245]
	ds_read2_b64 v[244:247], v122 offset0:60 offset1:61
	v_add_f64 v[4:5], v[4:5], -v[10:11]
	s_waitcnt lgkmcnt(0)
	v_mul_f64 v[10:11], v[246:247], v[248:249]
	v_fma_f64 v[10:11], v[244:245], v[8:9], -v[10:11]
	v_mul_f64 v[244:245], v[244:245], v[248:249]
	v_fmac_f64_e32 v[244:245], v[246:247], v[8:9]
	s_waitcnt vmcnt(34)
	v_add_f64 v[2:3], v[2:3], -v[244:245]
	ds_read2_b64 v[244:247], v122 offset0:62 offset1:63
	v_add_f64 v[0:1], v[0:1], -v[10:11]
	s_waitcnt lgkmcnt(0)
	v_mul_f64 v[10:11], v[246:247], v[248:249]
	v_fma_f64 v[10:11], v[244:245], v[8:9], -v[10:11]
	v_mul_f64 v[244:245], v[244:245], v[248:249]
	v_fmac_f64_e32 v[244:245], v[246:247], v[8:9]
	s_waitcnt vmcnt(10)
	v_add_f64 v[124:125], v[124:125], -v[10:11]
	v_add_f64 v[126:127], v[126:127], -v[244:245]
	v_mov_b64_e32 v[10:11], v[248:249]
.LBB63_262:
	s_or_b64 exec, exec, s[2:3]
	v_cmp_eq_u32_e32 vcc, 29, v120
	s_waitcnt lgkmcnt(0)
	s_barrier
	s_and_saveexec_b64 s[4:5], vcc
	s_cbranch_execz .LBB63_269
; %bb.263:
	s_waitcnt vmcnt(35)
	ds_write2_b64 v121, v[4:5], v[6:7] offset1:1
	s_waitcnt vmcnt(34)
	ds_write2_b64 v122, v[0:1], v[2:3] offset0:60 offset1:61
	s_waitcnt vmcnt(10)
	ds_write2_b64 v122, v[124:125], v[126:127] offset0:62 offset1:63
	ds_read2_b64 v[244:247], v121 offset1:1
	s_waitcnt lgkmcnt(0)
	v_cmp_neq_f64_e32 vcc, 0, v[244:245]
	v_cmp_neq_f64_e64 s[2:3], 0, v[246:247]
	s_or_b64 s[2:3], vcc, s[2:3]
	s_and_b64 exec, exec, s[2:3]
	s_cbranch_execz .LBB63_269
; %bb.264:
	v_cmp_ngt_f64_e64 s[2:3], |v[244:245]|, |v[246:247]|
                                        ; implicit-def: $vgpr248_vgpr249
	s_and_saveexec_b64 s[10:11], s[2:3]
	s_xor_b64 s[2:3], exec, s[10:11]
                                        ; implicit-def: $vgpr250_vgpr251
	s_cbranch_execz .LBB63_266
; %bb.265:
	v_div_scale_f64 v[248:249], s[10:11], v[246:247], v[246:247], v[244:245]
	v_rcp_f64_e32 v[250:251], v[248:249]
	v_div_scale_f64 v[252:253], vcc, v[244:245], v[246:247], v[244:245]
	v_fma_f64 v[254:255], -v[248:249], v[250:251], 1.0
	v_fmac_f64_e32 v[250:251], v[250:251], v[254:255]
	v_fma_f64 v[254:255], -v[248:249], v[250:251], 1.0
	v_fmac_f64_e32 v[250:251], v[250:251], v[254:255]
	v_mul_f64 v[254:255], v[252:253], v[250:251]
	v_fma_f64 v[248:249], -v[248:249], v[254:255], v[252:253]
	v_div_fmas_f64 v[248:249], v[248:249], v[250:251], v[254:255]
	v_div_fixup_f64 v[248:249], v[248:249], v[246:247], v[244:245]
	v_fmac_f64_e32 v[246:247], v[244:245], v[248:249]
	v_div_scale_f64 v[244:245], s[10:11], v[246:247], v[246:247], 1.0
	v_rcp_f64_e32 v[250:251], v[244:245]
	s_nop 0
	v_fma_f64 v[252:253], -v[244:245], v[250:251], 1.0
	v_fmac_f64_e32 v[250:251], v[250:251], v[252:253]
	v_fma_f64 v[252:253], -v[244:245], v[250:251], 1.0
	v_fmac_f64_e32 v[250:251], v[250:251], v[252:253]
	v_div_scale_f64 v[252:253], vcc, 1.0, v[246:247], 1.0
	v_mul_f64 v[254:255], v[252:253], v[250:251]
	v_fma_f64 v[244:245], -v[244:245], v[254:255], v[252:253]
	s_nop 1
	v_div_fmas_f64 v[244:245], v[244:245], v[250:251], v[254:255]
	v_div_fixup_f64 v[250:251], v[244:245], v[246:247], 1.0
	v_mul_f64 v[248:249], v[248:249], v[250:251]
	v_xor_b32_e32 v251, 0x80000000, v251
                                        ; implicit-def: $vgpr244_vgpr245
.LBB63_266:
	s_andn2_saveexec_b64 s[2:3], s[2:3]
	s_cbranch_execz .LBB63_268
; %bb.267:
	v_div_scale_f64 v[248:249], s[10:11], v[244:245], v[244:245], v[246:247]
	v_rcp_f64_e32 v[250:251], v[248:249]
	v_div_scale_f64 v[252:253], vcc, v[246:247], v[244:245], v[246:247]
	v_fma_f64 v[254:255], -v[248:249], v[250:251], 1.0
	v_fmac_f64_e32 v[250:251], v[250:251], v[254:255]
	v_fma_f64 v[254:255], -v[248:249], v[250:251], 1.0
	v_fmac_f64_e32 v[250:251], v[250:251], v[254:255]
	v_mul_f64 v[254:255], v[252:253], v[250:251]
	v_fma_f64 v[248:249], -v[248:249], v[254:255], v[252:253]
	v_div_fmas_f64 v[248:249], v[248:249], v[250:251], v[254:255]
	v_div_fixup_f64 v[250:251], v[248:249], v[244:245], v[246:247]
	v_fmac_f64_e32 v[244:245], v[246:247], v[250:251]
	v_div_scale_f64 v[246:247], s[10:11], v[244:245], v[244:245], 1.0
	v_rcp_f64_e32 v[248:249], v[246:247]
	s_nop 0
	v_fma_f64 v[252:253], -v[246:247], v[248:249], 1.0
	v_fmac_f64_e32 v[248:249], v[248:249], v[252:253]
	v_fma_f64 v[252:253], -v[246:247], v[248:249], 1.0
	v_fmac_f64_e32 v[248:249], v[248:249], v[252:253]
	v_div_scale_f64 v[252:253], vcc, 1.0, v[244:245], 1.0
	v_mul_f64 v[254:255], v[252:253], v[248:249]
	v_fma_f64 v[246:247], -v[246:247], v[254:255], v[252:253]
	s_nop 1
	v_div_fmas_f64 v[246:247], v[246:247], v[248:249], v[254:255]
	v_div_fixup_f64 v[248:249], v[246:247], v[244:245], 1.0
	v_mul_f64 v[250:251], v[250:251], -v[248:249]
.LBB63_268:
	s_or_b64 exec, exec, s[2:3]
	ds_write2_b64 v121, v[248:249], v[250:251] offset1:1
.LBB63_269:
	s_or_b64 exec, exec, s[4:5]
	s_waitcnt lgkmcnt(0)
	s_barrier
	ds_read2_b64 v[244:247], v121 offset1:1
	v_cmp_lt_u32_e32 vcc, 29, v120
	s_and_saveexec_b64 s[2:3], vcc
	s_cbranch_execz .LBB63_271
; %bb.270:
	ds_read2_b64 v[248:251], v122 offset0:60 offset1:61
	s_waitcnt vmcnt(35) lgkmcnt(1)
	v_mul_f64 v[252:253], v[244:245], v[6:7]
	v_fmac_f64_e32 v[252:253], v[246:247], v[4:5]
	v_mul_f64 v[6:7], v[246:247], v[6:7]
	v_fma_f64 v[4:5], v[244:245], v[4:5], -v[6:7]
	s_waitcnt lgkmcnt(0)
	v_mul_f64 v[6:7], v[250:251], v[252:253]
	v_fma_f64 v[6:7], v[248:249], v[4:5], -v[6:7]
	v_mul_f64 v[248:249], v[248:249], v[252:253]
	v_fmac_f64_e32 v[248:249], v[250:251], v[4:5]
	s_waitcnt vmcnt(34)
	v_add_f64 v[2:3], v[2:3], -v[248:249]
	ds_read2_b64 v[248:251], v122 offset0:62 offset1:63
	v_add_f64 v[0:1], v[0:1], -v[6:7]
	s_waitcnt lgkmcnt(0)
	v_mul_f64 v[6:7], v[250:251], v[252:253]
	v_fma_f64 v[6:7], v[248:249], v[4:5], -v[6:7]
	v_mul_f64 v[248:249], v[248:249], v[252:253]
	v_fmac_f64_e32 v[248:249], v[250:251], v[4:5]
	s_waitcnt vmcnt(10)
	v_add_f64 v[124:125], v[124:125], -v[6:7]
	v_add_f64 v[126:127], v[126:127], -v[248:249]
	v_mov_b64_e32 v[6:7], v[252:253]
.LBB63_271:
	s_or_b64 exec, exec, s[2:3]
	v_cmp_eq_u32_e32 vcc, 30, v120
	s_waitcnt lgkmcnt(0)
	s_barrier
	s_and_saveexec_b64 s[4:5], vcc
	s_cbranch_execz .LBB63_278
; %bb.272:
	s_waitcnt vmcnt(34)
	ds_write2_b64 v121, v[0:1], v[2:3] offset1:1
	s_waitcnt vmcnt(10)
	ds_write2_b64 v122, v[124:125], v[126:127] offset0:62 offset1:63
	ds_read2_b64 v[248:251], v121 offset1:1
	s_waitcnt lgkmcnt(0)
	v_cmp_neq_f64_e32 vcc, 0, v[248:249]
	v_cmp_neq_f64_e64 s[2:3], 0, v[250:251]
	s_or_b64 s[2:3], vcc, s[2:3]
	s_and_b64 exec, exec, s[2:3]
	s_cbranch_execz .LBB63_278
; %bb.273:
	v_cmp_ngt_f64_e64 s[2:3], |v[248:249]|, |v[250:251]|
                                        ; implicit-def: $vgpr252_vgpr253
	s_and_saveexec_b64 s[10:11], s[2:3]
	s_xor_b64 s[2:3], exec, s[10:11]
                                        ; implicit-def: $vgpr254_vgpr255
	s_cbranch_execz .LBB63_275
; %bb.274:
	v_div_scale_f64 v[252:253], s[10:11], v[250:251], v[250:251], v[248:249]
	v_rcp_f64_e32 v[254:255], v[252:253]
	v_div_scale_f64 v[128:129], vcc, v[248:249], v[250:251], v[248:249]
	v_fma_f64 v[130:131], -v[252:253], v[254:255], 1.0
	v_fmac_f64_e32 v[254:255], v[254:255], v[130:131]
	v_fma_f64 v[130:131], -v[252:253], v[254:255], 1.0
	v_fmac_f64_e32 v[254:255], v[254:255], v[130:131]
	v_mul_f64 v[130:131], v[128:129], v[254:255]
	v_fma_f64 v[128:129], -v[252:253], v[130:131], v[128:129]
	v_div_fmas_f64 v[128:129], v[128:129], v[254:255], v[130:131]
	v_div_fixup_f64 v[128:129], v[128:129], v[250:251], v[248:249]
	v_fmac_f64_e32 v[250:251], v[248:249], v[128:129]
	v_div_scale_f64 v[130:131], s[10:11], v[250:251], v[250:251], 1.0
	v_rcp_f64_e32 v[248:249], v[130:131]
	s_nop 0
	v_fma_f64 v[252:253], -v[130:131], v[248:249], 1.0
	v_fmac_f64_e32 v[248:249], v[248:249], v[252:253]
	v_fma_f64 v[252:253], -v[130:131], v[248:249], 1.0
	v_fmac_f64_e32 v[248:249], v[248:249], v[252:253]
	v_div_scale_f64 v[252:253], vcc, 1.0, v[250:251], 1.0
	v_mul_f64 v[254:255], v[252:253], v[248:249]
	v_fma_f64 v[130:131], -v[130:131], v[254:255], v[252:253]
	s_nop 1
	v_div_fmas_f64 v[130:131], v[130:131], v[248:249], v[254:255]
	v_div_fixup_f64 v[254:255], v[130:131], v[250:251], 1.0
	v_mul_f64 v[252:253], v[128:129], v[254:255]
	v_xor_b32_e32 v255, 0x80000000, v255
                                        ; implicit-def: $vgpr248_vgpr249
.LBB63_275:
	s_andn2_saveexec_b64 s[2:3], s[2:3]
	s_cbranch_execz .LBB63_277
; %bb.276:
	v_div_scale_f64 v[128:129], s[10:11], v[248:249], v[248:249], v[250:251]
	v_rcp_f64_e32 v[130:131], v[128:129]
	v_div_scale_f64 v[252:253], vcc, v[250:251], v[248:249], v[250:251]
	v_fma_f64 v[254:255], -v[128:129], v[130:131], 1.0
	v_fmac_f64_e32 v[130:131], v[130:131], v[254:255]
	v_fma_f64 v[254:255], -v[128:129], v[130:131], 1.0
	v_fmac_f64_e32 v[130:131], v[130:131], v[254:255]
	v_mul_f64 v[254:255], v[252:253], v[130:131]
	v_fma_f64 v[128:129], -v[128:129], v[254:255], v[252:253]
	v_div_fmas_f64 v[128:129], v[128:129], v[130:131], v[254:255]
	v_div_fixup_f64 v[128:129], v[128:129], v[248:249], v[250:251]
	v_fmac_f64_e32 v[248:249], v[250:251], v[128:129]
	v_div_scale_f64 v[130:131], s[10:11], v[248:249], v[248:249], 1.0
	v_rcp_f64_e32 v[250:251], v[130:131]
	s_nop 0
	v_fma_f64 v[252:253], -v[130:131], v[250:251], 1.0
	v_fmac_f64_e32 v[250:251], v[250:251], v[252:253]
	v_fma_f64 v[252:253], -v[130:131], v[250:251], 1.0
	v_fmac_f64_e32 v[250:251], v[250:251], v[252:253]
	v_div_scale_f64 v[252:253], vcc, 1.0, v[248:249], 1.0
	v_mul_f64 v[254:255], v[252:253], v[250:251]
	v_fma_f64 v[130:131], -v[130:131], v[254:255], v[252:253]
	s_nop 1
	v_div_fmas_f64 v[130:131], v[130:131], v[250:251], v[254:255]
	v_div_fixup_f64 v[252:253], v[130:131], v[248:249], 1.0
	v_mul_f64 v[254:255], v[128:129], -v[252:253]
.LBB63_277:
	s_or_b64 exec, exec, s[2:3]
	ds_write2_b64 v121, v[252:253], v[254:255] offset1:1
.LBB63_278:
	s_or_b64 exec, exec, s[4:5]
	s_waitcnt lgkmcnt(0)
	s_barrier
	ds_read2_b64 v[248:251], v121 offset1:1
	v_cmp_lt_u32_e32 vcc, 30, v120
	s_and_saveexec_b64 s[2:3], vcc
	s_cbranch_execz .LBB63_280
; %bb.279:
	ds_read2_b64 v[252:255], v122 offset0:62 offset1:63
	s_waitcnt vmcnt(34) lgkmcnt(1)
	v_mul_f64 v[122:123], v[248:249], v[2:3]
	v_mul_f64 v[2:3], v[250:251], v[2:3]
	v_fmac_f64_e32 v[122:123], v[250:251], v[0:1]
	v_fma_f64 v[0:1], v[248:249], v[0:1], -v[2:3]
	s_waitcnt lgkmcnt(0)
	v_mul_f64 v[2:3], v[254:255], v[122:123]
	v_mul_f64 v[128:129], v[252:253], v[122:123]
	v_fma_f64 v[2:3], v[252:253], v[0:1], -v[2:3]
	v_fmac_f64_e32 v[128:129], v[254:255], v[0:1]
	s_waitcnt vmcnt(10)
	v_add_f64 v[124:125], v[124:125], -v[2:3]
	v_add_f64 v[126:127], v[126:127], -v[128:129]
	v_mov_b64_e32 v[2:3], v[122:123]
.LBB63_280:
	s_or_b64 exec, exec, s[2:3]
	v_cmp_eq_u32_e32 vcc, 31, v120
	s_waitcnt lgkmcnt(0)
	s_barrier
	s_and_saveexec_b64 s[4:5], vcc
	s_cbranch_execz .LBB63_287
; %bb.281:
	s_waitcnt vmcnt(10)
	v_cmp_neq_f64_e32 vcc, 0, v[124:125]
	v_cmp_neq_f64_e64 s[2:3], 0, v[126:127]
	s_or_b64 s[2:3], vcc, s[2:3]
	ds_write2_b64 v121, v[124:125], v[126:127] offset1:1
	s_and_b64 exec, exec, s[2:3]
	s_cbranch_execz .LBB63_287
; %bb.282:
	v_cmp_ngt_f64_e64 s[2:3], |v[124:125]|, |v[126:127]|
                                        ; implicit-def: $vgpr252_vgpr253
	s_and_saveexec_b64 s[10:11], s[2:3]
	s_xor_b64 s[2:3], exec, s[10:11]
                                        ; implicit-def: $vgpr254_vgpr255
	s_cbranch_execz .LBB63_284
; %bb.283:
	v_div_scale_f64 v[122:123], s[10:11], v[126:127], v[126:127], v[124:125]
	v_mov_b64_e32 v[224:225], v[222:223]
	v_rcp_f64_e32 v[128:129], v[122:123]
	v_mov_b64_e32 v[222:223], v[220:221]
	v_mov_b64_e32 v[220:221], v[218:219]
	;; [unrolled: 1-line block ×8, first 2 shown]
	v_fma_f64 v[252:253], -v[122:123], v[128:129], 1.0
	v_mov_b64_e32 v[206:207], v[204:205]
	v_mov_b64_e32 v[204:205], v[202:203]
	v_fmac_f64_e32 v[128:129], v[128:129], v[252:253]
	v_mov_b64_e32 v[202:203], v[200:201]
	v_mov_b64_e32 v[200:201], v[198:199]
	v_fma_f64 v[252:253], -v[122:123], v[128:129], 1.0
	v_mov_b64_e32 v[198:199], v[196:197]
	v_mov_b64_e32 v[196:197], v[194:195]
	v_div_scale_f64 v[130:131], vcc, v[124:125], v[126:127], v[124:125]
	v_fmac_f64_e32 v[128:129], v[128:129], v[252:253]
	v_mov_b64_e32 v[194:195], v[192:193]
	v_mov_b64_e32 v[192:193], v[190:191]
	v_mul_f64 v[252:253], v[130:131], v[128:129]
	v_mov_b64_e32 v[190:191], v[188:189]
	v_mov_b64_e32 v[188:189], v[186:187]
	v_fma_f64 v[122:123], -v[122:123], v[252:253], v[130:131]
	v_mov_b64_e32 v[186:187], v[184:185]
	v_mov_b64_e32 v[184:185], v[182:183]
	v_div_fmas_f64 v[122:123], v[122:123], v[128:129], v[252:253]
	v_mov_b64_e32 v[182:183], v[180:181]
	v_mov_b64_e32 v[180:181], v[178:179]
	v_div_fixup_f64 v[122:123], v[122:123], v[126:127], v[124:125]
	v_mov_b64_e32 v[178:179], v[176:177]
	v_mov_b64_e32 v[176:177], v[174:175]
	v_fma_f64 v[128:129], v[124:125], v[122:123], v[126:127]
	v_mov_b64_e32 v[174:175], v[172:173]
	v_mov_b64_e32 v[172:173], v[170:171]
	v_div_scale_f64 v[130:131], s[10:11], v[128:129], v[128:129], 1.0
	v_mov_b64_e32 v[170:171], v[168:169]
	v_mov_b64_e32 v[168:169], v[166:167]
	v_rcp_f64_e32 v[252:253], v[130:131]
	v_mov_b64_e32 v[166:167], v[164:165]
	v_mov_b64_e32 v[164:165], v[162:163]
	v_mov_b64_e32 v[162:163], v[160:161]
	v_mov_b64_e32 v[160:161], v[158:159]
	v_mov_b64_e32 v[158:159], v[156:157]
	v_mov_b64_e32 v[156:157], v[154:155]
	v_mov_b64_e32 v[154:155], v[152:153]
	v_mov_b64_e32 v[152:153], v[150:151]
	v_fma_f64 v[254:255], -v[130:131], v[252:253], 1.0
	v_mov_b64_e32 v[150:151], v[148:149]
	v_mov_b64_e32 v[148:149], v[146:147]
	v_fmac_f64_e32 v[252:253], v[252:253], v[254:255]
	v_mov_b64_e32 v[146:147], v[144:145]
	v_mov_b64_e32 v[144:145], v[142:143]
	v_fma_f64 v[254:255], -v[130:131], v[252:253], 1.0
	v_mov_b64_e32 v[142:143], v[140:141]
	v_mov_b64_e32 v[140:141], v[138:139]
	v_fmac_f64_e32 v[252:253], v[252:253], v[254:255]
	v_div_scale_f64 v[254:255], vcc, 1.0, v[128:129], 1.0
	v_mov_b64_e32 v[138:139], v[136:137]
	v_mov_b64_e32 v[136:137], v[134:135]
	;; [unrolled: 1-line block ×3, first 2 shown]
	v_mul_f64 v[132:133], v[254:255], v[252:253]
	v_fma_f64 v[130:131], -v[130:131], v[132:133], v[254:255]
	v_div_fmas_f64 v[130:131], v[130:131], v[252:253], v[132:133]
	v_mov_b64_e32 v[132:133], v[134:135]
	v_mov_b64_e32 v[134:135], v[136:137]
	;; [unrolled: 1-line block ×56, first 2 shown]
	v_div_fixup_f64 v[254:255], v[130:131], v[128:129], 1.0
	v_mov_b64_e32 v[222:223], v[224:225]
	v_mov_b64_e32 v[82:83], v[232:233]
	v_mul_f64 v[252:253], v[122:123], v[254:255]
	v_xor_b32_e32 v255, 0x80000000, v255
.LBB63_284:
	s_andn2_saveexec_b64 s[2:3], s[2:3]
	s_cbranch_execz .LBB63_286
; %bb.285:
	v_mov_b64_e32 v[226:227], v[118:119]
	v_mov_b64_e32 v[224:225], v[116:117]
	;; [unrolled: 1-line block ×25, first 2 shown]
	v_div_scale_f64 v[122:123], s[10:11], v[124:125], v[124:125], v[126:127]
	v_mov_b64_e32 v[156:157], v[152:153]
	v_mov_b64_e32 v[154:155], v[150:151]
	v_rcp_f64_e32 v[128:129], v[122:123]
	v_mov_b64_e32 v[152:153], v[148:149]
	v_mov_b64_e32 v[150:151], v[146:147]
	;; [unrolled: 1-line block ×9, first 2 shown]
	v_fma_f64 v[132:133], -v[122:123], v[128:129], 1.0
	v_fmac_f64_e32 v[128:129], v[128:129], v[132:133]
	v_fma_f64 v[132:133], -v[122:123], v[128:129], 1.0
	v_div_scale_f64 v[130:131], vcc, v[126:127], v[124:125], v[126:127]
	v_fmac_f64_e32 v[128:129], v[128:129], v[132:133]
	v_mul_f64 v[132:133], v[130:131], v[128:129]
	v_fma_f64 v[122:123], -v[122:123], v[132:133], v[130:131]
	s_nop 0
	v_div_fmas_f64 v[122:123], v[122:123], v[128:129], v[132:133]
	v_div_fixup_f64 v[122:123], v[122:123], v[124:125], v[126:127]
	v_fma_f64 v[128:129], v[126:127], v[122:123], v[124:125]
	v_div_scale_f64 v[130:131], s[10:11], v[128:129], v[128:129], 1.0
	v_rcp_f64_e32 v[132:133], v[130:131]
	s_nop 0
	v_fma_f64 v[134:135], -v[130:131], v[132:133], 1.0
	v_fmac_f64_e32 v[132:133], v[132:133], v[134:135]
	v_fma_f64 v[134:135], -v[130:131], v[132:133], 1.0
	v_fmac_f64_e32 v[132:133], v[132:133], v[134:135]
	v_div_scale_f64 v[134:135], vcc, 1.0, v[128:129], 1.0
	v_mul_f64 v[252:253], v[134:135], v[132:133]
	v_fma_f64 v[130:131], -v[130:131], v[252:253], v[134:135]
	s_nop 1
	v_div_fmas_f64 v[130:131], v[130:131], v[132:133], v[252:253]
	v_mov_b64_e32 v[132:133], v[136:137]
	v_mov_b64_e32 v[134:135], v[138:139]
	;; [unrolled: 1-line block ×35, first 2 shown]
	v_div_fixup_f64 v[252:253], v[130:131], v[128:129], 1.0
	v_mov_b64_e32 v[118:119], v[226:227]
	v_mul_f64 v[254:255], v[122:123], -v[252:253]
.LBB63_286:
	s_or_b64 exec, exec, s[2:3]
	ds_write2_b64 v121, v[252:253], v[254:255] offset1:1
.LBB63_287:
	s_or_b64 exec, exec, s[4:5]
	s_waitcnt lgkmcnt(0)
	s_barrier
	ds_read2_b64 v[252:255], v121 offset1:1
	s_waitcnt lgkmcnt(0)
	s_barrier
	s_and_saveexec_b64 s[2:3], s[0:1]
	s_cbranch_execz .LBB63_290
; %bb.288:
	scratch_load_dwordx4 v[128:131], off, off offset:320 ; 16-byte Folded Reload
	v_mov_b32_e32 v122, s6
	v_mov_b32_e32 v123, s7
	s_waitcnt vmcnt(0)
	v_cmp_eq_f64_e32 vcc, 0, v[128:129]
	scratch_load_dwordx2 v[128:129], off, off offset:336 ; 8-byte Folded Reload
	v_cmp_eq_f64_e64 s[0:1], 0, v[130:131]
	s_and_b64 s[4:5], vcc, s[0:1]
	v_cmp_neq_f64_e32 vcc, 0, v[132:133]
	v_cmp_neq_f64_e64 s[0:1], 0, v[134:135]
	s_or_b64 s[0:1], vcc, s[0:1]
	v_cndmask_b32_e64 v121, 0, 1, s[4:5]
	s_or_b64 vcc, s[0:1], s[4:5]
	v_cndmask_b32_e32 v121, 2, v121, vcc
	v_cmp_eq_f64_e32 vcc, 0, v[136:137]
	v_cmp_eq_f64_e64 s[0:1], 0, v[138:139]
	s_and_b64 s[0:1], vcc, s[0:1]
	v_cmp_eq_u32_e32 vcc, 0, v121
	s_and_b64 s[0:1], s[0:1], vcc
	v_cndmask_b32_e64 v121, v121, 3, s[0:1]
	v_cmp_eq_f64_e32 vcc, 0, v[140:141]
	v_cmp_eq_f64_e64 s[0:1], 0, v[142:143]
	s_and_b64 s[0:1], vcc, s[0:1]
	v_cmp_eq_u32_e32 vcc, 0, v121
	s_and_b64 s[0:1], s[0:1], vcc
	v_cndmask_b32_e64 v121, v121, 4, s[0:1]
	;; [unrolled: 6-line block ×11, first 2 shown]
	v_cmp_eq_f64_e32 vcc, 0, v[180:181]
	v_cmp_eq_f64_e64 s[0:1], 0, v[182:183]
	s_and_b64 s[0:1], vcc, s[0:1]
	v_cmp_eq_u32_e32 vcc, 0, v121
	s_and_b64 s[0:1], s[0:1], vcc
	s_waitcnt vmcnt(0)
	v_lshl_add_u64 v[128:129], v[128:129], 2, v[122:123]
	global_load_dword v122, v[128:129], off
	v_cndmask_b32_e64 v121, v121, 14, s[0:1]
	v_cmp_eq_f64_e32 vcc, 0, v[184:185]
	v_cmp_eq_f64_e64 s[0:1], 0, v[186:187]
	s_and_b64 s[0:1], vcc, s[0:1]
	v_cmp_eq_u32_e32 vcc, 0, v121
	s_and_b64 s[0:1], s[0:1], vcc
	v_cndmask_b32_e64 v121, v121, 15, s[0:1]
	v_cmp_eq_f64_e32 vcc, 0, v[188:189]
	v_cmp_eq_f64_e64 s[0:1], 0, v[190:191]
	s_and_b64 s[0:1], vcc, s[0:1]
	v_cmp_eq_u32_e32 vcc, 0, v121
	s_and_b64 s[0:1], s[0:1], vcc
	;; [unrolled: 6-line block ×18, first 2 shown]
	v_cndmask_b32_e64 v121, v121, 32, s[0:1]
	s_waitcnt vmcnt(0)
	v_cmp_eq_u32_e32 vcc, 0, v122
	v_cmp_ne_u32_e64 s[0:1], 0, v121
	s_and_b64 s[0:1], vcc, s[0:1]
	s_and_b64 exec, exec, s[0:1]
	s_cbranch_execz .LBB63_290
; %bb.289:
	v_add_u32_e32 v121, s9, v121
	global_store_dword v[128:129], v121, off
.LBB63_290:
	s_or_b64 exec, exec, s[2:3]
	s_waitcnt vmcnt(10)
	v_mul_f64 v[122:123], v[254:255], v[126:127]
	v_fma_f64 v[128:129], v[252:253], v[124:125], -v[122:123]
	v_mul_f64 v[122:123], v[252:253], v[126:127]
	v_fmac_f64_e32 v[122:123], v[254:255], v[124:125]
	v_cmp_lt_u32_e32 vcc, 31, v120
	s_nop 1
	v_cndmask_b32_e32 v123, v127, v123, vcc
	v_cndmask_b32_e32 v122, v126, v122, vcc
	;; [unrolled: 1-line block ×4, first 2 shown]
	scratch_load_dwordx2 v[124:125], off, off offset:64 ; 8-byte Folded Reload
	scratch_load_dwordx4 v[126:129], off, off offset:48 ; 16-byte Folded Reload
	s_waitcnt vmcnt(0)
	global_store_dwordx4 v[124:125], v[126:129], off
	scratch_load_dwordx2 v[124:125], off, off offset:312 ; 8-byte Folded Reload
	s_nop 0
	scratch_load_dwordx4 v[116:119], off, off offset:32 ; 16-byte Folded Reload
	s_waitcnt vmcnt(0)
	global_store_dwordx4 v[124:125], v[116:119], off
	scratch_load_dwordx2 v[116:117], off, off offset:72 ; 8-byte Folded Reload
	s_waitcnt vmcnt(0)
	global_store_dwordx4 v[116:117], v[112:115], off
	scratch_load_dwordx2 v[112:113], off, off offset:80 ; 8-byte Folded Reload
	;; [unrolled: 3-line block ×3, first 2 shown]
	s_nop 0
	scratch_load_dwordx4 v[100:103], off, off offset:16 ; 16-byte Folded Reload
	s_waitcnt vmcnt(0)
	global_store_dwordx4 v[108:109], v[100:103], off
	scratch_load_dwordx2 v[104:105], off, off offset:96 ; 8-byte Folded Reload
	s_nop 0
	scratch_load_dwordx4 v[100:103], off, off ; 16-byte Folded Reload
	s_waitcnt vmcnt(0)
	global_store_dwordx4 v[104:105], v[100:103], off
	scratch_load_dwordx2 v[100:101], off, off offset:104 ; 8-byte Folded Reload
	s_waitcnt vmcnt(0)
	global_store_dwordx4 v[100:101], v[96:99], off
	scratch_load_dwordx2 v[96:97], off, off offset:112 ; 8-byte Folded Reload
	s_waitcnt vmcnt(0)
	global_store_dwordx4 v[96:97], v[92:95], off
	scratch_load_dwordx2 v[92:93], off, off offset:120 ; 8-byte Folded Reload
	s_waitcnt vmcnt(0)
	global_store_dwordx4 v[92:93], v[88:91], off
	scratch_load_dwordx2 v[88:89], off, off offset:128 ; 8-byte Folded Reload
	s_waitcnt vmcnt(0)
	global_store_dwordx4 v[88:89], v[84:87], off
	scratch_load_dwordx2 v[84:85], off, off offset:136 ; 8-byte Folded Reload
	s_waitcnt vmcnt(0)
	global_store_dwordx4 v[84:85], v[80:83], off
	scratch_load_dwordx2 v[80:81], off, off offset:144 ; 8-byte Folded Reload
	s_waitcnt vmcnt(0)
	global_store_dwordx4 v[80:81], v[76:79], off
	scratch_load_dwordx2 v[76:77], off, off offset:152 ; 8-byte Folded Reload
	s_waitcnt vmcnt(0)
	global_store_dwordx4 v[76:77], v[72:75], off
	scratch_load_dwordx2 v[72:73], off, off offset:160 ; 8-byte Folded Reload
	s_waitcnt vmcnt(0)
	global_store_dwordx4 v[72:73], v[68:71], off
	scratch_load_dwordx2 v[68:69], off, off offset:168 ; 8-byte Folded Reload
	s_waitcnt vmcnt(0)
	global_store_dwordx4 v[68:69], v[64:67], off
	scratch_load_dwordx2 v[64:65], off, off offset:176 ; 8-byte Folded Reload
	s_waitcnt vmcnt(0)
	global_store_dwordx4 v[64:65], v[60:63], off
	scratch_load_dwordx2 v[60:61], off, off offset:184 ; 8-byte Folded Reload
	s_waitcnt vmcnt(0)
	global_store_dwordx4 v[60:61], v[56:59], off
	scratch_load_dwordx2 v[56:57], off, off offset:192 ; 8-byte Folded Reload
	s_waitcnt vmcnt(0)
	global_store_dwordx4 v[56:57], v[52:55], off
	scratch_load_dwordx2 v[52:53], off, off offset:200 ; 8-byte Folded Reload
	s_waitcnt vmcnt(0)
	global_store_dwordx4 v[52:53], v[48:51], off
	scratch_load_dwordx2 v[48:49], off, off offset:208 ; 8-byte Folded Reload
	s_waitcnt vmcnt(0)
	global_store_dwordx4 v[48:49], v[44:47], off
	scratch_load_dwordx2 v[44:45], off, off offset:216 ; 8-byte Folded Reload
	s_waitcnt vmcnt(0)
	global_store_dwordx4 v[44:45], v[40:43], off
	scratch_load_dwordx2 v[40:41], off, off offset:224 ; 8-byte Folded Reload
	s_waitcnt vmcnt(0)
	global_store_dwordx4 v[40:41], v[36:39], off
	scratch_load_dwordx2 v[36:37], off, off offset:232 ; 8-byte Folded Reload
	s_waitcnt vmcnt(0)
	global_store_dwordx4 v[36:37], v[32:35], off
	scratch_load_dwordx2 v[32:33], off, off offset:240 ; 8-byte Folded Reload
	s_waitcnt vmcnt(0)
	global_store_dwordx4 v[32:33], v[28:31], off
	scratch_load_dwordx2 v[28:29], off, off offset:248 ; 8-byte Folded Reload
	s_waitcnt vmcnt(0)
	global_store_dwordx4 v[28:29], v[24:27], off
	scratch_load_dwordx2 v[24:25], off, off offset:256 ; 8-byte Folded Reload
	s_waitcnt vmcnt(0)
	global_store_dwordx4 v[24:25], v[20:23], off
	scratch_load_dwordx2 v[20:21], off, off offset:264 ; 8-byte Folded Reload
	s_waitcnt vmcnt(0)
	global_store_dwordx4 v[20:21], v[16:19], off
	scratch_load_dwordx2 v[16:17], off, off offset:272 ; 8-byte Folded Reload
	s_waitcnt vmcnt(0)
	global_store_dwordx4 v[16:17], v[12:15], off
	scratch_load_dwordx2 v[12:13], off, off offset:280 ; 8-byte Folded Reload
	s_waitcnt vmcnt(0)
	global_store_dwordx4 v[12:13], v[8:11], off
	scratch_load_dwordx2 v[8:9], off, off offset:288 ; 8-byte Folded Reload
	s_waitcnt vmcnt(0)
	global_store_dwordx4 v[8:9], v[4:7], off
	scratch_load_dwordx2 v[4:5], off, off offset:296 ; 8-byte Folded Reload
	s_waitcnt vmcnt(0)
	global_store_dwordx4 v[4:5], v[0:3], off
	scratch_load_dwordx2 v[0:1], off, off offset:304 ; 8-byte Folded Reload
	s_waitcnt vmcnt(0)
	global_store_dwordx4 v[0:1], v[120:123], off
.LBB63_291:
	s_endpgm
	.section	.rodata,"a",@progbits
	.p2align	6, 0x0
	.amdhsa_kernel _ZN9rocsolver6v33100L23getf2_npvt_small_kernelILi32E19rocblas_complex_numIdEiiPS3_EEvT1_T3_lS5_lPT2_S5_S5_
		.amdhsa_group_segment_fixed_size 0
		.amdhsa_private_segment_fixed_size 348
		.amdhsa_kernarg_size 312
		.amdhsa_user_sgpr_count 2
		.amdhsa_user_sgpr_dispatch_ptr 0
		.amdhsa_user_sgpr_queue_ptr 0
		.amdhsa_user_sgpr_kernarg_segment_ptr 1
		.amdhsa_user_sgpr_dispatch_id 0
		.amdhsa_user_sgpr_kernarg_preload_length 0
		.amdhsa_user_sgpr_kernarg_preload_offset 0
		.amdhsa_user_sgpr_private_segment_size 0
		.amdhsa_uses_dynamic_stack 0
		.amdhsa_enable_private_segment 1
		.amdhsa_system_sgpr_workgroup_id_x 1
		.amdhsa_system_sgpr_workgroup_id_y 1
		.amdhsa_system_sgpr_workgroup_id_z 0
		.amdhsa_system_sgpr_workgroup_info 0
		.amdhsa_system_vgpr_workitem_id 1
		.amdhsa_next_free_vgpr 256
		.amdhsa_next_free_sgpr 16
		.amdhsa_accum_offset 256
		.amdhsa_reserve_vcc 1
		.amdhsa_float_round_mode_32 0
		.amdhsa_float_round_mode_16_64 0
		.amdhsa_float_denorm_mode_32 3
		.amdhsa_float_denorm_mode_16_64 3
		.amdhsa_dx10_clamp 1
		.amdhsa_ieee_mode 1
		.amdhsa_fp16_overflow 0
		.amdhsa_tg_split 0
		.amdhsa_exception_fp_ieee_invalid_op 0
		.amdhsa_exception_fp_denorm_src 0
		.amdhsa_exception_fp_ieee_div_zero 0
		.amdhsa_exception_fp_ieee_overflow 0
		.amdhsa_exception_fp_ieee_underflow 0
		.amdhsa_exception_fp_ieee_inexact 0
		.amdhsa_exception_int_div_zero 0
	.end_amdhsa_kernel
	.section	.text._ZN9rocsolver6v33100L23getf2_npvt_small_kernelILi32E19rocblas_complex_numIdEiiPS3_EEvT1_T3_lS5_lPT2_S5_S5_,"axG",@progbits,_ZN9rocsolver6v33100L23getf2_npvt_small_kernelILi32E19rocblas_complex_numIdEiiPS3_EEvT1_T3_lS5_lPT2_S5_S5_,comdat
.Lfunc_end63:
	.size	_ZN9rocsolver6v33100L23getf2_npvt_small_kernelILi32E19rocblas_complex_numIdEiiPS3_EEvT1_T3_lS5_lPT2_S5_S5_, .Lfunc_end63-_ZN9rocsolver6v33100L23getf2_npvt_small_kernelILi32E19rocblas_complex_numIdEiiPS3_EEvT1_T3_lS5_lPT2_S5_S5_
                                        ; -- End function
	.set _ZN9rocsolver6v33100L23getf2_npvt_small_kernelILi32E19rocblas_complex_numIdEiiPS3_EEvT1_T3_lS5_lPT2_S5_S5_.num_vgpr, 256
	.set _ZN9rocsolver6v33100L23getf2_npvt_small_kernelILi32E19rocblas_complex_numIdEiiPS3_EEvT1_T3_lS5_lPT2_S5_S5_.num_agpr, 0
	.set _ZN9rocsolver6v33100L23getf2_npvt_small_kernelILi32E19rocblas_complex_numIdEiiPS3_EEvT1_T3_lS5_lPT2_S5_S5_.numbered_sgpr, 16
	.set _ZN9rocsolver6v33100L23getf2_npvt_small_kernelILi32E19rocblas_complex_numIdEiiPS3_EEvT1_T3_lS5_lPT2_S5_S5_.num_named_barrier, 0
	.set _ZN9rocsolver6v33100L23getf2_npvt_small_kernelILi32E19rocblas_complex_numIdEiiPS3_EEvT1_T3_lS5_lPT2_S5_S5_.private_seg_size, 348
	.set _ZN9rocsolver6v33100L23getf2_npvt_small_kernelILi32E19rocblas_complex_numIdEiiPS3_EEvT1_T3_lS5_lPT2_S5_S5_.uses_vcc, 1
	.set _ZN9rocsolver6v33100L23getf2_npvt_small_kernelILi32E19rocblas_complex_numIdEiiPS3_EEvT1_T3_lS5_lPT2_S5_S5_.uses_flat_scratch, 0
	.set _ZN9rocsolver6v33100L23getf2_npvt_small_kernelILi32E19rocblas_complex_numIdEiiPS3_EEvT1_T3_lS5_lPT2_S5_S5_.has_dyn_sized_stack, 0
	.set _ZN9rocsolver6v33100L23getf2_npvt_small_kernelILi32E19rocblas_complex_numIdEiiPS3_EEvT1_T3_lS5_lPT2_S5_S5_.has_recursion, 0
	.set _ZN9rocsolver6v33100L23getf2_npvt_small_kernelILi32E19rocblas_complex_numIdEiiPS3_EEvT1_T3_lS5_lPT2_S5_S5_.has_indirect_call, 0
	.section	.AMDGPU.csdata,"",@progbits
; Kernel info:
; codeLenInByte = 54900
; TotalNumSgprs: 22
; NumVgprs: 256
; NumAgprs: 0
; TotalNumVgprs: 256
; ScratchSize: 348
; MemoryBound: 1
; FloatMode: 240
; IeeeMode: 1
; LDSByteSize: 0 bytes/workgroup (compile time only)
; SGPRBlocks: 2
; VGPRBlocks: 31
; NumSGPRsForWavesPerEU: 22
; NumVGPRsForWavesPerEU: 256
; AccumOffset: 256
; Occupancy: 2
; WaveLimiterHint : 0
; COMPUTE_PGM_RSRC2:SCRATCH_EN: 1
; COMPUTE_PGM_RSRC2:USER_SGPR: 2
; COMPUTE_PGM_RSRC2:TRAP_HANDLER: 0
; COMPUTE_PGM_RSRC2:TGID_X_EN: 1
; COMPUTE_PGM_RSRC2:TGID_Y_EN: 1
; COMPUTE_PGM_RSRC2:TGID_Z_EN: 0
; COMPUTE_PGM_RSRC2:TIDIG_COMP_CNT: 1
; COMPUTE_PGM_RSRC3_GFX90A:ACCUM_OFFSET: 63
; COMPUTE_PGM_RSRC3_GFX90A:TG_SPLIT: 0
	.section	.text._ZN9rocsolver6v33100L18getf2_small_kernelILi33E19rocblas_complex_numIdEiiPS3_EEvT1_T3_lS5_lPS5_llPT2_S5_S5_S7_l,"axG",@progbits,_ZN9rocsolver6v33100L18getf2_small_kernelILi33E19rocblas_complex_numIdEiiPS3_EEvT1_T3_lS5_lPS5_llPT2_S5_S5_S7_l,comdat
	.globl	_ZN9rocsolver6v33100L18getf2_small_kernelILi33E19rocblas_complex_numIdEiiPS3_EEvT1_T3_lS5_lPS5_llPT2_S5_S5_S7_l ; -- Begin function _ZN9rocsolver6v33100L18getf2_small_kernelILi33E19rocblas_complex_numIdEiiPS3_EEvT1_T3_lS5_lPS5_llPT2_S5_S5_S7_l
	.p2align	8
	.type	_ZN9rocsolver6v33100L18getf2_small_kernelILi33E19rocblas_complex_numIdEiiPS3_EEvT1_T3_lS5_lPS5_llPT2_S5_S5_S7_l,@function
_ZN9rocsolver6v33100L18getf2_small_kernelILi33E19rocblas_complex_numIdEiiPS3_EEvT1_T3_lS5_lPS5_llPT2_S5_S5_S7_l: ; @_ZN9rocsolver6v33100L18getf2_small_kernelILi33E19rocblas_complex_numIdEiiPS3_EEvT1_T3_lS5_lPS5_llPT2_S5_S5_S7_l
; %bb.0:
	s_load_dword s2, s[0:1], 0x6c
	s_load_dwordx2 s[12:13], s[0:1], 0x48
	v_bfe_u32 v132, v0, 10, 10
	s_waitcnt lgkmcnt(0)
	s_lshr_b32 s2, s2, 16
	s_mul_i32 s3, s3, s2
	v_add_u32_e32 v138, s3, v132
	v_cmp_gt_i32_e32 vcc, s12, v138
	s_and_saveexec_b64 s[2:3], vcc
	s_cbranch_execz .LBB64_694
; %bb.1:
	s_load_dwordx4 s[4:7], s[0:1], 0x50
	v_ashrrev_i32_e32 v139, 31, v138
	v_mov_b64_e32 v[140:141], 0
	s_waitcnt lgkmcnt(0)
	s_cmp_eq_u64 s[4:5], 0
	s_cselect_b64 s[14:15], -1, 0
	s_and_b64 vcc, exec, s[14:15]
	s_cbranch_vccnz .LBB64_3
; %bb.2:
	v_mul_lo_u32 v1, s7, v138
	v_mul_lo_u32 v4, s6, v139
	v_mad_u64_u32 v[2:3], s[2:3], s6, v138, 0
	v_add3_u32 v3, v3, v4, v1
	v_lshl_add_u64 v[140:141], v[2:3], 2, s[4:5]
.LBB64_3:
	s_load_dwordx4 s[16:19], s[0:1], 0x8
	s_load_dwordx8 s[4:11], s[0:1], 0x20
	s_load_dword s2, s[0:1], 0x18
	s_load_dword s20, s[0:1], 0x0
	v_and_b32_e32 v147, 0x3ff, v0
	s_waitcnt lgkmcnt(0)
	v_mov_b32_e32 v2, s16
	v_mul_lo_u32 v1, s5, v138
	v_mul_lo_u32 v6, s4, v139
	v_mad_u64_u32 v[4:5], s[4:5], s4, v138, 0
	v_mov_b32_e32 v3, s17
	v_add3_u32 v5, v5, v6, v1
	v_lshl_add_u64 v[2:3], v[4:5], 4, v[2:3]
	s_add_i32 s12, s2, s2
	v_lshl_add_u64 v[136:137], s[18:19], 4, v[2:3]
	v_add_u32_e32 v2, s12, v147
	v_add_u32_e32 v4, s2, v2
	;; [unrolled: 1-line block ×3, first 2 shown]
	v_lshlrev_b32_e32 v142, 4, v147
	v_mov_b32_e32 v143, 0
	v_add_u32_e32 v8, s2, v6
	v_lshl_add_u64 v[0:1], v[136:137], 0, v[142:143]
	s_ashr_i32 s3, s2, 31
	v_ashrrev_i32_e32 v9, 31, v8
	v_add_u32_e32 v12, s2, v8
	v_lshl_add_u64 v[10:11], s[2:3], 4, v[0:1]
	global_load_dwordx4 v[92:95], v[0:1], off
	global_load_dwordx4 v[84:87], v[10:11], off
	v_lshl_add_u64 v[0:1], v[8:9], 4, v[136:137]
	v_ashrrev_i32_e32 v13, 31, v12
	v_add_u32_e32 v8, s2, v12
	v_lshl_add_u64 v[10:11], v[12:13], 4, v[136:137]
	v_add_u32_e32 v12, s2, v8
	v_add_u32_e32 v14, s2, v12
	v_add_u32_e32 v16, s2, v14
	v_add_u32_e32 v18, s2, v16
	v_add_u32_e32 v20, s2, v18
	v_add_u32_e32 v22, s2, v20
	v_add_u32_e32 v24, s2, v22
	v_add_u32_e32 v26, s2, v24
	v_add_u32_e32 v28, s2, v26
	v_add_u32_e32 v30, s2, v28
	v_add_u32_e32 v32, s2, v30
	v_add_u32_e32 v34, s2, v32
	v_add_u32_e32 v36, s2, v34
	v_ashrrev_i32_e32 v37, 31, v36
	v_add_u32_e32 v38, s2, v36
	v_lshl_add_u64 v[128:129], v[36:37], 4, v[136:137]
	v_add_u32_e32 v36, s2, v38
	v_ashrrev_i32_e32 v37, 31, v36
	v_lshl_add_u64 v[134:135], v[36:37], 4, v[136:137]
	v_add_u32_e32 v36, s2, v36
	v_ashrrev_i32_e32 v37, 31, v36
	;; [unrolled: 3-line block ×10, first 2 shown]
	v_ashrrev_i32_e32 v3, 31, v2
	v_ashrrev_i32_e32 v5, 31, v4
	;; [unrolled: 1-line block ×17, first 2 shown]
	v_lshl_add_u64 v[162:163], v[36:37], 4, v[136:137]
	v_add_u32_e32 v36, s2, v36
	v_lshl_add_u64 v[2:3], v[2:3], 4, v[136:137]
	v_lshl_add_u64 v[4:5], v[4:5], 4, v[136:137]
	;; [unrolled: 1-line block ×17, first 2 shown]
	v_ashrrev_i32_e32 v37, 31, v36
	v_lshl_add_u64 v[164:165], v[36:37], 4, v[136:137]
	global_load_dwordx4 v[124:127], v[2:3], off
	global_load_dwordx4 v[120:123], v[4:5], off
	;; [unrolled: 1-line block ×12, first 2 shown]
                                        ; kill: killed $vgpr12_vgpr13
                                        ; kill: killed $vgpr14_vgpr15
                                        ; kill: killed $vgpr16_vgpr17
                                        ; kill: killed $vgpr18_vgpr19
                                        ; kill: killed $vgpr2_vgpr3
                                        ; kill: killed $vgpr20_vgpr21
                                        ; kill: killed $vgpr4_vgpr5
                                        ; kill: killed $vgpr22_vgpr23
                                        ; kill: killed $vgpr6_vgpr7
                                        ; kill: killed $vgpr0_vgpr1
                                        ; kill: killed $vgpr10_vgpr11
                                        ; kill: killed $vgpr8_vgpr9
	global_load_dwordx4 v[72:75], v[24:25], off
	global_load_dwordx4 v[64:67], v[26:27], off
	;; [unrolled: 1-line block ×6, first 2 shown]
                                        ; kill: killed $vgpr30_vgpr31
                                        ; kill: killed $vgpr32_vgpr33
                                        ; kill: killed $vgpr34_vgpr35
                                        ; kill: killed $vgpr24_vgpr25
                                        ; kill: killed $vgpr26_vgpr27
                                        ; kill: killed $vgpr28_vgpr29
	global_load_dwordx4 v[44:47], v[128:129], off
	global_load_dwordx4 v[40:43], v[130:131], off
	;; [unrolled: 1-line block ×3, first 2 shown]
                                        ; kill: killed $vgpr128_vgpr129
                                        ; kill: killed $vgpr130_vgpr131
                                        ; kill: killed $vgpr134_vgpr135
	s_nop 0
	global_load_dwordx4 v[32:35], v[144:145], off
	global_load_dwordx4 v[28:31], v[148:149], off
	;; [unrolled: 1-line block ×10, first 2 shown]
	s_load_dwordx2 s[4:5], s[0:1], 0x40
	s_max_i32 s0, s20, 33
	v_mul_lo_u32 v145, s0, v132
	v_lshl_add_u32 v144, v145, 4, 0
	v_add_u32_e32 v132, v144, v142
	s_waitcnt vmcnt(32)
	ds_write2_b64 v132, v[92:93], v[94:95] offset1:1
	s_waitcnt lgkmcnt(0)
	s_barrier
	ds_read2_b64 v[132:135], v144 offset1:1
	s_cmp_lt_i32 s20, 2
	v_lshlrev_b32_e32 v148, 4, v145
	s_cbranch_scc1 .LBB64_6
; %bb.4:
	v_add3_u32 v142, v148, 0, 16
	s_mov_b32 s16, 1
	v_mov_b32_e32 v143, 0
.LBB64_5:                               ; =>This Inner Loop Header: Depth=1
	ds_read2_b64 v[150:153], v142 offset1:1
	s_waitcnt lgkmcnt(1)
	v_xor_b32_e32 v145, 0x80000000, v133
	v_xor_b32_e32 v146, 0x80000000, v135
	v_cmp_gt_f64_e32 vcc, 0, v[134:135]
	v_cmp_gt_f64_e64 s[0:1], 0, v[132:133]
	v_mov_b32_e32 v154, v132
	v_mov_b32_e32 v156, v134
	v_cndmask_b32_e64 v155, v133, v145, s[0:1]
	v_cndmask_b32_e32 v157, v135, v146, vcc
	s_waitcnt lgkmcnt(0)
	v_xor_b32_e32 v145, 0x80000000, v151
	v_xor_b32_e32 v146, 0x80000000, v153
	v_cmp_gt_f64_e32 vcc, 0, v[152:153]
	v_cmp_gt_f64_e64 s[0:1], 0, v[150:151]
	v_add_f64 v[154:155], v[154:155], v[156:157]
	v_mov_b32_e32 v156, v150
	v_mov_b32_e32 v158, v152
	v_cndmask_b32_e64 v157, v151, v145, s[0:1]
	v_cndmask_b32_e32 v159, v153, v146, vcc
	v_add_f64 v[156:157], v[156:157], v[158:159]
	v_mov_b32_e32 v149, s16
	s_add_i32 s16, s16, 1
	v_cmp_lt_f64_e32 vcc, v[154:155], v[156:157]
	v_add_u32_e32 v142, 16, v142
	s_cmp_eq_u32 s20, s16
	v_cndmask_b32_e32 v133, v133, v151, vcc
	v_cndmask_b32_e32 v132, v132, v150, vcc
	;; [unrolled: 1-line block ×5, first 2 shown]
	s_cbranch_scc0 .LBB64_5
.LBB64_6:
	s_waitcnt lgkmcnt(0)
	v_cmp_neq_f64_e32 vcc, 0, v[132:133]
	v_cmp_neq_f64_e64 s[0:1], 0, v[134:135]
	s_or_b64 s[16:17], vcc, s[0:1]
	v_mov_b32_e32 v146, 1
	v_mov_b32_e32 v149, 1
	s_and_saveexec_b64 s[0:1], s[16:17]
	s_cbranch_execz .LBB64_12
; %bb.7:
	v_cmp_ngt_f64_e64 s[16:17], |v[132:133]|, |v[134:135]|
	s_and_saveexec_b64 s[18:19], s[16:17]
	s_xor_b64 s[16:17], exec, s[18:19]
	s_cbranch_execz .LBB64_9
; %bb.8:
	v_div_scale_f64 v[150:151], s[18:19], v[134:135], v[134:135], v[132:133]
	v_rcp_f64_e32 v[152:153], v[150:151]
	v_div_scale_f64 v[154:155], vcc, v[132:133], v[134:135], v[132:133]
	v_fma_f64 v[156:157], -v[150:151], v[152:153], 1.0
	v_fmac_f64_e32 v[152:153], v[152:153], v[156:157]
	v_fma_f64 v[156:157], -v[150:151], v[152:153], 1.0
	v_fmac_f64_e32 v[152:153], v[152:153], v[156:157]
	v_mul_f64 v[156:157], v[154:155], v[152:153]
	v_fma_f64 v[150:151], -v[150:151], v[156:157], v[154:155]
	v_div_fmas_f64 v[150:151], v[150:151], v[152:153], v[156:157]
	v_div_fixup_f64 v[150:151], v[150:151], v[134:135], v[132:133]
	v_fmac_f64_e32 v[134:135], v[132:133], v[150:151]
	v_div_scale_f64 v[132:133], s[18:19], v[134:135], v[134:135], 1.0
	v_rcp_f64_e32 v[152:153], v[132:133]
	s_nop 0
	v_fma_f64 v[154:155], -v[132:133], v[152:153], 1.0
	v_fmac_f64_e32 v[152:153], v[152:153], v[154:155]
	v_fma_f64 v[154:155], -v[132:133], v[152:153], 1.0
	v_fmac_f64_e32 v[152:153], v[152:153], v[154:155]
	v_div_scale_f64 v[154:155], vcc, 1.0, v[134:135], 1.0
	v_mul_f64 v[156:157], v[154:155], v[152:153]
	v_fma_f64 v[132:133], -v[132:133], v[156:157], v[154:155]
	s_nop 1
	v_div_fmas_f64 v[132:133], v[132:133], v[152:153], v[156:157]
	v_div_fixup_f64 v[134:135], v[132:133], v[134:135], 1.0
	v_mul_f64 v[132:133], v[150:151], v[134:135]
	v_xor_b32_e32 v135, 0x80000000, v135
.LBB64_9:
	s_andn2_saveexec_b64 s[16:17], s[16:17]
	s_cbranch_execz .LBB64_11
; %bb.10:
	v_div_scale_f64 v[150:151], s[18:19], v[132:133], v[132:133], v[134:135]
	v_rcp_f64_e32 v[152:153], v[150:151]
	v_div_scale_f64 v[154:155], vcc, v[134:135], v[132:133], v[134:135]
	v_fma_f64 v[156:157], -v[150:151], v[152:153], 1.0
	v_fmac_f64_e32 v[152:153], v[152:153], v[156:157]
	v_fma_f64 v[156:157], -v[150:151], v[152:153], 1.0
	v_fmac_f64_e32 v[152:153], v[152:153], v[156:157]
	v_mul_f64 v[156:157], v[154:155], v[152:153]
	v_fma_f64 v[150:151], -v[150:151], v[156:157], v[154:155]
	v_div_fmas_f64 v[150:151], v[150:151], v[152:153], v[156:157]
	v_div_fixup_f64 v[150:151], v[150:151], v[132:133], v[134:135]
	v_fmac_f64_e32 v[132:133], v[134:135], v[150:151]
	v_div_scale_f64 v[134:135], s[18:19], v[132:133], v[132:133], 1.0
	v_rcp_f64_e32 v[152:153], v[134:135]
	s_nop 0
	v_fma_f64 v[154:155], -v[134:135], v[152:153], 1.0
	v_fmac_f64_e32 v[152:153], v[152:153], v[154:155]
	v_fma_f64 v[154:155], -v[134:135], v[152:153], 1.0
	v_fmac_f64_e32 v[152:153], v[152:153], v[154:155]
	v_div_scale_f64 v[154:155], vcc, 1.0, v[132:133], 1.0
	v_mul_f64 v[156:157], v[154:155], v[152:153]
	v_fma_f64 v[134:135], -v[134:135], v[156:157], v[154:155]
	s_nop 1
	v_div_fmas_f64 v[134:135], v[134:135], v[152:153], v[156:157]
	v_div_fixup_f64 v[132:133], v[134:135], v[132:133], 1.0
	v_mul_f64 v[134:135], v[150:151], -v[132:133]
.LBB64_11:
	s_or_b64 exec, exec, s[16:17]
	v_mov_b32_e32 v149, 0
	v_mov_b32_e32 v146, 2
.LBB64_12:
	s_or_b64 exec, exec, s[0:1]
	v_cmp_ne_u32_e32 vcc, v147, v143
	s_and_saveexec_b64 s[0:1], vcc
	s_xor_b64 s[0:1], exec, s[0:1]
	s_cbranch_execz .LBB64_18
; %bb.13:
	v_cmp_eq_u32_e32 vcc, 0, v147
	s_and_saveexec_b64 s[16:17], vcc
	s_cbranch_execz .LBB64_17
; %bb.14:
	v_cmp_ne_u32_e32 vcc, 0, v143
	s_xor_b64 s[18:19], s[14:15], -1
	s_and_b64 s[22:23], s[18:19], vcc
	s_and_saveexec_b64 s[18:19], s[22:23]
	s_cbranch_execz .LBB64_16
; %bb.15:
	v_ashrrev_i32_e32 v151, 31, v143
	v_mov_b32_e32 v150, v143
	v_lshl_add_u64 v[150:151], v[150:151], 2, v[140:141]
	global_load_dword v142, v[150:151], off
	global_load_dword v145, v[140:141], off
	s_waitcnt vmcnt(1)
	global_store_dword v[140:141], v142, off
	s_waitcnt vmcnt(1)
	global_store_dword v[150:151], v145, off
.LBB64_16:
	s_or_b64 exec, exec, s[18:19]
	v_mov_b32_e32 v147, v143
.LBB64_17:
	s_or_b64 exec, exec, s[16:17]
.LBB64_18:
	s_or_saveexec_b64 s[0:1], s[0:1]
	v_mov_b32_e32 v145, v147
	s_xor_b64 exec, exec, s[0:1]
	s_cbranch_execz .LBB64_20
; %bb.19:
	v_mov_b32_e32 v145, 0
	s_waitcnt vmcnt(31)
	ds_write2_b64 v144, v[84:85], v[86:87] offset0:2 offset1:3
	s_waitcnt vmcnt(30)
	ds_write2_b64 v144, v[124:125], v[126:127] offset0:4 offset1:5
	;; [unrolled: 2-line block ×32, first 2 shown]
.LBB64_20:
	s_or_b64 exec, exec, s[0:1]
	v_cmp_lt_i32_e32 vcc, 0, v145
	s_waitcnt lgkmcnt(0)
	s_barrier
	s_and_saveexec_b64 s[0:1], vcc
	s_cbranch_execz .LBB64_22
; %bb.21:
	ds_read2_b64 v[150:153], v144 offset0:2 offset1:3
	v_mul_f64 v[142:143], v[134:135], v[94:95]
	v_mul_f64 v[94:95], v[132:133], v[94:95]
	v_fma_f64 v[142:143], v[132:133], v[92:93], -v[142:143]
	v_fmac_f64_e32 v[94:95], v[134:135], v[92:93]
	ds_read2_b64 v[132:135], v144 offset0:4 offset1:5
	s_waitcnt lgkmcnt(1)
	v_mul_f64 v[92:93], v[152:153], v[94:95]
	v_fma_f64 v[92:93], v[150:151], v[142:143], -v[92:93]
	v_mul_f64 v[150:151], v[150:151], v[94:95]
	v_fmac_f64_e32 v[150:151], v[152:153], v[142:143]
	s_waitcnt vmcnt(31)
	v_add_f64 v[84:85], v[84:85], -v[92:93]
	s_waitcnt lgkmcnt(0)
	v_mul_f64 v[92:93], v[134:135], v[94:95]
	v_add_f64 v[86:87], v[86:87], -v[150:151]
	v_fma_f64 v[92:93], v[132:133], v[142:143], -v[92:93]
	v_mul_f64 v[132:133], v[132:133], v[94:95]
	ds_read2_b64 v[150:153], v144 offset0:6 offset1:7
	v_fmac_f64_e32 v[132:133], v[134:135], v[142:143]
	s_waitcnt vmcnt(30)
	v_add_f64 v[126:127], v[126:127], -v[132:133]
	ds_read2_b64 v[132:135], v144 offset0:8 offset1:9
	v_add_f64 v[124:125], v[124:125], -v[92:93]
	s_waitcnt lgkmcnt(1)
	v_mul_f64 v[92:93], v[152:153], v[94:95]
	v_fma_f64 v[92:93], v[150:151], v[142:143], -v[92:93]
	v_mul_f64 v[150:151], v[150:151], v[94:95]
	v_fmac_f64_e32 v[150:151], v[152:153], v[142:143]
	s_waitcnt vmcnt(29)
	v_add_f64 v[120:121], v[120:121], -v[92:93]
	s_waitcnt lgkmcnt(0)
	v_mul_f64 v[92:93], v[134:135], v[94:95]
	v_add_f64 v[122:123], v[122:123], -v[150:151]
	v_fma_f64 v[92:93], v[132:133], v[142:143], -v[92:93]
	v_mul_f64 v[132:133], v[132:133], v[94:95]
	ds_read2_b64 v[150:153], v144 offset0:10 offset1:11
	v_fmac_f64_e32 v[132:133], v[134:135], v[142:143]
	s_waitcnt vmcnt(28)
	v_add_f64 v[118:119], v[118:119], -v[132:133]
	ds_read2_b64 v[132:135], v144 offset0:12 offset1:13
	v_add_f64 v[116:117], v[116:117], -v[92:93]
	;; [unrolled: 18-line block ×15, first 2 shown]
	s_waitcnt lgkmcnt(1)
	v_mul_f64 v[92:93], v[152:153], v[94:95]
	v_fma_f64 v[92:93], v[150:151], v[142:143], -v[92:93]
	s_waitcnt vmcnt(1)
	v_add_f64 v[0:1], v[0:1], -v[92:93]
	s_waitcnt lgkmcnt(0)
	v_mul_f64 v[92:93], v[134:135], v[94:95]
	v_mul_f64 v[150:151], v[150:151], v[94:95]
	v_fma_f64 v[92:93], v[132:133], v[142:143], -v[92:93]
	v_mul_f64 v[132:133], v[132:133], v[94:95]
	v_fmac_f64_e32 v[150:151], v[152:153], v[142:143]
	v_fmac_f64_e32 v[132:133], v[134:135], v[142:143]
	v_add_f64 v[2:3], v[2:3], -v[150:151]
	s_waitcnt vmcnt(0)
	v_add_f64 v[128:129], v[128:129], -v[92:93]
	v_add_f64 v[130:131], v[130:131], -v[132:133]
	v_mov_b64_e32 v[92:93], v[142:143]
.LBB64_22:
	s_or_b64 exec, exec, s[0:1]
	v_lshl_add_u32 v132, v145, 4, v144
	s_barrier
	s_waitcnt vmcnt(31)
	ds_write2_b64 v132, v[84:85], v[86:87] offset1:1
	s_waitcnt lgkmcnt(0)
	s_barrier
	ds_read2_b64 v[132:135], v144 offset0:2 offset1:3
	s_cmp_lt_i32 s20, 3
	v_mov_b32_e32 v142, 1
	s_cbranch_scc1 .LBB64_25
; %bb.23:
	v_add3_u32 v143, v148, 0, 32
	s_mov_b32 s16, 2
	v_mov_b32_e32 v142, 1
.LBB64_24:                              ; =>This Inner Loop Header: Depth=1
	ds_read2_b64 v[150:153], v143 offset1:1
	s_waitcnt lgkmcnt(1)
	v_xor_b32_e32 v155, 0x80000000, v133
	v_xor_b32_e32 v157, 0x80000000, v135
	v_cmp_gt_f64_e32 vcc, 0, v[134:135]
	v_cmp_gt_f64_e64 s[0:1], 0, v[132:133]
	v_mov_b32_e32 v154, v132
	v_mov_b32_e32 v156, v134
	v_cndmask_b32_e64 v155, v133, v155, s[0:1]
	v_cndmask_b32_e32 v157, v135, v157, vcc
	v_add_f64 v[154:155], v[154:155], v[156:157]
	s_waitcnt lgkmcnt(0)
	v_xor_b32_e32 v157, 0x80000000, v151
	v_xor_b32_e32 v159, 0x80000000, v153
	v_cmp_gt_f64_e32 vcc, 0, v[152:153]
	v_cmp_gt_f64_e64 s[0:1], 0, v[150:151]
	v_mov_b32_e32 v156, v150
	v_mov_b32_e32 v158, v152
	v_cndmask_b32_e64 v157, v151, v157, s[0:1]
	v_cndmask_b32_e32 v159, v153, v159, vcc
	v_add_f64 v[156:157], v[156:157], v[158:159]
	v_mov_b32_e32 v160, s16
	s_add_i32 s16, s16, 1
	v_cmp_lt_f64_e32 vcc, v[154:155], v[156:157]
	v_add_u32_e32 v143, 16, v143
	s_cmp_lg_u32 s20, s16
	v_cndmask_b32_e32 v133, v133, v151, vcc
	v_cndmask_b32_e32 v132, v132, v150, vcc
	;; [unrolled: 1-line block ×5, first 2 shown]
	s_cbranch_scc1 .LBB64_24
.LBB64_25:
	s_waitcnt lgkmcnt(0)
	v_cmp_neq_f64_e32 vcc, 0, v[132:133]
	v_cmp_neq_f64_e64 s[0:1], 0, v[134:135]
	s_or_b64 s[16:17], vcc, s[0:1]
	s_and_saveexec_b64 s[0:1], s[16:17]
	s_cbranch_execz .LBB64_31
; %bb.26:
	v_cmp_ngt_f64_e64 s[16:17], |v[132:133]|, |v[134:135]|
	s_and_saveexec_b64 s[18:19], s[16:17]
	s_xor_b64 s[16:17], exec, s[18:19]
	s_cbranch_execz .LBB64_28
; %bb.27:
	v_div_scale_f64 v[150:151], s[18:19], v[134:135], v[134:135], v[132:133]
	v_rcp_f64_e32 v[152:153], v[150:151]
	v_div_scale_f64 v[154:155], vcc, v[132:133], v[134:135], v[132:133]
	v_fma_f64 v[156:157], -v[150:151], v[152:153], 1.0
	v_fmac_f64_e32 v[152:153], v[152:153], v[156:157]
	v_fma_f64 v[156:157], -v[150:151], v[152:153], 1.0
	v_fmac_f64_e32 v[152:153], v[152:153], v[156:157]
	v_mul_f64 v[156:157], v[154:155], v[152:153]
	v_fma_f64 v[150:151], -v[150:151], v[156:157], v[154:155]
	v_div_fmas_f64 v[150:151], v[150:151], v[152:153], v[156:157]
	v_div_fixup_f64 v[150:151], v[150:151], v[134:135], v[132:133]
	v_fmac_f64_e32 v[134:135], v[132:133], v[150:151]
	v_div_scale_f64 v[132:133], s[18:19], v[134:135], v[134:135], 1.0
	v_rcp_f64_e32 v[152:153], v[132:133]
	s_nop 0
	v_fma_f64 v[154:155], -v[132:133], v[152:153], 1.0
	v_fmac_f64_e32 v[152:153], v[152:153], v[154:155]
	v_fma_f64 v[154:155], -v[132:133], v[152:153], 1.0
	v_fmac_f64_e32 v[152:153], v[152:153], v[154:155]
	v_div_scale_f64 v[154:155], vcc, 1.0, v[134:135], 1.0
	v_mul_f64 v[156:157], v[154:155], v[152:153]
	v_fma_f64 v[132:133], -v[132:133], v[156:157], v[154:155]
	s_nop 1
	v_div_fmas_f64 v[132:133], v[132:133], v[152:153], v[156:157]
	v_div_fixup_f64 v[134:135], v[132:133], v[134:135], 1.0
	v_mul_f64 v[132:133], v[150:151], v[134:135]
	v_xor_b32_e32 v135, 0x80000000, v135
.LBB64_28:
	s_andn2_saveexec_b64 s[16:17], s[16:17]
	s_cbranch_execz .LBB64_30
; %bb.29:
	v_div_scale_f64 v[150:151], s[18:19], v[132:133], v[132:133], v[134:135]
	v_rcp_f64_e32 v[152:153], v[150:151]
	v_div_scale_f64 v[154:155], vcc, v[134:135], v[132:133], v[134:135]
	v_fma_f64 v[156:157], -v[150:151], v[152:153], 1.0
	v_fmac_f64_e32 v[152:153], v[152:153], v[156:157]
	v_fma_f64 v[156:157], -v[150:151], v[152:153], 1.0
	v_fmac_f64_e32 v[152:153], v[152:153], v[156:157]
	v_mul_f64 v[156:157], v[154:155], v[152:153]
	v_fma_f64 v[150:151], -v[150:151], v[156:157], v[154:155]
	v_div_fmas_f64 v[150:151], v[150:151], v[152:153], v[156:157]
	v_div_fixup_f64 v[150:151], v[150:151], v[132:133], v[134:135]
	v_fmac_f64_e32 v[132:133], v[134:135], v[150:151]
	v_div_scale_f64 v[134:135], s[18:19], v[132:133], v[132:133], 1.0
	v_rcp_f64_e32 v[152:153], v[134:135]
	s_nop 0
	v_fma_f64 v[154:155], -v[134:135], v[152:153], 1.0
	v_fmac_f64_e32 v[152:153], v[152:153], v[154:155]
	v_fma_f64 v[154:155], -v[134:135], v[152:153], 1.0
	v_fmac_f64_e32 v[152:153], v[152:153], v[154:155]
	v_div_scale_f64 v[154:155], vcc, 1.0, v[132:133], 1.0
	v_mul_f64 v[156:157], v[154:155], v[152:153]
	v_fma_f64 v[134:135], -v[134:135], v[156:157], v[154:155]
	s_nop 1
	v_div_fmas_f64 v[134:135], v[134:135], v[152:153], v[156:157]
	v_div_fixup_f64 v[132:133], v[134:135], v[132:133], 1.0
	v_mul_f64 v[134:135], v[150:151], -v[132:133]
.LBB64_30:
	s_or_b64 exec, exec, s[16:17]
	v_mov_b32_e32 v146, v149
.LBB64_31:
	s_or_b64 exec, exec, s[0:1]
	v_cmp_ne_u32_e32 vcc, v145, v142
	s_and_saveexec_b64 s[0:1], vcc
	s_xor_b64 s[0:1], exec, s[0:1]
	s_cbranch_execz .LBB64_37
; %bb.32:
	v_cmp_eq_u32_e32 vcc, 1, v145
	s_and_saveexec_b64 s[16:17], vcc
	s_cbranch_execz .LBB64_36
; %bb.33:
	v_cmp_ne_u32_e32 vcc, 1, v142
	s_xor_b64 s[18:19], s[14:15], -1
	s_and_b64 s[22:23], s[18:19], vcc
	s_and_saveexec_b64 s[18:19], s[22:23]
	s_cbranch_execz .LBB64_35
; %bb.34:
	v_ashrrev_i32_e32 v143, 31, v142
	v_lshl_add_u64 v[150:151], v[142:143], 2, v[140:141]
	global_load_dword v143, v[150:151], off
	global_load_dword v145, v[140:141], off offset:4
	s_waitcnt vmcnt(1)
	global_store_dword v[140:141], v143, off offset:4
	s_waitcnt vmcnt(1)
	global_store_dword v[150:151], v145, off
.LBB64_35:
	s_or_b64 exec, exec, s[18:19]
	v_mov_b32_e32 v145, v142
	v_mov_b32_e32 v147, v142
.LBB64_36:
	s_or_b64 exec, exec, s[16:17]
.LBB64_37:
	s_andn2_saveexec_b64 s[0:1], s[0:1]
	s_cbranch_execz .LBB64_39
; %bb.38:
	v_mov_b32_e32 v145, 1
	s_waitcnt vmcnt(30)
	ds_write2_b64 v144, v[124:125], v[126:127] offset0:4 offset1:5
	s_waitcnt vmcnt(29)
	ds_write2_b64 v144, v[120:121], v[122:123] offset0:6 offset1:7
	;; [unrolled: 2-line block ×31, first 2 shown]
.LBB64_39:
	s_or_b64 exec, exec, s[0:1]
	v_cmp_lt_i32_e32 vcc, 1, v145
	s_waitcnt lgkmcnt(0)
	s_barrier
	s_and_saveexec_b64 s[0:1], vcc
	s_cbranch_execz .LBB64_41
; %bb.40:
	ds_read2_b64 v[150:153], v144 offset0:4 offset1:5
	v_mul_f64 v[142:143], v[134:135], v[86:87]
	v_mul_f64 v[86:87], v[132:133], v[86:87]
	v_fmac_f64_e32 v[86:87], v[134:135], v[84:85]
	v_fma_f64 v[142:143], v[132:133], v[84:85], -v[142:143]
	ds_read2_b64 v[132:135], v144 offset0:6 offset1:7
	s_waitcnt lgkmcnt(1)
	v_mul_f64 v[84:85], v[152:153], v[86:87]
	v_fma_f64 v[84:85], v[150:151], v[142:143], -v[84:85]
	v_mul_f64 v[150:151], v[150:151], v[86:87]
	v_fmac_f64_e32 v[150:151], v[152:153], v[142:143]
	s_waitcnt vmcnt(30)
	v_add_f64 v[126:127], v[126:127], -v[150:151]
	ds_read2_b64 v[150:153], v144 offset0:8 offset1:9
	v_add_f64 v[124:125], v[124:125], -v[84:85]
	s_waitcnt lgkmcnt(1)
	v_mul_f64 v[84:85], v[134:135], v[86:87]
	v_fma_f64 v[84:85], v[132:133], v[142:143], -v[84:85]
	v_mul_f64 v[132:133], v[132:133], v[86:87]
	v_fmac_f64_e32 v[132:133], v[134:135], v[142:143]
	s_waitcnt vmcnt(29)
	v_add_f64 v[120:121], v[120:121], -v[84:85]
	v_add_f64 v[122:123], v[122:123], -v[132:133]
	ds_read2_b64 v[132:135], v144 offset0:10 offset1:11
	s_waitcnt lgkmcnt(1)
	v_mul_f64 v[84:85], v[152:153], v[86:87]
	v_fma_f64 v[84:85], v[150:151], v[142:143], -v[84:85]
	v_mul_f64 v[150:151], v[150:151], v[86:87]
	v_fmac_f64_e32 v[150:151], v[152:153], v[142:143]
	s_waitcnt vmcnt(28)
	v_add_f64 v[118:119], v[118:119], -v[150:151]
	ds_read2_b64 v[150:153], v144 offset0:12 offset1:13
	v_add_f64 v[116:117], v[116:117], -v[84:85]
	s_waitcnt lgkmcnt(1)
	v_mul_f64 v[84:85], v[134:135], v[86:87]
	v_fma_f64 v[84:85], v[132:133], v[142:143], -v[84:85]
	v_mul_f64 v[132:133], v[132:133], v[86:87]
	v_fmac_f64_e32 v[132:133], v[134:135], v[142:143]
	s_waitcnt vmcnt(27)
	v_add_f64 v[112:113], v[112:113], -v[84:85]
	v_add_f64 v[114:115], v[114:115], -v[132:133]
	;; [unrolled: 18-line block ×15, first 2 shown]
	s_waitcnt lgkmcnt(0)
	v_mul_f64 v[84:85], v[152:153], v[86:87]
	v_mul_f64 v[132:133], v[150:151], v[86:87]
	v_fma_f64 v[84:85], v[150:151], v[142:143], -v[84:85]
	v_fmac_f64_e32 v[132:133], v[152:153], v[142:143]
	s_waitcnt vmcnt(0)
	v_add_f64 v[128:129], v[128:129], -v[84:85]
	v_add_f64 v[130:131], v[130:131], -v[132:133]
	v_mov_b64_e32 v[84:85], v[142:143]
.LBB64_41:
	s_or_b64 exec, exec, s[0:1]
	v_lshl_add_u32 v132, v145, 4, v144
	s_barrier
	s_waitcnt vmcnt(30)
	ds_write2_b64 v132, v[124:125], v[126:127] offset1:1
	s_waitcnt lgkmcnt(0)
	s_barrier
	ds_read2_b64 v[132:135], v144 offset0:4 offset1:5
	s_cmp_lt_i32 s20, 4
	v_mov_b32_e32 v142, 2
	s_cbranch_scc1 .LBB64_44
; %bb.42:
	v_add3_u32 v143, v148, 0, 48
	s_mov_b32 s16, 3
	v_mov_b32_e32 v142, 2
.LBB64_43:                              ; =>This Inner Loop Header: Depth=1
	ds_read2_b64 v[150:153], v143 offset1:1
	s_waitcnt lgkmcnt(1)
	v_xor_b32_e32 v149, 0x80000000, v133
	v_xor_b32_e32 v157, 0x80000000, v135
	v_cmp_gt_f64_e32 vcc, 0, v[134:135]
	v_cmp_gt_f64_e64 s[0:1], 0, v[132:133]
	v_mov_b32_e32 v154, v132
	v_mov_b32_e32 v156, v134
	v_cndmask_b32_e64 v155, v133, v149, s[0:1]
	v_cndmask_b32_e32 v157, v135, v157, vcc
	s_waitcnt lgkmcnt(0)
	v_xor_b32_e32 v149, 0x80000000, v151
	v_xor_b32_e32 v159, 0x80000000, v153
	v_cmp_gt_f64_e32 vcc, 0, v[152:153]
	v_cmp_gt_f64_e64 s[0:1], 0, v[150:151]
	v_add_f64 v[154:155], v[154:155], v[156:157]
	v_mov_b32_e32 v156, v150
	v_mov_b32_e32 v158, v152
	v_cndmask_b32_e64 v157, v151, v149, s[0:1]
	v_cndmask_b32_e32 v159, v153, v159, vcc
	v_add_f64 v[156:157], v[156:157], v[158:159]
	v_mov_b32_e32 v160, s16
	s_add_i32 s16, s16, 1
	v_cmp_lt_f64_e32 vcc, v[154:155], v[156:157]
	v_add_u32_e32 v143, 16, v143
	s_cmp_lg_u32 s20, s16
	v_cndmask_b32_e32 v133, v133, v151, vcc
	v_cndmask_b32_e32 v132, v132, v150, vcc
	;; [unrolled: 1-line block ×5, first 2 shown]
	s_cbranch_scc1 .LBB64_43
.LBB64_44:
	s_waitcnt lgkmcnt(0)
	v_cmp_eq_f64_e32 vcc, 0, v[132:133]
	v_cmp_eq_f64_e64 s[0:1], 0, v[134:135]
	s_and_b64 s[0:1], vcc, s[0:1]
	s_and_saveexec_b64 s[16:17], s[0:1]
	s_xor_b64 s[0:1], exec, s[16:17]
; %bb.45:
	v_cmp_ne_u32_e32 vcc, 0, v146
	s_nop 1
	v_cndmask_b32_e32 v146, 3, v146, vcc
; %bb.46:
	s_andn2_saveexec_b64 s[0:1], s[0:1]
	s_cbranch_execz .LBB64_52
; %bb.47:
	v_cmp_ngt_f64_e64 s[16:17], |v[132:133]|, |v[134:135]|
	s_and_saveexec_b64 s[18:19], s[16:17]
	s_xor_b64 s[16:17], exec, s[18:19]
	s_cbranch_execz .LBB64_49
; %bb.48:
	v_div_scale_f64 v[150:151], s[18:19], v[134:135], v[134:135], v[132:133]
	v_rcp_f64_e32 v[152:153], v[150:151]
	v_div_scale_f64 v[154:155], vcc, v[132:133], v[134:135], v[132:133]
	v_fma_f64 v[156:157], -v[150:151], v[152:153], 1.0
	v_fmac_f64_e32 v[152:153], v[152:153], v[156:157]
	v_fma_f64 v[156:157], -v[150:151], v[152:153], 1.0
	v_fmac_f64_e32 v[152:153], v[152:153], v[156:157]
	v_mul_f64 v[156:157], v[154:155], v[152:153]
	v_fma_f64 v[150:151], -v[150:151], v[156:157], v[154:155]
	v_div_fmas_f64 v[150:151], v[150:151], v[152:153], v[156:157]
	v_div_fixup_f64 v[150:151], v[150:151], v[134:135], v[132:133]
	v_fmac_f64_e32 v[134:135], v[132:133], v[150:151]
	v_div_scale_f64 v[132:133], s[18:19], v[134:135], v[134:135], 1.0
	v_rcp_f64_e32 v[152:153], v[132:133]
	s_nop 0
	v_fma_f64 v[154:155], -v[132:133], v[152:153], 1.0
	v_fmac_f64_e32 v[152:153], v[152:153], v[154:155]
	v_fma_f64 v[154:155], -v[132:133], v[152:153], 1.0
	v_fmac_f64_e32 v[152:153], v[152:153], v[154:155]
	v_div_scale_f64 v[154:155], vcc, 1.0, v[134:135], 1.0
	v_mul_f64 v[156:157], v[154:155], v[152:153]
	v_fma_f64 v[132:133], -v[132:133], v[156:157], v[154:155]
	s_nop 1
	v_div_fmas_f64 v[132:133], v[132:133], v[152:153], v[156:157]
	v_div_fixup_f64 v[134:135], v[132:133], v[134:135], 1.0
	v_mul_f64 v[132:133], v[150:151], v[134:135]
	v_xor_b32_e32 v135, 0x80000000, v135
.LBB64_49:
	s_andn2_saveexec_b64 s[16:17], s[16:17]
	s_cbranch_execz .LBB64_51
; %bb.50:
	v_div_scale_f64 v[150:151], s[18:19], v[132:133], v[132:133], v[134:135]
	v_rcp_f64_e32 v[152:153], v[150:151]
	v_div_scale_f64 v[154:155], vcc, v[134:135], v[132:133], v[134:135]
	v_fma_f64 v[156:157], -v[150:151], v[152:153], 1.0
	v_fmac_f64_e32 v[152:153], v[152:153], v[156:157]
	v_fma_f64 v[156:157], -v[150:151], v[152:153], 1.0
	v_fmac_f64_e32 v[152:153], v[152:153], v[156:157]
	v_mul_f64 v[156:157], v[154:155], v[152:153]
	v_fma_f64 v[150:151], -v[150:151], v[156:157], v[154:155]
	v_div_fmas_f64 v[150:151], v[150:151], v[152:153], v[156:157]
	v_div_fixup_f64 v[150:151], v[150:151], v[132:133], v[134:135]
	v_fmac_f64_e32 v[132:133], v[134:135], v[150:151]
	v_div_scale_f64 v[134:135], s[18:19], v[132:133], v[132:133], 1.0
	v_rcp_f64_e32 v[152:153], v[134:135]
	s_nop 0
	v_fma_f64 v[154:155], -v[134:135], v[152:153], 1.0
	v_fmac_f64_e32 v[152:153], v[152:153], v[154:155]
	v_fma_f64 v[154:155], -v[134:135], v[152:153], 1.0
	v_fmac_f64_e32 v[152:153], v[152:153], v[154:155]
	v_div_scale_f64 v[154:155], vcc, 1.0, v[132:133], 1.0
	v_mul_f64 v[156:157], v[154:155], v[152:153]
	v_fma_f64 v[134:135], -v[134:135], v[156:157], v[154:155]
	s_nop 1
	v_div_fmas_f64 v[134:135], v[134:135], v[152:153], v[156:157]
	v_div_fixup_f64 v[132:133], v[134:135], v[132:133], 1.0
	v_mul_f64 v[134:135], v[150:151], -v[132:133]
.LBB64_51:
	s_or_b64 exec, exec, s[16:17]
.LBB64_52:
	s_or_b64 exec, exec, s[0:1]
	v_cmp_ne_u32_e32 vcc, v145, v142
	s_and_saveexec_b64 s[0:1], vcc
	s_xor_b64 s[0:1], exec, s[0:1]
	s_cbranch_execz .LBB64_58
; %bb.53:
	v_cmp_eq_u32_e32 vcc, 2, v145
	s_and_saveexec_b64 s[16:17], vcc
	s_cbranch_execz .LBB64_57
; %bb.54:
	v_cmp_ne_u32_e32 vcc, 2, v142
	s_xor_b64 s[18:19], s[14:15], -1
	s_and_b64 s[22:23], s[18:19], vcc
	s_and_saveexec_b64 s[18:19], s[22:23]
	s_cbranch_execz .LBB64_56
; %bb.55:
	v_ashrrev_i32_e32 v143, 31, v142
	v_lshl_add_u64 v[150:151], v[142:143], 2, v[140:141]
	global_load_dword v143, v[150:151], off
	global_load_dword v145, v[140:141], off offset:8
	s_waitcnt vmcnt(1)
	global_store_dword v[140:141], v143, off offset:8
	s_waitcnt vmcnt(1)
	global_store_dword v[150:151], v145, off
.LBB64_56:
	s_or_b64 exec, exec, s[18:19]
	v_mov_b32_e32 v145, v142
	v_mov_b32_e32 v147, v142
.LBB64_57:
	s_or_b64 exec, exec, s[16:17]
.LBB64_58:
	s_andn2_saveexec_b64 s[0:1], s[0:1]
	s_cbranch_execz .LBB64_60
; %bb.59:
	v_mov_b32_e32 v145, 2
	s_waitcnt vmcnt(29)
	ds_write2_b64 v144, v[120:121], v[122:123] offset0:6 offset1:7
	s_waitcnt vmcnt(28)
	ds_write2_b64 v144, v[116:117], v[118:119] offset0:8 offset1:9
	;; [unrolled: 2-line block ×30, first 2 shown]
.LBB64_60:
	s_or_b64 exec, exec, s[0:1]
	v_cmp_lt_i32_e32 vcc, 2, v145
	s_waitcnt lgkmcnt(0)
	s_barrier
	s_and_saveexec_b64 s[0:1], vcc
	s_cbranch_execz .LBB64_62
; %bb.61:
	ds_read2_b64 v[150:153], v144 offset0:6 offset1:7
	v_mul_f64 v[142:143], v[134:135], v[126:127]
	v_mul_f64 v[126:127], v[132:133], v[126:127]
	v_fma_f64 v[142:143], v[132:133], v[124:125], -v[142:143]
	v_fmac_f64_e32 v[126:127], v[134:135], v[124:125]
	ds_read2_b64 v[132:135], v144 offset0:8 offset1:9
	s_waitcnt lgkmcnt(1)
	v_mul_f64 v[124:125], v[152:153], v[126:127]
	v_fma_f64 v[124:125], v[150:151], v[142:143], -v[124:125]
	v_mul_f64 v[150:151], v[150:151], v[126:127]
	v_fmac_f64_e32 v[150:151], v[152:153], v[142:143]
	s_waitcnt vmcnt(29)
	v_add_f64 v[120:121], v[120:121], -v[124:125]
	s_waitcnt lgkmcnt(0)
	v_mul_f64 v[124:125], v[134:135], v[126:127]
	v_add_f64 v[122:123], v[122:123], -v[150:151]
	v_fma_f64 v[124:125], v[132:133], v[142:143], -v[124:125]
	v_mul_f64 v[132:133], v[132:133], v[126:127]
	ds_read2_b64 v[150:153], v144 offset0:10 offset1:11
	v_fmac_f64_e32 v[132:133], v[134:135], v[142:143]
	s_waitcnt vmcnt(28)
	v_add_f64 v[118:119], v[118:119], -v[132:133]
	ds_read2_b64 v[132:135], v144 offset0:12 offset1:13
	v_add_f64 v[116:117], v[116:117], -v[124:125]
	s_waitcnt lgkmcnt(1)
	v_mul_f64 v[124:125], v[152:153], v[126:127]
	v_fma_f64 v[124:125], v[150:151], v[142:143], -v[124:125]
	v_mul_f64 v[150:151], v[150:151], v[126:127]
	v_fmac_f64_e32 v[150:151], v[152:153], v[142:143]
	s_waitcnt vmcnt(27)
	v_add_f64 v[112:113], v[112:113], -v[124:125]
	s_waitcnt lgkmcnt(0)
	v_mul_f64 v[124:125], v[134:135], v[126:127]
	v_add_f64 v[114:115], v[114:115], -v[150:151]
	v_fma_f64 v[124:125], v[132:133], v[142:143], -v[124:125]
	v_mul_f64 v[132:133], v[132:133], v[126:127]
	ds_read2_b64 v[150:153], v144 offset0:14 offset1:15
	v_fmac_f64_e32 v[132:133], v[134:135], v[142:143]
	s_waitcnt vmcnt(26)
	v_add_f64 v[110:111], v[110:111], -v[132:133]
	ds_read2_b64 v[132:135], v144 offset0:16 offset1:17
	v_add_f64 v[108:109], v[108:109], -v[124:125]
	;; [unrolled: 18-line block ×14, first 2 shown]
	s_waitcnt lgkmcnt(1)
	v_mul_f64 v[124:125], v[152:153], v[126:127]
	v_fma_f64 v[124:125], v[150:151], v[142:143], -v[124:125]
	s_waitcnt vmcnt(1)
	v_add_f64 v[0:1], v[0:1], -v[124:125]
	s_waitcnt lgkmcnt(0)
	v_mul_f64 v[124:125], v[134:135], v[126:127]
	v_mul_f64 v[150:151], v[150:151], v[126:127]
	v_fma_f64 v[124:125], v[132:133], v[142:143], -v[124:125]
	v_mul_f64 v[132:133], v[132:133], v[126:127]
	v_fmac_f64_e32 v[150:151], v[152:153], v[142:143]
	v_fmac_f64_e32 v[132:133], v[134:135], v[142:143]
	v_add_f64 v[2:3], v[2:3], -v[150:151]
	s_waitcnt vmcnt(0)
	v_add_f64 v[128:129], v[128:129], -v[124:125]
	v_add_f64 v[130:131], v[130:131], -v[132:133]
	v_mov_b64_e32 v[124:125], v[142:143]
.LBB64_62:
	s_or_b64 exec, exec, s[0:1]
	v_lshl_add_u32 v132, v145, 4, v144
	s_barrier
	s_waitcnt vmcnt(29)
	ds_write2_b64 v132, v[120:121], v[122:123] offset1:1
	s_waitcnt lgkmcnt(0)
	s_barrier
	ds_read2_b64 v[132:135], v144 offset0:6 offset1:7
	s_mov_b32 s16, 4
	s_cmp_lt_i32 s20, 5
	v_mov_b32_e32 v142, 3
	s_cbranch_scc1 .LBB64_65
; %bb.63:
	v_add3_u32 v143, v148, 0, 64
	v_mov_b32_e32 v142, 3
.LBB64_64:                              ; =>This Inner Loop Header: Depth=1
	ds_read2_b64 v[148:151], v143 offset1:1
	s_waitcnt lgkmcnt(1)
	v_xor_b32_e32 v153, 0x80000000, v133
	v_xor_b32_e32 v155, 0x80000000, v135
	v_cmp_gt_f64_e32 vcc, 0, v[134:135]
	v_cmp_gt_f64_e64 s[0:1], 0, v[132:133]
	v_mov_b32_e32 v152, v132
	v_mov_b32_e32 v154, v134
	v_cndmask_b32_e64 v153, v133, v153, s[0:1]
	v_cndmask_b32_e32 v155, v135, v155, vcc
	v_add_f64 v[152:153], v[152:153], v[154:155]
	s_waitcnt lgkmcnt(0)
	v_xor_b32_e32 v155, 0x80000000, v149
	v_xor_b32_e32 v157, 0x80000000, v151
	v_cmp_gt_f64_e32 vcc, 0, v[150:151]
	v_cmp_gt_f64_e64 s[0:1], 0, v[148:149]
	v_mov_b32_e32 v154, v148
	v_mov_b32_e32 v156, v150
	v_cndmask_b32_e64 v155, v149, v155, s[0:1]
	v_cndmask_b32_e32 v157, v151, v157, vcc
	v_add_f64 v[154:155], v[154:155], v[156:157]
	v_mov_b32_e32 v158, s16
	s_add_i32 s16, s16, 1
	v_cmp_lt_f64_e32 vcc, v[152:153], v[154:155]
	v_add_u32_e32 v143, 16, v143
	s_cmp_lg_u32 s20, s16
	v_cndmask_b32_e32 v133, v133, v149, vcc
	v_cndmask_b32_e32 v132, v132, v148, vcc
	;; [unrolled: 1-line block ×5, first 2 shown]
	s_cbranch_scc1 .LBB64_64
.LBB64_65:
	s_waitcnt lgkmcnt(0)
	v_cmp_eq_f64_e32 vcc, 0, v[132:133]
	v_cmp_eq_f64_e64 s[0:1], 0, v[134:135]
	s_and_b64 s[0:1], vcc, s[0:1]
	s_and_saveexec_b64 s[16:17], s[0:1]
	s_xor_b64 s[0:1], exec, s[16:17]
; %bb.66:
	v_cmp_ne_u32_e32 vcc, 0, v146
	s_nop 1
	v_cndmask_b32_e32 v146, 4, v146, vcc
; %bb.67:
	s_andn2_saveexec_b64 s[0:1], s[0:1]
	s_cbranch_execz .LBB64_73
; %bb.68:
	v_cmp_ngt_f64_e64 s[16:17], |v[132:133]|, |v[134:135]|
	s_and_saveexec_b64 s[18:19], s[16:17]
	s_xor_b64 s[16:17], exec, s[18:19]
	s_cbranch_execz .LBB64_70
; %bb.69:
	v_div_scale_f64 v[148:149], s[18:19], v[134:135], v[134:135], v[132:133]
	v_rcp_f64_e32 v[150:151], v[148:149]
	v_div_scale_f64 v[152:153], vcc, v[132:133], v[134:135], v[132:133]
	v_fma_f64 v[154:155], -v[148:149], v[150:151], 1.0
	v_fmac_f64_e32 v[150:151], v[150:151], v[154:155]
	v_fma_f64 v[154:155], -v[148:149], v[150:151], 1.0
	v_fmac_f64_e32 v[150:151], v[150:151], v[154:155]
	v_mul_f64 v[154:155], v[152:153], v[150:151]
	v_fma_f64 v[148:149], -v[148:149], v[154:155], v[152:153]
	v_div_fmas_f64 v[148:149], v[148:149], v[150:151], v[154:155]
	v_div_fixup_f64 v[148:149], v[148:149], v[134:135], v[132:133]
	v_fmac_f64_e32 v[134:135], v[132:133], v[148:149]
	v_div_scale_f64 v[132:133], s[18:19], v[134:135], v[134:135], 1.0
	v_rcp_f64_e32 v[150:151], v[132:133]
	s_nop 0
	v_fma_f64 v[152:153], -v[132:133], v[150:151], 1.0
	v_fmac_f64_e32 v[150:151], v[150:151], v[152:153]
	v_fma_f64 v[152:153], -v[132:133], v[150:151], 1.0
	v_fmac_f64_e32 v[150:151], v[150:151], v[152:153]
	v_div_scale_f64 v[152:153], vcc, 1.0, v[134:135], 1.0
	v_mul_f64 v[154:155], v[152:153], v[150:151]
	v_fma_f64 v[132:133], -v[132:133], v[154:155], v[152:153]
	s_nop 1
	v_div_fmas_f64 v[132:133], v[132:133], v[150:151], v[154:155]
	v_div_fixup_f64 v[134:135], v[132:133], v[134:135], 1.0
	v_mul_f64 v[132:133], v[148:149], v[134:135]
	v_xor_b32_e32 v135, 0x80000000, v135
.LBB64_70:
	s_andn2_saveexec_b64 s[16:17], s[16:17]
	s_cbranch_execz .LBB64_72
; %bb.71:
	v_div_scale_f64 v[148:149], s[18:19], v[132:133], v[132:133], v[134:135]
	v_rcp_f64_e32 v[150:151], v[148:149]
	v_div_scale_f64 v[152:153], vcc, v[134:135], v[132:133], v[134:135]
	v_fma_f64 v[154:155], -v[148:149], v[150:151], 1.0
	v_fmac_f64_e32 v[150:151], v[150:151], v[154:155]
	v_fma_f64 v[154:155], -v[148:149], v[150:151], 1.0
	v_fmac_f64_e32 v[150:151], v[150:151], v[154:155]
	v_mul_f64 v[154:155], v[152:153], v[150:151]
	v_fma_f64 v[148:149], -v[148:149], v[154:155], v[152:153]
	v_div_fmas_f64 v[148:149], v[148:149], v[150:151], v[154:155]
	v_div_fixup_f64 v[148:149], v[148:149], v[132:133], v[134:135]
	v_fmac_f64_e32 v[132:133], v[134:135], v[148:149]
	v_div_scale_f64 v[134:135], s[18:19], v[132:133], v[132:133], 1.0
	v_rcp_f64_e32 v[150:151], v[134:135]
	s_nop 0
	v_fma_f64 v[152:153], -v[134:135], v[150:151], 1.0
	v_fmac_f64_e32 v[150:151], v[150:151], v[152:153]
	v_fma_f64 v[152:153], -v[134:135], v[150:151], 1.0
	v_fmac_f64_e32 v[150:151], v[150:151], v[152:153]
	v_div_scale_f64 v[152:153], vcc, 1.0, v[132:133], 1.0
	v_mul_f64 v[154:155], v[152:153], v[150:151]
	v_fma_f64 v[134:135], -v[134:135], v[154:155], v[152:153]
	s_nop 1
	v_div_fmas_f64 v[134:135], v[134:135], v[150:151], v[154:155]
	v_div_fixup_f64 v[132:133], v[134:135], v[132:133], 1.0
	v_mul_f64 v[134:135], v[148:149], -v[132:133]
.LBB64_72:
	s_or_b64 exec, exec, s[16:17]
.LBB64_73:
	s_or_b64 exec, exec, s[0:1]
	v_cmp_ne_u32_e32 vcc, v145, v142
	s_and_saveexec_b64 s[0:1], vcc
	s_xor_b64 s[0:1], exec, s[0:1]
	s_cbranch_execz .LBB64_79
; %bb.74:
	v_cmp_eq_u32_e32 vcc, 3, v145
	s_and_saveexec_b64 s[16:17], vcc
	s_cbranch_execz .LBB64_78
; %bb.75:
	v_cmp_ne_u32_e32 vcc, 3, v142
	s_xor_b64 s[18:19], s[14:15], -1
	s_and_b64 s[22:23], s[18:19], vcc
	s_and_saveexec_b64 s[18:19], s[22:23]
	s_cbranch_execz .LBB64_77
; %bb.76:
	v_ashrrev_i32_e32 v143, 31, v142
	v_lshl_add_u64 v[148:149], v[142:143], 2, v[140:141]
	global_load_dword v143, v[148:149], off
	global_load_dword v145, v[140:141], off offset:12
	s_waitcnt vmcnt(1)
	global_store_dword v[140:141], v143, off offset:12
	s_waitcnt vmcnt(1)
	global_store_dword v[148:149], v145, off
.LBB64_77:
	s_or_b64 exec, exec, s[18:19]
	v_mov_b32_e32 v145, v142
	v_mov_b32_e32 v147, v142
.LBB64_78:
	s_or_b64 exec, exec, s[16:17]
.LBB64_79:
	s_andn2_saveexec_b64 s[0:1], s[0:1]
	s_cbranch_execz .LBB64_81
; %bb.80:
	v_mov_b32_e32 v145, 3
	s_waitcnt vmcnt(28)
	ds_write2_b64 v144, v[116:117], v[118:119] offset0:8 offset1:9
	s_waitcnt vmcnt(27)
	ds_write2_b64 v144, v[112:113], v[114:115] offset0:10 offset1:11
	;; [unrolled: 2-line block ×29, first 2 shown]
.LBB64_81:
	s_or_b64 exec, exec, s[0:1]
	v_cmp_lt_i32_e32 vcc, 3, v145
	s_waitcnt lgkmcnt(0)
	s_barrier
	s_and_saveexec_b64 s[0:1], vcc
	s_cbranch_execz .LBB64_83
; %bb.82:
	ds_read2_b64 v[148:151], v144 offset0:8 offset1:9
	v_mul_f64 v[142:143], v[134:135], v[122:123]
	v_mul_f64 v[122:123], v[132:133], v[122:123]
	v_fmac_f64_e32 v[122:123], v[134:135], v[120:121]
	v_fma_f64 v[142:143], v[132:133], v[120:121], -v[142:143]
	ds_read2_b64 v[132:135], v144 offset0:10 offset1:11
	s_waitcnt lgkmcnt(1)
	v_mul_f64 v[120:121], v[150:151], v[122:123]
	v_fma_f64 v[120:121], v[148:149], v[142:143], -v[120:121]
	v_mul_f64 v[148:149], v[148:149], v[122:123]
	v_fmac_f64_e32 v[148:149], v[150:151], v[142:143]
	s_waitcnt vmcnt(28)
	v_add_f64 v[118:119], v[118:119], -v[148:149]
	ds_read2_b64 v[148:151], v144 offset0:12 offset1:13
	v_add_f64 v[116:117], v[116:117], -v[120:121]
	s_waitcnt lgkmcnt(1)
	v_mul_f64 v[120:121], v[134:135], v[122:123]
	v_fma_f64 v[120:121], v[132:133], v[142:143], -v[120:121]
	v_mul_f64 v[132:133], v[132:133], v[122:123]
	v_fmac_f64_e32 v[132:133], v[134:135], v[142:143]
	s_waitcnt vmcnt(27)
	v_add_f64 v[112:113], v[112:113], -v[120:121]
	v_add_f64 v[114:115], v[114:115], -v[132:133]
	ds_read2_b64 v[132:135], v144 offset0:14 offset1:15
	s_waitcnt lgkmcnt(1)
	v_mul_f64 v[120:121], v[150:151], v[122:123]
	v_fma_f64 v[120:121], v[148:149], v[142:143], -v[120:121]
	v_mul_f64 v[148:149], v[148:149], v[122:123]
	v_fmac_f64_e32 v[148:149], v[150:151], v[142:143]
	s_waitcnt vmcnt(26)
	v_add_f64 v[110:111], v[110:111], -v[148:149]
	ds_read2_b64 v[148:151], v144 offset0:16 offset1:17
	v_add_f64 v[108:109], v[108:109], -v[120:121]
	s_waitcnt lgkmcnt(1)
	v_mul_f64 v[120:121], v[134:135], v[122:123]
	v_fma_f64 v[120:121], v[132:133], v[142:143], -v[120:121]
	v_mul_f64 v[132:133], v[132:133], v[122:123]
	v_fmac_f64_e32 v[132:133], v[134:135], v[142:143]
	s_waitcnt vmcnt(25)
	v_add_f64 v[104:105], v[104:105], -v[120:121]
	v_add_f64 v[106:107], v[106:107], -v[132:133]
	;; [unrolled: 18-line block ×14, first 2 shown]
	s_waitcnt lgkmcnt(0)
	v_mul_f64 v[120:121], v[150:151], v[122:123]
	v_mul_f64 v[132:133], v[148:149], v[122:123]
	v_fma_f64 v[120:121], v[148:149], v[142:143], -v[120:121]
	v_fmac_f64_e32 v[132:133], v[150:151], v[142:143]
	s_waitcnt vmcnt(0)
	v_add_f64 v[128:129], v[128:129], -v[120:121]
	v_add_f64 v[130:131], v[130:131], -v[132:133]
	v_mov_b64_e32 v[120:121], v[142:143]
.LBB64_83:
	s_or_b64 exec, exec, s[0:1]
	v_lshl_add_u32 v132, v145, 4, v144
	s_barrier
	s_waitcnt vmcnt(28)
	ds_write2_b64 v132, v[116:117], v[118:119] offset1:1
	s_waitcnt lgkmcnt(0)
	s_barrier
	ds_read2_b64 v[132:135], v144 offset0:8 offset1:9
	s_cmp_lt_i32 s20, 6
	v_mov_b32_e32 v142, 4
	s_cbranch_scc1 .LBB64_86
; %bb.84:
	v_mov_b32_e32 v142, 4
	v_add_u32_e32 v143, 0x50, v144
	s_mov_b32 s16, 5
.LBB64_85:                              ; =>This Inner Loop Header: Depth=1
	ds_read2_b64 v[148:151], v143 offset1:1
	s_waitcnt lgkmcnt(1)
	v_xor_b32_e32 v153, 0x80000000, v133
	v_xor_b32_e32 v155, 0x80000000, v135
	v_cmp_gt_f64_e32 vcc, 0, v[134:135]
	v_cmp_gt_f64_e64 s[0:1], 0, v[132:133]
	v_mov_b32_e32 v152, v132
	v_mov_b32_e32 v154, v134
	v_cndmask_b32_e64 v153, v133, v153, s[0:1]
	v_cndmask_b32_e32 v155, v135, v155, vcc
	v_add_f64 v[152:153], v[152:153], v[154:155]
	s_waitcnt lgkmcnt(0)
	v_xor_b32_e32 v155, 0x80000000, v149
	v_xor_b32_e32 v157, 0x80000000, v151
	v_cmp_gt_f64_e32 vcc, 0, v[150:151]
	v_cmp_gt_f64_e64 s[0:1], 0, v[148:149]
	v_mov_b32_e32 v154, v148
	v_mov_b32_e32 v156, v150
	v_cndmask_b32_e64 v155, v149, v155, s[0:1]
	v_cndmask_b32_e32 v157, v151, v157, vcc
	v_add_f64 v[154:155], v[154:155], v[156:157]
	v_mov_b32_e32 v158, s16
	s_add_i32 s16, s16, 1
	v_cmp_lt_f64_e32 vcc, v[152:153], v[154:155]
	v_add_u32_e32 v143, 16, v143
	s_cmp_lg_u32 s20, s16
	v_cndmask_b32_e32 v133, v133, v149, vcc
	v_cndmask_b32_e32 v132, v132, v148, vcc
	;; [unrolled: 1-line block ×5, first 2 shown]
	s_cbranch_scc1 .LBB64_85
.LBB64_86:
	s_waitcnt lgkmcnt(0)
	v_cmp_eq_f64_e32 vcc, 0, v[132:133]
	v_cmp_eq_f64_e64 s[0:1], 0, v[134:135]
	s_and_b64 s[0:1], vcc, s[0:1]
	s_and_saveexec_b64 s[16:17], s[0:1]
	s_xor_b64 s[0:1], exec, s[16:17]
; %bb.87:
	v_cmp_ne_u32_e32 vcc, 0, v146
	s_nop 1
	v_cndmask_b32_e32 v146, 5, v146, vcc
; %bb.88:
	s_andn2_saveexec_b64 s[0:1], s[0:1]
	s_cbranch_execz .LBB64_94
; %bb.89:
	v_cmp_ngt_f64_e64 s[16:17], |v[132:133]|, |v[134:135]|
	s_and_saveexec_b64 s[18:19], s[16:17]
	s_xor_b64 s[16:17], exec, s[18:19]
	s_cbranch_execz .LBB64_91
; %bb.90:
	v_div_scale_f64 v[148:149], s[18:19], v[134:135], v[134:135], v[132:133]
	v_rcp_f64_e32 v[150:151], v[148:149]
	v_div_scale_f64 v[152:153], vcc, v[132:133], v[134:135], v[132:133]
	v_fma_f64 v[154:155], -v[148:149], v[150:151], 1.0
	v_fmac_f64_e32 v[150:151], v[150:151], v[154:155]
	v_fma_f64 v[154:155], -v[148:149], v[150:151], 1.0
	v_fmac_f64_e32 v[150:151], v[150:151], v[154:155]
	v_mul_f64 v[154:155], v[152:153], v[150:151]
	v_fma_f64 v[148:149], -v[148:149], v[154:155], v[152:153]
	v_div_fmas_f64 v[148:149], v[148:149], v[150:151], v[154:155]
	v_div_fixup_f64 v[148:149], v[148:149], v[134:135], v[132:133]
	v_fmac_f64_e32 v[134:135], v[132:133], v[148:149]
	v_div_scale_f64 v[132:133], s[18:19], v[134:135], v[134:135], 1.0
	v_rcp_f64_e32 v[150:151], v[132:133]
	s_nop 0
	v_fma_f64 v[152:153], -v[132:133], v[150:151], 1.0
	v_fmac_f64_e32 v[150:151], v[150:151], v[152:153]
	v_fma_f64 v[152:153], -v[132:133], v[150:151], 1.0
	v_fmac_f64_e32 v[150:151], v[150:151], v[152:153]
	v_div_scale_f64 v[152:153], vcc, 1.0, v[134:135], 1.0
	v_mul_f64 v[154:155], v[152:153], v[150:151]
	v_fma_f64 v[132:133], -v[132:133], v[154:155], v[152:153]
	s_nop 1
	v_div_fmas_f64 v[132:133], v[132:133], v[150:151], v[154:155]
	v_div_fixup_f64 v[134:135], v[132:133], v[134:135], 1.0
	v_mul_f64 v[132:133], v[148:149], v[134:135]
	v_xor_b32_e32 v135, 0x80000000, v135
.LBB64_91:
	s_andn2_saveexec_b64 s[16:17], s[16:17]
	s_cbranch_execz .LBB64_93
; %bb.92:
	v_div_scale_f64 v[148:149], s[18:19], v[132:133], v[132:133], v[134:135]
	v_rcp_f64_e32 v[150:151], v[148:149]
	v_div_scale_f64 v[152:153], vcc, v[134:135], v[132:133], v[134:135]
	v_fma_f64 v[154:155], -v[148:149], v[150:151], 1.0
	v_fmac_f64_e32 v[150:151], v[150:151], v[154:155]
	v_fma_f64 v[154:155], -v[148:149], v[150:151], 1.0
	v_fmac_f64_e32 v[150:151], v[150:151], v[154:155]
	v_mul_f64 v[154:155], v[152:153], v[150:151]
	v_fma_f64 v[148:149], -v[148:149], v[154:155], v[152:153]
	v_div_fmas_f64 v[148:149], v[148:149], v[150:151], v[154:155]
	v_div_fixup_f64 v[148:149], v[148:149], v[132:133], v[134:135]
	v_fmac_f64_e32 v[132:133], v[134:135], v[148:149]
	v_div_scale_f64 v[134:135], s[18:19], v[132:133], v[132:133], 1.0
	v_rcp_f64_e32 v[150:151], v[134:135]
	s_nop 0
	v_fma_f64 v[152:153], -v[134:135], v[150:151], 1.0
	v_fmac_f64_e32 v[150:151], v[150:151], v[152:153]
	v_fma_f64 v[152:153], -v[134:135], v[150:151], 1.0
	v_fmac_f64_e32 v[150:151], v[150:151], v[152:153]
	v_div_scale_f64 v[152:153], vcc, 1.0, v[132:133], 1.0
	v_mul_f64 v[154:155], v[152:153], v[150:151]
	v_fma_f64 v[134:135], -v[134:135], v[154:155], v[152:153]
	s_nop 1
	v_div_fmas_f64 v[134:135], v[134:135], v[150:151], v[154:155]
	v_div_fixup_f64 v[132:133], v[134:135], v[132:133], 1.0
	v_mul_f64 v[134:135], v[148:149], -v[132:133]
.LBB64_93:
	s_or_b64 exec, exec, s[16:17]
.LBB64_94:
	s_or_b64 exec, exec, s[0:1]
	v_cmp_ne_u32_e32 vcc, v145, v142
	s_and_saveexec_b64 s[0:1], vcc
	s_xor_b64 s[0:1], exec, s[0:1]
	s_cbranch_execz .LBB64_100
; %bb.95:
	v_cmp_eq_u32_e32 vcc, 4, v145
	s_and_saveexec_b64 s[16:17], vcc
	s_cbranch_execz .LBB64_99
; %bb.96:
	v_cmp_ne_u32_e32 vcc, 4, v142
	s_xor_b64 s[18:19], s[14:15], -1
	s_and_b64 s[22:23], s[18:19], vcc
	s_and_saveexec_b64 s[18:19], s[22:23]
	s_cbranch_execz .LBB64_98
; %bb.97:
	v_ashrrev_i32_e32 v143, 31, v142
	v_lshl_add_u64 v[148:149], v[142:143], 2, v[140:141]
	global_load_dword v143, v[148:149], off
	global_load_dword v145, v[140:141], off offset:16
	s_waitcnt vmcnt(1)
	global_store_dword v[140:141], v143, off offset:16
	s_waitcnt vmcnt(1)
	global_store_dword v[148:149], v145, off
.LBB64_98:
	s_or_b64 exec, exec, s[18:19]
	v_mov_b32_e32 v145, v142
	v_mov_b32_e32 v147, v142
.LBB64_99:
	s_or_b64 exec, exec, s[16:17]
.LBB64_100:
	s_andn2_saveexec_b64 s[0:1], s[0:1]
	s_cbranch_execz .LBB64_102
; %bb.101:
	v_mov_b32_e32 v145, 4
	s_waitcnt vmcnt(27)
	ds_write2_b64 v144, v[112:113], v[114:115] offset0:10 offset1:11
	s_waitcnt vmcnt(26)
	ds_write2_b64 v144, v[108:109], v[110:111] offset0:12 offset1:13
	;; [unrolled: 2-line block ×28, first 2 shown]
.LBB64_102:
	s_or_b64 exec, exec, s[0:1]
	v_cmp_lt_i32_e32 vcc, 4, v145
	s_waitcnt lgkmcnt(0)
	s_barrier
	s_and_saveexec_b64 s[0:1], vcc
	s_cbranch_execz .LBB64_104
; %bb.103:
	ds_read2_b64 v[148:151], v144 offset0:10 offset1:11
	v_mul_f64 v[142:143], v[134:135], v[118:119]
	v_mul_f64 v[118:119], v[132:133], v[118:119]
	v_fma_f64 v[142:143], v[132:133], v[116:117], -v[142:143]
	v_fmac_f64_e32 v[118:119], v[134:135], v[116:117]
	ds_read2_b64 v[132:135], v144 offset0:12 offset1:13
	s_waitcnt lgkmcnt(1)
	v_mul_f64 v[116:117], v[150:151], v[118:119]
	v_fma_f64 v[116:117], v[148:149], v[142:143], -v[116:117]
	v_mul_f64 v[148:149], v[148:149], v[118:119]
	v_fmac_f64_e32 v[148:149], v[150:151], v[142:143]
	s_waitcnt vmcnt(27)
	v_add_f64 v[112:113], v[112:113], -v[116:117]
	s_waitcnt lgkmcnt(0)
	v_mul_f64 v[116:117], v[134:135], v[118:119]
	v_add_f64 v[114:115], v[114:115], -v[148:149]
	v_fma_f64 v[116:117], v[132:133], v[142:143], -v[116:117]
	v_mul_f64 v[132:133], v[132:133], v[118:119]
	ds_read2_b64 v[148:151], v144 offset0:14 offset1:15
	v_fmac_f64_e32 v[132:133], v[134:135], v[142:143]
	s_waitcnt vmcnt(26)
	v_add_f64 v[110:111], v[110:111], -v[132:133]
	ds_read2_b64 v[132:135], v144 offset0:16 offset1:17
	v_add_f64 v[108:109], v[108:109], -v[116:117]
	s_waitcnt lgkmcnt(1)
	v_mul_f64 v[116:117], v[150:151], v[118:119]
	v_fma_f64 v[116:117], v[148:149], v[142:143], -v[116:117]
	v_mul_f64 v[148:149], v[148:149], v[118:119]
	v_fmac_f64_e32 v[148:149], v[150:151], v[142:143]
	s_waitcnt vmcnt(25)
	v_add_f64 v[104:105], v[104:105], -v[116:117]
	s_waitcnt lgkmcnt(0)
	v_mul_f64 v[116:117], v[134:135], v[118:119]
	v_add_f64 v[106:107], v[106:107], -v[148:149]
	v_fma_f64 v[116:117], v[132:133], v[142:143], -v[116:117]
	v_mul_f64 v[132:133], v[132:133], v[118:119]
	ds_read2_b64 v[148:151], v144 offset0:18 offset1:19
	v_fmac_f64_e32 v[132:133], v[134:135], v[142:143]
	s_waitcnt vmcnt(24)
	v_add_f64 v[102:103], v[102:103], -v[132:133]
	ds_read2_b64 v[132:135], v144 offset0:20 offset1:21
	v_add_f64 v[100:101], v[100:101], -v[116:117]
	;; [unrolled: 18-line block ×13, first 2 shown]
	s_waitcnt lgkmcnt(1)
	v_mul_f64 v[116:117], v[150:151], v[118:119]
	v_fma_f64 v[116:117], v[148:149], v[142:143], -v[116:117]
	s_waitcnt vmcnt(1)
	v_add_f64 v[0:1], v[0:1], -v[116:117]
	s_waitcnt lgkmcnt(0)
	v_mul_f64 v[116:117], v[134:135], v[118:119]
	v_mul_f64 v[148:149], v[148:149], v[118:119]
	v_fma_f64 v[116:117], v[132:133], v[142:143], -v[116:117]
	v_mul_f64 v[132:133], v[132:133], v[118:119]
	v_fmac_f64_e32 v[148:149], v[150:151], v[142:143]
	v_fmac_f64_e32 v[132:133], v[134:135], v[142:143]
	v_add_f64 v[2:3], v[2:3], -v[148:149]
	s_waitcnt vmcnt(0)
	v_add_f64 v[128:129], v[128:129], -v[116:117]
	v_add_f64 v[130:131], v[130:131], -v[132:133]
	v_mov_b64_e32 v[116:117], v[142:143]
.LBB64_104:
	s_or_b64 exec, exec, s[0:1]
	v_lshl_add_u32 v132, v145, 4, v144
	s_barrier
	s_waitcnt vmcnt(27)
	ds_write2_b64 v132, v[112:113], v[114:115] offset1:1
	s_waitcnt lgkmcnt(0)
	s_barrier
	ds_read2_b64 v[132:135], v144 offset0:10 offset1:11
	s_cmp_lt_i32 s20, 7
	v_mov_b32_e32 v142, 5
	s_cbranch_scc1 .LBB64_107
; %bb.105:
	v_add_u32_e32 v143, 0x60, v144
	s_mov_b32 s16, 6
	v_mov_b32_e32 v142, 5
.LBB64_106:                             ; =>This Inner Loop Header: Depth=1
	ds_read2_b64 v[148:151], v143 offset1:1
	s_waitcnt lgkmcnt(1)
	v_xor_b32_e32 v153, 0x80000000, v133
	v_xor_b32_e32 v155, 0x80000000, v135
	v_cmp_gt_f64_e32 vcc, 0, v[134:135]
	v_cmp_gt_f64_e64 s[0:1], 0, v[132:133]
	v_mov_b32_e32 v152, v132
	v_mov_b32_e32 v154, v134
	v_cndmask_b32_e64 v153, v133, v153, s[0:1]
	v_cndmask_b32_e32 v155, v135, v155, vcc
	v_add_f64 v[152:153], v[152:153], v[154:155]
	s_waitcnt lgkmcnt(0)
	v_xor_b32_e32 v155, 0x80000000, v149
	v_xor_b32_e32 v157, 0x80000000, v151
	v_cmp_gt_f64_e32 vcc, 0, v[150:151]
	v_cmp_gt_f64_e64 s[0:1], 0, v[148:149]
	v_mov_b32_e32 v154, v148
	v_mov_b32_e32 v156, v150
	v_cndmask_b32_e64 v155, v149, v155, s[0:1]
	v_cndmask_b32_e32 v157, v151, v157, vcc
	v_add_f64 v[154:155], v[154:155], v[156:157]
	v_mov_b32_e32 v158, s16
	s_add_i32 s16, s16, 1
	v_cmp_lt_f64_e32 vcc, v[152:153], v[154:155]
	v_add_u32_e32 v143, 16, v143
	s_cmp_lg_u32 s20, s16
	v_cndmask_b32_e32 v133, v133, v149, vcc
	v_cndmask_b32_e32 v132, v132, v148, vcc
	;; [unrolled: 1-line block ×5, first 2 shown]
	s_cbranch_scc1 .LBB64_106
.LBB64_107:
	s_waitcnt lgkmcnt(0)
	v_cmp_eq_f64_e32 vcc, 0, v[132:133]
	v_cmp_eq_f64_e64 s[0:1], 0, v[134:135]
	s_and_b64 s[0:1], vcc, s[0:1]
	s_and_saveexec_b64 s[16:17], s[0:1]
	s_xor_b64 s[0:1], exec, s[16:17]
; %bb.108:
	v_cmp_ne_u32_e32 vcc, 0, v146
	s_nop 1
	v_cndmask_b32_e32 v146, 6, v146, vcc
; %bb.109:
	s_andn2_saveexec_b64 s[0:1], s[0:1]
	s_cbranch_execz .LBB64_115
; %bb.110:
	v_cmp_ngt_f64_e64 s[16:17], |v[132:133]|, |v[134:135]|
	s_and_saveexec_b64 s[18:19], s[16:17]
	s_xor_b64 s[16:17], exec, s[18:19]
	s_cbranch_execz .LBB64_112
; %bb.111:
	v_div_scale_f64 v[148:149], s[18:19], v[134:135], v[134:135], v[132:133]
	v_rcp_f64_e32 v[150:151], v[148:149]
	v_div_scale_f64 v[152:153], vcc, v[132:133], v[134:135], v[132:133]
	v_fma_f64 v[154:155], -v[148:149], v[150:151], 1.0
	v_fmac_f64_e32 v[150:151], v[150:151], v[154:155]
	v_fma_f64 v[154:155], -v[148:149], v[150:151], 1.0
	v_fmac_f64_e32 v[150:151], v[150:151], v[154:155]
	v_mul_f64 v[154:155], v[152:153], v[150:151]
	v_fma_f64 v[148:149], -v[148:149], v[154:155], v[152:153]
	v_div_fmas_f64 v[148:149], v[148:149], v[150:151], v[154:155]
	v_div_fixup_f64 v[148:149], v[148:149], v[134:135], v[132:133]
	v_fmac_f64_e32 v[134:135], v[132:133], v[148:149]
	v_div_scale_f64 v[132:133], s[18:19], v[134:135], v[134:135], 1.0
	v_rcp_f64_e32 v[150:151], v[132:133]
	s_nop 0
	v_fma_f64 v[152:153], -v[132:133], v[150:151], 1.0
	v_fmac_f64_e32 v[150:151], v[150:151], v[152:153]
	v_fma_f64 v[152:153], -v[132:133], v[150:151], 1.0
	v_fmac_f64_e32 v[150:151], v[150:151], v[152:153]
	v_div_scale_f64 v[152:153], vcc, 1.0, v[134:135], 1.0
	v_mul_f64 v[154:155], v[152:153], v[150:151]
	v_fma_f64 v[132:133], -v[132:133], v[154:155], v[152:153]
	s_nop 1
	v_div_fmas_f64 v[132:133], v[132:133], v[150:151], v[154:155]
	v_div_fixup_f64 v[134:135], v[132:133], v[134:135], 1.0
	v_mul_f64 v[132:133], v[148:149], v[134:135]
	v_xor_b32_e32 v135, 0x80000000, v135
.LBB64_112:
	s_andn2_saveexec_b64 s[16:17], s[16:17]
	s_cbranch_execz .LBB64_114
; %bb.113:
	v_div_scale_f64 v[148:149], s[18:19], v[132:133], v[132:133], v[134:135]
	v_rcp_f64_e32 v[150:151], v[148:149]
	v_div_scale_f64 v[152:153], vcc, v[134:135], v[132:133], v[134:135]
	v_fma_f64 v[154:155], -v[148:149], v[150:151], 1.0
	v_fmac_f64_e32 v[150:151], v[150:151], v[154:155]
	v_fma_f64 v[154:155], -v[148:149], v[150:151], 1.0
	v_fmac_f64_e32 v[150:151], v[150:151], v[154:155]
	v_mul_f64 v[154:155], v[152:153], v[150:151]
	v_fma_f64 v[148:149], -v[148:149], v[154:155], v[152:153]
	v_div_fmas_f64 v[148:149], v[148:149], v[150:151], v[154:155]
	v_div_fixup_f64 v[148:149], v[148:149], v[132:133], v[134:135]
	v_fmac_f64_e32 v[132:133], v[134:135], v[148:149]
	v_div_scale_f64 v[134:135], s[18:19], v[132:133], v[132:133], 1.0
	v_rcp_f64_e32 v[150:151], v[134:135]
	s_nop 0
	v_fma_f64 v[152:153], -v[134:135], v[150:151], 1.0
	v_fmac_f64_e32 v[150:151], v[150:151], v[152:153]
	v_fma_f64 v[152:153], -v[134:135], v[150:151], 1.0
	v_fmac_f64_e32 v[150:151], v[150:151], v[152:153]
	v_div_scale_f64 v[152:153], vcc, 1.0, v[132:133], 1.0
	v_mul_f64 v[154:155], v[152:153], v[150:151]
	v_fma_f64 v[134:135], -v[134:135], v[154:155], v[152:153]
	s_nop 1
	v_div_fmas_f64 v[134:135], v[134:135], v[150:151], v[154:155]
	v_div_fixup_f64 v[132:133], v[134:135], v[132:133], 1.0
	v_mul_f64 v[134:135], v[148:149], -v[132:133]
.LBB64_114:
	s_or_b64 exec, exec, s[16:17]
.LBB64_115:
	s_or_b64 exec, exec, s[0:1]
	v_cmp_ne_u32_e32 vcc, v145, v142
	s_and_saveexec_b64 s[0:1], vcc
	s_xor_b64 s[0:1], exec, s[0:1]
	s_cbranch_execz .LBB64_121
; %bb.116:
	v_cmp_eq_u32_e32 vcc, 5, v145
	s_and_saveexec_b64 s[16:17], vcc
	s_cbranch_execz .LBB64_120
; %bb.117:
	v_cmp_ne_u32_e32 vcc, 5, v142
	s_xor_b64 s[18:19], s[14:15], -1
	s_and_b64 s[22:23], s[18:19], vcc
	s_and_saveexec_b64 s[18:19], s[22:23]
	s_cbranch_execz .LBB64_119
; %bb.118:
	v_ashrrev_i32_e32 v143, 31, v142
	v_lshl_add_u64 v[148:149], v[142:143], 2, v[140:141]
	global_load_dword v143, v[148:149], off
	global_load_dword v145, v[140:141], off offset:20
	s_waitcnt vmcnt(1)
	global_store_dword v[140:141], v143, off offset:20
	s_waitcnt vmcnt(1)
	global_store_dword v[148:149], v145, off
.LBB64_119:
	s_or_b64 exec, exec, s[18:19]
	v_mov_b32_e32 v145, v142
	v_mov_b32_e32 v147, v142
.LBB64_120:
	s_or_b64 exec, exec, s[16:17]
.LBB64_121:
	s_andn2_saveexec_b64 s[0:1], s[0:1]
	s_cbranch_execz .LBB64_123
; %bb.122:
	v_mov_b32_e32 v145, 5
	s_waitcnt vmcnt(26)
	ds_write2_b64 v144, v[108:109], v[110:111] offset0:12 offset1:13
	s_waitcnt vmcnt(25)
	ds_write2_b64 v144, v[104:105], v[106:107] offset0:14 offset1:15
	;; [unrolled: 2-line block ×27, first 2 shown]
.LBB64_123:
	s_or_b64 exec, exec, s[0:1]
	v_cmp_lt_i32_e32 vcc, 5, v145
	s_waitcnt lgkmcnt(0)
	s_barrier
	s_and_saveexec_b64 s[0:1], vcc
	s_cbranch_execz .LBB64_125
; %bb.124:
	ds_read2_b64 v[148:151], v144 offset0:12 offset1:13
	v_mul_f64 v[142:143], v[134:135], v[114:115]
	v_mul_f64 v[114:115], v[132:133], v[114:115]
	v_fmac_f64_e32 v[114:115], v[134:135], v[112:113]
	v_fma_f64 v[142:143], v[132:133], v[112:113], -v[142:143]
	ds_read2_b64 v[132:135], v144 offset0:14 offset1:15
	s_waitcnt lgkmcnt(1)
	v_mul_f64 v[112:113], v[150:151], v[114:115]
	v_fma_f64 v[112:113], v[148:149], v[142:143], -v[112:113]
	v_mul_f64 v[148:149], v[148:149], v[114:115]
	v_fmac_f64_e32 v[148:149], v[150:151], v[142:143]
	s_waitcnt vmcnt(26)
	v_add_f64 v[110:111], v[110:111], -v[148:149]
	ds_read2_b64 v[148:151], v144 offset0:16 offset1:17
	v_add_f64 v[108:109], v[108:109], -v[112:113]
	s_waitcnt lgkmcnt(1)
	v_mul_f64 v[112:113], v[134:135], v[114:115]
	v_fma_f64 v[112:113], v[132:133], v[142:143], -v[112:113]
	v_mul_f64 v[132:133], v[132:133], v[114:115]
	v_fmac_f64_e32 v[132:133], v[134:135], v[142:143]
	s_waitcnt vmcnt(25)
	v_add_f64 v[104:105], v[104:105], -v[112:113]
	v_add_f64 v[106:107], v[106:107], -v[132:133]
	ds_read2_b64 v[132:135], v144 offset0:18 offset1:19
	s_waitcnt lgkmcnt(1)
	v_mul_f64 v[112:113], v[150:151], v[114:115]
	v_fma_f64 v[112:113], v[148:149], v[142:143], -v[112:113]
	v_mul_f64 v[148:149], v[148:149], v[114:115]
	v_fmac_f64_e32 v[148:149], v[150:151], v[142:143]
	s_waitcnt vmcnt(24)
	v_add_f64 v[102:103], v[102:103], -v[148:149]
	ds_read2_b64 v[148:151], v144 offset0:20 offset1:21
	v_add_f64 v[100:101], v[100:101], -v[112:113]
	s_waitcnt lgkmcnt(1)
	v_mul_f64 v[112:113], v[134:135], v[114:115]
	v_fma_f64 v[112:113], v[132:133], v[142:143], -v[112:113]
	v_mul_f64 v[132:133], v[132:133], v[114:115]
	v_fmac_f64_e32 v[132:133], v[134:135], v[142:143]
	s_waitcnt vmcnt(23)
	v_add_f64 v[96:97], v[96:97], -v[112:113]
	v_add_f64 v[98:99], v[98:99], -v[132:133]
	;; [unrolled: 18-line block ×13, first 2 shown]
	s_waitcnt lgkmcnt(0)
	v_mul_f64 v[112:113], v[150:151], v[114:115]
	v_mul_f64 v[132:133], v[148:149], v[114:115]
	v_fma_f64 v[112:113], v[148:149], v[142:143], -v[112:113]
	v_fmac_f64_e32 v[132:133], v[150:151], v[142:143]
	s_waitcnt vmcnt(0)
	v_add_f64 v[128:129], v[128:129], -v[112:113]
	v_add_f64 v[130:131], v[130:131], -v[132:133]
	v_mov_b64_e32 v[112:113], v[142:143]
.LBB64_125:
	s_or_b64 exec, exec, s[0:1]
	v_lshl_add_u32 v132, v145, 4, v144
	s_barrier
	s_waitcnt vmcnt(26)
	ds_write2_b64 v132, v[108:109], v[110:111] offset1:1
	s_waitcnt lgkmcnt(0)
	s_barrier
	ds_read2_b64 v[132:135], v144 offset0:12 offset1:13
	s_cmp_lt_i32 s20, 8
	v_mov_b32_e32 v142, 6
	s_cbranch_scc1 .LBB64_128
; %bb.126:
	v_add_u32_e32 v143, 0x70, v144
	s_mov_b32 s16, 7
	v_mov_b32_e32 v142, 6
.LBB64_127:                             ; =>This Inner Loop Header: Depth=1
	ds_read2_b64 v[148:151], v143 offset1:1
	s_waitcnt lgkmcnt(1)
	v_xor_b32_e32 v153, 0x80000000, v133
	v_xor_b32_e32 v155, 0x80000000, v135
	v_cmp_gt_f64_e32 vcc, 0, v[134:135]
	v_cmp_gt_f64_e64 s[0:1], 0, v[132:133]
	v_mov_b32_e32 v152, v132
	v_mov_b32_e32 v154, v134
	v_cndmask_b32_e64 v153, v133, v153, s[0:1]
	v_cndmask_b32_e32 v155, v135, v155, vcc
	v_add_f64 v[152:153], v[152:153], v[154:155]
	s_waitcnt lgkmcnt(0)
	v_xor_b32_e32 v155, 0x80000000, v149
	v_xor_b32_e32 v157, 0x80000000, v151
	v_cmp_gt_f64_e32 vcc, 0, v[150:151]
	v_cmp_gt_f64_e64 s[0:1], 0, v[148:149]
	v_mov_b32_e32 v154, v148
	v_mov_b32_e32 v156, v150
	v_cndmask_b32_e64 v155, v149, v155, s[0:1]
	v_cndmask_b32_e32 v157, v151, v157, vcc
	v_add_f64 v[154:155], v[154:155], v[156:157]
	v_mov_b32_e32 v158, s16
	s_add_i32 s16, s16, 1
	v_cmp_lt_f64_e32 vcc, v[152:153], v[154:155]
	v_add_u32_e32 v143, 16, v143
	s_cmp_lg_u32 s20, s16
	v_cndmask_b32_e32 v133, v133, v149, vcc
	v_cndmask_b32_e32 v132, v132, v148, vcc
	;; [unrolled: 1-line block ×5, first 2 shown]
	s_cbranch_scc1 .LBB64_127
.LBB64_128:
	s_waitcnt lgkmcnt(0)
	v_cmp_eq_f64_e32 vcc, 0, v[132:133]
	v_cmp_eq_f64_e64 s[0:1], 0, v[134:135]
	s_and_b64 s[0:1], vcc, s[0:1]
	s_and_saveexec_b64 s[16:17], s[0:1]
	s_xor_b64 s[0:1], exec, s[16:17]
; %bb.129:
	v_cmp_ne_u32_e32 vcc, 0, v146
	s_nop 1
	v_cndmask_b32_e32 v146, 7, v146, vcc
; %bb.130:
	s_andn2_saveexec_b64 s[0:1], s[0:1]
	s_cbranch_execz .LBB64_136
; %bb.131:
	v_cmp_ngt_f64_e64 s[16:17], |v[132:133]|, |v[134:135]|
	s_and_saveexec_b64 s[18:19], s[16:17]
	s_xor_b64 s[16:17], exec, s[18:19]
	s_cbranch_execz .LBB64_133
; %bb.132:
	v_div_scale_f64 v[148:149], s[18:19], v[134:135], v[134:135], v[132:133]
	v_rcp_f64_e32 v[150:151], v[148:149]
	v_div_scale_f64 v[152:153], vcc, v[132:133], v[134:135], v[132:133]
	v_fma_f64 v[154:155], -v[148:149], v[150:151], 1.0
	v_fmac_f64_e32 v[150:151], v[150:151], v[154:155]
	v_fma_f64 v[154:155], -v[148:149], v[150:151], 1.0
	v_fmac_f64_e32 v[150:151], v[150:151], v[154:155]
	v_mul_f64 v[154:155], v[152:153], v[150:151]
	v_fma_f64 v[148:149], -v[148:149], v[154:155], v[152:153]
	v_div_fmas_f64 v[148:149], v[148:149], v[150:151], v[154:155]
	v_div_fixup_f64 v[148:149], v[148:149], v[134:135], v[132:133]
	v_fmac_f64_e32 v[134:135], v[132:133], v[148:149]
	v_div_scale_f64 v[132:133], s[18:19], v[134:135], v[134:135], 1.0
	v_rcp_f64_e32 v[150:151], v[132:133]
	s_nop 0
	v_fma_f64 v[152:153], -v[132:133], v[150:151], 1.0
	v_fmac_f64_e32 v[150:151], v[150:151], v[152:153]
	v_fma_f64 v[152:153], -v[132:133], v[150:151], 1.0
	v_fmac_f64_e32 v[150:151], v[150:151], v[152:153]
	v_div_scale_f64 v[152:153], vcc, 1.0, v[134:135], 1.0
	v_mul_f64 v[154:155], v[152:153], v[150:151]
	v_fma_f64 v[132:133], -v[132:133], v[154:155], v[152:153]
	s_nop 1
	v_div_fmas_f64 v[132:133], v[132:133], v[150:151], v[154:155]
	v_div_fixup_f64 v[134:135], v[132:133], v[134:135], 1.0
	v_mul_f64 v[132:133], v[148:149], v[134:135]
	v_xor_b32_e32 v135, 0x80000000, v135
.LBB64_133:
	s_andn2_saveexec_b64 s[16:17], s[16:17]
	s_cbranch_execz .LBB64_135
; %bb.134:
	v_div_scale_f64 v[148:149], s[18:19], v[132:133], v[132:133], v[134:135]
	v_rcp_f64_e32 v[150:151], v[148:149]
	v_div_scale_f64 v[152:153], vcc, v[134:135], v[132:133], v[134:135]
	v_fma_f64 v[154:155], -v[148:149], v[150:151], 1.0
	v_fmac_f64_e32 v[150:151], v[150:151], v[154:155]
	v_fma_f64 v[154:155], -v[148:149], v[150:151], 1.0
	v_fmac_f64_e32 v[150:151], v[150:151], v[154:155]
	v_mul_f64 v[154:155], v[152:153], v[150:151]
	v_fma_f64 v[148:149], -v[148:149], v[154:155], v[152:153]
	v_div_fmas_f64 v[148:149], v[148:149], v[150:151], v[154:155]
	v_div_fixup_f64 v[148:149], v[148:149], v[132:133], v[134:135]
	v_fmac_f64_e32 v[132:133], v[134:135], v[148:149]
	v_div_scale_f64 v[134:135], s[18:19], v[132:133], v[132:133], 1.0
	v_rcp_f64_e32 v[150:151], v[134:135]
	s_nop 0
	v_fma_f64 v[152:153], -v[134:135], v[150:151], 1.0
	v_fmac_f64_e32 v[150:151], v[150:151], v[152:153]
	v_fma_f64 v[152:153], -v[134:135], v[150:151], 1.0
	v_fmac_f64_e32 v[150:151], v[150:151], v[152:153]
	v_div_scale_f64 v[152:153], vcc, 1.0, v[132:133], 1.0
	v_mul_f64 v[154:155], v[152:153], v[150:151]
	v_fma_f64 v[134:135], -v[134:135], v[154:155], v[152:153]
	s_nop 1
	v_div_fmas_f64 v[134:135], v[134:135], v[150:151], v[154:155]
	v_div_fixup_f64 v[132:133], v[134:135], v[132:133], 1.0
	v_mul_f64 v[134:135], v[148:149], -v[132:133]
.LBB64_135:
	s_or_b64 exec, exec, s[16:17]
.LBB64_136:
	s_or_b64 exec, exec, s[0:1]
	v_cmp_ne_u32_e32 vcc, v145, v142
	s_and_saveexec_b64 s[0:1], vcc
	s_xor_b64 s[0:1], exec, s[0:1]
	s_cbranch_execz .LBB64_142
; %bb.137:
	v_cmp_eq_u32_e32 vcc, 6, v145
	s_and_saveexec_b64 s[16:17], vcc
	s_cbranch_execz .LBB64_141
; %bb.138:
	v_cmp_ne_u32_e32 vcc, 6, v142
	s_xor_b64 s[18:19], s[14:15], -1
	s_and_b64 s[22:23], s[18:19], vcc
	s_and_saveexec_b64 s[18:19], s[22:23]
	s_cbranch_execz .LBB64_140
; %bb.139:
	v_ashrrev_i32_e32 v143, 31, v142
	v_lshl_add_u64 v[148:149], v[142:143], 2, v[140:141]
	global_load_dword v143, v[148:149], off
	global_load_dword v145, v[140:141], off offset:24
	s_waitcnt vmcnt(1)
	global_store_dword v[140:141], v143, off offset:24
	s_waitcnt vmcnt(1)
	global_store_dword v[148:149], v145, off
.LBB64_140:
	s_or_b64 exec, exec, s[18:19]
	v_mov_b32_e32 v145, v142
	v_mov_b32_e32 v147, v142
.LBB64_141:
	s_or_b64 exec, exec, s[16:17]
.LBB64_142:
	s_andn2_saveexec_b64 s[0:1], s[0:1]
	s_cbranch_execz .LBB64_144
; %bb.143:
	v_mov_b32_e32 v145, 6
	s_waitcnt vmcnt(25)
	ds_write2_b64 v144, v[104:105], v[106:107] offset0:14 offset1:15
	s_waitcnt vmcnt(24)
	ds_write2_b64 v144, v[100:101], v[102:103] offset0:16 offset1:17
	;; [unrolled: 2-line block ×26, first 2 shown]
.LBB64_144:
	s_or_b64 exec, exec, s[0:1]
	v_cmp_lt_i32_e32 vcc, 6, v145
	s_waitcnt lgkmcnt(0)
	s_barrier
	s_and_saveexec_b64 s[0:1], vcc
	s_cbranch_execz .LBB64_146
; %bb.145:
	ds_read2_b64 v[148:151], v144 offset0:14 offset1:15
	v_mul_f64 v[142:143], v[134:135], v[110:111]
	v_mul_f64 v[110:111], v[132:133], v[110:111]
	v_fma_f64 v[142:143], v[132:133], v[108:109], -v[142:143]
	v_fmac_f64_e32 v[110:111], v[134:135], v[108:109]
	ds_read2_b64 v[132:135], v144 offset0:16 offset1:17
	s_waitcnt lgkmcnt(1)
	v_mul_f64 v[108:109], v[150:151], v[110:111]
	v_fma_f64 v[108:109], v[148:149], v[142:143], -v[108:109]
	v_mul_f64 v[148:149], v[148:149], v[110:111]
	v_fmac_f64_e32 v[148:149], v[150:151], v[142:143]
	s_waitcnt vmcnt(25)
	v_add_f64 v[104:105], v[104:105], -v[108:109]
	s_waitcnt lgkmcnt(0)
	v_mul_f64 v[108:109], v[134:135], v[110:111]
	v_add_f64 v[106:107], v[106:107], -v[148:149]
	v_fma_f64 v[108:109], v[132:133], v[142:143], -v[108:109]
	v_mul_f64 v[132:133], v[132:133], v[110:111]
	ds_read2_b64 v[148:151], v144 offset0:18 offset1:19
	v_fmac_f64_e32 v[132:133], v[134:135], v[142:143]
	s_waitcnt vmcnt(24)
	v_add_f64 v[102:103], v[102:103], -v[132:133]
	ds_read2_b64 v[132:135], v144 offset0:20 offset1:21
	v_add_f64 v[100:101], v[100:101], -v[108:109]
	s_waitcnt lgkmcnt(1)
	v_mul_f64 v[108:109], v[150:151], v[110:111]
	v_fma_f64 v[108:109], v[148:149], v[142:143], -v[108:109]
	v_mul_f64 v[148:149], v[148:149], v[110:111]
	v_fmac_f64_e32 v[148:149], v[150:151], v[142:143]
	s_waitcnt vmcnt(23)
	v_add_f64 v[96:97], v[96:97], -v[108:109]
	s_waitcnt lgkmcnt(0)
	v_mul_f64 v[108:109], v[134:135], v[110:111]
	v_add_f64 v[98:99], v[98:99], -v[148:149]
	v_fma_f64 v[108:109], v[132:133], v[142:143], -v[108:109]
	v_mul_f64 v[132:133], v[132:133], v[110:111]
	ds_read2_b64 v[148:151], v144 offset0:22 offset1:23
	v_fmac_f64_e32 v[132:133], v[134:135], v[142:143]
	s_waitcnt vmcnt(22)
	v_add_f64 v[90:91], v[90:91], -v[132:133]
	ds_read2_b64 v[132:135], v144 offset0:24 offset1:25
	v_add_f64 v[88:89], v[88:89], -v[108:109]
	s_waitcnt lgkmcnt(1)
	v_mul_f64 v[108:109], v[150:151], v[110:111]
	v_fma_f64 v[108:109], v[148:149], v[142:143], -v[108:109]
	v_mul_f64 v[148:149], v[148:149], v[110:111]
	v_fmac_f64_e32 v[148:149], v[150:151], v[142:143]
	s_waitcnt vmcnt(21)
	v_add_f64 v[80:81], v[80:81], -v[108:109]
	s_waitcnt lgkmcnt(0)
	v_mul_f64 v[108:109], v[134:135], v[110:111]
	v_add_f64 v[82:83], v[82:83], -v[148:149]
	v_fma_f64 v[108:109], v[132:133], v[142:143], -v[108:109]
	v_mul_f64 v[132:133], v[132:133], v[110:111]
	ds_read2_b64 v[148:151], v144 offset0:26 offset1:27
	v_fmac_f64_e32 v[132:133], v[134:135], v[142:143]
	s_waitcnt vmcnt(20)
	v_add_f64 v[78:79], v[78:79], -v[132:133]
	ds_read2_b64 v[132:135], v144 offset0:28 offset1:29
	v_add_f64 v[76:77], v[76:77], -v[108:109]
	s_waitcnt lgkmcnt(1)
	v_mul_f64 v[108:109], v[150:151], v[110:111]
	v_fma_f64 v[108:109], v[148:149], v[142:143], -v[108:109]
	v_mul_f64 v[148:149], v[148:149], v[110:111]
	v_fmac_f64_e32 v[148:149], v[150:151], v[142:143]
	s_waitcnt vmcnt(19)
	v_add_f64 v[68:69], v[68:69], -v[108:109]
	s_waitcnt lgkmcnt(0)
	v_mul_f64 v[108:109], v[134:135], v[110:111]
	v_add_f64 v[70:71], v[70:71], -v[148:149]
	v_fma_f64 v[108:109], v[132:133], v[142:143], -v[108:109]
	v_mul_f64 v[132:133], v[132:133], v[110:111]
	ds_read2_b64 v[148:151], v144 offset0:30 offset1:31
	v_fmac_f64_e32 v[132:133], v[134:135], v[142:143]
	s_waitcnt vmcnt(18)
	v_add_f64 v[74:75], v[74:75], -v[132:133]
	ds_read2_b64 v[132:135], v144 offset0:32 offset1:33
	v_add_f64 v[72:73], v[72:73], -v[108:109]
	s_waitcnt lgkmcnt(1)
	v_mul_f64 v[108:109], v[150:151], v[110:111]
	v_fma_f64 v[108:109], v[148:149], v[142:143], -v[108:109]
	v_mul_f64 v[148:149], v[148:149], v[110:111]
	v_fmac_f64_e32 v[148:149], v[150:151], v[142:143]
	s_waitcnt vmcnt(17)
	v_add_f64 v[64:65], v[64:65], -v[108:109]
	s_waitcnt lgkmcnt(0)
	v_mul_f64 v[108:109], v[134:135], v[110:111]
	v_add_f64 v[66:67], v[66:67], -v[148:149]
	v_fma_f64 v[108:109], v[132:133], v[142:143], -v[108:109]
	v_mul_f64 v[132:133], v[132:133], v[110:111]
	ds_read2_b64 v[148:151], v144 offset0:34 offset1:35
	v_fmac_f64_e32 v[132:133], v[134:135], v[142:143]
	s_waitcnt vmcnt(16)
	v_add_f64 v[62:63], v[62:63], -v[132:133]
	ds_read2_b64 v[132:135], v144 offset0:36 offset1:37
	v_add_f64 v[60:61], v[60:61], -v[108:109]
	s_waitcnt lgkmcnt(1)
	v_mul_f64 v[108:109], v[150:151], v[110:111]
	v_fma_f64 v[108:109], v[148:149], v[142:143], -v[108:109]
	v_mul_f64 v[148:149], v[148:149], v[110:111]
	v_fmac_f64_e32 v[148:149], v[150:151], v[142:143]
	s_waitcnt vmcnt(15)
	v_add_f64 v[56:57], v[56:57], -v[108:109]
	s_waitcnt lgkmcnt(0)
	v_mul_f64 v[108:109], v[134:135], v[110:111]
	v_add_f64 v[58:59], v[58:59], -v[148:149]
	v_fma_f64 v[108:109], v[132:133], v[142:143], -v[108:109]
	v_mul_f64 v[132:133], v[132:133], v[110:111]
	ds_read2_b64 v[148:151], v144 offset0:38 offset1:39
	v_fmac_f64_e32 v[132:133], v[134:135], v[142:143]
	s_waitcnt vmcnt(14)
	v_add_f64 v[54:55], v[54:55], -v[132:133]
	ds_read2_b64 v[132:135], v144 offset0:40 offset1:41
	v_add_f64 v[52:53], v[52:53], -v[108:109]
	s_waitcnt lgkmcnt(1)
	v_mul_f64 v[108:109], v[150:151], v[110:111]
	v_fma_f64 v[108:109], v[148:149], v[142:143], -v[108:109]
	v_mul_f64 v[148:149], v[148:149], v[110:111]
	v_fmac_f64_e32 v[148:149], v[150:151], v[142:143]
	s_waitcnt vmcnt(13)
	v_add_f64 v[48:49], v[48:49], -v[108:109]
	s_waitcnt lgkmcnt(0)
	v_mul_f64 v[108:109], v[134:135], v[110:111]
	v_add_f64 v[50:51], v[50:51], -v[148:149]
	v_fma_f64 v[108:109], v[132:133], v[142:143], -v[108:109]
	v_mul_f64 v[132:133], v[132:133], v[110:111]
	ds_read2_b64 v[148:151], v144 offset0:42 offset1:43
	v_fmac_f64_e32 v[132:133], v[134:135], v[142:143]
	s_waitcnt vmcnt(12)
	v_add_f64 v[46:47], v[46:47], -v[132:133]
	ds_read2_b64 v[132:135], v144 offset0:44 offset1:45
	v_add_f64 v[44:45], v[44:45], -v[108:109]
	s_waitcnt lgkmcnt(1)
	v_mul_f64 v[108:109], v[150:151], v[110:111]
	v_fma_f64 v[108:109], v[148:149], v[142:143], -v[108:109]
	v_mul_f64 v[148:149], v[148:149], v[110:111]
	v_fmac_f64_e32 v[148:149], v[150:151], v[142:143]
	s_waitcnt vmcnt(11)
	v_add_f64 v[40:41], v[40:41], -v[108:109]
	s_waitcnt lgkmcnt(0)
	v_mul_f64 v[108:109], v[134:135], v[110:111]
	v_add_f64 v[42:43], v[42:43], -v[148:149]
	v_fma_f64 v[108:109], v[132:133], v[142:143], -v[108:109]
	v_mul_f64 v[132:133], v[132:133], v[110:111]
	ds_read2_b64 v[148:151], v144 offset0:46 offset1:47
	v_fmac_f64_e32 v[132:133], v[134:135], v[142:143]
	s_waitcnt vmcnt(10)
	v_add_f64 v[38:39], v[38:39], -v[132:133]
	ds_read2_b64 v[132:135], v144 offset0:48 offset1:49
	v_add_f64 v[36:37], v[36:37], -v[108:109]
	s_waitcnt lgkmcnt(1)
	v_mul_f64 v[108:109], v[150:151], v[110:111]
	v_fma_f64 v[108:109], v[148:149], v[142:143], -v[108:109]
	v_mul_f64 v[148:149], v[148:149], v[110:111]
	v_fmac_f64_e32 v[148:149], v[150:151], v[142:143]
	s_waitcnt vmcnt(9)
	v_add_f64 v[32:33], v[32:33], -v[108:109]
	s_waitcnt lgkmcnt(0)
	v_mul_f64 v[108:109], v[134:135], v[110:111]
	v_add_f64 v[34:35], v[34:35], -v[148:149]
	v_fma_f64 v[108:109], v[132:133], v[142:143], -v[108:109]
	v_mul_f64 v[132:133], v[132:133], v[110:111]
	ds_read2_b64 v[148:151], v144 offset0:50 offset1:51
	v_fmac_f64_e32 v[132:133], v[134:135], v[142:143]
	s_waitcnt vmcnt(8)
	v_add_f64 v[30:31], v[30:31], -v[132:133]
	ds_read2_b64 v[132:135], v144 offset0:52 offset1:53
	v_add_f64 v[28:29], v[28:29], -v[108:109]
	s_waitcnt lgkmcnt(1)
	v_mul_f64 v[108:109], v[150:151], v[110:111]
	v_fma_f64 v[108:109], v[148:149], v[142:143], -v[108:109]
	v_mul_f64 v[148:149], v[148:149], v[110:111]
	v_fmac_f64_e32 v[148:149], v[150:151], v[142:143]
	s_waitcnt vmcnt(7)
	v_add_f64 v[24:25], v[24:25], -v[108:109]
	s_waitcnt lgkmcnt(0)
	v_mul_f64 v[108:109], v[134:135], v[110:111]
	v_add_f64 v[26:27], v[26:27], -v[148:149]
	v_fma_f64 v[108:109], v[132:133], v[142:143], -v[108:109]
	v_mul_f64 v[132:133], v[132:133], v[110:111]
	ds_read2_b64 v[148:151], v144 offset0:54 offset1:55
	v_fmac_f64_e32 v[132:133], v[134:135], v[142:143]
	s_waitcnt vmcnt(6)
	v_add_f64 v[22:23], v[22:23], -v[132:133]
	ds_read2_b64 v[132:135], v144 offset0:56 offset1:57
	v_add_f64 v[20:21], v[20:21], -v[108:109]
	s_waitcnt lgkmcnt(1)
	v_mul_f64 v[108:109], v[150:151], v[110:111]
	v_fma_f64 v[108:109], v[148:149], v[142:143], -v[108:109]
	v_mul_f64 v[148:149], v[148:149], v[110:111]
	v_fmac_f64_e32 v[148:149], v[150:151], v[142:143]
	s_waitcnt vmcnt(5)
	v_add_f64 v[16:17], v[16:17], -v[108:109]
	s_waitcnt lgkmcnt(0)
	v_mul_f64 v[108:109], v[134:135], v[110:111]
	v_add_f64 v[18:19], v[18:19], -v[148:149]
	v_fma_f64 v[108:109], v[132:133], v[142:143], -v[108:109]
	v_mul_f64 v[132:133], v[132:133], v[110:111]
	ds_read2_b64 v[148:151], v144 offset0:58 offset1:59
	v_fmac_f64_e32 v[132:133], v[134:135], v[142:143]
	s_waitcnt vmcnt(4)
	v_add_f64 v[14:15], v[14:15], -v[132:133]
	ds_read2_b64 v[132:135], v144 offset0:60 offset1:61
	v_add_f64 v[12:13], v[12:13], -v[108:109]
	s_waitcnt lgkmcnt(1)
	v_mul_f64 v[108:109], v[150:151], v[110:111]
	v_fma_f64 v[108:109], v[148:149], v[142:143], -v[108:109]
	v_mul_f64 v[148:149], v[148:149], v[110:111]
	v_fmac_f64_e32 v[148:149], v[150:151], v[142:143]
	s_waitcnt vmcnt(3)
	v_add_f64 v[8:9], v[8:9], -v[108:109]
	s_waitcnt lgkmcnt(0)
	v_mul_f64 v[108:109], v[134:135], v[110:111]
	v_add_f64 v[10:11], v[10:11], -v[148:149]
	v_fma_f64 v[108:109], v[132:133], v[142:143], -v[108:109]
	v_mul_f64 v[132:133], v[132:133], v[110:111]
	ds_read2_b64 v[148:151], v144 offset0:62 offset1:63
	v_fmac_f64_e32 v[132:133], v[134:135], v[142:143]
	s_waitcnt vmcnt(2)
	v_add_f64 v[6:7], v[6:7], -v[132:133]
	ds_read2_b64 v[132:135], v144 offset0:64 offset1:65
	v_add_f64 v[4:5], v[4:5], -v[108:109]
	s_waitcnt lgkmcnt(1)
	v_mul_f64 v[108:109], v[150:151], v[110:111]
	v_fma_f64 v[108:109], v[148:149], v[142:143], -v[108:109]
	s_waitcnt vmcnt(1)
	v_add_f64 v[0:1], v[0:1], -v[108:109]
	s_waitcnt lgkmcnt(0)
	v_mul_f64 v[108:109], v[134:135], v[110:111]
	v_mul_f64 v[148:149], v[148:149], v[110:111]
	v_fma_f64 v[108:109], v[132:133], v[142:143], -v[108:109]
	v_mul_f64 v[132:133], v[132:133], v[110:111]
	v_fmac_f64_e32 v[148:149], v[150:151], v[142:143]
	v_fmac_f64_e32 v[132:133], v[134:135], v[142:143]
	v_add_f64 v[2:3], v[2:3], -v[148:149]
	s_waitcnt vmcnt(0)
	v_add_f64 v[128:129], v[128:129], -v[108:109]
	v_add_f64 v[130:131], v[130:131], -v[132:133]
	v_mov_b64_e32 v[108:109], v[142:143]
.LBB64_146:
	s_or_b64 exec, exec, s[0:1]
	v_lshl_add_u32 v132, v145, 4, v144
	s_barrier
	s_waitcnt vmcnt(25)
	ds_write2_b64 v132, v[104:105], v[106:107] offset1:1
	s_waitcnt lgkmcnt(0)
	s_barrier
	ds_read2_b64 v[132:135], v144 offset0:14 offset1:15
	s_cmp_lt_i32 s20, 9
	v_mov_b32_e32 v142, 7
	s_cbranch_scc1 .LBB64_149
; %bb.147:
	v_add_u32_e32 v143, 0x80, v144
	s_mov_b32 s16, 8
	v_mov_b32_e32 v142, 7
.LBB64_148:                             ; =>This Inner Loop Header: Depth=1
	ds_read2_b64 v[148:151], v143 offset1:1
	s_waitcnt lgkmcnt(1)
	v_xor_b32_e32 v153, 0x80000000, v133
	v_xor_b32_e32 v155, 0x80000000, v135
	v_cmp_gt_f64_e32 vcc, 0, v[134:135]
	v_cmp_gt_f64_e64 s[0:1], 0, v[132:133]
	v_mov_b32_e32 v152, v132
	v_mov_b32_e32 v154, v134
	v_cndmask_b32_e64 v153, v133, v153, s[0:1]
	v_cndmask_b32_e32 v155, v135, v155, vcc
	v_add_f64 v[152:153], v[152:153], v[154:155]
	s_waitcnt lgkmcnt(0)
	v_xor_b32_e32 v155, 0x80000000, v149
	v_xor_b32_e32 v157, 0x80000000, v151
	v_cmp_gt_f64_e32 vcc, 0, v[150:151]
	v_cmp_gt_f64_e64 s[0:1], 0, v[148:149]
	v_mov_b32_e32 v154, v148
	v_mov_b32_e32 v156, v150
	v_cndmask_b32_e64 v155, v149, v155, s[0:1]
	v_cndmask_b32_e32 v157, v151, v157, vcc
	v_add_f64 v[154:155], v[154:155], v[156:157]
	v_mov_b32_e32 v158, s16
	s_add_i32 s16, s16, 1
	v_cmp_lt_f64_e32 vcc, v[152:153], v[154:155]
	v_add_u32_e32 v143, 16, v143
	s_cmp_lg_u32 s20, s16
	v_cndmask_b32_e32 v133, v133, v149, vcc
	v_cndmask_b32_e32 v132, v132, v148, vcc
	;; [unrolled: 1-line block ×5, first 2 shown]
	s_cbranch_scc1 .LBB64_148
.LBB64_149:
	s_waitcnt lgkmcnt(0)
	v_cmp_eq_f64_e32 vcc, 0, v[132:133]
	v_cmp_eq_f64_e64 s[0:1], 0, v[134:135]
	s_and_b64 s[0:1], vcc, s[0:1]
	s_and_saveexec_b64 s[16:17], s[0:1]
	s_xor_b64 s[0:1], exec, s[16:17]
; %bb.150:
	v_cmp_ne_u32_e32 vcc, 0, v146
	s_nop 1
	v_cndmask_b32_e32 v146, 8, v146, vcc
; %bb.151:
	s_andn2_saveexec_b64 s[0:1], s[0:1]
	s_cbranch_execz .LBB64_157
; %bb.152:
	v_cmp_ngt_f64_e64 s[16:17], |v[132:133]|, |v[134:135]|
	s_and_saveexec_b64 s[18:19], s[16:17]
	s_xor_b64 s[16:17], exec, s[18:19]
	s_cbranch_execz .LBB64_154
; %bb.153:
	v_div_scale_f64 v[148:149], s[18:19], v[134:135], v[134:135], v[132:133]
	v_rcp_f64_e32 v[150:151], v[148:149]
	v_div_scale_f64 v[152:153], vcc, v[132:133], v[134:135], v[132:133]
	v_fma_f64 v[154:155], -v[148:149], v[150:151], 1.0
	v_fmac_f64_e32 v[150:151], v[150:151], v[154:155]
	v_fma_f64 v[154:155], -v[148:149], v[150:151], 1.0
	v_fmac_f64_e32 v[150:151], v[150:151], v[154:155]
	v_mul_f64 v[154:155], v[152:153], v[150:151]
	v_fma_f64 v[148:149], -v[148:149], v[154:155], v[152:153]
	v_div_fmas_f64 v[148:149], v[148:149], v[150:151], v[154:155]
	v_div_fixup_f64 v[148:149], v[148:149], v[134:135], v[132:133]
	v_fmac_f64_e32 v[134:135], v[132:133], v[148:149]
	v_div_scale_f64 v[132:133], s[18:19], v[134:135], v[134:135], 1.0
	v_rcp_f64_e32 v[150:151], v[132:133]
	s_nop 0
	v_fma_f64 v[152:153], -v[132:133], v[150:151], 1.0
	v_fmac_f64_e32 v[150:151], v[150:151], v[152:153]
	v_fma_f64 v[152:153], -v[132:133], v[150:151], 1.0
	v_fmac_f64_e32 v[150:151], v[150:151], v[152:153]
	v_div_scale_f64 v[152:153], vcc, 1.0, v[134:135], 1.0
	v_mul_f64 v[154:155], v[152:153], v[150:151]
	v_fma_f64 v[132:133], -v[132:133], v[154:155], v[152:153]
	s_nop 1
	v_div_fmas_f64 v[132:133], v[132:133], v[150:151], v[154:155]
	v_div_fixup_f64 v[134:135], v[132:133], v[134:135], 1.0
	v_mul_f64 v[132:133], v[148:149], v[134:135]
	v_xor_b32_e32 v135, 0x80000000, v135
.LBB64_154:
	s_andn2_saveexec_b64 s[16:17], s[16:17]
	s_cbranch_execz .LBB64_156
; %bb.155:
	v_div_scale_f64 v[148:149], s[18:19], v[132:133], v[132:133], v[134:135]
	v_rcp_f64_e32 v[150:151], v[148:149]
	v_div_scale_f64 v[152:153], vcc, v[134:135], v[132:133], v[134:135]
	v_fma_f64 v[154:155], -v[148:149], v[150:151], 1.0
	v_fmac_f64_e32 v[150:151], v[150:151], v[154:155]
	v_fma_f64 v[154:155], -v[148:149], v[150:151], 1.0
	v_fmac_f64_e32 v[150:151], v[150:151], v[154:155]
	v_mul_f64 v[154:155], v[152:153], v[150:151]
	v_fma_f64 v[148:149], -v[148:149], v[154:155], v[152:153]
	v_div_fmas_f64 v[148:149], v[148:149], v[150:151], v[154:155]
	v_div_fixup_f64 v[148:149], v[148:149], v[132:133], v[134:135]
	v_fmac_f64_e32 v[132:133], v[134:135], v[148:149]
	v_div_scale_f64 v[134:135], s[18:19], v[132:133], v[132:133], 1.0
	v_rcp_f64_e32 v[150:151], v[134:135]
	s_nop 0
	v_fma_f64 v[152:153], -v[134:135], v[150:151], 1.0
	v_fmac_f64_e32 v[150:151], v[150:151], v[152:153]
	v_fma_f64 v[152:153], -v[134:135], v[150:151], 1.0
	v_fmac_f64_e32 v[150:151], v[150:151], v[152:153]
	v_div_scale_f64 v[152:153], vcc, 1.0, v[132:133], 1.0
	v_mul_f64 v[154:155], v[152:153], v[150:151]
	v_fma_f64 v[134:135], -v[134:135], v[154:155], v[152:153]
	s_nop 1
	v_div_fmas_f64 v[134:135], v[134:135], v[150:151], v[154:155]
	v_div_fixup_f64 v[132:133], v[134:135], v[132:133], 1.0
	v_mul_f64 v[134:135], v[148:149], -v[132:133]
.LBB64_156:
	s_or_b64 exec, exec, s[16:17]
.LBB64_157:
	s_or_b64 exec, exec, s[0:1]
	v_cmp_ne_u32_e32 vcc, v145, v142
	s_and_saveexec_b64 s[0:1], vcc
	s_xor_b64 s[0:1], exec, s[0:1]
	s_cbranch_execz .LBB64_163
; %bb.158:
	v_cmp_eq_u32_e32 vcc, 7, v145
	s_and_saveexec_b64 s[16:17], vcc
	s_cbranch_execz .LBB64_162
; %bb.159:
	v_cmp_ne_u32_e32 vcc, 7, v142
	s_xor_b64 s[18:19], s[14:15], -1
	s_and_b64 s[22:23], s[18:19], vcc
	s_and_saveexec_b64 s[18:19], s[22:23]
	s_cbranch_execz .LBB64_161
; %bb.160:
	v_ashrrev_i32_e32 v143, 31, v142
	v_lshl_add_u64 v[148:149], v[142:143], 2, v[140:141]
	global_load_dword v143, v[148:149], off
	global_load_dword v145, v[140:141], off offset:28
	s_waitcnt vmcnt(1)
	global_store_dword v[140:141], v143, off offset:28
	s_waitcnt vmcnt(1)
	global_store_dword v[148:149], v145, off
.LBB64_161:
	s_or_b64 exec, exec, s[18:19]
	v_mov_b32_e32 v145, v142
	v_mov_b32_e32 v147, v142
.LBB64_162:
	s_or_b64 exec, exec, s[16:17]
.LBB64_163:
	s_andn2_saveexec_b64 s[0:1], s[0:1]
	s_cbranch_execz .LBB64_165
; %bb.164:
	v_mov_b32_e32 v145, 7
	s_waitcnt vmcnt(24)
	ds_write2_b64 v144, v[100:101], v[102:103] offset0:16 offset1:17
	s_waitcnt vmcnt(23)
	ds_write2_b64 v144, v[96:97], v[98:99] offset0:18 offset1:19
	;; [unrolled: 2-line block ×25, first 2 shown]
.LBB64_165:
	s_or_b64 exec, exec, s[0:1]
	v_cmp_lt_i32_e32 vcc, 7, v145
	s_waitcnt lgkmcnt(0)
	s_barrier
	s_and_saveexec_b64 s[0:1], vcc
	s_cbranch_execz .LBB64_167
; %bb.166:
	ds_read2_b64 v[148:151], v144 offset0:16 offset1:17
	v_mul_f64 v[142:143], v[134:135], v[106:107]
	v_mul_f64 v[106:107], v[132:133], v[106:107]
	v_fmac_f64_e32 v[106:107], v[134:135], v[104:105]
	v_fma_f64 v[142:143], v[132:133], v[104:105], -v[142:143]
	ds_read2_b64 v[132:135], v144 offset0:18 offset1:19
	s_waitcnt lgkmcnt(1)
	v_mul_f64 v[104:105], v[150:151], v[106:107]
	v_fma_f64 v[104:105], v[148:149], v[142:143], -v[104:105]
	v_mul_f64 v[148:149], v[148:149], v[106:107]
	v_fmac_f64_e32 v[148:149], v[150:151], v[142:143]
	s_waitcnt vmcnt(24)
	v_add_f64 v[102:103], v[102:103], -v[148:149]
	ds_read2_b64 v[148:151], v144 offset0:20 offset1:21
	v_add_f64 v[100:101], v[100:101], -v[104:105]
	s_waitcnt lgkmcnt(1)
	v_mul_f64 v[104:105], v[134:135], v[106:107]
	v_fma_f64 v[104:105], v[132:133], v[142:143], -v[104:105]
	v_mul_f64 v[132:133], v[132:133], v[106:107]
	v_fmac_f64_e32 v[132:133], v[134:135], v[142:143]
	s_waitcnt vmcnt(23)
	v_add_f64 v[96:97], v[96:97], -v[104:105]
	v_add_f64 v[98:99], v[98:99], -v[132:133]
	ds_read2_b64 v[132:135], v144 offset0:22 offset1:23
	s_waitcnt lgkmcnt(1)
	v_mul_f64 v[104:105], v[150:151], v[106:107]
	v_fma_f64 v[104:105], v[148:149], v[142:143], -v[104:105]
	v_mul_f64 v[148:149], v[148:149], v[106:107]
	v_fmac_f64_e32 v[148:149], v[150:151], v[142:143]
	s_waitcnt vmcnt(22)
	v_add_f64 v[90:91], v[90:91], -v[148:149]
	ds_read2_b64 v[148:151], v144 offset0:24 offset1:25
	v_add_f64 v[88:89], v[88:89], -v[104:105]
	s_waitcnt lgkmcnt(1)
	v_mul_f64 v[104:105], v[134:135], v[106:107]
	v_fma_f64 v[104:105], v[132:133], v[142:143], -v[104:105]
	v_mul_f64 v[132:133], v[132:133], v[106:107]
	v_fmac_f64_e32 v[132:133], v[134:135], v[142:143]
	s_waitcnt vmcnt(21)
	v_add_f64 v[80:81], v[80:81], -v[104:105]
	v_add_f64 v[82:83], v[82:83], -v[132:133]
	;; [unrolled: 18-line block ×12, first 2 shown]
	s_waitcnt lgkmcnt(0)
	v_mul_f64 v[104:105], v[150:151], v[106:107]
	v_mul_f64 v[132:133], v[148:149], v[106:107]
	v_fma_f64 v[104:105], v[148:149], v[142:143], -v[104:105]
	v_fmac_f64_e32 v[132:133], v[150:151], v[142:143]
	s_waitcnt vmcnt(0)
	v_add_f64 v[128:129], v[128:129], -v[104:105]
	v_add_f64 v[130:131], v[130:131], -v[132:133]
	v_mov_b64_e32 v[104:105], v[142:143]
.LBB64_167:
	s_or_b64 exec, exec, s[0:1]
	v_lshl_add_u32 v132, v145, 4, v144
	s_barrier
	s_waitcnt vmcnt(24)
	ds_write2_b64 v132, v[100:101], v[102:103] offset1:1
	s_waitcnt lgkmcnt(0)
	s_barrier
	ds_read2_b64 v[132:135], v144 offset0:16 offset1:17
	s_cmp_lt_i32 s20, 10
	v_mov_b32_e32 v142, 8
	s_cbranch_scc1 .LBB64_170
; %bb.168:
	v_add_u32_e32 v143, 0x90, v144
	s_mov_b32 s16, 9
	v_mov_b32_e32 v142, 8
.LBB64_169:                             ; =>This Inner Loop Header: Depth=1
	ds_read2_b64 v[148:151], v143 offset1:1
	s_waitcnt lgkmcnt(1)
	v_xor_b32_e32 v153, 0x80000000, v133
	v_xor_b32_e32 v155, 0x80000000, v135
	v_cmp_gt_f64_e32 vcc, 0, v[134:135]
	v_cmp_gt_f64_e64 s[0:1], 0, v[132:133]
	v_mov_b32_e32 v152, v132
	v_mov_b32_e32 v154, v134
	v_cndmask_b32_e64 v153, v133, v153, s[0:1]
	v_cndmask_b32_e32 v155, v135, v155, vcc
	v_add_f64 v[152:153], v[152:153], v[154:155]
	s_waitcnt lgkmcnt(0)
	v_xor_b32_e32 v155, 0x80000000, v149
	v_xor_b32_e32 v157, 0x80000000, v151
	v_cmp_gt_f64_e32 vcc, 0, v[150:151]
	v_cmp_gt_f64_e64 s[0:1], 0, v[148:149]
	v_mov_b32_e32 v154, v148
	v_mov_b32_e32 v156, v150
	v_cndmask_b32_e64 v155, v149, v155, s[0:1]
	v_cndmask_b32_e32 v157, v151, v157, vcc
	v_add_f64 v[154:155], v[154:155], v[156:157]
	v_mov_b32_e32 v158, s16
	s_add_i32 s16, s16, 1
	v_cmp_lt_f64_e32 vcc, v[152:153], v[154:155]
	v_add_u32_e32 v143, 16, v143
	s_cmp_lg_u32 s20, s16
	v_cndmask_b32_e32 v133, v133, v149, vcc
	v_cndmask_b32_e32 v132, v132, v148, vcc
	;; [unrolled: 1-line block ×5, first 2 shown]
	s_cbranch_scc1 .LBB64_169
.LBB64_170:
	s_waitcnt lgkmcnt(0)
	v_cmp_eq_f64_e32 vcc, 0, v[132:133]
	v_cmp_eq_f64_e64 s[0:1], 0, v[134:135]
	s_and_b64 s[0:1], vcc, s[0:1]
	s_and_saveexec_b64 s[16:17], s[0:1]
	s_xor_b64 s[0:1], exec, s[16:17]
; %bb.171:
	v_cmp_ne_u32_e32 vcc, 0, v146
	s_nop 1
	v_cndmask_b32_e32 v146, 9, v146, vcc
; %bb.172:
	s_andn2_saveexec_b64 s[0:1], s[0:1]
	s_cbranch_execz .LBB64_178
; %bb.173:
	v_cmp_ngt_f64_e64 s[16:17], |v[132:133]|, |v[134:135]|
	s_and_saveexec_b64 s[18:19], s[16:17]
	s_xor_b64 s[16:17], exec, s[18:19]
	s_cbranch_execz .LBB64_175
; %bb.174:
	v_div_scale_f64 v[148:149], s[18:19], v[134:135], v[134:135], v[132:133]
	v_rcp_f64_e32 v[150:151], v[148:149]
	v_div_scale_f64 v[152:153], vcc, v[132:133], v[134:135], v[132:133]
	v_fma_f64 v[154:155], -v[148:149], v[150:151], 1.0
	v_fmac_f64_e32 v[150:151], v[150:151], v[154:155]
	v_fma_f64 v[154:155], -v[148:149], v[150:151], 1.0
	v_fmac_f64_e32 v[150:151], v[150:151], v[154:155]
	v_mul_f64 v[154:155], v[152:153], v[150:151]
	v_fma_f64 v[148:149], -v[148:149], v[154:155], v[152:153]
	v_div_fmas_f64 v[148:149], v[148:149], v[150:151], v[154:155]
	v_div_fixup_f64 v[148:149], v[148:149], v[134:135], v[132:133]
	v_fmac_f64_e32 v[134:135], v[132:133], v[148:149]
	v_div_scale_f64 v[132:133], s[18:19], v[134:135], v[134:135], 1.0
	v_rcp_f64_e32 v[150:151], v[132:133]
	s_nop 0
	v_fma_f64 v[152:153], -v[132:133], v[150:151], 1.0
	v_fmac_f64_e32 v[150:151], v[150:151], v[152:153]
	v_fma_f64 v[152:153], -v[132:133], v[150:151], 1.0
	v_fmac_f64_e32 v[150:151], v[150:151], v[152:153]
	v_div_scale_f64 v[152:153], vcc, 1.0, v[134:135], 1.0
	v_mul_f64 v[154:155], v[152:153], v[150:151]
	v_fma_f64 v[132:133], -v[132:133], v[154:155], v[152:153]
	s_nop 1
	v_div_fmas_f64 v[132:133], v[132:133], v[150:151], v[154:155]
	v_div_fixup_f64 v[134:135], v[132:133], v[134:135], 1.0
	v_mul_f64 v[132:133], v[148:149], v[134:135]
	v_xor_b32_e32 v135, 0x80000000, v135
.LBB64_175:
	s_andn2_saveexec_b64 s[16:17], s[16:17]
	s_cbranch_execz .LBB64_177
; %bb.176:
	v_div_scale_f64 v[148:149], s[18:19], v[132:133], v[132:133], v[134:135]
	v_rcp_f64_e32 v[150:151], v[148:149]
	v_div_scale_f64 v[152:153], vcc, v[134:135], v[132:133], v[134:135]
	v_fma_f64 v[154:155], -v[148:149], v[150:151], 1.0
	v_fmac_f64_e32 v[150:151], v[150:151], v[154:155]
	v_fma_f64 v[154:155], -v[148:149], v[150:151], 1.0
	v_fmac_f64_e32 v[150:151], v[150:151], v[154:155]
	v_mul_f64 v[154:155], v[152:153], v[150:151]
	v_fma_f64 v[148:149], -v[148:149], v[154:155], v[152:153]
	v_div_fmas_f64 v[148:149], v[148:149], v[150:151], v[154:155]
	v_div_fixup_f64 v[148:149], v[148:149], v[132:133], v[134:135]
	v_fmac_f64_e32 v[132:133], v[134:135], v[148:149]
	v_div_scale_f64 v[134:135], s[18:19], v[132:133], v[132:133], 1.0
	v_rcp_f64_e32 v[150:151], v[134:135]
	s_nop 0
	v_fma_f64 v[152:153], -v[134:135], v[150:151], 1.0
	v_fmac_f64_e32 v[150:151], v[150:151], v[152:153]
	v_fma_f64 v[152:153], -v[134:135], v[150:151], 1.0
	v_fmac_f64_e32 v[150:151], v[150:151], v[152:153]
	v_div_scale_f64 v[152:153], vcc, 1.0, v[132:133], 1.0
	v_mul_f64 v[154:155], v[152:153], v[150:151]
	v_fma_f64 v[134:135], -v[134:135], v[154:155], v[152:153]
	s_nop 1
	v_div_fmas_f64 v[134:135], v[134:135], v[150:151], v[154:155]
	v_div_fixup_f64 v[132:133], v[134:135], v[132:133], 1.0
	v_mul_f64 v[134:135], v[148:149], -v[132:133]
.LBB64_177:
	s_or_b64 exec, exec, s[16:17]
.LBB64_178:
	s_or_b64 exec, exec, s[0:1]
	v_cmp_ne_u32_e32 vcc, v145, v142
	s_and_saveexec_b64 s[0:1], vcc
	s_xor_b64 s[0:1], exec, s[0:1]
	s_cbranch_execz .LBB64_184
; %bb.179:
	v_cmp_eq_u32_e32 vcc, 8, v145
	s_and_saveexec_b64 s[16:17], vcc
	s_cbranch_execz .LBB64_183
; %bb.180:
	v_cmp_ne_u32_e32 vcc, 8, v142
	s_xor_b64 s[18:19], s[14:15], -1
	s_and_b64 s[22:23], s[18:19], vcc
	s_and_saveexec_b64 s[18:19], s[22:23]
	s_cbranch_execz .LBB64_182
; %bb.181:
	v_ashrrev_i32_e32 v143, 31, v142
	v_lshl_add_u64 v[148:149], v[142:143], 2, v[140:141]
	global_load_dword v143, v[148:149], off
	global_load_dword v145, v[140:141], off offset:32
	s_waitcnt vmcnt(1)
	global_store_dword v[140:141], v143, off offset:32
	s_waitcnt vmcnt(1)
	global_store_dword v[148:149], v145, off
.LBB64_182:
	s_or_b64 exec, exec, s[18:19]
	v_mov_b32_e32 v145, v142
	v_mov_b32_e32 v147, v142
.LBB64_183:
	s_or_b64 exec, exec, s[16:17]
.LBB64_184:
	s_andn2_saveexec_b64 s[0:1], s[0:1]
	s_cbranch_execz .LBB64_186
; %bb.185:
	v_mov_b32_e32 v145, 8
	s_waitcnt vmcnt(23)
	ds_write2_b64 v144, v[96:97], v[98:99] offset0:18 offset1:19
	s_waitcnt vmcnt(22)
	ds_write2_b64 v144, v[88:89], v[90:91] offset0:20 offset1:21
	;; [unrolled: 2-line block ×24, first 2 shown]
.LBB64_186:
	s_or_b64 exec, exec, s[0:1]
	v_cmp_lt_i32_e32 vcc, 8, v145
	s_waitcnt lgkmcnt(0)
	s_barrier
	s_and_saveexec_b64 s[0:1], vcc
	s_cbranch_execz .LBB64_188
; %bb.187:
	ds_read2_b64 v[148:151], v144 offset0:18 offset1:19
	v_mul_f64 v[142:143], v[134:135], v[102:103]
	v_mul_f64 v[102:103], v[132:133], v[102:103]
	v_fma_f64 v[142:143], v[132:133], v[100:101], -v[142:143]
	v_fmac_f64_e32 v[102:103], v[134:135], v[100:101]
	ds_read2_b64 v[132:135], v144 offset0:20 offset1:21
	s_waitcnt lgkmcnt(1)
	v_mul_f64 v[100:101], v[150:151], v[102:103]
	v_fma_f64 v[100:101], v[148:149], v[142:143], -v[100:101]
	v_mul_f64 v[148:149], v[148:149], v[102:103]
	v_fmac_f64_e32 v[148:149], v[150:151], v[142:143]
	s_waitcnt vmcnt(23)
	v_add_f64 v[96:97], v[96:97], -v[100:101]
	s_waitcnt lgkmcnt(0)
	v_mul_f64 v[100:101], v[134:135], v[102:103]
	v_add_f64 v[98:99], v[98:99], -v[148:149]
	v_fma_f64 v[100:101], v[132:133], v[142:143], -v[100:101]
	v_mul_f64 v[132:133], v[132:133], v[102:103]
	ds_read2_b64 v[148:151], v144 offset0:22 offset1:23
	v_fmac_f64_e32 v[132:133], v[134:135], v[142:143]
	s_waitcnt vmcnt(22)
	v_add_f64 v[90:91], v[90:91], -v[132:133]
	ds_read2_b64 v[132:135], v144 offset0:24 offset1:25
	v_add_f64 v[88:89], v[88:89], -v[100:101]
	s_waitcnt lgkmcnt(1)
	v_mul_f64 v[100:101], v[150:151], v[102:103]
	v_fma_f64 v[100:101], v[148:149], v[142:143], -v[100:101]
	v_mul_f64 v[148:149], v[148:149], v[102:103]
	v_fmac_f64_e32 v[148:149], v[150:151], v[142:143]
	s_waitcnt vmcnt(21)
	v_add_f64 v[80:81], v[80:81], -v[100:101]
	s_waitcnt lgkmcnt(0)
	v_mul_f64 v[100:101], v[134:135], v[102:103]
	v_add_f64 v[82:83], v[82:83], -v[148:149]
	v_fma_f64 v[100:101], v[132:133], v[142:143], -v[100:101]
	v_mul_f64 v[132:133], v[132:133], v[102:103]
	ds_read2_b64 v[148:151], v144 offset0:26 offset1:27
	v_fmac_f64_e32 v[132:133], v[134:135], v[142:143]
	s_waitcnt vmcnt(20)
	v_add_f64 v[78:79], v[78:79], -v[132:133]
	ds_read2_b64 v[132:135], v144 offset0:28 offset1:29
	v_add_f64 v[76:77], v[76:77], -v[100:101]
	s_waitcnt lgkmcnt(1)
	v_mul_f64 v[100:101], v[150:151], v[102:103]
	v_fma_f64 v[100:101], v[148:149], v[142:143], -v[100:101]
	v_mul_f64 v[148:149], v[148:149], v[102:103]
	v_fmac_f64_e32 v[148:149], v[150:151], v[142:143]
	s_waitcnt vmcnt(19)
	v_add_f64 v[68:69], v[68:69], -v[100:101]
	s_waitcnt lgkmcnt(0)
	v_mul_f64 v[100:101], v[134:135], v[102:103]
	v_add_f64 v[70:71], v[70:71], -v[148:149]
	v_fma_f64 v[100:101], v[132:133], v[142:143], -v[100:101]
	v_mul_f64 v[132:133], v[132:133], v[102:103]
	ds_read2_b64 v[148:151], v144 offset0:30 offset1:31
	v_fmac_f64_e32 v[132:133], v[134:135], v[142:143]
	s_waitcnt vmcnt(18)
	v_add_f64 v[74:75], v[74:75], -v[132:133]
	ds_read2_b64 v[132:135], v144 offset0:32 offset1:33
	v_add_f64 v[72:73], v[72:73], -v[100:101]
	s_waitcnt lgkmcnt(1)
	v_mul_f64 v[100:101], v[150:151], v[102:103]
	v_fma_f64 v[100:101], v[148:149], v[142:143], -v[100:101]
	v_mul_f64 v[148:149], v[148:149], v[102:103]
	v_fmac_f64_e32 v[148:149], v[150:151], v[142:143]
	s_waitcnt vmcnt(17)
	v_add_f64 v[64:65], v[64:65], -v[100:101]
	s_waitcnt lgkmcnt(0)
	v_mul_f64 v[100:101], v[134:135], v[102:103]
	v_add_f64 v[66:67], v[66:67], -v[148:149]
	v_fma_f64 v[100:101], v[132:133], v[142:143], -v[100:101]
	v_mul_f64 v[132:133], v[132:133], v[102:103]
	ds_read2_b64 v[148:151], v144 offset0:34 offset1:35
	v_fmac_f64_e32 v[132:133], v[134:135], v[142:143]
	s_waitcnt vmcnt(16)
	v_add_f64 v[62:63], v[62:63], -v[132:133]
	ds_read2_b64 v[132:135], v144 offset0:36 offset1:37
	v_add_f64 v[60:61], v[60:61], -v[100:101]
	s_waitcnt lgkmcnt(1)
	v_mul_f64 v[100:101], v[150:151], v[102:103]
	v_fma_f64 v[100:101], v[148:149], v[142:143], -v[100:101]
	v_mul_f64 v[148:149], v[148:149], v[102:103]
	v_fmac_f64_e32 v[148:149], v[150:151], v[142:143]
	s_waitcnt vmcnt(15)
	v_add_f64 v[56:57], v[56:57], -v[100:101]
	s_waitcnt lgkmcnt(0)
	v_mul_f64 v[100:101], v[134:135], v[102:103]
	v_add_f64 v[58:59], v[58:59], -v[148:149]
	v_fma_f64 v[100:101], v[132:133], v[142:143], -v[100:101]
	v_mul_f64 v[132:133], v[132:133], v[102:103]
	ds_read2_b64 v[148:151], v144 offset0:38 offset1:39
	v_fmac_f64_e32 v[132:133], v[134:135], v[142:143]
	s_waitcnt vmcnt(14)
	v_add_f64 v[54:55], v[54:55], -v[132:133]
	ds_read2_b64 v[132:135], v144 offset0:40 offset1:41
	v_add_f64 v[52:53], v[52:53], -v[100:101]
	s_waitcnt lgkmcnt(1)
	v_mul_f64 v[100:101], v[150:151], v[102:103]
	v_fma_f64 v[100:101], v[148:149], v[142:143], -v[100:101]
	v_mul_f64 v[148:149], v[148:149], v[102:103]
	v_fmac_f64_e32 v[148:149], v[150:151], v[142:143]
	s_waitcnt vmcnt(13)
	v_add_f64 v[48:49], v[48:49], -v[100:101]
	s_waitcnt lgkmcnt(0)
	v_mul_f64 v[100:101], v[134:135], v[102:103]
	v_add_f64 v[50:51], v[50:51], -v[148:149]
	v_fma_f64 v[100:101], v[132:133], v[142:143], -v[100:101]
	v_mul_f64 v[132:133], v[132:133], v[102:103]
	ds_read2_b64 v[148:151], v144 offset0:42 offset1:43
	v_fmac_f64_e32 v[132:133], v[134:135], v[142:143]
	s_waitcnt vmcnt(12)
	v_add_f64 v[46:47], v[46:47], -v[132:133]
	ds_read2_b64 v[132:135], v144 offset0:44 offset1:45
	v_add_f64 v[44:45], v[44:45], -v[100:101]
	s_waitcnt lgkmcnt(1)
	v_mul_f64 v[100:101], v[150:151], v[102:103]
	v_fma_f64 v[100:101], v[148:149], v[142:143], -v[100:101]
	v_mul_f64 v[148:149], v[148:149], v[102:103]
	v_fmac_f64_e32 v[148:149], v[150:151], v[142:143]
	s_waitcnt vmcnt(11)
	v_add_f64 v[40:41], v[40:41], -v[100:101]
	s_waitcnt lgkmcnt(0)
	v_mul_f64 v[100:101], v[134:135], v[102:103]
	v_add_f64 v[42:43], v[42:43], -v[148:149]
	v_fma_f64 v[100:101], v[132:133], v[142:143], -v[100:101]
	v_mul_f64 v[132:133], v[132:133], v[102:103]
	ds_read2_b64 v[148:151], v144 offset0:46 offset1:47
	v_fmac_f64_e32 v[132:133], v[134:135], v[142:143]
	s_waitcnt vmcnt(10)
	v_add_f64 v[38:39], v[38:39], -v[132:133]
	ds_read2_b64 v[132:135], v144 offset0:48 offset1:49
	v_add_f64 v[36:37], v[36:37], -v[100:101]
	s_waitcnt lgkmcnt(1)
	v_mul_f64 v[100:101], v[150:151], v[102:103]
	v_fma_f64 v[100:101], v[148:149], v[142:143], -v[100:101]
	v_mul_f64 v[148:149], v[148:149], v[102:103]
	v_fmac_f64_e32 v[148:149], v[150:151], v[142:143]
	s_waitcnt vmcnt(9)
	v_add_f64 v[32:33], v[32:33], -v[100:101]
	s_waitcnt lgkmcnt(0)
	v_mul_f64 v[100:101], v[134:135], v[102:103]
	v_add_f64 v[34:35], v[34:35], -v[148:149]
	v_fma_f64 v[100:101], v[132:133], v[142:143], -v[100:101]
	v_mul_f64 v[132:133], v[132:133], v[102:103]
	ds_read2_b64 v[148:151], v144 offset0:50 offset1:51
	v_fmac_f64_e32 v[132:133], v[134:135], v[142:143]
	s_waitcnt vmcnt(8)
	v_add_f64 v[30:31], v[30:31], -v[132:133]
	ds_read2_b64 v[132:135], v144 offset0:52 offset1:53
	v_add_f64 v[28:29], v[28:29], -v[100:101]
	s_waitcnt lgkmcnt(1)
	v_mul_f64 v[100:101], v[150:151], v[102:103]
	v_fma_f64 v[100:101], v[148:149], v[142:143], -v[100:101]
	v_mul_f64 v[148:149], v[148:149], v[102:103]
	v_fmac_f64_e32 v[148:149], v[150:151], v[142:143]
	s_waitcnt vmcnt(7)
	v_add_f64 v[24:25], v[24:25], -v[100:101]
	s_waitcnt lgkmcnt(0)
	v_mul_f64 v[100:101], v[134:135], v[102:103]
	v_add_f64 v[26:27], v[26:27], -v[148:149]
	v_fma_f64 v[100:101], v[132:133], v[142:143], -v[100:101]
	v_mul_f64 v[132:133], v[132:133], v[102:103]
	ds_read2_b64 v[148:151], v144 offset0:54 offset1:55
	v_fmac_f64_e32 v[132:133], v[134:135], v[142:143]
	s_waitcnt vmcnt(6)
	v_add_f64 v[22:23], v[22:23], -v[132:133]
	ds_read2_b64 v[132:135], v144 offset0:56 offset1:57
	v_add_f64 v[20:21], v[20:21], -v[100:101]
	s_waitcnt lgkmcnt(1)
	v_mul_f64 v[100:101], v[150:151], v[102:103]
	v_fma_f64 v[100:101], v[148:149], v[142:143], -v[100:101]
	v_mul_f64 v[148:149], v[148:149], v[102:103]
	v_fmac_f64_e32 v[148:149], v[150:151], v[142:143]
	s_waitcnt vmcnt(5)
	v_add_f64 v[16:17], v[16:17], -v[100:101]
	s_waitcnt lgkmcnt(0)
	v_mul_f64 v[100:101], v[134:135], v[102:103]
	v_add_f64 v[18:19], v[18:19], -v[148:149]
	v_fma_f64 v[100:101], v[132:133], v[142:143], -v[100:101]
	v_mul_f64 v[132:133], v[132:133], v[102:103]
	ds_read2_b64 v[148:151], v144 offset0:58 offset1:59
	v_fmac_f64_e32 v[132:133], v[134:135], v[142:143]
	s_waitcnt vmcnt(4)
	v_add_f64 v[14:15], v[14:15], -v[132:133]
	ds_read2_b64 v[132:135], v144 offset0:60 offset1:61
	v_add_f64 v[12:13], v[12:13], -v[100:101]
	s_waitcnt lgkmcnt(1)
	v_mul_f64 v[100:101], v[150:151], v[102:103]
	v_fma_f64 v[100:101], v[148:149], v[142:143], -v[100:101]
	v_mul_f64 v[148:149], v[148:149], v[102:103]
	v_fmac_f64_e32 v[148:149], v[150:151], v[142:143]
	s_waitcnt vmcnt(3)
	v_add_f64 v[8:9], v[8:9], -v[100:101]
	s_waitcnt lgkmcnt(0)
	v_mul_f64 v[100:101], v[134:135], v[102:103]
	v_add_f64 v[10:11], v[10:11], -v[148:149]
	v_fma_f64 v[100:101], v[132:133], v[142:143], -v[100:101]
	v_mul_f64 v[132:133], v[132:133], v[102:103]
	ds_read2_b64 v[148:151], v144 offset0:62 offset1:63
	v_fmac_f64_e32 v[132:133], v[134:135], v[142:143]
	s_waitcnt vmcnt(2)
	v_add_f64 v[6:7], v[6:7], -v[132:133]
	ds_read2_b64 v[132:135], v144 offset0:64 offset1:65
	v_add_f64 v[4:5], v[4:5], -v[100:101]
	s_waitcnt lgkmcnt(1)
	v_mul_f64 v[100:101], v[150:151], v[102:103]
	v_fma_f64 v[100:101], v[148:149], v[142:143], -v[100:101]
	s_waitcnt vmcnt(1)
	v_add_f64 v[0:1], v[0:1], -v[100:101]
	s_waitcnt lgkmcnt(0)
	v_mul_f64 v[100:101], v[134:135], v[102:103]
	v_mul_f64 v[148:149], v[148:149], v[102:103]
	v_fma_f64 v[100:101], v[132:133], v[142:143], -v[100:101]
	v_mul_f64 v[132:133], v[132:133], v[102:103]
	v_fmac_f64_e32 v[148:149], v[150:151], v[142:143]
	v_fmac_f64_e32 v[132:133], v[134:135], v[142:143]
	v_add_f64 v[2:3], v[2:3], -v[148:149]
	s_waitcnt vmcnt(0)
	v_add_f64 v[128:129], v[128:129], -v[100:101]
	v_add_f64 v[130:131], v[130:131], -v[132:133]
	v_mov_b64_e32 v[100:101], v[142:143]
.LBB64_188:
	s_or_b64 exec, exec, s[0:1]
	v_lshl_add_u32 v132, v145, 4, v144
	s_barrier
	s_waitcnt vmcnt(23)
	ds_write2_b64 v132, v[96:97], v[98:99] offset1:1
	s_waitcnt lgkmcnt(0)
	s_barrier
	ds_read2_b64 v[132:135], v144 offset0:18 offset1:19
	s_cmp_lt_i32 s20, 11
	v_mov_b32_e32 v142, 9
	s_cbranch_scc1 .LBB64_191
; %bb.189:
	v_add_u32_e32 v143, 0xa0, v144
	s_mov_b32 s16, 10
	v_mov_b32_e32 v142, 9
.LBB64_190:                             ; =>This Inner Loop Header: Depth=1
	ds_read2_b64 v[148:151], v143 offset1:1
	s_waitcnt lgkmcnt(1)
	v_xor_b32_e32 v153, 0x80000000, v133
	v_xor_b32_e32 v155, 0x80000000, v135
	v_cmp_gt_f64_e32 vcc, 0, v[134:135]
	v_cmp_gt_f64_e64 s[0:1], 0, v[132:133]
	v_mov_b32_e32 v152, v132
	v_mov_b32_e32 v154, v134
	v_cndmask_b32_e64 v153, v133, v153, s[0:1]
	v_cndmask_b32_e32 v155, v135, v155, vcc
	v_add_f64 v[152:153], v[152:153], v[154:155]
	s_waitcnt lgkmcnt(0)
	v_xor_b32_e32 v155, 0x80000000, v149
	v_xor_b32_e32 v157, 0x80000000, v151
	v_cmp_gt_f64_e32 vcc, 0, v[150:151]
	v_cmp_gt_f64_e64 s[0:1], 0, v[148:149]
	v_mov_b32_e32 v154, v148
	v_mov_b32_e32 v156, v150
	v_cndmask_b32_e64 v155, v149, v155, s[0:1]
	v_cndmask_b32_e32 v157, v151, v157, vcc
	v_add_f64 v[154:155], v[154:155], v[156:157]
	v_mov_b32_e32 v158, s16
	s_add_i32 s16, s16, 1
	v_cmp_lt_f64_e32 vcc, v[152:153], v[154:155]
	v_add_u32_e32 v143, 16, v143
	s_cmp_lg_u32 s20, s16
	v_cndmask_b32_e32 v133, v133, v149, vcc
	v_cndmask_b32_e32 v132, v132, v148, vcc
	;; [unrolled: 1-line block ×5, first 2 shown]
	s_cbranch_scc1 .LBB64_190
.LBB64_191:
	s_waitcnt lgkmcnt(0)
	v_cmp_eq_f64_e32 vcc, 0, v[132:133]
	v_cmp_eq_f64_e64 s[0:1], 0, v[134:135]
	s_and_b64 s[0:1], vcc, s[0:1]
	s_and_saveexec_b64 s[16:17], s[0:1]
	s_xor_b64 s[0:1], exec, s[16:17]
; %bb.192:
	v_cmp_ne_u32_e32 vcc, 0, v146
	s_nop 1
	v_cndmask_b32_e32 v146, 10, v146, vcc
; %bb.193:
	s_andn2_saveexec_b64 s[0:1], s[0:1]
	s_cbranch_execz .LBB64_199
; %bb.194:
	v_cmp_ngt_f64_e64 s[16:17], |v[132:133]|, |v[134:135]|
	s_and_saveexec_b64 s[18:19], s[16:17]
	s_xor_b64 s[16:17], exec, s[18:19]
	s_cbranch_execz .LBB64_196
; %bb.195:
	v_div_scale_f64 v[148:149], s[18:19], v[134:135], v[134:135], v[132:133]
	v_rcp_f64_e32 v[150:151], v[148:149]
	v_div_scale_f64 v[152:153], vcc, v[132:133], v[134:135], v[132:133]
	v_fma_f64 v[154:155], -v[148:149], v[150:151], 1.0
	v_fmac_f64_e32 v[150:151], v[150:151], v[154:155]
	v_fma_f64 v[154:155], -v[148:149], v[150:151], 1.0
	v_fmac_f64_e32 v[150:151], v[150:151], v[154:155]
	v_mul_f64 v[154:155], v[152:153], v[150:151]
	v_fma_f64 v[148:149], -v[148:149], v[154:155], v[152:153]
	v_div_fmas_f64 v[148:149], v[148:149], v[150:151], v[154:155]
	v_div_fixup_f64 v[148:149], v[148:149], v[134:135], v[132:133]
	v_fmac_f64_e32 v[134:135], v[132:133], v[148:149]
	v_div_scale_f64 v[132:133], s[18:19], v[134:135], v[134:135], 1.0
	v_rcp_f64_e32 v[150:151], v[132:133]
	s_nop 0
	v_fma_f64 v[152:153], -v[132:133], v[150:151], 1.0
	v_fmac_f64_e32 v[150:151], v[150:151], v[152:153]
	v_fma_f64 v[152:153], -v[132:133], v[150:151], 1.0
	v_fmac_f64_e32 v[150:151], v[150:151], v[152:153]
	v_div_scale_f64 v[152:153], vcc, 1.0, v[134:135], 1.0
	v_mul_f64 v[154:155], v[152:153], v[150:151]
	v_fma_f64 v[132:133], -v[132:133], v[154:155], v[152:153]
	s_nop 1
	v_div_fmas_f64 v[132:133], v[132:133], v[150:151], v[154:155]
	v_div_fixup_f64 v[134:135], v[132:133], v[134:135], 1.0
	v_mul_f64 v[132:133], v[148:149], v[134:135]
	v_xor_b32_e32 v135, 0x80000000, v135
.LBB64_196:
	s_andn2_saveexec_b64 s[16:17], s[16:17]
	s_cbranch_execz .LBB64_198
; %bb.197:
	v_div_scale_f64 v[148:149], s[18:19], v[132:133], v[132:133], v[134:135]
	v_rcp_f64_e32 v[150:151], v[148:149]
	v_div_scale_f64 v[152:153], vcc, v[134:135], v[132:133], v[134:135]
	v_fma_f64 v[154:155], -v[148:149], v[150:151], 1.0
	v_fmac_f64_e32 v[150:151], v[150:151], v[154:155]
	v_fma_f64 v[154:155], -v[148:149], v[150:151], 1.0
	v_fmac_f64_e32 v[150:151], v[150:151], v[154:155]
	v_mul_f64 v[154:155], v[152:153], v[150:151]
	v_fma_f64 v[148:149], -v[148:149], v[154:155], v[152:153]
	v_div_fmas_f64 v[148:149], v[148:149], v[150:151], v[154:155]
	v_div_fixup_f64 v[148:149], v[148:149], v[132:133], v[134:135]
	v_fmac_f64_e32 v[132:133], v[134:135], v[148:149]
	v_div_scale_f64 v[134:135], s[18:19], v[132:133], v[132:133], 1.0
	v_rcp_f64_e32 v[150:151], v[134:135]
	s_nop 0
	v_fma_f64 v[152:153], -v[134:135], v[150:151], 1.0
	v_fmac_f64_e32 v[150:151], v[150:151], v[152:153]
	v_fma_f64 v[152:153], -v[134:135], v[150:151], 1.0
	v_fmac_f64_e32 v[150:151], v[150:151], v[152:153]
	v_div_scale_f64 v[152:153], vcc, 1.0, v[132:133], 1.0
	v_mul_f64 v[154:155], v[152:153], v[150:151]
	v_fma_f64 v[134:135], -v[134:135], v[154:155], v[152:153]
	s_nop 1
	v_div_fmas_f64 v[134:135], v[134:135], v[150:151], v[154:155]
	v_div_fixup_f64 v[132:133], v[134:135], v[132:133], 1.0
	v_mul_f64 v[134:135], v[148:149], -v[132:133]
.LBB64_198:
	s_or_b64 exec, exec, s[16:17]
.LBB64_199:
	s_or_b64 exec, exec, s[0:1]
	v_cmp_ne_u32_e32 vcc, v145, v142
	s_and_saveexec_b64 s[0:1], vcc
	s_xor_b64 s[0:1], exec, s[0:1]
	s_cbranch_execz .LBB64_205
; %bb.200:
	v_cmp_eq_u32_e32 vcc, 9, v145
	s_and_saveexec_b64 s[16:17], vcc
	s_cbranch_execz .LBB64_204
; %bb.201:
	v_cmp_ne_u32_e32 vcc, 9, v142
	s_xor_b64 s[18:19], s[14:15], -1
	s_and_b64 s[22:23], s[18:19], vcc
	s_and_saveexec_b64 s[18:19], s[22:23]
	s_cbranch_execz .LBB64_203
; %bb.202:
	v_ashrrev_i32_e32 v143, 31, v142
	v_lshl_add_u64 v[148:149], v[142:143], 2, v[140:141]
	global_load_dword v143, v[148:149], off
	global_load_dword v145, v[140:141], off offset:36
	s_waitcnt vmcnt(1)
	global_store_dword v[140:141], v143, off offset:36
	s_waitcnt vmcnt(1)
	global_store_dword v[148:149], v145, off
.LBB64_203:
	s_or_b64 exec, exec, s[18:19]
	v_mov_b32_e32 v145, v142
	v_mov_b32_e32 v147, v142
.LBB64_204:
	s_or_b64 exec, exec, s[16:17]
.LBB64_205:
	s_andn2_saveexec_b64 s[0:1], s[0:1]
	s_cbranch_execz .LBB64_207
; %bb.206:
	v_mov_b32_e32 v145, 9
	s_waitcnt vmcnt(22)
	ds_write2_b64 v144, v[88:89], v[90:91] offset0:20 offset1:21
	s_waitcnt vmcnt(21)
	ds_write2_b64 v144, v[80:81], v[82:83] offset0:22 offset1:23
	;; [unrolled: 2-line block ×23, first 2 shown]
.LBB64_207:
	s_or_b64 exec, exec, s[0:1]
	v_cmp_lt_i32_e32 vcc, 9, v145
	s_waitcnt lgkmcnt(0)
	s_barrier
	s_and_saveexec_b64 s[0:1], vcc
	s_cbranch_execz .LBB64_209
; %bb.208:
	ds_read2_b64 v[148:151], v144 offset0:20 offset1:21
	v_mul_f64 v[142:143], v[134:135], v[98:99]
	v_mul_f64 v[98:99], v[132:133], v[98:99]
	v_fmac_f64_e32 v[98:99], v[134:135], v[96:97]
	v_fma_f64 v[142:143], v[132:133], v[96:97], -v[142:143]
	ds_read2_b64 v[132:135], v144 offset0:22 offset1:23
	s_waitcnt lgkmcnt(1)
	v_mul_f64 v[96:97], v[150:151], v[98:99]
	v_fma_f64 v[96:97], v[148:149], v[142:143], -v[96:97]
	v_mul_f64 v[148:149], v[148:149], v[98:99]
	v_fmac_f64_e32 v[148:149], v[150:151], v[142:143]
	s_waitcnt vmcnt(22)
	v_add_f64 v[90:91], v[90:91], -v[148:149]
	ds_read2_b64 v[148:151], v144 offset0:24 offset1:25
	v_add_f64 v[88:89], v[88:89], -v[96:97]
	s_waitcnt lgkmcnt(1)
	v_mul_f64 v[96:97], v[134:135], v[98:99]
	v_fma_f64 v[96:97], v[132:133], v[142:143], -v[96:97]
	v_mul_f64 v[132:133], v[132:133], v[98:99]
	v_fmac_f64_e32 v[132:133], v[134:135], v[142:143]
	s_waitcnt vmcnt(21)
	v_add_f64 v[80:81], v[80:81], -v[96:97]
	v_add_f64 v[82:83], v[82:83], -v[132:133]
	ds_read2_b64 v[132:135], v144 offset0:26 offset1:27
	s_waitcnt lgkmcnt(1)
	v_mul_f64 v[96:97], v[150:151], v[98:99]
	v_fma_f64 v[96:97], v[148:149], v[142:143], -v[96:97]
	v_mul_f64 v[148:149], v[148:149], v[98:99]
	v_fmac_f64_e32 v[148:149], v[150:151], v[142:143]
	s_waitcnt vmcnt(20)
	v_add_f64 v[78:79], v[78:79], -v[148:149]
	ds_read2_b64 v[148:151], v144 offset0:28 offset1:29
	v_add_f64 v[76:77], v[76:77], -v[96:97]
	s_waitcnt lgkmcnt(1)
	v_mul_f64 v[96:97], v[134:135], v[98:99]
	v_fma_f64 v[96:97], v[132:133], v[142:143], -v[96:97]
	v_mul_f64 v[132:133], v[132:133], v[98:99]
	v_fmac_f64_e32 v[132:133], v[134:135], v[142:143]
	s_waitcnt vmcnt(19)
	v_add_f64 v[68:69], v[68:69], -v[96:97]
	v_add_f64 v[70:71], v[70:71], -v[132:133]
	;; [unrolled: 18-line block ×11, first 2 shown]
	s_waitcnt lgkmcnt(0)
	v_mul_f64 v[96:97], v[150:151], v[98:99]
	v_mul_f64 v[132:133], v[148:149], v[98:99]
	v_fma_f64 v[96:97], v[148:149], v[142:143], -v[96:97]
	v_fmac_f64_e32 v[132:133], v[150:151], v[142:143]
	s_waitcnt vmcnt(0)
	v_add_f64 v[128:129], v[128:129], -v[96:97]
	v_add_f64 v[130:131], v[130:131], -v[132:133]
	v_mov_b64_e32 v[96:97], v[142:143]
.LBB64_209:
	s_or_b64 exec, exec, s[0:1]
	v_lshl_add_u32 v132, v145, 4, v144
	s_barrier
	s_waitcnt vmcnt(22)
	ds_write2_b64 v132, v[88:89], v[90:91] offset1:1
	s_waitcnt lgkmcnt(0)
	s_barrier
	ds_read2_b64 v[132:135], v144 offset0:20 offset1:21
	s_cmp_lt_i32 s20, 12
	v_mov_b32_e32 v142, 10
	s_cbranch_scc1 .LBB64_212
; %bb.210:
	v_add_u32_e32 v143, 0xb0, v144
	s_mov_b32 s16, 11
	v_mov_b32_e32 v142, 10
.LBB64_211:                             ; =>This Inner Loop Header: Depth=1
	ds_read2_b64 v[148:151], v143 offset1:1
	s_waitcnt lgkmcnt(1)
	v_xor_b32_e32 v153, 0x80000000, v133
	v_xor_b32_e32 v155, 0x80000000, v135
	v_cmp_gt_f64_e32 vcc, 0, v[134:135]
	v_cmp_gt_f64_e64 s[0:1], 0, v[132:133]
	v_mov_b32_e32 v152, v132
	v_mov_b32_e32 v154, v134
	v_cndmask_b32_e64 v153, v133, v153, s[0:1]
	v_cndmask_b32_e32 v155, v135, v155, vcc
	v_add_f64 v[152:153], v[152:153], v[154:155]
	s_waitcnt lgkmcnt(0)
	v_xor_b32_e32 v155, 0x80000000, v149
	v_xor_b32_e32 v157, 0x80000000, v151
	v_cmp_gt_f64_e32 vcc, 0, v[150:151]
	v_cmp_gt_f64_e64 s[0:1], 0, v[148:149]
	v_mov_b32_e32 v154, v148
	v_mov_b32_e32 v156, v150
	v_cndmask_b32_e64 v155, v149, v155, s[0:1]
	v_cndmask_b32_e32 v157, v151, v157, vcc
	v_add_f64 v[154:155], v[154:155], v[156:157]
	v_mov_b32_e32 v158, s16
	s_add_i32 s16, s16, 1
	v_cmp_lt_f64_e32 vcc, v[152:153], v[154:155]
	v_add_u32_e32 v143, 16, v143
	s_cmp_lg_u32 s20, s16
	v_cndmask_b32_e32 v133, v133, v149, vcc
	v_cndmask_b32_e32 v132, v132, v148, vcc
	;; [unrolled: 1-line block ×5, first 2 shown]
	s_cbranch_scc1 .LBB64_211
.LBB64_212:
	s_waitcnt lgkmcnt(0)
	v_cmp_eq_f64_e32 vcc, 0, v[132:133]
	v_cmp_eq_f64_e64 s[0:1], 0, v[134:135]
	s_and_b64 s[0:1], vcc, s[0:1]
	s_and_saveexec_b64 s[16:17], s[0:1]
	s_xor_b64 s[0:1], exec, s[16:17]
; %bb.213:
	v_cmp_ne_u32_e32 vcc, 0, v146
	s_nop 1
	v_cndmask_b32_e32 v146, 11, v146, vcc
; %bb.214:
	s_andn2_saveexec_b64 s[0:1], s[0:1]
	s_cbranch_execz .LBB64_220
; %bb.215:
	v_cmp_ngt_f64_e64 s[16:17], |v[132:133]|, |v[134:135]|
	s_and_saveexec_b64 s[18:19], s[16:17]
	s_xor_b64 s[16:17], exec, s[18:19]
	s_cbranch_execz .LBB64_217
; %bb.216:
	v_div_scale_f64 v[148:149], s[18:19], v[134:135], v[134:135], v[132:133]
	v_rcp_f64_e32 v[150:151], v[148:149]
	v_div_scale_f64 v[152:153], vcc, v[132:133], v[134:135], v[132:133]
	v_fma_f64 v[154:155], -v[148:149], v[150:151], 1.0
	v_fmac_f64_e32 v[150:151], v[150:151], v[154:155]
	v_fma_f64 v[154:155], -v[148:149], v[150:151], 1.0
	v_fmac_f64_e32 v[150:151], v[150:151], v[154:155]
	v_mul_f64 v[154:155], v[152:153], v[150:151]
	v_fma_f64 v[148:149], -v[148:149], v[154:155], v[152:153]
	v_div_fmas_f64 v[148:149], v[148:149], v[150:151], v[154:155]
	v_div_fixup_f64 v[148:149], v[148:149], v[134:135], v[132:133]
	v_fmac_f64_e32 v[134:135], v[132:133], v[148:149]
	v_div_scale_f64 v[132:133], s[18:19], v[134:135], v[134:135], 1.0
	v_rcp_f64_e32 v[150:151], v[132:133]
	s_nop 0
	v_fma_f64 v[152:153], -v[132:133], v[150:151], 1.0
	v_fmac_f64_e32 v[150:151], v[150:151], v[152:153]
	v_fma_f64 v[152:153], -v[132:133], v[150:151], 1.0
	v_fmac_f64_e32 v[150:151], v[150:151], v[152:153]
	v_div_scale_f64 v[152:153], vcc, 1.0, v[134:135], 1.0
	v_mul_f64 v[154:155], v[152:153], v[150:151]
	v_fma_f64 v[132:133], -v[132:133], v[154:155], v[152:153]
	s_nop 1
	v_div_fmas_f64 v[132:133], v[132:133], v[150:151], v[154:155]
	v_div_fixup_f64 v[134:135], v[132:133], v[134:135], 1.0
	v_mul_f64 v[132:133], v[148:149], v[134:135]
	v_xor_b32_e32 v135, 0x80000000, v135
.LBB64_217:
	s_andn2_saveexec_b64 s[16:17], s[16:17]
	s_cbranch_execz .LBB64_219
; %bb.218:
	v_div_scale_f64 v[148:149], s[18:19], v[132:133], v[132:133], v[134:135]
	v_rcp_f64_e32 v[150:151], v[148:149]
	v_div_scale_f64 v[152:153], vcc, v[134:135], v[132:133], v[134:135]
	v_fma_f64 v[154:155], -v[148:149], v[150:151], 1.0
	v_fmac_f64_e32 v[150:151], v[150:151], v[154:155]
	v_fma_f64 v[154:155], -v[148:149], v[150:151], 1.0
	v_fmac_f64_e32 v[150:151], v[150:151], v[154:155]
	v_mul_f64 v[154:155], v[152:153], v[150:151]
	v_fma_f64 v[148:149], -v[148:149], v[154:155], v[152:153]
	v_div_fmas_f64 v[148:149], v[148:149], v[150:151], v[154:155]
	v_div_fixup_f64 v[148:149], v[148:149], v[132:133], v[134:135]
	v_fmac_f64_e32 v[132:133], v[134:135], v[148:149]
	v_div_scale_f64 v[134:135], s[18:19], v[132:133], v[132:133], 1.0
	v_rcp_f64_e32 v[150:151], v[134:135]
	s_nop 0
	v_fma_f64 v[152:153], -v[134:135], v[150:151], 1.0
	v_fmac_f64_e32 v[150:151], v[150:151], v[152:153]
	v_fma_f64 v[152:153], -v[134:135], v[150:151], 1.0
	v_fmac_f64_e32 v[150:151], v[150:151], v[152:153]
	v_div_scale_f64 v[152:153], vcc, 1.0, v[132:133], 1.0
	v_mul_f64 v[154:155], v[152:153], v[150:151]
	v_fma_f64 v[134:135], -v[134:135], v[154:155], v[152:153]
	s_nop 1
	v_div_fmas_f64 v[134:135], v[134:135], v[150:151], v[154:155]
	v_div_fixup_f64 v[132:133], v[134:135], v[132:133], 1.0
	v_mul_f64 v[134:135], v[148:149], -v[132:133]
.LBB64_219:
	s_or_b64 exec, exec, s[16:17]
.LBB64_220:
	s_or_b64 exec, exec, s[0:1]
	v_cmp_ne_u32_e32 vcc, v145, v142
	s_and_saveexec_b64 s[0:1], vcc
	s_xor_b64 s[0:1], exec, s[0:1]
	s_cbranch_execz .LBB64_226
; %bb.221:
	v_cmp_eq_u32_e32 vcc, 10, v145
	s_and_saveexec_b64 s[16:17], vcc
	s_cbranch_execz .LBB64_225
; %bb.222:
	v_cmp_ne_u32_e32 vcc, 10, v142
	s_xor_b64 s[18:19], s[14:15], -1
	s_and_b64 s[22:23], s[18:19], vcc
	s_and_saveexec_b64 s[18:19], s[22:23]
	s_cbranch_execz .LBB64_224
; %bb.223:
	v_ashrrev_i32_e32 v143, 31, v142
	v_lshl_add_u64 v[148:149], v[142:143], 2, v[140:141]
	global_load_dword v143, v[148:149], off
	global_load_dword v145, v[140:141], off offset:40
	s_waitcnt vmcnt(1)
	global_store_dword v[140:141], v143, off offset:40
	s_waitcnt vmcnt(1)
	global_store_dword v[148:149], v145, off
.LBB64_224:
	s_or_b64 exec, exec, s[18:19]
	v_mov_b32_e32 v145, v142
	v_mov_b32_e32 v147, v142
.LBB64_225:
	s_or_b64 exec, exec, s[16:17]
.LBB64_226:
	s_andn2_saveexec_b64 s[0:1], s[0:1]
	s_cbranch_execz .LBB64_228
; %bb.227:
	v_mov_b32_e32 v145, 10
	s_waitcnt vmcnt(21)
	ds_write2_b64 v144, v[80:81], v[82:83] offset0:22 offset1:23
	s_waitcnt vmcnt(20)
	ds_write2_b64 v144, v[76:77], v[78:79] offset0:24 offset1:25
	;; [unrolled: 2-line block ×22, first 2 shown]
.LBB64_228:
	s_or_b64 exec, exec, s[0:1]
	v_cmp_lt_i32_e32 vcc, 10, v145
	s_waitcnt lgkmcnt(0)
	s_barrier
	s_and_saveexec_b64 s[0:1], vcc
	s_cbranch_execz .LBB64_230
; %bb.229:
	ds_read2_b64 v[148:151], v144 offset0:22 offset1:23
	v_mul_f64 v[142:143], v[134:135], v[90:91]
	v_mul_f64 v[90:91], v[132:133], v[90:91]
	v_fma_f64 v[142:143], v[132:133], v[88:89], -v[142:143]
	v_fmac_f64_e32 v[90:91], v[134:135], v[88:89]
	ds_read2_b64 v[132:135], v144 offset0:24 offset1:25
	s_waitcnt lgkmcnt(1)
	v_mul_f64 v[88:89], v[150:151], v[90:91]
	v_fma_f64 v[88:89], v[148:149], v[142:143], -v[88:89]
	v_mul_f64 v[148:149], v[148:149], v[90:91]
	v_fmac_f64_e32 v[148:149], v[150:151], v[142:143]
	s_waitcnt vmcnt(21)
	v_add_f64 v[80:81], v[80:81], -v[88:89]
	s_waitcnt lgkmcnt(0)
	v_mul_f64 v[88:89], v[134:135], v[90:91]
	v_add_f64 v[82:83], v[82:83], -v[148:149]
	v_fma_f64 v[88:89], v[132:133], v[142:143], -v[88:89]
	v_mul_f64 v[132:133], v[132:133], v[90:91]
	ds_read2_b64 v[148:151], v144 offset0:26 offset1:27
	v_fmac_f64_e32 v[132:133], v[134:135], v[142:143]
	s_waitcnt vmcnt(20)
	v_add_f64 v[78:79], v[78:79], -v[132:133]
	ds_read2_b64 v[132:135], v144 offset0:28 offset1:29
	v_add_f64 v[76:77], v[76:77], -v[88:89]
	s_waitcnt lgkmcnt(1)
	v_mul_f64 v[88:89], v[150:151], v[90:91]
	v_fma_f64 v[88:89], v[148:149], v[142:143], -v[88:89]
	v_mul_f64 v[148:149], v[148:149], v[90:91]
	v_fmac_f64_e32 v[148:149], v[150:151], v[142:143]
	s_waitcnt vmcnt(19)
	v_add_f64 v[68:69], v[68:69], -v[88:89]
	s_waitcnt lgkmcnt(0)
	v_mul_f64 v[88:89], v[134:135], v[90:91]
	v_add_f64 v[70:71], v[70:71], -v[148:149]
	v_fma_f64 v[88:89], v[132:133], v[142:143], -v[88:89]
	v_mul_f64 v[132:133], v[132:133], v[90:91]
	ds_read2_b64 v[148:151], v144 offset0:30 offset1:31
	v_fmac_f64_e32 v[132:133], v[134:135], v[142:143]
	s_waitcnt vmcnt(18)
	v_add_f64 v[74:75], v[74:75], -v[132:133]
	ds_read2_b64 v[132:135], v144 offset0:32 offset1:33
	v_add_f64 v[72:73], v[72:73], -v[88:89]
	;; [unrolled: 18-line block ×10, first 2 shown]
	s_waitcnt lgkmcnt(1)
	v_mul_f64 v[88:89], v[150:151], v[90:91]
	v_fma_f64 v[88:89], v[148:149], v[142:143], -v[88:89]
	s_waitcnt vmcnt(1)
	v_add_f64 v[0:1], v[0:1], -v[88:89]
	s_waitcnt lgkmcnt(0)
	v_mul_f64 v[88:89], v[134:135], v[90:91]
	v_mul_f64 v[148:149], v[148:149], v[90:91]
	v_fma_f64 v[88:89], v[132:133], v[142:143], -v[88:89]
	v_mul_f64 v[132:133], v[132:133], v[90:91]
	v_fmac_f64_e32 v[148:149], v[150:151], v[142:143]
	v_fmac_f64_e32 v[132:133], v[134:135], v[142:143]
	v_add_f64 v[2:3], v[2:3], -v[148:149]
	s_waitcnt vmcnt(0)
	v_add_f64 v[128:129], v[128:129], -v[88:89]
	v_add_f64 v[130:131], v[130:131], -v[132:133]
	v_mov_b64_e32 v[88:89], v[142:143]
.LBB64_230:
	s_or_b64 exec, exec, s[0:1]
	v_lshl_add_u32 v132, v145, 4, v144
	s_barrier
	s_waitcnt vmcnt(21)
	ds_write2_b64 v132, v[80:81], v[82:83] offset1:1
	s_waitcnt lgkmcnt(0)
	s_barrier
	ds_read2_b64 v[132:135], v144 offset0:22 offset1:23
	s_cmp_lt_i32 s20, 13
	v_mov_b32_e32 v142, 11
	s_cbranch_scc1 .LBB64_233
; %bb.231:
	v_add_u32_e32 v143, 0xc0, v144
	s_mov_b32 s16, 12
	v_mov_b32_e32 v142, 11
.LBB64_232:                             ; =>This Inner Loop Header: Depth=1
	ds_read2_b64 v[148:151], v143 offset1:1
	s_waitcnt lgkmcnt(1)
	v_xor_b32_e32 v153, 0x80000000, v133
	v_xor_b32_e32 v155, 0x80000000, v135
	v_cmp_gt_f64_e32 vcc, 0, v[134:135]
	v_cmp_gt_f64_e64 s[0:1], 0, v[132:133]
	v_mov_b32_e32 v152, v132
	v_mov_b32_e32 v154, v134
	v_cndmask_b32_e64 v153, v133, v153, s[0:1]
	v_cndmask_b32_e32 v155, v135, v155, vcc
	v_add_f64 v[152:153], v[152:153], v[154:155]
	s_waitcnt lgkmcnt(0)
	v_xor_b32_e32 v155, 0x80000000, v149
	v_xor_b32_e32 v157, 0x80000000, v151
	v_cmp_gt_f64_e32 vcc, 0, v[150:151]
	v_cmp_gt_f64_e64 s[0:1], 0, v[148:149]
	v_mov_b32_e32 v154, v148
	v_mov_b32_e32 v156, v150
	v_cndmask_b32_e64 v155, v149, v155, s[0:1]
	v_cndmask_b32_e32 v157, v151, v157, vcc
	v_add_f64 v[154:155], v[154:155], v[156:157]
	v_mov_b32_e32 v158, s16
	s_add_i32 s16, s16, 1
	v_cmp_lt_f64_e32 vcc, v[152:153], v[154:155]
	v_add_u32_e32 v143, 16, v143
	s_cmp_lg_u32 s20, s16
	v_cndmask_b32_e32 v133, v133, v149, vcc
	v_cndmask_b32_e32 v132, v132, v148, vcc
	v_cndmask_b32_e32 v135, v135, v151, vcc
	v_cndmask_b32_e32 v134, v134, v150, vcc
	v_cndmask_b32_e32 v142, v142, v158, vcc
	s_cbranch_scc1 .LBB64_232
.LBB64_233:
	s_waitcnt lgkmcnt(0)
	v_cmp_eq_f64_e32 vcc, 0, v[132:133]
	v_cmp_eq_f64_e64 s[0:1], 0, v[134:135]
	s_and_b64 s[0:1], vcc, s[0:1]
	s_and_saveexec_b64 s[16:17], s[0:1]
	s_xor_b64 s[0:1], exec, s[16:17]
; %bb.234:
	v_cmp_ne_u32_e32 vcc, 0, v146
	s_nop 1
	v_cndmask_b32_e32 v146, 12, v146, vcc
; %bb.235:
	s_andn2_saveexec_b64 s[0:1], s[0:1]
	s_cbranch_execz .LBB64_241
; %bb.236:
	v_cmp_ngt_f64_e64 s[16:17], |v[132:133]|, |v[134:135]|
	s_and_saveexec_b64 s[18:19], s[16:17]
	s_xor_b64 s[16:17], exec, s[18:19]
	s_cbranch_execz .LBB64_238
; %bb.237:
	v_div_scale_f64 v[148:149], s[18:19], v[134:135], v[134:135], v[132:133]
	v_rcp_f64_e32 v[150:151], v[148:149]
	v_div_scale_f64 v[152:153], vcc, v[132:133], v[134:135], v[132:133]
	v_fma_f64 v[154:155], -v[148:149], v[150:151], 1.0
	v_fmac_f64_e32 v[150:151], v[150:151], v[154:155]
	v_fma_f64 v[154:155], -v[148:149], v[150:151], 1.0
	v_fmac_f64_e32 v[150:151], v[150:151], v[154:155]
	v_mul_f64 v[154:155], v[152:153], v[150:151]
	v_fma_f64 v[148:149], -v[148:149], v[154:155], v[152:153]
	v_div_fmas_f64 v[148:149], v[148:149], v[150:151], v[154:155]
	v_div_fixup_f64 v[148:149], v[148:149], v[134:135], v[132:133]
	v_fmac_f64_e32 v[134:135], v[132:133], v[148:149]
	v_div_scale_f64 v[132:133], s[18:19], v[134:135], v[134:135], 1.0
	v_rcp_f64_e32 v[150:151], v[132:133]
	s_nop 0
	v_fma_f64 v[152:153], -v[132:133], v[150:151], 1.0
	v_fmac_f64_e32 v[150:151], v[150:151], v[152:153]
	v_fma_f64 v[152:153], -v[132:133], v[150:151], 1.0
	v_fmac_f64_e32 v[150:151], v[150:151], v[152:153]
	v_div_scale_f64 v[152:153], vcc, 1.0, v[134:135], 1.0
	v_mul_f64 v[154:155], v[152:153], v[150:151]
	v_fma_f64 v[132:133], -v[132:133], v[154:155], v[152:153]
	s_nop 1
	v_div_fmas_f64 v[132:133], v[132:133], v[150:151], v[154:155]
	v_div_fixup_f64 v[134:135], v[132:133], v[134:135], 1.0
	v_mul_f64 v[132:133], v[148:149], v[134:135]
	v_xor_b32_e32 v135, 0x80000000, v135
.LBB64_238:
	s_andn2_saveexec_b64 s[16:17], s[16:17]
	s_cbranch_execz .LBB64_240
; %bb.239:
	v_div_scale_f64 v[148:149], s[18:19], v[132:133], v[132:133], v[134:135]
	v_rcp_f64_e32 v[150:151], v[148:149]
	v_div_scale_f64 v[152:153], vcc, v[134:135], v[132:133], v[134:135]
	v_fma_f64 v[154:155], -v[148:149], v[150:151], 1.0
	v_fmac_f64_e32 v[150:151], v[150:151], v[154:155]
	v_fma_f64 v[154:155], -v[148:149], v[150:151], 1.0
	v_fmac_f64_e32 v[150:151], v[150:151], v[154:155]
	v_mul_f64 v[154:155], v[152:153], v[150:151]
	v_fma_f64 v[148:149], -v[148:149], v[154:155], v[152:153]
	v_div_fmas_f64 v[148:149], v[148:149], v[150:151], v[154:155]
	v_div_fixup_f64 v[148:149], v[148:149], v[132:133], v[134:135]
	v_fmac_f64_e32 v[132:133], v[134:135], v[148:149]
	v_div_scale_f64 v[134:135], s[18:19], v[132:133], v[132:133], 1.0
	v_rcp_f64_e32 v[150:151], v[134:135]
	s_nop 0
	v_fma_f64 v[152:153], -v[134:135], v[150:151], 1.0
	v_fmac_f64_e32 v[150:151], v[150:151], v[152:153]
	v_fma_f64 v[152:153], -v[134:135], v[150:151], 1.0
	v_fmac_f64_e32 v[150:151], v[150:151], v[152:153]
	v_div_scale_f64 v[152:153], vcc, 1.0, v[132:133], 1.0
	v_mul_f64 v[154:155], v[152:153], v[150:151]
	v_fma_f64 v[134:135], -v[134:135], v[154:155], v[152:153]
	s_nop 1
	v_div_fmas_f64 v[134:135], v[134:135], v[150:151], v[154:155]
	v_div_fixup_f64 v[132:133], v[134:135], v[132:133], 1.0
	v_mul_f64 v[134:135], v[148:149], -v[132:133]
.LBB64_240:
	s_or_b64 exec, exec, s[16:17]
.LBB64_241:
	s_or_b64 exec, exec, s[0:1]
	v_cmp_ne_u32_e32 vcc, v145, v142
	s_and_saveexec_b64 s[0:1], vcc
	s_xor_b64 s[0:1], exec, s[0:1]
	s_cbranch_execz .LBB64_247
; %bb.242:
	v_cmp_eq_u32_e32 vcc, 11, v145
	s_and_saveexec_b64 s[16:17], vcc
	s_cbranch_execz .LBB64_246
; %bb.243:
	v_cmp_ne_u32_e32 vcc, 11, v142
	s_xor_b64 s[18:19], s[14:15], -1
	s_and_b64 s[22:23], s[18:19], vcc
	s_and_saveexec_b64 s[18:19], s[22:23]
	s_cbranch_execz .LBB64_245
; %bb.244:
	v_ashrrev_i32_e32 v143, 31, v142
	v_lshl_add_u64 v[148:149], v[142:143], 2, v[140:141]
	global_load_dword v143, v[148:149], off
	global_load_dword v145, v[140:141], off offset:44
	s_waitcnt vmcnt(1)
	global_store_dword v[140:141], v143, off offset:44
	s_waitcnt vmcnt(1)
	global_store_dword v[148:149], v145, off
.LBB64_245:
	s_or_b64 exec, exec, s[18:19]
	v_mov_b32_e32 v145, v142
	v_mov_b32_e32 v147, v142
.LBB64_246:
	s_or_b64 exec, exec, s[16:17]
.LBB64_247:
	s_andn2_saveexec_b64 s[0:1], s[0:1]
	s_cbranch_execz .LBB64_249
; %bb.248:
	v_mov_b32_e32 v145, 11
	s_waitcnt vmcnt(20)
	ds_write2_b64 v144, v[76:77], v[78:79] offset0:24 offset1:25
	s_waitcnt vmcnt(19)
	ds_write2_b64 v144, v[68:69], v[70:71] offset0:26 offset1:27
	;; [unrolled: 2-line block ×21, first 2 shown]
.LBB64_249:
	s_or_b64 exec, exec, s[0:1]
	v_cmp_lt_i32_e32 vcc, 11, v145
	s_waitcnt lgkmcnt(0)
	s_barrier
	s_and_saveexec_b64 s[0:1], vcc
	s_cbranch_execz .LBB64_251
; %bb.250:
	ds_read2_b64 v[148:151], v144 offset0:24 offset1:25
	v_mul_f64 v[142:143], v[134:135], v[82:83]
	v_mul_f64 v[82:83], v[132:133], v[82:83]
	v_fmac_f64_e32 v[82:83], v[134:135], v[80:81]
	v_fma_f64 v[142:143], v[132:133], v[80:81], -v[142:143]
	ds_read2_b64 v[132:135], v144 offset0:26 offset1:27
	s_waitcnt lgkmcnt(1)
	v_mul_f64 v[80:81], v[150:151], v[82:83]
	v_fma_f64 v[80:81], v[148:149], v[142:143], -v[80:81]
	v_mul_f64 v[148:149], v[148:149], v[82:83]
	v_fmac_f64_e32 v[148:149], v[150:151], v[142:143]
	s_waitcnt vmcnt(20)
	v_add_f64 v[78:79], v[78:79], -v[148:149]
	ds_read2_b64 v[148:151], v144 offset0:28 offset1:29
	v_add_f64 v[76:77], v[76:77], -v[80:81]
	s_waitcnt lgkmcnt(1)
	v_mul_f64 v[80:81], v[134:135], v[82:83]
	v_fma_f64 v[80:81], v[132:133], v[142:143], -v[80:81]
	v_mul_f64 v[132:133], v[132:133], v[82:83]
	v_fmac_f64_e32 v[132:133], v[134:135], v[142:143]
	s_waitcnt vmcnt(19)
	v_add_f64 v[68:69], v[68:69], -v[80:81]
	v_add_f64 v[70:71], v[70:71], -v[132:133]
	ds_read2_b64 v[132:135], v144 offset0:30 offset1:31
	s_waitcnt lgkmcnt(1)
	v_mul_f64 v[80:81], v[150:151], v[82:83]
	v_fma_f64 v[80:81], v[148:149], v[142:143], -v[80:81]
	v_mul_f64 v[148:149], v[148:149], v[82:83]
	v_fmac_f64_e32 v[148:149], v[150:151], v[142:143]
	s_waitcnt vmcnt(18)
	v_add_f64 v[74:75], v[74:75], -v[148:149]
	ds_read2_b64 v[148:151], v144 offset0:32 offset1:33
	v_add_f64 v[72:73], v[72:73], -v[80:81]
	s_waitcnt lgkmcnt(1)
	v_mul_f64 v[80:81], v[134:135], v[82:83]
	v_fma_f64 v[80:81], v[132:133], v[142:143], -v[80:81]
	v_mul_f64 v[132:133], v[132:133], v[82:83]
	v_fmac_f64_e32 v[132:133], v[134:135], v[142:143]
	s_waitcnt vmcnt(17)
	v_add_f64 v[64:65], v[64:65], -v[80:81]
	v_add_f64 v[66:67], v[66:67], -v[132:133]
	;; [unrolled: 18-line block ×10, first 2 shown]
	s_waitcnt lgkmcnt(0)
	v_mul_f64 v[80:81], v[150:151], v[82:83]
	v_mul_f64 v[132:133], v[148:149], v[82:83]
	v_fma_f64 v[80:81], v[148:149], v[142:143], -v[80:81]
	v_fmac_f64_e32 v[132:133], v[150:151], v[142:143]
	s_waitcnt vmcnt(0)
	v_add_f64 v[128:129], v[128:129], -v[80:81]
	v_add_f64 v[130:131], v[130:131], -v[132:133]
	v_mov_b64_e32 v[80:81], v[142:143]
.LBB64_251:
	s_or_b64 exec, exec, s[0:1]
	v_lshl_add_u32 v132, v145, 4, v144
	s_barrier
	s_waitcnt vmcnt(20)
	ds_write2_b64 v132, v[76:77], v[78:79] offset1:1
	s_waitcnt lgkmcnt(0)
	s_barrier
	ds_read2_b64 v[132:135], v144 offset0:24 offset1:25
	s_cmp_lt_i32 s20, 14
	v_mov_b32_e32 v142, 12
	s_cbranch_scc1 .LBB64_254
; %bb.252:
	v_add_u32_e32 v143, 0xd0, v144
	s_mov_b32 s16, 13
	v_mov_b32_e32 v142, 12
.LBB64_253:                             ; =>This Inner Loop Header: Depth=1
	ds_read2_b64 v[148:151], v143 offset1:1
	s_waitcnt lgkmcnt(1)
	v_xor_b32_e32 v153, 0x80000000, v133
	v_xor_b32_e32 v155, 0x80000000, v135
	v_cmp_gt_f64_e32 vcc, 0, v[134:135]
	v_cmp_gt_f64_e64 s[0:1], 0, v[132:133]
	v_mov_b32_e32 v152, v132
	v_mov_b32_e32 v154, v134
	v_cndmask_b32_e64 v153, v133, v153, s[0:1]
	v_cndmask_b32_e32 v155, v135, v155, vcc
	v_add_f64 v[152:153], v[152:153], v[154:155]
	s_waitcnt lgkmcnt(0)
	v_xor_b32_e32 v155, 0x80000000, v149
	v_xor_b32_e32 v157, 0x80000000, v151
	v_cmp_gt_f64_e32 vcc, 0, v[150:151]
	v_cmp_gt_f64_e64 s[0:1], 0, v[148:149]
	v_mov_b32_e32 v154, v148
	v_mov_b32_e32 v156, v150
	v_cndmask_b32_e64 v155, v149, v155, s[0:1]
	v_cndmask_b32_e32 v157, v151, v157, vcc
	v_add_f64 v[154:155], v[154:155], v[156:157]
	v_mov_b32_e32 v158, s16
	s_add_i32 s16, s16, 1
	v_cmp_lt_f64_e32 vcc, v[152:153], v[154:155]
	v_add_u32_e32 v143, 16, v143
	s_cmp_lg_u32 s20, s16
	v_cndmask_b32_e32 v133, v133, v149, vcc
	v_cndmask_b32_e32 v132, v132, v148, vcc
	v_cndmask_b32_e32 v135, v135, v151, vcc
	v_cndmask_b32_e32 v134, v134, v150, vcc
	v_cndmask_b32_e32 v142, v142, v158, vcc
	s_cbranch_scc1 .LBB64_253
.LBB64_254:
	s_waitcnt lgkmcnt(0)
	v_cmp_eq_f64_e32 vcc, 0, v[132:133]
	v_cmp_eq_f64_e64 s[0:1], 0, v[134:135]
	s_and_b64 s[0:1], vcc, s[0:1]
	s_and_saveexec_b64 s[16:17], s[0:1]
	s_xor_b64 s[0:1], exec, s[16:17]
; %bb.255:
	v_cmp_ne_u32_e32 vcc, 0, v146
	s_nop 1
	v_cndmask_b32_e32 v146, 13, v146, vcc
; %bb.256:
	s_andn2_saveexec_b64 s[0:1], s[0:1]
	s_cbranch_execz .LBB64_262
; %bb.257:
	v_cmp_ngt_f64_e64 s[16:17], |v[132:133]|, |v[134:135]|
	s_and_saveexec_b64 s[18:19], s[16:17]
	s_xor_b64 s[16:17], exec, s[18:19]
	s_cbranch_execz .LBB64_259
; %bb.258:
	v_div_scale_f64 v[148:149], s[18:19], v[134:135], v[134:135], v[132:133]
	v_rcp_f64_e32 v[150:151], v[148:149]
	v_div_scale_f64 v[152:153], vcc, v[132:133], v[134:135], v[132:133]
	v_fma_f64 v[154:155], -v[148:149], v[150:151], 1.0
	v_fmac_f64_e32 v[150:151], v[150:151], v[154:155]
	v_fma_f64 v[154:155], -v[148:149], v[150:151], 1.0
	v_fmac_f64_e32 v[150:151], v[150:151], v[154:155]
	v_mul_f64 v[154:155], v[152:153], v[150:151]
	v_fma_f64 v[148:149], -v[148:149], v[154:155], v[152:153]
	v_div_fmas_f64 v[148:149], v[148:149], v[150:151], v[154:155]
	v_div_fixup_f64 v[148:149], v[148:149], v[134:135], v[132:133]
	v_fmac_f64_e32 v[134:135], v[132:133], v[148:149]
	v_div_scale_f64 v[132:133], s[18:19], v[134:135], v[134:135], 1.0
	v_rcp_f64_e32 v[150:151], v[132:133]
	s_nop 0
	v_fma_f64 v[152:153], -v[132:133], v[150:151], 1.0
	v_fmac_f64_e32 v[150:151], v[150:151], v[152:153]
	v_fma_f64 v[152:153], -v[132:133], v[150:151], 1.0
	v_fmac_f64_e32 v[150:151], v[150:151], v[152:153]
	v_div_scale_f64 v[152:153], vcc, 1.0, v[134:135], 1.0
	v_mul_f64 v[154:155], v[152:153], v[150:151]
	v_fma_f64 v[132:133], -v[132:133], v[154:155], v[152:153]
	s_nop 1
	v_div_fmas_f64 v[132:133], v[132:133], v[150:151], v[154:155]
	v_div_fixup_f64 v[134:135], v[132:133], v[134:135], 1.0
	v_mul_f64 v[132:133], v[148:149], v[134:135]
	v_xor_b32_e32 v135, 0x80000000, v135
.LBB64_259:
	s_andn2_saveexec_b64 s[16:17], s[16:17]
	s_cbranch_execz .LBB64_261
; %bb.260:
	v_div_scale_f64 v[148:149], s[18:19], v[132:133], v[132:133], v[134:135]
	v_rcp_f64_e32 v[150:151], v[148:149]
	v_div_scale_f64 v[152:153], vcc, v[134:135], v[132:133], v[134:135]
	v_fma_f64 v[154:155], -v[148:149], v[150:151], 1.0
	v_fmac_f64_e32 v[150:151], v[150:151], v[154:155]
	v_fma_f64 v[154:155], -v[148:149], v[150:151], 1.0
	v_fmac_f64_e32 v[150:151], v[150:151], v[154:155]
	v_mul_f64 v[154:155], v[152:153], v[150:151]
	v_fma_f64 v[148:149], -v[148:149], v[154:155], v[152:153]
	v_div_fmas_f64 v[148:149], v[148:149], v[150:151], v[154:155]
	v_div_fixup_f64 v[148:149], v[148:149], v[132:133], v[134:135]
	v_fmac_f64_e32 v[132:133], v[134:135], v[148:149]
	v_div_scale_f64 v[134:135], s[18:19], v[132:133], v[132:133], 1.0
	v_rcp_f64_e32 v[150:151], v[134:135]
	s_nop 0
	v_fma_f64 v[152:153], -v[134:135], v[150:151], 1.0
	v_fmac_f64_e32 v[150:151], v[150:151], v[152:153]
	v_fma_f64 v[152:153], -v[134:135], v[150:151], 1.0
	v_fmac_f64_e32 v[150:151], v[150:151], v[152:153]
	v_div_scale_f64 v[152:153], vcc, 1.0, v[132:133], 1.0
	v_mul_f64 v[154:155], v[152:153], v[150:151]
	v_fma_f64 v[134:135], -v[134:135], v[154:155], v[152:153]
	s_nop 1
	v_div_fmas_f64 v[134:135], v[134:135], v[150:151], v[154:155]
	v_div_fixup_f64 v[132:133], v[134:135], v[132:133], 1.0
	v_mul_f64 v[134:135], v[148:149], -v[132:133]
.LBB64_261:
	s_or_b64 exec, exec, s[16:17]
.LBB64_262:
	s_or_b64 exec, exec, s[0:1]
	v_cmp_ne_u32_e32 vcc, v145, v142
	s_and_saveexec_b64 s[0:1], vcc
	s_xor_b64 s[0:1], exec, s[0:1]
	s_cbranch_execz .LBB64_268
; %bb.263:
	v_cmp_eq_u32_e32 vcc, 12, v145
	s_and_saveexec_b64 s[16:17], vcc
	s_cbranch_execz .LBB64_267
; %bb.264:
	v_cmp_ne_u32_e32 vcc, 12, v142
	s_xor_b64 s[18:19], s[14:15], -1
	s_and_b64 s[22:23], s[18:19], vcc
	s_and_saveexec_b64 s[18:19], s[22:23]
	s_cbranch_execz .LBB64_266
; %bb.265:
	v_ashrrev_i32_e32 v143, 31, v142
	v_lshl_add_u64 v[148:149], v[142:143], 2, v[140:141]
	global_load_dword v143, v[148:149], off
	global_load_dword v145, v[140:141], off offset:48
	s_waitcnt vmcnt(1)
	global_store_dword v[140:141], v143, off offset:48
	s_waitcnt vmcnt(1)
	global_store_dword v[148:149], v145, off
.LBB64_266:
	s_or_b64 exec, exec, s[18:19]
	v_mov_b32_e32 v145, v142
	v_mov_b32_e32 v147, v142
.LBB64_267:
	s_or_b64 exec, exec, s[16:17]
.LBB64_268:
	s_andn2_saveexec_b64 s[0:1], s[0:1]
	s_cbranch_execz .LBB64_270
; %bb.269:
	v_mov_b32_e32 v145, 12
	s_waitcnt vmcnt(19)
	ds_write2_b64 v144, v[68:69], v[70:71] offset0:26 offset1:27
	s_waitcnt vmcnt(18)
	ds_write2_b64 v144, v[72:73], v[74:75] offset0:28 offset1:29
	;; [unrolled: 2-line block ×20, first 2 shown]
.LBB64_270:
	s_or_b64 exec, exec, s[0:1]
	v_cmp_lt_i32_e32 vcc, 12, v145
	s_waitcnt lgkmcnt(0)
	s_barrier
	s_and_saveexec_b64 s[0:1], vcc
	s_cbranch_execz .LBB64_272
; %bb.271:
	ds_read2_b64 v[148:151], v144 offset0:26 offset1:27
	v_mul_f64 v[142:143], v[134:135], v[78:79]
	v_mul_f64 v[78:79], v[132:133], v[78:79]
	v_fma_f64 v[142:143], v[132:133], v[76:77], -v[142:143]
	v_fmac_f64_e32 v[78:79], v[134:135], v[76:77]
	ds_read2_b64 v[132:135], v144 offset0:28 offset1:29
	s_waitcnt lgkmcnt(1)
	v_mul_f64 v[76:77], v[150:151], v[78:79]
	v_fma_f64 v[76:77], v[148:149], v[142:143], -v[76:77]
	v_mul_f64 v[148:149], v[148:149], v[78:79]
	v_fmac_f64_e32 v[148:149], v[150:151], v[142:143]
	s_waitcnt vmcnt(19)
	v_add_f64 v[68:69], v[68:69], -v[76:77]
	s_waitcnt lgkmcnt(0)
	v_mul_f64 v[76:77], v[134:135], v[78:79]
	v_add_f64 v[70:71], v[70:71], -v[148:149]
	v_fma_f64 v[76:77], v[132:133], v[142:143], -v[76:77]
	v_mul_f64 v[132:133], v[132:133], v[78:79]
	ds_read2_b64 v[148:151], v144 offset0:30 offset1:31
	v_fmac_f64_e32 v[132:133], v[134:135], v[142:143]
	s_waitcnt vmcnt(18)
	v_add_f64 v[74:75], v[74:75], -v[132:133]
	ds_read2_b64 v[132:135], v144 offset0:32 offset1:33
	v_add_f64 v[72:73], v[72:73], -v[76:77]
	s_waitcnt lgkmcnt(1)
	v_mul_f64 v[76:77], v[150:151], v[78:79]
	v_fma_f64 v[76:77], v[148:149], v[142:143], -v[76:77]
	v_mul_f64 v[148:149], v[148:149], v[78:79]
	v_fmac_f64_e32 v[148:149], v[150:151], v[142:143]
	s_waitcnt vmcnt(17)
	v_add_f64 v[64:65], v[64:65], -v[76:77]
	s_waitcnt lgkmcnt(0)
	v_mul_f64 v[76:77], v[134:135], v[78:79]
	v_add_f64 v[66:67], v[66:67], -v[148:149]
	v_fma_f64 v[76:77], v[132:133], v[142:143], -v[76:77]
	v_mul_f64 v[132:133], v[132:133], v[78:79]
	ds_read2_b64 v[148:151], v144 offset0:34 offset1:35
	v_fmac_f64_e32 v[132:133], v[134:135], v[142:143]
	s_waitcnt vmcnt(16)
	v_add_f64 v[62:63], v[62:63], -v[132:133]
	ds_read2_b64 v[132:135], v144 offset0:36 offset1:37
	v_add_f64 v[60:61], v[60:61], -v[76:77]
	;; [unrolled: 18-line block ×9, first 2 shown]
	s_waitcnt lgkmcnt(1)
	v_mul_f64 v[76:77], v[150:151], v[78:79]
	v_fma_f64 v[76:77], v[148:149], v[142:143], -v[76:77]
	s_waitcnt vmcnt(1)
	v_add_f64 v[0:1], v[0:1], -v[76:77]
	s_waitcnt lgkmcnt(0)
	v_mul_f64 v[76:77], v[134:135], v[78:79]
	v_mul_f64 v[148:149], v[148:149], v[78:79]
	v_fma_f64 v[76:77], v[132:133], v[142:143], -v[76:77]
	v_mul_f64 v[132:133], v[132:133], v[78:79]
	v_fmac_f64_e32 v[148:149], v[150:151], v[142:143]
	v_fmac_f64_e32 v[132:133], v[134:135], v[142:143]
	v_add_f64 v[2:3], v[2:3], -v[148:149]
	s_waitcnt vmcnt(0)
	v_add_f64 v[128:129], v[128:129], -v[76:77]
	v_add_f64 v[130:131], v[130:131], -v[132:133]
	v_mov_b64_e32 v[76:77], v[142:143]
.LBB64_272:
	s_or_b64 exec, exec, s[0:1]
	v_lshl_add_u32 v132, v145, 4, v144
	s_barrier
	s_waitcnt vmcnt(19)
	ds_write2_b64 v132, v[68:69], v[70:71] offset1:1
	s_waitcnt lgkmcnt(0)
	s_barrier
	ds_read2_b64 v[132:135], v144 offset0:26 offset1:27
	s_cmp_lt_i32 s20, 15
	v_mov_b32_e32 v142, 13
	s_cbranch_scc1 .LBB64_275
; %bb.273:
	v_add_u32_e32 v143, 0xe0, v144
	s_mov_b32 s16, 14
	v_mov_b32_e32 v142, 13
.LBB64_274:                             ; =>This Inner Loop Header: Depth=1
	ds_read2_b64 v[148:151], v143 offset1:1
	s_waitcnt lgkmcnt(1)
	v_xor_b32_e32 v153, 0x80000000, v133
	v_xor_b32_e32 v155, 0x80000000, v135
	v_cmp_gt_f64_e32 vcc, 0, v[134:135]
	v_cmp_gt_f64_e64 s[0:1], 0, v[132:133]
	v_mov_b32_e32 v152, v132
	v_mov_b32_e32 v154, v134
	v_cndmask_b32_e64 v153, v133, v153, s[0:1]
	v_cndmask_b32_e32 v155, v135, v155, vcc
	v_add_f64 v[152:153], v[152:153], v[154:155]
	s_waitcnt lgkmcnt(0)
	v_xor_b32_e32 v155, 0x80000000, v149
	v_xor_b32_e32 v157, 0x80000000, v151
	v_cmp_gt_f64_e32 vcc, 0, v[150:151]
	v_cmp_gt_f64_e64 s[0:1], 0, v[148:149]
	v_mov_b32_e32 v154, v148
	v_mov_b32_e32 v156, v150
	v_cndmask_b32_e64 v155, v149, v155, s[0:1]
	v_cndmask_b32_e32 v157, v151, v157, vcc
	v_add_f64 v[154:155], v[154:155], v[156:157]
	v_mov_b32_e32 v158, s16
	s_add_i32 s16, s16, 1
	v_cmp_lt_f64_e32 vcc, v[152:153], v[154:155]
	v_add_u32_e32 v143, 16, v143
	s_cmp_lg_u32 s20, s16
	v_cndmask_b32_e32 v133, v133, v149, vcc
	v_cndmask_b32_e32 v132, v132, v148, vcc
	;; [unrolled: 1-line block ×5, first 2 shown]
	s_cbranch_scc1 .LBB64_274
.LBB64_275:
	s_waitcnt lgkmcnt(0)
	v_cmp_eq_f64_e32 vcc, 0, v[132:133]
	v_cmp_eq_f64_e64 s[0:1], 0, v[134:135]
	s_and_b64 s[0:1], vcc, s[0:1]
	s_and_saveexec_b64 s[16:17], s[0:1]
	s_xor_b64 s[0:1], exec, s[16:17]
; %bb.276:
	v_cmp_ne_u32_e32 vcc, 0, v146
	s_nop 1
	v_cndmask_b32_e32 v146, 14, v146, vcc
; %bb.277:
	s_andn2_saveexec_b64 s[0:1], s[0:1]
	s_cbranch_execz .LBB64_283
; %bb.278:
	v_cmp_ngt_f64_e64 s[16:17], |v[132:133]|, |v[134:135]|
	s_and_saveexec_b64 s[18:19], s[16:17]
	s_xor_b64 s[16:17], exec, s[18:19]
	s_cbranch_execz .LBB64_280
; %bb.279:
	v_div_scale_f64 v[148:149], s[18:19], v[134:135], v[134:135], v[132:133]
	v_rcp_f64_e32 v[150:151], v[148:149]
	v_div_scale_f64 v[152:153], vcc, v[132:133], v[134:135], v[132:133]
	v_fma_f64 v[154:155], -v[148:149], v[150:151], 1.0
	v_fmac_f64_e32 v[150:151], v[150:151], v[154:155]
	v_fma_f64 v[154:155], -v[148:149], v[150:151], 1.0
	v_fmac_f64_e32 v[150:151], v[150:151], v[154:155]
	v_mul_f64 v[154:155], v[152:153], v[150:151]
	v_fma_f64 v[148:149], -v[148:149], v[154:155], v[152:153]
	v_div_fmas_f64 v[148:149], v[148:149], v[150:151], v[154:155]
	v_div_fixup_f64 v[148:149], v[148:149], v[134:135], v[132:133]
	v_fmac_f64_e32 v[134:135], v[132:133], v[148:149]
	v_div_scale_f64 v[132:133], s[18:19], v[134:135], v[134:135], 1.0
	v_rcp_f64_e32 v[150:151], v[132:133]
	s_nop 0
	v_fma_f64 v[152:153], -v[132:133], v[150:151], 1.0
	v_fmac_f64_e32 v[150:151], v[150:151], v[152:153]
	v_fma_f64 v[152:153], -v[132:133], v[150:151], 1.0
	v_fmac_f64_e32 v[150:151], v[150:151], v[152:153]
	v_div_scale_f64 v[152:153], vcc, 1.0, v[134:135], 1.0
	v_mul_f64 v[154:155], v[152:153], v[150:151]
	v_fma_f64 v[132:133], -v[132:133], v[154:155], v[152:153]
	s_nop 1
	v_div_fmas_f64 v[132:133], v[132:133], v[150:151], v[154:155]
	v_div_fixup_f64 v[134:135], v[132:133], v[134:135], 1.0
	v_mul_f64 v[132:133], v[148:149], v[134:135]
	v_xor_b32_e32 v135, 0x80000000, v135
.LBB64_280:
	s_andn2_saveexec_b64 s[16:17], s[16:17]
	s_cbranch_execz .LBB64_282
; %bb.281:
	v_div_scale_f64 v[148:149], s[18:19], v[132:133], v[132:133], v[134:135]
	v_rcp_f64_e32 v[150:151], v[148:149]
	v_div_scale_f64 v[152:153], vcc, v[134:135], v[132:133], v[134:135]
	v_fma_f64 v[154:155], -v[148:149], v[150:151], 1.0
	v_fmac_f64_e32 v[150:151], v[150:151], v[154:155]
	v_fma_f64 v[154:155], -v[148:149], v[150:151], 1.0
	v_fmac_f64_e32 v[150:151], v[150:151], v[154:155]
	v_mul_f64 v[154:155], v[152:153], v[150:151]
	v_fma_f64 v[148:149], -v[148:149], v[154:155], v[152:153]
	v_div_fmas_f64 v[148:149], v[148:149], v[150:151], v[154:155]
	v_div_fixup_f64 v[148:149], v[148:149], v[132:133], v[134:135]
	v_fmac_f64_e32 v[132:133], v[134:135], v[148:149]
	v_div_scale_f64 v[134:135], s[18:19], v[132:133], v[132:133], 1.0
	v_rcp_f64_e32 v[150:151], v[134:135]
	s_nop 0
	v_fma_f64 v[152:153], -v[134:135], v[150:151], 1.0
	v_fmac_f64_e32 v[150:151], v[150:151], v[152:153]
	v_fma_f64 v[152:153], -v[134:135], v[150:151], 1.0
	v_fmac_f64_e32 v[150:151], v[150:151], v[152:153]
	v_div_scale_f64 v[152:153], vcc, 1.0, v[132:133], 1.0
	v_mul_f64 v[154:155], v[152:153], v[150:151]
	v_fma_f64 v[134:135], -v[134:135], v[154:155], v[152:153]
	s_nop 1
	v_div_fmas_f64 v[134:135], v[134:135], v[150:151], v[154:155]
	v_div_fixup_f64 v[132:133], v[134:135], v[132:133], 1.0
	v_mul_f64 v[134:135], v[148:149], -v[132:133]
.LBB64_282:
	s_or_b64 exec, exec, s[16:17]
.LBB64_283:
	s_or_b64 exec, exec, s[0:1]
	v_cmp_ne_u32_e32 vcc, v145, v142
	s_and_saveexec_b64 s[0:1], vcc
	s_xor_b64 s[0:1], exec, s[0:1]
	s_cbranch_execz .LBB64_289
; %bb.284:
	v_cmp_eq_u32_e32 vcc, 13, v145
	s_and_saveexec_b64 s[16:17], vcc
	s_cbranch_execz .LBB64_288
; %bb.285:
	v_cmp_ne_u32_e32 vcc, 13, v142
	s_xor_b64 s[18:19], s[14:15], -1
	s_and_b64 s[22:23], s[18:19], vcc
	s_and_saveexec_b64 s[18:19], s[22:23]
	s_cbranch_execz .LBB64_287
; %bb.286:
	v_ashrrev_i32_e32 v143, 31, v142
	v_lshl_add_u64 v[148:149], v[142:143], 2, v[140:141]
	global_load_dword v143, v[148:149], off
	global_load_dword v145, v[140:141], off offset:52
	s_waitcnt vmcnt(1)
	global_store_dword v[140:141], v143, off offset:52
	s_waitcnt vmcnt(1)
	global_store_dword v[148:149], v145, off
.LBB64_287:
	s_or_b64 exec, exec, s[18:19]
	v_mov_b32_e32 v145, v142
	v_mov_b32_e32 v147, v142
.LBB64_288:
	s_or_b64 exec, exec, s[16:17]
.LBB64_289:
	s_andn2_saveexec_b64 s[0:1], s[0:1]
	s_cbranch_execz .LBB64_291
; %bb.290:
	v_mov_b32_e32 v145, 13
	s_waitcnt vmcnt(18)
	ds_write2_b64 v144, v[72:73], v[74:75] offset0:28 offset1:29
	s_waitcnt vmcnt(17)
	ds_write2_b64 v144, v[64:65], v[66:67] offset0:30 offset1:31
	;; [unrolled: 2-line block ×19, first 2 shown]
.LBB64_291:
	s_or_b64 exec, exec, s[0:1]
	v_cmp_lt_i32_e32 vcc, 13, v145
	s_waitcnt lgkmcnt(0)
	s_barrier
	s_and_saveexec_b64 s[0:1], vcc
	s_cbranch_execz .LBB64_293
; %bb.292:
	ds_read2_b64 v[148:151], v144 offset0:28 offset1:29
	v_mul_f64 v[142:143], v[134:135], v[70:71]
	v_mul_f64 v[70:71], v[132:133], v[70:71]
	v_fmac_f64_e32 v[70:71], v[134:135], v[68:69]
	v_fma_f64 v[142:143], v[132:133], v[68:69], -v[142:143]
	ds_read2_b64 v[132:135], v144 offset0:30 offset1:31
	s_waitcnt lgkmcnt(1)
	v_mul_f64 v[68:69], v[150:151], v[70:71]
	v_fma_f64 v[68:69], v[148:149], v[142:143], -v[68:69]
	v_mul_f64 v[148:149], v[148:149], v[70:71]
	v_fmac_f64_e32 v[148:149], v[150:151], v[142:143]
	s_waitcnt vmcnt(18)
	v_add_f64 v[74:75], v[74:75], -v[148:149]
	ds_read2_b64 v[148:151], v144 offset0:32 offset1:33
	v_add_f64 v[72:73], v[72:73], -v[68:69]
	s_waitcnt lgkmcnt(1)
	v_mul_f64 v[68:69], v[134:135], v[70:71]
	v_fma_f64 v[68:69], v[132:133], v[142:143], -v[68:69]
	v_mul_f64 v[132:133], v[132:133], v[70:71]
	v_fmac_f64_e32 v[132:133], v[134:135], v[142:143]
	s_waitcnt vmcnt(17)
	v_add_f64 v[64:65], v[64:65], -v[68:69]
	v_add_f64 v[66:67], v[66:67], -v[132:133]
	ds_read2_b64 v[132:135], v144 offset0:34 offset1:35
	s_waitcnt lgkmcnt(1)
	v_mul_f64 v[68:69], v[150:151], v[70:71]
	v_fma_f64 v[68:69], v[148:149], v[142:143], -v[68:69]
	v_mul_f64 v[148:149], v[148:149], v[70:71]
	v_fmac_f64_e32 v[148:149], v[150:151], v[142:143]
	s_waitcnt vmcnt(16)
	v_add_f64 v[62:63], v[62:63], -v[148:149]
	ds_read2_b64 v[148:151], v144 offset0:36 offset1:37
	v_add_f64 v[60:61], v[60:61], -v[68:69]
	s_waitcnt lgkmcnt(1)
	v_mul_f64 v[68:69], v[134:135], v[70:71]
	v_fma_f64 v[68:69], v[132:133], v[142:143], -v[68:69]
	v_mul_f64 v[132:133], v[132:133], v[70:71]
	v_fmac_f64_e32 v[132:133], v[134:135], v[142:143]
	s_waitcnt vmcnt(15)
	v_add_f64 v[56:57], v[56:57], -v[68:69]
	v_add_f64 v[58:59], v[58:59], -v[132:133]
	;; [unrolled: 18-line block ×9, first 2 shown]
	s_waitcnt lgkmcnt(0)
	v_mul_f64 v[68:69], v[150:151], v[70:71]
	v_mul_f64 v[132:133], v[148:149], v[70:71]
	v_fma_f64 v[68:69], v[148:149], v[142:143], -v[68:69]
	v_fmac_f64_e32 v[132:133], v[150:151], v[142:143]
	s_waitcnt vmcnt(0)
	v_add_f64 v[128:129], v[128:129], -v[68:69]
	v_add_f64 v[130:131], v[130:131], -v[132:133]
	v_mov_b64_e32 v[68:69], v[142:143]
.LBB64_293:
	s_or_b64 exec, exec, s[0:1]
	v_lshl_add_u32 v132, v145, 4, v144
	s_barrier
	s_waitcnt vmcnt(18)
	ds_write2_b64 v132, v[72:73], v[74:75] offset1:1
	s_waitcnt lgkmcnt(0)
	s_barrier
	ds_read2_b64 v[132:135], v144 offset0:28 offset1:29
	s_cmp_lt_i32 s20, 16
	v_mov_b32_e32 v142, 14
	s_cbranch_scc1 .LBB64_296
; %bb.294:
	v_add_u32_e32 v143, 0xf0, v144
	s_mov_b32 s16, 15
	v_mov_b32_e32 v142, 14
.LBB64_295:                             ; =>This Inner Loop Header: Depth=1
	ds_read2_b64 v[148:151], v143 offset1:1
	s_waitcnt lgkmcnt(1)
	v_xor_b32_e32 v153, 0x80000000, v133
	v_xor_b32_e32 v155, 0x80000000, v135
	v_cmp_gt_f64_e32 vcc, 0, v[134:135]
	v_cmp_gt_f64_e64 s[0:1], 0, v[132:133]
	v_mov_b32_e32 v152, v132
	v_mov_b32_e32 v154, v134
	v_cndmask_b32_e64 v153, v133, v153, s[0:1]
	v_cndmask_b32_e32 v155, v135, v155, vcc
	v_add_f64 v[152:153], v[152:153], v[154:155]
	s_waitcnt lgkmcnt(0)
	v_xor_b32_e32 v155, 0x80000000, v149
	v_xor_b32_e32 v157, 0x80000000, v151
	v_cmp_gt_f64_e32 vcc, 0, v[150:151]
	v_cmp_gt_f64_e64 s[0:1], 0, v[148:149]
	v_mov_b32_e32 v154, v148
	v_mov_b32_e32 v156, v150
	v_cndmask_b32_e64 v155, v149, v155, s[0:1]
	v_cndmask_b32_e32 v157, v151, v157, vcc
	v_add_f64 v[154:155], v[154:155], v[156:157]
	v_mov_b32_e32 v158, s16
	s_add_i32 s16, s16, 1
	v_cmp_lt_f64_e32 vcc, v[152:153], v[154:155]
	v_add_u32_e32 v143, 16, v143
	s_cmp_lg_u32 s20, s16
	v_cndmask_b32_e32 v133, v133, v149, vcc
	v_cndmask_b32_e32 v132, v132, v148, vcc
	;; [unrolled: 1-line block ×5, first 2 shown]
	s_cbranch_scc1 .LBB64_295
.LBB64_296:
	s_waitcnt lgkmcnt(0)
	v_cmp_eq_f64_e32 vcc, 0, v[132:133]
	v_cmp_eq_f64_e64 s[0:1], 0, v[134:135]
	s_and_b64 s[0:1], vcc, s[0:1]
	s_and_saveexec_b64 s[16:17], s[0:1]
	s_xor_b64 s[0:1], exec, s[16:17]
; %bb.297:
	v_cmp_ne_u32_e32 vcc, 0, v146
	s_nop 1
	v_cndmask_b32_e32 v146, 15, v146, vcc
; %bb.298:
	s_andn2_saveexec_b64 s[0:1], s[0:1]
	s_cbranch_execz .LBB64_304
; %bb.299:
	v_cmp_ngt_f64_e64 s[16:17], |v[132:133]|, |v[134:135]|
	s_and_saveexec_b64 s[18:19], s[16:17]
	s_xor_b64 s[16:17], exec, s[18:19]
	s_cbranch_execz .LBB64_301
; %bb.300:
	v_div_scale_f64 v[148:149], s[18:19], v[134:135], v[134:135], v[132:133]
	v_rcp_f64_e32 v[150:151], v[148:149]
	v_div_scale_f64 v[152:153], vcc, v[132:133], v[134:135], v[132:133]
	v_fma_f64 v[154:155], -v[148:149], v[150:151], 1.0
	v_fmac_f64_e32 v[150:151], v[150:151], v[154:155]
	v_fma_f64 v[154:155], -v[148:149], v[150:151], 1.0
	v_fmac_f64_e32 v[150:151], v[150:151], v[154:155]
	v_mul_f64 v[154:155], v[152:153], v[150:151]
	v_fma_f64 v[148:149], -v[148:149], v[154:155], v[152:153]
	v_div_fmas_f64 v[148:149], v[148:149], v[150:151], v[154:155]
	v_div_fixup_f64 v[148:149], v[148:149], v[134:135], v[132:133]
	v_fmac_f64_e32 v[134:135], v[132:133], v[148:149]
	v_div_scale_f64 v[132:133], s[18:19], v[134:135], v[134:135], 1.0
	v_rcp_f64_e32 v[150:151], v[132:133]
	s_nop 0
	v_fma_f64 v[152:153], -v[132:133], v[150:151], 1.0
	v_fmac_f64_e32 v[150:151], v[150:151], v[152:153]
	v_fma_f64 v[152:153], -v[132:133], v[150:151], 1.0
	v_fmac_f64_e32 v[150:151], v[150:151], v[152:153]
	v_div_scale_f64 v[152:153], vcc, 1.0, v[134:135], 1.0
	v_mul_f64 v[154:155], v[152:153], v[150:151]
	v_fma_f64 v[132:133], -v[132:133], v[154:155], v[152:153]
	s_nop 1
	v_div_fmas_f64 v[132:133], v[132:133], v[150:151], v[154:155]
	v_div_fixup_f64 v[134:135], v[132:133], v[134:135], 1.0
	v_mul_f64 v[132:133], v[148:149], v[134:135]
	v_xor_b32_e32 v135, 0x80000000, v135
.LBB64_301:
	s_andn2_saveexec_b64 s[16:17], s[16:17]
	s_cbranch_execz .LBB64_303
; %bb.302:
	v_div_scale_f64 v[148:149], s[18:19], v[132:133], v[132:133], v[134:135]
	v_rcp_f64_e32 v[150:151], v[148:149]
	v_div_scale_f64 v[152:153], vcc, v[134:135], v[132:133], v[134:135]
	v_fma_f64 v[154:155], -v[148:149], v[150:151], 1.0
	v_fmac_f64_e32 v[150:151], v[150:151], v[154:155]
	v_fma_f64 v[154:155], -v[148:149], v[150:151], 1.0
	v_fmac_f64_e32 v[150:151], v[150:151], v[154:155]
	v_mul_f64 v[154:155], v[152:153], v[150:151]
	v_fma_f64 v[148:149], -v[148:149], v[154:155], v[152:153]
	v_div_fmas_f64 v[148:149], v[148:149], v[150:151], v[154:155]
	v_div_fixup_f64 v[148:149], v[148:149], v[132:133], v[134:135]
	v_fmac_f64_e32 v[132:133], v[134:135], v[148:149]
	v_div_scale_f64 v[134:135], s[18:19], v[132:133], v[132:133], 1.0
	v_rcp_f64_e32 v[150:151], v[134:135]
	s_nop 0
	v_fma_f64 v[152:153], -v[134:135], v[150:151], 1.0
	v_fmac_f64_e32 v[150:151], v[150:151], v[152:153]
	v_fma_f64 v[152:153], -v[134:135], v[150:151], 1.0
	v_fmac_f64_e32 v[150:151], v[150:151], v[152:153]
	v_div_scale_f64 v[152:153], vcc, 1.0, v[132:133], 1.0
	v_mul_f64 v[154:155], v[152:153], v[150:151]
	v_fma_f64 v[134:135], -v[134:135], v[154:155], v[152:153]
	s_nop 1
	v_div_fmas_f64 v[134:135], v[134:135], v[150:151], v[154:155]
	v_div_fixup_f64 v[132:133], v[134:135], v[132:133], 1.0
	v_mul_f64 v[134:135], v[148:149], -v[132:133]
.LBB64_303:
	s_or_b64 exec, exec, s[16:17]
.LBB64_304:
	s_or_b64 exec, exec, s[0:1]
	v_cmp_ne_u32_e32 vcc, v145, v142
	s_and_saveexec_b64 s[0:1], vcc
	s_xor_b64 s[0:1], exec, s[0:1]
	s_cbranch_execz .LBB64_310
; %bb.305:
	v_cmp_eq_u32_e32 vcc, 14, v145
	s_and_saveexec_b64 s[16:17], vcc
	s_cbranch_execz .LBB64_309
; %bb.306:
	v_cmp_ne_u32_e32 vcc, 14, v142
	s_xor_b64 s[18:19], s[14:15], -1
	s_and_b64 s[22:23], s[18:19], vcc
	s_and_saveexec_b64 s[18:19], s[22:23]
	s_cbranch_execz .LBB64_308
; %bb.307:
	v_ashrrev_i32_e32 v143, 31, v142
	v_lshl_add_u64 v[148:149], v[142:143], 2, v[140:141]
	global_load_dword v143, v[148:149], off
	global_load_dword v145, v[140:141], off offset:56
	s_waitcnt vmcnt(1)
	global_store_dword v[140:141], v143, off offset:56
	s_waitcnt vmcnt(1)
	global_store_dword v[148:149], v145, off
.LBB64_308:
	s_or_b64 exec, exec, s[18:19]
	v_mov_b32_e32 v145, v142
	v_mov_b32_e32 v147, v142
.LBB64_309:
	s_or_b64 exec, exec, s[16:17]
.LBB64_310:
	s_andn2_saveexec_b64 s[0:1], s[0:1]
	s_cbranch_execz .LBB64_312
; %bb.311:
	v_mov_b32_e32 v145, 14
	s_waitcnt vmcnt(17)
	ds_write2_b64 v144, v[64:65], v[66:67] offset0:30 offset1:31
	s_waitcnt vmcnt(16)
	ds_write2_b64 v144, v[60:61], v[62:63] offset0:32 offset1:33
	s_waitcnt vmcnt(15)
	ds_write2_b64 v144, v[56:57], v[58:59] offset0:34 offset1:35
	s_waitcnt vmcnt(14)
	ds_write2_b64 v144, v[52:53], v[54:55] offset0:36 offset1:37
	s_waitcnt vmcnt(13)
	ds_write2_b64 v144, v[48:49], v[50:51] offset0:38 offset1:39
	s_waitcnt vmcnt(12)
	ds_write2_b64 v144, v[44:45], v[46:47] offset0:40 offset1:41
	s_waitcnt vmcnt(11)
	ds_write2_b64 v144, v[40:41], v[42:43] offset0:42 offset1:43
	s_waitcnt vmcnt(10)
	ds_write2_b64 v144, v[36:37], v[38:39] offset0:44 offset1:45
	s_waitcnt vmcnt(9)
	ds_write2_b64 v144, v[32:33], v[34:35] offset0:46 offset1:47
	s_waitcnt vmcnt(8)
	ds_write2_b64 v144, v[28:29], v[30:31] offset0:48 offset1:49
	s_waitcnt vmcnt(7)
	ds_write2_b64 v144, v[24:25], v[26:27] offset0:50 offset1:51
	s_waitcnt vmcnt(6)
	ds_write2_b64 v144, v[20:21], v[22:23] offset0:52 offset1:53
	s_waitcnt vmcnt(5)
	ds_write2_b64 v144, v[16:17], v[18:19] offset0:54 offset1:55
	s_waitcnt vmcnt(4)
	ds_write2_b64 v144, v[12:13], v[14:15] offset0:56 offset1:57
	s_waitcnt vmcnt(3)
	ds_write2_b64 v144, v[8:9], v[10:11] offset0:58 offset1:59
	s_waitcnt vmcnt(2)
	ds_write2_b64 v144, v[4:5], v[6:7] offset0:60 offset1:61
	s_waitcnt vmcnt(1)
	ds_write2_b64 v144, v[0:1], v[2:3] offset0:62 offset1:63
	s_waitcnt vmcnt(0)
	ds_write2_b64 v144, v[128:129], v[130:131] offset0:64 offset1:65
.LBB64_312:
	s_or_b64 exec, exec, s[0:1]
	v_cmp_lt_i32_e32 vcc, 14, v145
	s_waitcnt lgkmcnt(0)
	s_barrier
	s_and_saveexec_b64 s[0:1], vcc
	s_cbranch_execz .LBB64_314
; %bb.313:
	ds_read2_b64 v[148:151], v144 offset0:30 offset1:31
	v_mul_f64 v[142:143], v[134:135], v[74:75]
	v_mul_f64 v[74:75], v[132:133], v[74:75]
	v_fma_f64 v[142:143], v[132:133], v[72:73], -v[142:143]
	v_fmac_f64_e32 v[74:75], v[134:135], v[72:73]
	ds_read2_b64 v[132:135], v144 offset0:32 offset1:33
	s_waitcnt lgkmcnt(1)
	v_mul_f64 v[72:73], v[150:151], v[74:75]
	v_fma_f64 v[72:73], v[148:149], v[142:143], -v[72:73]
	v_mul_f64 v[148:149], v[148:149], v[74:75]
	v_fmac_f64_e32 v[148:149], v[150:151], v[142:143]
	s_waitcnt vmcnt(17)
	v_add_f64 v[64:65], v[64:65], -v[72:73]
	s_waitcnt lgkmcnt(0)
	v_mul_f64 v[72:73], v[134:135], v[74:75]
	v_add_f64 v[66:67], v[66:67], -v[148:149]
	v_fma_f64 v[72:73], v[132:133], v[142:143], -v[72:73]
	v_mul_f64 v[132:133], v[132:133], v[74:75]
	ds_read2_b64 v[148:151], v144 offset0:34 offset1:35
	v_fmac_f64_e32 v[132:133], v[134:135], v[142:143]
	s_waitcnt vmcnt(16)
	v_add_f64 v[62:63], v[62:63], -v[132:133]
	ds_read2_b64 v[132:135], v144 offset0:36 offset1:37
	v_add_f64 v[60:61], v[60:61], -v[72:73]
	s_waitcnt lgkmcnt(1)
	v_mul_f64 v[72:73], v[150:151], v[74:75]
	v_fma_f64 v[72:73], v[148:149], v[142:143], -v[72:73]
	v_mul_f64 v[148:149], v[148:149], v[74:75]
	v_fmac_f64_e32 v[148:149], v[150:151], v[142:143]
	s_waitcnt vmcnt(15)
	v_add_f64 v[56:57], v[56:57], -v[72:73]
	s_waitcnt lgkmcnt(0)
	v_mul_f64 v[72:73], v[134:135], v[74:75]
	v_add_f64 v[58:59], v[58:59], -v[148:149]
	v_fma_f64 v[72:73], v[132:133], v[142:143], -v[72:73]
	v_mul_f64 v[132:133], v[132:133], v[74:75]
	ds_read2_b64 v[148:151], v144 offset0:38 offset1:39
	v_fmac_f64_e32 v[132:133], v[134:135], v[142:143]
	s_waitcnt vmcnt(14)
	v_add_f64 v[54:55], v[54:55], -v[132:133]
	ds_read2_b64 v[132:135], v144 offset0:40 offset1:41
	v_add_f64 v[52:53], v[52:53], -v[72:73]
	;; [unrolled: 18-line block ×8, first 2 shown]
	s_waitcnt lgkmcnt(1)
	v_mul_f64 v[72:73], v[150:151], v[74:75]
	v_fma_f64 v[72:73], v[148:149], v[142:143], -v[72:73]
	s_waitcnt vmcnt(1)
	v_add_f64 v[0:1], v[0:1], -v[72:73]
	s_waitcnt lgkmcnt(0)
	v_mul_f64 v[72:73], v[134:135], v[74:75]
	v_mul_f64 v[148:149], v[148:149], v[74:75]
	v_fma_f64 v[72:73], v[132:133], v[142:143], -v[72:73]
	v_mul_f64 v[132:133], v[132:133], v[74:75]
	v_fmac_f64_e32 v[148:149], v[150:151], v[142:143]
	v_fmac_f64_e32 v[132:133], v[134:135], v[142:143]
	v_add_f64 v[2:3], v[2:3], -v[148:149]
	s_waitcnt vmcnt(0)
	v_add_f64 v[128:129], v[128:129], -v[72:73]
	v_add_f64 v[130:131], v[130:131], -v[132:133]
	v_mov_b64_e32 v[72:73], v[142:143]
.LBB64_314:
	s_or_b64 exec, exec, s[0:1]
	v_lshl_add_u32 v132, v145, 4, v144
	s_barrier
	s_waitcnt vmcnt(17)
	ds_write2_b64 v132, v[64:65], v[66:67] offset1:1
	s_waitcnt lgkmcnt(0)
	s_barrier
	ds_read2_b64 v[132:135], v144 offset0:30 offset1:31
	s_cmp_lt_i32 s20, 17
	v_mov_b32_e32 v142, 15
	s_cbranch_scc1 .LBB64_317
; %bb.315:
	v_add_u32_e32 v143, 0x100, v144
	s_mov_b32 s16, 16
	v_mov_b32_e32 v142, 15
.LBB64_316:                             ; =>This Inner Loop Header: Depth=1
	ds_read2_b64 v[148:151], v143 offset1:1
	s_waitcnt lgkmcnt(1)
	v_xor_b32_e32 v153, 0x80000000, v133
	v_xor_b32_e32 v155, 0x80000000, v135
	v_cmp_gt_f64_e32 vcc, 0, v[134:135]
	v_cmp_gt_f64_e64 s[0:1], 0, v[132:133]
	v_mov_b32_e32 v152, v132
	v_mov_b32_e32 v154, v134
	v_cndmask_b32_e64 v153, v133, v153, s[0:1]
	v_cndmask_b32_e32 v155, v135, v155, vcc
	v_add_f64 v[152:153], v[152:153], v[154:155]
	s_waitcnt lgkmcnt(0)
	v_xor_b32_e32 v155, 0x80000000, v149
	v_xor_b32_e32 v157, 0x80000000, v151
	v_cmp_gt_f64_e32 vcc, 0, v[150:151]
	v_cmp_gt_f64_e64 s[0:1], 0, v[148:149]
	v_mov_b32_e32 v154, v148
	v_mov_b32_e32 v156, v150
	v_cndmask_b32_e64 v155, v149, v155, s[0:1]
	v_cndmask_b32_e32 v157, v151, v157, vcc
	v_add_f64 v[154:155], v[154:155], v[156:157]
	v_mov_b32_e32 v158, s16
	s_add_i32 s16, s16, 1
	v_cmp_lt_f64_e32 vcc, v[152:153], v[154:155]
	v_add_u32_e32 v143, 16, v143
	s_cmp_lg_u32 s20, s16
	v_cndmask_b32_e32 v133, v133, v149, vcc
	v_cndmask_b32_e32 v132, v132, v148, vcc
	;; [unrolled: 1-line block ×5, first 2 shown]
	s_cbranch_scc1 .LBB64_316
.LBB64_317:
	s_waitcnt lgkmcnt(0)
	v_cmp_eq_f64_e32 vcc, 0, v[132:133]
	v_cmp_eq_f64_e64 s[0:1], 0, v[134:135]
	s_and_b64 s[0:1], vcc, s[0:1]
	s_and_saveexec_b64 s[16:17], s[0:1]
	s_xor_b64 s[0:1], exec, s[16:17]
; %bb.318:
	v_cmp_ne_u32_e32 vcc, 0, v146
	s_nop 1
	v_cndmask_b32_e32 v146, 16, v146, vcc
; %bb.319:
	s_andn2_saveexec_b64 s[0:1], s[0:1]
	s_cbranch_execz .LBB64_325
; %bb.320:
	v_cmp_ngt_f64_e64 s[16:17], |v[132:133]|, |v[134:135]|
	s_and_saveexec_b64 s[18:19], s[16:17]
	s_xor_b64 s[16:17], exec, s[18:19]
	s_cbranch_execz .LBB64_322
; %bb.321:
	v_div_scale_f64 v[148:149], s[18:19], v[134:135], v[134:135], v[132:133]
	v_rcp_f64_e32 v[150:151], v[148:149]
	v_div_scale_f64 v[152:153], vcc, v[132:133], v[134:135], v[132:133]
	v_fma_f64 v[154:155], -v[148:149], v[150:151], 1.0
	v_fmac_f64_e32 v[150:151], v[150:151], v[154:155]
	v_fma_f64 v[154:155], -v[148:149], v[150:151], 1.0
	v_fmac_f64_e32 v[150:151], v[150:151], v[154:155]
	v_mul_f64 v[154:155], v[152:153], v[150:151]
	v_fma_f64 v[148:149], -v[148:149], v[154:155], v[152:153]
	v_div_fmas_f64 v[148:149], v[148:149], v[150:151], v[154:155]
	v_div_fixup_f64 v[148:149], v[148:149], v[134:135], v[132:133]
	v_fmac_f64_e32 v[134:135], v[132:133], v[148:149]
	v_div_scale_f64 v[132:133], s[18:19], v[134:135], v[134:135], 1.0
	v_rcp_f64_e32 v[150:151], v[132:133]
	s_nop 0
	v_fma_f64 v[152:153], -v[132:133], v[150:151], 1.0
	v_fmac_f64_e32 v[150:151], v[150:151], v[152:153]
	v_fma_f64 v[152:153], -v[132:133], v[150:151], 1.0
	v_fmac_f64_e32 v[150:151], v[150:151], v[152:153]
	v_div_scale_f64 v[152:153], vcc, 1.0, v[134:135], 1.0
	v_mul_f64 v[154:155], v[152:153], v[150:151]
	v_fma_f64 v[132:133], -v[132:133], v[154:155], v[152:153]
	s_nop 1
	v_div_fmas_f64 v[132:133], v[132:133], v[150:151], v[154:155]
	v_div_fixup_f64 v[134:135], v[132:133], v[134:135], 1.0
	v_mul_f64 v[132:133], v[148:149], v[134:135]
	v_xor_b32_e32 v135, 0x80000000, v135
.LBB64_322:
	s_andn2_saveexec_b64 s[16:17], s[16:17]
	s_cbranch_execz .LBB64_324
; %bb.323:
	v_div_scale_f64 v[148:149], s[18:19], v[132:133], v[132:133], v[134:135]
	v_rcp_f64_e32 v[150:151], v[148:149]
	v_div_scale_f64 v[152:153], vcc, v[134:135], v[132:133], v[134:135]
	v_fma_f64 v[154:155], -v[148:149], v[150:151], 1.0
	v_fmac_f64_e32 v[150:151], v[150:151], v[154:155]
	v_fma_f64 v[154:155], -v[148:149], v[150:151], 1.0
	v_fmac_f64_e32 v[150:151], v[150:151], v[154:155]
	v_mul_f64 v[154:155], v[152:153], v[150:151]
	v_fma_f64 v[148:149], -v[148:149], v[154:155], v[152:153]
	v_div_fmas_f64 v[148:149], v[148:149], v[150:151], v[154:155]
	v_div_fixup_f64 v[148:149], v[148:149], v[132:133], v[134:135]
	v_fmac_f64_e32 v[132:133], v[134:135], v[148:149]
	v_div_scale_f64 v[134:135], s[18:19], v[132:133], v[132:133], 1.0
	v_rcp_f64_e32 v[150:151], v[134:135]
	s_nop 0
	v_fma_f64 v[152:153], -v[134:135], v[150:151], 1.0
	v_fmac_f64_e32 v[150:151], v[150:151], v[152:153]
	v_fma_f64 v[152:153], -v[134:135], v[150:151], 1.0
	v_fmac_f64_e32 v[150:151], v[150:151], v[152:153]
	v_div_scale_f64 v[152:153], vcc, 1.0, v[132:133], 1.0
	v_mul_f64 v[154:155], v[152:153], v[150:151]
	v_fma_f64 v[134:135], -v[134:135], v[154:155], v[152:153]
	s_nop 1
	v_div_fmas_f64 v[134:135], v[134:135], v[150:151], v[154:155]
	v_div_fixup_f64 v[132:133], v[134:135], v[132:133], 1.0
	v_mul_f64 v[134:135], v[148:149], -v[132:133]
.LBB64_324:
	s_or_b64 exec, exec, s[16:17]
.LBB64_325:
	s_or_b64 exec, exec, s[0:1]
	v_cmp_ne_u32_e32 vcc, v145, v142
	s_and_saveexec_b64 s[0:1], vcc
	s_xor_b64 s[0:1], exec, s[0:1]
	s_cbranch_execz .LBB64_331
; %bb.326:
	v_cmp_eq_u32_e32 vcc, 15, v145
	s_and_saveexec_b64 s[16:17], vcc
	s_cbranch_execz .LBB64_330
; %bb.327:
	v_cmp_ne_u32_e32 vcc, 15, v142
	s_xor_b64 s[18:19], s[14:15], -1
	s_and_b64 s[22:23], s[18:19], vcc
	s_and_saveexec_b64 s[18:19], s[22:23]
	s_cbranch_execz .LBB64_329
; %bb.328:
	v_ashrrev_i32_e32 v143, 31, v142
	v_lshl_add_u64 v[148:149], v[142:143], 2, v[140:141]
	global_load_dword v143, v[148:149], off
	global_load_dword v145, v[140:141], off offset:60
	s_waitcnt vmcnt(1)
	global_store_dword v[140:141], v143, off offset:60
	s_waitcnt vmcnt(1)
	global_store_dword v[148:149], v145, off
.LBB64_329:
	s_or_b64 exec, exec, s[18:19]
	v_mov_b32_e32 v145, v142
	v_mov_b32_e32 v147, v142
.LBB64_330:
	s_or_b64 exec, exec, s[16:17]
.LBB64_331:
	s_andn2_saveexec_b64 s[0:1], s[0:1]
	s_cbranch_execz .LBB64_333
; %bb.332:
	v_mov_b32_e32 v145, 15
	s_waitcnt vmcnt(16)
	ds_write2_b64 v144, v[60:61], v[62:63] offset0:32 offset1:33
	s_waitcnt vmcnt(15)
	ds_write2_b64 v144, v[56:57], v[58:59] offset0:34 offset1:35
	;; [unrolled: 2-line block ×17, first 2 shown]
.LBB64_333:
	s_or_b64 exec, exec, s[0:1]
	v_cmp_lt_i32_e32 vcc, 15, v145
	s_waitcnt lgkmcnt(0)
	s_barrier
	s_and_saveexec_b64 s[0:1], vcc
	s_cbranch_execz .LBB64_335
; %bb.334:
	ds_read2_b64 v[148:151], v144 offset0:32 offset1:33
	v_mul_f64 v[142:143], v[134:135], v[66:67]
	v_mul_f64 v[66:67], v[132:133], v[66:67]
	v_fmac_f64_e32 v[66:67], v[134:135], v[64:65]
	v_fma_f64 v[142:143], v[132:133], v[64:65], -v[142:143]
	ds_read2_b64 v[132:135], v144 offset0:34 offset1:35
	s_waitcnt lgkmcnt(1)
	v_mul_f64 v[64:65], v[150:151], v[66:67]
	v_fma_f64 v[64:65], v[148:149], v[142:143], -v[64:65]
	v_mul_f64 v[148:149], v[148:149], v[66:67]
	v_fmac_f64_e32 v[148:149], v[150:151], v[142:143]
	s_waitcnt vmcnt(16)
	v_add_f64 v[62:63], v[62:63], -v[148:149]
	ds_read2_b64 v[148:151], v144 offset0:36 offset1:37
	v_add_f64 v[60:61], v[60:61], -v[64:65]
	s_waitcnt lgkmcnt(1)
	v_mul_f64 v[64:65], v[134:135], v[66:67]
	v_fma_f64 v[64:65], v[132:133], v[142:143], -v[64:65]
	v_mul_f64 v[132:133], v[132:133], v[66:67]
	v_fmac_f64_e32 v[132:133], v[134:135], v[142:143]
	s_waitcnt vmcnt(15)
	v_add_f64 v[56:57], v[56:57], -v[64:65]
	v_add_f64 v[58:59], v[58:59], -v[132:133]
	ds_read2_b64 v[132:135], v144 offset0:38 offset1:39
	s_waitcnt lgkmcnt(1)
	v_mul_f64 v[64:65], v[150:151], v[66:67]
	v_fma_f64 v[64:65], v[148:149], v[142:143], -v[64:65]
	v_mul_f64 v[148:149], v[148:149], v[66:67]
	v_fmac_f64_e32 v[148:149], v[150:151], v[142:143]
	s_waitcnt vmcnt(14)
	v_add_f64 v[54:55], v[54:55], -v[148:149]
	ds_read2_b64 v[148:151], v144 offset0:40 offset1:41
	v_add_f64 v[52:53], v[52:53], -v[64:65]
	s_waitcnt lgkmcnt(1)
	v_mul_f64 v[64:65], v[134:135], v[66:67]
	v_fma_f64 v[64:65], v[132:133], v[142:143], -v[64:65]
	v_mul_f64 v[132:133], v[132:133], v[66:67]
	v_fmac_f64_e32 v[132:133], v[134:135], v[142:143]
	s_waitcnt vmcnt(13)
	v_add_f64 v[48:49], v[48:49], -v[64:65]
	v_add_f64 v[50:51], v[50:51], -v[132:133]
	;; [unrolled: 18-line block ×8, first 2 shown]
	s_waitcnt lgkmcnt(0)
	v_mul_f64 v[64:65], v[150:151], v[66:67]
	v_mul_f64 v[132:133], v[148:149], v[66:67]
	v_fma_f64 v[64:65], v[148:149], v[142:143], -v[64:65]
	v_fmac_f64_e32 v[132:133], v[150:151], v[142:143]
	s_waitcnt vmcnt(0)
	v_add_f64 v[128:129], v[128:129], -v[64:65]
	v_add_f64 v[130:131], v[130:131], -v[132:133]
	v_mov_b64_e32 v[64:65], v[142:143]
.LBB64_335:
	s_or_b64 exec, exec, s[0:1]
	v_lshl_add_u32 v132, v145, 4, v144
	s_barrier
	s_waitcnt vmcnt(16)
	ds_write2_b64 v132, v[60:61], v[62:63] offset1:1
	s_waitcnt lgkmcnt(0)
	s_barrier
	ds_read2_b64 v[132:135], v144 offset0:32 offset1:33
	s_cmp_lt_i32 s20, 18
	v_mov_b32_e32 v142, 16
	s_cbranch_scc1 .LBB64_338
; %bb.336:
	v_add_u32_e32 v143, 0x110, v144
	s_mov_b32 s16, 17
	v_mov_b32_e32 v142, 16
.LBB64_337:                             ; =>This Inner Loop Header: Depth=1
	ds_read2_b64 v[148:151], v143 offset1:1
	s_waitcnt lgkmcnt(1)
	v_xor_b32_e32 v153, 0x80000000, v133
	v_xor_b32_e32 v155, 0x80000000, v135
	v_cmp_gt_f64_e32 vcc, 0, v[134:135]
	v_cmp_gt_f64_e64 s[0:1], 0, v[132:133]
	v_mov_b32_e32 v152, v132
	v_mov_b32_e32 v154, v134
	v_cndmask_b32_e64 v153, v133, v153, s[0:1]
	v_cndmask_b32_e32 v155, v135, v155, vcc
	v_add_f64 v[152:153], v[152:153], v[154:155]
	s_waitcnt lgkmcnt(0)
	v_xor_b32_e32 v155, 0x80000000, v149
	v_xor_b32_e32 v157, 0x80000000, v151
	v_cmp_gt_f64_e32 vcc, 0, v[150:151]
	v_cmp_gt_f64_e64 s[0:1], 0, v[148:149]
	v_mov_b32_e32 v154, v148
	v_mov_b32_e32 v156, v150
	v_cndmask_b32_e64 v155, v149, v155, s[0:1]
	v_cndmask_b32_e32 v157, v151, v157, vcc
	v_add_f64 v[154:155], v[154:155], v[156:157]
	v_mov_b32_e32 v158, s16
	s_add_i32 s16, s16, 1
	v_cmp_lt_f64_e32 vcc, v[152:153], v[154:155]
	v_add_u32_e32 v143, 16, v143
	s_cmp_lg_u32 s20, s16
	v_cndmask_b32_e32 v133, v133, v149, vcc
	v_cndmask_b32_e32 v132, v132, v148, vcc
	;; [unrolled: 1-line block ×5, first 2 shown]
	s_cbranch_scc1 .LBB64_337
.LBB64_338:
	s_waitcnt lgkmcnt(0)
	v_cmp_eq_f64_e32 vcc, 0, v[132:133]
	v_cmp_eq_f64_e64 s[0:1], 0, v[134:135]
	s_and_b64 s[0:1], vcc, s[0:1]
	s_and_saveexec_b64 s[16:17], s[0:1]
	s_xor_b64 s[0:1], exec, s[16:17]
; %bb.339:
	v_cmp_ne_u32_e32 vcc, 0, v146
	s_nop 1
	v_cndmask_b32_e32 v146, 17, v146, vcc
; %bb.340:
	s_andn2_saveexec_b64 s[0:1], s[0:1]
	s_cbranch_execz .LBB64_346
; %bb.341:
	v_cmp_ngt_f64_e64 s[16:17], |v[132:133]|, |v[134:135]|
	s_and_saveexec_b64 s[18:19], s[16:17]
	s_xor_b64 s[16:17], exec, s[18:19]
	s_cbranch_execz .LBB64_343
; %bb.342:
	v_div_scale_f64 v[148:149], s[18:19], v[134:135], v[134:135], v[132:133]
	v_rcp_f64_e32 v[150:151], v[148:149]
	v_div_scale_f64 v[152:153], vcc, v[132:133], v[134:135], v[132:133]
	v_fma_f64 v[154:155], -v[148:149], v[150:151], 1.0
	v_fmac_f64_e32 v[150:151], v[150:151], v[154:155]
	v_fma_f64 v[154:155], -v[148:149], v[150:151], 1.0
	v_fmac_f64_e32 v[150:151], v[150:151], v[154:155]
	v_mul_f64 v[154:155], v[152:153], v[150:151]
	v_fma_f64 v[148:149], -v[148:149], v[154:155], v[152:153]
	v_div_fmas_f64 v[148:149], v[148:149], v[150:151], v[154:155]
	v_div_fixup_f64 v[148:149], v[148:149], v[134:135], v[132:133]
	v_fmac_f64_e32 v[134:135], v[132:133], v[148:149]
	v_div_scale_f64 v[132:133], s[18:19], v[134:135], v[134:135], 1.0
	v_rcp_f64_e32 v[150:151], v[132:133]
	s_nop 0
	v_fma_f64 v[152:153], -v[132:133], v[150:151], 1.0
	v_fmac_f64_e32 v[150:151], v[150:151], v[152:153]
	v_fma_f64 v[152:153], -v[132:133], v[150:151], 1.0
	v_fmac_f64_e32 v[150:151], v[150:151], v[152:153]
	v_div_scale_f64 v[152:153], vcc, 1.0, v[134:135], 1.0
	v_mul_f64 v[154:155], v[152:153], v[150:151]
	v_fma_f64 v[132:133], -v[132:133], v[154:155], v[152:153]
	s_nop 1
	v_div_fmas_f64 v[132:133], v[132:133], v[150:151], v[154:155]
	v_div_fixup_f64 v[134:135], v[132:133], v[134:135], 1.0
	v_mul_f64 v[132:133], v[148:149], v[134:135]
	v_xor_b32_e32 v135, 0x80000000, v135
.LBB64_343:
	s_andn2_saveexec_b64 s[16:17], s[16:17]
	s_cbranch_execz .LBB64_345
; %bb.344:
	v_div_scale_f64 v[148:149], s[18:19], v[132:133], v[132:133], v[134:135]
	v_rcp_f64_e32 v[150:151], v[148:149]
	v_div_scale_f64 v[152:153], vcc, v[134:135], v[132:133], v[134:135]
	v_fma_f64 v[154:155], -v[148:149], v[150:151], 1.0
	v_fmac_f64_e32 v[150:151], v[150:151], v[154:155]
	v_fma_f64 v[154:155], -v[148:149], v[150:151], 1.0
	v_fmac_f64_e32 v[150:151], v[150:151], v[154:155]
	v_mul_f64 v[154:155], v[152:153], v[150:151]
	v_fma_f64 v[148:149], -v[148:149], v[154:155], v[152:153]
	v_div_fmas_f64 v[148:149], v[148:149], v[150:151], v[154:155]
	v_div_fixup_f64 v[148:149], v[148:149], v[132:133], v[134:135]
	v_fmac_f64_e32 v[132:133], v[134:135], v[148:149]
	v_div_scale_f64 v[134:135], s[18:19], v[132:133], v[132:133], 1.0
	v_rcp_f64_e32 v[150:151], v[134:135]
	s_nop 0
	v_fma_f64 v[152:153], -v[134:135], v[150:151], 1.0
	v_fmac_f64_e32 v[150:151], v[150:151], v[152:153]
	v_fma_f64 v[152:153], -v[134:135], v[150:151], 1.0
	v_fmac_f64_e32 v[150:151], v[150:151], v[152:153]
	v_div_scale_f64 v[152:153], vcc, 1.0, v[132:133], 1.0
	v_mul_f64 v[154:155], v[152:153], v[150:151]
	v_fma_f64 v[134:135], -v[134:135], v[154:155], v[152:153]
	s_nop 1
	v_div_fmas_f64 v[134:135], v[134:135], v[150:151], v[154:155]
	v_div_fixup_f64 v[132:133], v[134:135], v[132:133], 1.0
	v_mul_f64 v[134:135], v[148:149], -v[132:133]
.LBB64_345:
	s_or_b64 exec, exec, s[16:17]
.LBB64_346:
	s_or_b64 exec, exec, s[0:1]
	v_cmp_ne_u32_e32 vcc, v145, v142
	s_and_saveexec_b64 s[0:1], vcc
	s_xor_b64 s[0:1], exec, s[0:1]
	s_cbranch_execz .LBB64_352
; %bb.347:
	v_cmp_eq_u32_e32 vcc, 16, v145
	s_and_saveexec_b64 s[16:17], vcc
	s_cbranch_execz .LBB64_351
; %bb.348:
	v_cmp_ne_u32_e32 vcc, 16, v142
	s_xor_b64 s[18:19], s[14:15], -1
	s_and_b64 s[22:23], s[18:19], vcc
	s_and_saveexec_b64 s[18:19], s[22:23]
	s_cbranch_execz .LBB64_350
; %bb.349:
	v_ashrrev_i32_e32 v143, 31, v142
	v_lshl_add_u64 v[148:149], v[142:143], 2, v[140:141]
	global_load_dword v143, v[148:149], off
	global_load_dword v145, v[140:141], off offset:64
	s_waitcnt vmcnt(1)
	global_store_dword v[140:141], v143, off offset:64
	s_waitcnt vmcnt(1)
	global_store_dword v[148:149], v145, off
.LBB64_350:
	s_or_b64 exec, exec, s[18:19]
	v_mov_b32_e32 v145, v142
	v_mov_b32_e32 v147, v142
.LBB64_351:
	s_or_b64 exec, exec, s[16:17]
.LBB64_352:
	s_andn2_saveexec_b64 s[0:1], s[0:1]
	s_cbranch_execz .LBB64_354
; %bb.353:
	v_mov_b32_e32 v145, 16
	s_waitcnt vmcnt(15)
	ds_write2_b64 v144, v[56:57], v[58:59] offset0:34 offset1:35
	s_waitcnt vmcnt(14)
	ds_write2_b64 v144, v[52:53], v[54:55] offset0:36 offset1:37
	;; [unrolled: 2-line block ×16, first 2 shown]
.LBB64_354:
	s_or_b64 exec, exec, s[0:1]
	v_cmp_lt_i32_e32 vcc, 16, v145
	s_waitcnt lgkmcnt(0)
	s_barrier
	s_and_saveexec_b64 s[0:1], vcc
	s_cbranch_execz .LBB64_356
; %bb.355:
	ds_read2_b64 v[148:151], v144 offset0:34 offset1:35
	v_mul_f64 v[142:143], v[132:133], v[62:63]
	v_mul_f64 v[62:63], v[134:135], v[62:63]
	v_fmac_f64_e32 v[142:143], v[134:135], v[60:61]
	v_fma_f64 v[60:61], v[132:133], v[60:61], -v[62:63]
	ds_read2_b64 v[132:135], v144 offset0:36 offset1:37
	s_waitcnt lgkmcnt(1)
	v_mul_f64 v[62:63], v[150:151], v[142:143]
	v_fma_f64 v[62:63], v[148:149], v[60:61], -v[62:63]
	v_mul_f64 v[148:149], v[148:149], v[142:143]
	v_fmac_f64_e32 v[148:149], v[150:151], v[60:61]
	s_waitcnt vmcnt(15)
	v_add_f64 v[56:57], v[56:57], -v[62:63]
	s_waitcnt lgkmcnt(0)
	v_mul_f64 v[62:63], v[134:135], v[142:143]
	v_add_f64 v[58:59], v[58:59], -v[148:149]
	v_fma_f64 v[62:63], v[132:133], v[60:61], -v[62:63]
	v_mul_f64 v[132:133], v[132:133], v[142:143]
	ds_read2_b64 v[148:151], v144 offset0:38 offset1:39
	v_fmac_f64_e32 v[132:133], v[134:135], v[60:61]
	s_waitcnt vmcnt(14)
	v_add_f64 v[54:55], v[54:55], -v[132:133]
	ds_read2_b64 v[132:135], v144 offset0:40 offset1:41
	v_add_f64 v[52:53], v[52:53], -v[62:63]
	s_waitcnt lgkmcnt(1)
	v_mul_f64 v[62:63], v[150:151], v[142:143]
	v_fma_f64 v[62:63], v[148:149], v[60:61], -v[62:63]
	v_mul_f64 v[148:149], v[148:149], v[142:143]
	v_fmac_f64_e32 v[148:149], v[150:151], v[60:61]
	s_waitcnt vmcnt(13)
	v_add_f64 v[48:49], v[48:49], -v[62:63]
	s_waitcnt lgkmcnt(0)
	v_mul_f64 v[62:63], v[134:135], v[142:143]
	v_add_f64 v[50:51], v[50:51], -v[148:149]
	v_fma_f64 v[62:63], v[132:133], v[60:61], -v[62:63]
	v_mul_f64 v[132:133], v[132:133], v[142:143]
	ds_read2_b64 v[148:151], v144 offset0:42 offset1:43
	v_fmac_f64_e32 v[132:133], v[134:135], v[60:61]
	s_waitcnt vmcnt(12)
	v_add_f64 v[46:47], v[46:47], -v[132:133]
	ds_read2_b64 v[132:135], v144 offset0:44 offset1:45
	v_add_f64 v[44:45], v[44:45], -v[62:63]
	;; [unrolled: 18-line block ×7, first 2 shown]
	s_waitcnt lgkmcnt(1)
	v_mul_f64 v[62:63], v[150:151], v[142:143]
	v_fma_f64 v[62:63], v[148:149], v[60:61], -v[62:63]
	s_waitcnt vmcnt(1)
	v_add_f64 v[0:1], v[0:1], -v[62:63]
	s_waitcnt lgkmcnt(0)
	v_mul_f64 v[62:63], v[134:135], v[142:143]
	v_mul_f64 v[148:149], v[148:149], v[142:143]
	v_fma_f64 v[62:63], v[132:133], v[60:61], -v[62:63]
	v_mul_f64 v[132:133], v[132:133], v[142:143]
	v_fmac_f64_e32 v[148:149], v[150:151], v[60:61]
	v_fmac_f64_e32 v[132:133], v[134:135], v[60:61]
	v_add_f64 v[2:3], v[2:3], -v[148:149]
	s_waitcnt vmcnt(0)
	v_add_f64 v[128:129], v[128:129], -v[62:63]
	v_add_f64 v[130:131], v[130:131], -v[132:133]
	v_mov_b64_e32 v[62:63], v[142:143]
.LBB64_356:
	s_or_b64 exec, exec, s[0:1]
	v_lshl_add_u32 v132, v145, 4, v144
	s_barrier
	s_waitcnt vmcnt(15)
	ds_write2_b64 v132, v[56:57], v[58:59] offset1:1
	s_waitcnt lgkmcnt(0)
	s_barrier
	ds_read2_b64 v[132:135], v144 offset0:34 offset1:35
	s_cmp_lt_i32 s20, 19
	v_mov_b32_e32 v142, 17
	s_cbranch_scc1 .LBB64_359
; %bb.357:
	v_add_u32_e32 v143, 0x120, v144
	s_mov_b32 s16, 18
	v_mov_b32_e32 v142, 17
.LBB64_358:                             ; =>This Inner Loop Header: Depth=1
	ds_read2_b64 v[148:151], v143 offset1:1
	s_waitcnt lgkmcnt(1)
	v_xor_b32_e32 v153, 0x80000000, v133
	v_xor_b32_e32 v155, 0x80000000, v135
	v_cmp_gt_f64_e32 vcc, 0, v[134:135]
	v_cmp_gt_f64_e64 s[0:1], 0, v[132:133]
	v_mov_b32_e32 v152, v132
	v_mov_b32_e32 v154, v134
	v_cndmask_b32_e64 v153, v133, v153, s[0:1]
	v_cndmask_b32_e32 v155, v135, v155, vcc
	v_add_f64 v[152:153], v[152:153], v[154:155]
	s_waitcnt lgkmcnt(0)
	v_xor_b32_e32 v155, 0x80000000, v149
	v_xor_b32_e32 v157, 0x80000000, v151
	v_cmp_gt_f64_e32 vcc, 0, v[150:151]
	v_cmp_gt_f64_e64 s[0:1], 0, v[148:149]
	v_mov_b32_e32 v154, v148
	v_mov_b32_e32 v156, v150
	v_cndmask_b32_e64 v155, v149, v155, s[0:1]
	v_cndmask_b32_e32 v157, v151, v157, vcc
	v_add_f64 v[154:155], v[154:155], v[156:157]
	v_mov_b32_e32 v158, s16
	s_add_i32 s16, s16, 1
	v_cmp_lt_f64_e32 vcc, v[152:153], v[154:155]
	v_add_u32_e32 v143, 16, v143
	s_cmp_lg_u32 s20, s16
	v_cndmask_b32_e32 v133, v133, v149, vcc
	v_cndmask_b32_e32 v132, v132, v148, vcc
	;; [unrolled: 1-line block ×5, first 2 shown]
	s_cbranch_scc1 .LBB64_358
.LBB64_359:
	s_waitcnt lgkmcnt(0)
	v_cmp_eq_f64_e32 vcc, 0, v[132:133]
	v_cmp_eq_f64_e64 s[0:1], 0, v[134:135]
	s_and_b64 s[0:1], vcc, s[0:1]
	s_and_saveexec_b64 s[16:17], s[0:1]
	s_xor_b64 s[0:1], exec, s[16:17]
; %bb.360:
	v_cmp_ne_u32_e32 vcc, 0, v146
	s_nop 1
	v_cndmask_b32_e32 v146, 18, v146, vcc
; %bb.361:
	s_andn2_saveexec_b64 s[0:1], s[0:1]
	s_cbranch_execz .LBB64_367
; %bb.362:
	v_cmp_ngt_f64_e64 s[16:17], |v[132:133]|, |v[134:135]|
	s_and_saveexec_b64 s[18:19], s[16:17]
	s_xor_b64 s[16:17], exec, s[18:19]
	s_cbranch_execz .LBB64_364
; %bb.363:
	v_div_scale_f64 v[148:149], s[18:19], v[134:135], v[134:135], v[132:133]
	v_rcp_f64_e32 v[150:151], v[148:149]
	v_div_scale_f64 v[152:153], vcc, v[132:133], v[134:135], v[132:133]
	v_fma_f64 v[154:155], -v[148:149], v[150:151], 1.0
	v_fmac_f64_e32 v[150:151], v[150:151], v[154:155]
	v_fma_f64 v[154:155], -v[148:149], v[150:151], 1.0
	v_fmac_f64_e32 v[150:151], v[150:151], v[154:155]
	v_mul_f64 v[154:155], v[152:153], v[150:151]
	v_fma_f64 v[148:149], -v[148:149], v[154:155], v[152:153]
	v_div_fmas_f64 v[148:149], v[148:149], v[150:151], v[154:155]
	v_div_fixup_f64 v[148:149], v[148:149], v[134:135], v[132:133]
	v_fmac_f64_e32 v[134:135], v[132:133], v[148:149]
	v_div_scale_f64 v[132:133], s[18:19], v[134:135], v[134:135], 1.0
	v_rcp_f64_e32 v[150:151], v[132:133]
	s_nop 0
	v_fma_f64 v[152:153], -v[132:133], v[150:151], 1.0
	v_fmac_f64_e32 v[150:151], v[150:151], v[152:153]
	v_fma_f64 v[152:153], -v[132:133], v[150:151], 1.0
	v_fmac_f64_e32 v[150:151], v[150:151], v[152:153]
	v_div_scale_f64 v[152:153], vcc, 1.0, v[134:135], 1.0
	v_mul_f64 v[154:155], v[152:153], v[150:151]
	v_fma_f64 v[132:133], -v[132:133], v[154:155], v[152:153]
	s_nop 1
	v_div_fmas_f64 v[132:133], v[132:133], v[150:151], v[154:155]
	v_div_fixup_f64 v[134:135], v[132:133], v[134:135], 1.0
	v_mul_f64 v[132:133], v[148:149], v[134:135]
	v_xor_b32_e32 v135, 0x80000000, v135
.LBB64_364:
	s_andn2_saveexec_b64 s[16:17], s[16:17]
	s_cbranch_execz .LBB64_366
; %bb.365:
	v_div_scale_f64 v[148:149], s[18:19], v[132:133], v[132:133], v[134:135]
	v_rcp_f64_e32 v[150:151], v[148:149]
	v_div_scale_f64 v[152:153], vcc, v[134:135], v[132:133], v[134:135]
	v_fma_f64 v[154:155], -v[148:149], v[150:151], 1.0
	v_fmac_f64_e32 v[150:151], v[150:151], v[154:155]
	v_fma_f64 v[154:155], -v[148:149], v[150:151], 1.0
	v_fmac_f64_e32 v[150:151], v[150:151], v[154:155]
	v_mul_f64 v[154:155], v[152:153], v[150:151]
	v_fma_f64 v[148:149], -v[148:149], v[154:155], v[152:153]
	v_div_fmas_f64 v[148:149], v[148:149], v[150:151], v[154:155]
	v_div_fixup_f64 v[148:149], v[148:149], v[132:133], v[134:135]
	v_fmac_f64_e32 v[132:133], v[134:135], v[148:149]
	v_div_scale_f64 v[134:135], s[18:19], v[132:133], v[132:133], 1.0
	v_rcp_f64_e32 v[150:151], v[134:135]
	s_nop 0
	v_fma_f64 v[152:153], -v[134:135], v[150:151], 1.0
	v_fmac_f64_e32 v[150:151], v[150:151], v[152:153]
	v_fma_f64 v[152:153], -v[134:135], v[150:151], 1.0
	v_fmac_f64_e32 v[150:151], v[150:151], v[152:153]
	v_div_scale_f64 v[152:153], vcc, 1.0, v[132:133], 1.0
	v_mul_f64 v[154:155], v[152:153], v[150:151]
	v_fma_f64 v[134:135], -v[134:135], v[154:155], v[152:153]
	s_nop 1
	v_div_fmas_f64 v[134:135], v[134:135], v[150:151], v[154:155]
	v_div_fixup_f64 v[132:133], v[134:135], v[132:133], 1.0
	v_mul_f64 v[134:135], v[148:149], -v[132:133]
.LBB64_366:
	s_or_b64 exec, exec, s[16:17]
.LBB64_367:
	s_or_b64 exec, exec, s[0:1]
	v_cmp_ne_u32_e32 vcc, v145, v142
	s_and_saveexec_b64 s[0:1], vcc
	s_xor_b64 s[0:1], exec, s[0:1]
	s_cbranch_execz .LBB64_373
; %bb.368:
	v_cmp_eq_u32_e32 vcc, 17, v145
	s_and_saveexec_b64 s[16:17], vcc
	s_cbranch_execz .LBB64_372
; %bb.369:
	v_cmp_ne_u32_e32 vcc, 17, v142
	s_xor_b64 s[18:19], s[14:15], -1
	s_and_b64 s[22:23], s[18:19], vcc
	s_and_saveexec_b64 s[18:19], s[22:23]
	s_cbranch_execz .LBB64_371
; %bb.370:
	v_ashrrev_i32_e32 v143, 31, v142
	v_lshl_add_u64 v[148:149], v[142:143], 2, v[140:141]
	global_load_dword v143, v[148:149], off
	global_load_dword v145, v[140:141], off offset:68
	s_waitcnt vmcnt(1)
	global_store_dword v[140:141], v143, off offset:68
	s_waitcnt vmcnt(1)
	global_store_dword v[148:149], v145, off
.LBB64_371:
	s_or_b64 exec, exec, s[18:19]
	v_mov_b32_e32 v145, v142
	v_mov_b32_e32 v147, v142
.LBB64_372:
	s_or_b64 exec, exec, s[16:17]
.LBB64_373:
	s_andn2_saveexec_b64 s[0:1], s[0:1]
	s_cbranch_execz .LBB64_375
; %bb.374:
	v_mov_b32_e32 v145, 17
	s_waitcnt vmcnt(14)
	ds_write2_b64 v144, v[52:53], v[54:55] offset0:36 offset1:37
	s_waitcnt vmcnt(13)
	ds_write2_b64 v144, v[48:49], v[50:51] offset0:38 offset1:39
	s_waitcnt vmcnt(12)
	ds_write2_b64 v144, v[44:45], v[46:47] offset0:40 offset1:41
	s_waitcnt vmcnt(11)
	ds_write2_b64 v144, v[40:41], v[42:43] offset0:42 offset1:43
	s_waitcnt vmcnt(10)
	ds_write2_b64 v144, v[36:37], v[38:39] offset0:44 offset1:45
	s_waitcnt vmcnt(9)
	ds_write2_b64 v144, v[32:33], v[34:35] offset0:46 offset1:47
	s_waitcnt vmcnt(8)
	ds_write2_b64 v144, v[28:29], v[30:31] offset0:48 offset1:49
	s_waitcnt vmcnt(7)
	ds_write2_b64 v144, v[24:25], v[26:27] offset0:50 offset1:51
	s_waitcnt vmcnt(6)
	ds_write2_b64 v144, v[20:21], v[22:23] offset0:52 offset1:53
	s_waitcnt vmcnt(5)
	ds_write2_b64 v144, v[16:17], v[18:19] offset0:54 offset1:55
	s_waitcnt vmcnt(4)
	ds_write2_b64 v144, v[12:13], v[14:15] offset0:56 offset1:57
	s_waitcnt vmcnt(3)
	ds_write2_b64 v144, v[8:9], v[10:11] offset0:58 offset1:59
	s_waitcnt vmcnt(2)
	ds_write2_b64 v144, v[4:5], v[6:7] offset0:60 offset1:61
	s_waitcnt vmcnt(1)
	ds_write2_b64 v144, v[0:1], v[2:3] offset0:62 offset1:63
	s_waitcnt vmcnt(0)
	ds_write2_b64 v144, v[128:129], v[130:131] offset0:64 offset1:65
.LBB64_375:
	s_or_b64 exec, exec, s[0:1]
	v_cmp_lt_i32_e32 vcc, 17, v145
	s_waitcnt lgkmcnt(0)
	s_barrier
	s_and_saveexec_b64 s[0:1], vcc
	s_cbranch_execz .LBB64_377
; %bb.376:
	ds_read2_b64 v[148:151], v144 offset0:36 offset1:37
	v_mul_f64 v[142:143], v[132:133], v[58:59]
	v_fmac_f64_e32 v[142:143], v[134:135], v[56:57]
	v_mul_f64 v[58:59], v[134:135], v[58:59]
	v_fma_f64 v[56:57], v[132:133], v[56:57], -v[58:59]
	ds_read2_b64 v[132:135], v144 offset0:38 offset1:39
	s_waitcnt lgkmcnt(1)
	v_mul_f64 v[58:59], v[150:151], v[142:143]
	v_fma_f64 v[58:59], v[148:149], v[56:57], -v[58:59]
	v_mul_f64 v[148:149], v[148:149], v[142:143]
	v_fmac_f64_e32 v[148:149], v[150:151], v[56:57]
	s_waitcnt vmcnt(14)
	v_add_f64 v[54:55], v[54:55], -v[148:149]
	ds_read2_b64 v[148:151], v144 offset0:40 offset1:41
	v_add_f64 v[52:53], v[52:53], -v[58:59]
	s_waitcnt lgkmcnt(1)
	v_mul_f64 v[58:59], v[134:135], v[142:143]
	v_fma_f64 v[58:59], v[132:133], v[56:57], -v[58:59]
	v_mul_f64 v[132:133], v[132:133], v[142:143]
	v_fmac_f64_e32 v[132:133], v[134:135], v[56:57]
	s_waitcnt vmcnt(13)
	v_add_f64 v[48:49], v[48:49], -v[58:59]
	v_add_f64 v[50:51], v[50:51], -v[132:133]
	ds_read2_b64 v[132:135], v144 offset0:42 offset1:43
	s_waitcnt lgkmcnt(1)
	v_mul_f64 v[58:59], v[150:151], v[142:143]
	v_fma_f64 v[58:59], v[148:149], v[56:57], -v[58:59]
	v_mul_f64 v[148:149], v[148:149], v[142:143]
	v_fmac_f64_e32 v[148:149], v[150:151], v[56:57]
	s_waitcnt vmcnt(12)
	v_add_f64 v[46:47], v[46:47], -v[148:149]
	ds_read2_b64 v[148:151], v144 offset0:44 offset1:45
	v_add_f64 v[44:45], v[44:45], -v[58:59]
	s_waitcnt lgkmcnt(1)
	v_mul_f64 v[58:59], v[134:135], v[142:143]
	v_fma_f64 v[58:59], v[132:133], v[56:57], -v[58:59]
	v_mul_f64 v[132:133], v[132:133], v[142:143]
	v_fmac_f64_e32 v[132:133], v[134:135], v[56:57]
	s_waitcnt vmcnt(11)
	v_add_f64 v[40:41], v[40:41], -v[58:59]
	v_add_f64 v[42:43], v[42:43], -v[132:133]
	;; [unrolled: 18-line block ×7, first 2 shown]
	s_waitcnt lgkmcnt(0)
	v_mul_f64 v[58:59], v[150:151], v[142:143]
	v_mul_f64 v[132:133], v[148:149], v[142:143]
	v_fma_f64 v[58:59], v[148:149], v[56:57], -v[58:59]
	v_fmac_f64_e32 v[132:133], v[150:151], v[56:57]
	s_waitcnt vmcnt(0)
	v_add_f64 v[128:129], v[128:129], -v[58:59]
	v_add_f64 v[130:131], v[130:131], -v[132:133]
	v_mov_b64_e32 v[58:59], v[142:143]
.LBB64_377:
	s_or_b64 exec, exec, s[0:1]
	v_lshl_add_u32 v132, v145, 4, v144
	s_barrier
	s_waitcnt vmcnt(14)
	ds_write2_b64 v132, v[52:53], v[54:55] offset1:1
	s_waitcnt lgkmcnt(0)
	s_barrier
	ds_read2_b64 v[132:135], v144 offset0:36 offset1:37
	s_cmp_lt_i32 s20, 20
	v_mov_b32_e32 v142, 18
	s_cbranch_scc1 .LBB64_380
; %bb.378:
	v_add_u32_e32 v143, 0x130, v144
	s_mov_b32 s16, 19
	v_mov_b32_e32 v142, 18
.LBB64_379:                             ; =>This Inner Loop Header: Depth=1
	ds_read2_b64 v[148:151], v143 offset1:1
	s_waitcnt lgkmcnt(1)
	v_xor_b32_e32 v153, 0x80000000, v133
	v_xor_b32_e32 v155, 0x80000000, v135
	v_cmp_gt_f64_e32 vcc, 0, v[134:135]
	v_cmp_gt_f64_e64 s[0:1], 0, v[132:133]
	v_mov_b32_e32 v152, v132
	v_mov_b32_e32 v154, v134
	v_cndmask_b32_e64 v153, v133, v153, s[0:1]
	v_cndmask_b32_e32 v155, v135, v155, vcc
	v_add_f64 v[152:153], v[152:153], v[154:155]
	s_waitcnt lgkmcnt(0)
	v_xor_b32_e32 v155, 0x80000000, v149
	v_xor_b32_e32 v157, 0x80000000, v151
	v_cmp_gt_f64_e32 vcc, 0, v[150:151]
	v_cmp_gt_f64_e64 s[0:1], 0, v[148:149]
	v_mov_b32_e32 v154, v148
	v_mov_b32_e32 v156, v150
	v_cndmask_b32_e64 v155, v149, v155, s[0:1]
	v_cndmask_b32_e32 v157, v151, v157, vcc
	v_add_f64 v[154:155], v[154:155], v[156:157]
	v_mov_b32_e32 v158, s16
	s_add_i32 s16, s16, 1
	v_cmp_lt_f64_e32 vcc, v[152:153], v[154:155]
	v_add_u32_e32 v143, 16, v143
	s_cmp_lg_u32 s20, s16
	v_cndmask_b32_e32 v133, v133, v149, vcc
	v_cndmask_b32_e32 v132, v132, v148, vcc
	;; [unrolled: 1-line block ×5, first 2 shown]
	s_cbranch_scc1 .LBB64_379
.LBB64_380:
	s_waitcnt lgkmcnt(0)
	v_cmp_eq_f64_e32 vcc, 0, v[132:133]
	v_cmp_eq_f64_e64 s[0:1], 0, v[134:135]
	s_and_b64 s[0:1], vcc, s[0:1]
	s_and_saveexec_b64 s[16:17], s[0:1]
	s_xor_b64 s[0:1], exec, s[16:17]
; %bb.381:
	v_cmp_ne_u32_e32 vcc, 0, v146
	s_nop 1
	v_cndmask_b32_e32 v146, 19, v146, vcc
; %bb.382:
	s_andn2_saveexec_b64 s[0:1], s[0:1]
	s_cbranch_execz .LBB64_388
; %bb.383:
	v_cmp_ngt_f64_e64 s[16:17], |v[132:133]|, |v[134:135]|
	s_and_saveexec_b64 s[18:19], s[16:17]
	s_xor_b64 s[16:17], exec, s[18:19]
	s_cbranch_execz .LBB64_385
; %bb.384:
	v_div_scale_f64 v[148:149], s[18:19], v[134:135], v[134:135], v[132:133]
	v_rcp_f64_e32 v[150:151], v[148:149]
	v_div_scale_f64 v[152:153], vcc, v[132:133], v[134:135], v[132:133]
	v_fma_f64 v[154:155], -v[148:149], v[150:151], 1.0
	v_fmac_f64_e32 v[150:151], v[150:151], v[154:155]
	v_fma_f64 v[154:155], -v[148:149], v[150:151], 1.0
	v_fmac_f64_e32 v[150:151], v[150:151], v[154:155]
	v_mul_f64 v[154:155], v[152:153], v[150:151]
	v_fma_f64 v[148:149], -v[148:149], v[154:155], v[152:153]
	v_div_fmas_f64 v[148:149], v[148:149], v[150:151], v[154:155]
	v_div_fixup_f64 v[148:149], v[148:149], v[134:135], v[132:133]
	v_fmac_f64_e32 v[134:135], v[132:133], v[148:149]
	v_div_scale_f64 v[132:133], s[18:19], v[134:135], v[134:135], 1.0
	v_rcp_f64_e32 v[150:151], v[132:133]
	s_nop 0
	v_fma_f64 v[152:153], -v[132:133], v[150:151], 1.0
	v_fmac_f64_e32 v[150:151], v[150:151], v[152:153]
	v_fma_f64 v[152:153], -v[132:133], v[150:151], 1.0
	v_fmac_f64_e32 v[150:151], v[150:151], v[152:153]
	v_div_scale_f64 v[152:153], vcc, 1.0, v[134:135], 1.0
	v_mul_f64 v[154:155], v[152:153], v[150:151]
	v_fma_f64 v[132:133], -v[132:133], v[154:155], v[152:153]
	s_nop 1
	v_div_fmas_f64 v[132:133], v[132:133], v[150:151], v[154:155]
	v_div_fixup_f64 v[134:135], v[132:133], v[134:135], 1.0
	v_mul_f64 v[132:133], v[148:149], v[134:135]
	v_xor_b32_e32 v135, 0x80000000, v135
.LBB64_385:
	s_andn2_saveexec_b64 s[16:17], s[16:17]
	s_cbranch_execz .LBB64_387
; %bb.386:
	v_div_scale_f64 v[148:149], s[18:19], v[132:133], v[132:133], v[134:135]
	v_rcp_f64_e32 v[150:151], v[148:149]
	v_div_scale_f64 v[152:153], vcc, v[134:135], v[132:133], v[134:135]
	v_fma_f64 v[154:155], -v[148:149], v[150:151], 1.0
	v_fmac_f64_e32 v[150:151], v[150:151], v[154:155]
	v_fma_f64 v[154:155], -v[148:149], v[150:151], 1.0
	v_fmac_f64_e32 v[150:151], v[150:151], v[154:155]
	v_mul_f64 v[154:155], v[152:153], v[150:151]
	v_fma_f64 v[148:149], -v[148:149], v[154:155], v[152:153]
	v_div_fmas_f64 v[148:149], v[148:149], v[150:151], v[154:155]
	v_div_fixup_f64 v[148:149], v[148:149], v[132:133], v[134:135]
	v_fmac_f64_e32 v[132:133], v[134:135], v[148:149]
	v_div_scale_f64 v[134:135], s[18:19], v[132:133], v[132:133], 1.0
	v_rcp_f64_e32 v[150:151], v[134:135]
	s_nop 0
	v_fma_f64 v[152:153], -v[134:135], v[150:151], 1.0
	v_fmac_f64_e32 v[150:151], v[150:151], v[152:153]
	v_fma_f64 v[152:153], -v[134:135], v[150:151], 1.0
	v_fmac_f64_e32 v[150:151], v[150:151], v[152:153]
	v_div_scale_f64 v[152:153], vcc, 1.0, v[132:133], 1.0
	v_mul_f64 v[154:155], v[152:153], v[150:151]
	v_fma_f64 v[134:135], -v[134:135], v[154:155], v[152:153]
	s_nop 1
	v_div_fmas_f64 v[134:135], v[134:135], v[150:151], v[154:155]
	v_div_fixup_f64 v[132:133], v[134:135], v[132:133], 1.0
	v_mul_f64 v[134:135], v[148:149], -v[132:133]
.LBB64_387:
	s_or_b64 exec, exec, s[16:17]
.LBB64_388:
	s_or_b64 exec, exec, s[0:1]
	v_cmp_ne_u32_e32 vcc, v145, v142
	s_and_saveexec_b64 s[0:1], vcc
	s_xor_b64 s[0:1], exec, s[0:1]
	s_cbranch_execz .LBB64_394
; %bb.389:
	v_cmp_eq_u32_e32 vcc, 18, v145
	s_and_saveexec_b64 s[16:17], vcc
	s_cbranch_execz .LBB64_393
; %bb.390:
	v_cmp_ne_u32_e32 vcc, 18, v142
	s_xor_b64 s[18:19], s[14:15], -1
	s_and_b64 s[22:23], s[18:19], vcc
	s_and_saveexec_b64 s[18:19], s[22:23]
	s_cbranch_execz .LBB64_392
; %bb.391:
	v_ashrrev_i32_e32 v143, 31, v142
	v_lshl_add_u64 v[148:149], v[142:143], 2, v[140:141]
	global_load_dword v143, v[148:149], off
	global_load_dword v145, v[140:141], off offset:72
	s_waitcnt vmcnt(1)
	global_store_dword v[140:141], v143, off offset:72
	s_waitcnt vmcnt(1)
	global_store_dword v[148:149], v145, off
.LBB64_392:
	s_or_b64 exec, exec, s[18:19]
	v_mov_b32_e32 v145, v142
	v_mov_b32_e32 v147, v142
.LBB64_393:
	s_or_b64 exec, exec, s[16:17]
.LBB64_394:
	s_andn2_saveexec_b64 s[0:1], s[0:1]
	s_cbranch_execz .LBB64_396
; %bb.395:
	v_mov_b32_e32 v145, 18
	s_waitcnt vmcnt(13)
	ds_write2_b64 v144, v[48:49], v[50:51] offset0:38 offset1:39
	s_waitcnt vmcnt(12)
	ds_write2_b64 v144, v[44:45], v[46:47] offset0:40 offset1:41
	;; [unrolled: 2-line block ×14, first 2 shown]
.LBB64_396:
	s_or_b64 exec, exec, s[0:1]
	v_cmp_lt_i32_e32 vcc, 18, v145
	s_waitcnt lgkmcnt(0)
	s_barrier
	s_and_saveexec_b64 s[0:1], vcc
	s_cbranch_execz .LBB64_398
; %bb.397:
	ds_read2_b64 v[148:151], v144 offset0:38 offset1:39
	v_mul_f64 v[142:143], v[132:133], v[54:55]
	v_mul_f64 v[54:55], v[134:135], v[54:55]
	v_fmac_f64_e32 v[142:143], v[134:135], v[52:53]
	v_fma_f64 v[52:53], v[132:133], v[52:53], -v[54:55]
	ds_read2_b64 v[132:135], v144 offset0:40 offset1:41
	s_waitcnt lgkmcnt(1)
	v_mul_f64 v[54:55], v[150:151], v[142:143]
	v_fma_f64 v[54:55], v[148:149], v[52:53], -v[54:55]
	v_mul_f64 v[148:149], v[148:149], v[142:143]
	v_fmac_f64_e32 v[148:149], v[150:151], v[52:53]
	s_waitcnt vmcnt(13)
	v_add_f64 v[48:49], v[48:49], -v[54:55]
	s_waitcnt lgkmcnt(0)
	v_mul_f64 v[54:55], v[134:135], v[142:143]
	v_add_f64 v[50:51], v[50:51], -v[148:149]
	v_fma_f64 v[54:55], v[132:133], v[52:53], -v[54:55]
	v_mul_f64 v[132:133], v[132:133], v[142:143]
	ds_read2_b64 v[148:151], v144 offset0:42 offset1:43
	v_fmac_f64_e32 v[132:133], v[134:135], v[52:53]
	s_waitcnt vmcnt(12)
	v_add_f64 v[46:47], v[46:47], -v[132:133]
	ds_read2_b64 v[132:135], v144 offset0:44 offset1:45
	v_add_f64 v[44:45], v[44:45], -v[54:55]
	s_waitcnt lgkmcnt(1)
	v_mul_f64 v[54:55], v[150:151], v[142:143]
	v_fma_f64 v[54:55], v[148:149], v[52:53], -v[54:55]
	v_mul_f64 v[148:149], v[148:149], v[142:143]
	v_fmac_f64_e32 v[148:149], v[150:151], v[52:53]
	s_waitcnt vmcnt(11)
	v_add_f64 v[40:41], v[40:41], -v[54:55]
	s_waitcnt lgkmcnt(0)
	v_mul_f64 v[54:55], v[134:135], v[142:143]
	v_add_f64 v[42:43], v[42:43], -v[148:149]
	v_fma_f64 v[54:55], v[132:133], v[52:53], -v[54:55]
	v_mul_f64 v[132:133], v[132:133], v[142:143]
	ds_read2_b64 v[148:151], v144 offset0:46 offset1:47
	v_fmac_f64_e32 v[132:133], v[134:135], v[52:53]
	s_waitcnt vmcnt(10)
	v_add_f64 v[38:39], v[38:39], -v[132:133]
	ds_read2_b64 v[132:135], v144 offset0:48 offset1:49
	v_add_f64 v[36:37], v[36:37], -v[54:55]
	;; [unrolled: 18-line block ×6, first 2 shown]
	s_waitcnt lgkmcnt(1)
	v_mul_f64 v[54:55], v[150:151], v[142:143]
	v_fma_f64 v[54:55], v[148:149], v[52:53], -v[54:55]
	s_waitcnt vmcnt(1)
	v_add_f64 v[0:1], v[0:1], -v[54:55]
	s_waitcnt lgkmcnt(0)
	v_mul_f64 v[54:55], v[134:135], v[142:143]
	v_mul_f64 v[148:149], v[148:149], v[142:143]
	v_fma_f64 v[54:55], v[132:133], v[52:53], -v[54:55]
	v_mul_f64 v[132:133], v[132:133], v[142:143]
	v_fmac_f64_e32 v[148:149], v[150:151], v[52:53]
	v_fmac_f64_e32 v[132:133], v[134:135], v[52:53]
	v_add_f64 v[2:3], v[2:3], -v[148:149]
	s_waitcnt vmcnt(0)
	v_add_f64 v[128:129], v[128:129], -v[54:55]
	v_add_f64 v[130:131], v[130:131], -v[132:133]
	v_mov_b64_e32 v[54:55], v[142:143]
.LBB64_398:
	s_or_b64 exec, exec, s[0:1]
	v_lshl_add_u32 v132, v145, 4, v144
	s_barrier
	s_waitcnt vmcnt(13)
	ds_write2_b64 v132, v[48:49], v[50:51] offset1:1
	s_waitcnt lgkmcnt(0)
	s_barrier
	ds_read2_b64 v[132:135], v144 offset0:38 offset1:39
	s_cmp_lt_i32 s20, 21
	v_mov_b32_e32 v142, 19
	s_cbranch_scc1 .LBB64_401
; %bb.399:
	v_add_u32_e32 v143, 0x140, v144
	s_mov_b32 s16, 20
	v_mov_b32_e32 v142, 19
.LBB64_400:                             ; =>This Inner Loop Header: Depth=1
	ds_read2_b64 v[148:151], v143 offset1:1
	s_waitcnt lgkmcnt(1)
	v_xor_b32_e32 v153, 0x80000000, v133
	v_xor_b32_e32 v155, 0x80000000, v135
	v_cmp_gt_f64_e32 vcc, 0, v[134:135]
	v_cmp_gt_f64_e64 s[0:1], 0, v[132:133]
	v_mov_b32_e32 v152, v132
	v_mov_b32_e32 v154, v134
	v_cndmask_b32_e64 v153, v133, v153, s[0:1]
	v_cndmask_b32_e32 v155, v135, v155, vcc
	v_add_f64 v[152:153], v[152:153], v[154:155]
	s_waitcnt lgkmcnt(0)
	v_xor_b32_e32 v155, 0x80000000, v149
	v_xor_b32_e32 v157, 0x80000000, v151
	v_cmp_gt_f64_e32 vcc, 0, v[150:151]
	v_cmp_gt_f64_e64 s[0:1], 0, v[148:149]
	v_mov_b32_e32 v154, v148
	v_mov_b32_e32 v156, v150
	v_cndmask_b32_e64 v155, v149, v155, s[0:1]
	v_cndmask_b32_e32 v157, v151, v157, vcc
	v_add_f64 v[154:155], v[154:155], v[156:157]
	v_mov_b32_e32 v158, s16
	s_add_i32 s16, s16, 1
	v_cmp_lt_f64_e32 vcc, v[152:153], v[154:155]
	v_add_u32_e32 v143, 16, v143
	s_cmp_lg_u32 s20, s16
	v_cndmask_b32_e32 v133, v133, v149, vcc
	v_cndmask_b32_e32 v132, v132, v148, vcc
	;; [unrolled: 1-line block ×5, first 2 shown]
	s_cbranch_scc1 .LBB64_400
.LBB64_401:
	s_waitcnt lgkmcnt(0)
	v_cmp_eq_f64_e32 vcc, 0, v[132:133]
	v_cmp_eq_f64_e64 s[0:1], 0, v[134:135]
	s_and_b64 s[0:1], vcc, s[0:1]
	s_and_saveexec_b64 s[16:17], s[0:1]
	s_xor_b64 s[0:1], exec, s[16:17]
; %bb.402:
	v_cmp_ne_u32_e32 vcc, 0, v146
	s_nop 1
	v_cndmask_b32_e32 v146, 20, v146, vcc
; %bb.403:
	s_andn2_saveexec_b64 s[0:1], s[0:1]
	s_cbranch_execz .LBB64_409
; %bb.404:
	v_cmp_ngt_f64_e64 s[16:17], |v[132:133]|, |v[134:135]|
	s_and_saveexec_b64 s[18:19], s[16:17]
	s_xor_b64 s[16:17], exec, s[18:19]
	s_cbranch_execz .LBB64_406
; %bb.405:
	v_div_scale_f64 v[148:149], s[18:19], v[134:135], v[134:135], v[132:133]
	v_rcp_f64_e32 v[150:151], v[148:149]
	v_div_scale_f64 v[152:153], vcc, v[132:133], v[134:135], v[132:133]
	v_fma_f64 v[154:155], -v[148:149], v[150:151], 1.0
	v_fmac_f64_e32 v[150:151], v[150:151], v[154:155]
	v_fma_f64 v[154:155], -v[148:149], v[150:151], 1.0
	v_fmac_f64_e32 v[150:151], v[150:151], v[154:155]
	v_mul_f64 v[154:155], v[152:153], v[150:151]
	v_fma_f64 v[148:149], -v[148:149], v[154:155], v[152:153]
	v_div_fmas_f64 v[148:149], v[148:149], v[150:151], v[154:155]
	v_div_fixup_f64 v[148:149], v[148:149], v[134:135], v[132:133]
	v_fmac_f64_e32 v[134:135], v[132:133], v[148:149]
	v_div_scale_f64 v[132:133], s[18:19], v[134:135], v[134:135], 1.0
	v_rcp_f64_e32 v[150:151], v[132:133]
	s_nop 0
	v_fma_f64 v[152:153], -v[132:133], v[150:151], 1.0
	v_fmac_f64_e32 v[150:151], v[150:151], v[152:153]
	v_fma_f64 v[152:153], -v[132:133], v[150:151], 1.0
	v_fmac_f64_e32 v[150:151], v[150:151], v[152:153]
	v_div_scale_f64 v[152:153], vcc, 1.0, v[134:135], 1.0
	v_mul_f64 v[154:155], v[152:153], v[150:151]
	v_fma_f64 v[132:133], -v[132:133], v[154:155], v[152:153]
	s_nop 1
	v_div_fmas_f64 v[132:133], v[132:133], v[150:151], v[154:155]
	v_div_fixup_f64 v[134:135], v[132:133], v[134:135], 1.0
	v_mul_f64 v[132:133], v[148:149], v[134:135]
	v_xor_b32_e32 v135, 0x80000000, v135
.LBB64_406:
	s_andn2_saveexec_b64 s[16:17], s[16:17]
	s_cbranch_execz .LBB64_408
; %bb.407:
	v_div_scale_f64 v[148:149], s[18:19], v[132:133], v[132:133], v[134:135]
	v_rcp_f64_e32 v[150:151], v[148:149]
	v_div_scale_f64 v[152:153], vcc, v[134:135], v[132:133], v[134:135]
	v_fma_f64 v[154:155], -v[148:149], v[150:151], 1.0
	v_fmac_f64_e32 v[150:151], v[150:151], v[154:155]
	v_fma_f64 v[154:155], -v[148:149], v[150:151], 1.0
	v_fmac_f64_e32 v[150:151], v[150:151], v[154:155]
	v_mul_f64 v[154:155], v[152:153], v[150:151]
	v_fma_f64 v[148:149], -v[148:149], v[154:155], v[152:153]
	v_div_fmas_f64 v[148:149], v[148:149], v[150:151], v[154:155]
	v_div_fixup_f64 v[148:149], v[148:149], v[132:133], v[134:135]
	v_fmac_f64_e32 v[132:133], v[134:135], v[148:149]
	v_div_scale_f64 v[134:135], s[18:19], v[132:133], v[132:133], 1.0
	v_rcp_f64_e32 v[150:151], v[134:135]
	s_nop 0
	v_fma_f64 v[152:153], -v[134:135], v[150:151], 1.0
	v_fmac_f64_e32 v[150:151], v[150:151], v[152:153]
	v_fma_f64 v[152:153], -v[134:135], v[150:151], 1.0
	v_fmac_f64_e32 v[150:151], v[150:151], v[152:153]
	v_div_scale_f64 v[152:153], vcc, 1.0, v[132:133], 1.0
	v_mul_f64 v[154:155], v[152:153], v[150:151]
	v_fma_f64 v[134:135], -v[134:135], v[154:155], v[152:153]
	s_nop 1
	v_div_fmas_f64 v[134:135], v[134:135], v[150:151], v[154:155]
	v_div_fixup_f64 v[132:133], v[134:135], v[132:133], 1.0
	v_mul_f64 v[134:135], v[148:149], -v[132:133]
.LBB64_408:
	s_or_b64 exec, exec, s[16:17]
.LBB64_409:
	s_or_b64 exec, exec, s[0:1]
	v_cmp_ne_u32_e32 vcc, v145, v142
	s_and_saveexec_b64 s[0:1], vcc
	s_xor_b64 s[0:1], exec, s[0:1]
	s_cbranch_execz .LBB64_415
; %bb.410:
	v_cmp_eq_u32_e32 vcc, 19, v145
	s_and_saveexec_b64 s[16:17], vcc
	s_cbranch_execz .LBB64_414
; %bb.411:
	v_cmp_ne_u32_e32 vcc, 19, v142
	s_xor_b64 s[18:19], s[14:15], -1
	s_and_b64 s[22:23], s[18:19], vcc
	s_and_saveexec_b64 s[18:19], s[22:23]
	s_cbranch_execz .LBB64_413
; %bb.412:
	v_ashrrev_i32_e32 v143, 31, v142
	v_lshl_add_u64 v[148:149], v[142:143], 2, v[140:141]
	global_load_dword v143, v[148:149], off
	global_load_dword v145, v[140:141], off offset:76
	s_waitcnt vmcnt(1)
	global_store_dword v[140:141], v143, off offset:76
	s_waitcnt vmcnt(1)
	global_store_dword v[148:149], v145, off
.LBB64_413:
	s_or_b64 exec, exec, s[18:19]
	v_mov_b32_e32 v145, v142
	v_mov_b32_e32 v147, v142
.LBB64_414:
	s_or_b64 exec, exec, s[16:17]
.LBB64_415:
	s_andn2_saveexec_b64 s[0:1], s[0:1]
	s_cbranch_execz .LBB64_417
; %bb.416:
	v_mov_b32_e32 v145, 19
	s_waitcnt vmcnt(12)
	ds_write2_b64 v144, v[44:45], v[46:47] offset0:40 offset1:41
	s_waitcnt vmcnt(11)
	ds_write2_b64 v144, v[40:41], v[42:43] offset0:42 offset1:43
	;; [unrolled: 2-line block ×13, first 2 shown]
.LBB64_417:
	s_or_b64 exec, exec, s[0:1]
	v_cmp_lt_i32_e32 vcc, 19, v145
	s_waitcnt lgkmcnt(0)
	s_barrier
	s_and_saveexec_b64 s[0:1], vcc
	s_cbranch_execz .LBB64_419
; %bb.418:
	ds_read2_b64 v[148:151], v144 offset0:40 offset1:41
	v_mul_f64 v[142:143], v[132:133], v[50:51]
	v_fmac_f64_e32 v[142:143], v[134:135], v[48:49]
	v_mul_f64 v[50:51], v[134:135], v[50:51]
	v_fma_f64 v[48:49], v[132:133], v[48:49], -v[50:51]
	ds_read2_b64 v[132:135], v144 offset0:42 offset1:43
	s_waitcnt lgkmcnt(1)
	v_mul_f64 v[50:51], v[150:151], v[142:143]
	v_fma_f64 v[50:51], v[148:149], v[48:49], -v[50:51]
	v_mul_f64 v[148:149], v[148:149], v[142:143]
	v_fmac_f64_e32 v[148:149], v[150:151], v[48:49]
	s_waitcnt vmcnt(12)
	v_add_f64 v[46:47], v[46:47], -v[148:149]
	ds_read2_b64 v[148:151], v144 offset0:44 offset1:45
	v_add_f64 v[44:45], v[44:45], -v[50:51]
	s_waitcnt lgkmcnt(1)
	v_mul_f64 v[50:51], v[134:135], v[142:143]
	v_fma_f64 v[50:51], v[132:133], v[48:49], -v[50:51]
	v_mul_f64 v[132:133], v[132:133], v[142:143]
	v_fmac_f64_e32 v[132:133], v[134:135], v[48:49]
	s_waitcnt vmcnt(11)
	v_add_f64 v[40:41], v[40:41], -v[50:51]
	v_add_f64 v[42:43], v[42:43], -v[132:133]
	ds_read2_b64 v[132:135], v144 offset0:46 offset1:47
	s_waitcnt lgkmcnt(1)
	v_mul_f64 v[50:51], v[150:151], v[142:143]
	v_fma_f64 v[50:51], v[148:149], v[48:49], -v[50:51]
	v_mul_f64 v[148:149], v[148:149], v[142:143]
	v_fmac_f64_e32 v[148:149], v[150:151], v[48:49]
	s_waitcnt vmcnt(10)
	v_add_f64 v[38:39], v[38:39], -v[148:149]
	ds_read2_b64 v[148:151], v144 offset0:48 offset1:49
	v_add_f64 v[36:37], v[36:37], -v[50:51]
	s_waitcnt lgkmcnt(1)
	v_mul_f64 v[50:51], v[134:135], v[142:143]
	v_fma_f64 v[50:51], v[132:133], v[48:49], -v[50:51]
	v_mul_f64 v[132:133], v[132:133], v[142:143]
	v_fmac_f64_e32 v[132:133], v[134:135], v[48:49]
	s_waitcnt vmcnt(9)
	v_add_f64 v[32:33], v[32:33], -v[50:51]
	v_add_f64 v[34:35], v[34:35], -v[132:133]
	;; [unrolled: 18-line block ×6, first 2 shown]
	s_waitcnt lgkmcnt(0)
	v_mul_f64 v[50:51], v[150:151], v[142:143]
	v_mul_f64 v[132:133], v[148:149], v[142:143]
	v_fma_f64 v[50:51], v[148:149], v[48:49], -v[50:51]
	v_fmac_f64_e32 v[132:133], v[150:151], v[48:49]
	s_waitcnt vmcnt(0)
	v_add_f64 v[128:129], v[128:129], -v[50:51]
	v_add_f64 v[130:131], v[130:131], -v[132:133]
	v_mov_b64_e32 v[50:51], v[142:143]
.LBB64_419:
	s_or_b64 exec, exec, s[0:1]
	v_lshl_add_u32 v132, v145, 4, v144
	s_barrier
	s_waitcnt vmcnt(12)
	ds_write2_b64 v132, v[44:45], v[46:47] offset1:1
	s_waitcnt lgkmcnt(0)
	s_barrier
	ds_read2_b64 v[132:135], v144 offset0:40 offset1:41
	s_cmp_lt_i32 s20, 22
	v_mov_b32_e32 v142, 20
	s_cbranch_scc1 .LBB64_422
; %bb.420:
	v_add_u32_e32 v143, 0x150, v144
	s_mov_b32 s16, 21
	v_mov_b32_e32 v142, 20
.LBB64_421:                             ; =>This Inner Loop Header: Depth=1
	ds_read2_b64 v[148:151], v143 offset1:1
	s_waitcnt lgkmcnt(1)
	v_xor_b32_e32 v153, 0x80000000, v133
	v_xor_b32_e32 v155, 0x80000000, v135
	v_cmp_gt_f64_e32 vcc, 0, v[134:135]
	v_cmp_gt_f64_e64 s[0:1], 0, v[132:133]
	v_mov_b32_e32 v152, v132
	v_mov_b32_e32 v154, v134
	v_cndmask_b32_e64 v153, v133, v153, s[0:1]
	v_cndmask_b32_e32 v155, v135, v155, vcc
	v_add_f64 v[152:153], v[152:153], v[154:155]
	s_waitcnt lgkmcnt(0)
	v_xor_b32_e32 v155, 0x80000000, v149
	v_xor_b32_e32 v157, 0x80000000, v151
	v_cmp_gt_f64_e32 vcc, 0, v[150:151]
	v_cmp_gt_f64_e64 s[0:1], 0, v[148:149]
	v_mov_b32_e32 v154, v148
	v_mov_b32_e32 v156, v150
	v_cndmask_b32_e64 v155, v149, v155, s[0:1]
	v_cndmask_b32_e32 v157, v151, v157, vcc
	v_add_f64 v[154:155], v[154:155], v[156:157]
	v_mov_b32_e32 v158, s16
	s_add_i32 s16, s16, 1
	v_cmp_lt_f64_e32 vcc, v[152:153], v[154:155]
	v_add_u32_e32 v143, 16, v143
	s_cmp_lg_u32 s20, s16
	v_cndmask_b32_e32 v133, v133, v149, vcc
	v_cndmask_b32_e32 v132, v132, v148, vcc
	;; [unrolled: 1-line block ×5, first 2 shown]
	s_cbranch_scc1 .LBB64_421
.LBB64_422:
	s_waitcnt lgkmcnt(0)
	v_cmp_eq_f64_e32 vcc, 0, v[132:133]
	v_cmp_eq_f64_e64 s[0:1], 0, v[134:135]
	s_and_b64 s[0:1], vcc, s[0:1]
	s_and_saveexec_b64 s[16:17], s[0:1]
	s_xor_b64 s[0:1], exec, s[16:17]
; %bb.423:
	v_cmp_ne_u32_e32 vcc, 0, v146
	s_nop 1
	v_cndmask_b32_e32 v146, 21, v146, vcc
; %bb.424:
	s_andn2_saveexec_b64 s[0:1], s[0:1]
	s_cbranch_execz .LBB64_430
; %bb.425:
	v_cmp_ngt_f64_e64 s[16:17], |v[132:133]|, |v[134:135]|
	s_and_saveexec_b64 s[18:19], s[16:17]
	s_xor_b64 s[16:17], exec, s[18:19]
	s_cbranch_execz .LBB64_427
; %bb.426:
	v_div_scale_f64 v[148:149], s[18:19], v[134:135], v[134:135], v[132:133]
	v_rcp_f64_e32 v[150:151], v[148:149]
	v_div_scale_f64 v[152:153], vcc, v[132:133], v[134:135], v[132:133]
	v_fma_f64 v[154:155], -v[148:149], v[150:151], 1.0
	v_fmac_f64_e32 v[150:151], v[150:151], v[154:155]
	v_fma_f64 v[154:155], -v[148:149], v[150:151], 1.0
	v_fmac_f64_e32 v[150:151], v[150:151], v[154:155]
	v_mul_f64 v[154:155], v[152:153], v[150:151]
	v_fma_f64 v[148:149], -v[148:149], v[154:155], v[152:153]
	v_div_fmas_f64 v[148:149], v[148:149], v[150:151], v[154:155]
	v_div_fixup_f64 v[148:149], v[148:149], v[134:135], v[132:133]
	v_fmac_f64_e32 v[134:135], v[132:133], v[148:149]
	v_div_scale_f64 v[132:133], s[18:19], v[134:135], v[134:135], 1.0
	v_rcp_f64_e32 v[150:151], v[132:133]
	s_nop 0
	v_fma_f64 v[152:153], -v[132:133], v[150:151], 1.0
	v_fmac_f64_e32 v[150:151], v[150:151], v[152:153]
	v_fma_f64 v[152:153], -v[132:133], v[150:151], 1.0
	v_fmac_f64_e32 v[150:151], v[150:151], v[152:153]
	v_div_scale_f64 v[152:153], vcc, 1.0, v[134:135], 1.0
	v_mul_f64 v[154:155], v[152:153], v[150:151]
	v_fma_f64 v[132:133], -v[132:133], v[154:155], v[152:153]
	s_nop 1
	v_div_fmas_f64 v[132:133], v[132:133], v[150:151], v[154:155]
	v_div_fixup_f64 v[134:135], v[132:133], v[134:135], 1.0
	v_mul_f64 v[132:133], v[148:149], v[134:135]
	v_xor_b32_e32 v135, 0x80000000, v135
.LBB64_427:
	s_andn2_saveexec_b64 s[16:17], s[16:17]
	s_cbranch_execz .LBB64_429
; %bb.428:
	v_div_scale_f64 v[148:149], s[18:19], v[132:133], v[132:133], v[134:135]
	v_rcp_f64_e32 v[150:151], v[148:149]
	v_div_scale_f64 v[152:153], vcc, v[134:135], v[132:133], v[134:135]
	v_fma_f64 v[154:155], -v[148:149], v[150:151], 1.0
	v_fmac_f64_e32 v[150:151], v[150:151], v[154:155]
	v_fma_f64 v[154:155], -v[148:149], v[150:151], 1.0
	v_fmac_f64_e32 v[150:151], v[150:151], v[154:155]
	v_mul_f64 v[154:155], v[152:153], v[150:151]
	v_fma_f64 v[148:149], -v[148:149], v[154:155], v[152:153]
	v_div_fmas_f64 v[148:149], v[148:149], v[150:151], v[154:155]
	v_div_fixup_f64 v[148:149], v[148:149], v[132:133], v[134:135]
	v_fmac_f64_e32 v[132:133], v[134:135], v[148:149]
	v_div_scale_f64 v[134:135], s[18:19], v[132:133], v[132:133], 1.0
	v_rcp_f64_e32 v[150:151], v[134:135]
	s_nop 0
	v_fma_f64 v[152:153], -v[134:135], v[150:151], 1.0
	v_fmac_f64_e32 v[150:151], v[150:151], v[152:153]
	v_fma_f64 v[152:153], -v[134:135], v[150:151], 1.0
	v_fmac_f64_e32 v[150:151], v[150:151], v[152:153]
	v_div_scale_f64 v[152:153], vcc, 1.0, v[132:133], 1.0
	v_mul_f64 v[154:155], v[152:153], v[150:151]
	v_fma_f64 v[134:135], -v[134:135], v[154:155], v[152:153]
	s_nop 1
	v_div_fmas_f64 v[134:135], v[134:135], v[150:151], v[154:155]
	v_div_fixup_f64 v[132:133], v[134:135], v[132:133], 1.0
	v_mul_f64 v[134:135], v[148:149], -v[132:133]
.LBB64_429:
	s_or_b64 exec, exec, s[16:17]
.LBB64_430:
	s_or_b64 exec, exec, s[0:1]
	v_cmp_ne_u32_e32 vcc, v145, v142
	s_and_saveexec_b64 s[0:1], vcc
	s_xor_b64 s[0:1], exec, s[0:1]
	s_cbranch_execz .LBB64_436
; %bb.431:
	v_cmp_eq_u32_e32 vcc, 20, v145
	s_and_saveexec_b64 s[16:17], vcc
	s_cbranch_execz .LBB64_435
; %bb.432:
	v_cmp_ne_u32_e32 vcc, 20, v142
	s_xor_b64 s[18:19], s[14:15], -1
	s_and_b64 s[22:23], s[18:19], vcc
	s_and_saveexec_b64 s[18:19], s[22:23]
	s_cbranch_execz .LBB64_434
; %bb.433:
	v_ashrrev_i32_e32 v143, 31, v142
	v_lshl_add_u64 v[148:149], v[142:143], 2, v[140:141]
	global_load_dword v143, v[148:149], off
	global_load_dword v145, v[140:141], off offset:80
	s_waitcnt vmcnt(1)
	global_store_dword v[140:141], v143, off offset:80
	s_waitcnt vmcnt(1)
	global_store_dword v[148:149], v145, off
.LBB64_434:
	s_or_b64 exec, exec, s[18:19]
	v_mov_b32_e32 v145, v142
	v_mov_b32_e32 v147, v142
.LBB64_435:
	s_or_b64 exec, exec, s[16:17]
.LBB64_436:
	s_andn2_saveexec_b64 s[0:1], s[0:1]
	s_cbranch_execz .LBB64_438
; %bb.437:
	v_mov_b32_e32 v145, 20
	s_waitcnt vmcnt(11)
	ds_write2_b64 v144, v[40:41], v[42:43] offset0:42 offset1:43
	s_waitcnt vmcnt(10)
	ds_write2_b64 v144, v[36:37], v[38:39] offset0:44 offset1:45
	;; [unrolled: 2-line block ×12, first 2 shown]
.LBB64_438:
	s_or_b64 exec, exec, s[0:1]
	v_cmp_lt_i32_e32 vcc, 20, v145
	s_waitcnt lgkmcnt(0)
	s_barrier
	s_and_saveexec_b64 s[0:1], vcc
	s_cbranch_execz .LBB64_440
; %bb.439:
	ds_read2_b64 v[148:151], v144 offset0:42 offset1:43
	v_mul_f64 v[142:143], v[132:133], v[46:47]
	v_mul_f64 v[46:47], v[134:135], v[46:47]
	v_fmac_f64_e32 v[142:143], v[134:135], v[44:45]
	v_fma_f64 v[44:45], v[132:133], v[44:45], -v[46:47]
	ds_read2_b64 v[132:135], v144 offset0:44 offset1:45
	s_waitcnt lgkmcnt(1)
	v_mul_f64 v[46:47], v[150:151], v[142:143]
	v_fma_f64 v[46:47], v[148:149], v[44:45], -v[46:47]
	v_mul_f64 v[148:149], v[148:149], v[142:143]
	v_fmac_f64_e32 v[148:149], v[150:151], v[44:45]
	s_waitcnt vmcnt(11)
	v_add_f64 v[40:41], v[40:41], -v[46:47]
	s_waitcnt lgkmcnt(0)
	v_mul_f64 v[46:47], v[134:135], v[142:143]
	v_add_f64 v[42:43], v[42:43], -v[148:149]
	v_fma_f64 v[46:47], v[132:133], v[44:45], -v[46:47]
	v_mul_f64 v[132:133], v[132:133], v[142:143]
	ds_read2_b64 v[148:151], v144 offset0:46 offset1:47
	v_fmac_f64_e32 v[132:133], v[134:135], v[44:45]
	s_waitcnt vmcnt(10)
	v_add_f64 v[38:39], v[38:39], -v[132:133]
	ds_read2_b64 v[132:135], v144 offset0:48 offset1:49
	v_add_f64 v[36:37], v[36:37], -v[46:47]
	s_waitcnt lgkmcnt(1)
	v_mul_f64 v[46:47], v[150:151], v[142:143]
	v_fma_f64 v[46:47], v[148:149], v[44:45], -v[46:47]
	v_mul_f64 v[148:149], v[148:149], v[142:143]
	v_fmac_f64_e32 v[148:149], v[150:151], v[44:45]
	s_waitcnt vmcnt(9)
	v_add_f64 v[32:33], v[32:33], -v[46:47]
	s_waitcnt lgkmcnt(0)
	v_mul_f64 v[46:47], v[134:135], v[142:143]
	v_add_f64 v[34:35], v[34:35], -v[148:149]
	v_fma_f64 v[46:47], v[132:133], v[44:45], -v[46:47]
	v_mul_f64 v[132:133], v[132:133], v[142:143]
	ds_read2_b64 v[148:151], v144 offset0:50 offset1:51
	v_fmac_f64_e32 v[132:133], v[134:135], v[44:45]
	s_waitcnt vmcnt(8)
	v_add_f64 v[30:31], v[30:31], -v[132:133]
	ds_read2_b64 v[132:135], v144 offset0:52 offset1:53
	v_add_f64 v[28:29], v[28:29], -v[46:47]
	;; [unrolled: 18-line block ×5, first 2 shown]
	s_waitcnt lgkmcnt(1)
	v_mul_f64 v[46:47], v[150:151], v[142:143]
	v_fma_f64 v[46:47], v[148:149], v[44:45], -v[46:47]
	s_waitcnt vmcnt(1)
	v_add_f64 v[0:1], v[0:1], -v[46:47]
	s_waitcnt lgkmcnt(0)
	v_mul_f64 v[46:47], v[134:135], v[142:143]
	v_mul_f64 v[148:149], v[148:149], v[142:143]
	v_fma_f64 v[46:47], v[132:133], v[44:45], -v[46:47]
	v_mul_f64 v[132:133], v[132:133], v[142:143]
	v_fmac_f64_e32 v[148:149], v[150:151], v[44:45]
	v_fmac_f64_e32 v[132:133], v[134:135], v[44:45]
	v_add_f64 v[2:3], v[2:3], -v[148:149]
	s_waitcnt vmcnt(0)
	v_add_f64 v[128:129], v[128:129], -v[46:47]
	v_add_f64 v[130:131], v[130:131], -v[132:133]
	v_mov_b64_e32 v[46:47], v[142:143]
.LBB64_440:
	s_or_b64 exec, exec, s[0:1]
	v_lshl_add_u32 v132, v145, 4, v144
	s_barrier
	s_waitcnt vmcnt(11)
	ds_write2_b64 v132, v[40:41], v[42:43] offset1:1
	s_waitcnt lgkmcnt(0)
	s_barrier
	ds_read2_b64 v[132:135], v144 offset0:42 offset1:43
	s_cmp_lt_i32 s20, 23
	v_mov_b32_e32 v142, 21
	s_cbranch_scc1 .LBB64_443
; %bb.441:
	v_add_u32_e32 v143, 0x160, v144
	s_mov_b32 s16, 22
	v_mov_b32_e32 v142, 21
.LBB64_442:                             ; =>This Inner Loop Header: Depth=1
	ds_read2_b64 v[148:151], v143 offset1:1
	s_waitcnt lgkmcnt(1)
	v_xor_b32_e32 v153, 0x80000000, v133
	v_xor_b32_e32 v155, 0x80000000, v135
	v_cmp_gt_f64_e32 vcc, 0, v[134:135]
	v_cmp_gt_f64_e64 s[0:1], 0, v[132:133]
	v_mov_b32_e32 v152, v132
	v_mov_b32_e32 v154, v134
	v_cndmask_b32_e64 v153, v133, v153, s[0:1]
	v_cndmask_b32_e32 v155, v135, v155, vcc
	v_add_f64 v[152:153], v[152:153], v[154:155]
	s_waitcnt lgkmcnt(0)
	v_xor_b32_e32 v155, 0x80000000, v149
	v_xor_b32_e32 v157, 0x80000000, v151
	v_cmp_gt_f64_e32 vcc, 0, v[150:151]
	v_cmp_gt_f64_e64 s[0:1], 0, v[148:149]
	v_mov_b32_e32 v154, v148
	v_mov_b32_e32 v156, v150
	v_cndmask_b32_e64 v155, v149, v155, s[0:1]
	v_cndmask_b32_e32 v157, v151, v157, vcc
	v_add_f64 v[154:155], v[154:155], v[156:157]
	v_mov_b32_e32 v158, s16
	s_add_i32 s16, s16, 1
	v_cmp_lt_f64_e32 vcc, v[152:153], v[154:155]
	v_add_u32_e32 v143, 16, v143
	s_cmp_lg_u32 s20, s16
	v_cndmask_b32_e32 v133, v133, v149, vcc
	v_cndmask_b32_e32 v132, v132, v148, vcc
	;; [unrolled: 1-line block ×5, first 2 shown]
	s_cbranch_scc1 .LBB64_442
.LBB64_443:
	s_waitcnt lgkmcnt(0)
	v_cmp_eq_f64_e32 vcc, 0, v[132:133]
	v_cmp_eq_f64_e64 s[0:1], 0, v[134:135]
	s_and_b64 s[0:1], vcc, s[0:1]
	s_and_saveexec_b64 s[16:17], s[0:1]
	s_xor_b64 s[0:1], exec, s[16:17]
; %bb.444:
	v_cmp_ne_u32_e32 vcc, 0, v146
	s_nop 1
	v_cndmask_b32_e32 v146, 22, v146, vcc
; %bb.445:
	s_andn2_saveexec_b64 s[0:1], s[0:1]
	s_cbranch_execz .LBB64_451
; %bb.446:
	v_cmp_ngt_f64_e64 s[16:17], |v[132:133]|, |v[134:135]|
	s_and_saveexec_b64 s[18:19], s[16:17]
	s_xor_b64 s[16:17], exec, s[18:19]
	s_cbranch_execz .LBB64_448
; %bb.447:
	v_div_scale_f64 v[148:149], s[18:19], v[134:135], v[134:135], v[132:133]
	v_rcp_f64_e32 v[150:151], v[148:149]
	v_div_scale_f64 v[152:153], vcc, v[132:133], v[134:135], v[132:133]
	v_fma_f64 v[154:155], -v[148:149], v[150:151], 1.0
	v_fmac_f64_e32 v[150:151], v[150:151], v[154:155]
	v_fma_f64 v[154:155], -v[148:149], v[150:151], 1.0
	v_fmac_f64_e32 v[150:151], v[150:151], v[154:155]
	v_mul_f64 v[154:155], v[152:153], v[150:151]
	v_fma_f64 v[148:149], -v[148:149], v[154:155], v[152:153]
	v_div_fmas_f64 v[148:149], v[148:149], v[150:151], v[154:155]
	v_div_fixup_f64 v[148:149], v[148:149], v[134:135], v[132:133]
	v_fmac_f64_e32 v[134:135], v[132:133], v[148:149]
	v_div_scale_f64 v[132:133], s[18:19], v[134:135], v[134:135], 1.0
	v_rcp_f64_e32 v[150:151], v[132:133]
	s_nop 0
	v_fma_f64 v[152:153], -v[132:133], v[150:151], 1.0
	v_fmac_f64_e32 v[150:151], v[150:151], v[152:153]
	v_fma_f64 v[152:153], -v[132:133], v[150:151], 1.0
	v_fmac_f64_e32 v[150:151], v[150:151], v[152:153]
	v_div_scale_f64 v[152:153], vcc, 1.0, v[134:135], 1.0
	v_mul_f64 v[154:155], v[152:153], v[150:151]
	v_fma_f64 v[132:133], -v[132:133], v[154:155], v[152:153]
	s_nop 1
	v_div_fmas_f64 v[132:133], v[132:133], v[150:151], v[154:155]
	v_div_fixup_f64 v[134:135], v[132:133], v[134:135], 1.0
	v_mul_f64 v[132:133], v[148:149], v[134:135]
	v_xor_b32_e32 v135, 0x80000000, v135
.LBB64_448:
	s_andn2_saveexec_b64 s[16:17], s[16:17]
	s_cbranch_execz .LBB64_450
; %bb.449:
	v_div_scale_f64 v[148:149], s[18:19], v[132:133], v[132:133], v[134:135]
	v_rcp_f64_e32 v[150:151], v[148:149]
	v_div_scale_f64 v[152:153], vcc, v[134:135], v[132:133], v[134:135]
	v_fma_f64 v[154:155], -v[148:149], v[150:151], 1.0
	v_fmac_f64_e32 v[150:151], v[150:151], v[154:155]
	v_fma_f64 v[154:155], -v[148:149], v[150:151], 1.0
	v_fmac_f64_e32 v[150:151], v[150:151], v[154:155]
	v_mul_f64 v[154:155], v[152:153], v[150:151]
	v_fma_f64 v[148:149], -v[148:149], v[154:155], v[152:153]
	v_div_fmas_f64 v[148:149], v[148:149], v[150:151], v[154:155]
	v_div_fixup_f64 v[148:149], v[148:149], v[132:133], v[134:135]
	v_fmac_f64_e32 v[132:133], v[134:135], v[148:149]
	v_div_scale_f64 v[134:135], s[18:19], v[132:133], v[132:133], 1.0
	v_rcp_f64_e32 v[150:151], v[134:135]
	s_nop 0
	v_fma_f64 v[152:153], -v[134:135], v[150:151], 1.0
	v_fmac_f64_e32 v[150:151], v[150:151], v[152:153]
	v_fma_f64 v[152:153], -v[134:135], v[150:151], 1.0
	v_fmac_f64_e32 v[150:151], v[150:151], v[152:153]
	v_div_scale_f64 v[152:153], vcc, 1.0, v[132:133], 1.0
	v_mul_f64 v[154:155], v[152:153], v[150:151]
	v_fma_f64 v[134:135], -v[134:135], v[154:155], v[152:153]
	s_nop 1
	v_div_fmas_f64 v[134:135], v[134:135], v[150:151], v[154:155]
	v_div_fixup_f64 v[132:133], v[134:135], v[132:133], 1.0
	v_mul_f64 v[134:135], v[148:149], -v[132:133]
.LBB64_450:
	s_or_b64 exec, exec, s[16:17]
.LBB64_451:
	s_or_b64 exec, exec, s[0:1]
	v_cmp_ne_u32_e32 vcc, v145, v142
	s_and_saveexec_b64 s[0:1], vcc
	s_xor_b64 s[0:1], exec, s[0:1]
	s_cbranch_execz .LBB64_457
; %bb.452:
	v_cmp_eq_u32_e32 vcc, 21, v145
	s_and_saveexec_b64 s[16:17], vcc
	s_cbranch_execz .LBB64_456
; %bb.453:
	v_cmp_ne_u32_e32 vcc, 21, v142
	s_xor_b64 s[18:19], s[14:15], -1
	s_and_b64 s[22:23], s[18:19], vcc
	s_and_saveexec_b64 s[18:19], s[22:23]
	s_cbranch_execz .LBB64_455
; %bb.454:
	v_ashrrev_i32_e32 v143, 31, v142
	v_lshl_add_u64 v[148:149], v[142:143], 2, v[140:141]
	global_load_dword v143, v[148:149], off
	global_load_dword v145, v[140:141], off offset:84
	s_waitcnt vmcnt(1)
	global_store_dword v[140:141], v143, off offset:84
	s_waitcnt vmcnt(1)
	global_store_dword v[148:149], v145, off
.LBB64_455:
	s_or_b64 exec, exec, s[18:19]
	v_mov_b32_e32 v145, v142
	v_mov_b32_e32 v147, v142
.LBB64_456:
	s_or_b64 exec, exec, s[16:17]
.LBB64_457:
	s_andn2_saveexec_b64 s[0:1], s[0:1]
	s_cbranch_execz .LBB64_459
; %bb.458:
	v_mov_b32_e32 v145, 21
	s_waitcnt vmcnt(10)
	ds_write2_b64 v144, v[36:37], v[38:39] offset0:44 offset1:45
	s_waitcnt vmcnt(9)
	ds_write2_b64 v144, v[32:33], v[34:35] offset0:46 offset1:47
	;; [unrolled: 2-line block ×11, first 2 shown]
.LBB64_459:
	s_or_b64 exec, exec, s[0:1]
	v_cmp_lt_i32_e32 vcc, 21, v145
	s_waitcnt lgkmcnt(0)
	s_barrier
	s_and_saveexec_b64 s[0:1], vcc
	s_cbranch_execz .LBB64_461
; %bb.460:
	ds_read2_b64 v[148:151], v144 offset0:44 offset1:45
	v_mul_f64 v[142:143], v[132:133], v[42:43]
	v_fmac_f64_e32 v[142:143], v[134:135], v[40:41]
	v_mul_f64 v[42:43], v[134:135], v[42:43]
	v_fma_f64 v[40:41], v[132:133], v[40:41], -v[42:43]
	ds_read2_b64 v[132:135], v144 offset0:46 offset1:47
	s_waitcnt lgkmcnt(1)
	v_mul_f64 v[42:43], v[150:151], v[142:143]
	v_fma_f64 v[42:43], v[148:149], v[40:41], -v[42:43]
	v_mul_f64 v[148:149], v[148:149], v[142:143]
	v_fmac_f64_e32 v[148:149], v[150:151], v[40:41]
	s_waitcnt vmcnt(10)
	v_add_f64 v[38:39], v[38:39], -v[148:149]
	ds_read2_b64 v[148:151], v144 offset0:48 offset1:49
	v_add_f64 v[36:37], v[36:37], -v[42:43]
	s_waitcnt lgkmcnt(1)
	v_mul_f64 v[42:43], v[134:135], v[142:143]
	v_fma_f64 v[42:43], v[132:133], v[40:41], -v[42:43]
	v_mul_f64 v[132:133], v[132:133], v[142:143]
	v_fmac_f64_e32 v[132:133], v[134:135], v[40:41]
	s_waitcnt vmcnt(9)
	v_add_f64 v[32:33], v[32:33], -v[42:43]
	v_add_f64 v[34:35], v[34:35], -v[132:133]
	ds_read2_b64 v[132:135], v144 offset0:50 offset1:51
	s_waitcnt lgkmcnt(1)
	v_mul_f64 v[42:43], v[150:151], v[142:143]
	v_fma_f64 v[42:43], v[148:149], v[40:41], -v[42:43]
	v_mul_f64 v[148:149], v[148:149], v[142:143]
	v_fmac_f64_e32 v[148:149], v[150:151], v[40:41]
	s_waitcnt vmcnt(8)
	v_add_f64 v[30:31], v[30:31], -v[148:149]
	ds_read2_b64 v[148:151], v144 offset0:52 offset1:53
	v_add_f64 v[28:29], v[28:29], -v[42:43]
	s_waitcnt lgkmcnt(1)
	v_mul_f64 v[42:43], v[134:135], v[142:143]
	v_fma_f64 v[42:43], v[132:133], v[40:41], -v[42:43]
	v_mul_f64 v[132:133], v[132:133], v[142:143]
	v_fmac_f64_e32 v[132:133], v[134:135], v[40:41]
	s_waitcnt vmcnt(7)
	v_add_f64 v[24:25], v[24:25], -v[42:43]
	v_add_f64 v[26:27], v[26:27], -v[132:133]
	;; [unrolled: 18-line block ×5, first 2 shown]
	s_waitcnt lgkmcnt(0)
	v_mul_f64 v[42:43], v[150:151], v[142:143]
	v_mul_f64 v[132:133], v[148:149], v[142:143]
	v_fma_f64 v[42:43], v[148:149], v[40:41], -v[42:43]
	v_fmac_f64_e32 v[132:133], v[150:151], v[40:41]
	s_waitcnt vmcnt(0)
	v_add_f64 v[128:129], v[128:129], -v[42:43]
	v_add_f64 v[130:131], v[130:131], -v[132:133]
	v_mov_b64_e32 v[42:43], v[142:143]
.LBB64_461:
	s_or_b64 exec, exec, s[0:1]
	v_lshl_add_u32 v132, v145, 4, v144
	s_barrier
	s_waitcnt vmcnt(10)
	ds_write2_b64 v132, v[36:37], v[38:39] offset1:1
	s_waitcnt lgkmcnt(0)
	s_barrier
	ds_read2_b64 v[132:135], v144 offset0:44 offset1:45
	s_cmp_lt_i32 s20, 24
	v_mov_b32_e32 v142, 22
	s_cbranch_scc1 .LBB64_464
; %bb.462:
	v_add_u32_e32 v143, 0x170, v144
	s_mov_b32 s16, 23
	v_mov_b32_e32 v142, 22
.LBB64_463:                             ; =>This Inner Loop Header: Depth=1
	ds_read2_b64 v[148:151], v143 offset1:1
	s_waitcnt lgkmcnt(1)
	v_xor_b32_e32 v153, 0x80000000, v133
	v_xor_b32_e32 v155, 0x80000000, v135
	v_cmp_gt_f64_e32 vcc, 0, v[134:135]
	v_cmp_gt_f64_e64 s[0:1], 0, v[132:133]
	v_mov_b32_e32 v152, v132
	v_mov_b32_e32 v154, v134
	v_cndmask_b32_e64 v153, v133, v153, s[0:1]
	v_cndmask_b32_e32 v155, v135, v155, vcc
	v_add_f64 v[152:153], v[152:153], v[154:155]
	s_waitcnt lgkmcnt(0)
	v_xor_b32_e32 v155, 0x80000000, v149
	v_xor_b32_e32 v157, 0x80000000, v151
	v_cmp_gt_f64_e32 vcc, 0, v[150:151]
	v_cmp_gt_f64_e64 s[0:1], 0, v[148:149]
	v_mov_b32_e32 v154, v148
	v_mov_b32_e32 v156, v150
	v_cndmask_b32_e64 v155, v149, v155, s[0:1]
	v_cndmask_b32_e32 v157, v151, v157, vcc
	v_add_f64 v[154:155], v[154:155], v[156:157]
	v_mov_b32_e32 v158, s16
	s_add_i32 s16, s16, 1
	v_cmp_lt_f64_e32 vcc, v[152:153], v[154:155]
	v_add_u32_e32 v143, 16, v143
	s_cmp_lg_u32 s20, s16
	v_cndmask_b32_e32 v133, v133, v149, vcc
	v_cndmask_b32_e32 v132, v132, v148, vcc
	;; [unrolled: 1-line block ×5, first 2 shown]
	s_cbranch_scc1 .LBB64_463
.LBB64_464:
	s_waitcnt lgkmcnt(0)
	v_cmp_eq_f64_e32 vcc, 0, v[132:133]
	v_cmp_eq_f64_e64 s[0:1], 0, v[134:135]
	s_and_b64 s[0:1], vcc, s[0:1]
	s_and_saveexec_b64 s[16:17], s[0:1]
	s_xor_b64 s[0:1], exec, s[16:17]
; %bb.465:
	v_cmp_ne_u32_e32 vcc, 0, v146
	s_nop 1
	v_cndmask_b32_e32 v146, 23, v146, vcc
; %bb.466:
	s_andn2_saveexec_b64 s[0:1], s[0:1]
	s_cbranch_execz .LBB64_472
; %bb.467:
	v_cmp_ngt_f64_e64 s[16:17], |v[132:133]|, |v[134:135]|
	s_and_saveexec_b64 s[18:19], s[16:17]
	s_xor_b64 s[16:17], exec, s[18:19]
	s_cbranch_execz .LBB64_469
; %bb.468:
	v_div_scale_f64 v[148:149], s[18:19], v[134:135], v[134:135], v[132:133]
	v_rcp_f64_e32 v[150:151], v[148:149]
	v_div_scale_f64 v[152:153], vcc, v[132:133], v[134:135], v[132:133]
	v_fma_f64 v[154:155], -v[148:149], v[150:151], 1.0
	v_fmac_f64_e32 v[150:151], v[150:151], v[154:155]
	v_fma_f64 v[154:155], -v[148:149], v[150:151], 1.0
	v_fmac_f64_e32 v[150:151], v[150:151], v[154:155]
	v_mul_f64 v[154:155], v[152:153], v[150:151]
	v_fma_f64 v[148:149], -v[148:149], v[154:155], v[152:153]
	v_div_fmas_f64 v[148:149], v[148:149], v[150:151], v[154:155]
	v_div_fixup_f64 v[148:149], v[148:149], v[134:135], v[132:133]
	v_fmac_f64_e32 v[134:135], v[132:133], v[148:149]
	v_div_scale_f64 v[132:133], s[18:19], v[134:135], v[134:135], 1.0
	v_rcp_f64_e32 v[150:151], v[132:133]
	s_nop 0
	v_fma_f64 v[152:153], -v[132:133], v[150:151], 1.0
	v_fmac_f64_e32 v[150:151], v[150:151], v[152:153]
	v_fma_f64 v[152:153], -v[132:133], v[150:151], 1.0
	v_fmac_f64_e32 v[150:151], v[150:151], v[152:153]
	v_div_scale_f64 v[152:153], vcc, 1.0, v[134:135], 1.0
	v_mul_f64 v[154:155], v[152:153], v[150:151]
	v_fma_f64 v[132:133], -v[132:133], v[154:155], v[152:153]
	s_nop 1
	v_div_fmas_f64 v[132:133], v[132:133], v[150:151], v[154:155]
	v_div_fixup_f64 v[134:135], v[132:133], v[134:135], 1.0
	v_mul_f64 v[132:133], v[148:149], v[134:135]
	v_xor_b32_e32 v135, 0x80000000, v135
.LBB64_469:
	s_andn2_saveexec_b64 s[16:17], s[16:17]
	s_cbranch_execz .LBB64_471
; %bb.470:
	v_div_scale_f64 v[148:149], s[18:19], v[132:133], v[132:133], v[134:135]
	v_rcp_f64_e32 v[150:151], v[148:149]
	v_div_scale_f64 v[152:153], vcc, v[134:135], v[132:133], v[134:135]
	v_fma_f64 v[154:155], -v[148:149], v[150:151], 1.0
	v_fmac_f64_e32 v[150:151], v[150:151], v[154:155]
	v_fma_f64 v[154:155], -v[148:149], v[150:151], 1.0
	v_fmac_f64_e32 v[150:151], v[150:151], v[154:155]
	v_mul_f64 v[154:155], v[152:153], v[150:151]
	v_fma_f64 v[148:149], -v[148:149], v[154:155], v[152:153]
	v_div_fmas_f64 v[148:149], v[148:149], v[150:151], v[154:155]
	v_div_fixup_f64 v[148:149], v[148:149], v[132:133], v[134:135]
	v_fmac_f64_e32 v[132:133], v[134:135], v[148:149]
	v_div_scale_f64 v[134:135], s[18:19], v[132:133], v[132:133], 1.0
	v_rcp_f64_e32 v[150:151], v[134:135]
	s_nop 0
	v_fma_f64 v[152:153], -v[134:135], v[150:151], 1.0
	v_fmac_f64_e32 v[150:151], v[150:151], v[152:153]
	v_fma_f64 v[152:153], -v[134:135], v[150:151], 1.0
	v_fmac_f64_e32 v[150:151], v[150:151], v[152:153]
	v_div_scale_f64 v[152:153], vcc, 1.0, v[132:133], 1.0
	v_mul_f64 v[154:155], v[152:153], v[150:151]
	v_fma_f64 v[134:135], -v[134:135], v[154:155], v[152:153]
	s_nop 1
	v_div_fmas_f64 v[134:135], v[134:135], v[150:151], v[154:155]
	v_div_fixup_f64 v[132:133], v[134:135], v[132:133], 1.0
	v_mul_f64 v[134:135], v[148:149], -v[132:133]
.LBB64_471:
	s_or_b64 exec, exec, s[16:17]
.LBB64_472:
	s_or_b64 exec, exec, s[0:1]
	v_cmp_ne_u32_e32 vcc, v145, v142
	s_and_saveexec_b64 s[0:1], vcc
	s_xor_b64 s[0:1], exec, s[0:1]
	s_cbranch_execz .LBB64_478
; %bb.473:
	v_cmp_eq_u32_e32 vcc, 22, v145
	s_and_saveexec_b64 s[16:17], vcc
	s_cbranch_execz .LBB64_477
; %bb.474:
	v_cmp_ne_u32_e32 vcc, 22, v142
	s_xor_b64 s[18:19], s[14:15], -1
	s_and_b64 s[22:23], s[18:19], vcc
	s_and_saveexec_b64 s[18:19], s[22:23]
	s_cbranch_execz .LBB64_476
; %bb.475:
	v_ashrrev_i32_e32 v143, 31, v142
	v_lshl_add_u64 v[148:149], v[142:143], 2, v[140:141]
	global_load_dword v143, v[148:149], off
	global_load_dword v145, v[140:141], off offset:88
	s_waitcnt vmcnt(1)
	global_store_dword v[140:141], v143, off offset:88
	s_waitcnt vmcnt(1)
	global_store_dword v[148:149], v145, off
.LBB64_476:
	s_or_b64 exec, exec, s[18:19]
	v_mov_b32_e32 v145, v142
	v_mov_b32_e32 v147, v142
.LBB64_477:
	s_or_b64 exec, exec, s[16:17]
.LBB64_478:
	s_andn2_saveexec_b64 s[0:1], s[0:1]
	s_cbranch_execz .LBB64_480
; %bb.479:
	v_mov_b32_e32 v145, 22
	s_waitcnt vmcnt(9)
	ds_write2_b64 v144, v[32:33], v[34:35] offset0:46 offset1:47
	s_waitcnt vmcnt(8)
	ds_write2_b64 v144, v[28:29], v[30:31] offset0:48 offset1:49
	;; [unrolled: 2-line block ×10, first 2 shown]
.LBB64_480:
	s_or_b64 exec, exec, s[0:1]
	v_cmp_lt_i32_e32 vcc, 22, v145
	s_waitcnt lgkmcnt(0)
	s_barrier
	s_and_saveexec_b64 s[0:1], vcc
	s_cbranch_execz .LBB64_482
; %bb.481:
	ds_read2_b64 v[148:151], v144 offset0:46 offset1:47
	v_mul_f64 v[142:143], v[132:133], v[38:39]
	v_mul_f64 v[38:39], v[134:135], v[38:39]
	v_fmac_f64_e32 v[142:143], v[134:135], v[36:37]
	v_fma_f64 v[36:37], v[132:133], v[36:37], -v[38:39]
	ds_read2_b64 v[132:135], v144 offset0:48 offset1:49
	s_waitcnt lgkmcnt(1)
	v_mul_f64 v[38:39], v[150:151], v[142:143]
	v_fma_f64 v[38:39], v[148:149], v[36:37], -v[38:39]
	v_mul_f64 v[148:149], v[148:149], v[142:143]
	v_fmac_f64_e32 v[148:149], v[150:151], v[36:37]
	s_waitcnt vmcnt(9)
	v_add_f64 v[32:33], v[32:33], -v[38:39]
	s_waitcnt lgkmcnt(0)
	v_mul_f64 v[38:39], v[134:135], v[142:143]
	v_add_f64 v[34:35], v[34:35], -v[148:149]
	v_fma_f64 v[38:39], v[132:133], v[36:37], -v[38:39]
	v_mul_f64 v[132:133], v[132:133], v[142:143]
	ds_read2_b64 v[148:151], v144 offset0:50 offset1:51
	v_fmac_f64_e32 v[132:133], v[134:135], v[36:37]
	s_waitcnt vmcnt(8)
	v_add_f64 v[30:31], v[30:31], -v[132:133]
	ds_read2_b64 v[132:135], v144 offset0:52 offset1:53
	v_add_f64 v[28:29], v[28:29], -v[38:39]
	s_waitcnt lgkmcnt(1)
	v_mul_f64 v[38:39], v[150:151], v[142:143]
	v_fma_f64 v[38:39], v[148:149], v[36:37], -v[38:39]
	v_mul_f64 v[148:149], v[148:149], v[142:143]
	v_fmac_f64_e32 v[148:149], v[150:151], v[36:37]
	s_waitcnt vmcnt(7)
	v_add_f64 v[24:25], v[24:25], -v[38:39]
	s_waitcnt lgkmcnt(0)
	v_mul_f64 v[38:39], v[134:135], v[142:143]
	v_add_f64 v[26:27], v[26:27], -v[148:149]
	v_fma_f64 v[38:39], v[132:133], v[36:37], -v[38:39]
	v_mul_f64 v[132:133], v[132:133], v[142:143]
	ds_read2_b64 v[148:151], v144 offset0:54 offset1:55
	v_fmac_f64_e32 v[132:133], v[134:135], v[36:37]
	s_waitcnt vmcnt(6)
	v_add_f64 v[22:23], v[22:23], -v[132:133]
	ds_read2_b64 v[132:135], v144 offset0:56 offset1:57
	v_add_f64 v[20:21], v[20:21], -v[38:39]
	;; [unrolled: 18-line block ×4, first 2 shown]
	s_waitcnt lgkmcnt(1)
	v_mul_f64 v[38:39], v[150:151], v[142:143]
	v_fma_f64 v[38:39], v[148:149], v[36:37], -v[38:39]
	s_waitcnt vmcnt(1)
	v_add_f64 v[0:1], v[0:1], -v[38:39]
	s_waitcnt lgkmcnt(0)
	v_mul_f64 v[38:39], v[134:135], v[142:143]
	v_mul_f64 v[148:149], v[148:149], v[142:143]
	v_fma_f64 v[38:39], v[132:133], v[36:37], -v[38:39]
	v_mul_f64 v[132:133], v[132:133], v[142:143]
	v_fmac_f64_e32 v[148:149], v[150:151], v[36:37]
	v_fmac_f64_e32 v[132:133], v[134:135], v[36:37]
	v_add_f64 v[2:3], v[2:3], -v[148:149]
	s_waitcnt vmcnt(0)
	v_add_f64 v[128:129], v[128:129], -v[38:39]
	v_add_f64 v[130:131], v[130:131], -v[132:133]
	v_mov_b64_e32 v[38:39], v[142:143]
.LBB64_482:
	s_or_b64 exec, exec, s[0:1]
	v_lshl_add_u32 v132, v145, 4, v144
	s_barrier
	s_waitcnt vmcnt(9)
	ds_write2_b64 v132, v[32:33], v[34:35] offset1:1
	s_waitcnt lgkmcnt(0)
	s_barrier
	ds_read2_b64 v[132:135], v144 offset0:46 offset1:47
	s_cmp_lt_i32 s20, 25
	v_mov_b32_e32 v142, 23
	s_cbranch_scc1 .LBB64_485
; %bb.483:
	v_add_u32_e32 v143, 0x180, v144
	s_mov_b32 s16, 24
	v_mov_b32_e32 v142, 23
.LBB64_484:                             ; =>This Inner Loop Header: Depth=1
	ds_read2_b64 v[148:151], v143 offset1:1
	s_waitcnt lgkmcnt(1)
	v_xor_b32_e32 v153, 0x80000000, v133
	v_xor_b32_e32 v155, 0x80000000, v135
	v_cmp_gt_f64_e32 vcc, 0, v[134:135]
	v_cmp_gt_f64_e64 s[0:1], 0, v[132:133]
	v_mov_b32_e32 v152, v132
	v_mov_b32_e32 v154, v134
	v_cndmask_b32_e64 v153, v133, v153, s[0:1]
	v_cndmask_b32_e32 v155, v135, v155, vcc
	v_add_f64 v[152:153], v[152:153], v[154:155]
	s_waitcnt lgkmcnt(0)
	v_xor_b32_e32 v155, 0x80000000, v149
	v_xor_b32_e32 v157, 0x80000000, v151
	v_cmp_gt_f64_e32 vcc, 0, v[150:151]
	v_cmp_gt_f64_e64 s[0:1], 0, v[148:149]
	v_mov_b32_e32 v154, v148
	v_mov_b32_e32 v156, v150
	v_cndmask_b32_e64 v155, v149, v155, s[0:1]
	v_cndmask_b32_e32 v157, v151, v157, vcc
	v_add_f64 v[154:155], v[154:155], v[156:157]
	v_mov_b32_e32 v158, s16
	s_add_i32 s16, s16, 1
	v_cmp_lt_f64_e32 vcc, v[152:153], v[154:155]
	v_add_u32_e32 v143, 16, v143
	s_cmp_lg_u32 s20, s16
	v_cndmask_b32_e32 v133, v133, v149, vcc
	v_cndmask_b32_e32 v132, v132, v148, vcc
	;; [unrolled: 1-line block ×5, first 2 shown]
	s_cbranch_scc1 .LBB64_484
.LBB64_485:
	s_waitcnt lgkmcnt(0)
	v_cmp_eq_f64_e32 vcc, 0, v[132:133]
	v_cmp_eq_f64_e64 s[0:1], 0, v[134:135]
	s_and_b64 s[0:1], vcc, s[0:1]
	s_and_saveexec_b64 s[16:17], s[0:1]
	s_xor_b64 s[0:1], exec, s[16:17]
; %bb.486:
	v_cmp_ne_u32_e32 vcc, 0, v146
	s_nop 1
	v_cndmask_b32_e32 v146, 24, v146, vcc
; %bb.487:
	s_andn2_saveexec_b64 s[0:1], s[0:1]
	s_cbranch_execz .LBB64_493
; %bb.488:
	v_cmp_ngt_f64_e64 s[16:17], |v[132:133]|, |v[134:135]|
	s_and_saveexec_b64 s[18:19], s[16:17]
	s_xor_b64 s[16:17], exec, s[18:19]
	s_cbranch_execz .LBB64_490
; %bb.489:
	v_div_scale_f64 v[148:149], s[18:19], v[134:135], v[134:135], v[132:133]
	v_rcp_f64_e32 v[150:151], v[148:149]
	v_div_scale_f64 v[152:153], vcc, v[132:133], v[134:135], v[132:133]
	v_fma_f64 v[154:155], -v[148:149], v[150:151], 1.0
	v_fmac_f64_e32 v[150:151], v[150:151], v[154:155]
	v_fma_f64 v[154:155], -v[148:149], v[150:151], 1.0
	v_fmac_f64_e32 v[150:151], v[150:151], v[154:155]
	v_mul_f64 v[154:155], v[152:153], v[150:151]
	v_fma_f64 v[148:149], -v[148:149], v[154:155], v[152:153]
	v_div_fmas_f64 v[148:149], v[148:149], v[150:151], v[154:155]
	v_div_fixup_f64 v[148:149], v[148:149], v[134:135], v[132:133]
	v_fmac_f64_e32 v[134:135], v[132:133], v[148:149]
	v_div_scale_f64 v[132:133], s[18:19], v[134:135], v[134:135], 1.0
	v_rcp_f64_e32 v[150:151], v[132:133]
	s_nop 0
	v_fma_f64 v[152:153], -v[132:133], v[150:151], 1.0
	v_fmac_f64_e32 v[150:151], v[150:151], v[152:153]
	v_fma_f64 v[152:153], -v[132:133], v[150:151], 1.0
	v_fmac_f64_e32 v[150:151], v[150:151], v[152:153]
	v_div_scale_f64 v[152:153], vcc, 1.0, v[134:135], 1.0
	v_mul_f64 v[154:155], v[152:153], v[150:151]
	v_fma_f64 v[132:133], -v[132:133], v[154:155], v[152:153]
	s_nop 1
	v_div_fmas_f64 v[132:133], v[132:133], v[150:151], v[154:155]
	v_div_fixup_f64 v[134:135], v[132:133], v[134:135], 1.0
	v_mul_f64 v[132:133], v[148:149], v[134:135]
	v_xor_b32_e32 v135, 0x80000000, v135
.LBB64_490:
	s_andn2_saveexec_b64 s[16:17], s[16:17]
	s_cbranch_execz .LBB64_492
; %bb.491:
	v_div_scale_f64 v[148:149], s[18:19], v[132:133], v[132:133], v[134:135]
	v_rcp_f64_e32 v[150:151], v[148:149]
	v_div_scale_f64 v[152:153], vcc, v[134:135], v[132:133], v[134:135]
	v_fma_f64 v[154:155], -v[148:149], v[150:151], 1.0
	v_fmac_f64_e32 v[150:151], v[150:151], v[154:155]
	v_fma_f64 v[154:155], -v[148:149], v[150:151], 1.0
	v_fmac_f64_e32 v[150:151], v[150:151], v[154:155]
	v_mul_f64 v[154:155], v[152:153], v[150:151]
	v_fma_f64 v[148:149], -v[148:149], v[154:155], v[152:153]
	v_div_fmas_f64 v[148:149], v[148:149], v[150:151], v[154:155]
	v_div_fixup_f64 v[148:149], v[148:149], v[132:133], v[134:135]
	v_fmac_f64_e32 v[132:133], v[134:135], v[148:149]
	v_div_scale_f64 v[134:135], s[18:19], v[132:133], v[132:133], 1.0
	v_rcp_f64_e32 v[150:151], v[134:135]
	s_nop 0
	v_fma_f64 v[152:153], -v[134:135], v[150:151], 1.0
	v_fmac_f64_e32 v[150:151], v[150:151], v[152:153]
	v_fma_f64 v[152:153], -v[134:135], v[150:151], 1.0
	v_fmac_f64_e32 v[150:151], v[150:151], v[152:153]
	v_div_scale_f64 v[152:153], vcc, 1.0, v[132:133], 1.0
	v_mul_f64 v[154:155], v[152:153], v[150:151]
	v_fma_f64 v[134:135], -v[134:135], v[154:155], v[152:153]
	s_nop 1
	v_div_fmas_f64 v[134:135], v[134:135], v[150:151], v[154:155]
	v_div_fixup_f64 v[132:133], v[134:135], v[132:133], 1.0
	v_mul_f64 v[134:135], v[148:149], -v[132:133]
.LBB64_492:
	s_or_b64 exec, exec, s[16:17]
.LBB64_493:
	s_or_b64 exec, exec, s[0:1]
	v_cmp_ne_u32_e32 vcc, v145, v142
	s_and_saveexec_b64 s[0:1], vcc
	s_xor_b64 s[0:1], exec, s[0:1]
	s_cbranch_execz .LBB64_499
; %bb.494:
	v_cmp_eq_u32_e32 vcc, 23, v145
	s_and_saveexec_b64 s[16:17], vcc
	s_cbranch_execz .LBB64_498
; %bb.495:
	v_cmp_ne_u32_e32 vcc, 23, v142
	s_xor_b64 s[18:19], s[14:15], -1
	s_and_b64 s[22:23], s[18:19], vcc
	s_and_saveexec_b64 s[18:19], s[22:23]
	s_cbranch_execz .LBB64_497
; %bb.496:
	v_ashrrev_i32_e32 v143, 31, v142
	v_lshl_add_u64 v[148:149], v[142:143], 2, v[140:141]
	global_load_dword v143, v[148:149], off
	global_load_dword v145, v[140:141], off offset:92
	s_waitcnt vmcnt(1)
	global_store_dword v[140:141], v143, off offset:92
	s_waitcnt vmcnt(1)
	global_store_dword v[148:149], v145, off
.LBB64_497:
	s_or_b64 exec, exec, s[18:19]
	v_mov_b32_e32 v145, v142
	v_mov_b32_e32 v147, v142
.LBB64_498:
	s_or_b64 exec, exec, s[16:17]
.LBB64_499:
	s_andn2_saveexec_b64 s[0:1], s[0:1]
	s_cbranch_execz .LBB64_501
; %bb.500:
	v_mov_b32_e32 v145, 23
	s_waitcnt vmcnt(8)
	ds_write2_b64 v144, v[28:29], v[30:31] offset0:48 offset1:49
	s_waitcnt vmcnt(7)
	ds_write2_b64 v144, v[24:25], v[26:27] offset0:50 offset1:51
	s_waitcnt vmcnt(6)
	ds_write2_b64 v144, v[20:21], v[22:23] offset0:52 offset1:53
	s_waitcnt vmcnt(5)
	ds_write2_b64 v144, v[16:17], v[18:19] offset0:54 offset1:55
	s_waitcnt vmcnt(4)
	ds_write2_b64 v144, v[12:13], v[14:15] offset0:56 offset1:57
	s_waitcnt vmcnt(3)
	ds_write2_b64 v144, v[8:9], v[10:11] offset0:58 offset1:59
	s_waitcnt vmcnt(2)
	ds_write2_b64 v144, v[4:5], v[6:7] offset0:60 offset1:61
	s_waitcnt vmcnt(1)
	ds_write2_b64 v144, v[0:1], v[2:3] offset0:62 offset1:63
	s_waitcnt vmcnt(0)
	ds_write2_b64 v144, v[128:129], v[130:131] offset0:64 offset1:65
.LBB64_501:
	s_or_b64 exec, exec, s[0:1]
	v_cmp_lt_i32_e32 vcc, 23, v145
	s_waitcnt lgkmcnt(0)
	s_barrier
	s_and_saveexec_b64 s[0:1], vcc
	s_cbranch_execz .LBB64_503
; %bb.502:
	ds_read2_b64 v[148:151], v144 offset0:48 offset1:49
	v_mul_f64 v[142:143], v[132:133], v[34:35]
	v_fmac_f64_e32 v[142:143], v[134:135], v[32:33]
	v_mul_f64 v[34:35], v[134:135], v[34:35]
	v_fma_f64 v[32:33], v[132:133], v[32:33], -v[34:35]
	ds_read2_b64 v[132:135], v144 offset0:50 offset1:51
	s_waitcnt lgkmcnt(1)
	v_mul_f64 v[34:35], v[150:151], v[142:143]
	v_fma_f64 v[34:35], v[148:149], v[32:33], -v[34:35]
	v_mul_f64 v[148:149], v[148:149], v[142:143]
	v_fmac_f64_e32 v[148:149], v[150:151], v[32:33]
	s_waitcnt vmcnt(8)
	v_add_f64 v[30:31], v[30:31], -v[148:149]
	ds_read2_b64 v[148:151], v144 offset0:52 offset1:53
	v_add_f64 v[28:29], v[28:29], -v[34:35]
	s_waitcnt lgkmcnt(1)
	v_mul_f64 v[34:35], v[134:135], v[142:143]
	v_fma_f64 v[34:35], v[132:133], v[32:33], -v[34:35]
	v_mul_f64 v[132:133], v[132:133], v[142:143]
	v_fmac_f64_e32 v[132:133], v[134:135], v[32:33]
	s_waitcnt vmcnt(7)
	v_add_f64 v[24:25], v[24:25], -v[34:35]
	v_add_f64 v[26:27], v[26:27], -v[132:133]
	ds_read2_b64 v[132:135], v144 offset0:54 offset1:55
	s_waitcnt lgkmcnt(1)
	v_mul_f64 v[34:35], v[150:151], v[142:143]
	v_fma_f64 v[34:35], v[148:149], v[32:33], -v[34:35]
	v_mul_f64 v[148:149], v[148:149], v[142:143]
	v_fmac_f64_e32 v[148:149], v[150:151], v[32:33]
	s_waitcnt vmcnt(6)
	v_add_f64 v[22:23], v[22:23], -v[148:149]
	ds_read2_b64 v[148:151], v144 offset0:56 offset1:57
	v_add_f64 v[20:21], v[20:21], -v[34:35]
	s_waitcnt lgkmcnt(1)
	v_mul_f64 v[34:35], v[134:135], v[142:143]
	v_fma_f64 v[34:35], v[132:133], v[32:33], -v[34:35]
	v_mul_f64 v[132:133], v[132:133], v[142:143]
	v_fmac_f64_e32 v[132:133], v[134:135], v[32:33]
	s_waitcnt vmcnt(5)
	v_add_f64 v[16:17], v[16:17], -v[34:35]
	v_add_f64 v[18:19], v[18:19], -v[132:133]
	;; [unrolled: 18-line block ×4, first 2 shown]
	s_waitcnt lgkmcnt(0)
	v_mul_f64 v[34:35], v[150:151], v[142:143]
	v_mul_f64 v[132:133], v[148:149], v[142:143]
	v_fma_f64 v[34:35], v[148:149], v[32:33], -v[34:35]
	v_fmac_f64_e32 v[132:133], v[150:151], v[32:33]
	s_waitcnt vmcnt(0)
	v_add_f64 v[128:129], v[128:129], -v[34:35]
	v_add_f64 v[130:131], v[130:131], -v[132:133]
	v_mov_b64_e32 v[34:35], v[142:143]
.LBB64_503:
	s_or_b64 exec, exec, s[0:1]
	v_lshl_add_u32 v132, v145, 4, v144
	s_barrier
	s_waitcnt vmcnt(8)
	ds_write2_b64 v132, v[28:29], v[30:31] offset1:1
	s_waitcnt lgkmcnt(0)
	s_barrier
	ds_read2_b64 v[132:135], v144 offset0:48 offset1:49
	s_cmp_lt_i32 s20, 26
	v_mov_b32_e32 v142, 24
	s_cbranch_scc1 .LBB64_506
; %bb.504:
	v_add_u32_e32 v143, 0x190, v144
	s_mov_b32 s16, 25
	v_mov_b32_e32 v142, 24
.LBB64_505:                             ; =>This Inner Loop Header: Depth=1
	ds_read2_b64 v[148:151], v143 offset1:1
	s_waitcnt lgkmcnt(1)
	v_xor_b32_e32 v153, 0x80000000, v133
	v_xor_b32_e32 v155, 0x80000000, v135
	v_cmp_gt_f64_e32 vcc, 0, v[134:135]
	v_cmp_gt_f64_e64 s[0:1], 0, v[132:133]
	v_mov_b32_e32 v152, v132
	v_mov_b32_e32 v154, v134
	v_cndmask_b32_e64 v153, v133, v153, s[0:1]
	v_cndmask_b32_e32 v155, v135, v155, vcc
	v_add_f64 v[152:153], v[152:153], v[154:155]
	s_waitcnt lgkmcnt(0)
	v_xor_b32_e32 v155, 0x80000000, v149
	v_xor_b32_e32 v157, 0x80000000, v151
	v_cmp_gt_f64_e32 vcc, 0, v[150:151]
	v_cmp_gt_f64_e64 s[0:1], 0, v[148:149]
	v_mov_b32_e32 v154, v148
	v_mov_b32_e32 v156, v150
	v_cndmask_b32_e64 v155, v149, v155, s[0:1]
	v_cndmask_b32_e32 v157, v151, v157, vcc
	v_add_f64 v[154:155], v[154:155], v[156:157]
	v_mov_b32_e32 v158, s16
	s_add_i32 s16, s16, 1
	v_cmp_lt_f64_e32 vcc, v[152:153], v[154:155]
	v_add_u32_e32 v143, 16, v143
	s_cmp_lg_u32 s20, s16
	v_cndmask_b32_e32 v133, v133, v149, vcc
	v_cndmask_b32_e32 v132, v132, v148, vcc
	;; [unrolled: 1-line block ×5, first 2 shown]
	s_cbranch_scc1 .LBB64_505
.LBB64_506:
	s_waitcnt lgkmcnt(0)
	v_cmp_eq_f64_e32 vcc, 0, v[132:133]
	v_cmp_eq_f64_e64 s[0:1], 0, v[134:135]
	s_and_b64 s[0:1], vcc, s[0:1]
	s_and_saveexec_b64 s[16:17], s[0:1]
	s_xor_b64 s[0:1], exec, s[16:17]
; %bb.507:
	v_cmp_ne_u32_e32 vcc, 0, v146
	s_nop 1
	v_cndmask_b32_e32 v146, 25, v146, vcc
; %bb.508:
	s_andn2_saveexec_b64 s[0:1], s[0:1]
	s_cbranch_execz .LBB64_514
; %bb.509:
	v_cmp_ngt_f64_e64 s[16:17], |v[132:133]|, |v[134:135]|
	s_and_saveexec_b64 s[18:19], s[16:17]
	s_xor_b64 s[16:17], exec, s[18:19]
	s_cbranch_execz .LBB64_511
; %bb.510:
	v_div_scale_f64 v[148:149], s[18:19], v[134:135], v[134:135], v[132:133]
	v_rcp_f64_e32 v[150:151], v[148:149]
	v_div_scale_f64 v[152:153], vcc, v[132:133], v[134:135], v[132:133]
	v_fma_f64 v[154:155], -v[148:149], v[150:151], 1.0
	v_fmac_f64_e32 v[150:151], v[150:151], v[154:155]
	v_fma_f64 v[154:155], -v[148:149], v[150:151], 1.0
	v_fmac_f64_e32 v[150:151], v[150:151], v[154:155]
	v_mul_f64 v[154:155], v[152:153], v[150:151]
	v_fma_f64 v[148:149], -v[148:149], v[154:155], v[152:153]
	v_div_fmas_f64 v[148:149], v[148:149], v[150:151], v[154:155]
	v_div_fixup_f64 v[148:149], v[148:149], v[134:135], v[132:133]
	v_fmac_f64_e32 v[134:135], v[132:133], v[148:149]
	v_div_scale_f64 v[132:133], s[18:19], v[134:135], v[134:135], 1.0
	v_rcp_f64_e32 v[150:151], v[132:133]
	s_nop 0
	v_fma_f64 v[152:153], -v[132:133], v[150:151], 1.0
	v_fmac_f64_e32 v[150:151], v[150:151], v[152:153]
	v_fma_f64 v[152:153], -v[132:133], v[150:151], 1.0
	v_fmac_f64_e32 v[150:151], v[150:151], v[152:153]
	v_div_scale_f64 v[152:153], vcc, 1.0, v[134:135], 1.0
	v_mul_f64 v[154:155], v[152:153], v[150:151]
	v_fma_f64 v[132:133], -v[132:133], v[154:155], v[152:153]
	s_nop 1
	v_div_fmas_f64 v[132:133], v[132:133], v[150:151], v[154:155]
	v_div_fixup_f64 v[134:135], v[132:133], v[134:135], 1.0
	v_mul_f64 v[132:133], v[148:149], v[134:135]
	v_xor_b32_e32 v135, 0x80000000, v135
.LBB64_511:
	s_andn2_saveexec_b64 s[16:17], s[16:17]
	s_cbranch_execz .LBB64_513
; %bb.512:
	v_div_scale_f64 v[148:149], s[18:19], v[132:133], v[132:133], v[134:135]
	v_rcp_f64_e32 v[150:151], v[148:149]
	v_div_scale_f64 v[152:153], vcc, v[134:135], v[132:133], v[134:135]
	v_fma_f64 v[154:155], -v[148:149], v[150:151], 1.0
	v_fmac_f64_e32 v[150:151], v[150:151], v[154:155]
	v_fma_f64 v[154:155], -v[148:149], v[150:151], 1.0
	v_fmac_f64_e32 v[150:151], v[150:151], v[154:155]
	v_mul_f64 v[154:155], v[152:153], v[150:151]
	v_fma_f64 v[148:149], -v[148:149], v[154:155], v[152:153]
	v_div_fmas_f64 v[148:149], v[148:149], v[150:151], v[154:155]
	v_div_fixup_f64 v[148:149], v[148:149], v[132:133], v[134:135]
	v_fmac_f64_e32 v[132:133], v[134:135], v[148:149]
	v_div_scale_f64 v[134:135], s[18:19], v[132:133], v[132:133], 1.0
	v_rcp_f64_e32 v[150:151], v[134:135]
	s_nop 0
	v_fma_f64 v[152:153], -v[134:135], v[150:151], 1.0
	v_fmac_f64_e32 v[150:151], v[150:151], v[152:153]
	v_fma_f64 v[152:153], -v[134:135], v[150:151], 1.0
	v_fmac_f64_e32 v[150:151], v[150:151], v[152:153]
	v_div_scale_f64 v[152:153], vcc, 1.0, v[132:133], 1.0
	v_mul_f64 v[154:155], v[152:153], v[150:151]
	v_fma_f64 v[134:135], -v[134:135], v[154:155], v[152:153]
	s_nop 1
	v_div_fmas_f64 v[134:135], v[134:135], v[150:151], v[154:155]
	v_div_fixup_f64 v[132:133], v[134:135], v[132:133], 1.0
	v_mul_f64 v[134:135], v[148:149], -v[132:133]
.LBB64_513:
	s_or_b64 exec, exec, s[16:17]
.LBB64_514:
	s_or_b64 exec, exec, s[0:1]
	v_cmp_ne_u32_e32 vcc, v145, v142
	s_and_saveexec_b64 s[0:1], vcc
	s_xor_b64 s[0:1], exec, s[0:1]
	s_cbranch_execz .LBB64_520
; %bb.515:
	v_cmp_eq_u32_e32 vcc, 24, v145
	s_and_saveexec_b64 s[16:17], vcc
	s_cbranch_execz .LBB64_519
; %bb.516:
	v_cmp_ne_u32_e32 vcc, 24, v142
	s_xor_b64 s[18:19], s[14:15], -1
	s_and_b64 s[22:23], s[18:19], vcc
	s_and_saveexec_b64 s[18:19], s[22:23]
	s_cbranch_execz .LBB64_518
; %bb.517:
	v_ashrrev_i32_e32 v143, 31, v142
	v_lshl_add_u64 v[148:149], v[142:143], 2, v[140:141]
	global_load_dword v143, v[148:149], off
	global_load_dword v145, v[140:141], off offset:96
	s_waitcnt vmcnt(1)
	global_store_dword v[140:141], v143, off offset:96
	s_waitcnt vmcnt(1)
	global_store_dword v[148:149], v145, off
.LBB64_518:
	s_or_b64 exec, exec, s[18:19]
	v_mov_b32_e32 v145, v142
	v_mov_b32_e32 v147, v142
.LBB64_519:
	s_or_b64 exec, exec, s[16:17]
.LBB64_520:
	s_andn2_saveexec_b64 s[0:1], s[0:1]
	s_cbranch_execz .LBB64_522
; %bb.521:
	v_mov_b32_e32 v145, 24
	s_waitcnt vmcnt(7)
	ds_write2_b64 v144, v[24:25], v[26:27] offset0:50 offset1:51
	s_waitcnt vmcnt(6)
	ds_write2_b64 v144, v[20:21], v[22:23] offset0:52 offset1:53
	;; [unrolled: 2-line block ×8, first 2 shown]
.LBB64_522:
	s_or_b64 exec, exec, s[0:1]
	v_cmp_lt_i32_e32 vcc, 24, v145
	s_waitcnt lgkmcnt(0)
	s_barrier
	s_and_saveexec_b64 s[0:1], vcc
	s_cbranch_execz .LBB64_524
; %bb.523:
	ds_read2_b64 v[148:151], v144 offset0:50 offset1:51
	v_mul_f64 v[142:143], v[132:133], v[30:31]
	v_mul_f64 v[30:31], v[134:135], v[30:31]
	v_fmac_f64_e32 v[142:143], v[134:135], v[28:29]
	v_fma_f64 v[28:29], v[132:133], v[28:29], -v[30:31]
	ds_read2_b64 v[132:135], v144 offset0:52 offset1:53
	s_waitcnt lgkmcnt(1)
	v_mul_f64 v[30:31], v[150:151], v[142:143]
	v_fma_f64 v[30:31], v[148:149], v[28:29], -v[30:31]
	v_mul_f64 v[148:149], v[148:149], v[142:143]
	v_fmac_f64_e32 v[148:149], v[150:151], v[28:29]
	s_waitcnt vmcnt(7)
	v_add_f64 v[24:25], v[24:25], -v[30:31]
	s_waitcnt lgkmcnt(0)
	v_mul_f64 v[30:31], v[134:135], v[142:143]
	v_add_f64 v[26:27], v[26:27], -v[148:149]
	v_fma_f64 v[30:31], v[132:133], v[28:29], -v[30:31]
	v_mul_f64 v[132:133], v[132:133], v[142:143]
	ds_read2_b64 v[148:151], v144 offset0:54 offset1:55
	v_fmac_f64_e32 v[132:133], v[134:135], v[28:29]
	s_waitcnt vmcnt(6)
	v_add_f64 v[22:23], v[22:23], -v[132:133]
	ds_read2_b64 v[132:135], v144 offset0:56 offset1:57
	v_add_f64 v[20:21], v[20:21], -v[30:31]
	s_waitcnt lgkmcnt(1)
	v_mul_f64 v[30:31], v[150:151], v[142:143]
	v_fma_f64 v[30:31], v[148:149], v[28:29], -v[30:31]
	v_mul_f64 v[148:149], v[148:149], v[142:143]
	v_fmac_f64_e32 v[148:149], v[150:151], v[28:29]
	s_waitcnt vmcnt(5)
	v_add_f64 v[16:17], v[16:17], -v[30:31]
	s_waitcnt lgkmcnt(0)
	v_mul_f64 v[30:31], v[134:135], v[142:143]
	v_add_f64 v[18:19], v[18:19], -v[148:149]
	v_fma_f64 v[30:31], v[132:133], v[28:29], -v[30:31]
	v_mul_f64 v[132:133], v[132:133], v[142:143]
	ds_read2_b64 v[148:151], v144 offset0:58 offset1:59
	v_fmac_f64_e32 v[132:133], v[134:135], v[28:29]
	s_waitcnt vmcnt(4)
	v_add_f64 v[14:15], v[14:15], -v[132:133]
	ds_read2_b64 v[132:135], v144 offset0:60 offset1:61
	v_add_f64 v[12:13], v[12:13], -v[30:31]
	;; [unrolled: 18-line block ×3, first 2 shown]
	s_waitcnt lgkmcnt(1)
	v_mul_f64 v[30:31], v[150:151], v[142:143]
	v_fma_f64 v[30:31], v[148:149], v[28:29], -v[30:31]
	s_waitcnt vmcnt(1)
	v_add_f64 v[0:1], v[0:1], -v[30:31]
	s_waitcnt lgkmcnt(0)
	v_mul_f64 v[30:31], v[134:135], v[142:143]
	v_mul_f64 v[148:149], v[148:149], v[142:143]
	v_fma_f64 v[30:31], v[132:133], v[28:29], -v[30:31]
	v_mul_f64 v[132:133], v[132:133], v[142:143]
	v_fmac_f64_e32 v[148:149], v[150:151], v[28:29]
	v_fmac_f64_e32 v[132:133], v[134:135], v[28:29]
	v_add_f64 v[2:3], v[2:3], -v[148:149]
	s_waitcnt vmcnt(0)
	v_add_f64 v[128:129], v[128:129], -v[30:31]
	v_add_f64 v[130:131], v[130:131], -v[132:133]
	v_mov_b64_e32 v[30:31], v[142:143]
.LBB64_524:
	s_or_b64 exec, exec, s[0:1]
	v_lshl_add_u32 v132, v145, 4, v144
	s_barrier
	s_waitcnt vmcnt(7)
	ds_write2_b64 v132, v[24:25], v[26:27] offset1:1
	s_waitcnt lgkmcnt(0)
	s_barrier
	ds_read2_b64 v[132:135], v144 offset0:50 offset1:51
	s_cmp_lt_i32 s20, 27
	v_mov_b32_e32 v142, 25
	s_cbranch_scc1 .LBB64_527
; %bb.525:
	v_add_u32_e32 v143, 0x1a0, v144
	s_mov_b32 s16, 26
	v_mov_b32_e32 v142, 25
.LBB64_526:                             ; =>This Inner Loop Header: Depth=1
	ds_read2_b64 v[148:151], v143 offset1:1
	s_waitcnt lgkmcnt(1)
	v_xor_b32_e32 v153, 0x80000000, v133
	v_xor_b32_e32 v155, 0x80000000, v135
	v_cmp_gt_f64_e32 vcc, 0, v[134:135]
	v_cmp_gt_f64_e64 s[0:1], 0, v[132:133]
	v_mov_b32_e32 v152, v132
	v_mov_b32_e32 v154, v134
	v_cndmask_b32_e64 v153, v133, v153, s[0:1]
	v_cndmask_b32_e32 v155, v135, v155, vcc
	v_add_f64 v[152:153], v[152:153], v[154:155]
	s_waitcnt lgkmcnt(0)
	v_xor_b32_e32 v155, 0x80000000, v149
	v_xor_b32_e32 v157, 0x80000000, v151
	v_cmp_gt_f64_e32 vcc, 0, v[150:151]
	v_cmp_gt_f64_e64 s[0:1], 0, v[148:149]
	v_mov_b32_e32 v154, v148
	v_mov_b32_e32 v156, v150
	v_cndmask_b32_e64 v155, v149, v155, s[0:1]
	v_cndmask_b32_e32 v157, v151, v157, vcc
	v_add_f64 v[154:155], v[154:155], v[156:157]
	v_mov_b32_e32 v158, s16
	s_add_i32 s16, s16, 1
	v_cmp_lt_f64_e32 vcc, v[152:153], v[154:155]
	v_add_u32_e32 v143, 16, v143
	s_cmp_lg_u32 s20, s16
	v_cndmask_b32_e32 v133, v133, v149, vcc
	v_cndmask_b32_e32 v132, v132, v148, vcc
	;; [unrolled: 1-line block ×5, first 2 shown]
	s_cbranch_scc1 .LBB64_526
.LBB64_527:
	s_waitcnt lgkmcnt(0)
	v_cmp_eq_f64_e32 vcc, 0, v[132:133]
	v_cmp_eq_f64_e64 s[0:1], 0, v[134:135]
	s_and_b64 s[0:1], vcc, s[0:1]
	s_and_saveexec_b64 s[16:17], s[0:1]
	s_xor_b64 s[0:1], exec, s[16:17]
; %bb.528:
	v_cmp_ne_u32_e32 vcc, 0, v146
	s_nop 1
	v_cndmask_b32_e32 v146, 26, v146, vcc
; %bb.529:
	s_andn2_saveexec_b64 s[0:1], s[0:1]
	s_cbranch_execz .LBB64_535
; %bb.530:
	v_cmp_ngt_f64_e64 s[16:17], |v[132:133]|, |v[134:135]|
	s_and_saveexec_b64 s[18:19], s[16:17]
	s_xor_b64 s[16:17], exec, s[18:19]
	s_cbranch_execz .LBB64_532
; %bb.531:
	v_div_scale_f64 v[148:149], s[18:19], v[134:135], v[134:135], v[132:133]
	v_rcp_f64_e32 v[150:151], v[148:149]
	v_div_scale_f64 v[152:153], vcc, v[132:133], v[134:135], v[132:133]
	v_fma_f64 v[154:155], -v[148:149], v[150:151], 1.0
	v_fmac_f64_e32 v[150:151], v[150:151], v[154:155]
	v_fma_f64 v[154:155], -v[148:149], v[150:151], 1.0
	v_fmac_f64_e32 v[150:151], v[150:151], v[154:155]
	v_mul_f64 v[154:155], v[152:153], v[150:151]
	v_fma_f64 v[148:149], -v[148:149], v[154:155], v[152:153]
	v_div_fmas_f64 v[148:149], v[148:149], v[150:151], v[154:155]
	v_div_fixup_f64 v[148:149], v[148:149], v[134:135], v[132:133]
	v_fmac_f64_e32 v[134:135], v[132:133], v[148:149]
	v_div_scale_f64 v[132:133], s[18:19], v[134:135], v[134:135], 1.0
	v_rcp_f64_e32 v[150:151], v[132:133]
	s_nop 0
	v_fma_f64 v[152:153], -v[132:133], v[150:151], 1.0
	v_fmac_f64_e32 v[150:151], v[150:151], v[152:153]
	v_fma_f64 v[152:153], -v[132:133], v[150:151], 1.0
	v_fmac_f64_e32 v[150:151], v[150:151], v[152:153]
	v_div_scale_f64 v[152:153], vcc, 1.0, v[134:135], 1.0
	v_mul_f64 v[154:155], v[152:153], v[150:151]
	v_fma_f64 v[132:133], -v[132:133], v[154:155], v[152:153]
	s_nop 1
	v_div_fmas_f64 v[132:133], v[132:133], v[150:151], v[154:155]
	v_div_fixup_f64 v[134:135], v[132:133], v[134:135], 1.0
	v_mul_f64 v[132:133], v[148:149], v[134:135]
	v_xor_b32_e32 v135, 0x80000000, v135
.LBB64_532:
	s_andn2_saveexec_b64 s[16:17], s[16:17]
	s_cbranch_execz .LBB64_534
; %bb.533:
	v_div_scale_f64 v[148:149], s[18:19], v[132:133], v[132:133], v[134:135]
	v_rcp_f64_e32 v[150:151], v[148:149]
	v_div_scale_f64 v[152:153], vcc, v[134:135], v[132:133], v[134:135]
	v_fma_f64 v[154:155], -v[148:149], v[150:151], 1.0
	v_fmac_f64_e32 v[150:151], v[150:151], v[154:155]
	v_fma_f64 v[154:155], -v[148:149], v[150:151], 1.0
	v_fmac_f64_e32 v[150:151], v[150:151], v[154:155]
	v_mul_f64 v[154:155], v[152:153], v[150:151]
	v_fma_f64 v[148:149], -v[148:149], v[154:155], v[152:153]
	v_div_fmas_f64 v[148:149], v[148:149], v[150:151], v[154:155]
	v_div_fixup_f64 v[148:149], v[148:149], v[132:133], v[134:135]
	v_fmac_f64_e32 v[132:133], v[134:135], v[148:149]
	v_div_scale_f64 v[134:135], s[18:19], v[132:133], v[132:133], 1.0
	v_rcp_f64_e32 v[150:151], v[134:135]
	s_nop 0
	v_fma_f64 v[152:153], -v[134:135], v[150:151], 1.0
	v_fmac_f64_e32 v[150:151], v[150:151], v[152:153]
	v_fma_f64 v[152:153], -v[134:135], v[150:151], 1.0
	v_fmac_f64_e32 v[150:151], v[150:151], v[152:153]
	v_div_scale_f64 v[152:153], vcc, 1.0, v[132:133], 1.0
	v_mul_f64 v[154:155], v[152:153], v[150:151]
	v_fma_f64 v[134:135], -v[134:135], v[154:155], v[152:153]
	s_nop 1
	v_div_fmas_f64 v[134:135], v[134:135], v[150:151], v[154:155]
	v_div_fixup_f64 v[132:133], v[134:135], v[132:133], 1.0
	v_mul_f64 v[134:135], v[148:149], -v[132:133]
.LBB64_534:
	s_or_b64 exec, exec, s[16:17]
.LBB64_535:
	s_or_b64 exec, exec, s[0:1]
	v_cmp_ne_u32_e32 vcc, v145, v142
	s_and_saveexec_b64 s[0:1], vcc
	s_xor_b64 s[0:1], exec, s[0:1]
	s_cbranch_execz .LBB64_541
; %bb.536:
	v_cmp_eq_u32_e32 vcc, 25, v145
	s_and_saveexec_b64 s[16:17], vcc
	s_cbranch_execz .LBB64_540
; %bb.537:
	v_cmp_ne_u32_e32 vcc, 25, v142
	s_xor_b64 s[18:19], s[14:15], -1
	s_and_b64 s[22:23], s[18:19], vcc
	s_and_saveexec_b64 s[18:19], s[22:23]
	s_cbranch_execz .LBB64_539
; %bb.538:
	v_ashrrev_i32_e32 v143, 31, v142
	v_lshl_add_u64 v[148:149], v[142:143], 2, v[140:141]
	global_load_dword v143, v[148:149], off
	global_load_dword v145, v[140:141], off offset:100
	s_waitcnt vmcnt(1)
	global_store_dword v[140:141], v143, off offset:100
	s_waitcnt vmcnt(1)
	global_store_dword v[148:149], v145, off
.LBB64_539:
	s_or_b64 exec, exec, s[18:19]
	v_mov_b32_e32 v145, v142
	v_mov_b32_e32 v147, v142
.LBB64_540:
	s_or_b64 exec, exec, s[16:17]
.LBB64_541:
	s_andn2_saveexec_b64 s[0:1], s[0:1]
	s_cbranch_execz .LBB64_543
; %bb.542:
	v_mov_b32_e32 v145, 25
	s_waitcnt vmcnt(6)
	ds_write2_b64 v144, v[20:21], v[22:23] offset0:52 offset1:53
	s_waitcnt vmcnt(5)
	ds_write2_b64 v144, v[16:17], v[18:19] offset0:54 offset1:55
	;; [unrolled: 2-line block ×7, first 2 shown]
.LBB64_543:
	s_or_b64 exec, exec, s[0:1]
	v_cmp_lt_i32_e32 vcc, 25, v145
	s_waitcnt lgkmcnt(0)
	s_barrier
	s_and_saveexec_b64 s[0:1], vcc
	s_cbranch_execz .LBB64_545
; %bb.544:
	ds_read2_b64 v[148:151], v144 offset0:52 offset1:53
	v_mul_f64 v[142:143], v[132:133], v[26:27]
	v_fmac_f64_e32 v[142:143], v[134:135], v[24:25]
	v_mul_f64 v[26:27], v[134:135], v[26:27]
	v_fma_f64 v[24:25], v[132:133], v[24:25], -v[26:27]
	ds_read2_b64 v[132:135], v144 offset0:54 offset1:55
	s_waitcnt lgkmcnt(1)
	v_mul_f64 v[26:27], v[150:151], v[142:143]
	v_fma_f64 v[26:27], v[148:149], v[24:25], -v[26:27]
	v_mul_f64 v[148:149], v[148:149], v[142:143]
	v_fmac_f64_e32 v[148:149], v[150:151], v[24:25]
	s_waitcnt vmcnt(6)
	v_add_f64 v[22:23], v[22:23], -v[148:149]
	ds_read2_b64 v[148:151], v144 offset0:56 offset1:57
	v_add_f64 v[20:21], v[20:21], -v[26:27]
	s_waitcnt lgkmcnt(1)
	v_mul_f64 v[26:27], v[134:135], v[142:143]
	v_fma_f64 v[26:27], v[132:133], v[24:25], -v[26:27]
	v_mul_f64 v[132:133], v[132:133], v[142:143]
	v_fmac_f64_e32 v[132:133], v[134:135], v[24:25]
	s_waitcnt vmcnt(5)
	v_add_f64 v[16:17], v[16:17], -v[26:27]
	v_add_f64 v[18:19], v[18:19], -v[132:133]
	ds_read2_b64 v[132:135], v144 offset0:58 offset1:59
	s_waitcnt lgkmcnt(1)
	v_mul_f64 v[26:27], v[150:151], v[142:143]
	v_fma_f64 v[26:27], v[148:149], v[24:25], -v[26:27]
	v_mul_f64 v[148:149], v[148:149], v[142:143]
	v_fmac_f64_e32 v[148:149], v[150:151], v[24:25]
	s_waitcnt vmcnt(4)
	v_add_f64 v[14:15], v[14:15], -v[148:149]
	ds_read2_b64 v[148:151], v144 offset0:60 offset1:61
	v_add_f64 v[12:13], v[12:13], -v[26:27]
	s_waitcnt lgkmcnt(1)
	v_mul_f64 v[26:27], v[134:135], v[142:143]
	v_fma_f64 v[26:27], v[132:133], v[24:25], -v[26:27]
	v_mul_f64 v[132:133], v[132:133], v[142:143]
	v_fmac_f64_e32 v[132:133], v[134:135], v[24:25]
	s_waitcnt vmcnt(3)
	v_add_f64 v[8:9], v[8:9], -v[26:27]
	v_add_f64 v[10:11], v[10:11], -v[132:133]
	;; [unrolled: 18-line block ×3, first 2 shown]
	s_waitcnt lgkmcnt(0)
	v_mul_f64 v[26:27], v[150:151], v[142:143]
	v_mul_f64 v[132:133], v[148:149], v[142:143]
	v_fma_f64 v[26:27], v[148:149], v[24:25], -v[26:27]
	v_fmac_f64_e32 v[132:133], v[150:151], v[24:25]
	s_waitcnt vmcnt(0)
	v_add_f64 v[128:129], v[128:129], -v[26:27]
	v_add_f64 v[130:131], v[130:131], -v[132:133]
	v_mov_b64_e32 v[26:27], v[142:143]
.LBB64_545:
	s_or_b64 exec, exec, s[0:1]
	v_lshl_add_u32 v132, v145, 4, v144
	s_barrier
	s_waitcnt vmcnt(6)
	ds_write2_b64 v132, v[20:21], v[22:23] offset1:1
	s_waitcnt lgkmcnt(0)
	s_barrier
	ds_read2_b64 v[132:135], v144 offset0:52 offset1:53
	s_cmp_lt_i32 s20, 28
	v_mov_b32_e32 v142, 26
	s_cbranch_scc1 .LBB64_548
; %bb.546:
	v_add_u32_e32 v143, 0x1b0, v144
	s_mov_b32 s16, 27
	v_mov_b32_e32 v142, 26
.LBB64_547:                             ; =>This Inner Loop Header: Depth=1
	ds_read2_b64 v[148:151], v143 offset1:1
	s_waitcnt lgkmcnt(1)
	v_xor_b32_e32 v153, 0x80000000, v133
	v_xor_b32_e32 v155, 0x80000000, v135
	v_cmp_gt_f64_e32 vcc, 0, v[134:135]
	v_cmp_gt_f64_e64 s[0:1], 0, v[132:133]
	v_mov_b32_e32 v152, v132
	v_mov_b32_e32 v154, v134
	v_cndmask_b32_e64 v153, v133, v153, s[0:1]
	v_cndmask_b32_e32 v155, v135, v155, vcc
	v_add_f64 v[152:153], v[152:153], v[154:155]
	s_waitcnt lgkmcnt(0)
	v_xor_b32_e32 v155, 0x80000000, v149
	v_xor_b32_e32 v157, 0x80000000, v151
	v_cmp_gt_f64_e32 vcc, 0, v[150:151]
	v_cmp_gt_f64_e64 s[0:1], 0, v[148:149]
	v_mov_b32_e32 v154, v148
	v_mov_b32_e32 v156, v150
	v_cndmask_b32_e64 v155, v149, v155, s[0:1]
	v_cndmask_b32_e32 v157, v151, v157, vcc
	v_add_f64 v[154:155], v[154:155], v[156:157]
	v_mov_b32_e32 v158, s16
	s_add_i32 s16, s16, 1
	v_cmp_lt_f64_e32 vcc, v[152:153], v[154:155]
	v_add_u32_e32 v143, 16, v143
	s_cmp_lg_u32 s20, s16
	v_cndmask_b32_e32 v133, v133, v149, vcc
	v_cndmask_b32_e32 v132, v132, v148, vcc
	;; [unrolled: 1-line block ×5, first 2 shown]
	s_cbranch_scc1 .LBB64_547
.LBB64_548:
	s_waitcnt lgkmcnt(0)
	v_cmp_eq_f64_e32 vcc, 0, v[132:133]
	v_cmp_eq_f64_e64 s[0:1], 0, v[134:135]
	s_and_b64 s[0:1], vcc, s[0:1]
	s_and_saveexec_b64 s[16:17], s[0:1]
	s_xor_b64 s[0:1], exec, s[16:17]
; %bb.549:
	v_cmp_ne_u32_e32 vcc, 0, v146
	s_nop 1
	v_cndmask_b32_e32 v146, 27, v146, vcc
; %bb.550:
	s_andn2_saveexec_b64 s[0:1], s[0:1]
	s_cbranch_execz .LBB64_556
; %bb.551:
	v_cmp_ngt_f64_e64 s[16:17], |v[132:133]|, |v[134:135]|
	s_and_saveexec_b64 s[18:19], s[16:17]
	s_xor_b64 s[16:17], exec, s[18:19]
	s_cbranch_execz .LBB64_553
; %bb.552:
	v_div_scale_f64 v[148:149], s[18:19], v[134:135], v[134:135], v[132:133]
	v_rcp_f64_e32 v[150:151], v[148:149]
	v_div_scale_f64 v[152:153], vcc, v[132:133], v[134:135], v[132:133]
	v_fma_f64 v[154:155], -v[148:149], v[150:151], 1.0
	v_fmac_f64_e32 v[150:151], v[150:151], v[154:155]
	v_fma_f64 v[154:155], -v[148:149], v[150:151], 1.0
	v_fmac_f64_e32 v[150:151], v[150:151], v[154:155]
	v_mul_f64 v[154:155], v[152:153], v[150:151]
	v_fma_f64 v[148:149], -v[148:149], v[154:155], v[152:153]
	v_div_fmas_f64 v[148:149], v[148:149], v[150:151], v[154:155]
	v_div_fixup_f64 v[148:149], v[148:149], v[134:135], v[132:133]
	v_fmac_f64_e32 v[134:135], v[132:133], v[148:149]
	v_div_scale_f64 v[132:133], s[18:19], v[134:135], v[134:135], 1.0
	v_rcp_f64_e32 v[150:151], v[132:133]
	s_nop 0
	v_fma_f64 v[152:153], -v[132:133], v[150:151], 1.0
	v_fmac_f64_e32 v[150:151], v[150:151], v[152:153]
	v_fma_f64 v[152:153], -v[132:133], v[150:151], 1.0
	v_fmac_f64_e32 v[150:151], v[150:151], v[152:153]
	v_div_scale_f64 v[152:153], vcc, 1.0, v[134:135], 1.0
	v_mul_f64 v[154:155], v[152:153], v[150:151]
	v_fma_f64 v[132:133], -v[132:133], v[154:155], v[152:153]
	s_nop 1
	v_div_fmas_f64 v[132:133], v[132:133], v[150:151], v[154:155]
	v_div_fixup_f64 v[134:135], v[132:133], v[134:135], 1.0
	v_mul_f64 v[132:133], v[148:149], v[134:135]
	v_xor_b32_e32 v135, 0x80000000, v135
.LBB64_553:
	s_andn2_saveexec_b64 s[16:17], s[16:17]
	s_cbranch_execz .LBB64_555
; %bb.554:
	v_div_scale_f64 v[148:149], s[18:19], v[132:133], v[132:133], v[134:135]
	v_rcp_f64_e32 v[150:151], v[148:149]
	v_div_scale_f64 v[152:153], vcc, v[134:135], v[132:133], v[134:135]
	v_fma_f64 v[154:155], -v[148:149], v[150:151], 1.0
	v_fmac_f64_e32 v[150:151], v[150:151], v[154:155]
	v_fma_f64 v[154:155], -v[148:149], v[150:151], 1.0
	v_fmac_f64_e32 v[150:151], v[150:151], v[154:155]
	v_mul_f64 v[154:155], v[152:153], v[150:151]
	v_fma_f64 v[148:149], -v[148:149], v[154:155], v[152:153]
	v_div_fmas_f64 v[148:149], v[148:149], v[150:151], v[154:155]
	v_div_fixup_f64 v[148:149], v[148:149], v[132:133], v[134:135]
	v_fmac_f64_e32 v[132:133], v[134:135], v[148:149]
	v_div_scale_f64 v[134:135], s[18:19], v[132:133], v[132:133], 1.0
	v_rcp_f64_e32 v[150:151], v[134:135]
	s_nop 0
	v_fma_f64 v[152:153], -v[134:135], v[150:151], 1.0
	v_fmac_f64_e32 v[150:151], v[150:151], v[152:153]
	v_fma_f64 v[152:153], -v[134:135], v[150:151], 1.0
	v_fmac_f64_e32 v[150:151], v[150:151], v[152:153]
	v_div_scale_f64 v[152:153], vcc, 1.0, v[132:133], 1.0
	v_mul_f64 v[154:155], v[152:153], v[150:151]
	v_fma_f64 v[134:135], -v[134:135], v[154:155], v[152:153]
	s_nop 1
	v_div_fmas_f64 v[134:135], v[134:135], v[150:151], v[154:155]
	v_div_fixup_f64 v[132:133], v[134:135], v[132:133], 1.0
	v_mul_f64 v[134:135], v[148:149], -v[132:133]
.LBB64_555:
	s_or_b64 exec, exec, s[16:17]
.LBB64_556:
	s_or_b64 exec, exec, s[0:1]
	v_cmp_ne_u32_e32 vcc, v145, v142
	s_and_saveexec_b64 s[0:1], vcc
	s_xor_b64 s[0:1], exec, s[0:1]
	s_cbranch_execz .LBB64_562
; %bb.557:
	v_cmp_eq_u32_e32 vcc, 26, v145
	s_and_saveexec_b64 s[16:17], vcc
	s_cbranch_execz .LBB64_561
; %bb.558:
	v_cmp_ne_u32_e32 vcc, 26, v142
	s_xor_b64 s[18:19], s[14:15], -1
	s_and_b64 s[22:23], s[18:19], vcc
	s_and_saveexec_b64 s[18:19], s[22:23]
	s_cbranch_execz .LBB64_560
; %bb.559:
	v_ashrrev_i32_e32 v143, 31, v142
	v_lshl_add_u64 v[148:149], v[142:143], 2, v[140:141]
	global_load_dword v143, v[148:149], off
	global_load_dword v145, v[140:141], off offset:104
	s_waitcnt vmcnt(1)
	global_store_dword v[140:141], v143, off offset:104
	s_waitcnt vmcnt(1)
	global_store_dword v[148:149], v145, off
.LBB64_560:
	s_or_b64 exec, exec, s[18:19]
	v_mov_b32_e32 v145, v142
	v_mov_b32_e32 v147, v142
.LBB64_561:
	s_or_b64 exec, exec, s[16:17]
.LBB64_562:
	s_andn2_saveexec_b64 s[0:1], s[0:1]
	s_cbranch_execz .LBB64_564
; %bb.563:
	v_mov_b32_e32 v145, 26
	s_waitcnt vmcnt(5)
	ds_write2_b64 v144, v[16:17], v[18:19] offset0:54 offset1:55
	s_waitcnt vmcnt(4)
	ds_write2_b64 v144, v[12:13], v[14:15] offset0:56 offset1:57
	;; [unrolled: 2-line block ×6, first 2 shown]
.LBB64_564:
	s_or_b64 exec, exec, s[0:1]
	v_cmp_lt_i32_e32 vcc, 26, v145
	s_waitcnt lgkmcnt(0)
	s_barrier
	s_and_saveexec_b64 s[0:1], vcc
	s_cbranch_execz .LBB64_566
; %bb.565:
	ds_read2_b64 v[148:151], v144 offset0:54 offset1:55
	v_mul_f64 v[142:143], v[132:133], v[22:23]
	v_mul_f64 v[22:23], v[134:135], v[22:23]
	v_fmac_f64_e32 v[142:143], v[134:135], v[20:21]
	v_fma_f64 v[20:21], v[132:133], v[20:21], -v[22:23]
	ds_read2_b64 v[132:135], v144 offset0:56 offset1:57
	s_waitcnt lgkmcnt(1)
	v_mul_f64 v[22:23], v[150:151], v[142:143]
	v_fma_f64 v[22:23], v[148:149], v[20:21], -v[22:23]
	v_mul_f64 v[148:149], v[148:149], v[142:143]
	v_fmac_f64_e32 v[148:149], v[150:151], v[20:21]
	s_waitcnt vmcnt(5)
	v_add_f64 v[16:17], v[16:17], -v[22:23]
	s_waitcnt lgkmcnt(0)
	v_mul_f64 v[22:23], v[134:135], v[142:143]
	v_add_f64 v[18:19], v[18:19], -v[148:149]
	v_fma_f64 v[22:23], v[132:133], v[20:21], -v[22:23]
	v_mul_f64 v[132:133], v[132:133], v[142:143]
	ds_read2_b64 v[148:151], v144 offset0:58 offset1:59
	v_fmac_f64_e32 v[132:133], v[134:135], v[20:21]
	s_waitcnt vmcnt(4)
	v_add_f64 v[14:15], v[14:15], -v[132:133]
	ds_read2_b64 v[132:135], v144 offset0:60 offset1:61
	v_add_f64 v[12:13], v[12:13], -v[22:23]
	s_waitcnt lgkmcnt(1)
	v_mul_f64 v[22:23], v[150:151], v[142:143]
	v_fma_f64 v[22:23], v[148:149], v[20:21], -v[22:23]
	v_mul_f64 v[148:149], v[148:149], v[142:143]
	v_fmac_f64_e32 v[148:149], v[150:151], v[20:21]
	s_waitcnt vmcnt(3)
	v_add_f64 v[8:9], v[8:9], -v[22:23]
	s_waitcnt lgkmcnt(0)
	v_mul_f64 v[22:23], v[134:135], v[142:143]
	v_add_f64 v[10:11], v[10:11], -v[148:149]
	v_fma_f64 v[22:23], v[132:133], v[20:21], -v[22:23]
	v_mul_f64 v[132:133], v[132:133], v[142:143]
	ds_read2_b64 v[148:151], v144 offset0:62 offset1:63
	v_fmac_f64_e32 v[132:133], v[134:135], v[20:21]
	s_waitcnt vmcnt(2)
	v_add_f64 v[6:7], v[6:7], -v[132:133]
	ds_read2_b64 v[132:135], v144 offset0:64 offset1:65
	v_add_f64 v[4:5], v[4:5], -v[22:23]
	s_waitcnt lgkmcnt(1)
	v_mul_f64 v[22:23], v[150:151], v[142:143]
	v_fma_f64 v[22:23], v[148:149], v[20:21], -v[22:23]
	s_waitcnt vmcnt(1)
	v_add_f64 v[0:1], v[0:1], -v[22:23]
	s_waitcnt lgkmcnt(0)
	v_mul_f64 v[22:23], v[134:135], v[142:143]
	v_mul_f64 v[148:149], v[148:149], v[142:143]
	v_fma_f64 v[22:23], v[132:133], v[20:21], -v[22:23]
	v_mul_f64 v[132:133], v[132:133], v[142:143]
	v_fmac_f64_e32 v[148:149], v[150:151], v[20:21]
	v_fmac_f64_e32 v[132:133], v[134:135], v[20:21]
	v_add_f64 v[2:3], v[2:3], -v[148:149]
	s_waitcnt vmcnt(0)
	v_add_f64 v[128:129], v[128:129], -v[22:23]
	v_add_f64 v[130:131], v[130:131], -v[132:133]
	v_mov_b64_e32 v[22:23], v[142:143]
.LBB64_566:
	s_or_b64 exec, exec, s[0:1]
	v_lshl_add_u32 v132, v145, 4, v144
	s_barrier
	s_waitcnt vmcnt(5)
	ds_write2_b64 v132, v[16:17], v[18:19] offset1:1
	s_waitcnt lgkmcnt(0)
	s_barrier
	ds_read2_b64 v[132:135], v144 offset0:54 offset1:55
	s_cmp_lt_i32 s20, 29
	v_mov_b32_e32 v142, 27
	s_cbranch_scc1 .LBB64_569
; %bb.567:
	v_add_u32_e32 v143, 0x1c0, v144
	s_mov_b32 s16, 28
	v_mov_b32_e32 v142, 27
.LBB64_568:                             ; =>This Inner Loop Header: Depth=1
	ds_read2_b64 v[148:151], v143 offset1:1
	s_waitcnt lgkmcnt(1)
	v_xor_b32_e32 v153, 0x80000000, v133
	v_xor_b32_e32 v155, 0x80000000, v135
	v_cmp_gt_f64_e32 vcc, 0, v[134:135]
	v_cmp_gt_f64_e64 s[0:1], 0, v[132:133]
	v_mov_b32_e32 v152, v132
	v_mov_b32_e32 v154, v134
	v_cndmask_b32_e64 v153, v133, v153, s[0:1]
	v_cndmask_b32_e32 v155, v135, v155, vcc
	v_add_f64 v[152:153], v[152:153], v[154:155]
	s_waitcnt lgkmcnt(0)
	v_xor_b32_e32 v155, 0x80000000, v149
	v_xor_b32_e32 v157, 0x80000000, v151
	v_cmp_gt_f64_e32 vcc, 0, v[150:151]
	v_cmp_gt_f64_e64 s[0:1], 0, v[148:149]
	v_mov_b32_e32 v154, v148
	v_mov_b32_e32 v156, v150
	v_cndmask_b32_e64 v155, v149, v155, s[0:1]
	v_cndmask_b32_e32 v157, v151, v157, vcc
	v_add_f64 v[154:155], v[154:155], v[156:157]
	v_mov_b32_e32 v158, s16
	s_add_i32 s16, s16, 1
	v_cmp_lt_f64_e32 vcc, v[152:153], v[154:155]
	v_add_u32_e32 v143, 16, v143
	s_cmp_lg_u32 s20, s16
	v_cndmask_b32_e32 v133, v133, v149, vcc
	v_cndmask_b32_e32 v132, v132, v148, vcc
	v_cndmask_b32_e32 v135, v135, v151, vcc
	v_cndmask_b32_e32 v134, v134, v150, vcc
	v_cndmask_b32_e32 v142, v142, v158, vcc
	s_cbranch_scc1 .LBB64_568
.LBB64_569:
	s_waitcnt lgkmcnt(0)
	v_cmp_eq_f64_e32 vcc, 0, v[132:133]
	v_cmp_eq_f64_e64 s[0:1], 0, v[134:135]
	s_and_b64 s[0:1], vcc, s[0:1]
	s_and_saveexec_b64 s[16:17], s[0:1]
	s_xor_b64 s[0:1], exec, s[16:17]
; %bb.570:
	v_cmp_ne_u32_e32 vcc, 0, v146
	s_nop 1
	v_cndmask_b32_e32 v146, 28, v146, vcc
; %bb.571:
	s_andn2_saveexec_b64 s[0:1], s[0:1]
	s_cbranch_execz .LBB64_577
; %bb.572:
	v_cmp_ngt_f64_e64 s[16:17], |v[132:133]|, |v[134:135]|
	s_and_saveexec_b64 s[18:19], s[16:17]
	s_xor_b64 s[16:17], exec, s[18:19]
	s_cbranch_execz .LBB64_574
; %bb.573:
	v_div_scale_f64 v[148:149], s[18:19], v[134:135], v[134:135], v[132:133]
	v_rcp_f64_e32 v[150:151], v[148:149]
	v_div_scale_f64 v[152:153], vcc, v[132:133], v[134:135], v[132:133]
	v_fma_f64 v[154:155], -v[148:149], v[150:151], 1.0
	v_fmac_f64_e32 v[150:151], v[150:151], v[154:155]
	v_fma_f64 v[154:155], -v[148:149], v[150:151], 1.0
	v_fmac_f64_e32 v[150:151], v[150:151], v[154:155]
	v_mul_f64 v[154:155], v[152:153], v[150:151]
	v_fma_f64 v[148:149], -v[148:149], v[154:155], v[152:153]
	v_div_fmas_f64 v[148:149], v[148:149], v[150:151], v[154:155]
	v_div_fixup_f64 v[148:149], v[148:149], v[134:135], v[132:133]
	v_fmac_f64_e32 v[134:135], v[132:133], v[148:149]
	v_div_scale_f64 v[132:133], s[18:19], v[134:135], v[134:135], 1.0
	v_rcp_f64_e32 v[150:151], v[132:133]
	s_nop 0
	v_fma_f64 v[152:153], -v[132:133], v[150:151], 1.0
	v_fmac_f64_e32 v[150:151], v[150:151], v[152:153]
	v_fma_f64 v[152:153], -v[132:133], v[150:151], 1.0
	v_fmac_f64_e32 v[150:151], v[150:151], v[152:153]
	v_div_scale_f64 v[152:153], vcc, 1.0, v[134:135], 1.0
	v_mul_f64 v[154:155], v[152:153], v[150:151]
	v_fma_f64 v[132:133], -v[132:133], v[154:155], v[152:153]
	s_nop 1
	v_div_fmas_f64 v[132:133], v[132:133], v[150:151], v[154:155]
	v_div_fixup_f64 v[134:135], v[132:133], v[134:135], 1.0
	v_mul_f64 v[132:133], v[148:149], v[134:135]
	v_xor_b32_e32 v135, 0x80000000, v135
.LBB64_574:
	s_andn2_saveexec_b64 s[16:17], s[16:17]
	s_cbranch_execz .LBB64_576
; %bb.575:
	v_div_scale_f64 v[148:149], s[18:19], v[132:133], v[132:133], v[134:135]
	v_rcp_f64_e32 v[150:151], v[148:149]
	v_div_scale_f64 v[152:153], vcc, v[134:135], v[132:133], v[134:135]
	v_fma_f64 v[154:155], -v[148:149], v[150:151], 1.0
	v_fmac_f64_e32 v[150:151], v[150:151], v[154:155]
	v_fma_f64 v[154:155], -v[148:149], v[150:151], 1.0
	v_fmac_f64_e32 v[150:151], v[150:151], v[154:155]
	v_mul_f64 v[154:155], v[152:153], v[150:151]
	v_fma_f64 v[148:149], -v[148:149], v[154:155], v[152:153]
	v_div_fmas_f64 v[148:149], v[148:149], v[150:151], v[154:155]
	v_div_fixup_f64 v[148:149], v[148:149], v[132:133], v[134:135]
	v_fmac_f64_e32 v[132:133], v[134:135], v[148:149]
	v_div_scale_f64 v[134:135], s[18:19], v[132:133], v[132:133], 1.0
	v_rcp_f64_e32 v[150:151], v[134:135]
	s_nop 0
	v_fma_f64 v[152:153], -v[134:135], v[150:151], 1.0
	v_fmac_f64_e32 v[150:151], v[150:151], v[152:153]
	v_fma_f64 v[152:153], -v[134:135], v[150:151], 1.0
	v_fmac_f64_e32 v[150:151], v[150:151], v[152:153]
	v_div_scale_f64 v[152:153], vcc, 1.0, v[132:133], 1.0
	v_mul_f64 v[154:155], v[152:153], v[150:151]
	v_fma_f64 v[134:135], -v[134:135], v[154:155], v[152:153]
	s_nop 1
	v_div_fmas_f64 v[134:135], v[134:135], v[150:151], v[154:155]
	v_div_fixup_f64 v[132:133], v[134:135], v[132:133], 1.0
	v_mul_f64 v[134:135], v[148:149], -v[132:133]
.LBB64_576:
	s_or_b64 exec, exec, s[16:17]
.LBB64_577:
	s_or_b64 exec, exec, s[0:1]
	v_cmp_ne_u32_e32 vcc, v145, v142
	s_and_saveexec_b64 s[0:1], vcc
	s_xor_b64 s[0:1], exec, s[0:1]
	s_cbranch_execz .LBB64_583
; %bb.578:
	v_cmp_eq_u32_e32 vcc, 27, v145
	s_and_saveexec_b64 s[16:17], vcc
	s_cbranch_execz .LBB64_582
; %bb.579:
	v_cmp_ne_u32_e32 vcc, 27, v142
	s_xor_b64 s[18:19], s[14:15], -1
	s_and_b64 s[22:23], s[18:19], vcc
	s_and_saveexec_b64 s[18:19], s[22:23]
	s_cbranch_execz .LBB64_581
; %bb.580:
	v_ashrrev_i32_e32 v143, 31, v142
	v_lshl_add_u64 v[148:149], v[142:143], 2, v[140:141]
	global_load_dword v143, v[148:149], off
	global_load_dword v145, v[140:141], off offset:108
	s_waitcnt vmcnt(1)
	global_store_dword v[140:141], v143, off offset:108
	s_waitcnt vmcnt(1)
	global_store_dword v[148:149], v145, off
.LBB64_581:
	s_or_b64 exec, exec, s[18:19]
	v_mov_b32_e32 v145, v142
	v_mov_b32_e32 v147, v142
.LBB64_582:
	s_or_b64 exec, exec, s[16:17]
.LBB64_583:
	s_andn2_saveexec_b64 s[0:1], s[0:1]
	s_cbranch_execz .LBB64_585
; %bb.584:
	v_mov_b32_e32 v145, 27
	s_waitcnt vmcnt(4)
	ds_write2_b64 v144, v[12:13], v[14:15] offset0:56 offset1:57
	s_waitcnt vmcnt(3)
	ds_write2_b64 v144, v[8:9], v[10:11] offset0:58 offset1:59
	;; [unrolled: 2-line block ×5, first 2 shown]
.LBB64_585:
	s_or_b64 exec, exec, s[0:1]
	v_cmp_lt_i32_e32 vcc, 27, v145
	s_waitcnt lgkmcnt(0)
	s_barrier
	s_and_saveexec_b64 s[0:1], vcc
	s_cbranch_execz .LBB64_587
; %bb.586:
	ds_read2_b64 v[148:151], v144 offset0:56 offset1:57
	v_mul_f64 v[142:143], v[132:133], v[18:19]
	v_fmac_f64_e32 v[142:143], v[134:135], v[16:17]
	v_mul_f64 v[18:19], v[134:135], v[18:19]
	v_fma_f64 v[16:17], v[132:133], v[16:17], -v[18:19]
	ds_read2_b64 v[132:135], v144 offset0:58 offset1:59
	s_waitcnt lgkmcnt(1)
	v_mul_f64 v[18:19], v[150:151], v[142:143]
	v_fma_f64 v[18:19], v[148:149], v[16:17], -v[18:19]
	v_mul_f64 v[148:149], v[148:149], v[142:143]
	v_fmac_f64_e32 v[148:149], v[150:151], v[16:17]
	s_waitcnt vmcnt(4)
	v_add_f64 v[14:15], v[14:15], -v[148:149]
	ds_read2_b64 v[148:151], v144 offset0:60 offset1:61
	v_add_f64 v[12:13], v[12:13], -v[18:19]
	s_waitcnt lgkmcnt(1)
	v_mul_f64 v[18:19], v[134:135], v[142:143]
	v_fma_f64 v[18:19], v[132:133], v[16:17], -v[18:19]
	v_mul_f64 v[132:133], v[132:133], v[142:143]
	v_fmac_f64_e32 v[132:133], v[134:135], v[16:17]
	s_waitcnt vmcnt(3)
	v_add_f64 v[8:9], v[8:9], -v[18:19]
	v_add_f64 v[10:11], v[10:11], -v[132:133]
	ds_read2_b64 v[132:135], v144 offset0:62 offset1:63
	s_waitcnt lgkmcnt(1)
	v_mul_f64 v[18:19], v[150:151], v[142:143]
	v_fma_f64 v[18:19], v[148:149], v[16:17], -v[18:19]
	v_mul_f64 v[148:149], v[148:149], v[142:143]
	v_fmac_f64_e32 v[148:149], v[150:151], v[16:17]
	s_waitcnt vmcnt(2)
	v_add_f64 v[6:7], v[6:7], -v[148:149]
	ds_read2_b64 v[148:151], v144 offset0:64 offset1:65
	v_add_f64 v[4:5], v[4:5], -v[18:19]
	s_waitcnt lgkmcnt(1)
	v_mul_f64 v[18:19], v[134:135], v[142:143]
	v_fma_f64 v[18:19], v[132:133], v[16:17], -v[18:19]
	v_mul_f64 v[132:133], v[132:133], v[142:143]
	v_fmac_f64_e32 v[132:133], v[134:135], v[16:17]
	s_waitcnt vmcnt(1)
	v_add_f64 v[0:1], v[0:1], -v[18:19]
	v_add_f64 v[2:3], v[2:3], -v[132:133]
	s_waitcnt lgkmcnt(0)
	v_mul_f64 v[18:19], v[150:151], v[142:143]
	v_mul_f64 v[132:133], v[148:149], v[142:143]
	v_fma_f64 v[18:19], v[148:149], v[16:17], -v[18:19]
	v_fmac_f64_e32 v[132:133], v[150:151], v[16:17]
	s_waitcnt vmcnt(0)
	v_add_f64 v[128:129], v[128:129], -v[18:19]
	v_add_f64 v[130:131], v[130:131], -v[132:133]
	v_mov_b64_e32 v[18:19], v[142:143]
.LBB64_587:
	s_or_b64 exec, exec, s[0:1]
	v_lshl_add_u32 v132, v145, 4, v144
	s_barrier
	s_waitcnt vmcnt(4)
	ds_write2_b64 v132, v[12:13], v[14:15] offset1:1
	s_waitcnt lgkmcnt(0)
	s_barrier
	ds_read2_b64 v[132:135], v144 offset0:56 offset1:57
	s_cmp_lt_i32 s20, 30
	v_mov_b32_e32 v142, 28
	s_cbranch_scc1 .LBB64_590
; %bb.588:
	v_add_u32_e32 v143, 0x1d0, v144
	s_mov_b32 s16, 29
	v_mov_b32_e32 v142, 28
.LBB64_589:                             ; =>This Inner Loop Header: Depth=1
	ds_read2_b64 v[148:151], v143 offset1:1
	s_waitcnt lgkmcnt(1)
	v_xor_b32_e32 v153, 0x80000000, v133
	v_xor_b32_e32 v155, 0x80000000, v135
	v_cmp_gt_f64_e32 vcc, 0, v[134:135]
	v_cmp_gt_f64_e64 s[0:1], 0, v[132:133]
	v_mov_b32_e32 v152, v132
	v_mov_b32_e32 v154, v134
	v_cndmask_b32_e64 v153, v133, v153, s[0:1]
	v_cndmask_b32_e32 v155, v135, v155, vcc
	v_add_f64 v[152:153], v[152:153], v[154:155]
	s_waitcnt lgkmcnt(0)
	v_xor_b32_e32 v155, 0x80000000, v149
	v_xor_b32_e32 v157, 0x80000000, v151
	v_cmp_gt_f64_e32 vcc, 0, v[150:151]
	v_cmp_gt_f64_e64 s[0:1], 0, v[148:149]
	v_mov_b32_e32 v154, v148
	v_mov_b32_e32 v156, v150
	v_cndmask_b32_e64 v155, v149, v155, s[0:1]
	v_cndmask_b32_e32 v157, v151, v157, vcc
	v_add_f64 v[154:155], v[154:155], v[156:157]
	v_mov_b32_e32 v158, s16
	s_add_i32 s16, s16, 1
	v_cmp_lt_f64_e32 vcc, v[152:153], v[154:155]
	v_add_u32_e32 v143, 16, v143
	s_cmp_lg_u32 s20, s16
	v_cndmask_b32_e32 v133, v133, v149, vcc
	v_cndmask_b32_e32 v132, v132, v148, vcc
	;; [unrolled: 1-line block ×5, first 2 shown]
	s_cbranch_scc1 .LBB64_589
.LBB64_590:
	s_waitcnt lgkmcnt(0)
	v_cmp_eq_f64_e32 vcc, 0, v[132:133]
	v_cmp_eq_f64_e64 s[0:1], 0, v[134:135]
	s_and_b64 s[0:1], vcc, s[0:1]
	s_and_saveexec_b64 s[16:17], s[0:1]
	s_xor_b64 s[0:1], exec, s[16:17]
; %bb.591:
	v_cmp_ne_u32_e32 vcc, 0, v146
	s_nop 1
	v_cndmask_b32_e32 v146, 29, v146, vcc
; %bb.592:
	s_andn2_saveexec_b64 s[0:1], s[0:1]
	s_cbranch_execz .LBB64_598
; %bb.593:
	v_cmp_ngt_f64_e64 s[16:17], |v[132:133]|, |v[134:135]|
	s_and_saveexec_b64 s[18:19], s[16:17]
	s_xor_b64 s[16:17], exec, s[18:19]
	s_cbranch_execz .LBB64_595
; %bb.594:
	v_div_scale_f64 v[148:149], s[18:19], v[134:135], v[134:135], v[132:133]
	v_rcp_f64_e32 v[150:151], v[148:149]
	v_div_scale_f64 v[152:153], vcc, v[132:133], v[134:135], v[132:133]
	v_fma_f64 v[154:155], -v[148:149], v[150:151], 1.0
	v_fmac_f64_e32 v[150:151], v[150:151], v[154:155]
	v_fma_f64 v[154:155], -v[148:149], v[150:151], 1.0
	v_fmac_f64_e32 v[150:151], v[150:151], v[154:155]
	v_mul_f64 v[154:155], v[152:153], v[150:151]
	v_fma_f64 v[148:149], -v[148:149], v[154:155], v[152:153]
	v_div_fmas_f64 v[148:149], v[148:149], v[150:151], v[154:155]
	v_div_fixup_f64 v[148:149], v[148:149], v[134:135], v[132:133]
	v_fmac_f64_e32 v[134:135], v[132:133], v[148:149]
	v_div_scale_f64 v[132:133], s[18:19], v[134:135], v[134:135], 1.0
	v_rcp_f64_e32 v[150:151], v[132:133]
	s_nop 0
	v_fma_f64 v[152:153], -v[132:133], v[150:151], 1.0
	v_fmac_f64_e32 v[150:151], v[150:151], v[152:153]
	v_fma_f64 v[152:153], -v[132:133], v[150:151], 1.0
	v_fmac_f64_e32 v[150:151], v[150:151], v[152:153]
	v_div_scale_f64 v[152:153], vcc, 1.0, v[134:135], 1.0
	v_mul_f64 v[154:155], v[152:153], v[150:151]
	v_fma_f64 v[132:133], -v[132:133], v[154:155], v[152:153]
	s_nop 1
	v_div_fmas_f64 v[132:133], v[132:133], v[150:151], v[154:155]
	v_div_fixup_f64 v[134:135], v[132:133], v[134:135], 1.0
	v_mul_f64 v[132:133], v[148:149], v[134:135]
	v_xor_b32_e32 v135, 0x80000000, v135
.LBB64_595:
	s_andn2_saveexec_b64 s[16:17], s[16:17]
	s_cbranch_execz .LBB64_597
; %bb.596:
	v_div_scale_f64 v[148:149], s[18:19], v[132:133], v[132:133], v[134:135]
	v_rcp_f64_e32 v[150:151], v[148:149]
	v_div_scale_f64 v[152:153], vcc, v[134:135], v[132:133], v[134:135]
	v_fma_f64 v[154:155], -v[148:149], v[150:151], 1.0
	v_fmac_f64_e32 v[150:151], v[150:151], v[154:155]
	v_fma_f64 v[154:155], -v[148:149], v[150:151], 1.0
	v_fmac_f64_e32 v[150:151], v[150:151], v[154:155]
	v_mul_f64 v[154:155], v[152:153], v[150:151]
	v_fma_f64 v[148:149], -v[148:149], v[154:155], v[152:153]
	v_div_fmas_f64 v[148:149], v[148:149], v[150:151], v[154:155]
	v_div_fixup_f64 v[148:149], v[148:149], v[132:133], v[134:135]
	v_fmac_f64_e32 v[132:133], v[134:135], v[148:149]
	v_div_scale_f64 v[134:135], s[18:19], v[132:133], v[132:133], 1.0
	v_rcp_f64_e32 v[150:151], v[134:135]
	s_nop 0
	v_fma_f64 v[152:153], -v[134:135], v[150:151], 1.0
	v_fmac_f64_e32 v[150:151], v[150:151], v[152:153]
	v_fma_f64 v[152:153], -v[134:135], v[150:151], 1.0
	v_fmac_f64_e32 v[150:151], v[150:151], v[152:153]
	v_div_scale_f64 v[152:153], vcc, 1.0, v[132:133], 1.0
	v_mul_f64 v[154:155], v[152:153], v[150:151]
	v_fma_f64 v[134:135], -v[134:135], v[154:155], v[152:153]
	s_nop 1
	v_div_fmas_f64 v[134:135], v[134:135], v[150:151], v[154:155]
	v_div_fixup_f64 v[132:133], v[134:135], v[132:133], 1.0
	v_mul_f64 v[134:135], v[148:149], -v[132:133]
.LBB64_597:
	s_or_b64 exec, exec, s[16:17]
.LBB64_598:
	s_or_b64 exec, exec, s[0:1]
	v_cmp_ne_u32_e32 vcc, v145, v142
	s_and_saveexec_b64 s[0:1], vcc
	s_xor_b64 s[0:1], exec, s[0:1]
	s_cbranch_execz .LBB64_604
; %bb.599:
	v_cmp_eq_u32_e32 vcc, 28, v145
	s_and_saveexec_b64 s[16:17], vcc
	s_cbranch_execz .LBB64_603
; %bb.600:
	v_cmp_ne_u32_e32 vcc, 28, v142
	s_xor_b64 s[18:19], s[14:15], -1
	s_and_b64 s[22:23], s[18:19], vcc
	s_and_saveexec_b64 s[18:19], s[22:23]
	s_cbranch_execz .LBB64_602
; %bb.601:
	v_ashrrev_i32_e32 v143, 31, v142
	v_lshl_add_u64 v[148:149], v[142:143], 2, v[140:141]
	global_load_dword v143, v[148:149], off
	global_load_dword v145, v[140:141], off offset:112
	s_waitcnt vmcnt(1)
	global_store_dword v[140:141], v143, off offset:112
	s_waitcnt vmcnt(1)
	global_store_dword v[148:149], v145, off
.LBB64_602:
	s_or_b64 exec, exec, s[18:19]
	v_mov_b32_e32 v145, v142
	v_mov_b32_e32 v147, v142
.LBB64_603:
	s_or_b64 exec, exec, s[16:17]
.LBB64_604:
	s_andn2_saveexec_b64 s[0:1], s[0:1]
	s_cbranch_execz .LBB64_606
; %bb.605:
	v_mov_b32_e32 v145, 28
	s_waitcnt vmcnt(3)
	ds_write2_b64 v144, v[8:9], v[10:11] offset0:58 offset1:59
	s_waitcnt vmcnt(2)
	ds_write2_b64 v144, v[4:5], v[6:7] offset0:60 offset1:61
	;; [unrolled: 2-line block ×4, first 2 shown]
.LBB64_606:
	s_or_b64 exec, exec, s[0:1]
	v_cmp_lt_i32_e32 vcc, 28, v145
	s_waitcnt lgkmcnt(0)
	s_barrier
	s_and_saveexec_b64 s[0:1], vcc
	s_cbranch_execz .LBB64_608
; %bb.607:
	ds_read2_b64 v[148:151], v144 offset0:58 offset1:59
	v_mul_f64 v[142:143], v[132:133], v[14:15]
	v_mul_f64 v[14:15], v[134:135], v[14:15]
	v_fmac_f64_e32 v[142:143], v[134:135], v[12:13]
	v_fma_f64 v[12:13], v[132:133], v[12:13], -v[14:15]
	ds_read2_b64 v[132:135], v144 offset0:60 offset1:61
	s_waitcnt lgkmcnt(1)
	v_mul_f64 v[14:15], v[150:151], v[142:143]
	v_fma_f64 v[14:15], v[148:149], v[12:13], -v[14:15]
	v_mul_f64 v[148:149], v[148:149], v[142:143]
	v_fmac_f64_e32 v[148:149], v[150:151], v[12:13]
	s_waitcnt vmcnt(3)
	v_add_f64 v[8:9], v[8:9], -v[14:15]
	s_waitcnt lgkmcnt(0)
	v_mul_f64 v[14:15], v[134:135], v[142:143]
	v_add_f64 v[10:11], v[10:11], -v[148:149]
	v_fma_f64 v[14:15], v[132:133], v[12:13], -v[14:15]
	v_mul_f64 v[132:133], v[132:133], v[142:143]
	ds_read2_b64 v[148:151], v144 offset0:62 offset1:63
	v_fmac_f64_e32 v[132:133], v[134:135], v[12:13]
	s_waitcnt vmcnt(2)
	v_add_f64 v[6:7], v[6:7], -v[132:133]
	ds_read2_b64 v[132:135], v144 offset0:64 offset1:65
	v_add_f64 v[4:5], v[4:5], -v[14:15]
	s_waitcnt lgkmcnt(1)
	v_mul_f64 v[14:15], v[150:151], v[142:143]
	v_fma_f64 v[14:15], v[148:149], v[12:13], -v[14:15]
	s_waitcnt vmcnt(1)
	v_add_f64 v[0:1], v[0:1], -v[14:15]
	s_waitcnt lgkmcnt(0)
	v_mul_f64 v[14:15], v[134:135], v[142:143]
	v_mul_f64 v[148:149], v[148:149], v[142:143]
	v_fma_f64 v[14:15], v[132:133], v[12:13], -v[14:15]
	v_mul_f64 v[132:133], v[132:133], v[142:143]
	v_fmac_f64_e32 v[148:149], v[150:151], v[12:13]
	v_fmac_f64_e32 v[132:133], v[134:135], v[12:13]
	v_add_f64 v[2:3], v[2:3], -v[148:149]
	s_waitcnt vmcnt(0)
	v_add_f64 v[128:129], v[128:129], -v[14:15]
	v_add_f64 v[130:131], v[130:131], -v[132:133]
	v_mov_b64_e32 v[14:15], v[142:143]
.LBB64_608:
	s_or_b64 exec, exec, s[0:1]
	v_lshl_add_u32 v132, v145, 4, v144
	s_barrier
	s_waitcnt vmcnt(3)
	ds_write2_b64 v132, v[8:9], v[10:11] offset1:1
	s_waitcnt lgkmcnt(0)
	s_barrier
	ds_read2_b64 v[132:135], v144 offset0:58 offset1:59
	s_cmp_lt_i32 s20, 31
	v_mov_b32_e32 v142, 29
	s_cbranch_scc1 .LBB64_611
; %bb.609:
	v_add_u32_e32 v143, 0x1e0, v144
	s_mov_b32 s16, 30
	v_mov_b32_e32 v142, 29
.LBB64_610:                             ; =>This Inner Loop Header: Depth=1
	ds_read2_b64 v[148:151], v143 offset1:1
	s_waitcnt lgkmcnt(1)
	v_xor_b32_e32 v153, 0x80000000, v133
	v_xor_b32_e32 v155, 0x80000000, v135
	v_cmp_gt_f64_e32 vcc, 0, v[134:135]
	v_cmp_gt_f64_e64 s[0:1], 0, v[132:133]
	v_mov_b32_e32 v152, v132
	v_mov_b32_e32 v154, v134
	v_cndmask_b32_e64 v153, v133, v153, s[0:1]
	v_cndmask_b32_e32 v155, v135, v155, vcc
	v_add_f64 v[152:153], v[152:153], v[154:155]
	s_waitcnt lgkmcnt(0)
	v_xor_b32_e32 v155, 0x80000000, v149
	v_xor_b32_e32 v157, 0x80000000, v151
	v_cmp_gt_f64_e32 vcc, 0, v[150:151]
	v_cmp_gt_f64_e64 s[0:1], 0, v[148:149]
	v_mov_b32_e32 v154, v148
	v_mov_b32_e32 v156, v150
	v_cndmask_b32_e64 v155, v149, v155, s[0:1]
	v_cndmask_b32_e32 v157, v151, v157, vcc
	v_add_f64 v[154:155], v[154:155], v[156:157]
	v_mov_b32_e32 v158, s16
	s_add_i32 s16, s16, 1
	v_cmp_lt_f64_e32 vcc, v[152:153], v[154:155]
	v_add_u32_e32 v143, 16, v143
	s_cmp_lg_u32 s20, s16
	v_cndmask_b32_e32 v133, v133, v149, vcc
	v_cndmask_b32_e32 v132, v132, v148, vcc
	;; [unrolled: 1-line block ×5, first 2 shown]
	s_cbranch_scc1 .LBB64_610
.LBB64_611:
	s_waitcnt lgkmcnt(0)
	v_cmp_eq_f64_e32 vcc, 0, v[132:133]
	v_cmp_eq_f64_e64 s[0:1], 0, v[134:135]
	s_and_b64 s[0:1], vcc, s[0:1]
	s_and_saveexec_b64 s[16:17], s[0:1]
	s_xor_b64 s[0:1], exec, s[16:17]
; %bb.612:
	v_cmp_ne_u32_e32 vcc, 0, v146
	s_nop 1
	v_cndmask_b32_e32 v146, 30, v146, vcc
; %bb.613:
	s_andn2_saveexec_b64 s[0:1], s[0:1]
	s_cbranch_execz .LBB64_619
; %bb.614:
	v_cmp_ngt_f64_e64 s[16:17], |v[132:133]|, |v[134:135]|
	s_and_saveexec_b64 s[18:19], s[16:17]
	s_xor_b64 s[16:17], exec, s[18:19]
	s_cbranch_execz .LBB64_616
; %bb.615:
	v_div_scale_f64 v[148:149], s[18:19], v[134:135], v[134:135], v[132:133]
	v_rcp_f64_e32 v[150:151], v[148:149]
	v_div_scale_f64 v[152:153], vcc, v[132:133], v[134:135], v[132:133]
	v_fma_f64 v[154:155], -v[148:149], v[150:151], 1.0
	v_fmac_f64_e32 v[150:151], v[150:151], v[154:155]
	v_fma_f64 v[154:155], -v[148:149], v[150:151], 1.0
	v_fmac_f64_e32 v[150:151], v[150:151], v[154:155]
	v_mul_f64 v[154:155], v[152:153], v[150:151]
	v_fma_f64 v[148:149], -v[148:149], v[154:155], v[152:153]
	v_div_fmas_f64 v[148:149], v[148:149], v[150:151], v[154:155]
	v_div_fixup_f64 v[148:149], v[148:149], v[134:135], v[132:133]
	v_fmac_f64_e32 v[134:135], v[132:133], v[148:149]
	v_div_scale_f64 v[132:133], s[18:19], v[134:135], v[134:135], 1.0
	v_rcp_f64_e32 v[150:151], v[132:133]
	s_nop 0
	v_fma_f64 v[152:153], -v[132:133], v[150:151], 1.0
	v_fmac_f64_e32 v[150:151], v[150:151], v[152:153]
	v_fma_f64 v[152:153], -v[132:133], v[150:151], 1.0
	v_fmac_f64_e32 v[150:151], v[150:151], v[152:153]
	v_div_scale_f64 v[152:153], vcc, 1.0, v[134:135], 1.0
	v_mul_f64 v[154:155], v[152:153], v[150:151]
	v_fma_f64 v[132:133], -v[132:133], v[154:155], v[152:153]
	s_nop 1
	v_div_fmas_f64 v[132:133], v[132:133], v[150:151], v[154:155]
	v_div_fixup_f64 v[134:135], v[132:133], v[134:135], 1.0
	v_mul_f64 v[132:133], v[148:149], v[134:135]
	v_xor_b32_e32 v135, 0x80000000, v135
.LBB64_616:
	s_andn2_saveexec_b64 s[16:17], s[16:17]
	s_cbranch_execz .LBB64_618
; %bb.617:
	v_div_scale_f64 v[148:149], s[18:19], v[132:133], v[132:133], v[134:135]
	v_rcp_f64_e32 v[150:151], v[148:149]
	v_div_scale_f64 v[152:153], vcc, v[134:135], v[132:133], v[134:135]
	v_fma_f64 v[154:155], -v[148:149], v[150:151], 1.0
	v_fmac_f64_e32 v[150:151], v[150:151], v[154:155]
	v_fma_f64 v[154:155], -v[148:149], v[150:151], 1.0
	v_fmac_f64_e32 v[150:151], v[150:151], v[154:155]
	v_mul_f64 v[154:155], v[152:153], v[150:151]
	v_fma_f64 v[148:149], -v[148:149], v[154:155], v[152:153]
	v_div_fmas_f64 v[148:149], v[148:149], v[150:151], v[154:155]
	v_div_fixup_f64 v[148:149], v[148:149], v[132:133], v[134:135]
	v_fmac_f64_e32 v[132:133], v[134:135], v[148:149]
	v_div_scale_f64 v[134:135], s[18:19], v[132:133], v[132:133], 1.0
	v_rcp_f64_e32 v[150:151], v[134:135]
	s_nop 0
	v_fma_f64 v[152:153], -v[134:135], v[150:151], 1.0
	v_fmac_f64_e32 v[150:151], v[150:151], v[152:153]
	v_fma_f64 v[152:153], -v[134:135], v[150:151], 1.0
	v_fmac_f64_e32 v[150:151], v[150:151], v[152:153]
	v_div_scale_f64 v[152:153], vcc, 1.0, v[132:133], 1.0
	v_mul_f64 v[154:155], v[152:153], v[150:151]
	v_fma_f64 v[134:135], -v[134:135], v[154:155], v[152:153]
	s_nop 1
	v_div_fmas_f64 v[134:135], v[134:135], v[150:151], v[154:155]
	v_div_fixup_f64 v[132:133], v[134:135], v[132:133], 1.0
	v_mul_f64 v[134:135], v[148:149], -v[132:133]
.LBB64_618:
	s_or_b64 exec, exec, s[16:17]
.LBB64_619:
	s_or_b64 exec, exec, s[0:1]
	v_cmp_ne_u32_e32 vcc, v145, v142
	s_and_saveexec_b64 s[0:1], vcc
	s_xor_b64 s[0:1], exec, s[0:1]
	s_cbranch_execz .LBB64_625
; %bb.620:
	v_cmp_eq_u32_e32 vcc, 29, v145
	s_and_saveexec_b64 s[16:17], vcc
	s_cbranch_execz .LBB64_624
; %bb.621:
	v_cmp_ne_u32_e32 vcc, 29, v142
	s_xor_b64 s[18:19], s[14:15], -1
	s_and_b64 s[22:23], s[18:19], vcc
	s_and_saveexec_b64 s[18:19], s[22:23]
	s_cbranch_execz .LBB64_623
; %bb.622:
	v_ashrrev_i32_e32 v143, 31, v142
	v_lshl_add_u64 v[148:149], v[142:143], 2, v[140:141]
	global_load_dword v143, v[148:149], off
	global_load_dword v145, v[140:141], off offset:116
	s_waitcnt vmcnt(1)
	global_store_dword v[140:141], v143, off offset:116
	s_waitcnt vmcnt(1)
	global_store_dword v[148:149], v145, off
.LBB64_623:
	s_or_b64 exec, exec, s[18:19]
	v_mov_b32_e32 v145, v142
	v_mov_b32_e32 v147, v142
.LBB64_624:
	s_or_b64 exec, exec, s[16:17]
.LBB64_625:
	s_andn2_saveexec_b64 s[0:1], s[0:1]
	s_cbranch_execz .LBB64_627
; %bb.626:
	v_mov_b32_e32 v145, 29
	s_waitcnt vmcnt(2)
	ds_write2_b64 v144, v[4:5], v[6:7] offset0:60 offset1:61
	s_waitcnt vmcnt(1)
	ds_write2_b64 v144, v[0:1], v[2:3] offset0:62 offset1:63
	;; [unrolled: 2-line block ×3, first 2 shown]
.LBB64_627:
	s_or_b64 exec, exec, s[0:1]
	v_cmp_lt_i32_e32 vcc, 29, v145
	s_waitcnt lgkmcnt(0)
	s_barrier
	s_and_saveexec_b64 s[0:1], vcc
	s_cbranch_execz .LBB64_629
; %bb.628:
	ds_read2_b64 v[148:151], v144 offset0:60 offset1:61
	v_mul_f64 v[142:143], v[132:133], v[10:11]
	v_fmac_f64_e32 v[142:143], v[134:135], v[8:9]
	v_mul_f64 v[10:11], v[134:135], v[10:11]
	v_fma_f64 v[8:9], v[132:133], v[8:9], -v[10:11]
	ds_read2_b64 v[132:135], v144 offset0:62 offset1:63
	s_waitcnt lgkmcnt(1)
	v_mul_f64 v[10:11], v[150:151], v[142:143]
	v_fma_f64 v[10:11], v[148:149], v[8:9], -v[10:11]
	v_mul_f64 v[148:149], v[148:149], v[142:143]
	v_fmac_f64_e32 v[148:149], v[150:151], v[8:9]
	s_waitcnt vmcnt(2)
	v_add_f64 v[6:7], v[6:7], -v[148:149]
	ds_read2_b64 v[148:151], v144 offset0:64 offset1:65
	v_add_f64 v[4:5], v[4:5], -v[10:11]
	s_waitcnt lgkmcnt(1)
	v_mul_f64 v[10:11], v[134:135], v[142:143]
	v_fma_f64 v[10:11], v[132:133], v[8:9], -v[10:11]
	v_mul_f64 v[132:133], v[132:133], v[142:143]
	v_fmac_f64_e32 v[132:133], v[134:135], v[8:9]
	s_waitcnt vmcnt(1)
	v_add_f64 v[0:1], v[0:1], -v[10:11]
	v_add_f64 v[2:3], v[2:3], -v[132:133]
	s_waitcnt lgkmcnt(0)
	v_mul_f64 v[10:11], v[150:151], v[142:143]
	v_mul_f64 v[132:133], v[148:149], v[142:143]
	v_fma_f64 v[10:11], v[148:149], v[8:9], -v[10:11]
	v_fmac_f64_e32 v[132:133], v[150:151], v[8:9]
	s_waitcnt vmcnt(0)
	v_add_f64 v[128:129], v[128:129], -v[10:11]
	v_add_f64 v[130:131], v[130:131], -v[132:133]
	v_mov_b64_e32 v[10:11], v[142:143]
.LBB64_629:
	s_or_b64 exec, exec, s[0:1]
	v_lshl_add_u32 v132, v145, 4, v144
	s_barrier
	s_waitcnt vmcnt(2)
	ds_write2_b64 v132, v[4:5], v[6:7] offset1:1
	s_waitcnt lgkmcnt(0)
	s_barrier
	ds_read2_b64 v[132:135], v144 offset0:60 offset1:61
	s_cmp_lt_i32 s20, 32
	v_mov_b32_e32 v142, 30
	s_cbranch_scc1 .LBB64_632
; %bb.630:
	v_add_u32_e32 v143, 0x1f0, v144
	s_mov_b32 s16, 31
	v_mov_b32_e32 v142, 30
.LBB64_631:                             ; =>This Inner Loop Header: Depth=1
	ds_read2_b64 v[148:151], v143 offset1:1
	s_waitcnt lgkmcnt(1)
	v_xor_b32_e32 v153, 0x80000000, v133
	v_xor_b32_e32 v155, 0x80000000, v135
	v_cmp_gt_f64_e32 vcc, 0, v[134:135]
	v_cmp_gt_f64_e64 s[0:1], 0, v[132:133]
	v_mov_b32_e32 v152, v132
	v_mov_b32_e32 v154, v134
	v_cndmask_b32_e64 v153, v133, v153, s[0:1]
	v_cndmask_b32_e32 v155, v135, v155, vcc
	v_add_f64 v[152:153], v[152:153], v[154:155]
	s_waitcnt lgkmcnt(0)
	v_xor_b32_e32 v155, 0x80000000, v149
	v_xor_b32_e32 v157, 0x80000000, v151
	v_cmp_gt_f64_e32 vcc, 0, v[150:151]
	v_cmp_gt_f64_e64 s[0:1], 0, v[148:149]
	v_mov_b32_e32 v154, v148
	v_mov_b32_e32 v156, v150
	v_cndmask_b32_e64 v155, v149, v155, s[0:1]
	v_cndmask_b32_e32 v157, v151, v157, vcc
	v_add_f64 v[154:155], v[154:155], v[156:157]
	v_mov_b32_e32 v158, s16
	s_add_i32 s16, s16, 1
	v_cmp_lt_f64_e32 vcc, v[152:153], v[154:155]
	v_add_u32_e32 v143, 16, v143
	s_cmp_lg_u32 s20, s16
	v_cndmask_b32_e32 v133, v133, v149, vcc
	v_cndmask_b32_e32 v132, v132, v148, vcc
	;; [unrolled: 1-line block ×5, first 2 shown]
	s_cbranch_scc1 .LBB64_631
.LBB64_632:
	s_waitcnt lgkmcnt(0)
	v_cmp_eq_f64_e32 vcc, 0, v[132:133]
	v_cmp_eq_f64_e64 s[0:1], 0, v[134:135]
	s_and_b64 s[0:1], vcc, s[0:1]
	s_and_saveexec_b64 s[16:17], s[0:1]
	s_xor_b64 s[0:1], exec, s[16:17]
; %bb.633:
	v_cmp_ne_u32_e32 vcc, 0, v146
	s_nop 1
	v_cndmask_b32_e32 v146, 31, v146, vcc
; %bb.634:
	s_andn2_saveexec_b64 s[0:1], s[0:1]
	s_cbranch_execz .LBB64_640
; %bb.635:
	v_cmp_ngt_f64_e64 s[16:17], |v[132:133]|, |v[134:135]|
	s_and_saveexec_b64 s[18:19], s[16:17]
	s_xor_b64 s[16:17], exec, s[18:19]
	s_cbranch_execz .LBB64_637
; %bb.636:
	v_div_scale_f64 v[148:149], s[18:19], v[134:135], v[134:135], v[132:133]
	v_rcp_f64_e32 v[150:151], v[148:149]
	v_div_scale_f64 v[152:153], vcc, v[132:133], v[134:135], v[132:133]
	v_fma_f64 v[154:155], -v[148:149], v[150:151], 1.0
	v_fmac_f64_e32 v[150:151], v[150:151], v[154:155]
	v_fma_f64 v[154:155], -v[148:149], v[150:151], 1.0
	v_fmac_f64_e32 v[150:151], v[150:151], v[154:155]
	v_mul_f64 v[154:155], v[152:153], v[150:151]
	v_fma_f64 v[148:149], -v[148:149], v[154:155], v[152:153]
	v_div_fmas_f64 v[148:149], v[148:149], v[150:151], v[154:155]
	v_div_fixup_f64 v[148:149], v[148:149], v[134:135], v[132:133]
	v_fmac_f64_e32 v[134:135], v[132:133], v[148:149]
	v_div_scale_f64 v[132:133], s[18:19], v[134:135], v[134:135], 1.0
	v_rcp_f64_e32 v[150:151], v[132:133]
	s_nop 0
	v_fma_f64 v[152:153], -v[132:133], v[150:151], 1.0
	v_fmac_f64_e32 v[150:151], v[150:151], v[152:153]
	v_fma_f64 v[152:153], -v[132:133], v[150:151], 1.0
	v_fmac_f64_e32 v[150:151], v[150:151], v[152:153]
	v_div_scale_f64 v[152:153], vcc, 1.0, v[134:135], 1.0
	v_mul_f64 v[154:155], v[152:153], v[150:151]
	v_fma_f64 v[132:133], -v[132:133], v[154:155], v[152:153]
	s_nop 1
	v_div_fmas_f64 v[132:133], v[132:133], v[150:151], v[154:155]
	v_div_fixup_f64 v[134:135], v[132:133], v[134:135], 1.0
	v_mul_f64 v[132:133], v[148:149], v[134:135]
	v_xor_b32_e32 v135, 0x80000000, v135
.LBB64_637:
	s_andn2_saveexec_b64 s[16:17], s[16:17]
	s_cbranch_execz .LBB64_639
; %bb.638:
	v_div_scale_f64 v[148:149], s[18:19], v[132:133], v[132:133], v[134:135]
	v_rcp_f64_e32 v[150:151], v[148:149]
	v_div_scale_f64 v[152:153], vcc, v[134:135], v[132:133], v[134:135]
	v_fma_f64 v[154:155], -v[148:149], v[150:151], 1.0
	v_fmac_f64_e32 v[150:151], v[150:151], v[154:155]
	v_fma_f64 v[154:155], -v[148:149], v[150:151], 1.0
	v_fmac_f64_e32 v[150:151], v[150:151], v[154:155]
	v_mul_f64 v[154:155], v[152:153], v[150:151]
	v_fma_f64 v[148:149], -v[148:149], v[154:155], v[152:153]
	v_div_fmas_f64 v[148:149], v[148:149], v[150:151], v[154:155]
	v_div_fixup_f64 v[148:149], v[148:149], v[132:133], v[134:135]
	v_fmac_f64_e32 v[132:133], v[134:135], v[148:149]
	v_div_scale_f64 v[134:135], s[18:19], v[132:133], v[132:133], 1.0
	v_rcp_f64_e32 v[150:151], v[134:135]
	s_nop 0
	v_fma_f64 v[152:153], -v[134:135], v[150:151], 1.0
	v_fmac_f64_e32 v[150:151], v[150:151], v[152:153]
	v_fma_f64 v[152:153], -v[134:135], v[150:151], 1.0
	v_fmac_f64_e32 v[150:151], v[150:151], v[152:153]
	v_div_scale_f64 v[152:153], vcc, 1.0, v[132:133], 1.0
	v_mul_f64 v[154:155], v[152:153], v[150:151]
	v_fma_f64 v[134:135], -v[134:135], v[154:155], v[152:153]
	s_nop 1
	v_div_fmas_f64 v[134:135], v[134:135], v[150:151], v[154:155]
	v_div_fixup_f64 v[132:133], v[134:135], v[132:133], 1.0
	v_mul_f64 v[134:135], v[148:149], -v[132:133]
.LBB64_639:
	s_or_b64 exec, exec, s[16:17]
.LBB64_640:
	s_or_b64 exec, exec, s[0:1]
	v_cmp_ne_u32_e32 vcc, v145, v142
	s_and_saveexec_b64 s[0:1], vcc
	s_xor_b64 s[0:1], exec, s[0:1]
	s_cbranch_execz .LBB64_646
; %bb.641:
	v_cmp_eq_u32_e32 vcc, 30, v145
	s_and_saveexec_b64 s[16:17], vcc
	s_cbranch_execz .LBB64_645
; %bb.642:
	v_cmp_ne_u32_e32 vcc, 30, v142
	s_xor_b64 s[18:19], s[14:15], -1
	s_and_b64 s[22:23], s[18:19], vcc
	s_and_saveexec_b64 s[18:19], s[22:23]
	s_cbranch_execz .LBB64_644
; %bb.643:
	v_ashrrev_i32_e32 v143, 31, v142
	v_lshl_add_u64 v[148:149], v[142:143], 2, v[140:141]
	global_load_dword v143, v[148:149], off
	global_load_dword v145, v[140:141], off offset:120
	s_waitcnt vmcnt(1)
	global_store_dword v[140:141], v143, off offset:120
	s_waitcnt vmcnt(1)
	global_store_dword v[148:149], v145, off
.LBB64_644:
	s_or_b64 exec, exec, s[18:19]
	v_mov_b32_e32 v145, v142
	v_mov_b32_e32 v147, v142
.LBB64_645:
	s_or_b64 exec, exec, s[16:17]
.LBB64_646:
	s_andn2_saveexec_b64 s[0:1], s[0:1]
	s_cbranch_execz .LBB64_648
; %bb.647:
	v_mov_b32_e32 v145, 30
	s_waitcnt vmcnt(1)
	ds_write2_b64 v144, v[0:1], v[2:3] offset0:62 offset1:63
	s_waitcnt vmcnt(0)
	ds_write2_b64 v144, v[128:129], v[130:131] offset0:64 offset1:65
.LBB64_648:
	s_or_b64 exec, exec, s[0:1]
	v_cmp_lt_i32_e32 vcc, 30, v145
	s_waitcnt lgkmcnt(0)
	s_barrier
	s_and_saveexec_b64 s[0:1], vcc
	s_cbranch_execz .LBB64_650
; %bb.649:
	ds_read2_b64 v[148:151], v144 offset0:62 offset1:63
	v_mul_f64 v[142:143], v[132:133], v[6:7]
	v_mul_f64 v[6:7], v[134:135], v[6:7]
	v_fmac_f64_e32 v[142:143], v[134:135], v[4:5]
	v_fma_f64 v[4:5], v[132:133], v[4:5], -v[6:7]
	ds_read2_b64 v[132:135], v144 offset0:64 offset1:65
	s_waitcnt lgkmcnt(1)
	v_mul_f64 v[6:7], v[150:151], v[142:143]
	v_fma_f64 v[6:7], v[148:149], v[4:5], -v[6:7]
	s_waitcnt vmcnt(1)
	v_add_f64 v[0:1], v[0:1], -v[6:7]
	v_mul_f64 v[148:149], v[148:149], v[142:143]
	s_waitcnt lgkmcnt(0)
	v_mul_f64 v[6:7], v[134:135], v[142:143]
	v_fma_f64 v[6:7], v[132:133], v[4:5], -v[6:7]
	v_mul_f64 v[132:133], v[132:133], v[142:143]
	v_fmac_f64_e32 v[148:149], v[150:151], v[4:5]
	v_fmac_f64_e32 v[132:133], v[134:135], v[4:5]
	v_add_f64 v[2:3], v[2:3], -v[148:149]
	s_waitcnt vmcnt(0)
	v_add_f64 v[128:129], v[128:129], -v[6:7]
	v_add_f64 v[130:131], v[130:131], -v[132:133]
	v_mov_b64_e32 v[6:7], v[142:143]
.LBB64_650:
	s_or_b64 exec, exec, s[0:1]
	v_lshl_add_u32 v132, v145, 4, v144
	s_barrier
	s_waitcnt vmcnt(1)
	ds_write2_b64 v132, v[0:1], v[2:3] offset1:1
	s_waitcnt lgkmcnt(0)
	s_barrier
	ds_read2_b64 v[132:135], v144 offset0:62 offset1:63
	s_cmp_lt_i32 s20, 33
	v_mov_b32_e32 v142, 31
	s_cbranch_scc1 .LBB64_653
; %bb.651:
	v_add_u32_e32 v143, 0x200, v144
	s_mov_b32 s16, 32
	v_mov_b32_e32 v142, 31
.LBB64_652:                             ; =>This Inner Loop Header: Depth=1
	ds_read2_b64 v[148:151], v143 offset1:1
	s_waitcnt lgkmcnt(1)
	v_xor_b32_e32 v153, 0x80000000, v133
	v_xor_b32_e32 v155, 0x80000000, v135
	v_cmp_gt_f64_e32 vcc, 0, v[134:135]
	v_cmp_gt_f64_e64 s[0:1], 0, v[132:133]
	v_mov_b32_e32 v152, v132
	v_mov_b32_e32 v154, v134
	v_cndmask_b32_e64 v153, v133, v153, s[0:1]
	v_cndmask_b32_e32 v155, v135, v155, vcc
	v_add_f64 v[152:153], v[152:153], v[154:155]
	s_waitcnt lgkmcnt(0)
	v_xor_b32_e32 v155, 0x80000000, v149
	v_xor_b32_e32 v157, 0x80000000, v151
	v_cmp_gt_f64_e32 vcc, 0, v[150:151]
	v_cmp_gt_f64_e64 s[0:1], 0, v[148:149]
	v_mov_b32_e32 v154, v148
	v_mov_b32_e32 v156, v150
	v_cndmask_b32_e64 v155, v149, v155, s[0:1]
	v_cndmask_b32_e32 v157, v151, v157, vcc
	v_add_f64 v[154:155], v[154:155], v[156:157]
	v_mov_b32_e32 v158, s16
	s_add_i32 s16, s16, 1
	v_cmp_lt_f64_e32 vcc, v[152:153], v[154:155]
	v_add_u32_e32 v143, 16, v143
	s_cmp_lg_u32 s20, s16
	v_cndmask_b32_e32 v133, v133, v149, vcc
	v_cndmask_b32_e32 v132, v132, v148, vcc
	;; [unrolled: 1-line block ×5, first 2 shown]
	s_cbranch_scc1 .LBB64_652
.LBB64_653:
	s_waitcnt lgkmcnt(0)
	v_cmp_eq_f64_e32 vcc, 0, v[132:133]
	v_cmp_eq_f64_e64 s[0:1], 0, v[134:135]
	s_and_b64 s[0:1], vcc, s[0:1]
	s_and_saveexec_b64 s[16:17], s[0:1]
	s_xor_b64 s[0:1], exec, s[16:17]
; %bb.654:
	v_cmp_ne_u32_e32 vcc, 0, v146
	s_nop 1
	v_cndmask_b32_e32 v146, 32, v146, vcc
; %bb.655:
	s_andn2_saveexec_b64 s[0:1], s[0:1]
	s_cbranch_execz .LBB64_661
; %bb.656:
	v_cmp_ngt_f64_e64 s[16:17], |v[132:133]|, |v[134:135]|
	s_and_saveexec_b64 s[18:19], s[16:17]
	s_xor_b64 s[16:17], exec, s[18:19]
	s_cbranch_execz .LBB64_658
; %bb.657:
	v_div_scale_f64 v[148:149], s[18:19], v[134:135], v[134:135], v[132:133]
	v_rcp_f64_e32 v[150:151], v[148:149]
	v_div_scale_f64 v[152:153], vcc, v[132:133], v[134:135], v[132:133]
	v_fma_f64 v[154:155], -v[148:149], v[150:151], 1.0
	v_fmac_f64_e32 v[150:151], v[150:151], v[154:155]
	v_fma_f64 v[154:155], -v[148:149], v[150:151], 1.0
	v_fmac_f64_e32 v[150:151], v[150:151], v[154:155]
	v_mul_f64 v[154:155], v[152:153], v[150:151]
	v_fma_f64 v[148:149], -v[148:149], v[154:155], v[152:153]
	v_div_fmas_f64 v[148:149], v[148:149], v[150:151], v[154:155]
	v_div_fixup_f64 v[148:149], v[148:149], v[134:135], v[132:133]
	v_fmac_f64_e32 v[134:135], v[132:133], v[148:149]
	v_div_scale_f64 v[132:133], s[18:19], v[134:135], v[134:135], 1.0
	v_rcp_f64_e32 v[150:151], v[132:133]
	s_nop 0
	v_fma_f64 v[152:153], -v[132:133], v[150:151], 1.0
	v_fmac_f64_e32 v[150:151], v[150:151], v[152:153]
	v_fma_f64 v[152:153], -v[132:133], v[150:151], 1.0
	v_fmac_f64_e32 v[150:151], v[150:151], v[152:153]
	v_div_scale_f64 v[152:153], vcc, 1.0, v[134:135], 1.0
	v_mul_f64 v[154:155], v[152:153], v[150:151]
	v_fma_f64 v[132:133], -v[132:133], v[154:155], v[152:153]
	s_nop 1
	v_div_fmas_f64 v[132:133], v[132:133], v[150:151], v[154:155]
	v_div_fixup_f64 v[134:135], v[132:133], v[134:135], 1.0
	v_mul_f64 v[132:133], v[148:149], v[134:135]
	v_xor_b32_e32 v135, 0x80000000, v135
.LBB64_658:
	s_andn2_saveexec_b64 s[16:17], s[16:17]
	s_cbranch_execz .LBB64_660
; %bb.659:
	v_div_scale_f64 v[148:149], s[18:19], v[132:133], v[132:133], v[134:135]
	v_rcp_f64_e32 v[150:151], v[148:149]
	v_div_scale_f64 v[152:153], vcc, v[134:135], v[132:133], v[134:135]
	v_fma_f64 v[154:155], -v[148:149], v[150:151], 1.0
	v_fmac_f64_e32 v[150:151], v[150:151], v[154:155]
	v_fma_f64 v[154:155], -v[148:149], v[150:151], 1.0
	v_fmac_f64_e32 v[150:151], v[150:151], v[154:155]
	v_mul_f64 v[154:155], v[152:153], v[150:151]
	v_fma_f64 v[148:149], -v[148:149], v[154:155], v[152:153]
	v_div_fmas_f64 v[148:149], v[148:149], v[150:151], v[154:155]
	v_div_fixup_f64 v[148:149], v[148:149], v[132:133], v[134:135]
	v_fmac_f64_e32 v[132:133], v[134:135], v[148:149]
	v_div_scale_f64 v[134:135], s[18:19], v[132:133], v[132:133], 1.0
	v_rcp_f64_e32 v[150:151], v[134:135]
	s_nop 0
	v_fma_f64 v[152:153], -v[134:135], v[150:151], 1.0
	v_fmac_f64_e32 v[150:151], v[150:151], v[152:153]
	v_fma_f64 v[152:153], -v[134:135], v[150:151], 1.0
	v_fmac_f64_e32 v[150:151], v[150:151], v[152:153]
	v_div_scale_f64 v[152:153], vcc, 1.0, v[132:133], 1.0
	v_mul_f64 v[154:155], v[152:153], v[150:151]
	v_fma_f64 v[134:135], -v[134:135], v[154:155], v[152:153]
	s_nop 1
	v_div_fmas_f64 v[134:135], v[134:135], v[150:151], v[154:155]
	v_div_fixup_f64 v[132:133], v[134:135], v[132:133], 1.0
	v_mul_f64 v[134:135], v[148:149], -v[132:133]
.LBB64_660:
	s_or_b64 exec, exec, s[16:17]
.LBB64_661:
	s_or_b64 exec, exec, s[0:1]
	v_cmp_ne_u32_e32 vcc, v145, v142
	s_and_saveexec_b64 s[0:1], vcc
	s_xor_b64 s[0:1], exec, s[0:1]
	s_cbranch_execz .LBB64_667
; %bb.662:
	v_cmp_eq_u32_e32 vcc, 31, v145
	s_and_saveexec_b64 s[16:17], vcc
	s_cbranch_execz .LBB64_666
; %bb.663:
	v_cmp_ne_u32_e32 vcc, 31, v142
	s_xor_b64 s[18:19], s[14:15], -1
	s_and_b64 s[22:23], s[18:19], vcc
	s_and_saveexec_b64 s[18:19], s[22:23]
	s_cbranch_execz .LBB64_665
; %bb.664:
	v_ashrrev_i32_e32 v143, 31, v142
	v_lshl_add_u64 v[148:149], v[142:143], 2, v[140:141]
	global_load_dword v143, v[148:149], off
	global_load_dword v145, v[140:141], off offset:124
	s_waitcnt vmcnt(1)
	global_store_dword v[140:141], v143, off offset:124
	s_waitcnt vmcnt(1)
	global_store_dword v[148:149], v145, off
.LBB64_665:
	s_or_b64 exec, exec, s[18:19]
	v_mov_b32_e32 v145, v142
	v_mov_b32_e32 v147, v142
.LBB64_666:
	s_or_b64 exec, exec, s[16:17]
.LBB64_667:
	s_andn2_saveexec_b64 s[0:1], s[0:1]
	s_cbranch_execz .LBB64_669
; %bb.668:
	v_mov_b32_e32 v145, 31
	s_waitcnt vmcnt(0)
	ds_write2_b64 v144, v[128:129], v[130:131] offset0:64 offset1:65
.LBB64_669:
	s_or_b64 exec, exec, s[0:1]
	v_cmp_lt_i32_e32 vcc, 31, v145
	s_waitcnt lgkmcnt(0)
	s_barrier
	s_and_saveexec_b64 s[0:1], vcc
	s_cbranch_execz .LBB64_671
; %bb.670:
	ds_read2_b64 v[148:151], v144 offset0:64 offset1:65
	v_mul_f64 v[142:143], v[132:133], v[2:3]
	v_mul_f64 v[2:3], v[134:135], v[2:3]
	v_fmac_f64_e32 v[142:143], v[134:135], v[0:1]
	v_fma_f64 v[0:1], v[132:133], v[0:1], -v[2:3]
	s_waitcnt lgkmcnt(0)
	v_mul_f64 v[2:3], v[150:151], v[142:143]
	v_mul_f64 v[132:133], v[148:149], v[142:143]
	v_fma_f64 v[2:3], v[148:149], v[0:1], -v[2:3]
	v_fmac_f64_e32 v[132:133], v[150:151], v[0:1]
	s_waitcnt vmcnt(0)
	v_add_f64 v[128:129], v[128:129], -v[2:3]
	v_add_f64 v[130:131], v[130:131], -v[132:133]
	v_mov_b64_e32 v[2:3], v[142:143]
.LBB64_671:
	s_or_b64 exec, exec, s[0:1]
	v_lshl_add_u32 v132, v145, 4, v144
	s_barrier
	s_waitcnt vmcnt(0)
	ds_write2_b64 v132, v[128:129], v[130:131] offset1:1
	s_waitcnt lgkmcnt(0)
	s_barrier
	ds_read2_b64 v[132:135], v144 offset0:64 offset1:65
	s_cmp_lt_i32 s20, 34
	v_mov_b32_e32 v142, 32
	s_cbranch_scc1 .LBB64_674
; %bb.672:
	v_add_u32_e32 v143, 0x210, v144
	s_mov_b32 s16, 33
	v_mov_b32_e32 v142, 32
.LBB64_673:                             ; =>This Inner Loop Header: Depth=1
	ds_read2_b64 v[148:151], v143 offset1:1
	s_waitcnt lgkmcnt(1)
	v_xor_b32_e32 v144, 0x80000000, v133
	v_xor_b32_e32 v155, 0x80000000, v135
	v_cmp_gt_f64_e32 vcc, 0, v[134:135]
	v_cmp_gt_f64_e64 s[0:1], 0, v[132:133]
	v_mov_b32_e32 v152, v132
	v_mov_b32_e32 v154, v134
	v_cndmask_b32_e64 v153, v133, v144, s[0:1]
	v_cndmask_b32_e32 v155, v135, v155, vcc
	s_waitcnt lgkmcnt(0)
	v_xor_b32_e32 v144, 0x80000000, v149
	v_xor_b32_e32 v157, 0x80000000, v151
	v_cmp_gt_f64_e32 vcc, 0, v[150:151]
	v_cmp_gt_f64_e64 s[0:1], 0, v[148:149]
	v_add_f64 v[152:153], v[152:153], v[154:155]
	v_mov_b32_e32 v154, v148
	v_mov_b32_e32 v156, v150
	v_cndmask_b32_e64 v155, v149, v144, s[0:1]
	v_cndmask_b32_e32 v157, v151, v157, vcc
	v_add_f64 v[154:155], v[154:155], v[156:157]
	v_mov_b32_e32 v158, s16
	s_add_i32 s16, s16, 1
	v_cmp_lt_f64_e32 vcc, v[152:153], v[154:155]
	v_add_u32_e32 v143, 16, v143
	s_cmp_lg_u32 s20, s16
	v_cndmask_b32_e32 v133, v133, v149, vcc
	v_cndmask_b32_e32 v132, v132, v148, vcc
	;; [unrolled: 1-line block ×5, first 2 shown]
	s_cbranch_scc1 .LBB64_673
.LBB64_674:
	s_waitcnt lgkmcnt(0)
	v_cmp_eq_f64_e32 vcc, 0, v[132:133]
	v_cmp_eq_f64_e64 s[0:1], 0, v[134:135]
	s_and_b64 s[0:1], vcc, s[0:1]
	s_and_saveexec_b64 s[16:17], s[0:1]
	s_xor_b64 s[0:1], exec, s[16:17]
; %bb.675:
	v_cmp_ne_u32_e32 vcc, 0, v146
	s_nop 1
	v_cndmask_b32_e32 v146, 33, v146, vcc
; %bb.676:
	s_andn2_saveexec_b64 s[0:1], s[0:1]
	s_cbranch_execz .LBB64_682
; %bb.677:
	v_cmp_ngt_f64_e64 s[16:17], |v[132:133]|, |v[134:135]|
	s_and_saveexec_b64 s[18:19], s[16:17]
	s_xor_b64 s[16:17], exec, s[18:19]
	s_cbranch_execz .LBB64_679
; %bb.678:
	v_div_scale_f64 v[148:149], s[18:19], v[134:135], v[134:135], v[132:133]
	v_rcp_f64_e32 v[150:151], v[148:149]
	v_div_scale_f64 v[152:153], vcc, v[132:133], v[134:135], v[132:133]
	v_fma_f64 v[154:155], -v[148:149], v[150:151], 1.0
	v_fmac_f64_e32 v[150:151], v[150:151], v[154:155]
	v_fma_f64 v[154:155], -v[148:149], v[150:151], 1.0
	v_fmac_f64_e32 v[150:151], v[150:151], v[154:155]
	v_mul_f64 v[154:155], v[152:153], v[150:151]
	v_fma_f64 v[148:149], -v[148:149], v[154:155], v[152:153]
	v_div_fmas_f64 v[148:149], v[148:149], v[150:151], v[154:155]
	v_div_fixup_f64 v[148:149], v[148:149], v[134:135], v[132:133]
	v_fmac_f64_e32 v[134:135], v[132:133], v[148:149]
	v_div_scale_f64 v[132:133], s[18:19], v[134:135], v[134:135], 1.0
	v_rcp_f64_e32 v[150:151], v[132:133]
	s_nop 0
	v_fma_f64 v[152:153], -v[132:133], v[150:151], 1.0
	v_fmac_f64_e32 v[150:151], v[150:151], v[152:153]
	v_fma_f64 v[152:153], -v[132:133], v[150:151], 1.0
	v_fmac_f64_e32 v[150:151], v[150:151], v[152:153]
	v_div_scale_f64 v[152:153], vcc, 1.0, v[134:135], 1.0
	v_mul_f64 v[154:155], v[152:153], v[150:151]
	v_fma_f64 v[132:133], -v[132:133], v[154:155], v[152:153]
	s_nop 1
	v_div_fmas_f64 v[132:133], v[132:133], v[150:151], v[154:155]
	v_div_fixup_f64 v[134:135], v[132:133], v[134:135], 1.0
	v_mul_f64 v[132:133], v[148:149], v[134:135]
	v_xor_b32_e32 v135, 0x80000000, v135
.LBB64_679:
	s_andn2_saveexec_b64 s[16:17], s[16:17]
	s_cbranch_execz .LBB64_681
; %bb.680:
	v_div_scale_f64 v[148:149], s[18:19], v[132:133], v[132:133], v[134:135]
	v_rcp_f64_e32 v[150:151], v[148:149]
	v_div_scale_f64 v[152:153], vcc, v[134:135], v[132:133], v[134:135]
	v_fma_f64 v[154:155], -v[148:149], v[150:151], 1.0
	v_fmac_f64_e32 v[150:151], v[150:151], v[154:155]
	v_fma_f64 v[154:155], -v[148:149], v[150:151], 1.0
	v_fmac_f64_e32 v[150:151], v[150:151], v[154:155]
	v_mul_f64 v[154:155], v[152:153], v[150:151]
	v_fma_f64 v[148:149], -v[148:149], v[154:155], v[152:153]
	v_div_fmas_f64 v[148:149], v[148:149], v[150:151], v[154:155]
	v_div_fixup_f64 v[148:149], v[148:149], v[132:133], v[134:135]
	v_fmac_f64_e32 v[132:133], v[134:135], v[148:149]
	v_div_scale_f64 v[134:135], s[18:19], v[132:133], v[132:133], 1.0
	v_rcp_f64_e32 v[150:151], v[134:135]
	s_nop 0
	v_fma_f64 v[152:153], -v[134:135], v[150:151], 1.0
	v_fmac_f64_e32 v[150:151], v[150:151], v[152:153]
	v_fma_f64 v[152:153], -v[134:135], v[150:151], 1.0
	v_fmac_f64_e32 v[150:151], v[150:151], v[152:153]
	v_div_scale_f64 v[152:153], vcc, 1.0, v[132:133], 1.0
	v_mul_f64 v[154:155], v[152:153], v[150:151]
	v_fma_f64 v[134:135], -v[134:135], v[154:155], v[152:153]
	s_nop 1
	v_div_fmas_f64 v[134:135], v[134:135], v[150:151], v[154:155]
	v_div_fixup_f64 v[132:133], v[134:135], v[132:133], 1.0
	v_mul_f64 v[134:135], v[148:149], -v[132:133]
.LBB64_681:
	s_or_b64 exec, exec, s[16:17]
.LBB64_682:
	s_or_b64 exec, exec, s[0:1]
	v_cmp_ne_u32_e32 vcc, v145, v142
	v_mov_b32_e32 v144, 32
	s_and_saveexec_b64 s[0:1], vcc
	s_cbranch_execz .LBB64_688
; %bb.683:
	v_cmp_eq_u32_e32 vcc, 32, v145
	s_and_saveexec_b64 s[16:17], vcc
	s_cbranch_execz .LBB64_687
; %bb.684:
	v_cmp_ne_u32_e32 vcc, 32, v142
	s_xor_b64 s[14:15], s[14:15], -1
	s_and_b64 s[18:19], s[14:15], vcc
	s_and_saveexec_b64 s[14:15], s[18:19]
	s_cbranch_execz .LBB64_686
; %bb.685:
	v_ashrrev_i32_e32 v143, 31, v142
	v_lshl_add_u64 v[144:145], v[142:143], 2, v[140:141]
	global_load_dword v143, v[144:145], off
	global_load_dword v147, v[140:141], off offset:128
	s_waitcnt vmcnt(1)
	global_store_dword v[140:141], v143, off offset:128
	s_waitcnt vmcnt(1)
	global_store_dword v[144:145], v147, off
.LBB64_686:
	s_or_b64 exec, exec, s[14:15]
	v_mov_b32_e32 v145, v142
	v_mov_b32_e32 v147, v142
.LBB64_687:
	s_or_b64 exec, exec, s[16:17]
	v_mov_b32_e32 v144, v145
.LBB64_688:
	s_or_b64 exec, exec, s[0:1]
	v_cmp_gt_i32_e32 vcc, 33, v144
	v_ashrrev_i32_e32 v145, 31, v144
	s_barrier
	s_barrier
	s_and_saveexec_b64 s[0:1], vcc
	s_cbranch_execz .LBB64_690
; %bb.689:
	v_mov_b32_e32 v140, s6
	v_mov_b32_e32 v141, s7
	v_mul_lo_u32 v148, s11, v138
	v_mul_lo_u32 v149, s10, v139
	v_mad_u64_u32 v[142:143], s[6:7], s10, v138, 0
	v_add3_u32 v143, v143, v149, v148
	v_lshl_add_u64 v[140:141], v[142:143], 2, v[140:141]
	v_lshl_add_u64 v[140:141], s[8:9], 2, v[140:141]
	;; [unrolled: 1-line block ×3, first 2 shown]
	v_add3_u32 v142, v147, s13, 1
	global_store_dword v[140:141], v142, off
.LBB64_690:
	s_or_b64 exec, exec, s[0:1]
	v_cmp_eq_u32_e32 vcc, 0, v144
	s_and_saveexec_b64 s[6:7], vcc
	s_cbranch_execz .LBB64_693
; %bb.691:
	v_mov_b32_e32 v140, s4
	v_mov_b32_e32 v141, s5
	v_lshl_add_u64 v[138:139], v[138:139], 2, v[140:141]
	global_load_dword v140, v[138:139], off
	v_cmp_ne_u32_e64 s[0:1], 0, v146
	s_waitcnt vmcnt(0)
	v_cmp_eq_u32_e32 vcc, 0, v140
	s_and_b64 s[0:1], vcc, s[0:1]
	s_and_b64 exec, exec, s[0:1]
	s_cbranch_execz .LBB64_693
; %bb.692:
	v_add_u32_e32 v140, s13, v146
	global_store_dword v[138:139], v140, off
.LBB64_693:
	s_or_b64 exec, exec, s[6:7]
	v_mul_f64 v[138:139], v[134:135], v[130:131]
	v_fma_f64 v[138:139], v[132:133], v[128:129], -v[138:139]
	v_mul_f64 v[132:133], v[132:133], v[130:131]
	v_fmac_f64_e32 v[132:133], v[134:135], v[128:129]
	v_cmp_lt_i32_e32 vcc, 32, v144
	s_nop 1
	v_cndmask_b32_e32 v131, v131, v133, vcc
	v_cndmask_b32_e32 v130, v130, v132, vcc
	v_lshl_add_u64 v[132:133], v[144:145], 4, v[136:137]
	global_store_dwordx4 v[132:133], v[92:95], off
	v_cndmask_b32_e32 v129, v129, v139, vcc
	v_cndmask_b32_e32 v128, v128, v138, vcc
	v_lshl_add_u64 v[92:93], s[2:3], 4, v[132:133]
	global_store_dwordx4 v[92:93], v[84:87], off
	s_nop 1
	v_add_u32_e32 v84, s12, v144
	v_ashrrev_i32_e32 v85, 31, v84
	v_lshl_add_u64 v[86:87], v[84:85], 4, v[136:137]
	v_add_u32_e32 v84, s2, v84
	v_ashrrev_i32_e32 v85, 31, v84
	global_store_dwordx4 v[86:87], v[124:127], off
	v_lshl_add_u64 v[86:87], v[84:85], 4, v[136:137]
	v_add_u32_e32 v84, s2, v84
	v_ashrrev_i32_e32 v85, 31, v84
	global_store_dwordx4 v[86:87], v[120:123], off
	v_lshl_add_u64 v[86:87], v[84:85], 4, v[136:137]
	v_add_u32_e32 v84, s2, v84
	v_ashrrev_i32_e32 v85, 31, v84
	global_store_dwordx4 v[86:87], v[116:119], off
	v_lshl_add_u64 v[86:87], v[84:85], 4, v[136:137]
	v_add_u32_e32 v84, s2, v84
	v_ashrrev_i32_e32 v85, 31, v84
	global_store_dwordx4 v[86:87], v[112:115], off
	v_lshl_add_u64 v[86:87], v[84:85], 4, v[136:137]
	v_add_u32_e32 v84, s2, v84
	v_ashrrev_i32_e32 v85, 31, v84
	global_store_dwordx4 v[86:87], v[108:111], off
	v_lshl_add_u64 v[86:87], v[84:85], 4, v[136:137]
	v_add_u32_e32 v84, s2, v84
	v_ashrrev_i32_e32 v85, 31, v84
	global_store_dwordx4 v[86:87], v[104:107], off
	v_lshl_add_u64 v[86:87], v[84:85], 4, v[136:137]
	v_add_u32_e32 v84, s2, v84
	v_ashrrev_i32_e32 v85, 31, v84
	global_store_dwordx4 v[86:87], v[100:103], off
	v_lshl_add_u64 v[86:87], v[84:85], 4, v[136:137]
	v_add_u32_e32 v84, s2, v84
	v_ashrrev_i32_e32 v85, 31, v84
	global_store_dwordx4 v[86:87], v[96:99], off
	v_lshl_add_u64 v[86:87], v[84:85], 4, v[136:137]
	v_add_u32_e32 v84, s2, v84
	v_ashrrev_i32_e32 v85, 31, v84
	global_store_dwordx4 v[86:87], v[88:91], off
	v_lshl_add_u64 v[86:87], v[84:85], 4, v[136:137]
	global_store_dwordx4 v[86:87], v[80:83], off
	s_nop 1
	v_add_u32_e32 v80, s2, v84
	v_ashrrev_i32_e32 v81, 31, v80
	v_lshl_add_u64 v[82:83], v[80:81], 4, v[136:137]
	global_store_dwordx4 v[82:83], v[76:79], off
	s_nop 1
	v_add_u32_e32 v76, s2, v80
	v_ashrrev_i32_e32 v77, 31, v76
	v_lshl_add_u64 v[78:79], v[76:77], 4, v[136:137]
	global_store_dwordx4 v[78:79], v[68:71], off
	s_nop 1
	v_add_u32_e32 v68, s2, v76
	v_ashrrev_i32_e32 v69, 31, v68
	v_lshl_add_u64 v[70:71], v[68:69], 4, v[136:137]
	v_add_u32_e32 v68, s2, v68
	v_ashrrev_i32_e32 v69, 31, v68
	global_store_dwordx4 v[70:71], v[72:75], off
	v_lshl_add_u64 v[70:71], v[68:69], 4, v[136:137]
	global_store_dwordx4 v[70:71], v[64:67], off
	s_nop 1
	v_add_u32_e32 v64, s2, v68
	v_ashrrev_i32_e32 v65, 31, v64
	v_lshl_add_u64 v[66:67], v[64:65], 4, v[136:137]
	global_store_dwordx4 v[66:67], v[60:63], off
	s_nop 1
	v_add_u32_e32 v60, s2, v64
	v_ashrrev_i32_e32 v61, 31, v60
	;; [unrolled: 5-line block ×17, first 2 shown]
	v_lshl_add_u64 v[0:1], v[0:1], 4, v[136:137]
	global_store_dwordx4 v[0:1], v[128:131], off
.LBB64_694:
	s_endpgm
	.section	.rodata,"a",@progbits
	.p2align	6, 0x0
	.amdhsa_kernel _ZN9rocsolver6v33100L18getf2_small_kernelILi33E19rocblas_complex_numIdEiiPS3_EEvT1_T3_lS5_lPS5_llPT2_S5_S5_S7_l
		.amdhsa_group_segment_fixed_size 0
		.amdhsa_private_segment_fixed_size 0
		.amdhsa_kernarg_size 352
		.amdhsa_user_sgpr_count 2
		.amdhsa_user_sgpr_dispatch_ptr 0
		.amdhsa_user_sgpr_queue_ptr 0
		.amdhsa_user_sgpr_kernarg_segment_ptr 1
		.amdhsa_user_sgpr_dispatch_id 0
		.amdhsa_user_sgpr_kernarg_preload_length 0
		.amdhsa_user_sgpr_kernarg_preload_offset 0
		.amdhsa_user_sgpr_private_segment_size 0
		.amdhsa_uses_dynamic_stack 0
		.amdhsa_enable_private_segment 0
		.amdhsa_system_sgpr_workgroup_id_x 1
		.amdhsa_system_sgpr_workgroup_id_y 1
		.amdhsa_system_sgpr_workgroup_id_z 0
		.amdhsa_system_sgpr_workgroup_info 0
		.amdhsa_system_vgpr_workitem_id 1
		.amdhsa_next_free_vgpr 166
		.amdhsa_next_free_sgpr 24
		.amdhsa_accum_offset 168
		.amdhsa_reserve_vcc 1
		.amdhsa_float_round_mode_32 0
		.amdhsa_float_round_mode_16_64 0
		.amdhsa_float_denorm_mode_32 3
		.amdhsa_float_denorm_mode_16_64 3
		.amdhsa_dx10_clamp 1
		.amdhsa_ieee_mode 1
		.amdhsa_fp16_overflow 0
		.amdhsa_tg_split 0
		.amdhsa_exception_fp_ieee_invalid_op 0
		.amdhsa_exception_fp_denorm_src 0
		.amdhsa_exception_fp_ieee_div_zero 0
		.amdhsa_exception_fp_ieee_overflow 0
		.amdhsa_exception_fp_ieee_underflow 0
		.amdhsa_exception_fp_ieee_inexact 0
		.amdhsa_exception_int_div_zero 0
	.end_amdhsa_kernel
	.section	.text._ZN9rocsolver6v33100L18getf2_small_kernelILi33E19rocblas_complex_numIdEiiPS3_EEvT1_T3_lS5_lPS5_llPT2_S5_S5_S7_l,"axG",@progbits,_ZN9rocsolver6v33100L18getf2_small_kernelILi33E19rocblas_complex_numIdEiiPS3_EEvT1_T3_lS5_lPS5_llPT2_S5_S5_S7_l,comdat
.Lfunc_end64:
	.size	_ZN9rocsolver6v33100L18getf2_small_kernelILi33E19rocblas_complex_numIdEiiPS3_EEvT1_T3_lS5_lPS5_llPT2_S5_S5_S7_l, .Lfunc_end64-_ZN9rocsolver6v33100L18getf2_small_kernelILi33E19rocblas_complex_numIdEiiPS3_EEvT1_T3_lS5_lPS5_llPT2_S5_S5_S7_l
                                        ; -- End function
	.set _ZN9rocsolver6v33100L18getf2_small_kernelILi33E19rocblas_complex_numIdEiiPS3_EEvT1_T3_lS5_lPS5_llPT2_S5_S5_S7_l.num_vgpr, 166
	.set _ZN9rocsolver6v33100L18getf2_small_kernelILi33E19rocblas_complex_numIdEiiPS3_EEvT1_T3_lS5_lPS5_llPT2_S5_S5_S7_l.num_agpr, 0
	.set _ZN9rocsolver6v33100L18getf2_small_kernelILi33E19rocblas_complex_numIdEiiPS3_EEvT1_T3_lS5_lPS5_llPT2_S5_S5_S7_l.numbered_sgpr, 24
	.set _ZN9rocsolver6v33100L18getf2_small_kernelILi33E19rocblas_complex_numIdEiiPS3_EEvT1_T3_lS5_lPS5_llPT2_S5_S5_S7_l.num_named_barrier, 0
	.set _ZN9rocsolver6v33100L18getf2_small_kernelILi33E19rocblas_complex_numIdEiiPS3_EEvT1_T3_lS5_lPS5_llPT2_S5_S5_S7_l.private_seg_size, 0
	.set _ZN9rocsolver6v33100L18getf2_small_kernelILi33E19rocblas_complex_numIdEiiPS3_EEvT1_T3_lS5_lPS5_llPT2_S5_S5_S7_l.uses_vcc, 1
	.set _ZN9rocsolver6v33100L18getf2_small_kernelILi33E19rocblas_complex_numIdEiiPS3_EEvT1_T3_lS5_lPS5_llPT2_S5_S5_S7_l.uses_flat_scratch, 0
	.set _ZN9rocsolver6v33100L18getf2_small_kernelILi33E19rocblas_complex_numIdEiiPS3_EEvT1_T3_lS5_lPS5_llPT2_S5_S5_S7_l.has_dyn_sized_stack, 0
	.set _ZN9rocsolver6v33100L18getf2_small_kernelILi33E19rocblas_complex_numIdEiiPS3_EEvT1_T3_lS5_lPS5_llPT2_S5_S5_S7_l.has_recursion, 0
	.set _ZN9rocsolver6v33100L18getf2_small_kernelILi33E19rocblas_complex_numIdEiiPS3_EEvT1_T3_lS5_lPS5_llPT2_S5_S5_S7_l.has_indirect_call, 0
	.section	.AMDGPU.csdata,"",@progbits
; Kernel info:
; codeLenInByte = 68600
; TotalNumSgprs: 30
; NumVgprs: 166
; NumAgprs: 0
; TotalNumVgprs: 166
; ScratchSize: 0
; MemoryBound: 0
; FloatMode: 240
; IeeeMode: 1
; LDSByteSize: 0 bytes/workgroup (compile time only)
; SGPRBlocks: 3
; VGPRBlocks: 20
; NumSGPRsForWavesPerEU: 30
; NumVGPRsForWavesPerEU: 166
; AccumOffset: 168
; Occupancy: 3
; WaveLimiterHint : 0
; COMPUTE_PGM_RSRC2:SCRATCH_EN: 0
; COMPUTE_PGM_RSRC2:USER_SGPR: 2
; COMPUTE_PGM_RSRC2:TRAP_HANDLER: 0
; COMPUTE_PGM_RSRC2:TGID_X_EN: 1
; COMPUTE_PGM_RSRC2:TGID_Y_EN: 1
; COMPUTE_PGM_RSRC2:TGID_Z_EN: 0
; COMPUTE_PGM_RSRC2:TIDIG_COMP_CNT: 1
; COMPUTE_PGM_RSRC3_GFX90A:ACCUM_OFFSET: 41
; COMPUTE_PGM_RSRC3_GFX90A:TG_SPLIT: 0
	.section	.text._ZN9rocsolver6v33100L23getf2_npvt_small_kernelILi33E19rocblas_complex_numIdEiiPS3_EEvT1_T3_lS5_lPT2_S5_S5_,"axG",@progbits,_ZN9rocsolver6v33100L23getf2_npvt_small_kernelILi33E19rocblas_complex_numIdEiiPS3_EEvT1_T3_lS5_lPT2_S5_S5_,comdat
	.globl	_ZN9rocsolver6v33100L23getf2_npvt_small_kernelILi33E19rocblas_complex_numIdEiiPS3_EEvT1_T3_lS5_lPT2_S5_S5_ ; -- Begin function _ZN9rocsolver6v33100L23getf2_npvt_small_kernelILi33E19rocblas_complex_numIdEiiPS3_EEvT1_T3_lS5_lPT2_S5_S5_
	.p2align	8
	.type	_ZN9rocsolver6v33100L23getf2_npvt_small_kernelILi33E19rocblas_complex_numIdEiiPS3_EEvT1_T3_lS5_lPT2_S5_S5_,@function
_ZN9rocsolver6v33100L23getf2_npvt_small_kernelILi33E19rocblas_complex_numIdEiiPS3_EEvT1_T3_lS5_lPT2_S5_S5_: ; @_ZN9rocsolver6v33100L23getf2_npvt_small_kernelILi33E19rocblas_complex_numIdEiiPS3_EEvT1_T3_lS5_lPT2_S5_S5_
; %bb.0:
	s_load_dword s2, s[0:1], 0x44
	s_load_dwordx2 s[8:9], s[0:1], 0x30
	v_bfe_u32 v132, v0, 10, 10
	s_waitcnt lgkmcnt(0)
	s_lshr_b32 s10, s2, 16
	s_mul_i32 s3, s3, s10
	v_add_u32_e32 v140, s3, v132
	v_cmp_gt_i32_e32 vcc, s8, v140
	s_and_saveexec_b64 s[2:3], vcc
	s_cbranch_execz .LBB65_300
; %bb.1:
	s_load_dwordx4 s[12:15], s[0:1], 0x8
	s_load_dword s2, s[0:1], 0x18
	s_load_dwordx4 s[4:7], s[0:1], 0x20
	v_ashrrev_i32_e32 v141, 31, v140
	v_and_b32_e32 v142, 0x3ff, v0
	s_waitcnt lgkmcnt(0)
	v_mov_b32_e32 v0, s12
	v_mov_b32_e32 v1, s13
	v_mul_lo_u32 v4, s5, v140
	v_mul_lo_u32 v5, s4, v141
	v_mad_u64_u32 v[2:3], s[0:1], s4, v140, 0
	v_add3_u32 v3, v3, v5, v4
	v_lshl_add_u64 v[0:1], v[2:3], 4, v[0:1]
	v_lshl_add_u64 v[0:1], s[14:15], 4, v[0:1]
	v_lshlrev_b32_e32 v2, 4, v142
	v_mov_b32_e32 v3, 0
	s_add_i32 s0, s2, s2
	v_lshl_add_u64 v[150:151], v[0:1], 0, v[2:3]
	v_add_u32_e32 v2, s0, v142
	v_ashrrev_i32_e32 v3, 31, v2
	v_lshl_add_u64 v[154:155], v[2:3], 4, v[0:1]
	v_add_u32_e32 v2, s2, v2
	v_ashrrev_i32_e32 v3, 31, v2
	;; [unrolled: 3-line block ×31, first 2 shown]
	s_ashr_i32 s3, s2, 31
	v_lshl_add_u64 v[158:159], v[2:3], 4, v[0:1]
	v_lshl_add_u64 v[0:1], s[2:3], 4, v[150:151]
	scratch_store_dwordx2 off, v[0:1], off offset:240 ; 8-byte Folded Spill
	global_load_dwordx4 v[124:127], v[150:151], off
	global_load_dwordx4 v[120:123], v[0:1], off
	;; [unrolled: 1-line block ×22, first 2 shown]
	s_mulk_i32 s10, 0x210
	scratch_store_dwordx2 off, v[4:5], off  ; 8-byte Folded Spill
	scratch_store_dwordx2 off, v[6:7], off offset:8 ; 8-byte Folded Spill
	scratch_store_dwordx2 off, v[8:9], off offset:16 ; 8-byte Folded Spill
	;; [unrolled: 1-line block ×18, first 2 shown]
	global_load_dwordx4 v[40:43], v[40:41], off
	s_movk_i32 s0, 0x210
	scratch_store_dwordx2 off, v[128:129], off offset:152 ; 8-byte Folded Spill
	global_load_dwordx4 v[36:39], v[128:129], off
	global_load_dwordx4 v[32:35], v[130:131], off
	;; [unrolled: 1-line block ×9, first 2 shown]
	s_add_i32 s1, s10, 0
	scratch_store_dwordx2 off, v[130:131], off offset:160 ; 8-byte Folded Spill
	global_load_dwordx4 v[128:131], v[158:159], off
	v_lshl_add_u32 v143, v132, 4, s1
	scratch_store_dwordx2 off, v[144:145], off offset:192 ; 8-byte Folded Spill
	v_mad_u32_u24 v144, v132, s0, 0
	v_cmp_ne_u32_e64 s[2:3], 0, v142
	v_cmp_eq_u32_e64 s[0:1], 0, v142
	scratch_store_dwordx2 off, v[134:135], off offset:168 ; 8-byte Folded Spill
	scratch_store_dwordx2 off, v[136:137], off offset:176 ; 8-byte Folded Spill
	;; [unrolled: 1-line block ×8, first 2 shown]
	s_and_saveexec_b64 s[10:11], s[0:1]
	s_cbranch_execz .LBB65_8
; %bb.2:
	s_waitcnt vmcnt(62)
	ds_write2_b64 v143, v[124:125], v[126:127] offset1:1
	s_waitcnt vmcnt(61)
	ds_write2_b64 v144, v[120:121], v[122:123] offset0:2 offset1:3
	s_waitcnt vmcnt(60)
	ds_write2_b64 v144, v[116:117], v[118:119] offset0:4 offset1:5
	;; [unrolled: 2-line block ×30, first 2 shown]
	ds_write2_b64 v144, v[0:1], v[2:3] offset0:62 offset1:63
	s_waitcnt vmcnt(9)
	ds_write2_b64 v144, v[128:129], v[130:131] offset0:64 offset1:65
	ds_read2_b64 v[132:135], v143 offset1:1
	s_waitcnt lgkmcnt(0)
	v_cmp_neq_f64_e32 vcc, 0, v[132:133]
	v_cmp_neq_f64_e64 s[4:5], 0, v[134:135]
	s_or_b64 s[4:5], vcc, s[4:5]
	s_and_b64 exec, exec, s[4:5]
	s_cbranch_execz .LBB65_8
; %bb.3:
	v_cmp_ngt_f64_e64 s[4:5], |v[132:133]|, |v[134:135]|
                                        ; implicit-def: $vgpr136_vgpr137
	s_and_saveexec_b64 s[12:13], s[4:5]
	s_xor_b64 s[4:5], exec, s[12:13]
                                        ; implicit-def: $vgpr138_vgpr139
	s_cbranch_execz .LBB65_5
; %bb.4:
	v_div_scale_f64 v[136:137], s[12:13], v[134:135], v[134:135], v[132:133]
	v_rcp_f64_e32 v[138:139], v[136:137]
	v_div_scale_f64 v[146:147], vcc, v[132:133], v[134:135], v[132:133]
	v_fma_f64 v[148:149], -v[136:137], v[138:139], 1.0
	v_fmac_f64_e32 v[138:139], v[138:139], v[148:149]
	v_fma_f64 v[148:149], -v[136:137], v[138:139], 1.0
	v_fmac_f64_e32 v[138:139], v[138:139], v[148:149]
	v_mul_f64 v[148:149], v[146:147], v[138:139]
	v_fma_f64 v[136:137], -v[136:137], v[148:149], v[146:147]
	v_div_fmas_f64 v[136:137], v[136:137], v[138:139], v[148:149]
	v_div_fixup_f64 v[136:137], v[136:137], v[134:135], v[132:133]
	v_fmac_f64_e32 v[134:135], v[132:133], v[136:137]
	v_div_scale_f64 v[132:133], s[12:13], v[134:135], v[134:135], 1.0
	v_rcp_f64_e32 v[138:139], v[132:133]
	s_nop 0
	v_fma_f64 v[146:147], -v[132:133], v[138:139], 1.0
	v_fmac_f64_e32 v[138:139], v[138:139], v[146:147]
	v_fma_f64 v[146:147], -v[132:133], v[138:139], 1.0
	v_fmac_f64_e32 v[138:139], v[138:139], v[146:147]
	v_div_scale_f64 v[146:147], vcc, 1.0, v[134:135], 1.0
	v_mul_f64 v[148:149], v[146:147], v[138:139]
	v_fma_f64 v[132:133], -v[132:133], v[148:149], v[146:147]
	s_nop 1
	v_div_fmas_f64 v[132:133], v[132:133], v[138:139], v[148:149]
	v_div_fixup_f64 v[138:139], v[132:133], v[134:135], 1.0
	v_mul_f64 v[136:137], v[136:137], v[138:139]
	v_xor_b32_e32 v139, 0x80000000, v139
                                        ; implicit-def: $vgpr132_vgpr133
.LBB65_5:
	s_andn2_saveexec_b64 s[4:5], s[4:5]
	s_cbranch_execz .LBB65_7
; %bb.6:
	v_div_scale_f64 v[136:137], s[12:13], v[132:133], v[132:133], v[134:135]
	v_rcp_f64_e32 v[138:139], v[136:137]
	v_div_scale_f64 v[146:147], vcc, v[134:135], v[132:133], v[134:135]
	v_fma_f64 v[148:149], -v[136:137], v[138:139], 1.0
	v_fmac_f64_e32 v[138:139], v[138:139], v[148:149]
	v_fma_f64 v[148:149], -v[136:137], v[138:139], 1.0
	v_fmac_f64_e32 v[138:139], v[138:139], v[148:149]
	v_mul_f64 v[148:149], v[146:147], v[138:139]
	v_fma_f64 v[136:137], -v[136:137], v[148:149], v[146:147]
	v_div_fmas_f64 v[136:137], v[136:137], v[138:139], v[148:149]
	v_div_fixup_f64 v[138:139], v[136:137], v[132:133], v[134:135]
	v_fmac_f64_e32 v[132:133], v[134:135], v[138:139]
	v_div_scale_f64 v[134:135], s[12:13], v[132:133], v[132:133], 1.0
	v_rcp_f64_e32 v[136:137], v[134:135]
	s_nop 0
	v_fma_f64 v[146:147], -v[134:135], v[136:137], 1.0
	v_fmac_f64_e32 v[136:137], v[136:137], v[146:147]
	v_fma_f64 v[146:147], -v[134:135], v[136:137], 1.0
	v_fmac_f64_e32 v[136:137], v[136:137], v[146:147]
	v_div_scale_f64 v[146:147], vcc, 1.0, v[132:133], 1.0
	v_mul_f64 v[148:149], v[146:147], v[136:137]
	v_fma_f64 v[134:135], -v[134:135], v[148:149], v[146:147]
	s_nop 1
	v_div_fmas_f64 v[134:135], v[134:135], v[136:137], v[148:149]
	v_div_fixup_f64 v[136:137], v[134:135], v[132:133], 1.0
	v_mul_f64 v[138:139], v[138:139], -v[136:137]
.LBB65_7:
	s_or_b64 exec, exec, s[4:5]
	ds_write2_b64 v143, v[136:137], v[138:139] offset1:1
.LBB65_8:
	s_or_b64 exec, exec, s[10:11]
	s_waitcnt lgkmcnt(0)
	s_barrier
	ds_read2_b64 v[132:135], v143 offset1:1
	s_waitcnt lgkmcnt(0)
	scratch_store_dwordx4 off, v[132:135], off offset:248 ; 16-byte Folded Spill
	s_and_saveexec_b64 s[4:5], s[2:3]
	s_cbranch_execz .LBB65_10
; %bb.9:
	scratch_load_dwordx4 v[146:149], off, off offset:248 ; 16-byte Folded Reload
	ds_read2_b64 v[134:137], v144 offset0:2 offset1:3
	s_waitcnt vmcnt(0)
	v_mul_f64 v[132:133], v[148:149], v[126:127]
	v_mul_f64 v[126:127], v[146:147], v[126:127]
	v_fmac_f64_e32 v[126:127], v[148:149], v[124:125]
	v_fma_f64 v[132:133], v[146:147], v[124:125], -v[132:133]
	ds_read2_b64 v[146:149], v144 offset0:4 offset1:5
	s_waitcnt lgkmcnt(1)
	v_mul_f64 v[124:125], v[136:137], v[126:127]
	v_fma_f64 v[124:125], v[134:135], v[132:133], -v[124:125]
	v_mul_f64 v[134:135], v[134:135], v[126:127]
	v_fmac_f64_e32 v[134:135], v[136:137], v[132:133]
	v_add_f64 v[122:123], v[122:123], -v[134:135]
	ds_read2_b64 v[134:137], v144 offset0:6 offset1:7
	v_add_f64 v[120:121], v[120:121], -v[124:125]
	s_waitcnt lgkmcnt(1)
	v_mul_f64 v[124:125], v[148:149], v[126:127]
	v_fma_f64 v[124:125], v[146:147], v[132:133], -v[124:125]
	v_mul_f64 v[138:139], v[146:147], v[126:127]
	v_fmac_f64_e32 v[138:139], v[148:149], v[132:133]
	v_add_f64 v[116:117], v[116:117], -v[124:125]
	ds_read2_b64 v[146:149], v144 offset0:8 offset1:9
	s_waitcnt lgkmcnt(1)
	v_mul_f64 v[124:125], v[136:137], v[126:127]
	v_fma_f64 v[124:125], v[134:135], v[132:133], -v[124:125]
	v_mul_f64 v[134:135], v[134:135], v[126:127]
	v_fmac_f64_e32 v[134:135], v[136:137], v[132:133]
	v_add_f64 v[114:115], v[114:115], -v[134:135]
	ds_read2_b64 v[134:137], v144 offset0:10 offset1:11
	v_add_f64 v[112:113], v[112:113], -v[124:125]
	s_waitcnt lgkmcnt(1)
	v_mul_f64 v[124:125], v[148:149], v[126:127]
	v_add_f64 v[118:119], v[118:119], -v[138:139]
	v_fma_f64 v[124:125], v[146:147], v[132:133], -v[124:125]
	v_mul_f64 v[138:139], v[146:147], v[126:127]
	v_fmac_f64_e32 v[138:139], v[148:149], v[132:133]
	v_add_f64 v[108:109], v[108:109], -v[124:125]
	ds_read2_b64 v[146:149], v144 offset0:12 offset1:13
	s_waitcnt lgkmcnt(1)
	v_mul_f64 v[124:125], v[136:137], v[126:127]
	v_fma_f64 v[124:125], v[134:135], v[132:133], -v[124:125]
	v_mul_f64 v[134:135], v[134:135], v[126:127]
	v_fmac_f64_e32 v[134:135], v[136:137], v[132:133]
	v_add_f64 v[106:107], v[106:107], -v[134:135]
	ds_read2_b64 v[134:137], v144 offset0:14 offset1:15
	v_add_f64 v[104:105], v[104:105], -v[124:125]
	s_waitcnt lgkmcnt(1)
	v_mul_f64 v[124:125], v[148:149], v[126:127]
	v_add_f64 v[110:111], v[110:111], -v[138:139]
	;; [unrolled: 16-line block ×13, first 2 shown]
	v_fma_f64 v[124:125], v[146:147], v[132:133], -v[124:125]
	v_mul_f64 v[138:139], v[146:147], v[126:127]
	v_fmac_f64_e32 v[138:139], v[148:149], v[132:133]
	v_add_f64 v[12:13], v[12:13], -v[124:125]
	ds_read2_b64 v[146:149], v144 offset0:60 offset1:61
	s_waitcnt lgkmcnt(1)
	v_mul_f64 v[124:125], v[136:137], v[126:127]
	v_fma_f64 v[124:125], v[134:135], v[132:133], -v[124:125]
	v_mul_f64 v[134:135], v[134:135], v[126:127]
	v_fmac_f64_e32 v[134:135], v[136:137], v[132:133]
	v_add_f64 v[10:11], v[10:11], -v[134:135]
	ds_read2_b64 v[134:137], v144 offset0:62 offset1:63
	v_add_f64 v[14:15], v[14:15], -v[138:139]
	v_add_f64 v[8:9], v[8:9], -v[124:125]
	s_waitcnt lgkmcnt(1)
	v_mul_f64 v[124:125], v[148:149], v[126:127]
	v_mul_f64 v[138:139], v[146:147], v[126:127]
	v_fma_f64 v[124:125], v[146:147], v[132:133], -v[124:125]
	v_fmac_f64_e32 v[138:139], v[148:149], v[132:133]
	ds_read2_b64 v[146:149], v144 offset0:64 offset1:65
	v_add_f64 v[4:5], v[4:5], -v[124:125]
	s_waitcnt lgkmcnt(1)
	v_mul_f64 v[124:125], v[136:137], v[126:127]
	v_fma_f64 v[124:125], v[134:135], v[132:133], -v[124:125]
	v_mul_f64 v[134:135], v[134:135], v[126:127]
	v_fmac_f64_e32 v[134:135], v[136:137], v[132:133]
	v_add_f64 v[0:1], v[0:1], -v[124:125]
	v_add_f64 v[2:3], v[2:3], -v[134:135]
	s_waitcnt lgkmcnt(0)
	v_mul_f64 v[124:125], v[148:149], v[126:127]
	v_mul_f64 v[134:135], v[146:147], v[126:127]
	v_fma_f64 v[124:125], v[146:147], v[132:133], -v[124:125]
	v_fmac_f64_e32 v[134:135], v[148:149], v[132:133]
	v_add_f64 v[6:7], v[6:7], -v[138:139]
	v_add_f64 v[128:129], v[128:129], -v[124:125]
	;; [unrolled: 1-line block ×3, first 2 shown]
	v_mov_b64_e32 v[124:125], v[132:133]
.LBB65_10:
	s_or_b64 exec, exec, s[4:5]
	v_cmp_eq_u32_e32 vcc, 1, v142
	s_waitcnt vmcnt(63) expcnt(7) lgkmcnt(15)
	s_barrier
	s_and_saveexec_b64 s[4:5], vcc
	s_cbranch_execz .LBB65_17
; %bb.11:
	s_waitcnt vmcnt(62)
	ds_write2_b64 v143, v[120:121], v[122:123] offset1:1
	s_waitcnt vmcnt(61)
	ds_write2_b64 v144, v[116:117], v[118:119] offset0:4 offset1:5
	s_waitcnt vmcnt(60)
	ds_write2_b64 v144, v[112:113], v[114:115] offset0:6 offset1:7
	;; [unrolled: 2-line block ×29, first 2 shown]
	ds_write2_b64 v144, v[0:1], v[2:3] offset0:62 offset1:63
	s_waitcnt vmcnt(10)
	ds_write2_b64 v144, v[128:129], v[130:131] offset0:64 offset1:65
	ds_read2_b64 v[132:135], v143 offset1:1
	s_waitcnt lgkmcnt(0)
	v_cmp_neq_f64_e32 vcc, 0, v[132:133]
	v_cmp_neq_f64_e64 s[2:3], 0, v[134:135]
	s_or_b64 s[2:3], vcc, s[2:3]
	s_and_b64 exec, exec, s[2:3]
	s_cbranch_execz .LBB65_17
; %bb.12:
	v_cmp_ngt_f64_e64 s[2:3], |v[132:133]|, |v[134:135]|
                                        ; implicit-def: $vgpr136_vgpr137
	s_and_saveexec_b64 s[10:11], s[2:3]
	s_xor_b64 s[2:3], exec, s[10:11]
                                        ; implicit-def: $vgpr138_vgpr139
	s_cbranch_execz .LBB65_14
; %bb.13:
	v_div_scale_f64 v[136:137], s[10:11], v[134:135], v[134:135], v[132:133]
	v_rcp_f64_e32 v[138:139], v[136:137]
	v_div_scale_f64 v[146:147], vcc, v[132:133], v[134:135], v[132:133]
	v_fma_f64 v[148:149], -v[136:137], v[138:139], 1.0
	v_fmac_f64_e32 v[138:139], v[138:139], v[148:149]
	v_fma_f64 v[148:149], -v[136:137], v[138:139], 1.0
	v_fmac_f64_e32 v[138:139], v[138:139], v[148:149]
	v_mul_f64 v[148:149], v[146:147], v[138:139]
	v_fma_f64 v[136:137], -v[136:137], v[148:149], v[146:147]
	v_div_fmas_f64 v[136:137], v[136:137], v[138:139], v[148:149]
	v_div_fixup_f64 v[136:137], v[136:137], v[134:135], v[132:133]
	v_fmac_f64_e32 v[134:135], v[132:133], v[136:137]
	v_div_scale_f64 v[132:133], s[10:11], v[134:135], v[134:135], 1.0
	v_rcp_f64_e32 v[138:139], v[132:133]
	s_nop 0
	v_fma_f64 v[146:147], -v[132:133], v[138:139], 1.0
	v_fmac_f64_e32 v[138:139], v[138:139], v[146:147]
	v_fma_f64 v[146:147], -v[132:133], v[138:139], 1.0
	v_fmac_f64_e32 v[138:139], v[138:139], v[146:147]
	v_div_scale_f64 v[146:147], vcc, 1.0, v[134:135], 1.0
	v_mul_f64 v[148:149], v[146:147], v[138:139]
	v_fma_f64 v[132:133], -v[132:133], v[148:149], v[146:147]
	s_nop 1
	v_div_fmas_f64 v[132:133], v[132:133], v[138:139], v[148:149]
	v_div_fixup_f64 v[138:139], v[132:133], v[134:135], 1.0
	v_mul_f64 v[136:137], v[136:137], v[138:139]
	v_xor_b32_e32 v139, 0x80000000, v139
                                        ; implicit-def: $vgpr132_vgpr133
.LBB65_14:
	s_andn2_saveexec_b64 s[2:3], s[2:3]
	s_cbranch_execz .LBB65_16
; %bb.15:
	v_div_scale_f64 v[136:137], s[10:11], v[132:133], v[132:133], v[134:135]
	v_rcp_f64_e32 v[138:139], v[136:137]
	v_div_scale_f64 v[146:147], vcc, v[134:135], v[132:133], v[134:135]
	v_fma_f64 v[148:149], -v[136:137], v[138:139], 1.0
	v_fmac_f64_e32 v[138:139], v[138:139], v[148:149]
	v_fma_f64 v[148:149], -v[136:137], v[138:139], 1.0
	v_fmac_f64_e32 v[138:139], v[138:139], v[148:149]
	v_mul_f64 v[148:149], v[146:147], v[138:139]
	v_fma_f64 v[136:137], -v[136:137], v[148:149], v[146:147]
	v_div_fmas_f64 v[136:137], v[136:137], v[138:139], v[148:149]
	v_div_fixup_f64 v[138:139], v[136:137], v[132:133], v[134:135]
	v_fmac_f64_e32 v[132:133], v[134:135], v[138:139]
	v_div_scale_f64 v[134:135], s[10:11], v[132:133], v[132:133], 1.0
	v_rcp_f64_e32 v[136:137], v[134:135]
	s_nop 0
	v_fma_f64 v[146:147], -v[134:135], v[136:137], 1.0
	v_fmac_f64_e32 v[136:137], v[136:137], v[146:147]
	v_fma_f64 v[146:147], -v[134:135], v[136:137], 1.0
	v_fmac_f64_e32 v[136:137], v[136:137], v[146:147]
	v_div_scale_f64 v[146:147], vcc, 1.0, v[132:133], 1.0
	v_mul_f64 v[148:149], v[146:147], v[136:137]
	v_fma_f64 v[134:135], -v[134:135], v[148:149], v[146:147]
	s_nop 1
	v_div_fmas_f64 v[134:135], v[134:135], v[136:137], v[148:149]
	v_div_fixup_f64 v[136:137], v[134:135], v[132:133], 1.0
	v_mul_f64 v[138:139], v[138:139], -v[136:137]
.LBB65_16:
	s_or_b64 exec, exec, s[2:3]
	ds_write2_b64 v143, v[136:137], v[138:139] offset1:1
.LBB65_17:
	s_or_b64 exec, exec, s[4:5]
	s_waitcnt lgkmcnt(0)
	s_barrier
	ds_read2_b64 v[132:135], v143 offset1:1
	v_cmp_lt_u32_e32 vcc, 1, v142
	s_waitcnt lgkmcnt(0)
	scratch_store_dwordx4 off, v[132:135], off offset:264 ; 16-byte Folded Spill
	s_and_saveexec_b64 s[2:3], vcc
	s_cbranch_execz .LBB65_19
; %bb.18:
	scratch_load_dwordx4 v[146:149], off, off offset:264 ; 16-byte Folded Reload
	ds_read2_b64 v[134:137], v144 offset0:4 offset1:5
	s_waitcnt vmcnt(0)
	v_mul_f64 v[132:133], v[148:149], v[122:123]
	v_mul_f64 v[122:123], v[146:147], v[122:123]
	v_fmac_f64_e32 v[122:123], v[148:149], v[120:121]
	v_fma_f64 v[132:133], v[146:147], v[120:121], -v[132:133]
	ds_read2_b64 v[146:149], v144 offset0:6 offset1:7
	s_waitcnt lgkmcnt(1)
	v_mul_f64 v[120:121], v[136:137], v[122:123]
	v_fma_f64 v[120:121], v[134:135], v[132:133], -v[120:121]
	v_mul_f64 v[134:135], v[134:135], v[122:123]
	v_fmac_f64_e32 v[134:135], v[136:137], v[132:133]
	v_add_f64 v[118:119], v[118:119], -v[134:135]
	ds_read2_b64 v[134:137], v144 offset0:8 offset1:9
	v_add_f64 v[116:117], v[116:117], -v[120:121]
	s_waitcnt lgkmcnt(1)
	v_mul_f64 v[120:121], v[148:149], v[122:123]
	v_fma_f64 v[120:121], v[146:147], v[132:133], -v[120:121]
	v_mul_f64 v[138:139], v[146:147], v[122:123]
	v_fmac_f64_e32 v[138:139], v[148:149], v[132:133]
	v_add_f64 v[112:113], v[112:113], -v[120:121]
	ds_read2_b64 v[146:149], v144 offset0:10 offset1:11
	s_waitcnt lgkmcnt(1)
	v_mul_f64 v[120:121], v[136:137], v[122:123]
	v_fma_f64 v[120:121], v[134:135], v[132:133], -v[120:121]
	v_mul_f64 v[134:135], v[134:135], v[122:123]
	v_fmac_f64_e32 v[134:135], v[136:137], v[132:133]
	v_add_f64 v[110:111], v[110:111], -v[134:135]
	ds_read2_b64 v[134:137], v144 offset0:12 offset1:13
	v_add_f64 v[108:109], v[108:109], -v[120:121]
	s_waitcnt lgkmcnt(1)
	v_mul_f64 v[120:121], v[148:149], v[122:123]
	v_add_f64 v[114:115], v[114:115], -v[138:139]
	v_fma_f64 v[120:121], v[146:147], v[132:133], -v[120:121]
	v_mul_f64 v[138:139], v[146:147], v[122:123]
	v_fmac_f64_e32 v[138:139], v[148:149], v[132:133]
	v_add_f64 v[104:105], v[104:105], -v[120:121]
	ds_read2_b64 v[146:149], v144 offset0:14 offset1:15
	s_waitcnt lgkmcnt(1)
	v_mul_f64 v[120:121], v[136:137], v[122:123]
	v_fma_f64 v[120:121], v[134:135], v[132:133], -v[120:121]
	v_mul_f64 v[134:135], v[134:135], v[122:123]
	v_fmac_f64_e32 v[134:135], v[136:137], v[132:133]
	v_add_f64 v[102:103], v[102:103], -v[134:135]
	ds_read2_b64 v[134:137], v144 offset0:16 offset1:17
	v_add_f64 v[100:101], v[100:101], -v[120:121]
	s_waitcnt lgkmcnt(1)
	v_mul_f64 v[120:121], v[148:149], v[122:123]
	v_add_f64 v[106:107], v[106:107], -v[138:139]
	;; [unrolled: 16-line block ×13, first 2 shown]
	v_fma_f64 v[120:121], v[146:147], v[132:133], -v[120:121]
	v_mul_f64 v[138:139], v[146:147], v[122:123]
	v_fmac_f64_e32 v[138:139], v[148:149], v[132:133]
	v_add_f64 v[8:9], v[8:9], -v[120:121]
	ds_read2_b64 v[146:149], v144 offset0:62 offset1:63
	s_waitcnt lgkmcnt(1)
	v_mul_f64 v[120:121], v[136:137], v[122:123]
	v_fma_f64 v[120:121], v[134:135], v[132:133], -v[120:121]
	v_mul_f64 v[134:135], v[134:135], v[122:123]
	v_fmac_f64_e32 v[134:135], v[136:137], v[132:133]
	v_add_f64 v[6:7], v[6:7], -v[134:135]
	ds_read2_b64 v[134:137], v144 offset0:64 offset1:65
	v_add_f64 v[4:5], v[4:5], -v[120:121]
	s_waitcnt lgkmcnt(1)
	v_mul_f64 v[120:121], v[148:149], v[122:123]
	v_fma_f64 v[120:121], v[146:147], v[132:133], -v[120:121]
	v_add_f64 v[0:1], v[0:1], -v[120:121]
	s_waitcnt lgkmcnt(0)
	v_mul_f64 v[120:121], v[136:137], v[122:123]
	v_add_f64 v[10:11], v[10:11], -v[138:139]
	v_mul_f64 v[138:139], v[146:147], v[122:123]
	v_fma_f64 v[120:121], v[134:135], v[132:133], -v[120:121]
	v_mul_f64 v[134:135], v[134:135], v[122:123]
	v_fmac_f64_e32 v[138:139], v[148:149], v[132:133]
	v_fmac_f64_e32 v[134:135], v[136:137], v[132:133]
	v_add_f64 v[2:3], v[2:3], -v[138:139]
	v_add_f64 v[128:129], v[128:129], -v[120:121]
	;; [unrolled: 1-line block ×3, first 2 shown]
	v_mov_b64_e32 v[120:121], v[132:133]
.LBB65_19:
	s_or_b64 exec, exec, s[2:3]
	v_cmp_eq_u32_e32 vcc, 2, v142
	s_waitcnt vmcnt(63) expcnt(7) lgkmcnt(15)
	s_barrier
	s_and_saveexec_b64 s[4:5], vcc
	s_cbranch_execz .LBB65_26
; %bb.20:
	s_waitcnt vmcnt(62)
	ds_write2_b64 v143, v[116:117], v[118:119] offset1:1
	s_waitcnt vmcnt(61)
	ds_write2_b64 v144, v[112:113], v[114:115] offset0:6 offset1:7
	s_waitcnt vmcnt(60)
	ds_write2_b64 v144, v[108:109], v[110:111] offset0:8 offset1:9
	;; [unrolled: 2-line block ×28, first 2 shown]
	ds_write2_b64 v144, v[0:1], v[2:3] offset0:62 offset1:63
	s_waitcnt vmcnt(11)
	ds_write2_b64 v144, v[128:129], v[130:131] offset0:64 offset1:65
	ds_read2_b64 v[132:135], v143 offset1:1
	s_waitcnt lgkmcnt(0)
	v_cmp_neq_f64_e32 vcc, 0, v[132:133]
	v_cmp_neq_f64_e64 s[2:3], 0, v[134:135]
	s_or_b64 s[2:3], vcc, s[2:3]
	s_and_b64 exec, exec, s[2:3]
	s_cbranch_execz .LBB65_26
; %bb.21:
	v_cmp_ngt_f64_e64 s[2:3], |v[132:133]|, |v[134:135]|
                                        ; implicit-def: $vgpr136_vgpr137
	s_and_saveexec_b64 s[10:11], s[2:3]
	s_xor_b64 s[2:3], exec, s[10:11]
                                        ; implicit-def: $vgpr138_vgpr139
	s_cbranch_execz .LBB65_23
; %bb.22:
	v_div_scale_f64 v[136:137], s[10:11], v[134:135], v[134:135], v[132:133]
	v_rcp_f64_e32 v[138:139], v[136:137]
	v_div_scale_f64 v[146:147], vcc, v[132:133], v[134:135], v[132:133]
	v_fma_f64 v[148:149], -v[136:137], v[138:139], 1.0
	v_fmac_f64_e32 v[138:139], v[138:139], v[148:149]
	v_fma_f64 v[148:149], -v[136:137], v[138:139], 1.0
	v_fmac_f64_e32 v[138:139], v[138:139], v[148:149]
	v_mul_f64 v[148:149], v[146:147], v[138:139]
	v_fma_f64 v[136:137], -v[136:137], v[148:149], v[146:147]
	v_div_fmas_f64 v[136:137], v[136:137], v[138:139], v[148:149]
	v_div_fixup_f64 v[136:137], v[136:137], v[134:135], v[132:133]
	v_fmac_f64_e32 v[134:135], v[132:133], v[136:137]
	v_div_scale_f64 v[132:133], s[10:11], v[134:135], v[134:135], 1.0
	v_rcp_f64_e32 v[138:139], v[132:133]
	s_nop 0
	v_fma_f64 v[146:147], -v[132:133], v[138:139], 1.0
	v_fmac_f64_e32 v[138:139], v[138:139], v[146:147]
	v_fma_f64 v[146:147], -v[132:133], v[138:139], 1.0
	v_fmac_f64_e32 v[138:139], v[138:139], v[146:147]
	v_div_scale_f64 v[146:147], vcc, 1.0, v[134:135], 1.0
	v_mul_f64 v[148:149], v[146:147], v[138:139]
	v_fma_f64 v[132:133], -v[132:133], v[148:149], v[146:147]
	s_nop 1
	v_div_fmas_f64 v[132:133], v[132:133], v[138:139], v[148:149]
	v_div_fixup_f64 v[138:139], v[132:133], v[134:135], 1.0
	v_mul_f64 v[136:137], v[136:137], v[138:139]
	v_xor_b32_e32 v139, 0x80000000, v139
                                        ; implicit-def: $vgpr132_vgpr133
.LBB65_23:
	s_andn2_saveexec_b64 s[2:3], s[2:3]
	s_cbranch_execz .LBB65_25
; %bb.24:
	v_div_scale_f64 v[136:137], s[10:11], v[132:133], v[132:133], v[134:135]
	v_rcp_f64_e32 v[138:139], v[136:137]
	v_div_scale_f64 v[146:147], vcc, v[134:135], v[132:133], v[134:135]
	v_fma_f64 v[148:149], -v[136:137], v[138:139], 1.0
	v_fmac_f64_e32 v[138:139], v[138:139], v[148:149]
	v_fma_f64 v[148:149], -v[136:137], v[138:139], 1.0
	v_fmac_f64_e32 v[138:139], v[138:139], v[148:149]
	v_mul_f64 v[148:149], v[146:147], v[138:139]
	v_fma_f64 v[136:137], -v[136:137], v[148:149], v[146:147]
	v_div_fmas_f64 v[136:137], v[136:137], v[138:139], v[148:149]
	v_div_fixup_f64 v[138:139], v[136:137], v[132:133], v[134:135]
	v_fmac_f64_e32 v[132:133], v[134:135], v[138:139]
	v_div_scale_f64 v[134:135], s[10:11], v[132:133], v[132:133], 1.0
	v_rcp_f64_e32 v[136:137], v[134:135]
	s_nop 0
	v_fma_f64 v[146:147], -v[134:135], v[136:137], 1.0
	v_fmac_f64_e32 v[136:137], v[136:137], v[146:147]
	v_fma_f64 v[146:147], -v[134:135], v[136:137], 1.0
	v_fmac_f64_e32 v[136:137], v[136:137], v[146:147]
	v_div_scale_f64 v[146:147], vcc, 1.0, v[132:133], 1.0
	v_mul_f64 v[148:149], v[146:147], v[136:137]
	v_fma_f64 v[134:135], -v[134:135], v[148:149], v[146:147]
	s_nop 1
	v_div_fmas_f64 v[134:135], v[134:135], v[136:137], v[148:149]
	v_div_fixup_f64 v[136:137], v[134:135], v[132:133], 1.0
	v_mul_f64 v[138:139], v[138:139], -v[136:137]
.LBB65_25:
	s_or_b64 exec, exec, s[2:3]
	ds_write2_b64 v143, v[136:137], v[138:139] offset1:1
.LBB65_26:
	s_or_b64 exec, exec, s[4:5]
	s_waitcnt lgkmcnt(0)
	s_barrier
	ds_read2_b64 v[132:135], v143 offset1:1
	v_cmp_lt_u32_e32 vcc, 2, v142
	s_waitcnt lgkmcnt(0)
	scratch_store_dwordx4 off, v[132:135], off offset:280 ; 16-byte Folded Spill
	s_and_saveexec_b64 s[2:3], vcc
	s_cbranch_execz .LBB65_28
; %bb.27:
	scratch_load_dwordx4 v[146:149], off, off offset:280 ; 16-byte Folded Reload
	ds_read2_b64 v[134:137], v144 offset0:6 offset1:7
	s_waitcnt vmcnt(0)
	v_mul_f64 v[132:133], v[148:149], v[118:119]
	v_mul_f64 v[118:119], v[146:147], v[118:119]
	v_fmac_f64_e32 v[118:119], v[148:149], v[116:117]
	v_fma_f64 v[132:133], v[146:147], v[116:117], -v[132:133]
	ds_read2_b64 v[146:149], v144 offset0:8 offset1:9
	s_waitcnt lgkmcnt(1)
	v_mul_f64 v[116:117], v[136:137], v[118:119]
	v_fma_f64 v[116:117], v[134:135], v[132:133], -v[116:117]
	v_mul_f64 v[134:135], v[134:135], v[118:119]
	v_fmac_f64_e32 v[134:135], v[136:137], v[132:133]
	v_add_f64 v[114:115], v[114:115], -v[134:135]
	ds_read2_b64 v[134:137], v144 offset0:10 offset1:11
	v_add_f64 v[112:113], v[112:113], -v[116:117]
	s_waitcnt lgkmcnt(1)
	v_mul_f64 v[116:117], v[148:149], v[118:119]
	v_fma_f64 v[116:117], v[146:147], v[132:133], -v[116:117]
	v_mul_f64 v[138:139], v[146:147], v[118:119]
	v_fmac_f64_e32 v[138:139], v[148:149], v[132:133]
	v_add_f64 v[108:109], v[108:109], -v[116:117]
	ds_read2_b64 v[146:149], v144 offset0:12 offset1:13
	s_waitcnt lgkmcnt(1)
	v_mul_f64 v[116:117], v[136:137], v[118:119]
	v_fma_f64 v[116:117], v[134:135], v[132:133], -v[116:117]
	v_mul_f64 v[134:135], v[134:135], v[118:119]
	v_fmac_f64_e32 v[134:135], v[136:137], v[132:133]
	v_add_f64 v[106:107], v[106:107], -v[134:135]
	ds_read2_b64 v[134:137], v144 offset0:14 offset1:15
	v_add_f64 v[104:105], v[104:105], -v[116:117]
	s_waitcnt lgkmcnt(1)
	v_mul_f64 v[116:117], v[148:149], v[118:119]
	v_add_f64 v[110:111], v[110:111], -v[138:139]
	v_fma_f64 v[116:117], v[146:147], v[132:133], -v[116:117]
	v_mul_f64 v[138:139], v[146:147], v[118:119]
	v_fmac_f64_e32 v[138:139], v[148:149], v[132:133]
	v_add_f64 v[100:101], v[100:101], -v[116:117]
	ds_read2_b64 v[146:149], v144 offset0:16 offset1:17
	s_waitcnt lgkmcnt(1)
	v_mul_f64 v[116:117], v[136:137], v[118:119]
	v_fma_f64 v[116:117], v[134:135], v[132:133], -v[116:117]
	v_mul_f64 v[134:135], v[134:135], v[118:119]
	v_fmac_f64_e32 v[134:135], v[136:137], v[132:133]
	v_add_f64 v[98:99], v[98:99], -v[134:135]
	ds_read2_b64 v[134:137], v144 offset0:18 offset1:19
	v_add_f64 v[96:97], v[96:97], -v[116:117]
	s_waitcnt lgkmcnt(1)
	v_mul_f64 v[116:117], v[148:149], v[118:119]
	v_add_f64 v[102:103], v[102:103], -v[138:139]
	;; [unrolled: 16-line block ×12, first 2 shown]
	v_fma_f64 v[116:117], v[146:147], v[132:133], -v[116:117]
	v_mul_f64 v[138:139], v[146:147], v[118:119]
	v_fmac_f64_e32 v[138:139], v[148:149], v[132:133]
	v_add_f64 v[12:13], v[12:13], -v[116:117]
	ds_read2_b64 v[146:149], v144 offset0:60 offset1:61
	s_waitcnt lgkmcnt(1)
	v_mul_f64 v[116:117], v[136:137], v[118:119]
	v_fma_f64 v[116:117], v[134:135], v[132:133], -v[116:117]
	v_mul_f64 v[134:135], v[134:135], v[118:119]
	v_fmac_f64_e32 v[134:135], v[136:137], v[132:133]
	v_add_f64 v[10:11], v[10:11], -v[134:135]
	ds_read2_b64 v[134:137], v144 offset0:62 offset1:63
	v_add_f64 v[14:15], v[14:15], -v[138:139]
	v_add_f64 v[8:9], v[8:9], -v[116:117]
	s_waitcnt lgkmcnt(1)
	v_mul_f64 v[116:117], v[148:149], v[118:119]
	v_mul_f64 v[138:139], v[146:147], v[118:119]
	v_fma_f64 v[116:117], v[146:147], v[132:133], -v[116:117]
	v_fmac_f64_e32 v[138:139], v[148:149], v[132:133]
	ds_read2_b64 v[146:149], v144 offset0:64 offset1:65
	v_add_f64 v[4:5], v[4:5], -v[116:117]
	s_waitcnt lgkmcnt(1)
	v_mul_f64 v[116:117], v[136:137], v[118:119]
	v_fma_f64 v[116:117], v[134:135], v[132:133], -v[116:117]
	v_mul_f64 v[134:135], v[134:135], v[118:119]
	v_fmac_f64_e32 v[134:135], v[136:137], v[132:133]
	v_add_f64 v[0:1], v[0:1], -v[116:117]
	v_add_f64 v[2:3], v[2:3], -v[134:135]
	s_waitcnt lgkmcnt(0)
	v_mul_f64 v[116:117], v[148:149], v[118:119]
	v_mul_f64 v[134:135], v[146:147], v[118:119]
	v_fma_f64 v[116:117], v[146:147], v[132:133], -v[116:117]
	v_fmac_f64_e32 v[134:135], v[148:149], v[132:133]
	v_add_f64 v[6:7], v[6:7], -v[138:139]
	v_add_f64 v[128:129], v[128:129], -v[116:117]
	v_add_f64 v[130:131], v[130:131], -v[134:135]
	v_mov_b64_e32 v[116:117], v[132:133]
.LBB65_28:
	s_or_b64 exec, exec, s[2:3]
	v_cmp_eq_u32_e32 vcc, 3, v142
	s_waitcnt vmcnt(63) expcnt(7) lgkmcnt(15)
	s_barrier
	s_and_saveexec_b64 s[4:5], vcc
	s_cbranch_execz .LBB65_35
; %bb.29:
	s_waitcnt vmcnt(62)
	ds_write2_b64 v143, v[112:113], v[114:115] offset1:1
	s_waitcnt vmcnt(61)
	ds_write2_b64 v144, v[108:109], v[110:111] offset0:8 offset1:9
	s_waitcnt vmcnt(60)
	ds_write2_b64 v144, v[104:105], v[106:107] offset0:10 offset1:11
	;; [unrolled: 2-line block ×27, first 2 shown]
	ds_write2_b64 v144, v[0:1], v[2:3] offset0:62 offset1:63
	s_waitcnt vmcnt(12)
	ds_write2_b64 v144, v[128:129], v[130:131] offset0:64 offset1:65
	ds_read2_b64 v[132:135], v143 offset1:1
	s_waitcnt lgkmcnt(0)
	v_cmp_neq_f64_e32 vcc, 0, v[132:133]
	v_cmp_neq_f64_e64 s[2:3], 0, v[134:135]
	s_or_b64 s[2:3], vcc, s[2:3]
	s_and_b64 exec, exec, s[2:3]
	s_cbranch_execz .LBB65_35
; %bb.30:
	v_cmp_ngt_f64_e64 s[2:3], |v[132:133]|, |v[134:135]|
                                        ; implicit-def: $vgpr136_vgpr137
	s_and_saveexec_b64 s[10:11], s[2:3]
	s_xor_b64 s[2:3], exec, s[10:11]
                                        ; implicit-def: $vgpr138_vgpr139
	s_cbranch_execz .LBB65_32
; %bb.31:
	v_div_scale_f64 v[136:137], s[10:11], v[134:135], v[134:135], v[132:133]
	v_rcp_f64_e32 v[138:139], v[136:137]
	v_div_scale_f64 v[146:147], vcc, v[132:133], v[134:135], v[132:133]
	v_fma_f64 v[148:149], -v[136:137], v[138:139], 1.0
	v_fmac_f64_e32 v[138:139], v[138:139], v[148:149]
	v_fma_f64 v[148:149], -v[136:137], v[138:139], 1.0
	v_fmac_f64_e32 v[138:139], v[138:139], v[148:149]
	v_mul_f64 v[148:149], v[146:147], v[138:139]
	v_fma_f64 v[136:137], -v[136:137], v[148:149], v[146:147]
	v_div_fmas_f64 v[136:137], v[136:137], v[138:139], v[148:149]
	v_div_fixup_f64 v[136:137], v[136:137], v[134:135], v[132:133]
	v_fmac_f64_e32 v[134:135], v[132:133], v[136:137]
	v_div_scale_f64 v[132:133], s[10:11], v[134:135], v[134:135], 1.0
	v_rcp_f64_e32 v[138:139], v[132:133]
	s_nop 0
	v_fma_f64 v[146:147], -v[132:133], v[138:139], 1.0
	v_fmac_f64_e32 v[138:139], v[138:139], v[146:147]
	v_fma_f64 v[146:147], -v[132:133], v[138:139], 1.0
	v_fmac_f64_e32 v[138:139], v[138:139], v[146:147]
	v_div_scale_f64 v[146:147], vcc, 1.0, v[134:135], 1.0
	v_mul_f64 v[148:149], v[146:147], v[138:139]
	v_fma_f64 v[132:133], -v[132:133], v[148:149], v[146:147]
	s_nop 1
	v_div_fmas_f64 v[132:133], v[132:133], v[138:139], v[148:149]
	v_div_fixup_f64 v[138:139], v[132:133], v[134:135], 1.0
	v_mul_f64 v[136:137], v[136:137], v[138:139]
	v_xor_b32_e32 v139, 0x80000000, v139
                                        ; implicit-def: $vgpr132_vgpr133
.LBB65_32:
	s_andn2_saveexec_b64 s[2:3], s[2:3]
	s_cbranch_execz .LBB65_34
; %bb.33:
	v_div_scale_f64 v[136:137], s[10:11], v[132:133], v[132:133], v[134:135]
	v_rcp_f64_e32 v[138:139], v[136:137]
	v_div_scale_f64 v[146:147], vcc, v[134:135], v[132:133], v[134:135]
	v_fma_f64 v[148:149], -v[136:137], v[138:139], 1.0
	v_fmac_f64_e32 v[138:139], v[138:139], v[148:149]
	v_fma_f64 v[148:149], -v[136:137], v[138:139], 1.0
	v_fmac_f64_e32 v[138:139], v[138:139], v[148:149]
	v_mul_f64 v[148:149], v[146:147], v[138:139]
	v_fma_f64 v[136:137], -v[136:137], v[148:149], v[146:147]
	v_div_fmas_f64 v[136:137], v[136:137], v[138:139], v[148:149]
	v_div_fixup_f64 v[138:139], v[136:137], v[132:133], v[134:135]
	v_fmac_f64_e32 v[132:133], v[134:135], v[138:139]
	v_div_scale_f64 v[134:135], s[10:11], v[132:133], v[132:133], 1.0
	v_rcp_f64_e32 v[136:137], v[134:135]
	s_nop 0
	v_fma_f64 v[146:147], -v[134:135], v[136:137], 1.0
	v_fmac_f64_e32 v[136:137], v[136:137], v[146:147]
	v_fma_f64 v[146:147], -v[134:135], v[136:137], 1.0
	v_fmac_f64_e32 v[136:137], v[136:137], v[146:147]
	v_div_scale_f64 v[146:147], vcc, 1.0, v[132:133], 1.0
	v_mul_f64 v[148:149], v[146:147], v[136:137]
	v_fma_f64 v[134:135], -v[134:135], v[148:149], v[146:147]
	s_nop 1
	v_div_fmas_f64 v[134:135], v[134:135], v[136:137], v[148:149]
	v_div_fixup_f64 v[136:137], v[134:135], v[132:133], 1.0
	v_mul_f64 v[138:139], v[138:139], -v[136:137]
.LBB65_34:
	s_or_b64 exec, exec, s[2:3]
	ds_write2_b64 v143, v[136:137], v[138:139] offset1:1
.LBB65_35:
	s_or_b64 exec, exec, s[4:5]
	s_waitcnt lgkmcnt(0)
	s_barrier
	ds_read2_b64 v[132:135], v143 offset1:1
	v_cmp_lt_u32_e32 vcc, 3, v142
	s_waitcnt lgkmcnt(0)
	scratch_store_dwordx4 off, v[132:135], off offset:296 ; 16-byte Folded Spill
	s_and_saveexec_b64 s[2:3], vcc
	s_cbranch_execz .LBB65_37
; %bb.36:
	scratch_load_dwordx4 v[146:149], off, off offset:296 ; 16-byte Folded Reload
	ds_read2_b64 v[134:137], v144 offset0:8 offset1:9
	s_waitcnt vmcnt(0)
	v_mul_f64 v[132:133], v[148:149], v[114:115]
	v_mul_f64 v[114:115], v[146:147], v[114:115]
	v_fmac_f64_e32 v[114:115], v[148:149], v[112:113]
	v_fma_f64 v[132:133], v[146:147], v[112:113], -v[132:133]
	ds_read2_b64 v[146:149], v144 offset0:10 offset1:11
	s_waitcnt lgkmcnt(1)
	v_mul_f64 v[112:113], v[136:137], v[114:115]
	v_fma_f64 v[112:113], v[134:135], v[132:133], -v[112:113]
	v_mul_f64 v[134:135], v[134:135], v[114:115]
	v_fmac_f64_e32 v[134:135], v[136:137], v[132:133]
	v_add_f64 v[110:111], v[110:111], -v[134:135]
	ds_read2_b64 v[134:137], v144 offset0:12 offset1:13
	v_add_f64 v[108:109], v[108:109], -v[112:113]
	s_waitcnt lgkmcnt(1)
	v_mul_f64 v[112:113], v[148:149], v[114:115]
	v_fma_f64 v[112:113], v[146:147], v[132:133], -v[112:113]
	v_mul_f64 v[138:139], v[146:147], v[114:115]
	v_fmac_f64_e32 v[138:139], v[148:149], v[132:133]
	v_add_f64 v[104:105], v[104:105], -v[112:113]
	ds_read2_b64 v[146:149], v144 offset0:14 offset1:15
	s_waitcnt lgkmcnt(1)
	v_mul_f64 v[112:113], v[136:137], v[114:115]
	v_fma_f64 v[112:113], v[134:135], v[132:133], -v[112:113]
	v_mul_f64 v[134:135], v[134:135], v[114:115]
	v_fmac_f64_e32 v[134:135], v[136:137], v[132:133]
	v_add_f64 v[102:103], v[102:103], -v[134:135]
	ds_read2_b64 v[134:137], v144 offset0:16 offset1:17
	v_add_f64 v[100:101], v[100:101], -v[112:113]
	s_waitcnt lgkmcnt(1)
	v_mul_f64 v[112:113], v[148:149], v[114:115]
	v_add_f64 v[106:107], v[106:107], -v[138:139]
	v_fma_f64 v[112:113], v[146:147], v[132:133], -v[112:113]
	v_mul_f64 v[138:139], v[146:147], v[114:115]
	v_fmac_f64_e32 v[138:139], v[148:149], v[132:133]
	v_add_f64 v[96:97], v[96:97], -v[112:113]
	ds_read2_b64 v[146:149], v144 offset0:18 offset1:19
	s_waitcnt lgkmcnt(1)
	v_mul_f64 v[112:113], v[136:137], v[114:115]
	v_fma_f64 v[112:113], v[134:135], v[132:133], -v[112:113]
	v_mul_f64 v[134:135], v[134:135], v[114:115]
	v_fmac_f64_e32 v[134:135], v[136:137], v[132:133]
	v_add_f64 v[94:95], v[94:95], -v[134:135]
	ds_read2_b64 v[134:137], v144 offset0:20 offset1:21
	v_add_f64 v[92:93], v[92:93], -v[112:113]
	s_waitcnt lgkmcnt(1)
	v_mul_f64 v[112:113], v[148:149], v[114:115]
	v_add_f64 v[98:99], v[98:99], -v[138:139]
	;; [unrolled: 16-line block ×12, first 2 shown]
	v_fma_f64 v[112:113], v[146:147], v[132:133], -v[112:113]
	v_mul_f64 v[138:139], v[146:147], v[114:115]
	v_fmac_f64_e32 v[138:139], v[148:149], v[132:133]
	v_add_f64 v[8:9], v[8:9], -v[112:113]
	ds_read2_b64 v[146:149], v144 offset0:62 offset1:63
	s_waitcnt lgkmcnt(1)
	v_mul_f64 v[112:113], v[136:137], v[114:115]
	v_fma_f64 v[112:113], v[134:135], v[132:133], -v[112:113]
	v_mul_f64 v[134:135], v[134:135], v[114:115]
	v_fmac_f64_e32 v[134:135], v[136:137], v[132:133]
	v_add_f64 v[6:7], v[6:7], -v[134:135]
	ds_read2_b64 v[134:137], v144 offset0:64 offset1:65
	v_add_f64 v[4:5], v[4:5], -v[112:113]
	s_waitcnt lgkmcnt(1)
	v_mul_f64 v[112:113], v[148:149], v[114:115]
	v_fma_f64 v[112:113], v[146:147], v[132:133], -v[112:113]
	v_add_f64 v[0:1], v[0:1], -v[112:113]
	s_waitcnt lgkmcnt(0)
	v_mul_f64 v[112:113], v[136:137], v[114:115]
	v_add_f64 v[10:11], v[10:11], -v[138:139]
	v_mul_f64 v[138:139], v[146:147], v[114:115]
	v_fma_f64 v[112:113], v[134:135], v[132:133], -v[112:113]
	v_mul_f64 v[134:135], v[134:135], v[114:115]
	v_fmac_f64_e32 v[138:139], v[148:149], v[132:133]
	v_fmac_f64_e32 v[134:135], v[136:137], v[132:133]
	v_add_f64 v[2:3], v[2:3], -v[138:139]
	v_add_f64 v[128:129], v[128:129], -v[112:113]
	;; [unrolled: 1-line block ×3, first 2 shown]
	v_mov_b64_e32 v[112:113], v[132:133]
.LBB65_37:
	s_or_b64 exec, exec, s[2:3]
	v_cmp_eq_u32_e32 vcc, 4, v142
	s_waitcnt vmcnt(63) expcnt(7) lgkmcnt(15)
	s_barrier
	s_and_saveexec_b64 s[4:5], vcc
	s_cbranch_execz .LBB65_44
; %bb.38:
	s_waitcnt vmcnt(62)
	ds_write2_b64 v143, v[108:109], v[110:111] offset1:1
	s_waitcnt vmcnt(61)
	ds_write2_b64 v144, v[104:105], v[106:107] offset0:10 offset1:11
	s_waitcnt vmcnt(60)
	ds_write2_b64 v144, v[100:101], v[102:103] offset0:12 offset1:13
	;; [unrolled: 2-line block ×26, first 2 shown]
	ds_write2_b64 v144, v[0:1], v[2:3] offset0:62 offset1:63
	s_waitcnt vmcnt(13)
	ds_write2_b64 v144, v[128:129], v[130:131] offset0:64 offset1:65
	ds_read2_b64 v[132:135], v143 offset1:1
	s_waitcnt lgkmcnt(0)
	v_cmp_neq_f64_e32 vcc, 0, v[132:133]
	v_cmp_neq_f64_e64 s[2:3], 0, v[134:135]
	s_or_b64 s[2:3], vcc, s[2:3]
	s_and_b64 exec, exec, s[2:3]
	s_cbranch_execz .LBB65_44
; %bb.39:
	v_cmp_ngt_f64_e64 s[2:3], |v[132:133]|, |v[134:135]|
                                        ; implicit-def: $vgpr136_vgpr137
	s_and_saveexec_b64 s[10:11], s[2:3]
	s_xor_b64 s[2:3], exec, s[10:11]
                                        ; implicit-def: $vgpr138_vgpr139
	s_cbranch_execz .LBB65_41
; %bb.40:
	v_div_scale_f64 v[136:137], s[10:11], v[134:135], v[134:135], v[132:133]
	v_rcp_f64_e32 v[138:139], v[136:137]
	v_div_scale_f64 v[146:147], vcc, v[132:133], v[134:135], v[132:133]
	v_fma_f64 v[148:149], -v[136:137], v[138:139], 1.0
	v_fmac_f64_e32 v[138:139], v[138:139], v[148:149]
	v_fma_f64 v[148:149], -v[136:137], v[138:139], 1.0
	v_fmac_f64_e32 v[138:139], v[138:139], v[148:149]
	v_mul_f64 v[148:149], v[146:147], v[138:139]
	v_fma_f64 v[136:137], -v[136:137], v[148:149], v[146:147]
	v_div_fmas_f64 v[136:137], v[136:137], v[138:139], v[148:149]
	v_div_fixup_f64 v[136:137], v[136:137], v[134:135], v[132:133]
	v_fmac_f64_e32 v[134:135], v[132:133], v[136:137]
	v_div_scale_f64 v[132:133], s[10:11], v[134:135], v[134:135], 1.0
	v_rcp_f64_e32 v[138:139], v[132:133]
	s_nop 0
	v_fma_f64 v[146:147], -v[132:133], v[138:139], 1.0
	v_fmac_f64_e32 v[138:139], v[138:139], v[146:147]
	v_fma_f64 v[146:147], -v[132:133], v[138:139], 1.0
	v_fmac_f64_e32 v[138:139], v[138:139], v[146:147]
	v_div_scale_f64 v[146:147], vcc, 1.0, v[134:135], 1.0
	v_mul_f64 v[148:149], v[146:147], v[138:139]
	v_fma_f64 v[132:133], -v[132:133], v[148:149], v[146:147]
	s_nop 1
	v_div_fmas_f64 v[132:133], v[132:133], v[138:139], v[148:149]
	v_div_fixup_f64 v[138:139], v[132:133], v[134:135], 1.0
	v_mul_f64 v[136:137], v[136:137], v[138:139]
	v_xor_b32_e32 v139, 0x80000000, v139
                                        ; implicit-def: $vgpr132_vgpr133
.LBB65_41:
	s_andn2_saveexec_b64 s[2:3], s[2:3]
	s_cbranch_execz .LBB65_43
; %bb.42:
	v_div_scale_f64 v[136:137], s[10:11], v[132:133], v[132:133], v[134:135]
	v_rcp_f64_e32 v[138:139], v[136:137]
	v_div_scale_f64 v[146:147], vcc, v[134:135], v[132:133], v[134:135]
	v_fma_f64 v[148:149], -v[136:137], v[138:139], 1.0
	v_fmac_f64_e32 v[138:139], v[138:139], v[148:149]
	v_fma_f64 v[148:149], -v[136:137], v[138:139], 1.0
	v_fmac_f64_e32 v[138:139], v[138:139], v[148:149]
	v_mul_f64 v[148:149], v[146:147], v[138:139]
	v_fma_f64 v[136:137], -v[136:137], v[148:149], v[146:147]
	v_div_fmas_f64 v[136:137], v[136:137], v[138:139], v[148:149]
	v_div_fixup_f64 v[138:139], v[136:137], v[132:133], v[134:135]
	v_fmac_f64_e32 v[132:133], v[134:135], v[138:139]
	v_div_scale_f64 v[134:135], s[10:11], v[132:133], v[132:133], 1.0
	v_rcp_f64_e32 v[136:137], v[134:135]
	s_nop 0
	v_fma_f64 v[146:147], -v[134:135], v[136:137], 1.0
	v_fmac_f64_e32 v[136:137], v[136:137], v[146:147]
	v_fma_f64 v[146:147], -v[134:135], v[136:137], 1.0
	v_fmac_f64_e32 v[136:137], v[136:137], v[146:147]
	v_div_scale_f64 v[146:147], vcc, 1.0, v[132:133], 1.0
	v_mul_f64 v[148:149], v[146:147], v[136:137]
	v_fma_f64 v[134:135], -v[134:135], v[148:149], v[146:147]
	s_nop 1
	v_div_fmas_f64 v[134:135], v[134:135], v[136:137], v[148:149]
	v_div_fixup_f64 v[136:137], v[134:135], v[132:133], 1.0
	v_mul_f64 v[138:139], v[138:139], -v[136:137]
.LBB65_43:
	s_or_b64 exec, exec, s[2:3]
	ds_write2_b64 v143, v[136:137], v[138:139] offset1:1
.LBB65_44:
	s_or_b64 exec, exec, s[4:5]
	s_waitcnt lgkmcnt(0)
	s_barrier
	ds_read2_b64 v[132:135], v143 offset1:1
	v_cmp_lt_u32_e32 vcc, 4, v142
	s_waitcnt lgkmcnt(0)
	scratch_store_dwordx4 off, v[132:135], off offset:312 ; 16-byte Folded Spill
	s_and_saveexec_b64 s[2:3], vcc
	s_cbranch_execz .LBB65_46
; %bb.45:
	scratch_load_dwordx4 v[146:149], off, off offset:312 ; 16-byte Folded Reload
	ds_read2_b64 v[134:137], v144 offset0:10 offset1:11
	s_waitcnt vmcnt(0)
	v_mul_f64 v[132:133], v[148:149], v[110:111]
	v_mul_f64 v[110:111], v[146:147], v[110:111]
	v_fmac_f64_e32 v[110:111], v[148:149], v[108:109]
	v_fma_f64 v[132:133], v[146:147], v[108:109], -v[132:133]
	v_mov_b64_e32 v[146:147], v[154:155]
	ds_read2_b64 v[152:155], v144 offset0:12 offset1:13
	s_waitcnt lgkmcnt(1)
	v_mul_f64 v[108:109], v[136:137], v[110:111]
	v_fma_f64 v[108:109], v[134:135], v[132:133], -v[108:109]
	v_mul_f64 v[134:135], v[134:135], v[110:111]
	v_fmac_f64_e32 v[134:135], v[136:137], v[132:133]
	v_add_f64 v[106:107], v[106:107], -v[134:135]
	ds_read2_b64 v[134:137], v144 offset0:14 offset1:15
	v_add_f64 v[104:105], v[104:105], -v[108:109]
	s_waitcnt lgkmcnt(1)
	v_mul_f64 v[108:109], v[154:155], v[110:111]
	v_fma_f64 v[108:109], v[152:153], v[132:133], -v[108:109]
	v_mul_f64 v[138:139], v[152:153], v[110:111]
	v_fmac_f64_e32 v[138:139], v[154:155], v[132:133]
	v_add_f64 v[100:101], v[100:101], -v[108:109]
	ds_read2_b64 v[152:155], v144 offset0:16 offset1:17
	s_waitcnt lgkmcnt(1)
	v_mul_f64 v[108:109], v[136:137], v[110:111]
	v_fma_f64 v[108:109], v[134:135], v[132:133], -v[108:109]
	v_mul_f64 v[134:135], v[134:135], v[110:111]
	v_fmac_f64_e32 v[134:135], v[136:137], v[132:133]
	v_add_f64 v[98:99], v[98:99], -v[134:135]
	ds_read2_b64 v[134:137], v144 offset0:18 offset1:19
	v_add_f64 v[96:97], v[96:97], -v[108:109]
	s_waitcnt lgkmcnt(1)
	v_mul_f64 v[108:109], v[154:155], v[110:111]
	v_add_f64 v[102:103], v[102:103], -v[138:139]
	v_fma_f64 v[108:109], v[152:153], v[132:133], -v[108:109]
	v_mul_f64 v[138:139], v[152:153], v[110:111]
	v_fmac_f64_e32 v[138:139], v[154:155], v[132:133]
	v_add_f64 v[92:93], v[92:93], -v[108:109]
	ds_read2_b64 v[152:155], v144 offset0:20 offset1:21
	s_waitcnt lgkmcnt(1)
	v_mul_f64 v[108:109], v[136:137], v[110:111]
	v_fma_f64 v[108:109], v[134:135], v[132:133], -v[108:109]
	v_mul_f64 v[134:135], v[134:135], v[110:111]
	v_fmac_f64_e32 v[134:135], v[136:137], v[132:133]
	v_add_f64 v[90:91], v[90:91], -v[134:135]
	ds_read2_b64 v[134:137], v144 offset0:22 offset1:23
	v_add_f64 v[88:89], v[88:89], -v[108:109]
	s_waitcnt lgkmcnt(1)
	v_mul_f64 v[108:109], v[154:155], v[110:111]
	v_add_f64 v[94:95], v[94:95], -v[138:139]
	;; [unrolled: 16-line block ×11, first 2 shown]
	v_fma_f64 v[108:109], v[152:153], v[132:133], -v[108:109]
	v_mul_f64 v[138:139], v[152:153], v[110:111]
	v_fmac_f64_e32 v[138:139], v[154:155], v[132:133]
	v_add_f64 v[12:13], v[12:13], -v[108:109]
	ds_read2_b64 v[152:155], v144 offset0:60 offset1:61
	s_waitcnt lgkmcnt(1)
	v_mul_f64 v[108:109], v[136:137], v[110:111]
	v_fma_f64 v[108:109], v[134:135], v[132:133], -v[108:109]
	v_mul_f64 v[134:135], v[134:135], v[110:111]
	v_fmac_f64_e32 v[134:135], v[136:137], v[132:133]
	v_add_f64 v[10:11], v[10:11], -v[134:135]
	ds_read2_b64 v[134:137], v144 offset0:62 offset1:63
	v_add_f64 v[14:15], v[14:15], -v[138:139]
	v_add_f64 v[8:9], v[8:9], -v[108:109]
	s_waitcnt lgkmcnt(1)
	v_mul_f64 v[108:109], v[154:155], v[110:111]
	v_mul_f64 v[138:139], v[152:153], v[110:111]
	v_fma_f64 v[108:109], v[152:153], v[132:133], -v[108:109]
	v_fmac_f64_e32 v[138:139], v[154:155], v[132:133]
	ds_read2_b64 v[152:155], v144 offset0:64 offset1:65
	v_add_f64 v[4:5], v[4:5], -v[108:109]
	s_waitcnt lgkmcnt(1)
	v_mul_f64 v[108:109], v[136:137], v[110:111]
	v_fma_f64 v[108:109], v[134:135], v[132:133], -v[108:109]
	v_mul_f64 v[134:135], v[134:135], v[110:111]
	v_fmac_f64_e32 v[134:135], v[136:137], v[132:133]
	v_add_f64 v[0:1], v[0:1], -v[108:109]
	v_add_f64 v[2:3], v[2:3], -v[134:135]
	s_waitcnt lgkmcnt(0)
	v_mul_f64 v[108:109], v[154:155], v[110:111]
	v_mul_f64 v[134:135], v[152:153], v[110:111]
	v_fma_f64 v[108:109], v[152:153], v[132:133], -v[108:109]
	v_fmac_f64_e32 v[134:135], v[154:155], v[132:133]
	v_add_f64 v[6:7], v[6:7], -v[138:139]
	v_mov_b64_e32 v[154:155], v[146:147]
	v_add_f64 v[128:129], v[128:129], -v[108:109]
	v_add_f64 v[130:131], v[130:131], -v[134:135]
	v_mov_b64_e32 v[108:109], v[132:133]
.LBB65_46:
	s_or_b64 exec, exec, s[2:3]
	v_cmp_eq_u32_e32 vcc, 5, v142
	s_waitcnt vmcnt(63) expcnt(7) lgkmcnt(15)
	s_barrier
	s_and_saveexec_b64 s[4:5], vcc
	s_cbranch_execz .LBB65_53
; %bb.47:
	s_waitcnt vmcnt(62)
	ds_write2_b64 v143, v[104:105], v[106:107] offset1:1
	s_waitcnt vmcnt(61)
	ds_write2_b64 v144, v[100:101], v[102:103] offset0:12 offset1:13
	s_waitcnt vmcnt(60)
	ds_write2_b64 v144, v[96:97], v[98:99] offset0:14 offset1:15
	;; [unrolled: 2-line block ×25, first 2 shown]
	ds_write2_b64 v144, v[0:1], v[2:3] offset0:62 offset1:63
	s_waitcnt vmcnt(14)
	ds_write2_b64 v144, v[128:129], v[130:131] offset0:64 offset1:65
	ds_read2_b64 v[132:135], v143 offset1:1
	s_waitcnt lgkmcnt(0)
	v_cmp_neq_f64_e32 vcc, 0, v[132:133]
	v_cmp_neq_f64_e64 s[2:3], 0, v[134:135]
	s_or_b64 s[2:3], vcc, s[2:3]
	s_and_b64 exec, exec, s[2:3]
	s_cbranch_execz .LBB65_53
; %bb.48:
	v_cmp_ngt_f64_e64 s[2:3], |v[132:133]|, |v[134:135]|
                                        ; implicit-def: $vgpr136_vgpr137
	s_and_saveexec_b64 s[10:11], s[2:3]
	s_xor_b64 s[2:3], exec, s[10:11]
                                        ; implicit-def: $vgpr138_vgpr139
	s_cbranch_execz .LBB65_50
; %bb.49:
	v_div_scale_f64 v[136:137], s[10:11], v[134:135], v[134:135], v[132:133]
	v_rcp_f64_e32 v[138:139], v[136:137]
	v_div_scale_f64 v[146:147], vcc, v[132:133], v[134:135], v[132:133]
	v_fma_f64 v[152:153], -v[136:137], v[138:139], 1.0
	v_fmac_f64_e32 v[138:139], v[138:139], v[152:153]
	v_fma_f64 v[152:153], -v[136:137], v[138:139], 1.0
	v_fmac_f64_e32 v[138:139], v[138:139], v[152:153]
	v_mul_f64 v[152:153], v[146:147], v[138:139]
	v_fma_f64 v[136:137], -v[136:137], v[152:153], v[146:147]
	v_div_fmas_f64 v[136:137], v[136:137], v[138:139], v[152:153]
	v_div_fixup_f64 v[136:137], v[136:137], v[134:135], v[132:133]
	v_fmac_f64_e32 v[134:135], v[132:133], v[136:137]
	v_div_scale_f64 v[132:133], s[10:11], v[134:135], v[134:135], 1.0
	v_rcp_f64_e32 v[138:139], v[132:133]
	s_nop 0
	v_fma_f64 v[146:147], -v[132:133], v[138:139], 1.0
	v_fmac_f64_e32 v[138:139], v[138:139], v[146:147]
	v_fma_f64 v[146:147], -v[132:133], v[138:139], 1.0
	v_fmac_f64_e32 v[138:139], v[138:139], v[146:147]
	v_div_scale_f64 v[146:147], vcc, 1.0, v[134:135], 1.0
	v_mul_f64 v[152:153], v[146:147], v[138:139]
	v_fma_f64 v[132:133], -v[132:133], v[152:153], v[146:147]
	s_nop 1
	v_div_fmas_f64 v[132:133], v[132:133], v[138:139], v[152:153]
	v_div_fixup_f64 v[138:139], v[132:133], v[134:135], 1.0
	v_mul_f64 v[136:137], v[136:137], v[138:139]
	v_xor_b32_e32 v139, 0x80000000, v139
                                        ; implicit-def: $vgpr132_vgpr133
.LBB65_50:
	s_andn2_saveexec_b64 s[2:3], s[2:3]
	s_cbranch_execz .LBB65_52
; %bb.51:
	v_div_scale_f64 v[136:137], s[10:11], v[132:133], v[132:133], v[134:135]
	v_rcp_f64_e32 v[138:139], v[136:137]
	v_div_scale_f64 v[146:147], vcc, v[134:135], v[132:133], v[134:135]
	v_fma_f64 v[152:153], -v[136:137], v[138:139], 1.0
	v_fmac_f64_e32 v[138:139], v[138:139], v[152:153]
	v_fma_f64 v[152:153], -v[136:137], v[138:139], 1.0
	v_fmac_f64_e32 v[138:139], v[138:139], v[152:153]
	v_mul_f64 v[152:153], v[146:147], v[138:139]
	v_fma_f64 v[136:137], -v[136:137], v[152:153], v[146:147]
	v_div_fmas_f64 v[136:137], v[136:137], v[138:139], v[152:153]
	v_div_fixup_f64 v[138:139], v[136:137], v[132:133], v[134:135]
	v_fmac_f64_e32 v[132:133], v[134:135], v[138:139]
	v_div_scale_f64 v[134:135], s[10:11], v[132:133], v[132:133], 1.0
	v_rcp_f64_e32 v[136:137], v[134:135]
	s_nop 0
	v_fma_f64 v[146:147], -v[134:135], v[136:137], 1.0
	v_fmac_f64_e32 v[136:137], v[136:137], v[146:147]
	v_fma_f64 v[146:147], -v[134:135], v[136:137], 1.0
	v_fmac_f64_e32 v[136:137], v[136:137], v[146:147]
	v_div_scale_f64 v[146:147], vcc, 1.0, v[132:133], 1.0
	v_mul_f64 v[152:153], v[146:147], v[136:137]
	v_fma_f64 v[134:135], -v[134:135], v[152:153], v[146:147]
	s_nop 1
	v_div_fmas_f64 v[134:135], v[134:135], v[136:137], v[152:153]
	v_div_fixup_f64 v[136:137], v[134:135], v[132:133], 1.0
	v_mul_f64 v[138:139], v[138:139], -v[136:137]
.LBB65_52:
	s_or_b64 exec, exec, s[2:3]
	ds_write2_b64 v143, v[136:137], v[138:139] offset1:1
.LBB65_53:
	s_or_b64 exec, exec, s[4:5]
	s_waitcnt lgkmcnt(0)
	s_barrier
	ds_read2_b64 v[132:135], v143 offset1:1
	v_cmp_lt_u32_e32 vcc, 5, v142
	s_waitcnt lgkmcnt(0)
	scratch_store_dwordx4 off, v[132:135], off offset:328 ; 16-byte Folded Spill
	s_and_saveexec_b64 s[2:3], vcc
	s_cbranch_execz .LBB65_55
; %bb.54:
	scratch_load_dwordx4 v[146:149], off, off offset:328 ; 16-byte Folded Reload
	ds_read2_b64 v[134:137], v144 offset0:12 offset1:13
	ds_read2_b64 v[156:159], v144 offset0:14 offset1:15
	s_waitcnt vmcnt(0)
	v_mul_f64 v[132:133], v[148:149], v[106:107]
	v_mul_f64 v[106:107], v[146:147], v[106:107]
	v_fmac_f64_e32 v[106:107], v[148:149], v[104:105]
	v_fma_f64 v[132:133], v[146:147], v[104:105], -v[132:133]
	s_waitcnt lgkmcnt(1)
	v_mul_f64 v[104:105], v[136:137], v[106:107]
	v_fma_f64 v[104:105], v[134:135], v[132:133], -v[104:105]
	v_mul_f64 v[134:135], v[134:135], v[106:107]
	v_fmac_f64_e32 v[134:135], v[136:137], v[132:133]
	v_add_f64 v[102:103], v[102:103], -v[134:135]
	ds_read2_b64 v[134:137], v144 offset0:16 offset1:17
	v_add_f64 v[100:101], v[100:101], -v[104:105]
	s_waitcnt lgkmcnt(1)
	v_mul_f64 v[104:105], v[158:159], v[106:107]
	v_fma_f64 v[104:105], v[156:157], v[132:133], -v[104:105]
	v_mul_f64 v[138:139], v[156:157], v[106:107]
	v_fmac_f64_e32 v[138:139], v[158:159], v[132:133]
	v_add_f64 v[96:97], v[96:97], -v[104:105]
	ds_read2_b64 v[156:159], v144 offset0:18 offset1:19
	s_waitcnt lgkmcnt(1)
	v_mul_f64 v[104:105], v[136:137], v[106:107]
	v_fma_f64 v[104:105], v[134:135], v[132:133], -v[104:105]
	v_mul_f64 v[134:135], v[134:135], v[106:107]
	v_fmac_f64_e32 v[134:135], v[136:137], v[132:133]
	v_add_f64 v[94:95], v[94:95], -v[134:135]
	ds_read2_b64 v[134:137], v144 offset0:20 offset1:21
	v_add_f64 v[92:93], v[92:93], -v[104:105]
	s_waitcnt lgkmcnt(1)
	v_mul_f64 v[104:105], v[158:159], v[106:107]
	v_add_f64 v[98:99], v[98:99], -v[138:139]
	v_fma_f64 v[104:105], v[156:157], v[132:133], -v[104:105]
	v_mul_f64 v[138:139], v[156:157], v[106:107]
	v_fmac_f64_e32 v[138:139], v[158:159], v[132:133]
	v_add_f64 v[88:89], v[88:89], -v[104:105]
	ds_read2_b64 v[156:159], v144 offset0:22 offset1:23
	s_waitcnt lgkmcnt(1)
	v_mul_f64 v[104:105], v[136:137], v[106:107]
	v_fma_f64 v[104:105], v[134:135], v[132:133], -v[104:105]
	v_mul_f64 v[134:135], v[134:135], v[106:107]
	v_fmac_f64_e32 v[134:135], v[136:137], v[132:133]
	v_add_f64 v[86:87], v[86:87], -v[134:135]
	ds_read2_b64 v[134:137], v144 offset0:24 offset1:25
	v_add_f64 v[84:85], v[84:85], -v[104:105]
	s_waitcnt lgkmcnt(1)
	v_mul_f64 v[104:105], v[158:159], v[106:107]
	v_add_f64 v[90:91], v[90:91], -v[138:139]
	;; [unrolled: 16-line block ×11, first 2 shown]
	v_fma_f64 v[104:105], v[156:157], v[132:133], -v[104:105]
	v_mul_f64 v[138:139], v[156:157], v[106:107]
	v_fmac_f64_e32 v[138:139], v[158:159], v[132:133]
	v_add_f64 v[8:9], v[8:9], -v[104:105]
	ds_read2_b64 v[156:159], v144 offset0:62 offset1:63
	s_waitcnt lgkmcnt(1)
	v_mul_f64 v[104:105], v[136:137], v[106:107]
	v_fma_f64 v[104:105], v[134:135], v[132:133], -v[104:105]
	v_mul_f64 v[134:135], v[134:135], v[106:107]
	v_fmac_f64_e32 v[134:135], v[136:137], v[132:133]
	v_add_f64 v[6:7], v[6:7], -v[134:135]
	ds_read2_b64 v[134:137], v144 offset0:64 offset1:65
	v_add_f64 v[4:5], v[4:5], -v[104:105]
	s_waitcnt lgkmcnt(1)
	v_mul_f64 v[104:105], v[158:159], v[106:107]
	v_fma_f64 v[104:105], v[156:157], v[132:133], -v[104:105]
	v_add_f64 v[0:1], v[0:1], -v[104:105]
	s_waitcnt lgkmcnt(0)
	v_mul_f64 v[104:105], v[136:137], v[106:107]
	v_add_f64 v[10:11], v[10:11], -v[138:139]
	v_mul_f64 v[138:139], v[156:157], v[106:107]
	v_fma_f64 v[104:105], v[134:135], v[132:133], -v[104:105]
	v_mul_f64 v[134:135], v[134:135], v[106:107]
	v_fmac_f64_e32 v[138:139], v[158:159], v[132:133]
	v_fmac_f64_e32 v[134:135], v[136:137], v[132:133]
	v_add_f64 v[2:3], v[2:3], -v[138:139]
	v_add_f64 v[128:129], v[128:129], -v[104:105]
	;; [unrolled: 1-line block ×3, first 2 shown]
	v_mov_b64_e32 v[104:105], v[132:133]
.LBB65_55:
	s_or_b64 exec, exec, s[2:3]
	v_cmp_eq_u32_e32 vcc, 6, v142
	s_waitcnt vmcnt(63) expcnt(7) lgkmcnt(15)
	s_barrier
	s_and_saveexec_b64 s[4:5], vcc
	s_cbranch_execz .LBB65_62
; %bb.56:
	s_waitcnt vmcnt(62)
	ds_write2_b64 v143, v[100:101], v[102:103] offset1:1
	s_waitcnt vmcnt(61)
	ds_write2_b64 v144, v[96:97], v[98:99] offset0:14 offset1:15
	s_waitcnt vmcnt(60)
	ds_write2_b64 v144, v[92:93], v[94:95] offset0:16 offset1:17
	;; [unrolled: 2-line block ×24, first 2 shown]
	ds_write2_b64 v144, v[0:1], v[2:3] offset0:62 offset1:63
	s_waitcnt vmcnt(15)
	ds_write2_b64 v144, v[128:129], v[130:131] offset0:64 offset1:65
	ds_read2_b64 v[132:135], v143 offset1:1
	s_waitcnt lgkmcnt(0)
	v_cmp_neq_f64_e32 vcc, 0, v[132:133]
	v_cmp_neq_f64_e64 s[2:3], 0, v[134:135]
	s_or_b64 s[2:3], vcc, s[2:3]
	s_and_b64 exec, exec, s[2:3]
	s_cbranch_execz .LBB65_62
; %bb.57:
	v_cmp_ngt_f64_e64 s[2:3], |v[132:133]|, |v[134:135]|
                                        ; implicit-def: $vgpr136_vgpr137
	s_and_saveexec_b64 s[10:11], s[2:3]
	s_xor_b64 s[2:3], exec, s[10:11]
                                        ; implicit-def: $vgpr138_vgpr139
	s_cbranch_execz .LBB65_59
; %bb.58:
	v_div_scale_f64 v[136:137], s[10:11], v[134:135], v[134:135], v[132:133]
	v_rcp_f64_e32 v[138:139], v[136:137]
	v_div_scale_f64 v[146:147], vcc, v[132:133], v[134:135], v[132:133]
	v_fma_f64 v[156:157], -v[136:137], v[138:139], 1.0
	v_fmac_f64_e32 v[138:139], v[138:139], v[156:157]
	v_fma_f64 v[156:157], -v[136:137], v[138:139], 1.0
	v_fmac_f64_e32 v[138:139], v[138:139], v[156:157]
	v_mul_f64 v[156:157], v[146:147], v[138:139]
	v_fma_f64 v[136:137], -v[136:137], v[156:157], v[146:147]
	v_div_fmas_f64 v[136:137], v[136:137], v[138:139], v[156:157]
	v_div_fixup_f64 v[136:137], v[136:137], v[134:135], v[132:133]
	v_fmac_f64_e32 v[134:135], v[132:133], v[136:137]
	v_div_scale_f64 v[132:133], s[10:11], v[134:135], v[134:135], 1.0
	v_rcp_f64_e32 v[138:139], v[132:133]
	s_nop 0
	v_fma_f64 v[146:147], -v[132:133], v[138:139], 1.0
	v_fmac_f64_e32 v[138:139], v[138:139], v[146:147]
	v_fma_f64 v[146:147], -v[132:133], v[138:139], 1.0
	v_fmac_f64_e32 v[138:139], v[138:139], v[146:147]
	v_div_scale_f64 v[146:147], vcc, 1.0, v[134:135], 1.0
	v_mul_f64 v[156:157], v[146:147], v[138:139]
	v_fma_f64 v[132:133], -v[132:133], v[156:157], v[146:147]
	s_nop 1
	v_div_fmas_f64 v[132:133], v[132:133], v[138:139], v[156:157]
	v_div_fixup_f64 v[138:139], v[132:133], v[134:135], 1.0
	v_mul_f64 v[136:137], v[136:137], v[138:139]
	v_xor_b32_e32 v139, 0x80000000, v139
                                        ; implicit-def: $vgpr132_vgpr133
.LBB65_59:
	s_andn2_saveexec_b64 s[2:3], s[2:3]
	s_cbranch_execz .LBB65_61
; %bb.60:
	v_div_scale_f64 v[136:137], s[10:11], v[132:133], v[132:133], v[134:135]
	v_rcp_f64_e32 v[138:139], v[136:137]
	v_div_scale_f64 v[146:147], vcc, v[134:135], v[132:133], v[134:135]
	v_fma_f64 v[156:157], -v[136:137], v[138:139], 1.0
	v_fmac_f64_e32 v[138:139], v[138:139], v[156:157]
	v_fma_f64 v[156:157], -v[136:137], v[138:139], 1.0
	v_fmac_f64_e32 v[138:139], v[138:139], v[156:157]
	v_mul_f64 v[156:157], v[146:147], v[138:139]
	v_fma_f64 v[136:137], -v[136:137], v[156:157], v[146:147]
	v_div_fmas_f64 v[136:137], v[136:137], v[138:139], v[156:157]
	v_div_fixup_f64 v[138:139], v[136:137], v[132:133], v[134:135]
	v_fmac_f64_e32 v[132:133], v[134:135], v[138:139]
	v_div_scale_f64 v[134:135], s[10:11], v[132:133], v[132:133], 1.0
	v_rcp_f64_e32 v[136:137], v[134:135]
	s_nop 0
	v_fma_f64 v[146:147], -v[134:135], v[136:137], 1.0
	v_fmac_f64_e32 v[136:137], v[136:137], v[146:147]
	v_fma_f64 v[146:147], -v[134:135], v[136:137], 1.0
	v_fmac_f64_e32 v[136:137], v[136:137], v[146:147]
	v_div_scale_f64 v[146:147], vcc, 1.0, v[132:133], 1.0
	v_mul_f64 v[156:157], v[146:147], v[136:137]
	v_fma_f64 v[134:135], -v[134:135], v[156:157], v[146:147]
	s_nop 1
	v_div_fmas_f64 v[134:135], v[134:135], v[136:137], v[156:157]
	v_div_fixup_f64 v[136:137], v[134:135], v[132:133], 1.0
	v_mul_f64 v[138:139], v[138:139], -v[136:137]
.LBB65_61:
	s_or_b64 exec, exec, s[2:3]
	ds_write2_b64 v143, v[136:137], v[138:139] offset1:1
.LBB65_62:
	s_or_b64 exec, exec, s[4:5]
	s_waitcnt lgkmcnt(0)
	s_barrier
	ds_read2_b64 v[156:159], v143 offset1:1
	v_cmp_lt_u32_e32 vcc, 6, v142
	s_and_saveexec_b64 s[2:3], vcc
	s_cbranch_execz .LBB65_64
; %bb.63:
	ds_read2_b64 v[134:137], v144 offset0:14 offset1:15
	ds_read2_b64 v[160:163], v144 offset0:16 offset1:17
	s_waitcnt vmcnt(62) lgkmcnt(2)
	v_mul_f64 v[132:133], v[158:159], v[102:103]
	v_mul_f64 v[102:103], v[156:157], v[102:103]
	v_fmac_f64_e32 v[102:103], v[158:159], v[100:101]
	v_fma_f64 v[132:133], v[156:157], v[100:101], -v[132:133]
	s_waitcnt lgkmcnt(1)
	v_mul_f64 v[100:101], v[136:137], v[102:103]
	v_fma_f64 v[100:101], v[134:135], v[132:133], -v[100:101]
	v_mul_f64 v[134:135], v[134:135], v[102:103]
	v_fmac_f64_e32 v[134:135], v[136:137], v[132:133]
	s_waitcnt vmcnt(61)
	v_add_f64 v[98:99], v[98:99], -v[134:135]
	ds_read2_b64 v[134:137], v144 offset0:18 offset1:19
	v_add_f64 v[96:97], v[96:97], -v[100:101]
	s_waitcnt lgkmcnt(1)
	v_mul_f64 v[100:101], v[162:163], v[102:103]
	v_fma_f64 v[100:101], v[160:161], v[132:133], -v[100:101]
	v_mul_f64 v[138:139], v[160:161], v[102:103]
	v_fmac_f64_e32 v[138:139], v[162:163], v[132:133]
	s_waitcnt vmcnt(60)
	v_add_f64 v[92:93], v[92:93], -v[100:101]
	ds_read2_b64 v[160:163], v144 offset0:20 offset1:21
	s_waitcnt lgkmcnt(1)
	v_mul_f64 v[100:101], v[136:137], v[102:103]
	v_fma_f64 v[100:101], v[134:135], v[132:133], -v[100:101]
	v_mul_f64 v[134:135], v[134:135], v[102:103]
	v_fmac_f64_e32 v[134:135], v[136:137], v[132:133]
	s_waitcnt vmcnt(59)
	v_add_f64 v[90:91], v[90:91], -v[134:135]
	ds_read2_b64 v[134:137], v144 offset0:22 offset1:23
	v_add_f64 v[88:89], v[88:89], -v[100:101]
	s_waitcnt lgkmcnt(1)
	v_mul_f64 v[100:101], v[162:163], v[102:103]
	v_add_f64 v[94:95], v[94:95], -v[138:139]
	v_fma_f64 v[100:101], v[160:161], v[132:133], -v[100:101]
	v_mul_f64 v[138:139], v[160:161], v[102:103]
	v_fmac_f64_e32 v[138:139], v[162:163], v[132:133]
	s_waitcnt vmcnt(58)
	v_add_f64 v[84:85], v[84:85], -v[100:101]
	ds_read2_b64 v[160:163], v144 offset0:24 offset1:25
	s_waitcnt lgkmcnt(1)
	v_mul_f64 v[100:101], v[136:137], v[102:103]
	v_fma_f64 v[100:101], v[134:135], v[132:133], -v[100:101]
	v_mul_f64 v[134:135], v[134:135], v[102:103]
	v_fmac_f64_e32 v[134:135], v[136:137], v[132:133]
	s_waitcnt vmcnt(57)
	v_add_f64 v[82:83], v[82:83], -v[134:135]
	ds_read2_b64 v[134:137], v144 offset0:26 offset1:27
	v_add_f64 v[80:81], v[80:81], -v[100:101]
	s_waitcnt lgkmcnt(1)
	v_mul_f64 v[100:101], v[162:163], v[102:103]
	v_add_f64 v[86:87], v[86:87], -v[138:139]
	;; [unrolled: 18-line block ×10, first 2 shown]
	v_fma_f64 v[100:101], v[160:161], v[132:133], -v[100:101]
	v_mul_f64 v[138:139], v[160:161], v[102:103]
	v_fmac_f64_e32 v[138:139], v[162:163], v[132:133]
	s_waitcnt vmcnt(19)
	v_add_f64 v[12:13], v[12:13], -v[100:101]
	ds_read2_b64 v[160:163], v144 offset0:60 offset1:61
	s_waitcnt lgkmcnt(1)
	v_mul_f64 v[100:101], v[136:137], v[102:103]
	v_fma_f64 v[100:101], v[134:135], v[132:133], -v[100:101]
	v_mul_f64 v[134:135], v[134:135], v[102:103]
	v_fmac_f64_e32 v[134:135], v[136:137], v[132:133]
	s_waitcnt vmcnt(18)
	v_add_f64 v[10:11], v[10:11], -v[134:135]
	ds_read2_b64 v[134:137], v144 offset0:62 offset1:63
	v_add_f64 v[14:15], v[14:15], -v[138:139]
	v_add_f64 v[8:9], v[8:9], -v[100:101]
	s_waitcnt lgkmcnt(1)
	v_mul_f64 v[100:101], v[162:163], v[102:103]
	v_mul_f64 v[138:139], v[160:161], v[102:103]
	v_fma_f64 v[100:101], v[160:161], v[132:133], -v[100:101]
	v_fmac_f64_e32 v[138:139], v[162:163], v[132:133]
	ds_read2_b64 v[160:163], v144 offset0:64 offset1:65
	s_waitcnt vmcnt(17)
	v_add_f64 v[4:5], v[4:5], -v[100:101]
	s_waitcnt lgkmcnt(1)
	v_mul_f64 v[100:101], v[136:137], v[102:103]
	v_fma_f64 v[100:101], v[134:135], v[132:133], -v[100:101]
	v_mul_f64 v[134:135], v[134:135], v[102:103]
	v_fmac_f64_e32 v[134:135], v[136:137], v[132:133]
	v_add_f64 v[0:1], v[0:1], -v[100:101]
	v_add_f64 v[2:3], v[2:3], -v[134:135]
	s_waitcnt lgkmcnt(0)
	v_mul_f64 v[100:101], v[162:163], v[102:103]
	v_mul_f64 v[134:135], v[160:161], v[102:103]
	v_fma_f64 v[100:101], v[160:161], v[132:133], -v[100:101]
	v_fmac_f64_e32 v[134:135], v[162:163], v[132:133]
	v_add_f64 v[6:7], v[6:7], -v[138:139]
	s_waitcnt vmcnt(15)
	v_add_f64 v[128:129], v[128:129], -v[100:101]
	v_add_f64 v[130:131], v[130:131], -v[134:135]
	v_mov_b64_e32 v[100:101], v[132:133]
.LBB65_64:
	s_or_b64 exec, exec, s[2:3]
	v_cmp_eq_u32_e32 vcc, 7, v142
	s_waitcnt lgkmcnt(0)
	s_barrier
	s_and_saveexec_b64 s[4:5], vcc
	s_cbranch_execz .LBB65_71
; %bb.65:
	s_waitcnt vmcnt(61)
	ds_write2_b64 v143, v[96:97], v[98:99] offset1:1
	s_waitcnt vmcnt(60)
	ds_write2_b64 v144, v[92:93], v[94:95] offset0:16 offset1:17
	s_waitcnt vmcnt(59)
	ds_write2_b64 v144, v[88:89], v[90:91] offset0:18 offset1:19
	;; [unrolled: 2-line block ×23, first 2 shown]
	ds_write2_b64 v144, v[0:1], v[2:3] offset0:62 offset1:63
	s_waitcnt vmcnt(15)
	ds_write2_b64 v144, v[128:129], v[130:131] offset0:64 offset1:65
	ds_read2_b64 v[132:135], v143 offset1:1
	s_waitcnt lgkmcnt(0)
	v_cmp_neq_f64_e32 vcc, 0, v[132:133]
	v_cmp_neq_f64_e64 s[2:3], 0, v[134:135]
	s_or_b64 s[2:3], vcc, s[2:3]
	s_and_b64 exec, exec, s[2:3]
	s_cbranch_execz .LBB65_71
; %bb.66:
	v_cmp_ngt_f64_e64 s[2:3], |v[132:133]|, |v[134:135]|
                                        ; implicit-def: $vgpr136_vgpr137
	s_and_saveexec_b64 s[10:11], s[2:3]
	s_xor_b64 s[2:3], exec, s[10:11]
                                        ; implicit-def: $vgpr138_vgpr139
	s_cbranch_execz .LBB65_68
; %bb.67:
	v_div_scale_f64 v[136:137], s[10:11], v[134:135], v[134:135], v[132:133]
	v_rcp_f64_e32 v[138:139], v[136:137]
	v_div_scale_f64 v[146:147], vcc, v[132:133], v[134:135], v[132:133]
	v_fma_f64 v[160:161], -v[136:137], v[138:139], 1.0
	v_fmac_f64_e32 v[138:139], v[138:139], v[160:161]
	v_fma_f64 v[160:161], -v[136:137], v[138:139], 1.0
	v_fmac_f64_e32 v[138:139], v[138:139], v[160:161]
	v_mul_f64 v[160:161], v[146:147], v[138:139]
	v_fma_f64 v[136:137], -v[136:137], v[160:161], v[146:147]
	v_div_fmas_f64 v[136:137], v[136:137], v[138:139], v[160:161]
	v_div_fixup_f64 v[136:137], v[136:137], v[134:135], v[132:133]
	v_fmac_f64_e32 v[134:135], v[132:133], v[136:137]
	v_div_scale_f64 v[132:133], s[10:11], v[134:135], v[134:135], 1.0
	v_rcp_f64_e32 v[138:139], v[132:133]
	s_nop 0
	v_fma_f64 v[146:147], -v[132:133], v[138:139], 1.0
	v_fmac_f64_e32 v[138:139], v[138:139], v[146:147]
	v_fma_f64 v[146:147], -v[132:133], v[138:139], 1.0
	v_fmac_f64_e32 v[138:139], v[138:139], v[146:147]
	v_div_scale_f64 v[146:147], vcc, 1.0, v[134:135], 1.0
	v_mul_f64 v[160:161], v[146:147], v[138:139]
	v_fma_f64 v[132:133], -v[132:133], v[160:161], v[146:147]
	s_nop 1
	v_div_fmas_f64 v[132:133], v[132:133], v[138:139], v[160:161]
	v_div_fixup_f64 v[138:139], v[132:133], v[134:135], 1.0
	v_mul_f64 v[136:137], v[136:137], v[138:139]
	v_xor_b32_e32 v139, 0x80000000, v139
                                        ; implicit-def: $vgpr132_vgpr133
.LBB65_68:
	s_andn2_saveexec_b64 s[2:3], s[2:3]
	s_cbranch_execz .LBB65_70
; %bb.69:
	v_div_scale_f64 v[136:137], s[10:11], v[132:133], v[132:133], v[134:135]
	v_rcp_f64_e32 v[138:139], v[136:137]
	v_div_scale_f64 v[146:147], vcc, v[134:135], v[132:133], v[134:135]
	v_fma_f64 v[160:161], -v[136:137], v[138:139], 1.0
	v_fmac_f64_e32 v[138:139], v[138:139], v[160:161]
	v_fma_f64 v[160:161], -v[136:137], v[138:139], 1.0
	v_fmac_f64_e32 v[138:139], v[138:139], v[160:161]
	v_mul_f64 v[160:161], v[146:147], v[138:139]
	v_fma_f64 v[136:137], -v[136:137], v[160:161], v[146:147]
	v_div_fmas_f64 v[136:137], v[136:137], v[138:139], v[160:161]
	v_div_fixup_f64 v[138:139], v[136:137], v[132:133], v[134:135]
	v_fmac_f64_e32 v[132:133], v[134:135], v[138:139]
	v_div_scale_f64 v[134:135], s[10:11], v[132:133], v[132:133], 1.0
	v_rcp_f64_e32 v[136:137], v[134:135]
	s_nop 0
	v_fma_f64 v[146:147], -v[134:135], v[136:137], 1.0
	v_fmac_f64_e32 v[136:137], v[136:137], v[146:147]
	v_fma_f64 v[146:147], -v[134:135], v[136:137], 1.0
	v_fmac_f64_e32 v[136:137], v[136:137], v[146:147]
	v_div_scale_f64 v[146:147], vcc, 1.0, v[132:133], 1.0
	v_mul_f64 v[160:161], v[146:147], v[136:137]
	v_fma_f64 v[134:135], -v[134:135], v[160:161], v[146:147]
	s_nop 1
	v_div_fmas_f64 v[134:135], v[134:135], v[136:137], v[160:161]
	v_div_fixup_f64 v[136:137], v[134:135], v[132:133], 1.0
	v_mul_f64 v[138:139], v[138:139], -v[136:137]
.LBB65_70:
	s_or_b64 exec, exec, s[2:3]
	ds_write2_b64 v143, v[136:137], v[138:139] offset1:1
.LBB65_71:
	s_or_b64 exec, exec, s[4:5]
	s_waitcnt lgkmcnt(0)
	s_barrier
	ds_read2_b64 v[160:163], v143 offset1:1
	v_cmp_lt_u32_e32 vcc, 7, v142
	s_and_saveexec_b64 s[2:3], vcc
	s_cbranch_execz .LBB65_73
; %bb.72:
	ds_read2_b64 v[134:137], v144 offset0:16 offset1:17
	ds_read2_b64 v[164:167], v144 offset0:18 offset1:19
	s_waitcnt vmcnt(61) lgkmcnt(2)
	v_mul_f64 v[132:133], v[162:163], v[98:99]
	v_mul_f64 v[98:99], v[160:161], v[98:99]
	v_fmac_f64_e32 v[98:99], v[162:163], v[96:97]
	v_fma_f64 v[132:133], v[160:161], v[96:97], -v[132:133]
	s_waitcnt lgkmcnt(1)
	v_mul_f64 v[96:97], v[136:137], v[98:99]
	v_fma_f64 v[96:97], v[134:135], v[132:133], -v[96:97]
	v_mul_f64 v[134:135], v[134:135], v[98:99]
	v_fmac_f64_e32 v[134:135], v[136:137], v[132:133]
	s_waitcnt vmcnt(60)
	v_add_f64 v[94:95], v[94:95], -v[134:135]
	ds_read2_b64 v[134:137], v144 offset0:20 offset1:21
	v_add_f64 v[92:93], v[92:93], -v[96:97]
	s_waitcnt lgkmcnt(1)
	v_mul_f64 v[96:97], v[166:167], v[98:99]
	v_fma_f64 v[96:97], v[164:165], v[132:133], -v[96:97]
	v_mul_f64 v[138:139], v[164:165], v[98:99]
	v_fmac_f64_e32 v[138:139], v[166:167], v[132:133]
	s_waitcnt vmcnt(59)
	v_add_f64 v[88:89], v[88:89], -v[96:97]
	ds_read2_b64 v[164:167], v144 offset0:22 offset1:23
	s_waitcnt lgkmcnt(1)
	v_mul_f64 v[96:97], v[136:137], v[98:99]
	v_fma_f64 v[96:97], v[134:135], v[132:133], -v[96:97]
	v_mul_f64 v[134:135], v[134:135], v[98:99]
	v_fmac_f64_e32 v[134:135], v[136:137], v[132:133]
	s_waitcnt vmcnt(58)
	v_add_f64 v[86:87], v[86:87], -v[134:135]
	ds_read2_b64 v[134:137], v144 offset0:24 offset1:25
	v_add_f64 v[84:85], v[84:85], -v[96:97]
	s_waitcnt lgkmcnt(1)
	v_mul_f64 v[96:97], v[166:167], v[98:99]
	v_add_f64 v[90:91], v[90:91], -v[138:139]
	v_fma_f64 v[96:97], v[164:165], v[132:133], -v[96:97]
	v_mul_f64 v[138:139], v[164:165], v[98:99]
	v_fmac_f64_e32 v[138:139], v[166:167], v[132:133]
	s_waitcnt vmcnt(57)
	v_add_f64 v[80:81], v[80:81], -v[96:97]
	ds_read2_b64 v[164:167], v144 offset0:26 offset1:27
	s_waitcnt lgkmcnt(1)
	v_mul_f64 v[96:97], v[136:137], v[98:99]
	v_fma_f64 v[96:97], v[134:135], v[132:133], -v[96:97]
	v_mul_f64 v[134:135], v[134:135], v[98:99]
	v_fmac_f64_e32 v[134:135], v[136:137], v[132:133]
	s_waitcnt vmcnt(56)
	v_add_f64 v[78:79], v[78:79], -v[134:135]
	ds_read2_b64 v[134:137], v144 offset0:28 offset1:29
	v_add_f64 v[76:77], v[76:77], -v[96:97]
	s_waitcnt lgkmcnt(1)
	v_mul_f64 v[96:97], v[166:167], v[98:99]
	v_add_f64 v[82:83], v[82:83], -v[138:139]
	v_fma_f64 v[96:97], v[164:165], v[132:133], -v[96:97]
	v_mul_f64 v[138:139], v[164:165], v[98:99]
	v_fmac_f64_e32 v[138:139], v[166:167], v[132:133]
	s_waitcnt vmcnt(55)
	v_add_f64 v[72:73], v[72:73], -v[96:97]
	ds_read2_b64 v[164:167], v144 offset0:30 offset1:31
	s_waitcnt lgkmcnt(1)
	v_mul_f64 v[96:97], v[136:137], v[98:99]
	v_fma_f64 v[96:97], v[134:135], v[132:133], -v[96:97]
	v_mul_f64 v[134:135], v[134:135], v[98:99]
	v_fmac_f64_e32 v[134:135], v[136:137], v[132:133]
	s_waitcnt vmcnt(54)
	v_add_f64 v[70:71], v[70:71], -v[134:135]
	ds_read2_b64 v[134:137], v144 offset0:32 offset1:33
	v_add_f64 v[68:69], v[68:69], -v[96:97]
	s_waitcnt lgkmcnt(1)
	v_mul_f64 v[96:97], v[166:167], v[98:99]
	v_add_f64 v[74:75], v[74:75], -v[138:139]
	v_fma_f64 v[96:97], v[164:165], v[132:133], -v[96:97]
	v_mul_f64 v[138:139], v[164:165], v[98:99]
	v_fmac_f64_e32 v[138:139], v[166:167], v[132:133]
	s_waitcnt vmcnt(53)
	v_add_f64 v[64:65], v[64:65], -v[96:97]
	ds_read2_b64 v[164:167], v144 offset0:34 offset1:35
	s_waitcnt lgkmcnt(1)
	v_mul_f64 v[96:97], v[136:137], v[98:99]
	v_fma_f64 v[96:97], v[134:135], v[132:133], -v[96:97]
	v_mul_f64 v[134:135], v[134:135], v[98:99]
	v_fmac_f64_e32 v[134:135], v[136:137], v[132:133]
	s_waitcnt vmcnt(52)
	v_add_f64 v[62:63], v[62:63], -v[134:135]
	ds_read2_b64 v[134:137], v144 offset0:36 offset1:37
	v_add_f64 v[60:61], v[60:61], -v[96:97]
	s_waitcnt lgkmcnt(1)
	v_mul_f64 v[96:97], v[166:167], v[98:99]
	v_add_f64 v[66:67], v[66:67], -v[138:139]
	v_fma_f64 v[96:97], v[164:165], v[132:133], -v[96:97]
	v_mul_f64 v[138:139], v[164:165], v[98:99]
	v_fmac_f64_e32 v[138:139], v[166:167], v[132:133]
	s_waitcnt vmcnt(51)
	v_add_f64 v[56:57], v[56:57], -v[96:97]
	ds_read2_b64 v[164:167], v144 offset0:38 offset1:39
	s_waitcnt lgkmcnt(1)
	v_mul_f64 v[96:97], v[136:137], v[98:99]
	v_fma_f64 v[96:97], v[134:135], v[132:133], -v[96:97]
	v_mul_f64 v[134:135], v[134:135], v[98:99]
	v_fmac_f64_e32 v[134:135], v[136:137], v[132:133]
	s_waitcnt vmcnt(50)
	v_add_f64 v[54:55], v[54:55], -v[134:135]
	ds_read2_b64 v[134:137], v144 offset0:40 offset1:41
	v_add_f64 v[52:53], v[52:53], -v[96:97]
	s_waitcnt lgkmcnt(1)
	v_mul_f64 v[96:97], v[166:167], v[98:99]
	v_add_f64 v[58:59], v[58:59], -v[138:139]
	v_fma_f64 v[96:97], v[164:165], v[132:133], -v[96:97]
	v_mul_f64 v[138:139], v[164:165], v[98:99]
	v_fmac_f64_e32 v[138:139], v[166:167], v[132:133]
	s_waitcnt vmcnt(49)
	v_add_f64 v[48:49], v[48:49], -v[96:97]
	ds_read2_b64 v[164:167], v144 offset0:42 offset1:43
	s_waitcnt lgkmcnt(1)
	v_mul_f64 v[96:97], v[136:137], v[98:99]
	v_fma_f64 v[96:97], v[134:135], v[132:133], -v[96:97]
	v_mul_f64 v[134:135], v[134:135], v[98:99]
	v_fmac_f64_e32 v[134:135], v[136:137], v[132:133]
	s_waitcnt vmcnt(48)
	v_add_f64 v[46:47], v[46:47], -v[134:135]
	ds_read2_b64 v[134:137], v144 offset0:44 offset1:45
	v_add_f64 v[44:45], v[44:45], -v[96:97]
	s_waitcnt lgkmcnt(1)
	v_mul_f64 v[96:97], v[166:167], v[98:99]
	v_add_f64 v[50:51], v[50:51], -v[138:139]
	v_fma_f64 v[96:97], v[164:165], v[132:133], -v[96:97]
	v_mul_f64 v[138:139], v[164:165], v[98:99]
	v_fmac_f64_e32 v[138:139], v[166:167], v[132:133]
	s_waitcnt vmcnt(27)
	v_add_f64 v[40:41], v[40:41], -v[96:97]
	ds_read2_b64 v[164:167], v144 offset0:46 offset1:47
	s_waitcnt lgkmcnt(1)
	v_mul_f64 v[96:97], v[136:137], v[98:99]
	v_fma_f64 v[96:97], v[134:135], v[132:133], -v[96:97]
	v_mul_f64 v[134:135], v[134:135], v[98:99]
	v_fmac_f64_e32 v[134:135], v[136:137], v[132:133]
	s_waitcnt vmcnt(25)
	v_add_f64 v[38:39], v[38:39], -v[134:135]
	ds_read2_b64 v[134:137], v144 offset0:48 offset1:49
	v_add_f64 v[36:37], v[36:37], -v[96:97]
	s_waitcnt lgkmcnt(1)
	v_mul_f64 v[96:97], v[166:167], v[98:99]
	v_add_f64 v[42:43], v[42:43], -v[138:139]
	v_fma_f64 v[96:97], v[164:165], v[132:133], -v[96:97]
	v_mul_f64 v[138:139], v[164:165], v[98:99]
	v_fmac_f64_e32 v[138:139], v[166:167], v[132:133]
	s_waitcnt vmcnt(24)
	v_add_f64 v[32:33], v[32:33], -v[96:97]
	ds_read2_b64 v[164:167], v144 offset0:50 offset1:51
	s_waitcnt lgkmcnt(1)
	v_mul_f64 v[96:97], v[136:137], v[98:99]
	v_fma_f64 v[96:97], v[134:135], v[132:133], -v[96:97]
	v_mul_f64 v[134:135], v[134:135], v[98:99]
	v_fmac_f64_e32 v[134:135], v[136:137], v[132:133]
	s_waitcnt vmcnt(23)
	v_add_f64 v[30:31], v[30:31], -v[134:135]
	ds_read2_b64 v[134:137], v144 offset0:52 offset1:53
	v_add_f64 v[28:29], v[28:29], -v[96:97]
	s_waitcnt lgkmcnt(1)
	v_mul_f64 v[96:97], v[166:167], v[98:99]
	v_add_f64 v[34:35], v[34:35], -v[138:139]
	v_fma_f64 v[96:97], v[164:165], v[132:133], -v[96:97]
	v_mul_f64 v[138:139], v[164:165], v[98:99]
	v_fmac_f64_e32 v[138:139], v[166:167], v[132:133]
	s_waitcnt vmcnt(22)
	v_add_f64 v[24:25], v[24:25], -v[96:97]
	ds_read2_b64 v[164:167], v144 offset0:54 offset1:55
	s_waitcnt lgkmcnt(1)
	v_mul_f64 v[96:97], v[136:137], v[98:99]
	v_fma_f64 v[96:97], v[134:135], v[132:133], -v[96:97]
	v_mul_f64 v[134:135], v[134:135], v[98:99]
	v_fmac_f64_e32 v[134:135], v[136:137], v[132:133]
	s_waitcnt vmcnt(21)
	v_add_f64 v[22:23], v[22:23], -v[134:135]
	ds_read2_b64 v[134:137], v144 offset0:56 offset1:57
	v_add_f64 v[20:21], v[20:21], -v[96:97]
	s_waitcnt lgkmcnt(1)
	v_mul_f64 v[96:97], v[166:167], v[98:99]
	v_add_f64 v[26:27], v[26:27], -v[138:139]
	v_fma_f64 v[96:97], v[164:165], v[132:133], -v[96:97]
	v_mul_f64 v[138:139], v[164:165], v[98:99]
	v_fmac_f64_e32 v[138:139], v[166:167], v[132:133]
	s_waitcnt vmcnt(20)
	v_add_f64 v[16:17], v[16:17], -v[96:97]
	ds_read2_b64 v[164:167], v144 offset0:58 offset1:59
	s_waitcnt lgkmcnt(1)
	v_mul_f64 v[96:97], v[136:137], v[98:99]
	v_fma_f64 v[96:97], v[134:135], v[132:133], -v[96:97]
	v_mul_f64 v[134:135], v[134:135], v[98:99]
	v_fmac_f64_e32 v[134:135], v[136:137], v[132:133]
	s_waitcnt vmcnt(19)
	v_add_f64 v[14:15], v[14:15], -v[134:135]
	ds_read2_b64 v[134:137], v144 offset0:60 offset1:61
	v_add_f64 v[12:13], v[12:13], -v[96:97]
	s_waitcnt lgkmcnt(1)
	v_mul_f64 v[96:97], v[166:167], v[98:99]
	v_add_f64 v[18:19], v[18:19], -v[138:139]
	v_fma_f64 v[96:97], v[164:165], v[132:133], -v[96:97]
	v_mul_f64 v[138:139], v[164:165], v[98:99]
	v_fmac_f64_e32 v[138:139], v[166:167], v[132:133]
	s_waitcnt vmcnt(18)
	v_add_f64 v[8:9], v[8:9], -v[96:97]
	ds_read2_b64 v[164:167], v144 offset0:62 offset1:63
	s_waitcnt lgkmcnt(1)
	v_mul_f64 v[96:97], v[136:137], v[98:99]
	v_fma_f64 v[96:97], v[134:135], v[132:133], -v[96:97]
	v_mul_f64 v[134:135], v[134:135], v[98:99]
	v_fmac_f64_e32 v[134:135], v[136:137], v[132:133]
	s_waitcnt vmcnt(17)
	v_add_f64 v[6:7], v[6:7], -v[134:135]
	ds_read2_b64 v[134:137], v144 offset0:64 offset1:65
	v_add_f64 v[4:5], v[4:5], -v[96:97]
	s_waitcnt lgkmcnt(1)
	v_mul_f64 v[96:97], v[166:167], v[98:99]
	v_fma_f64 v[96:97], v[164:165], v[132:133], -v[96:97]
	v_add_f64 v[0:1], v[0:1], -v[96:97]
	s_waitcnt lgkmcnt(0)
	v_mul_f64 v[96:97], v[136:137], v[98:99]
	v_add_f64 v[10:11], v[10:11], -v[138:139]
	v_mul_f64 v[138:139], v[164:165], v[98:99]
	v_fma_f64 v[96:97], v[134:135], v[132:133], -v[96:97]
	v_mul_f64 v[134:135], v[134:135], v[98:99]
	v_fmac_f64_e32 v[138:139], v[166:167], v[132:133]
	v_fmac_f64_e32 v[134:135], v[136:137], v[132:133]
	v_add_f64 v[2:3], v[2:3], -v[138:139]
	s_waitcnt vmcnt(15)
	v_add_f64 v[128:129], v[128:129], -v[96:97]
	v_add_f64 v[130:131], v[130:131], -v[134:135]
	v_mov_b64_e32 v[96:97], v[132:133]
.LBB65_73:
	s_or_b64 exec, exec, s[2:3]
	v_cmp_eq_u32_e32 vcc, 8, v142
	s_waitcnt lgkmcnt(0)
	s_barrier
	s_and_saveexec_b64 s[4:5], vcc
	s_cbranch_execz .LBB65_80
; %bb.74:
	s_waitcnt vmcnt(60)
	ds_write2_b64 v143, v[92:93], v[94:95] offset1:1
	s_waitcnt vmcnt(59)
	ds_write2_b64 v144, v[88:89], v[90:91] offset0:18 offset1:19
	s_waitcnt vmcnt(58)
	ds_write2_b64 v144, v[84:85], v[86:87] offset0:20 offset1:21
	;; [unrolled: 2-line block ×22, first 2 shown]
	ds_write2_b64 v144, v[0:1], v[2:3] offset0:62 offset1:63
	s_waitcnt vmcnt(15)
	ds_write2_b64 v144, v[128:129], v[130:131] offset0:64 offset1:65
	ds_read2_b64 v[132:135], v143 offset1:1
	s_waitcnt lgkmcnt(0)
	v_cmp_neq_f64_e32 vcc, 0, v[132:133]
	v_cmp_neq_f64_e64 s[2:3], 0, v[134:135]
	s_or_b64 s[2:3], vcc, s[2:3]
	s_and_b64 exec, exec, s[2:3]
	s_cbranch_execz .LBB65_80
; %bb.75:
	v_cmp_ngt_f64_e64 s[2:3], |v[132:133]|, |v[134:135]|
                                        ; implicit-def: $vgpr136_vgpr137
	s_and_saveexec_b64 s[10:11], s[2:3]
	s_xor_b64 s[2:3], exec, s[10:11]
                                        ; implicit-def: $vgpr138_vgpr139
	s_cbranch_execz .LBB65_77
; %bb.76:
	v_div_scale_f64 v[136:137], s[10:11], v[134:135], v[134:135], v[132:133]
	v_rcp_f64_e32 v[138:139], v[136:137]
	v_div_scale_f64 v[146:147], vcc, v[132:133], v[134:135], v[132:133]
	v_fma_f64 v[164:165], -v[136:137], v[138:139], 1.0
	v_fmac_f64_e32 v[138:139], v[138:139], v[164:165]
	v_fma_f64 v[164:165], -v[136:137], v[138:139], 1.0
	v_fmac_f64_e32 v[138:139], v[138:139], v[164:165]
	v_mul_f64 v[164:165], v[146:147], v[138:139]
	v_fma_f64 v[136:137], -v[136:137], v[164:165], v[146:147]
	v_div_fmas_f64 v[136:137], v[136:137], v[138:139], v[164:165]
	v_div_fixup_f64 v[136:137], v[136:137], v[134:135], v[132:133]
	v_fmac_f64_e32 v[134:135], v[132:133], v[136:137]
	v_div_scale_f64 v[132:133], s[10:11], v[134:135], v[134:135], 1.0
	v_rcp_f64_e32 v[138:139], v[132:133]
	s_nop 0
	v_fma_f64 v[146:147], -v[132:133], v[138:139], 1.0
	v_fmac_f64_e32 v[138:139], v[138:139], v[146:147]
	v_fma_f64 v[146:147], -v[132:133], v[138:139], 1.0
	v_fmac_f64_e32 v[138:139], v[138:139], v[146:147]
	v_div_scale_f64 v[146:147], vcc, 1.0, v[134:135], 1.0
	v_mul_f64 v[164:165], v[146:147], v[138:139]
	v_fma_f64 v[132:133], -v[132:133], v[164:165], v[146:147]
	s_nop 1
	v_div_fmas_f64 v[132:133], v[132:133], v[138:139], v[164:165]
	v_div_fixup_f64 v[138:139], v[132:133], v[134:135], 1.0
	v_mul_f64 v[136:137], v[136:137], v[138:139]
	v_xor_b32_e32 v139, 0x80000000, v139
                                        ; implicit-def: $vgpr132_vgpr133
.LBB65_77:
	s_andn2_saveexec_b64 s[2:3], s[2:3]
	s_cbranch_execz .LBB65_79
; %bb.78:
	v_div_scale_f64 v[136:137], s[10:11], v[132:133], v[132:133], v[134:135]
	v_rcp_f64_e32 v[138:139], v[136:137]
	v_div_scale_f64 v[146:147], vcc, v[134:135], v[132:133], v[134:135]
	v_fma_f64 v[164:165], -v[136:137], v[138:139], 1.0
	v_fmac_f64_e32 v[138:139], v[138:139], v[164:165]
	v_fma_f64 v[164:165], -v[136:137], v[138:139], 1.0
	v_fmac_f64_e32 v[138:139], v[138:139], v[164:165]
	v_mul_f64 v[164:165], v[146:147], v[138:139]
	v_fma_f64 v[136:137], -v[136:137], v[164:165], v[146:147]
	v_div_fmas_f64 v[136:137], v[136:137], v[138:139], v[164:165]
	v_div_fixup_f64 v[138:139], v[136:137], v[132:133], v[134:135]
	v_fmac_f64_e32 v[132:133], v[134:135], v[138:139]
	v_div_scale_f64 v[134:135], s[10:11], v[132:133], v[132:133], 1.0
	v_rcp_f64_e32 v[136:137], v[134:135]
	s_nop 0
	v_fma_f64 v[146:147], -v[134:135], v[136:137], 1.0
	v_fmac_f64_e32 v[136:137], v[136:137], v[146:147]
	v_fma_f64 v[146:147], -v[134:135], v[136:137], 1.0
	v_fmac_f64_e32 v[136:137], v[136:137], v[146:147]
	v_div_scale_f64 v[146:147], vcc, 1.0, v[132:133], 1.0
	v_mul_f64 v[164:165], v[146:147], v[136:137]
	v_fma_f64 v[134:135], -v[134:135], v[164:165], v[146:147]
	s_nop 1
	v_div_fmas_f64 v[134:135], v[134:135], v[136:137], v[164:165]
	v_div_fixup_f64 v[136:137], v[134:135], v[132:133], 1.0
	v_mul_f64 v[138:139], v[138:139], -v[136:137]
.LBB65_79:
	s_or_b64 exec, exec, s[2:3]
	ds_write2_b64 v143, v[136:137], v[138:139] offset1:1
.LBB65_80:
	s_or_b64 exec, exec, s[4:5]
	s_waitcnt lgkmcnt(0)
	s_barrier
	ds_read2_b64 v[164:167], v143 offset1:1
	v_cmp_lt_u32_e32 vcc, 8, v142
	s_and_saveexec_b64 s[2:3], vcc
	s_cbranch_execz .LBB65_82
; %bb.81:
	ds_read2_b64 v[134:137], v144 offset0:18 offset1:19
	ds_read2_b64 v[168:171], v144 offset0:20 offset1:21
	s_waitcnt vmcnt(60) lgkmcnt(2)
	v_mul_f64 v[132:133], v[166:167], v[94:95]
	v_mul_f64 v[94:95], v[164:165], v[94:95]
	v_fmac_f64_e32 v[94:95], v[166:167], v[92:93]
	v_fma_f64 v[132:133], v[164:165], v[92:93], -v[132:133]
	s_waitcnt lgkmcnt(1)
	v_mul_f64 v[92:93], v[136:137], v[94:95]
	v_fma_f64 v[92:93], v[134:135], v[132:133], -v[92:93]
	v_mul_f64 v[134:135], v[134:135], v[94:95]
	v_fmac_f64_e32 v[134:135], v[136:137], v[132:133]
	s_waitcnt vmcnt(59)
	v_add_f64 v[90:91], v[90:91], -v[134:135]
	ds_read2_b64 v[134:137], v144 offset0:22 offset1:23
	v_add_f64 v[88:89], v[88:89], -v[92:93]
	s_waitcnt lgkmcnt(1)
	v_mul_f64 v[92:93], v[170:171], v[94:95]
	v_fma_f64 v[92:93], v[168:169], v[132:133], -v[92:93]
	v_mul_f64 v[138:139], v[168:169], v[94:95]
	v_fmac_f64_e32 v[138:139], v[170:171], v[132:133]
	s_waitcnt vmcnt(58)
	v_add_f64 v[84:85], v[84:85], -v[92:93]
	ds_read2_b64 v[168:171], v144 offset0:24 offset1:25
	s_waitcnt lgkmcnt(1)
	v_mul_f64 v[92:93], v[136:137], v[94:95]
	v_fma_f64 v[92:93], v[134:135], v[132:133], -v[92:93]
	v_mul_f64 v[134:135], v[134:135], v[94:95]
	v_fmac_f64_e32 v[134:135], v[136:137], v[132:133]
	s_waitcnt vmcnt(57)
	v_add_f64 v[82:83], v[82:83], -v[134:135]
	ds_read2_b64 v[134:137], v144 offset0:26 offset1:27
	v_add_f64 v[80:81], v[80:81], -v[92:93]
	s_waitcnt lgkmcnt(1)
	v_mul_f64 v[92:93], v[170:171], v[94:95]
	v_add_f64 v[86:87], v[86:87], -v[138:139]
	v_fma_f64 v[92:93], v[168:169], v[132:133], -v[92:93]
	v_mul_f64 v[138:139], v[168:169], v[94:95]
	v_fmac_f64_e32 v[138:139], v[170:171], v[132:133]
	s_waitcnt vmcnt(56)
	v_add_f64 v[76:77], v[76:77], -v[92:93]
	ds_read2_b64 v[168:171], v144 offset0:28 offset1:29
	s_waitcnt lgkmcnt(1)
	v_mul_f64 v[92:93], v[136:137], v[94:95]
	v_fma_f64 v[92:93], v[134:135], v[132:133], -v[92:93]
	v_mul_f64 v[134:135], v[134:135], v[94:95]
	v_fmac_f64_e32 v[134:135], v[136:137], v[132:133]
	s_waitcnt vmcnt(55)
	v_add_f64 v[74:75], v[74:75], -v[134:135]
	ds_read2_b64 v[134:137], v144 offset0:30 offset1:31
	v_add_f64 v[72:73], v[72:73], -v[92:93]
	s_waitcnt lgkmcnt(1)
	v_mul_f64 v[92:93], v[170:171], v[94:95]
	v_add_f64 v[78:79], v[78:79], -v[138:139]
	;; [unrolled: 18-line block ×9, first 2 shown]
	v_fma_f64 v[92:93], v[168:169], v[132:133], -v[92:93]
	v_mul_f64 v[138:139], v[168:169], v[94:95]
	v_fmac_f64_e32 v[138:139], v[170:171], v[132:133]
	s_waitcnt vmcnt(19)
	v_add_f64 v[12:13], v[12:13], -v[92:93]
	ds_read2_b64 v[168:171], v144 offset0:60 offset1:61
	s_waitcnt lgkmcnt(1)
	v_mul_f64 v[92:93], v[136:137], v[94:95]
	v_fma_f64 v[92:93], v[134:135], v[132:133], -v[92:93]
	v_mul_f64 v[134:135], v[134:135], v[94:95]
	v_fmac_f64_e32 v[134:135], v[136:137], v[132:133]
	s_waitcnt vmcnt(18)
	v_add_f64 v[10:11], v[10:11], -v[134:135]
	ds_read2_b64 v[134:137], v144 offset0:62 offset1:63
	v_add_f64 v[14:15], v[14:15], -v[138:139]
	v_add_f64 v[8:9], v[8:9], -v[92:93]
	s_waitcnt lgkmcnt(1)
	v_mul_f64 v[92:93], v[170:171], v[94:95]
	v_mul_f64 v[138:139], v[168:169], v[94:95]
	v_fma_f64 v[92:93], v[168:169], v[132:133], -v[92:93]
	v_fmac_f64_e32 v[138:139], v[170:171], v[132:133]
	ds_read2_b64 v[168:171], v144 offset0:64 offset1:65
	s_waitcnt vmcnt(17)
	v_add_f64 v[4:5], v[4:5], -v[92:93]
	s_waitcnt lgkmcnt(1)
	v_mul_f64 v[92:93], v[136:137], v[94:95]
	v_fma_f64 v[92:93], v[134:135], v[132:133], -v[92:93]
	v_mul_f64 v[134:135], v[134:135], v[94:95]
	v_fmac_f64_e32 v[134:135], v[136:137], v[132:133]
	v_add_f64 v[0:1], v[0:1], -v[92:93]
	v_add_f64 v[2:3], v[2:3], -v[134:135]
	s_waitcnt lgkmcnt(0)
	v_mul_f64 v[92:93], v[170:171], v[94:95]
	v_mul_f64 v[134:135], v[168:169], v[94:95]
	v_fma_f64 v[92:93], v[168:169], v[132:133], -v[92:93]
	v_fmac_f64_e32 v[134:135], v[170:171], v[132:133]
	v_add_f64 v[6:7], v[6:7], -v[138:139]
	s_waitcnt vmcnt(15)
	v_add_f64 v[128:129], v[128:129], -v[92:93]
	v_add_f64 v[130:131], v[130:131], -v[134:135]
	v_mov_b64_e32 v[92:93], v[132:133]
.LBB65_82:
	s_or_b64 exec, exec, s[2:3]
	v_cmp_eq_u32_e32 vcc, 9, v142
	s_waitcnt lgkmcnt(0)
	s_barrier
	s_and_saveexec_b64 s[4:5], vcc
	s_cbranch_execz .LBB65_89
; %bb.83:
	s_waitcnt vmcnt(59)
	ds_write2_b64 v143, v[88:89], v[90:91] offset1:1
	s_waitcnt vmcnt(58)
	ds_write2_b64 v144, v[84:85], v[86:87] offset0:20 offset1:21
	s_waitcnt vmcnt(57)
	ds_write2_b64 v144, v[80:81], v[82:83] offset0:22 offset1:23
	;; [unrolled: 2-line block ×21, first 2 shown]
	ds_write2_b64 v144, v[0:1], v[2:3] offset0:62 offset1:63
	s_waitcnt vmcnt(15)
	ds_write2_b64 v144, v[128:129], v[130:131] offset0:64 offset1:65
	ds_read2_b64 v[132:135], v143 offset1:1
	s_waitcnt lgkmcnt(0)
	v_cmp_neq_f64_e32 vcc, 0, v[132:133]
	v_cmp_neq_f64_e64 s[2:3], 0, v[134:135]
	s_or_b64 s[2:3], vcc, s[2:3]
	s_and_b64 exec, exec, s[2:3]
	s_cbranch_execz .LBB65_89
; %bb.84:
	v_cmp_ngt_f64_e64 s[2:3], |v[132:133]|, |v[134:135]|
                                        ; implicit-def: $vgpr136_vgpr137
	s_and_saveexec_b64 s[10:11], s[2:3]
	s_xor_b64 s[2:3], exec, s[10:11]
                                        ; implicit-def: $vgpr138_vgpr139
	s_cbranch_execz .LBB65_86
; %bb.85:
	v_div_scale_f64 v[136:137], s[10:11], v[134:135], v[134:135], v[132:133]
	v_rcp_f64_e32 v[138:139], v[136:137]
	v_div_scale_f64 v[146:147], vcc, v[132:133], v[134:135], v[132:133]
	v_fma_f64 v[168:169], -v[136:137], v[138:139], 1.0
	v_fmac_f64_e32 v[138:139], v[138:139], v[168:169]
	v_fma_f64 v[168:169], -v[136:137], v[138:139], 1.0
	v_fmac_f64_e32 v[138:139], v[138:139], v[168:169]
	v_mul_f64 v[168:169], v[146:147], v[138:139]
	v_fma_f64 v[136:137], -v[136:137], v[168:169], v[146:147]
	v_div_fmas_f64 v[136:137], v[136:137], v[138:139], v[168:169]
	v_div_fixup_f64 v[136:137], v[136:137], v[134:135], v[132:133]
	v_fmac_f64_e32 v[134:135], v[132:133], v[136:137]
	v_div_scale_f64 v[132:133], s[10:11], v[134:135], v[134:135], 1.0
	v_rcp_f64_e32 v[138:139], v[132:133]
	s_nop 0
	v_fma_f64 v[146:147], -v[132:133], v[138:139], 1.0
	v_fmac_f64_e32 v[138:139], v[138:139], v[146:147]
	v_fma_f64 v[146:147], -v[132:133], v[138:139], 1.0
	v_fmac_f64_e32 v[138:139], v[138:139], v[146:147]
	v_div_scale_f64 v[146:147], vcc, 1.0, v[134:135], 1.0
	v_mul_f64 v[168:169], v[146:147], v[138:139]
	v_fma_f64 v[132:133], -v[132:133], v[168:169], v[146:147]
	s_nop 1
	v_div_fmas_f64 v[132:133], v[132:133], v[138:139], v[168:169]
	v_div_fixup_f64 v[138:139], v[132:133], v[134:135], 1.0
	v_mul_f64 v[136:137], v[136:137], v[138:139]
	v_xor_b32_e32 v139, 0x80000000, v139
                                        ; implicit-def: $vgpr132_vgpr133
.LBB65_86:
	s_andn2_saveexec_b64 s[2:3], s[2:3]
	s_cbranch_execz .LBB65_88
; %bb.87:
	v_div_scale_f64 v[136:137], s[10:11], v[132:133], v[132:133], v[134:135]
	v_rcp_f64_e32 v[138:139], v[136:137]
	v_div_scale_f64 v[146:147], vcc, v[134:135], v[132:133], v[134:135]
	v_fma_f64 v[168:169], -v[136:137], v[138:139], 1.0
	v_fmac_f64_e32 v[138:139], v[138:139], v[168:169]
	v_fma_f64 v[168:169], -v[136:137], v[138:139], 1.0
	v_fmac_f64_e32 v[138:139], v[138:139], v[168:169]
	v_mul_f64 v[168:169], v[146:147], v[138:139]
	v_fma_f64 v[136:137], -v[136:137], v[168:169], v[146:147]
	v_div_fmas_f64 v[136:137], v[136:137], v[138:139], v[168:169]
	v_div_fixup_f64 v[138:139], v[136:137], v[132:133], v[134:135]
	v_fmac_f64_e32 v[132:133], v[134:135], v[138:139]
	v_div_scale_f64 v[134:135], s[10:11], v[132:133], v[132:133], 1.0
	v_rcp_f64_e32 v[136:137], v[134:135]
	s_nop 0
	v_fma_f64 v[146:147], -v[134:135], v[136:137], 1.0
	v_fmac_f64_e32 v[136:137], v[136:137], v[146:147]
	v_fma_f64 v[146:147], -v[134:135], v[136:137], 1.0
	v_fmac_f64_e32 v[136:137], v[136:137], v[146:147]
	v_div_scale_f64 v[146:147], vcc, 1.0, v[132:133], 1.0
	v_mul_f64 v[168:169], v[146:147], v[136:137]
	v_fma_f64 v[134:135], -v[134:135], v[168:169], v[146:147]
	s_nop 1
	v_div_fmas_f64 v[134:135], v[134:135], v[136:137], v[168:169]
	v_div_fixup_f64 v[136:137], v[134:135], v[132:133], 1.0
	v_mul_f64 v[138:139], v[138:139], -v[136:137]
.LBB65_88:
	s_or_b64 exec, exec, s[2:3]
	ds_write2_b64 v143, v[136:137], v[138:139] offset1:1
.LBB65_89:
	s_or_b64 exec, exec, s[4:5]
	s_waitcnt lgkmcnt(0)
	s_barrier
	ds_read2_b64 v[168:171], v143 offset1:1
	v_cmp_lt_u32_e32 vcc, 9, v142
	s_and_saveexec_b64 s[2:3], vcc
	s_cbranch_execz .LBB65_91
; %bb.90:
	ds_read2_b64 v[134:137], v144 offset0:20 offset1:21
	ds_read2_b64 v[172:175], v144 offset0:22 offset1:23
	s_waitcnt vmcnt(59) lgkmcnt(2)
	v_mul_f64 v[132:133], v[170:171], v[90:91]
	v_mul_f64 v[90:91], v[168:169], v[90:91]
	v_fmac_f64_e32 v[90:91], v[170:171], v[88:89]
	v_fma_f64 v[132:133], v[168:169], v[88:89], -v[132:133]
	s_waitcnt lgkmcnt(1)
	v_mul_f64 v[88:89], v[136:137], v[90:91]
	v_fma_f64 v[88:89], v[134:135], v[132:133], -v[88:89]
	v_mul_f64 v[134:135], v[134:135], v[90:91]
	v_fmac_f64_e32 v[134:135], v[136:137], v[132:133]
	s_waitcnt vmcnt(58)
	v_add_f64 v[86:87], v[86:87], -v[134:135]
	ds_read2_b64 v[134:137], v144 offset0:24 offset1:25
	v_add_f64 v[84:85], v[84:85], -v[88:89]
	s_waitcnt lgkmcnt(1)
	v_mul_f64 v[88:89], v[174:175], v[90:91]
	v_fma_f64 v[88:89], v[172:173], v[132:133], -v[88:89]
	v_mul_f64 v[138:139], v[172:173], v[90:91]
	v_fmac_f64_e32 v[138:139], v[174:175], v[132:133]
	s_waitcnt vmcnt(57)
	v_add_f64 v[80:81], v[80:81], -v[88:89]
	ds_read2_b64 v[172:175], v144 offset0:26 offset1:27
	s_waitcnt lgkmcnt(1)
	v_mul_f64 v[88:89], v[136:137], v[90:91]
	v_fma_f64 v[88:89], v[134:135], v[132:133], -v[88:89]
	v_mul_f64 v[134:135], v[134:135], v[90:91]
	v_fmac_f64_e32 v[134:135], v[136:137], v[132:133]
	s_waitcnt vmcnt(56)
	v_add_f64 v[78:79], v[78:79], -v[134:135]
	ds_read2_b64 v[134:137], v144 offset0:28 offset1:29
	v_add_f64 v[76:77], v[76:77], -v[88:89]
	s_waitcnt lgkmcnt(1)
	v_mul_f64 v[88:89], v[174:175], v[90:91]
	v_add_f64 v[82:83], v[82:83], -v[138:139]
	v_fma_f64 v[88:89], v[172:173], v[132:133], -v[88:89]
	v_mul_f64 v[138:139], v[172:173], v[90:91]
	v_fmac_f64_e32 v[138:139], v[174:175], v[132:133]
	s_waitcnt vmcnt(55)
	v_add_f64 v[72:73], v[72:73], -v[88:89]
	ds_read2_b64 v[172:175], v144 offset0:30 offset1:31
	s_waitcnt lgkmcnt(1)
	v_mul_f64 v[88:89], v[136:137], v[90:91]
	v_fma_f64 v[88:89], v[134:135], v[132:133], -v[88:89]
	v_mul_f64 v[134:135], v[134:135], v[90:91]
	v_fmac_f64_e32 v[134:135], v[136:137], v[132:133]
	s_waitcnt vmcnt(54)
	v_add_f64 v[70:71], v[70:71], -v[134:135]
	ds_read2_b64 v[134:137], v144 offset0:32 offset1:33
	v_add_f64 v[68:69], v[68:69], -v[88:89]
	s_waitcnt lgkmcnt(1)
	v_mul_f64 v[88:89], v[174:175], v[90:91]
	v_add_f64 v[74:75], v[74:75], -v[138:139]
	;; [unrolled: 18-line block ×9, first 2 shown]
	v_fma_f64 v[88:89], v[172:173], v[132:133], -v[88:89]
	v_mul_f64 v[138:139], v[172:173], v[90:91]
	v_fmac_f64_e32 v[138:139], v[174:175], v[132:133]
	s_waitcnt vmcnt(18)
	v_add_f64 v[8:9], v[8:9], -v[88:89]
	ds_read2_b64 v[172:175], v144 offset0:62 offset1:63
	s_waitcnt lgkmcnt(1)
	v_mul_f64 v[88:89], v[136:137], v[90:91]
	v_fma_f64 v[88:89], v[134:135], v[132:133], -v[88:89]
	v_mul_f64 v[134:135], v[134:135], v[90:91]
	v_fmac_f64_e32 v[134:135], v[136:137], v[132:133]
	s_waitcnt vmcnt(17)
	v_add_f64 v[6:7], v[6:7], -v[134:135]
	ds_read2_b64 v[134:137], v144 offset0:64 offset1:65
	v_add_f64 v[4:5], v[4:5], -v[88:89]
	s_waitcnt lgkmcnt(1)
	v_mul_f64 v[88:89], v[174:175], v[90:91]
	v_fma_f64 v[88:89], v[172:173], v[132:133], -v[88:89]
	v_add_f64 v[0:1], v[0:1], -v[88:89]
	s_waitcnt lgkmcnt(0)
	v_mul_f64 v[88:89], v[136:137], v[90:91]
	v_add_f64 v[10:11], v[10:11], -v[138:139]
	v_mul_f64 v[138:139], v[172:173], v[90:91]
	v_fma_f64 v[88:89], v[134:135], v[132:133], -v[88:89]
	v_mul_f64 v[134:135], v[134:135], v[90:91]
	v_fmac_f64_e32 v[138:139], v[174:175], v[132:133]
	v_fmac_f64_e32 v[134:135], v[136:137], v[132:133]
	v_add_f64 v[2:3], v[2:3], -v[138:139]
	s_waitcnt vmcnt(15)
	v_add_f64 v[128:129], v[128:129], -v[88:89]
	v_add_f64 v[130:131], v[130:131], -v[134:135]
	v_mov_b64_e32 v[88:89], v[132:133]
.LBB65_91:
	s_or_b64 exec, exec, s[2:3]
	v_cmp_eq_u32_e32 vcc, 10, v142
	s_waitcnt lgkmcnt(0)
	s_barrier
	s_and_saveexec_b64 s[4:5], vcc
	s_cbranch_execz .LBB65_98
; %bb.92:
	s_waitcnt vmcnt(58)
	ds_write2_b64 v143, v[84:85], v[86:87] offset1:1
	s_waitcnt vmcnt(57)
	ds_write2_b64 v144, v[80:81], v[82:83] offset0:22 offset1:23
	s_waitcnt vmcnt(56)
	ds_write2_b64 v144, v[76:77], v[78:79] offset0:24 offset1:25
	;; [unrolled: 2-line block ×20, first 2 shown]
	ds_write2_b64 v144, v[0:1], v[2:3] offset0:62 offset1:63
	s_waitcnt vmcnt(15)
	ds_write2_b64 v144, v[128:129], v[130:131] offset0:64 offset1:65
	ds_read2_b64 v[132:135], v143 offset1:1
	s_waitcnt lgkmcnt(0)
	v_cmp_neq_f64_e32 vcc, 0, v[132:133]
	v_cmp_neq_f64_e64 s[2:3], 0, v[134:135]
	s_or_b64 s[2:3], vcc, s[2:3]
	s_and_b64 exec, exec, s[2:3]
	s_cbranch_execz .LBB65_98
; %bb.93:
	v_cmp_ngt_f64_e64 s[2:3], |v[132:133]|, |v[134:135]|
                                        ; implicit-def: $vgpr136_vgpr137
	s_and_saveexec_b64 s[10:11], s[2:3]
	s_xor_b64 s[2:3], exec, s[10:11]
                                        ; implicit-def: $vgpr138_vgpr139
	s_cbranch_execz .LBB65_95
; %bb.94:
	v_div_scale_f64 v[136:137], s[10:11], v[134:135], v[134:135], v[132:133]
	v_rcp_f64_e32 v[138:139], v[136:137]
	v_div_scale_f64 v[146:147], vcc, v[132:133], v[134:135], v[132:133]
	v_fma_f64 v[172:173], -v[136:137], v[138:139], 1.0
	v_fmac_f64_e32 v[138:139], v[138:139], v[172:173]
	v_fma_f64 v[172:173], -v[136:137], v[138:139], 1.0
	v_fmac_f64_e32 v[138:139], v[138:139], v[172:173]
	v_mul_f64 v[172:173], v[146:147], v[138:139]
	v_fma_f64 v[136:137], -v[136:137], v[172:173], v[146:147]
	v_div_fmas_f64 v[136:137], v[136:137], v[138:139], v[172:173]
	v_div_fixup_f64 v[136:137], v[136:137], v[134:135], v[132:133]
	v_fmac_f64_e32 v[134:135], v[132:133], v[136:137]
	v_div_scale_f64 v[132:133], s[10:11], v[134:135], v[134:135], 1.0
	v_rcp_f64_e32 v[138:139], v[132:133]
	s_nop 0
	v_fma_f64 v[146:147], -v[132:133], v[138:139], 1.0
	v_fmac_f64_e32 v[138:139], v[138:139], v[146:147]
	v_fma_f64 v[146:147], -v[132:133], v[138:139], 1.0
	v_fmac_f64_e32 v[138:139], v[138:139], v[146:147]
	v_div_scale_f64 v[146:147], vcc, 1.0, v[134:135], 1.0
	v_mul_f64 v[172:173], v[146:147], v[138:139]
	v_fma_f64 v[132:133], -v[132:133], v[172:173], v[146:147]
	s_nop 1
	v_div_fmas_f64 v[132:133], v[132:133], v[138:139], v[172:173]
	v_div_fixup_f64 v[138:139], v[132:133], v[134:135], 1.0
	v_mul_f64 v[136:137], v[136:137], v[138:139]
	v_xor_b32_e32 v139, 0x80000000, v139
                                        ; implicit-def: $vgpr132_vgpr133
.LBB65_95:
	s_andn2_saveexec_b64 s[2:3], s[2:3]
	s_cbranch_execz .LBB65_97
; %bb.96:
	v_div_scale_f64 v[136:137], s[10:11], v[132:133], v[132:133], v[134:135]
	v_rcp_f64_e32 v[138:139], v[136:137]
	v_div_scale_f64 v[146:147], vcc, v[134:135], v[132:133], v[134:135]
	v_fma_f64 v[172:173], -v[136:137], v[138:139], 1.0
	v_fmac_f64_e32 v[138:139], v[138:139], v[172:173]
	v_fma_f64 v[172:173], -v[136:137], v[138:139], 1.0
	v_fmac_f64_e32 v[138:139], v[138:139], v[172:173]
	v_mul_f64 v[172:173], v[146:147], v[138:139]
	v_fma_f64 v[136:137], -v[136:137], v[172:173], v[146:147]
	v_div_fmas_f64 v[136:137], v[136:137], v[138:139], v[172:173]
	v_div_fixup_f64 v[138:139], v[136:137], v[132:133], v[134:135]
	v_fmac_f64_e32 v[132:133], v[134:135], v[138:139]
	v_div_scale_f64 v[134:135], s[10:11], v[132:133], v[132:133], 1.0
	v_rcp_f64_e32 v[136:137], v[134:135]
	s_nop 0
	v_fma_f64 v[146:147], -v[134:135], v[136:137], 1.0
	v_fmac_f64_e32 v[136:137], v[136:137], v[146:147]
	v_fma_f64 v[146:147], -v[134:135], v[136:137], 1.0
	v_fmac_f64_e32 v[136:137], v[136:137], v[146:147]
	v_div_scale_f64 v[146:147], vcc, 1.0, v[132:133], 1.0
	v_mul_f64 v[172:173], v[146:147], v[136:137]
	v_fma_f64 v[134:135], -v[134:135], v[172:173], v[146:147]
	s_nop 1
	v_div_fmas_f64 v[134:135], v[134:135], v[136:137], v[172:173]
	v_div_fixup_f64 v[136:137], v[134:135], v[132:133], 1.0
	v_mul_f64 v[138:139], v[138:139], -v[136:137]
.LBB65_97:
	s_or_b64 exec, exec, s[2:3]
	ds_write2_b64 v143, v[136:137], v[138:139] offset1:1
.LBB65_98:
	s_or_b64 exec, exec, s[4:5]
	s_waitcnt lgkmcnt(0)
	s_barrier
	ds_read2_b64 v[172:175], v143 offset1:1
	v_cmp_lt_u32_e32 vcc, 10, v142
	s_and_saveexec_b64 s[2:3], vcc
	s_cbranch_execz .LBB65_100
; %bb.99:
	ds_read2_b64 v[134:137], v144 offset0:22 offset1:23
	s_waitcnt vmcnt(58) lgkmcnt(1)
	v_mul_f64 v[132:133], v[174:175], v[86:87]
	v_mul_f64 v[86:87], v[172:173], v[86:87]
	v_fmac_f64_e32 v[86:87], v[174:175], v[84:85]
	v_fma_f64 v[132:133], v[172:173], v[84:85], -v[132:133]
	s_waitcnt lgkmcnt(0)
	v_mul_f64 v[84:85], v[136:137], v[86:87]
	v_fma_f64 v[84:85], v[134:135], v[132:133], -v[84:85]
	v_mul_f64 v[134:135], v[134:135], v[86:87]
	v_fmac_f64_e32 v[134:135], v[136:137], v[132:133]
	s_waitcnt vmcnt(57)
	v_add_f64 v[82:83], v[82:83], -v[134:135]
	ds_read2_b64 v[134:137], v144 offset0:24 offset1:25
	v_add_f64 v[80:81], v[80:81], -v[84:85]
	s_waitcnt lgkmcnt(0)
	v_mul_f64 v[84:85], v[136:137], v[86:87]
	v_fma_f64 v[84:85], v[134:135], v[132:133], -v[84:85]
	v_mul_f64 v[134:135], v[134:135], v[86:87]
	v_fmac_f64_e32 v[134:135], v[136:137], v[132:133]
	s_waitcnt vmcnt(56)
	v_add_f64 v[78:79], v[78:79], -v[134:135]
	ds_read2_b64 v[134:137], v144 offset0:26 offset1:27
	v_add_f64 v[76:77], v[76:77], -v[84:85]
	;; [unrolled: 9-line block ×20, first 2 shown]
	s_waitcnt lgkmcnt(0)
	v_mul_f64 v[84:85], v[136:137], v[86:87]
	v_fma_f64 v[84:85], v[134:135], v[132:133], -v[84:85]
	v_mul_f64 v[134:135], v[134:135], v[86:87]
	v_fmac_f64_e32 v[134:135], v[136:137], v[132:133]
	v_add_f64 v[2:3], v[2:3], -v[134:135]
	ds_read2_b64 v[134:137], v144 offset0:64 offset1:65
	v_add_f64 v[0:1], v[0:1], -v[84:85]
	s_waitcnt lgkmcnt(0)
	v_mul_f64 v[84:85], v[136:137], v[86:87]
	v_fma_f64 v[84:85], v[134:135], v[132:133], -v[84:85]
	v_mul_f64 v[134:135], v[134:135], v[86:87]
	v_fmac_f64_e32 v[134:135], v[136:137], v[132:133]
	s_waitcnt vmcnt(15)
	v_add_f64 v[128:129], v[128:129], -v[84:85]
	v_add_f64 v[130:131], v[130:131], -v[134:135]
	v_mov_b64_e32 v[84:85], v[132:133]
.LBB65_100:
	s_or_b64 exec, exec, s[2:3]
	v_cmp_eq_u32_e32 vcc, 11, v142
	s_waitcnt lgkmcnt(0)
	s_barrier
	s_and_saveexec_b64 s[4:5], vcc
	s_cbranch_execz .LBB65_107
; %bb.101:
	s_waitcnt vmcnt(57)
	ds_write2_b64 v143, v[80:81], v[82:83] offset1:1
	s_waitcnt vmcnt(56)
	ds_write2_b64 v144, v[76:77], v[78:79] offset0:24 offset1:25
	s_waitcnt vmcnt(55)
	ds_write2_b64 v144, v[72:73], v[74:75] offset0:26 offset1:27
	;; [unrolled: 2-line block ×19, first 2 shown]
	ds_write2_b64 v144, v[0:1], v[2:3] offset0:62 offset1:63
	s_waitcnt vmcnt(15)
	ds_write2_b64 v144, v[128:129], v[130:131] offset0:64 offset1:65
	ds_read2_b64 v[132:135], v143 offset1:1
	s_waitcnt lgkmcnt(0)
	v_cmp_neq_f64_e32 vcc, 0, v[132:133]
	v_cmp_neq_f64_e64 s[2:3], 0, v[134:135]
	s_or_b64 s[2:3], vcc, s[2:3]
	s_and_b64 exec, exec, s[2:3]
	s_cbranch_execz .LBB65_107
; %bb.102:
	v_cmp_ngt_f64_e64 s[2:3], |v[132:133]|, |v[134:135]|
                                        ; implicit-def: $vgpr136_vgpr137
	s_and_saveexec_b64 s[10:11], s[2:3]
	s_xor_b64 s[2:3], exec, s[10:11]
                                        ; implicit-def: $vgpr138_vgpr139
	s_cbranch_execz .LBB65_104
; %bb.103:
	v_div_scale_f64 v[136:137], s[10:11], v[134:135], v[134:135], v[132:133]
	v_rcp_f64_e32 v[138:139], v[136:137]
	v_div_scale_f64 v[146:147], vcc, v[132:133], v[134:135], v[132:133]
	v_fma_f64 v[176:177], -v[136:137], v[138:139], 1.0
	v_fmac_f64_e32 v[138:139], v[138:139], v[176:177]
	v_fma_f64 v[176:177], -v[136:137], v[138:139], 1.0
	v_fmac_f64_e32 v[138:139], v[138:139], v[176:177]
	v_mul_f64 v[176:177], v[146:147], v[138:139]
	v_fma_f64 v[136:137], -v[136:137], v[176:177], v[146:147]
	v_div_fmas_f64 v[136:137], v[136:137], v[138:139], v[176:177]
	v_div_fixup_f64 v[136:137], v[136:137], v[134:135], v[132:133]
	v_fmac_f64_e32 v[134:135], v[132:133], v[136:137]
	v_div_scale_f64 v[132:133], s[10:11], v[134:135], v[134:135], 1.0
	v_rcp_f64_e32 v[138:139], v[132:133]
	s_nop 0
	v_fma_f64 v[146:147], -v[132:133], v[138:139], 1.0
	v_fmac_f64_e32 v[138:139], v[138:139], v[146:147]
	v_fma_f64 v[146:147], -v[132:133], v[138:139], 1.0
	v_fmac_f64_e32 v[138:139], v[138:139], v[146:147]
	v_div_scale_f64 v[146:147], vcc, 1.0, v[134:135], 1.0
	v_mul_f64 v[176:177], v[146:147], v[138:139]
	v_fma_f64 v[132:133], -v[132:133], v[176:177], v[146:147]
	s_nop 1
	v_div_fmas_f64 v[132:133], v[132:133], v[138:139], v[176:177]
	v_div_fixup_f64 v[138:139], v[132:133], v[134:135], 1.0
	v_mul_f64 v[136:137], v[136:137], v[138:139]
	v_xor_b32_e32 v139, 0x80000000, v139
                                        ; implicit-def: $vgpr132_vgpr133
.LBB65_104:
	s_andn2_saveexec_b64 s[2:3], s[2:3]
	s_cbranch_execz .LBB65_106
; %bb.105:
	v_div_scale_f64 v[136:137], s[10:11], v[132:133], v[132:133], v[134:135]
	v_rcp_f64_e32 v[138:139], v[136:137]
	v_div_scale_f64 v[146:147], vcc, v[134:135], v[132:133], v[134:135]
	v_fma_f64 v[176:177], -v[136:137], v[138:139], 1.0
	v_fmac_f64_e32 v[138:139], v[138:139], v[176:177]
	v_fma_f64 v[176:177], -v[136:137], v[138:139], 1.0
	v_fmac_f64_e32 v[138:139], v[138:139], v[176:177]
	v_mul_f64 v[176:177], v[146:147], v[138:139]
	v_fma_f64 v[136:137], -v[136:137], v[176:177], v[146:147]
	v_div_fmas_f64 v[136:137], v[136:137], v[138:139], v[176:177]
	v_div_fixup_f64 v[138:139], v[136:137], v[132:133], v[134:135]
	v_fmac_f64_e32 v[132:133], v[134:135], v[138:139]
	v_div_scale_f64 v[134:135], s[10:11], v[132:133], v[132:133], 1.0
	v_rcp_f64_e32 v[136:137], v[134:135]
	s_nop 0
	v_fma_f64 v[146:147], -v[134:135], v[136:137], 1.0
	v_fmac_f64_e32 v[136:137], v[136:137], v[146:147]
	v_fma_f64 v[146:147], -v[134:135], v[136:137], 1.0
	v_fmac_f64_e32 v[136:137], v[136:137], v[146:147]
	v_div_scale_f64 v[146:147], vcc, 1.0, v[132:133], 1.0
	v_mul_f64 v[176:177], v[146:147], v[136:137]
	v_fma_f64 v[134:135], -v[134:135], v[176:177], v[146:147]
	s_nop 1
	v_div_fmas_f64 v[134:135], v[134:135], v[136:137], v[176:177]
	v_div_fixup_f64 v[136:137], v[134:135], v[132:133], 1.0
	v_mul_f64 v[138:139], v[138:139], -v[136:137]
.LBB65_106:
	s_or_b64 exec, exec, s[2:3]
	ds_write2_b64 v143, v[136:137], v[138:139] offset1:1
.LBB65_107:
	s_or_b64 exec, exec, s[4:5]
	s_waitcnt lgkmcnt(0)
	s_barrier
	ds_read2_b64 v[176:179], v143 offset1:1
	v_cmp_lt_u32_e32 vcc, 11, v142
	s_and_saveexec_b64 s[2:3], vcc
	s_cbranch_execz .LBB65_109
; %bb.108:
	ds_read2_b64 v[134:137], v144 offset0:24 offset1:25
	s_waitcnt vmcnt(57) lgkmcnt(1)
	v_mul_f64 v[132:133], v[178:179], v[82:83]
	v_mul_f64 v[82:83], v[176:177], v[82:83]
	v_fmac_f64_e32 v[82:83], v[178:179], v[80:81]
	v_fma_f64 v[132:133], v[176:177], v[80:81], -v[132:133]
	s_waitcnt lgkmcnt(0)
	v_mul_f64 v[80:81], v[136:137], v[82:83]
	v_fma_f64 v[80:81], v[134:135], v[132:133], -v[80:81]
	v_mul_f64 v[134:135], v[134:135], v[82:83]
	v_fmac_f64_e32 v[134:135], v[136:137], v[132:133]
	s_waitcnt vmcnt(56)
	v_add_f64 v[78:79], v[78:79], -v[134:135]
	ds_read2_b64 v[134:137], v144 offset0:26 offset1:27
	v_add_f64 v[76:77], v[76:77], -v[80:81]
	s_waitcnt lgkmcnt(0)
	v_mul_f64 v[80:81], v[136:137], v[82:83]
	v_fma_f64 v[80:81], v[134:135], v[132:133], -v[80:81]
	v_mul_f64 v[134:135], v[134:135], v[82:83]
	v_fmac_f64_e32 v[134:135], v[136:137], v[132:133]
	s_waitcnt vmcnt(55)
	v_add_f64 v[74:75], v[74:75], -v[134:135]
	ds_read2_b64 v[134:137], v144 offset0:28 offset1:29
	v_add_f64 v[72:73], v[72:73], -v[80:81]
	;; [unrolled: 9-line block ×19, first 2 shown]
	s_waitcnt lgkmcnt(0)
	v_mul_f64 v[80:81], v[136:137], v[82:83]
	v_fma_f64 v[80:81], v[134:135], v[132:133], -v[80:81]
	v_mul_f64 v[134:135], v[134:135], v[82:83]
	v_fmac_f64_e32 v[134:135], v[136:137], v[132:133]
	v_add_f64 v[2:3], v[2:3], -v[134:135]
	ds_read2_b64 v[134:137], v144 offset0:64 offset1:65
	v_add_f64 v[0:1], v[0:1], -v[80:81]
	s_waitcnt lgkmcnt(0)
	v_mul_f64 v[80:81], v[136:137], v[82:83]
	v_fma_f64 v[80:81], v[134:135], v[132:133], -v[80:81]
	v_mul_f64 v[134:135], v[134:135], v[82:83]
	v_fmac_f64_e32 v[134:135], v[136:137], v[132:133]
	s_waitcnt vmcnt(15)
	v_add_f64 v[128:129], v[128:129], -v[80:81]
	v_add_f64 v[130:131], v[130:131], -v[134:135]
	v_mov_b64_e32 v[80:81], v[132:133]
.LBB65_109:
	s_or_b64 exec, exec, s[2:3]
	v_cmp_eq_u32_e32 vcc, 12, v142
	s_waitcnt lgkmcnt(0)
	s_barrier
	s_and_saveexec_b64 s[4:5], vcc
	s_cbranch_execz .LBB65_116
; %bb.110:
	s_waitcnt vmcnt(56)
	ds_write2_b64 v143, v[76:77], v[78:79] offset1:1
	s_waitcnt vmcnt(55)
	ds_write2_b64 v144, v[72:73], v[74:75] offset0:26 offset1:27
	s_waitcnt vmcnt(54)
	ds_write2_b64 v144, v[68:69], v[70:71] offset0:28 offset1:29
	;; [unrolled: 2-line block ×18, first 2 shown]
	ds_write2_b64 v144, v[0:1], v[2:3] offset0:62 offset1:63
	s_waitcnt vmcnt(15)
	ds_write2_b64 v144, v[128:129], v[130:131] offset0:64 offset1:65
	ds_read2_b64 v[132:135], v143 offset1:1
	s_waitcnt lgkmcnt(0)
	v_cmp_neq_f64_e32 vcc, 0, v[132:133]
	v_cmp_neq_f64_e64 s[2:3], 0, v[134:135]
	s_or_b64 s[2:3], vcc, s[2:3]
	s_and_b64 exec, exec, s[2:3]
	s_cbranch_execz .LBB65_116
; %bb.111:
	v_cmp_ngt_f64_e64 s[2:3], |v[132:133]|, |v[134:135]|
                                        ; implicit-def: $vgpr136_vgpr137
	s_and_saveexec_b64 s[10:11], s[2:3]
	s_xor_b64 s[2:3], exec, s[10:11]
                                        ; implicit-def: $vgpr138_vgpr139
	s_cbranch_execz .LBB65_113
; %bb.112:
	v_div_scale_f64 v[136:137], s[10:11], v[134:135], v[134:135], v[132:133]
	v_rcp_f64_e32 v[138:139], v[136:137]
	v_div_scale_f64 v[146:147], vcc, v[132:133], v[134:135], v[132:133]
	v_fma_f64 v[180:181], -v[136:137], v[138:139], 1.0
	v_fmac_f64_e32 v[138:139], v[138:139], v[180:181]
	v_fma_f64 v[180:181], -v[136:137], v[138:139], 1.0
	v_fmac_f64_e32 v[138:139], v[138:139], v[180:181]
	v_mul_f64 v[180:181], v[146:147], v[138:139]
	v_fma_f64 v[136:137], -v[136:137], v[180:181], v[146:147]
	v_div_fmas_f64 v[136:137], v[136:137], v[138:139], v[180:181]
	v_div_fixup_f64 v[136:137], v[136:137], v[134:135], v[132:133]
	v_fmac_f64_e32 v[134:135], v[132:133], v[136:137]
	v_div_scale_f64 v[132:133], s[10:11], v[134:135], v[134:135], 1.0
	v_rcp_f64_e32 v[138:139], v[132:133]
	s_nop 0
	v_fma_f64 v[146:147], -v[132:133], v[138:139], 1.0
	v_fmac_f64_e32 v[138:139], v[138:139], v[146:147]
	v_fma_f64 v[146:147], -v[132:133], v[138:139], 1.0
	v_fmac_f64_e32 v[138:139], v[138:139], v[146:147]
	v_div_scale_f64 v[146:147], vcc, 1.0, v[134:135], 1.0
	v_mul_f64 v[180:181], v[146:147], v[138:139]
	v_fma_f64 v[132:133], -v[132:133], v[180:181], v[146:147]
	s_nop 1
	v_div_fmas_f64 v[132:133], v[132:133], v[138:139], v[180:181]
	v_div_fixup_f64 v[138:139], v[132:133], v[134:135], 1.0
	v_mul_f64 v[136:137], v[136:137], v[138:139]
	v_xor_b32_e32 v139, 0x80000000, v139
                                        ; implicit-def: $vgpr132_vgpr133
.LBB65_113:
	s_andn2_saveexec_b64 s[2:3], s[2:3]
	s_cbranch_execz .LBB65_115
; %bb.114:
	v_div_scale_f64 v[136:137], s[10:11], v[132:133], v[132:133], v[134:135]
	v_rcp_f64_e32 v[138:139], v[136:137]
	v_div_scale_f64 v[146:147], vcc, v[134:135], v[132:133], v[134:135]
	v_fma_f64 v[180:181], -v[136:137], v[138:139], 1.0
	v_fmac_f64_e32 v[138:139], v[138:139], v[180:181]
	v_fma_f64 v[180:181], -v[136:137], v[138:139], 1.0
	v_fmac_f64_e32 v[138:139], v[138:139], v[180:181]
	v_mul_f64 v[180:181], v[146:147], v[138:139]
	v_fma_f64 v[136:137], -v[136:137], v[180:181], v[146:147]
	v_div_fmas_f64 v[136:137], v[136:137], v[138:139], v[180:181]
	v_div_fixup_f64 v[138:139], v[136:137], v[132:133], v[134:135]
	v_fmac_f64_e32 v[132:133], v[134:135], v[138:139]
	v_div_scale_f64 v[134:135], s[10:11], v[132:133], v[132:133], 1.0
	v_rcp_f64_e32 v[136:137], v[134:135]
	s_nop 0
	v_fma_f64 v[146:147], -v[134:135], v[136:137], 1.0
	v_fmac_f64_e32 v[136:137], v[136:137], v[146:147]
	v_fma_f64 v[146:147], -v[134:135], v[136:137], 1.0
	v_fmac_f64_e32 v[136:137], v[136:137], v[146:147]
	v_div_scale_f64 v[146:147], vcc, 1.0, v[132:133], 1.0
	v_mul_f64 v[180:181], v[146:147], v[136:137]
	v_fma_f64 v[134:135], -v[134:135], v[180:181], v[146:147]
	s_nop 1
	v_div_fmas_f64 v[134:135], v[134:135], v[136:137], v[180:181]
	v_div_fixup_f64 v[136:137], v[134:135], v[132:133], 1.0
	v_mul_f64 v[138:139], v[138:139], -v[136:137]
.LBB65_115:
	s_or_b64 exec, exec, s[2:3]
	ds_write2_b64 v143, v[136:137], v[138:139] offset1:1
.LBB65_116:
	s_or_b64 exec, exec, s[4:5]
	s_waitcnt lgkmcnt(0)
	s_barrier
	ds_read2_b64 v[180:183], v143 offset1:1
	v_cmp_lt_u32_e32 vcc, 12, v142
	s_and_saveexec_b64 s[2:3], vcc
	s_cbranch_execz .LBB65_118
; %bb.117:
	ds_read2_b64 v[134:137], v144 offset0:26 offset1:27
	s_waitcnt vmcnt(56) lgkmcnt(1)
	v_mul_f64 v[132:133], v[182:183], v[78:79]
	v_mul_f64 v[78:79], v[180:181], v[78:79]
	v_fmac_f64_e32 v[78:79], v[182:183], v[76:77]
	v_fma_f64 v[132:133], v[180:181], v[76:77], -v[132:133]
	s_waitcnt lgkmcnt(0)
	v_mul_f64 v[76:77], v[136:137], v[78:79]
	v_fma_f64 v[76:77], v[134:135], v[132:133], -v[76:77]
	v_mul_f64 v[134:135], v[134:135], v[78:79]
	v_fmac_f64_e32 v[134:135], v[136:137], v[132:133]
	s_waitcnt vmcnt(55)
	v_add_f64 v[74:75], v[74:75], -v[134:135]
	ds_read2_b64 v[134:137], v144 offset0:28 offset1:29
	v_add_f64 v[72:73], v[72:73], -v[76:77]
	s_waitcnt lgkmcnt(0)
	v_mul_f64 v[76:77], v[136:137], v[78:79]
	v_fma_f64 v[76:77], v[134:135], v[132:133], -v[76:77]
	v_mul_f64 v[134:135], v[134:135], v[78:79]
	v_fmac_f64_e32 v[134:135], v[136:137], v[132:133]
	s_waitcnt vmcnt(54)
	v_add_f64 v[70:71], v[70:71], -v[134:135]
	ds_read2_b64 v[134:137], v144 offset0:30 offset1:31
	v_add_f64 v[68:69], v[68:69], -v[76:77]
	s_waitcnt lgkmcnt(0)
	v_mul_f64 v[76:77], v[136:137], v[78:79]
	v_fma_f64 v[76:77], v[134:135], v[132:133], -v[76:77]
	v_mul_f64 v[134:135], v[134:135], v[78:79]
	v_fmac_f64_e32 v[134:135], v[136:137], v[132:133]
	s_waitcnt vmcnt(53)
	v_add_f64 v[66:67], v[66:67], -v[134:135]
	ds_read2_b64 v[134:137], v144 offset0:32 offset1:33
	v_add_f64 v[64:65], v[64:65], -v[76:77]
	s_waitcnt lgkmcnt(0)
	v_mul_f64 v[76:77], v[136:137], v[78:79]
	v_fma_f64 v[76:77], v[134:135], v[132:133], -v[76:77]
	v_mul_f64 v[134:135], v[134:135], v[78:79]
	v_fmac_f64_e32 v[134:135], v[136:137], v[132:133]
	s_waitcnt vmcnt(52)
	v_add_f64 v[62:63], v[62:63], -v[134:135]
	ds_read2_b64 v[134:137], v144 offset0:34 offset1:35
	v_add_f64 v[60:61], v[60:61], -v[76:77]
	s_waitcnt lgkmcnt(0)
	v_mul_f64 v[76:77], v[136:137], v[78:79]
	v_fma_f64 v[76:77], v[134:135], v[132:133], -v[76:77]
	v_mul_f64 v[134:135], v[134:135], v[78:79]
	v_fmac_f64_e32 v[134:135], v[136:137], v[132:133]
	s_waitcnt vmcnt(51)
	v_add_f64 v[58:59], v[58:59], -v[134:135]
	ds_read2_b64 v[134:137], v144 offset0:36 offset1:37
	v_add_f64 v[56:57], v[56:57], -v[76:77]
	s_waitcnt lgkmcnt(0)
	v_mul_f64 v[76:77], v[136:137], v[78:79]
	v_fma_f64 v[76:77], v[134:135], v[132:133], -v[76:77]
	v_mul_f64 v[134:135], v[134:135], v[78:79]
	v_fmac_f64_e32 v[134:135], v[136:137], v[132:133]
	s_waitcnt vmcnt(50)
	v_add_f64 v[54:55], v[54:55], -v[134:135]
	ds_read2_b64 v[134:137], v144 offset0:38 offset1:39
	v_add_f64 v[52:53], v[52:53], -v[76:77]
	s_waitcnt lgkmcnt(0)
	v_mul_f64 v[76:77], v[136:137], v[78:79]
	v_fma_f64 v[76:77], v[134:135], v[132:133], -v[76:77]
	v_mul_f64 v[134:135], v[134:135], v[78:79]
	v_fmac_f64_e32 v[134:135], v[136:137], v[132:133]
	s_waitcnt vmcnt(49)
	v_add_f64 v[50:51], v[50:51], -v[134:135]
	ds_read2_b64 v[134:137], v144 offset0:40 offset1:41
	v_add_f64 v[48:49], v[48:49], -v[76:77]
	s_waitcnt lgkmcnt(0)
	v_mul_f64 v[76:77], v[136:137], v[78:79]
	v_fma_f64 v[76:77], v[134:135], v[132:133], -v[76:77]
	v_mul_f64 v[134:135], v[134:135], v[78:79]
	v_fmac_f64_e32 v[134:135], v[136:137], v[132:133]
	s_waitcnt vmcnt(48)
	v_add_f64 v[46:47], v[46:47], -v[134:135]
	ds_read2_b64 v[134:137], v144 offset0:42 offset1:43
	v_add_f64 v[44:45], v[44:45], -v[76:77]
	s_waitcnt lgkmcnt(0)
	v_mul_f64 v[76:77], v[136:137], v[78:79]
	v_fma_f64 v[76:77], v[134:135], v[132:133], -v[76:77]
	v_mul_f64 v[134:135], v[134:135], v[78:79]
	v_fmac_f64_e32 v[134:135], v[136:137], v[132:133]
	s_waitcnt vmcnt(27)
	v_add_f64 v[42:43], v[42:43], -v[134:135]
	ds_read2_b64 v[134:137], v144 offset0:44 offset1:45
	v_add_f64 v[40:41], v[40:41], -v[76:77]
	s_waitcnt lgkmcnt(0)
	v_mul_f64 v[76:77], v[136:137], v[78:79]
	v_fma_f64 v[76:77], v[134:135], v[132:133], -v[76:77]
	v_mul_f64 v[134:135], v[134:135], v[78:79]
	v_fmac_f64_e32 v[134:135], v[136:137], v[132:133]
	s_waitcnt vmcnt(25)
	v_add_f64 v[38:39], v[38:39], -v[134:135]
	ds_read2_b64 v[134:137], v144 offset0:46 offset1:47
	v_add_f64 v[36:37], v[36:37], -v[76:77]
	s_waitcnt lgkmcnt(0)
	v_mul_f64 v[76:77], v[136:137], v[78:79]
	v_fma_f64 v[76:77], v[134:135], v[132:133], -v[76:77]
	v_mul_f64 v[134:135], v[134:135], v[78:79]
	v_fmac_f64_e32 v[134:135], v[136:137], v[132:133]
	s_waitcnt vmcnt(24)
	v_add_f64 v[34:35], v[34:35], -v[134:135]
	ds_read2_b64 v[134:137], v144 offset0:48 offset1:49
	v_add_f64 v[32:33], v[32:33], -v[76:77]
	s_waitcnt lgkmcnt(0)
	v_mul_f64 v[76:77], v[136:137], v[78:79]
	v_fma_f64 v[76:77], v[134:135], v[132:133], -v[76:77]
	v_mul_f64 v[134:135], v[134:135], v[78:79]
	v_fmac_f64_e32 v[134:135], v[136:137], v[132:133]
	s_waitcnt vmcnt(23)
	v_add_f64 v[30:31], v[30:31], -v[134:135]
	ds_read2_b64 v[134:137], v144 offset0:50 offset1:51
	v_add_f64 v[28:29], v[28:29], -v[76:77]
	s_waitcnt lgkmcnt(0)
	v_mul_f64 v[76:77], v[136:137], v[78:79]
	v_fma_f64 v[76:77], v[134:135], v[132:133], -v[76:77]
	v_mul_f64 v[134:135], v[134:135], v[78:79]
	v_fmac_f64_e32 v[134:135], v[136:137], v[132:133]
	s_waitcnt vmcnt(22)
	v_add_f64 v[26:27], v[26:27], -v[134:135]
	ds_read2_b64 v[134:137], v144 offset0:52 offset1:53
	v_add_f64 v[24:25], v[24:25], -v[76:77]
	s_waitcnt lgkmcnt(0)
	v_mul_f64 v[76:77], v[136:137], v[78:79]
	v_fma_f64 v[76:77], v[134:135], v[132:133], -v[76:77]
	v_mul_f64 v[134:135], v[134:135], v[78:79]
	v_fmac_f64_e32 v[134:135], v[136:137], v[132:133]
	s_waitcnt vmcnt(21)
	v_add_f64 v[22:23], v[22:23], -v[134:135]
	ds_read2_b64 v[134:137], v144 offset0:54 offset1:55
	v_add_f64 v[20:21], v[20:21], -v[76:77]
	s_waitcnt lgkmcnt(0)
	v_mul_f64 v[76:77], v[136:137], v[78:79]
	v_fma_f64 v[76:77], v[134:135], v[132:133], -v[76:77]
	v_mul_f64 v[134:135], v[134:135], v[78:79]
	v_fmac_f64_e32 v[134:135], v[136:137], v[132:133]
	s_waitcnt vmcnt(20)
	v_add_f64 v[18:19], v[18:19], -v[134:135]
	ds_read2_b64 v[134:137], v144 offset0:56 offset1:57
	v_add_f64 v[16:17], v[16:17], -v[76:77]
	s_waitcnt lgkmcnt(0)
	v_mul_f64 v[76:77], v[136:137], v[78:79]
	v_fma_f64 v[76:77], v[134:135], v[132:133], -v[76:77]
	v_mul_f64 v[134:135], v[134:135], v[78:79]
	v_fmac_f64_e32 v[134:135], v[136:137], v[132:133]
	s_waitcnt vmcnt(19)
	v_add_f64 v[14:15], v[14:15], -v[134:135]
	ds_read2_b64 v[134:137], v144 offset0:58 offset1:59
	v_add_f64 v[12:13], v[12:13], -v[76:77]
	s_waitcnt lgkmcnt(0)
	v_mul_f64 v[76:77], v[136:137], v[78:79]
	v_fma_f64 v[76:77], v[134:135], v[132:133], -v[76:77]
	v_mul_f64 v[134:135], v[134:135], v[78:79]
	v_fmac_f64_e32 v[134:135], v[136:137], v[132:133]
	s_waitcnt vmcnt(18)
	v_add_f64 v[10:11], v[10:11], -v[134:135]
	ds_read2_b64 v[134:137], v144 offset0:60 offset1:61
	v_add_f64 v[8:9], v[8:9], -v[76:77]
	s_waitcnt lgkmcnt(0)
	v_mul_f64 v[76:77], v[136:137], v[78:79]
	v_fma_f64 v[76:77], v[134:135], v[132:133], -v[76:77]
	v_mul_f64 v[134:135], v[134:135], v[78:79]
	v_fmac_f64_e32 v[134:135], v[136:137], v[132:133]
	s_waitcnt vmcnt(17)
	v_add_f64 v[6:7], v[6:7], -v[134:135]
	ds_read2_b64 v[134:137], v144 offset0:62 offset1:63
	v_add_f64 v[4:5], v[4:5], -v[76:77]
	s_waitcnt lgkmcnt(0)
	v_mul_f64 v[76:77], v[136:137], v[78:79]
	v_fma_f64 v[76:77], v[134:135], v[132:133], -v[76:77]
	v_mul_f64 v[134:135], v[134:135], v[78:79]
	v_fmac_f64_e32 v[134:135], v[136:137], v[132:133]
	v_add_f64 v[2:3], v[2:3], -v[134:135]
	ds_read2_b64 v[134:137], v144 offset0:64 offset1:65
	v_add_f64 v[0:1], v[0:1], -v[76:77]
	s_waitcnt lgkmcnt(0)
	v_mul_f64 v[76:77], v[136:137], v[78:79]
	v_fma_f64 v[76:77], v[134:135], v[132:133], -v[76:77]
	v_mul_f64 v[134:135], v[134:135], v[78:79]
	v_fmac_f64_e32 v[134:135], v[136:137], v[132:133]
	s_waitcnt vmcnt(15)
	v_add_f64 v[128:129], v[128:129], -v[76:77]
	v_add_f64 v[130:131], v[130:131], -v[134:135]
	v_mov_b64_e32 v[76:77], v[132:133]
.LBB65_118:
	s_or_b64 exec, exec, s[2:3]
	v_cmp_eq_u32_e32 vcc, 13, v142
	s_waitcnt lgkmcnt(0)
	s_barrier
	s_and_saveexec_b64 s[4:5], vcc
	s_cbranch_execz .LBB65_125
; %bb.119:
	s_waitcnt vmcnt(55)
	ds_write2_b64 v143, v[72:73], v[74:75] offset1:1
	s_waitcnt vmcnt(54)
	ds_write2_b64 v144, v[68:69], v[70:71] offset0:28 offset1:29
	s_waitcnt vmcnt(53)
	ds_write2_b64 v144, v[64:65], v[66:67] offset0:30 offset1:31
	;; [unrolled: 2-line block ×17, first 2 shown]
	ds_write2_b64 v144, v[0:1], v[2:3] offset0:62 offset1:63
	s_waitcnt vmcnt(15)
	ds_write2_b64 v144, v[128:129], v[130:131] offset0:64 offset1:65
	ds_read2_b64 v[132:135], v143 offset1:1
	s_waitcnt lgkmcnt(0)
	v_cmp_neq_f64_e32 vcc, 0, v[132:133]
	v_cmp_neq_f64_e64 s[2:3], 0, v[134:135]
	s_or_b64 s[2:3], vcc, s[2:3]
	s_and_b64 exec, exec, s[2:3]
	s_cbranch_execz .LBB65_125
; %bb.120:
	v_cmp_ngt_f64_e64 s[2:3], |v[132:133]|, |v[134:135]|
                                        ; implicit-def: $vgpr136_vgpr137
	s_and_saveexec_b64 s[10:11], s[2:3]
	s_xor_b64 s[2:3], exec, s[10:11]
                                        ; implicit-def: $vgpr138_vgpr139
	s_cbranch_execz .LBB65_122
; %bb.121:
	v_div_scale_f64 v[136:137], s[10:11], v[134:135], v[134:135], v[132:133]
	v_rcp_f64_e32 v[138:139], v[136:137]
	v_div_scale_f64 v[146:147], vcc, v[132:133], v[134:135], v[132:133]
	v_fma_f64 v[184:185], -v[136:137], v[138:139], 1.0
	v_fmac_f64_e32 v[138:139], v[138:139], v[184:185]
	v_fma_f64 v[184:185], -v[136:137], v[138:139], 1.0
	v_fmac_f64_e32 v[138:139], v[138:139], v[184:185]
	v_mul_f64 v[184:185], v[146:147], v[138:139]
	v_fma_f64 v[136:137], -v[136:137], v[184:185], v[146:147]
	v_div_fmas_f64 v[136:137], v[136:137], v[138:139], v[184:185]
	v_div_fixup_f64 v[136:137], v[136:137], v[134:135], v[132:133]
	v_fmac_f64_e32 v[134:135], v[132:133], v[136:137]
	v_div_scale_f64 v[132:133], s[10:11], v[134:135], v[134:135], 1.0
	v_rcp_f64_e32 v[138:139], v[132:133]
	s_nop 0
	v_fma_f64 v[146:147], -v[132:133], v[138:139], 1.0
	v_fmac_f64_e32 v[138:139], v[138:139], v[146:147]
	v_fma_f64 v[146:147], -v[132:133], v[138:139], 1.0
	v_fmac_f64_e32 v[138:139], v[138:139], v[146:147]
	v_div_scale_f64 v[146:147], vcc, 1.0, v[134:135], 1.0
	v_mul_f64 v[184:185], v[146:147], v[138:139]
	v_fma_f64 v[132:133], -v[132:133], v[184:185], v[146:147]
	s_nop 1
	v_div_fmas_f64 v[132:133], v[132:133], v[138:139], v[184:185]
	v_div_fixup_f64 v[138:139], v[132:133], v[134:135], 1.0
	v_mul_f64 v[136:137], v[136:137], v[138:139]
	v_xor_b32_e32 v139, 0x80000000, v139
                                        ; implicit-def: $vgpr132_vgpr133
.LBB65_122:
	s_andn2_saveexec_b64 s[2:3], s[2:3]
	s_cbranch_execz .LBB65_124
; %bb.123:
	v_div_scale_f64 v[136:137], s[10:11], v[132:133], v[132:133], v[134:135]
	v_rcp_f64_e32 v[138:139], v[136:137]
	v_div_scale_f64 v[146:147], vcc, v[134:135], v[132:133], v[134:135]
	v_fma_f64 v[184:185], -v[136:137], v[138:139], 1.0
	v_fmac_f64_e32 v[138:139], v[138:139], v[184:185]
	v_fma_f64 v[184:185], -v[136:137], v[138:139], 1.0
	v_fmac_f64_e32 v[138:139], v[138:139], v[184:185]
	v_mul_f64 v[184:185], v[146:147], v[138:139]
	v_fma_f64 v[136:137], -v[136:137], v[184:185], v[146:147]
	v_div_fmas_f64 v[136:137], v[136:137], v[138:139], v[184:185]
	v_div_fixup_f64 v[138:139], v[136:137], v[132:133], v[134:135]
	v_fmac_f64_e32 v[132:133], v[134:135], v[138:139]
	v_div_scale_f64 v[134:135], s[10:11], v[132:133], v[132:133], 1.0
	v_rcp_f64_e32 v[136:137], v[134:135]
	s_nop 0
	v_fma_f64 v[146:147], -v[134:135], v[136:137], 1.0
	v_fmac_f64_e32 v[136:137], v[136:137], v[146:147]
	v_fma_f64 v[146:147], -v[134:135], v[136:137], 1.0
	v_fmac_f64_e32 v[136:137], v[136:137], v[146:147]
	v_div_scale_f64 v[146:147], vcc, 1.0, v[132:133], 1.0
	v_mul_f64 v[184:185], v[146:147], v[136:137]
	v_fma_f64 v[134:135], -v[134:135], v[184:185], v[146:147]
	s_nop 1
	v_div_fmas_f64 v[134:135], v[134:135], v[136:137], v[184:185]
	v_div_fixup_f64 v[136:137], v[134:135], v[132:133], 1.0
	v_mul_f64 v[138:139], v[138:139], -v[136:137]
.LBB65_124:
	s_or_b64 exec, exec, s[2:3]
	ds_write2_b64 v143, v[136:137], v[138:139] offset1:1
.LBB65_125:
	s_or_b64 exec, exec, s[4:5]
	s_waitcnt lgkmcnt(0)
	s_barrier
	ds_read2_b64 v[184:187], v143 offset1:1
	v_cmp_lt_u32_e32 vcc, 13, v142
	s_and_saveexec_b64 s[2:3], vcc
	s_cbranch_execz .LBB65_127
; %bb.126:
	ds_read2_b64 v[134:137], v144 offset0:28 offset1:29
	s_waitcnt vmcnt(55) lgkmcnt(1)
	v_mul_f64 v[132:133], v[186:187], v[74:75]
	v_mul_f64 v[74:75], v[184:185], v[74:75]
	v_fmac_f64_e32 v[74:75], v[186:187], v[72:73]
	v_fma_f64 v[132:133], v[184:185], v[72:73], -v[132:133]
	s_waitcnt lgkmcnt(0)
	v_mul_f64 v[72:73], v[136:137], v[74:75]
	v_fma_f64 v[72:73], v[134:135], v[132:133], -v[72:73]
	v_mul_f64 v[134:135], v[134:135], v[74:75]
	v_fmac_f64_e32 v[134:135], v[136:137], v[132:133]
	s_waitcnt vmcnt(54)
	v_add_f64 v[70:71], v[70:71], -v[134:135]
	ds_read2_b64 v[134:137], v144 offset0:30 offset1:31
	v_add_f64 v[68:69], v[68:69], -v[72:73]
	s_waitcnt lgkmcnt(0)
	v_mul_f64 v[72:73], v[136:137], v[74:75]
	v_fma_f64 v[72:73], v[134:135], v[132:133], -v[72:73]
	v_mul_f64 v[134:135], v[134:135], v[74:75]
	v_fmac_f64_e32 v[134:135], v[136:137], v[132:133]
	s_waitcnt vmcnt(53)
	v_add_f64 v[66:67], v[66:67], -v[134:135]
	ds_read2_b64 v[134:137], v144 offset0:32 offset1:33
	v_add_f64 v[64:65], v[64:65], -v[72:73]
	;; [unrolled: 9-line block ×17, first 2 shown]
	s_waitcnt lgkmcnt(0)
	v_mul_f64 v[72:73], v[136:137], v[74:75]
	v_fma_f64 v[72:73], v[134:135], v[132:133], -v[72:73]
	v_mul_f64 v[134:135], v[134:135], v[74:75]
	v_fmac_f64_e32 v[134:135], v[136:137], v[132:133]
	v_add_f64 v[2:3], v[2:3], -v[134:135]
	ds_read2_b64 v[134:137], v144 offset0:64 offset1:65
	v_add_f64 v[0:1], v[0:1], -v[72:73]
	s_waitcnt lgkmcnt(0)
	v_mul_f64 v[72:73], v[136:137], v[74:75]
	v_fma_f64 v[72:73], v[134:135], v[132:133], -v[72:73]
	v_mul_f64 v[134:135], v[134:135], v[74:75]
	v_fmac_f64_e32 v[134:135], v[136:137], v[132:133]
	s_waitcnt vmcnt(15)
	v_add_f64 v[128:129], v[128:129], -v[72:73]
	v_add_f64 v[130:131], v[130:131], -v[134:135]
	v_mov_b64_e32 v[72:73], v[132:133]
.LBB65_127:
	s_or_b64 exec, exec, s[2:3]
	v_cmp_eq_u32_e32 vcc, 14, v142
	s_waitcnt lgkmcnt(0)
	s_barrier
	s_and_saveexec_b64 s[4:5], vcc
	s_cbranch_execz .LBB65_134
; %bb.128:
	s_waitcnt vmcnt(54)
	ds_write2_b64 v143, v[68:69], v[70:71] offset1:1
	s_waitcnt vmcnt(53)
	ds_write2_b64 v144, v[64:65], v[66:67] offset0:30 offset1:31
	s_waitcnt vmcnt(52)
	ds_write2_b64 v144, v[60:61], v[62:63] offset0:32 offset1:33
	s_waitcnt vmcnt(51)
	ds_write2_b64 v144, v[56:57], v[58:59] offset0:34 offset1:35
	s_waitcnt vmcnt(50)
	ds_write2_b64 v144, v[52:53], v[54:55] offset0:36 offset1:37
	s_waitcnt vmcnt(49)
	ds_write2_b64 v144, v[48:49], v[50:51] offset0:38 offset1:39
	s_waitcnt vmcnt(48)
	ds_write2_b64 v144, v[44:45], v[46:47] offset0:40 offset1:41
	s_waitcnt vmcnt(27)
	ds_write2_b64 v144, v[40:41], v[42:43] offset0:42 offset1:43
	s_waitcnt vmcnt(25)
	ds_write2_b64 v144, v[36:37], v[38:39] offset0:44 offset1:45
	s_waitcnt vmcnt(24)
	ds_write2_b64 v144, v[32:33], v[34:35] offset0:46 offset1:47
	s_waitcnt vmcnt(23)
	ds_write2_b64 v144, v[28:29], v[30:31] offset0:48 offset1:49
	s_waitcnt vmcnt(22)
	ds_write2_b64 v144, v[24:25], v[26:27] offset0:50 offset1:51
	s_waitcnt vmcnt(21)
	ds_write2_b64 v144, v[20:21], v[22:23] offset0:52 offset1:53
	s_waitcnt vmcnt(20)
	ds_write2_b64 v144, v[16:17], v[18:19] offset0:54 offset1:55
	s_waitcnt vmcnt(19)
	ds_write2_b64 v144, v[12:13], v[14:15] offset0:56 offset1:57
	s_waitcnt vmcnt(18)
	ds_write2_b64 v144, v[8:9], v[10:11] offset0:58 offset1:59
	s_waitcnt vmcnt(17)
	ds_write2_b64 v144, v[4:5], v[6:7] offset0:60 offset1:61
	ds_write2_b64 v144, v[0:1], v[2:3] offset0:62 offset1:63
	s_waitcnt vmcnt(15)
	ds_write2_b64 v144, v[128:129], v[130:131] offset0:64 offset1:65
	ds_read2_b64 v[132:135], v143 offset1:1
	s_waitcnt lgkmcnt(0)
	v_cmp_neq_f64_e32 vcc, 0, v[132:133]
	v_cmp_neq_f64_e64 s[2:3], 0, v[134:135]
	s_or_b64 s[2:3], vcc, s[2:3]
	s_and_b64 exec, exec, s[2:3]
	s_cbranch_execz .LBB65_134
; %bb.129:
	v_cmp_ngt_f64_e64 s[2:3], |v[132:133]|, |v[134:135]|
                                        ; implicit-def: $vgpr136_vgpr137
	s_and_saveexec_b64 s[10:11], s[2:3]
	s_xor_b64 s[2:3], exec, s[10:11]
                                        ; implicit-def: $vgpr138_vgpr139
	s_cbranch_execz .LBB65_131
; %bb.130:
	v_div_scale_f64 v[136:137], s[10:11], v[134:135], v[134:135], v[132:133]
	v_rcp_f64_e32 v[138:139], v[136:137]
	v_div_scale_f64 v[146:147], vcc, v[132:133], v[134:135], v[132:133]
	v_fma_f64 v[188:189], -v[136:137], v[138:139], 1.0
	v_fmac_f64_e32 v[138:139], v[138:139], v[188:189]
	v_fma_f64 v[188:189], -v[136:137], v[138:139], 1.0
	v_fmac_f64_e32 v[138:139], v[138:139], v[188:189]
	v_mul_f64 v[188:189], v[146:147], v[138:139]
	v_fma_f64 v[136:137], -v[136:137], v[188:189], v[146:147]
	v_div_fmas_f64 v[136:137], v[136:137], v[138:139], v[188:189]
	v_div_fixup_f64 v[136:137], v[136:137], v[134:135], v[132:133]
	v_fmac_f64_e32 v[134:135], v[132:133], v[136:137]
	v_div_scale_f64 v[132:133], s[10:11], v[134:135], v[134:135], 1.0
	v_rcp_f64_e32 v[138:139], v[132:133]
	s_nop 0
	v_fma_f64 v[146:147], -v[132:133], v[138:139], 1.0
	v_fmac_f64_e32 v[138:139], v[138:139], v[146:147]
	v_fma_f64 v[146:147], -v[132:133], v[138:139], 1.0
	v_fmac_f64_e32 v[138:139], v[138:139], v[146:147]
	v_div_scale_f64 v[146:147], vcc, 1.0, v[134:135], 1.0
	v_mul_f64 v[188:189], v[146:147], v[138:139]
	v_fma_f64 v[132:133], -v[132:133], v[188:189], v[146:147]
	s_nop 1
	v_div_fmas_f64 v[132:133], v[132:133], v[138:139], v[188:189]
	v_div_fixup_f64 v[138:139], v[132:133], v[134:135], 1.0
	v_mul_f64 v[136:137], v[136:137], v[138:139]
	v_xor_b32_e32 v139, 0x80000000, v139
                                        ; implicit-def: $vgpr132_vgpr133
.LBB65_131:
	s_andn2_saveexec_b64 s[2:3], s[2:3]
	s_cbranch_execz .LBB65_133
; %bb.132:
	v_div_scale_f64 v[136:137], s[10:11], v[132:133], v[132:133], v[134:135]
	v_rcp_f64_e32 v[138:139], v[136:137]
	v_div_scale_f64 v[146:147], vcc, v[134:135], v[132:133], v[134:135]
	v_fma_f64 v[188:189], -v[136:137], v[138:139], 1.0
	v_fmac_f64_e32 v[138:139], v[138:139], v[188:189]
	v_fma_f64 v[188:189], -v[136:137], v[138:139], 1.0
	v_fmac_f64_e32 v[138:139], v[138:139], v[188:189]
	v_mul_f64 v[188:189], v[146:147], v[138:139]
	v_fma_f64 v[136:137], -v[136:137], v[188:189], v[146:147]
	v_div_fmas_f64 v[136:137], v[136:137], v[138:139], v[188:189]
	v_div_fixup_f64 v[138:139], v[136:137], v[132:133], v[134:135]
	v_fmac_f64_e32 v[132:133], v[134:135], v[138:139]
	v_div_scale_f64 v[134:135], s[10:11], v[132:133], v[132:133], 1.0
	v_rcp_f64_e32 v[136:137], v[134:135]
	s_nop 0
	v_fma_f64 v[146:147], -v[134:135], v[136:137], 1.0
	v_fmac_f64_e32 v[136:137], v[136:137], v[146:147]
	v_fma_f64 v[146:147], -v[134:135], v[136:137], 1.0
	v_fmac_f64_e32 v[136:137], v[136:137], v[146:147]
	v_div_scale_f64 v[146:147], vcc, 1.0, v[132:133], 1.0
	v_mul_f64 v[188:189], v[146:147], v[136:137]
	v_fma_f64 v[134:135], -v[134:135], v[188:189], v[146:147]
	s_nop 1
	v_div_fmas_f64 v[134:135], v[134:135], v[136:137], v[188:189]
	v_div_fixup_f64 v[136:137], v[134:135], v[132:133], 1.0
	v_mul_f64 v[138:139], v[138:139], -v[136:137]
.LBB65_133:
	s_or_b64 exec, exec, s[2:3]
	ds_write2_b64 v143, v[136:137], v[138:139] offset1:1
.LBB65_134:
	s_or_b64 exec, exec, s[4:5]
	s_waitcnt lgkmcnt(0)
	s_barrier
	ds_read2_b64 v[188:191], v143 offset1:1
	v_cmp_lt_u32_e32 vcc, 14, v142
	s_and_saveexec_b64 s[2:3], vcc
	s_cbranch_execz .LBB65_136
; %bb.135:
	ds_read2_b64 v[134:137], v144 offset0:30 offset1:31
	s_waitcnt vmcnt(54) lgkmcnt(1)
	v_mul_f64 v[132:133], v[190:191], v[70:71]
	v_mul_f64 v[70:71], v[188:189], v[70:71]
	v_fmac_f64_e32 v[70:71], v[190:191], v[68:69]
	v_fma_f64 v[132:133], v[188:189], v[68:69], -v[132:133]
	s_waitcnt lgkmcnt(0)
	v_mul_f64 v[68:69], v[136:137], v[70:71]
	v_fma_f64 v[68:69], v[134:135], v[132:133], -v[68:69]
	v_mul_f64 v[134:135], v[134:135], v[70:71]
	v_fmac_f64_e32 v[134:135], v[136:137], v[132:133]
	s_waitcnt vmcnt(53)
	v_add_f64 v[66:67], v[66:67], -v[134:135]
	ds_read2_b64 v[134:137], v144 offset0:32 offset1:33
	v_add_f64 v[64:65], v[64:65], -v[68:69]
	s_waitcnt lgkmcnt(0)
	v_mul_f64 v[68:69], v[136:137], v[70:71]
	v_fma_f64 v[68:69], v[134:135], v[132:133], -v[68:69]
	v_mul_f64 v[134:135], v[134:135], v[70:71]
	v_fmac_f64_e32 v[134:135], v[136:137], v[132:133]
	s_waitcnt vmcnt(52)
	v_add_f64 v[62:63], v[62:63], -v[134:135]
	ds_read2_b64 v[134:137], v144 offset0:34 offset1:35
	v_add_f64 v[60:61], v[60:61], -v[68:69]
	;; [unrolled: 9-line block ×16, first 2 shown]
	s_waitcnt lgkmcnt(0)
	v_mul_f64 v[68:69], v[136:137], v[70:71]
	v_fma_f64 v[68:69], v[134:135], v[132:133], -v[68:69]
	v_mul_f64 v[134:135], v[134:135], v[70:71]
	v_fmac_f64_e32 v[134:135], v[136:137], v[132:133]
	v_add_f64 v[2:3], v[2:3], -v[134:135]
	ds_read2_b64 v[134:137], v144 offset0:64 offset1:65
	v_add_f64 v[0:1], v[0:1], -v[68:69]
	s_waitcnt lgkmcnt(0)
	v_mul_f64 v[68:69], v[136:137], v[70:71]
	v_fma_f64 v[68:69], v[134:135], v[132:133], -v[68:69]
	v_mul_f64 v[134:135], v[134:135], v[70:71]
	v_fmac_f64_e32 v[134:135], v[136:137], v[132:133]
	s_waitcnt vmcnt(15)
	v_add_f64 v[128:129], v[128:129], -v[68:69]
	v_add_f64 v[130:131], v[130:131], -v[134:135]
	v_mov_b64_e32 v[68:69], v[132:133]
.LBB65_136:
	s_or_b64 exec, exec, s[2:3]
	v_cmp_eq_u32_e32 vcc, 15, v142
	s_waitcnt lgkmcnt(0)
	s_barrier
	s_and_saveexec_b64 s[4:5], vcc
	s_cbranch_execz .LBB65_143
; %bb.137:
	s_waitcnt vmcnt(53)
	ds_write2_b64 v143, v[64:65], v[66:67] offset1:1
	s_waitcnt vmcnt(52)
	ds_write2_b64 v144, v[60:61], v[62:63] offset0:32 offset1:33
	s_waitcnt vmcnt(51)
	ds_write2_b64 v144, v[56:57], v[58:59] offset0:34 offset1:35
	;; [unrolled: 2-line block ×15, first 2 shown]
	ds_write2_b64 v144, v[0:1], v[2:3] offset0:62 offset1:63
	s_waitcnt vmcnt(15)
	ds_write2_b64 v144, v[128:129], v[130:131] offset0:64 offset1:65
	ds_read2_b64 v[132:135], v143 offset1:1
	s_waitcnt lgkmcnt(0)
	v_cmp_neq_f64_e32 vcc, 0, v[132:133]
	v_cmp_neq_f64_e64 s[2:3], 0, v[134:135]
	s_or_b64 s[2:3], vcc, s[2:3]
	s_and_b64 exec, exec, s[2:3]
	s_cbranch_execz .LBB65_143
; %bb.138:
	v_cmp_ngt_f64_e64 s[2:3], |v[132:133]|, |v[134:135]|
                                        ; implicit-def: $vgpr136_vgpr137
	s_and_saveexec_b64 s[10:11], s[2:3]
	s_xor_b64 s[2:3], exec, s[10:11]
                                        ; implicit-def: $vgpr138_vgpr139
	s_cbranch_execz .LBB65_140
; %bb.139:
	v_div_scale_f64 v[136:137], s[10:11], v[134:135], v[134:135], v[132:133]
	v_rcp_f64_e32 v[138:139], v[136:137]
	v_div_scale_f64 v[146:147], vcc, v[132:133], v[134:135], v[132:133]
	v_fma_f64 v[192:193], -v[136:137], v[138:139], 1.0
	v_fmac_f64_e32 v[138:139], v[138:139], v[192:193]
	v_fma_f64 v[192:193], -v[136:137], v[138:139], 1.0
	v_fmac_f64_e32 v[138:139], v[138:139], v[192:193]
	v_mul_f64 v[192:193], v[146:147], v[138:139]
	v_fma_f64 v[136:137], -v[136:137], v[192:193], v[146:147]
	v_div_fmas_f64 v[136:137], v[136:137], v[138:139], v[192:193]
	v_div_fixup_f64 v[136:137], v[136:137], v[134:135], v[132:133]
	v_fmac_f64_e32 v[134:135], v[132:133], v[136:137]
	v_div_scale_f64 v[132:133], s[10:11], v[134:135], v[134:135], 1.0
	v_rcp_f64_e32 v[138:139], v[132:133]
	s_nop 0
	v_fma_f64 v[146:147], -v[132:133], v[138:139], 1.0
	v_fmac_f64_e32 v[138:139], v[138:139], v[146:147]
	v_fma_f64 v[146:147], -v[132:133], v[138:139], 1.0
	v_fmac_f64_e32 v[138:139], v[138:139], v[146:147]
	v_div_scale_f64 v[146:147], vcc, 1.0, v[134:135], 1.0
	v_mul_f64 v[192:193], v[146:147], v[138:139]
	v_fma_f64 v[132:133], -v[132:133], v[192:193], v[146:147]
	s_nop 1
	v_div_fmas_f64 v[132:133], v[132:133], v[138:139], v[192:193]
	v_div_fixup_f64 v[138:139], v[132:133], v[134:135], 1.0
	v_mul_f64 v[136:137], v[136:137], v[138:139]
	v_xor_b32_e32 v139, 0x80000000, v139
                                        ; implicit-def: $vgpr132_vgpr133
.LBB65_140:
	s_andn2_saveexec_b64 s[2:3], s[2:3]
	s_cbranch_execz .LBB65_142
; %bb.141:
	v_div_scale_f64 v[136:137], s[10:11], v[132:133], v[132:133], v[134:135]
	v_rcp_f64_e32 v[138:139], v[136:137]
	v_div_scale_f64 v[146:147], vcc, v[134:135], v[132:133], v[134:135]
	v_fma_f64 v[192:193], -v[136:137], v[138:139], 1.0
	v_fmac_f64_e32 v[138:139], v[138:139], v[192:193]
	v_fma_f64 v[192:193], -v[136:137], v[138:139], 1.0
	v_fmac_f64_e32 v[138:139], v[138:139], v[192:193]
	v_mul_f64 v[192:193], v[146:147], v[138:139]
	v_fma_f64 v[136:137], -v[136:137], v[192:193], v[146:147]
	v_div_fmas_f64 v[136:137], v[136:137], v[138:139], v[192:193]
	v_div_fixup_f64 v[138:139], v[136:137], v[132:133], v[134:135]
	v_fmac_f64_e32 v[132:133], v[134:135], v[138:139]
	v_div_scale_f64 v[134:135], s[10:11], v[132:133], v[132:133], 1.0
	v_rcp_f64_e32 v[136:137], v[134:135]
	s_nop 0
	v_fma_f64 v[146:147], -v[134:135], v[136:137], 1.0
	v_fmac_f64_e32 v[136:137], v[136:137], v[146:147]
	v_fma_f64 v[146:147], -v[134:135], v[136:137], 1.0
	v_fmac_f64_e32 v[136:137], v[136:137], v[146:147]
	v_div_scale_f64 v[146:147], vcc, 1.0, v[132:133], 1.0
	v_mul_f64 v[192:193], v[146:147], v[136:137]
	v_fma_f64 v[134:135], -v[134:135], v[192:193], v[146:147]
	s_nop 1
	v_div_fmas_f64 v[134:135], v[134:135], v[136:137], v[192:193]
	v_div_fixup_f64 v[136:137], v[134:135], v[132:133], 1.0
	v_mul_f64 v[138:139], v[138:139], -v[136:137]
.LBB65_142:
	s_or_b64 exec, exec, s[2:3]
	ds_write2_b64 v143, v[136:137], v[138:139] offset1:1
.LBB65_143:
	s_or_b64 exec, exec, s[4:5]
	s_waitcnt lgkmcnt(0)
	s_barrier
	ds_read2_b64 v[192:195], v143 offset1:1
	v_cmp_lt_u32_e32 vcc, 15, v142
	s_and_saveexec_b64 s[2:3], vcc
	s_cbranch_execz .LBB65_145
; %bb.144:
	ds_read2_b64 v[134:137], v144 offset0:32 offset1:33
	s_waitcnt vmcnt(53) lgkmcnt(1)
	v_mul_f64 v[132:133], v[194:195], v[66:67]
	v_mul_f64 v[66:67], v[192:193], v[66:67]
	v_fmac_f64_e32 v[66:67], v[194:195], v[64:65]
	v_fma_f64 v[132:133], v[192:193], v[64:65], -v[132:133]
	s_waitcnt lgkmcnt(0)
	v_mul_f64 v[64:65], v[136:137], v[66:67]
	v_fma_f64 v[64:65], v[134:135], v[132:133], -v[64:65]
	v_mul_f64 v[134:135], v[134:135], v[66:67]
	v_fmac_f64_e32 v[134:135], v[136:137], v[132:133]
	s_waitcnt vmcnt(52)
	v_add_f64 v[62:63], v[62:63], -v[134:135]
	ds_read2_b64 v[134:137], v144 offset0:34 offset1:35
	v_add_f64 v[60:61], v[60:61], -v[64:65]
	s_waitcnt lgkmcnt(0)
	v_mul_f64 v[64:65], v[136:137], v[66:67]
	v_fma_f64 v[64:65], v[134:135], v[132:133], -v[64:65]
	v_mul_f64 v[134:135], v[134:135], v[66:67]
	v_fmac_f64_e32 v[134:135], v[136:137], v[132:133]
	s_waitcnt vmcnt(51)
	v_add_f64 v[58:59], v[58:59], -v[134:135]
	ds_read2_b64 v[134:137], v144 offset0:36 offset1:37
	v_add_f64 v[56:57], v[56:57], -v[64:65]
	;; [unrolled: 9-line block ×15, first 2 shown]
	s_waitcnt lgkmcnt(0)
	v_mul_f64 v[64:65], v[136:137], v[66:67]
	v_fma_f64 v[64:65], v[134:135], v[132:133], -v[64:65]
	v_mul_f64 v[134:135], v[134:135], v[66:67]
	v_fmac_f64_e32 v[134:135], v[136:137], v[132:133]
	v_add_f64 v[2:3], v[2:3], -v[134:135]
	ds_read2_b64 v[134:137], v144 offset0:64 offset1:65
	v_add_f64 v[0:1], v[0:1], -v[64:65]
	s_waitcnt lgkmcnt(0)
	v_mul_f64 v[64:65], v[136:137], v[66:67]
	v_fma_f64 v[64:65], v[134:135], v[132:133], -v[64:65]
	v_mul_f64 v[134:135], v[134:135], v[66:67]
	v_fmac_f64_e32 v[134:135], v[136:137], v[132:133]
	s_waitcnt vmcnt(15)
	v_add_f64 v[128:129], v[128:129], -v[64:65]
	v_add_f64 v[130:131], v[130:131], -v[134:135]
	v_mov_b64_e32 v[64:65], v[132:133]
.LBB65_145:
	s_or_b64 exec, exec, s[2:3]
	v_cmp_eq_u32_e32 vcc, 16, v142
	s_waitcnt lgkmcnt(0)
	s_barrier
	s_and_saveexec_b64 s[4:5], vcc
	s_cbranch_execz .LBB65_152
; %bb.146:
	s_waitcnt vmcnt(52)
	ds_write2_b64 v143, v[60:61], v[62:63] offset1:1
	s_waitcnt vmcnt(51)
	ds_write2_b64 v144, v[56:57], v[58:59] offset0:34 offset1:35
	s_waitcnt vmcnt(50)
	ds_write2_b64 v144, v[52:53], v[54:55] offset0:36 offset1:37
	;; [unrolled: 2-line block ×14, first 2 shown]
	ds_write2_b64 v144, v[0:1], v[2:3] offset0:62 offset1:63
	s_waitcnt vmcnt(15)
	ds_write2_b64 v144, v[128:129], v[130:131] offset0:64 offset1:65
	ds_read2_b64 v[132:135], v143 offset1:1
	s_waitcnt lgkmcnt(0)
	v_cmp_neq_f64_e32 vcc, 0, v[132:133]
	v_cmp_neq_f64_e64 s[2:3], 0, v[134:135]
	s_or_b64 s[2:3], vcc, s[2:3]
	s_and_b64 exec, exec, s[2:3]
	s_cbranch_execz .LBB65_152
; %bb.147:
	v_cmp_ngt_f64_e64 s[2:3], |v[132:133]|, |v[134:135]|
                                        ; implicit-def: $vgpr136_vgpr137
	s_and_saveexec_b64 s[10:11], s[2:3]
	s_xor_b64 s[2:3], exec, s[10:11]
                                        ; implicit-def: $vgpr138_vgpr139
	s_cbranch_execz .LBB65_149
; %bb.148:
	v_div_scale_f64 v[136:137], s[10:11], v[134:135], v[134:135], v[132:133]
	v_rcp_f64_e32 v[138:139], v[136:137]
	v_div_scale_f64 v[146:147], vcc, v[132:133], v[134:135], v[132:133]
	v_fma_f64 v[196:197], -v[136:137], v[138:139], 1.0
	v_fmac_f64_e32 v[138:139], v[138:139], v[196:197]
	v_fma_f64 v[196:197], -v[136:137], v[138:139], 1.0
	v_fmac_f64_e32 v[138:139], v[138:139], v[196:197]
	v_mul_f64 v[196:197], v[146:147], v[138:139]
	v_fma_f64 v[136:137], -v[136:137], v[196:197], v[146:147]
	v_div_fmas_f64 v[136:137], v[136:137], v[138:139], v[196:197]
	v_div_fixup_f64 v[136:137], v[136:137], v[134:135], v[132:133]
	v_fmac_f64_e32 v[134:135], v[132:133], v[136:137]
	v_div_scale_f64 v[132:133], s[10:11], v[134:135], v[134:135], 1.0
	v_rcp_f64_e32 v[138:139], v[132:133]
	s_nop 0
	v_fma_f64 v[146:147], -v[132:133], v[138:139], 1.0
	v_fmac_f64_e32 v[138:139], v[138:139], v[146:147]
	v_fma_f64 v[146:147], -v[132:133], v[138:139], 1.0
	v_fmac_f64_e32 v[138:139], v[138:139], v[146:147]
	v_div_scale_f64 v[146:147], vcc, 1.0, v[134:135], 1.0
	v_mul_f64 v[196:197], v[146:147], v[138:139]
	v_fma_f64 v[132:133], -v[132:133], v[196:197], v[146:147]
	s_nop 1
	v_div_fmas_f64 v[132:133], v[132:133], v[138:139], v[196:197]
	v_div_fixup_f64 v[138:139], v[132:133], v[134:135], 1.0
	v_mul_f64 v[136:137], v[136:137], v[138:139]
	v_xor_b32_e32 v139, 0x80000000, v139
                                        ; implicit-def: $vgpr132_vgpr133
.LBB65_149:
	s_andn2_saveexec_b64 s[2:3], s[2:3]
	s_cbranch_execz .LBB65_151
; %bb.150:
	v_div_scale_f64 v[136:137], s[10:11], v[132:133], v[132:133], v[134:135]
	v_rcp_f64_e32 v[138:139], v[136:137]
	v_div_scale_f64 v[146:147], vcc, v[134:135], v[132:133], v[134:135]
	v_fma_f64 v[196:197], -v[136:137], v[138:139], 1.0
	v_fmac_f64_e32 v[138:139], v[138:139], v[196:197]
	v_fma_f64 v[196:197], -v[136:137], v[138:139], 1.0
	v_fmac_f64_e32 v[138:139], v[138:139], v[196:197]
	v_mul_f64 v[196:197], v[146:147], v[138:139]
	v_fma_f64 v[136:137], -v[136:137], v[196:197], v[146:147]
	v_div_fmas_f64 v[136:137], v[136:137], v[138:139], v[196:197]
	v_div_fixup_f64 v[138:139], v[136:137], v[132:133], v[134:135]
	v_fmac_f64_e32 v[132:133], v[134:135], v[138:139]
	v_div_scale_f64 v[134:135], s[10:11], v[132:133], v[132:133], 1.0
	v_rcp_f64_e32 v[136:137], v[134:135]
	s_nop 0
	v_fma_f64 v[146:147], -v[134:135], v[136:137], 1.0
	v_fmac_f64_e32 v[136:137], v[136:137], v[146:147]
	v_fma_f64 v[146:147], -v[134:135], v[136:137], 1.0
	v_fmac_f64_e32 v[136:137], v[136:137], v[146:147]
	v_div_scale_f64 v[146:147], vcc, 1.0, v[132:133], 1.0
	v_mul_f64 v[196:197], v[146:147], v[136:137]
	v_fma_f64 v[134:135], -v[134:135], v[196:197], v[146:147]
	s_nop 1
	v_div_fmas_f64 v[134:135], v[134:135], v[136:137], v[196:197]
	v_div_fixup_f64 v[136:137], v[134:135], v[132:133], 1.0
	v_mul_f64 v[138:139], v[138:139], -v[136:137]
.LBB65_151:
	s_or_b64 exec, exec, s[2:3]
	ds_write2_b64 v143, v[136:137], v[138:139] offset1:1
.LBB65_152:
	s_or_b64 exec, exec, s[4:5]
	s_waitcnt lgkmcnt(0)
	s_barrier
	ds_read2_b64 v[196:199], v143 offset1:1
	v_cmp_lt_u32_e32 vcc, 16, v142
	s_and_saveexec_b64 s[2:3], vcc
	s_cbranch_execz .LBB65_154
; %bb.153:
	ds_read2_b64 v[134:137], v144 offset0:34 offset1:35
	s_waitcnt vmcnt(52) lgkmcnt(1)
	v_mul_f64 v[132:133], v[196:197], v[62:63]
	v_fmac_f64_e32 v[132:133], v[198:199], v[60:61]
	v_mul_f64 v[62:63], v[198:199], v[62:63]
	v_fma_f64 v[60:61], v[196:197], v[60:61], -v[62:63]
	s_waitcnt lgkmcnt(0)
	v_mul_f64 v[62:63], v[136:137], v[132:133]
	v_fma_f64 v[62:63], v[134:135], v[60:61], -v[62:63]
	v_mul_f64 v[134:135], v[134:135], v[132:133]
	v_fmac_f64_e32 v[134:135], v[136:137], v[60:61]
	s_waitcnt vmcnt(51)
	v_add_f64 v[58:59], v[58:59], -v[134:135]
	ds_read2_b64 v[134:137], v144 offset0:36 offset1:37
	v_add_f64 v[56:57], v[56:57], -v[62:63]
	s_waitcnt lgkmcnt(0)
	v_mul_f64 v[62:63], v[136:137], v[132:133]
	v_fma_f64 v[62:63], v[134:135], v[60:61], -v[62:63]
	v_mul_f64 v[134:135], v[134:135], v[132:133]
	v_fmac_f64_e32 v[134:135], v[136:137], v[60:61]
	s_waitcnt vmcnt(50)
	v_add_f64 v[54:55], v[54:55], -v[134:135]
	ds_read2_b64 v[134:137], v144 offset0:38 offset1:39
	v_add_f64 v[52:53], v[52:53], -v[62:63]
	;; [unrolled: 9-line block ×14, first 2 shown]
	s_waitcnt lgkmcnt(0)
	v_mul_f64 v[62:63], v[136:137], v[132:133]
	v_fma_f64 v[62:63], v[134:135], v[60:61], -v[62:63]
	v_mul_f64 v[134:135], v[134:135], v[132:133]
	v_fmac_f64_e32 v[134:135], v[136:137], v[60:61]
	v_add_f64 v[2:3], v[2:3], -v[134:135]
	ds_read2_b64 v[134:137], v144 offset0:64 offset1:65
	v_add_f64 v[0:1], v[0:1], -v[62:63]
	s_waitcnt lgkmcnt(0)
	v_mul_f64 v[62:63], v[136:137], v[132:133]
	v_fma_f64 v[62:63], v[134:135], v[60:61], -v[62:63]
	v_mul_f64 v[134:135], v[134:135], v[132:133]
	v_fmac_f64_e32 v[134:135], v[136:137], v[60:61]
	s_waitcnt vmcnt(15)
	v_add_f64 v[128:129], v[128:129], -v[62:63]
	v_add_f64 v[130:131], v[130:131], -v[134:135]
	v_mov_b64_e32 v[62:63], v[132:133]
.LBB65_154:
	s_or_b64 exec, exec, s[2:3]
	v_cmp_eq_u32_e32 vcc, 17, v142
	s_waitcnt lgkmcnt(0)
	s_barrier
	s_and_saveexec_b64 s[4:5], vcc
	s_cbranch_execz .LBB65_161
; %bb.155:
	s_waitcnt vmcnt(51)
	ds_write2_b64 v143, v[56:57], v[58:59] offset1:1
	s_waitcnt vmcnt(50)
	ds_write2_b64 v144, v[52:53], v[54:55] offset0:36 offset1:37
	s_waitcnt vmcnt(49)
	ds_write2_b64 v144, v[48:49], v[50:51] offset0:38 offset1:39
	;; [unrolled: 2-line block ×13, first 2 shown]
	ds_write2_b64 v144, v[0:1], v[2:3] offset0:62 offset1:63
	s_waitcnt vmcnt(15)
	ds_write2_b64 v144, v[128:129], v[130:131] offset0:64 offset1:65
	ds_read2_b64 v[132:135], v143 offset1:1
	s_waitcnt lgkmcnt(0)
	v_cmp_neq_f64_e32 vcc, 0, v[132:133]
	v_cmp_neq_f64_e64 s[2:3], 0, v[134:135]
	s_or_b64 s[2:3], vcc, s[2:3]
	s_and_b64 exec, exec, s[2:3]
	s_cbranch_execz .LBB65_161
; %bb.156:
	v_cmp_ngt_f64_e64 s[2:3], |v[132:133]|, |v[134:135]|
                                        ; implicit-def: $vgpr136_vgpr137
	s_and_saveexec_b64 s[10:11], s[2:3]
	s_xor_b64 s[2:3], exec, s[10:11]
                                        ; implicit-def: $vgpr138_vgpr139
	s_cbranch_execz .LBB65_158
; %bb.157:
	v_div_scale_f64 v[136:137], s[10:11], v[134:135], v[134:135], v[132:133]
	v_rcp_f64_e32 v[138:139], v[136:137]
	v_div_scale_f64 v[146:147], vcc, v[132:133], v[134:135], v[132:133]
	v_fma_f64 v[200:201], -v[136:137], v[138:139], 1.0
	v_fmac_f64_e32 v[138:139], v[138:139], v[200:201]
	v_fma_f64 v[200:201], -v[136:137], v[138:139], 1.0
	v_fmac_f64_e32 v[138:139], v[138:139], v[200:201]
	v_mul_f64 v[200:201], v[146:147], v[138:139]
	v_fma_f64 v[136:137], -v[136:137], v[200:201], v[146:147]
	v_div_fmas_f64 v[136:137], v[136:137], v[138:139], v[200:201]
	v_div_fixup_f64 v[136:137], v[136:137], v[134:135], v[132:133]
	v_fmac_f64_e32 v[134:135], v[132:133], v[136:137]
	v_div_scale_f64 v[132:133], s[10:11], v[134:135], v[134:135], 1.0
	v_rcp_f64_e32 v[138:139], v[132:133]
	s_nop 0
	v_fma_f64 v[146:147], -v[132:133], v[138:139], 1.0
	v_fmac_f64_e32 v[138:139], v[138:139], v[146:147]
	v_fma_f64 v[146:147], -v[132:133], v[138:139], 1.0
	v_fmac_f64_e32 v[138:139], v[138:139], v[146:147]
	v_div_scale_f64 v[146:147], vcc, 1.0, v[134:135], 1.0
	v_mul_f64 v[200:201], v[146:147], v[138:139]
	v_fma_f64 v[132:133], -v[132:133], v[200:201], v[146:147]
	s_nop 1
	v_div_fmas_f64 v[132:133], v[132:133], v[138:139], v[200:201]
	v_div_fixup_f64 v[138:139], v[132:133], v[134:135], 1.0
	v_mul_f64 v[136:137], v[136:137], v[138:139]
	v_xor_b32_e32 v139, 0x80000000, v139
                                        ; implicit-def: $vgpr132_vgpr133
.LBB65_158:
	s_andn2_saveexec_b64 s[2:3], s[2:3]
	s_cbranch_execz .LBB65_160
; %bb.159:
	v_div_scale_f64 v[136:137], s[10:11], v[132:133], v[132:133], v[134:135]
	v_rcp_f64_e32 v[138:139], v[136:137]
	v_div_scale_f64 v[146:147], vcc, v[134:135], v[132:133], v[134:135]
	v_fma_f64 v[200:201], -v[136:137], v[138:139], 1.0
	v_fmac_f64_e32 v[138:139], v[138:139], v[200:201]
	v_fma_f64 v[200:201], -v[136:137], v[138:139], 1.0
	v_fmac_f64_e32 v[138:139], v[138:139], v[200:201]
	v_mul_f64 v[200:201], v[146:147], v[138:139]
	v_fma_f64 v[136:137], -v[136:137], v[200:201], v[146:147]
	v_div_fmas_f64 v[136:137], v[136:137], v[138:139], v[200:201]
	v_div_fixup_f64 v[138:139], v[136:137], v[132:133], v[134:135]
	v_fmac_f64_e32 v[132:133], v[134:135], v[138:139]
	v_div_scale_f64 v[134:135], s[10:11], v[132:133], v[132:133], 1.0
	v_rcp_f64_e32 v[136:137], v[134:135]
	s_nop 0
	v_fma_f64 v[146:147], -v[134:135], v[136:137], 1.0
	v_fmac_f64_e32 v[136:137], v[136:137], v[146:147]
	v_fma_f64 v[146:147], -v[134:135], v[136:137], 1.0
	v_fmac_f64_e32 v[136:137], v[136:137], v[146:147]
	v_div_scale_f64 v[146:147], vcc, 1.0, v[132:133], 1.0
	v_mul_f64 v[200:201], v[146:147], v[136:137]
	v_fma_f64 v[134:135], -v[134:135], v[200:201], v[146:147]
	s_nop 1
	v_div_fmas_f64 v[134:135], v[134:135], v[136:137], v[200:201]
	v_div_fixup_f64 v[136:137], v[134:135], v[132:133], 1.0
	v_mul_f64 v[138:139], v[138:139], -v[136:137]
.LBB65_160:
	s_or_b64 exec, exec, s[2:3]
	ds_write2_b64 v143, v[136:137], v[138:139] offset1:1
.LBB65_161:
	s_or_b64 exec, exec, s[4:5]
	s_waitcnt lgkmcnt(0)
	s_barrier
	ds_read2_b64 v[200:203], v143 offset1:1
	v_cmp_lt_u32_e32 vcc, 17, v142
	s_and_saveexec_b64 s[2:3], vcc
	s_cbranch_execz .LBB65_163
; %bb.162:
	ds_read2_b64 v[134:137], v144 offset0:36 offset1:37
	s_waitcnt vmcnt(51) lgkmcnt(1)
	v_mul_f64 v[132:133], v[200:201], v[58:59]
	v_fmac_f64_e32 v[132:133], v[202:203], v[56:57]
	v_mul_f64 v[58:59], v[202:203], v[58:59]
	v_fma_f64 v[56:57], v[200:201], v[56:57], -v[58:59]
	s_waitcnt lgkmcnt(0)
	v_mul_f64 v[58:59], v[136:137], v[132:133]
	v_fma_f64 v[58:59], v[134:135], v[56:57], -v[58:59]
	v_mul_f64 v[134:135], v[134:135], v[132:133]
	v_fmac_f64_e32 v[134:135], v[136:137], v[56:57]
	s_waitcnt vmcnt(50)
	v_add_f64 v[54:55], v[54:55], -v[134:135]
	ds_read2_b64 v[134:137], v144 offset0:38 offset1:39
	v_add_f64 v[52:53], v[52:53], -v[58:59]
	s_waitcnt lgkmcnt(0)
	v_mul_f64 v[58:59], v[136:137], v[132:133]
	v_fma_f64 v[58:59], v[134:135], v[56:57], -v[58:59]
	v_mul_f64 v[134:135], v[134:135], v[132:133]
	v_fmac_f64_e32 v[134:135], v[136:137], v[56:57]
	s_waitcnt vmcnt(49)
	v_add_f64 v[50:51], v[50:51], -v[134:135]
	ds_read2_b64 v[134:137], v144 offset0:40 offset1:41
	v_add_f64 v[48:49], v[48:49], -v[58:59]
	;; [unrolled: 9-line block ×13, first 2 shown]
	s_waitcnt lgkmcnt(0)
	v_mul_f64 v[58:59], v[136:137], v[132:133]
	v_fma_f64 v[58:59], v[134:135], v[56:57], -v[58:59]
	v_mul_f64 v[134:135], v[134:135], v[132:133]
	v_fmac_f64_e32 v[134:135], v[136:137], v[56:57]
	v_add_f64 v[2:3], v[2:3], -v[134:135]
	ds_read2_b64 v[134:137], v144 offset0:64 offset1:65
	v_add_f64 v[0:1], v[0:1], -v[58:59]
	s_waitcnt lgkmcnt(0)
	v_mul_f64 v[58:59], v[136:137], v[132:133]
	v_fma_f64 v[58:59], v[134:135], v[56:57], -v[58:59]
	v_mul_f64 v[134:135], v[134:135], v[132:133]
	v_fmac_f64_e32 v[134:135], v[136:137], v[56:57]
	s_waitcnt vmcnt(15)
	v_add_f64 v[128:129], v[128:129], -v[58:59]
	v_add_f64 v[130:131], v[130:131], -v[134:135]
	v_mov_b64_e32 v[58:59], v[132:133]
.LBB65_163:
	s_or_b64 exec, exec, s[2:3]
	v_cmp_eq_u32_e32 vcc, 18, v142
	s_waitcnt lgkmcnt(0)
	s_barrier
	s_and_saveexec_b64 s[4:5], vcc
	s_cbranch_execz .LBB65_170
; %bb.164:
	s_waitcnt vmcnt(50)
	ds_write2_b64 v143, v[52:53], v[54:55] offset1:1
	s_waitcnt vmcnt(49)
	ds_write2_b64 v144, v[48:49], v[50:51] offset0:38 offset1:39
	s_waitcnt vmcnt(48)
	ds_write2_b64 v144, v[44:45], v[46:47] offset0:40 offset1:41
	;; [unrolled: 2-line block ×12, first 2 shown]
	ds_write2_b64 v144, v[0:1], v[2:3] offset0:62 offset1:63
	s_waitcnt vmcnt(15)
	ds_write2_b64 v144, v[128:129], v[130:131] offset0:64 offset1:65
	ds_read2_b64 v[132:135], v143 offset1:1
	s_waitcnt lgkmcnt(0)
	v_cmp_neq_f64_e32 vcc, 0, v[132:133]
	v_cmp_neq_f64_e64 s[2:3], 0, v[134:135]
	s_or_b64 s[2:3], vcc, s[2:3]
	s_and_b64 exec, exec, s[2:3]
	s_cbranch_execz .LBB65_170
; %bb.165:
	v_cmp_ngt_f64_e64 s[2:3], |v[132:133]|, |v[134:135]|
                                        ; implicit-def: $vgpr136_vgpr137
	s_and_saveexec_b64 s[10:11], s[2:3]
	s_xor_b64 s[2:3], exec, s[10:11]
                                        ; implicit-def: $vgpr138_vgpr139
	s_cbranch_execz .LBB65_167
; %bb.166:
	v_div_scale_f64 v[136:137], s[10:11], v[134:135], v[134:135], v[132:133]
	v_rcp_f64_e32 v[138:139], v[136:137]
	v_div_scale_f64 v[146:147], vcc, v[132:133], v[134:135], v[132:133]
	v_fma_f64 v[204:205], -v[136:137], v[138:139], 1.0
	v_fmac_f64_e32 v[138:139], v[138:139], v[204:205]
	v_fma_f64 v[204:205], -v[136:137], v[138:139], 1.0
	v_fmac_f64_e32 v[138:139], v[138:139], v[204:205]
	v_mul_f64 v[204:205], v[146:147], v[138:139]
	v_fma_f64 v[136:137], -v[136:137], v[204:205], v[146:147]
	v_div_fmas_f64 v[136:137], v[136:137], v[138:139], v[204:205]
	v_div_fixup_f64 v[136:137], v[136:137], v[134:135], v[132:133]
	v_fmac_f64_e32 v[134:135], v[132:133], v[136:137]
	v_div_scale_f64 v[132:133], s[10:11], v[134:135], v[134:135], 1.0
	v_rcp_f64_e32 v[138:139], v[132:133]
	s_nop 0
	v_fma_f64 v[146:147], -v[132:133], v[138:139], 1.0
	v_fmac_f64_e32 v[138:139], v[138:139], v[146:147]
	v_fma_f64 v[146:147], -v[132:133], v[138:139], 1.0
	v_fmac_f64_e32 v[138:139], v[138:139], v[146:147]
	v_div_scale_f64 v[146:147], vcc, 1.0, v[134:135], 1.0
	v_mul_f64 v[204:205], v[146:147], v[138:139]
	v_fma_f64 v[132:133], -v[132:133], v[204:205], v[146:147]
	s_nop 1
	v_div_fmas_f64 v[132:133], v[132:133], v[138:139], v[204:205]
	v_div_fixup_f64 v[138:139], v[132:133], v[134:135], 1.0
	v_mul_f64 v[136:137], v[136:137], v[138:139]
	v_xor_b32_e32 v139, 0x80000000, v139
                                        ; implicit-def: $vgpr132_vgpr133
.LBB65_167:
	s_andn2_saveexec_b64 s[2:3], s[2:3]
	s_cbranch_execz .LBB65_169
; %bb.168:
	v_div_scale_f64 v[136:137], s[10:11], v[132:133], v[132:133], v[134:135]
	v_rcp_f64_e32 v[138:139], v[136:137]
	v_div_scale_f64 v[146:147], vcc, v[134:135], v[132:133], v[134:135]
	v_fma_f64 v[204:205], -v[136:137], v[138:139], 1.0
	v_fmac_f64_e32 v[138:139], v[138:139], v[204:205]
	v_fma_f64 v[204:205], -v[136:137], v[138:139], 1.0
	v_fmac_f64_e32 v[138:139], v[138:139], v[204:205]
	v_mul_f64 v[204:205], v[146:147], v[138:139]
	v_fma_f64 v[136:137], -v[136:137], v[204:205], v[146:147]
	v_div_fmas_f64 v[136:137], v[136:137], v[138:139], v[204:205]
	v_div_fixup_f64 v[138:139], v[136:137], v[132:133], v[134:135]
	v_fmac_f64_e32 v[132:133], v[134:135], v[138:139]
	v_div_scale_f64 v[134:135], s[10:11], v[132:133], v[132:133], 1.0
	v_rcp_f64_e32 v[136:137], v[134:135]
	s_nop 0
	v_fma_f64 v[146:147], -v[134:135], v[136:137], 1.0
	v_fmac_f64_e32 v[136:137], v[136:137], v[146:147]
	v_fma_f64 v[146:147], -v[134:135], v[136:137], 1.0
	v_fmac_f64_e32 v[136:137], v[136:137], v[146:147]
	v_div_scale_f64 v[146:147], vcc, 1.0, v[132:133], 1.0
	v_mul_f64 v[204:205], v[146:147], v[136:137]
	v_fma_f64 v[134:135], -v[134:135], v[204:205], v[146:147]
	s_nop 1
	v_div_fmas_f64 v[134:135], v[134:135], v[136:137], v[204:205]
	v_div_fixup_f64 v[136:137], v[134:135], v[132:133], 1.0
	v_mul_f64 v[138:139], v[138:139], -v[136:137]
.LBB65_169:
	s_or_b64 exec, exec, s[2:3]
	ds_write2_b64 v143, v[136:137], v[138:139] offset1:1
.LBB65_170:
	s_or_b64 exec, exec, s[4:5]
	s_waitcnt lgkmcnt(0)
	s_barrier
	ds_read2_b64 v[204:207], v143 offset1:1
	v_cmp_lt_u32_e32 vcc, 18, v142
	s_and_saveexec_b64 s[2:3], vcc
	s_cbranch_execz .LBB65_172
; %bb.171:
	ds_read2_b64 v[134:137], v144 offset0:38 offset1:39
	s_waitcnt vmcnt(50) lgkmcnt(1)
	v_mul_f64 v[132:133], v[204:205], v[54:55]
	v_fmac_f64_e32 v[132:133], v[206:207], v[52:53]
	v_mul_f64 v[54:55], v[206:207], v[54:55]
	v_fma_f64 v[52:53], v[204:205], v[52:53], -v[54:55]
	s_waitcnt lgkmcnt(0)
	v_mul_f64 v[54:55], v[136:137], v[132:133]
	v_fma_f64 v[54:55], v[134:135], v[52:53], -v[54:55]
	v_mul_f64 v[134:135], v[134:135], v[132:133]
	v_fmac_f64_e32 v[134:135], v[136:137], v[52:53]
	s_waitcnt vmcnt(49)
	v_add_f64 v[50:51], v[50:51], -v[134:135]
	ds_read2_b64 v[134:137], v144 offset0:40 offset1:41
	v_add_f64 v[48:49], v[48:49], -v[54:55]
	s_waitcnt lgkmcnt(0)
	v_mul_f64 v[54:55], v[136:137], v[132:133]
	v_fma_f64 v[54:55], v[134:135], v[52:53], -v[54:55]
	v_mul_f64 v[134:135], v[134:135], v[132:133]
	v_fmac_f64_e32 v[134:135], v[136:137], v[52:53]
	s_waitcnt vmcnt(48)
	v_add_f64 v[46:47], v[46:47], -v[134:135]
	ds_read2_b64 v[134:137], v144 offset0:42 offset1:43
	v_add_f64 v[44:45], v[44:45], -v[54:55]
	;; [unrolled: 9-line block ×12, first 2 shown]
	s_waitcnt lgkmcnt(0)
	v_mul_f64 v[54:55], v[136:137], v[132:133]
	v_fma_f64 v[54:55], v[134:135], v[52:53], -v[54:55]
	v_mul_f64 v[134:135], v[134:135], v[132:133]
	v_fmac_f64_e32 v[134:135], v[136:137], v[52:53]
	v_add_f64 v[2:3], v[2:3], -v[134:135]
	ds_read2_b64 v[134:137], v144 offset0:64 offset1:65
	v_add_f64 v[0:1], v[0:1], -v[54:55]
	s_waitcnt lgkmcnt(0)
	v_mul_f64 v[54:55], v[136:137], v[132:133]
	v_fma_f64 v[54:55], v[134:135], v[52:53], -v[54:55]
	v_mul_f64 v[134:135], v[134:135], v[132:133]
	v_fmac_f64_e32 v[134:135], v[136:137], v[52:53]
	s_waitcnt vmcnt(15)
	v_add_f64 v[128:129], v[128:129], -v[54:55]
	v_add_f64 v[130:131], v[130:131], -v[134:135]
	v_mov_b64_e32 v[54:55], v[132:133]
.LBB65_172:
	s_or_b64 exec, exec, s[2:3]
	v_cmp_eq_u32_e32 vcc, 19, v142
	s_waitcnt lgkmcnt(0)
	s_barrier
	s_and_saveexec_b64 s[4:5], vcc
	s_cbranch_execz .LBB65_179
; %bb.173:
	s_waitcnt vmcnt(49)
	ds_write2_b64 v143, v[48:49], v[50:51] offset1:1
	s_waitcnt vmcnt(48)
	ds_write2_b64 v144, v[44:45], v[46:47] offset0:40 offset1:41
	s_waitcnt vmcnt(27)
	ds_write2_b64 v144, v[40:41], v[42:43] offset0:42 offset1:43
	s_waitcnt vmcnt(25)
	ds_write2_b64 v144, v[36:37], v[38:39] offset0:44 offset1:45
	s_waitcnt vmcnt(24)
	ds_write2_b64 v144, v[32:33], v[34:35] offset0:46 offset1:47
	s_waitcnt vmcnt(23)
	ds_write2_b64 v144, v[28:29], v[30:31] offset0:48 offset1:49
	s_waitcnt vmcnt(22)
	ds_write2_b64 v144, v[24:25], v[26:27] offset0:50 offset1:51
	s_waitcnt vmcnt(21)
	ds_write2_b64 v144, v[20:21], v[22:23] offset0:52 offset1:53
	s_waitcnt vmcnt(20)
	ds_write2_b64 v144, v[16:17], v[18:19] offset0:54 offset1:55
	s_waitcnt vmcnt(19)
	ds_write2_b64 v144, v[12:13], v[14:15] offset0:56 offset1:57
	s_waitcnt vmcnt(18)
	ds_write2_b64 v144, v[8:9], v[10:11] offset0:58 offset1:59
	s_waitcnt vmcnt(17)
	ds_write2_b64 v144, v[4:5], v[6:7] offset0:60 offset1:61
	ds_write2_b64 v144, v[0:1], v[2:3] offset0:62 offset1:63
	s_waitcnt vmcnt(15)
	ds_write2_b64 v144, v[128:129], v[130:131] offset0:64 offset1:65
	ds_read2_b64 v[132:135], v143 offset1:1
	s_waitcnt lgkmcnt(0)
	v_cmp_neq_f64_e32 vcc, 0, v[132:133]
	v_cmp_neq_f64_e64 s[2:3], 0, v[134:135]
	s_or_b64 s[2:3], vcc, s[2:3]
	s_and_b64 exec, exec, s[2:3]
	s_cbranch_execz .LBB65_179
; %bb.174:
	v_cmp_ngt_f64_e64 s[2:3], |v[132:133]|, |v[134:135]|
                                        ; implicit-def: $vgpr136_vgpr137
	s_and_saveexec_b64 s[10:11], s[2:3]
	s_xor_b64 s[2:3], exec, s[10:11]
                                        ; implicit-def: $vgpr138_vgpr139
	s_cbranch_execz .LBB65_176
; %bb.175:
	v_div_scale_f64 v[136:137], s[10:11], v[134:135], v[134:135], v[132:133]
	v_rcp_f64_e32 v[138:139], v[136:137]
	v_div_scale_f64 v[146:147], vcc, v[132:133], v[134:135], v[132:133]
	v_fma_f64 v[208:209], -v[136:137], v[138:139], 1.0
	v_fmac_f64_e32 v[138:139], v[138:139], v[208:209]
	v_fma_f64 v[208:209], -v[136:137], v[138:139], 1.0
	v_fmac_f64_e32 v[138:139], v[138:139], v[208:209]
	v_mul_f64 v[208:209], v[146:147], v[138:139]
	v_fma_f64 v[136:137], -v[136:137], v[208:209], v[146:147]
	v_div_fmas_f64 v[136:137], v[136:137], v[138:139], v[208:209]
	v_div_fixup_f64 v[136:137], v[136:137], v[134:135], v[132:133]
	v_fmac_f64_e32 v[134:135], v[132:133], v[136:137]
	v_div_scale_f64 v[132:133], s[10:11], v[134:135], v[134:135], 1.0
	v_rcp_f64_e32 v[138:139], v[132:133]
	s_nop 0
	v_fma_f64 v[146:147], -v[132:133], v[138:139], 1.0
	v_fmac_f64_e32 v[138:139], v[138:139], v[146:147]
	v_fma_f64 v[146:147], -v[132:133], v[138:139], 1.0
	v_fmac_f64_e32 v[138:139], v[138:139], v[146:147]
	v_div_scale_f64 v[146:147], vcc, 1.0, v[134:135], 1.0
	v_mul_f64 v[208:209], v[146:147], v[138:139]
	v_fma_f64 v[132:133], -v[132:133], v[208:209], v[146:147]
	s_nop 1
	v_div_fmas_f64 v[132:133], v[132:133], v[138:139], v[208:209]
	v_div_fixup_f64 v[138:139], v[132:133], v[134:135], 1.0
	v_mul_f64 v[136:137], v[136:137], v[138:139]
	v_xor_b32_e32 v139, 0x80000000, v139
                                        ; implicit-def: $vgpr132_vgpr133
.LBB65_176:
	s_andn2_saveexec_b64 s[2:3], s[2:3]
	s_cbranch_execz .LBB65_178
; %bb.177:
	v_div_scale_f64 v[136:137], s[10:11], v[132:133], v[132:133], v[134:135]
	v_rcp_f64_e32 v[138:139], v[136:137]
	v_div_scale_f64 v[146:147], vcc, v[134:135], v[132:133], v[134:135]
	v_fma_f64 v[208:209], -v[136:137], v[138:139], 1.0
	v_fmac_f64_e32 v[138:139], v[138:139], v[208:209]
	v_fma_f64 v[208:209], -v[136:137], v[138:139], 1.0
	v_fmac_f64_e32 v[138:139], v[138:139], v[208:209]
	v_mul_f64 v[208:209], v[146:147], v[138:139]
	v_fma_f64 v[136:137], -v[136:137], v[208:209], v[146:147]
	v_div_fmas_f64 v[136:137], v[136:137], v[138:139], v[208:209]
	v_div_fixup_f64 v[138:139], v[136:137], v[132:133], v[134:135]
	v_fmac_f64_e32 v[132:133], v[134:135], v[138:139]
	v_div_scale_f64 v[134:135], s[10:11], v[132:133], v[132:133], 1.0
	v_rcp_f64_e32 v[136:137], v[134:135]
	s_nop 0
	v_fma_f64 v[146:147], -v[134:135], v[136:137], 1.0
	v_fmac_f64_e32 v[136:137], v[136:137], v[146:147]
	v_fma_f64 v[146:147], -v[134:135], v[136:137], 1.0
	v_fmac_f64_e32 v[136:137], v[136:137], v[146:147]
	v_div_scale_f64 v[146:147], vcc, 1.0, v[132:133], 1.0
	v_mul_f64 v[208:209], v[146:147], v[136:137]
	v_fma_f64 v[134:135], -v[134:135], v[208:209], v[146:147]
	s_nop 1
	v_div_fmas_f64 v[134:135], v[134:135], v[136:137], v[208:209]
	v_div_fixup_f64 v[136:137], v[134:135], v[132:133], 1.0
	v_mul_f64 v[138:139], v[138:139], -v[136:137]
.LBB65_178:
	s_or_b64 exec, exec, s[2:3]
	ds_write2_b64 v143, v[136:137], v[138:139] offset1:1
.LBB65_179:
	s_or_b64 exec, exec, s[4:5]
	s_waitcnt lgkmcnt(0)
	s_barrier
	ds_read2_b64 v[208:211], v143 offset1:1
	v_cmp_lt_u32_e32 vcc, 19, v142
	s_and_saveexec_b64 s[2:3], vcc
	s_cbranch_execz .LBB65_181
; %bb.180:
	ds_read2_b64 v[134:137], v144 offset0:40 offset1:41
	s_waitcnt vmcnt(49) lgkmcnt(1)
	v_mul_f64 v[132:133], v[208:209], v[50:51]
	v_fmac_f64_e32 v[132:133], v[210:211], v[48:49]
	v_mul_f64 v[50:51], v[210:211], v[50:51]
	v_fma_f64 v[48:49], v[208:209], v[48:49], -v[50:51]
	s_waitcnt lgkmcnt(0)
	v_mul_f64 v[50:51], v[136:137], v[132:133]
	v_fma_f64 v[50:51], v[134:135], v[48:49], -v[50:51]
	v_mul_f64 v[134:135], v[134:135], v[132:133]
	v_fmac_f64_e32 v[134:135], v[136:137], v[48:49]
	s_waitcnt vmcnt(48)
	v_add_f64 v[46:47], v[46:47], -v[134:135]
	ds_read2_b64 v[134:137], v144 offset0:42 offset1:43
	v_add_f64 v[44:45], v[44:45], -v[50:51]
	s_waitcnt lgkmcnt(0)
	v_mul_f64 v[50:51], v[136:137], v[132:133]
	v_fma_f64 v[50:51], v[134:135], v[48:49], -v[50:51]
	v_mul_f64 v[134:135], v[134:135], v[132:133]
	v_fmac_f64_e32 v[134:135], v[136:137], v[48:49]
	s_waitcnt vmcnt(27)
	v_add_f64 v[42:43], v[42:43], -v[134:135]
	ds_read2_b64 v[134:137], v144 offset0:44 offset1:45
	v_add_f64 v[40:41], v[40:41], -v[50:51]
	s_waitcnt lgkmcnt(0)
	v_mul_f64 v[50:51], v[136:137], v[132:133]
	v_fma_f64 v[50:51], v[134:135], v[48:49], -v[50:51]
	v_mul_f64 v[134:135], v[134:135], v[132:133]
	v_fmac_f64_e32 v[134:135], v[136:137], v[48:49]
	s_waitcnt vmcnt(25)
	v_add_f64 v[38:39], v[38:39], -v[134:135]
	ds_read2_b64 v[134:137], v144 offset0:46 offset1:47
	v_add_f64 v[36:37], v[36:37], -v[50:51]
	s_waitcnt lgkmcnt(0)
	v_mul_f64 v[50:51], v[136:137], v[132:133]
	v_fma_f64 v[50:51], v[134:135], v[48:49], -v[50:51]
	v_mul_f64 v[134:135], v[134:135], v[132:133]
	v_fmac_f64_e32 v[134:135], v[136:137], v[48:49]
	s_waitcnt vmcnt(24)
	v_add_f64 v[34:35], v[34:35], -v[134:135]
	ds_read2_b64 v[134:137], v144 offset0:48 offset1:49
	v_add_f64 v[32:33], v[32:33], -v[50:51]
	s_waitcnt lgkmcnt(0)
	v_mul_f64 v[50:51], v[136:137], v[132:133]
	v_fma_f64 v[50:51], v[134:135], v[48:49], -v[50:51]
	v_mul_f64 v[134:135], v[134:135], v[132:133]
	v_fmac_f64_e32 v[134:135], v[136:137], v[48:49]
	s_waitcnt vmcnt(23)
	v_add_f64 v[30:31], v[30:31], -v[134:135]
	ds_read2_b64 v[134:137], v144 offset0:50 offset1:51
	v_add_f64 v[28:29], v[28:29], -v[50:51]
	s_waitcnt lgkmcnt(0)
	v_mul_f64 v[50:51], v[136:137], v[132:133]
	v_fma_f64 v[50:51], v[134:135], v[48:49], -v[50:51]
	v_mul_f64 v[134:135], v[134:135], v[132:133]
	v_fmac_f64_e32 v[134:135], v[136:137], v[48:49]
	s_waitcnt vmcnt(22)
	v_add_f64 v[26:27], v[26:27], -v[134:135]
	ds_read2_b64 v[134:137], v144 offset0:52 offset1:53
	v_add_f64 v[24:25], v[24:25], -v[50:51]
	s_waitcnt lgkmcnt(0)
	v_mul_f64 v[50:51], v[136:137], v[132:133]
	v_fma_f64 v[50:51], v[134:135], v[48:49], -v[50:51]
	v_mul_f64 v[134:135], v[134:135], v[132:133]
	v_fmac_f64_e32 v[134:135], v[136:137], v[48:49]
	s_waitcnt vmcnt(21)
	v_add_f64 v[22:23], v[22:23], -v[134:135]
	ds_read2_b64 v[134:137], v144 offset0:54 offset1:55
	v_add_f64 v[20:21], v[20:21], -v[50:51]
	s_waitcnt lgkmcnt(0)
	v_mul_f64 v[50:51], v[136:137], v[132:133]
	v_fma_f64 v[50:51], v[134:135], v[48:49], -v[50:51]
	v_mul_f64 v[134:135], v[134:135], v[132:133]
	v_fmac_f64_e32 v[134:135], v[136:137], v[48:49]
	s_waitcnt vmcnt(20)
	v_add_f64 v[18:19], v[18:19], -v[134:135]
	ds_read2_b64 v[134:137], v144 offset0:56 offset1:57
	v_add_f64 v[16:17], v[16:17], -v[50:51]
	s_waitcnt lgkmcnt(0)
	v_mul_f64 v[50:51], v[136:137], v[132:133]
	v_fma_f64 v[50:51], v[134:135], v[48:49], -v[50:51]
	v_mul_f64 v[134:135], v[134:135], v[132:133]
	v_fmac_f64_e32 v[134:135], v[136:137], v[48:49]
	s_waitcnt vmcnt(19)
	v_add_f64 v[14:15], v[14:15], -v[134:135]
	ds_read2_b64 v[134:137], v144 offset0:58 offset1:59
	v_add_f64 v[12:13], v[12:13], -v[50:51]
	s_waitcnt lgkmcnt(0)
	v_mul_f64 v[50:51], v[136:137], v[132:133]
	v_fma_f64 v[50:51], v[134:135], v[48:49], -v[50:51]
	v_mul_f64 v[134:135], v[134:135], v[132:133]
	v_fmac_f64_e32 v[134:135], v[136:137], v[48:49]
	s_waitcnt vmcnt(18)
	v_add_f64 v[10:11], v[10:11], -v[134:135]
	ds_read2_b64 v[134:137], v144 offset0:60 offset1:61
	v_add_f64 v[8:9], v[8:9], -v[50:51]
	s_waitcnt lgkmcnt(0)
	v_mul_f64 v[50:51], v[136:137], v[132:133]
	v_fma_f64 v[50:51], v[134:135], v[48:49], -v[50:51]
	v_mul_f64 v[134:135], v[134:135], v[132:133]
	v_fmac_f64_e32 v[134:135], v[136:137], v[48:49]
	s_waitcnt vmcnt(17)
	v_add_f64 v[6:7], v[6:7], -v[134:135]
	ds_read2_b64 v[134:137], v144 offset0:62 offset1:63
	v_add_f64 v[4:5], v[4:5], -v[50:51]
	s_waitcnt lgkmcnt(0)
	v_mul_f64 v[50:51], v[136:137], v[132:133]
	v_fma_f64 v[50:51], v[134:135], v[48:49], -v[50:51]
	v_mul_f64 v[134:135], v[134:135], v[132:133]
	v_fmac_f64_e32 v[134:135], v[136:137], v[48:49]
	v_add_f64 v[2:3], v[2:3], -v[134:135]
	ds_read2_b64 v[134:137], v144 offset0:64 offset1:65
	v_add_f64 v[0:1], v[0:1], -v[50:51]
	s_waitcnt lgkmcnt(0)
	v_mul_f64 v[50:51], v[136:137], v[132:133]
	v_fma_f64 v[50:51], v[134:135], v[48:49], -v[50:51]
	v_mul_f64 v[134:135], v[134:135], v[132:133]
	v_fmac_f64_e32 v[134:135], v[136:137], v[48:49]
	s_waitcnt vmcnt(15)
	v_add_f64 v[128:129], v[128:129], -v[50:51]
	v_add_f64 v[130:131], v[130:131], -v[134:135]
	v_mov_b64_e32 v[50:51], v[132:133]
.LBB65_181:
	s_or_b64 exec, exec, s[2:3]
	v_cmp_eq_u32_e32 vcc, 20, v142
	s_waitcnt lgkmcnt(0)
	s_barrier
	s_and_saveexec_b64 s[4:5], vcc
	s_cbranch_execz .LBB65_188
; %bb.182:
	s_waitcnt vmcnt(48)
	ds_write2_b64 v143, v[44:45], v[46:47] offset1:1
	s_waitcnt vmcnt(27)
	ds_write2_b64 v144, v[40:41], v[42:43] offset0:42 offset1:43
	s_waitcnt vmcnt(25)
	ds_write2_b64 v144, v[36:37], v[38:39] offset0:44 offset1:45
	;; [unrolled: 2-line block ×10, first 2 shown]
	ds_write2_b64 v144, v[0:1], v[2:3] offset0:62 offset1:63
	s_waitcnt vmcnt(15)
	ds_write2_b64 v144, v[128:129], v[130:131] offset0:64 offset1:65
	ds_read2_b64 v[132:135], v143 offset1:1
	s_waitcnt lgkmcnt(0)
	v_cmp_neq_f64_e32 vcc, 0, v[132:133]
	v_cmp_neq_f64_e64 s[2:3], 0, v[134:135]
	s_or_b64 s[2:3], vcc, s[2:3]
	s_and_b64 exec, exec, s[2:3]
	s_cbranch_execz .LBB65_188
; %bb.183:
	v_cmp_ngt_f64_e64 s[2:3], |v[132:133]|, |v[134:135]|
                                        ; implicit-def: $vgpr136_vgpr137
	s_and_saveexec_b64 s[10:11], s[2:3]
	s_xor_b64 s[2:3], exec, s[10:11]
                                        ; implicit-def: $vgpr138_vgpr139
	s_cbranch_execz .LBB65_185
; %bb.184:
	v_div_scale_f64 v[136:137], s[10:11], v[134:135], v[134:135], v[132:133]
	v_rcp_f64_e32 v[138:139], v[136:137]
	v_div_scale_f64 v[146:147], vcc, v[132:133], v[134:135], v[132:133]
	v_fma_f64 v[212:213], -v[136:137], v[138:139], 1.0
	v_fmac_f64_e32 v[138:139], v[138:139], v[212:213]
	v_fma_f64 v[212:213], -v[136:137], v[138:139], 1.0
	v_fmac_f64_e32 v[138:139], v[138:139], v[212:213]
	v_mul_f64 v[212:213], v[146:147], v[138:139]
	v_fma_f64 v[136:137], -v[136:137], v[212:213], v[146:147]
	v_div_fmas_f64 v[136:137], v[136:137], v[138:139], v[212:213]
	v_div_fixup_f64 v[136:137], v[136:137], v[134:135], v[132:133]
	v_fmac_f64_e32 v[134:135], v[132:133], v[136:137]
	v_div_scale_f64 v[132:133], s[10:11], v[134:135], v[134:135], 1.0
	v_rcp_f64_e32 v[138:139], v[132:133]
	s_nop 0
	v_fma_f64 v[146:147], -v[132:133], v[138:139], 1.0
	v_fmac_f64_e32 v[138:139], v[138:139], v[146:147]
	v_fma_f64 v[146:147], -v[132:133], v[138:139], 1.0
	v_fmac_f64_e32 v[138:139], v[138:139], v[146:147]
	v_div_scale_f64 v[146:147], vcc, 1.0, v[134:135], 1.0
	v_mul_f64 v[212:213], v[146:147], v[138:139]
	v_fma_f64 v[132:133], -v[132:133], v[212:213], v[146:147]
	s_nop 1
	v_div_fmas_f64 v[132:133], v[132:133], v[138:139], v[212:213]
	v_div_fixup_f64 v[138:139], v[132:133], v[134:135], 1.0
	v_mul_f64 v[136:137], v[136:137], v[138:139]
	v_xor_b32_e32 v139, 0x80000000, v139
                                        ; implicit-def: $vgpr132_vgpr133
.LBB65_185:
	s_andn2_saveexec_b64 s[2:3], s[2:3]
	s_cbranch_execz .LBB65_187
; %bb.186:
	v_div_scale_f64 v[136:137], s[10:11], v[132:133], v[132:133], v[134:135]
	v_rcp_f64_e32 v[138:139], v[136:137]
	v_div_scale_f64 v[146:147], vcc, v[134:135], v[132:133], v[134:135]
	v_fma_f64 v[212:213], -v[136:137], v[138:139], 1.0
	v_fmac_f64_e32 v[138:139], v[138:139], v[212:213]
	v_fma_f64 v[212:213], -v[136:137], v[138:139], 1.0
	v_fmac_f64_e32 v[138:139], v[138:139], v[212:213]
	v_mul_f64 v[212:213], v[146:147], v[138:139]
	v_fma_f64 v[136:137], -v[136:137], v[212:213], v[146:147]
	v_div_fmas_f64 v[136:137], v[136:137], v[138:139], v[212:213]
	v_div_fixup_f64 v[138:139], v[136:137], v[132:133], v[134:135]
	v_fmac_f64_e32 v[132:133], v[134:135], v[138:139]
	v_div_scale_f64 v[134:135], s[10:11], v[132:133], v[132:133], 1.0
	v_rcp_f64_e32 v[136:137], v[134:135]
	s_nop 0
	v_fma_f64 v[146:147], -v[134:135], v[136:137], 1.0
	v_fmac_f64_e32 v[136:137], v[136:137], v[146:147]
	v_fma_f64 v[146:147], -v[134:135], v[136:137], 1.0
	v_fmac_f64_e32 v[136:137], v[136:137], v[146:147]
	v_div_scale_f64 v[146:147], vcc, 1.0, v[132:133], 1.0
	v_mul_f64 v[212:213], v[146:147], v[136:137]
	v_fma_f64 v[134:135], -v[134:135], v[212:213], v[146:147]
	s_nop 1
	v_div_fmas_f64 v[134:135], v[134:135], v[136:137], v[212:213]
	v_div_fixup_f64 v[136:137], v[134:135], v[132:133], 1.0
	v_mul_f64 v[138:139], v[138:139], -v[136:137]
.LBB65_187:
	s_or_b64 exec, exec, s[2:3]
	ds_write2_b64 v143, v[136:137], v[138:139] offset1:1
.LBB65_188:
	s_or_b64 exec, exec, s[4:5]
	s_waitcnt lgkmcnt(0)
	s_barrier
	ds_read2_b64 v[212:215], v143 offset1:1
	v_cmp_lt_u32_e32 vcc, 20, v142
	s_and_saveexec_b64 s[2:3], vcc
	s_cbranch_execz .LBB65_190
; %bb.189:
	ds_read2_b64 v[134:137], v144 offset0:42 offset1:43
	s_waitcnt vmcnt(48) lgkmcnt(1)
	v_mul_f64 v[132:133], v[212:213], v[46:47]
	v_fmac_f64_e32 v[132:133], v[214:215], v[44:45]
	v_mul_f64 v[46:47], v[214:215], v[46:47]
	v_fma_f64 v[44:45], v[212:213], v[44:45], -v[46:47]
	s_waitcnt lgkmcnt(0)
	v_mul_f64 v[46:47], v[136:137], v[132:133]
	v_fma_f64 v[46:47], v[134:135], v[44:45], -v[46:47]
	v_mul_f64 v[134:135], v[134:135], v[132:133]
	v_fmac_f64_e32 v[134:135], v[136:137], v[44:45]
	s_waitcnt vmcnt(27)
	v_add_f64 v[42:43], v[42:43], -v[134:135]
	ds_read2_b64 v[134:137], v144 offset0:44 offset1:45
	v_add_f64 v[40:41], v[40:41], -v[46:47]
	s_waitcnt lgkmcnt(0)
	v_mul_f64 v[46:47], v[136:137], v[132:133]
	v_fma_f64 v[46:47], v[134:135], v[44:45], -v[46:47]
	v_mul_f64 v[134:135], v[134:135], v[132:133]
	v_fmac_f64_e32 v[134:135], v[136:137], v[44:45]
	s_waitcnt vmcnt(25)
	v_add_f64 v[38:39], v[38:39], -v[134:135]
	ds_read2_b64 v[134:137], v144 offset0:46 offset1:47
	v_add_f64 v[36:37], v[36:37], -v[46:47]
	;; [unrolled: 9-line block ×10, first 2 shown]
	s_waitcnt lgkmcnt(0)
	v_mul_f64 v[46:47], v[136:137], v[132:133]
	v_fma_f64 v[46:47], v[134:135], v[44:45], -v[46:47]
	v_mul_f64 v[134:135], v[134:135], v[132:133]
	v_fmac_f64_e32 v[134:135], v[136:137], v[44:45]
	v_add_f64 v[2:3], v[2:3], -v[134:135]
	ds_read2_b64 v[134:137], v144 offset0:64 offset1:65
	v_add_f64 v[0:1], v[0:1], -v[46:47]
	s_waitcnt lgkmcnt(0)
	v_mul_f64 v[46:47], v[136:137], v[132:133]
	v_fma_f64 v[46:47], v[134:135], v[44:45], -v[46:47]
	v_mul_f64 v[134:135], v[134:135], v[132:133]
	v_fmac_f64_e32 v[134:135], v[136:137], v[44:45]
	s_waitcnt vmcnt(15)
	v_add_f64 v[128:129], v[128:129], -v[46:47]
	v_add_f64 v[130:131], v[130:131], -v[134:135]
	v_mov_b64_e32 v[46:47], v[132:133]
.LBB65_190:
	s_or_b64 exec, exec, s[2:3]
	v_cmp_eq_u32_e32 vcc, 21, v142
	s_waitcnt lgkmcnt(0)
	s_barrier
	s_and_saveexec_b64 s[4:5], vcc
	s_cbranch_execz .LBB65_197
; %bb.191:
	s_waitcnt vmcnt(27)
	ds_write2_b64 v143, v[40:41], v[42:43] offset1:1
	s_waitcnt vmcnt(25)
	ds_write2_b64 v144, v[36:37], v[38:39] offset0:44 offset1:45
	s_waitcnt vmcnt(24)
	ds_write2_b64 v144, v[32:33], v[34:35] offset0:46 offset1:47
	;; [unrolled: 2-line block ×9, first 2 shown]
	ds_write2_b64 v144, v[0:1], v[2:3] offset0:62 offset1:63
	s_waitcnt vmcnt(15)
	ds_write2_b64 v144, v[128:129], v[130:131] offset0:64 offset1:65
	ds_read2_b64 v[132:135], v143 offset1:1
	s_waitcnt lgkmcnt(0)
	v_cmp_neq_f64_e32 vcc, 0, v[132:133]
	v_cmp_neq_f64_e64 s[2:3], 0, v[134:135]
	s_or_b64 s[2:3], vcc, s[2:3]
	s_and_b64 exec, exec, s[2:3]
	s_cbranch_execz .LBB65_197
; %bb.192:
	v_cmp_ngt_f64_e64 s[2:3], |v[132:133]|, |v[134:135]|
                                        ; implicit-def: $vgpr136_vgpr137
	s_and_saveexec_b64 s[10:11], s[2:3]
	s_xor_b64 s[2:3], exec, s[10:11]
                                        ; implicit-def: $vgpr138_vgpr139
	s_cbranch_execz .LBB65_194
; %bb.193:
	v_div_scale_f64 v[136:137], s[10:11], v[134:135], v[134:135], v[132:133]
	v_rcp_f64_e32 v[138:139], v[136:137]
	v_div_scale_f64 v[146:147], vcc, v[132:133], v[134:135], v[132:133]
	v_fma_f64 v[216:217], -v[136:137], v[138:139], 1.0
	v_fmac_f64_e32 v[138:139], v[138:139], v[216:217]
	v_fma_f64 v[216:217], -v[136:137], v[138:139], 1.0
	v_fmac_f64_e32 v[138:139], v[138:139], v[216:217]
	v_mul_f64 v[216:217], v[146:147], v[138:139]
	v_fma_f64 v[136:137], -v[136:137], v[216:217], v[146:147]
	v_div_fmas_f64 v[136:137], v[136:137], v[138:139], v[216:217]
	v_div_fixup_f64 v[136:137], v[136:137], v[134:135], v[132:133]
	v_fmac_f64_e32 v[134:135], v[132:133], v[136:137]
	v_div_scale_f64 v[132:133], s[10:11], v[134:135], v[134:135], 1.0
	v_rcp_f64_e32 v[138:139], v[132:133]
	s_nop 0
	v_fma_f64 v[146:147], -v[132:133], v[138:139], 1.0
	v_fmac_f64_e32 v[138:139], v[138:139], v[146:147]
	v_fma_f64 v[146:147], -v[132:133], v[138:139], 1.0
	v_fmac_f64_e32 v[138:139], v[138:139], v[146:147]
	v_div_scale_f64 v[146:147], vcc, 1.0, v[134:135], 1.0
	v_mul_f64 v[216:217], v[146:147], v[138:139]
	v_fma_f64 v[132:133], -v[132:133], v[216:217], v[146:147]
	s_nop 1
	v_div_fmas_f64 v[132:133], v[132:133], v[138:139], v[216:217]
	v_div_fixup_f64 v[138:139], v[132:133], v[134:135], 1.0
	v_mul_f64 v[136:137], v[136:137], v[138:139]
	v_xor_b32_e32 v139, 0x80000000, v139
                                        ; implicit-def: $vgpr132_vgpr133
.LBB65_194:
	s_andn2_saveexec_b64 s[2:3], s[2:3]
	s_cbranch_execz .LBB65_196
; %bb.195:
	v_div_scale_f64 v[136:137], s[10:11], v[132:133], v[132:133], v[134:135]
	v_rcp_f64_e32 v[138:139], v[136:137]
	v_div_scale_f64 v[146:147], vcc, v[134:135], v[132:133], v[134:135]
	v_fma_f64 v[216:217], -v[136:137], v[138:139], 1.0
	v_fmac_f64_e32 v[138:139], v[138:139], v[216:217]
	v_fma_f64 v[216:217], -v[136:137], v[138:139], 1.0
	v_fmac_f64_e32 v[138:139], v[138:139], v[216:217]
	v_mul_f64 v[216:217], v[146:147], v[138:139]
	v_fma_f64 v[136:137], -v[136:137], v[216:217], v[146:147]
	v_div_fmas_f64 v[136:137], v[136:137], v[138:139], v[216:217]
	v_div_fixup_f64 v[138:139], v[136:137], v[132:133], v[134:135]
	v_fmac_f64_e32 v[132:133], v[134:135], v[138:139]
	v_div_scale_f64 v[134:135], s[10:11], v[132:133], v[132:133], 1.0
	v_rcp_f64_e32 v[136:137], v[134:135]
	s_nop 0
	v_fma_f64 v[146:147], -v[134:135], v[136:137], 1.0
	v_fmac_f64_e32 v[136:137], v[136:137], v[146:147]
	v_fma_f64 v[146:147], -v[134:135], v[136:137], 1.0
	v_fmac_f64_e32 v[136:137], v[136:137], v[146:147]
	v_div_scale_f64 v[146:147], vcc, 1.0, v[132:133], 1.0
	v_mul_f64 v[216:217], v[146:147], v[136:137]
	v_fma_f64 v[134:135], -v[134:135], v[216:217], v[146:147]
	s_nop 1
	v_div_fmas_f64 v[134:135], v[134:135], v[136:137], v[216:217]
	v_div_fixup_f64 v[136:137], v[134:135], v[132:133], 1.0
	v_mul_f64 v[138:139], v[138:139], -v[136:137]
.LBB65_196:
	s_or_b64 exec, exec, s[2:3]
	ds_write2_b64 v143, v[136:137], v[138:139] offset1:1
.LBB65_197:
	s_or_b64 exec, exec, s[4:5]
	s_waitcnt lgkmcnt(0)
	s_barrier
	ds_read2_b64 v[216:219], v143 offset1:1
	v_cmp_lt_u32_e32 vcc, 21, v142
	s_and_saveexec_b64 s[2:3], vcc
	s_cbranch_execz .LBB65_199
; %bb.198:
	ds_read2_b64 v[134:137], v144 offset0:44 offset1:45
	s_waitcnt vmcnt(27) lgkmcnt(1)
	v_mul_f64 v[132:133], v[216:217], v[42:43]
	v_fmac_f64_e32 v[132:133], v[218:219], v[40:41]
	v_mul_f64 v[42:43], v[218:219], v[42:43]
	v_fma_f64 v[40:41], v[216:217], v[40:41], -v[42:43]
	s_waitcnt lgkmcnt(0)
	v_mul_f64 v[42:43], v[136:137], v[132:133]
	v_fma_f64 v[42:43], v[134:135], v[40:41], -v[42:43]
	v_mul_f64 v[134:135], v[134:135], v[132:133]
	v_fmac_f64_e32 v[134:135], v[136:137], v[40:41]
	s_waitcnt vmcnt(25)
	v_add_f64 v[38:39], v[38:39], -v[134:135]
	ds_read2_b64 v[134:137], v144 offset0:46 offset1:47
	v_add_f64 v[36:37], v[36:37], -v[42:43]
	s_waitcnt lgkmcnt(0)
	v_mul_f64 v[42:43], v[136:137], v[132:133]
	v_fma_f64 v[42:43], v[134:135], v[40:41], -v[42:43]
	v_mul_f64 v[134:135], v[134:135], v[132:133]
	v_fmac_f64_e32 v[134:135], v[136:137], v[40:41]
	s_waitcnt vmcnt(24)
	v_add_f64 v[34:35], v[34:35], -v[134:135]
	ds_read2_b64 v[134:137], v144 offset0:48 offset1:49
	v_add_f64 v[32:33], v[32:33], -v[42:43]
	;; [unrolled: 9-line block ×9, first 2 shown]
	s_waitcnt lgkmcnt(0)
	v_mul_f64 v[42:43], v[136:137], v[132:133]
	v_fma_f64 v[42:43], v[134:135], v[40:41], -v[42:43]
	v_mul_f64 v[134:135], v[134:135], v[132:133]
	v_fmac_f64_e32 v[134:135], v[136:137], v[40:41]
	v_add_f64 v[2:3], v[2:3], -v[134:135]
	ds_read2_b64 v[134:137], v144 offset0:64 offset1:65
	v_add_f64 v[0:1], v[0:1], -v[42:43]
	s_waitcnt lgkmcnt(0)
	v_mul_f64 v[42:43], v[136:137], v[132:133]
	v_fma_f64 v[42:43], v[134:135], v[40:41], -v[42:43]
	v_mul_f64 v[134:135], v[134:135], v[132:133]
	v_fmac_f64_e32 v[134:135], v[136:137], v[40:41]
	s_waitcnt vmcnt(15)
	v_add_f64 v[128:129], v[128:129], -v[42:43]
	v_add_f64 v[130:131], v[130:131], -v[134:135]
	v_mov_b64_e32 v[42:43], v[132:133]
.LBB65_199:
	s_or_b64 exec, exec, s[2:3]
	v_cmp_eq_u32_e32 vcc, 22, v142
	s_waitcnt lgkmcnt(0)
	s_barrier
	s_and_saveexec_b64 s[4:5], vcc
	s_cbranch_execz .LBB65_206
; %bb.200:
	s_waitcnt vmcnt(25)
	ds_write2_b64 v143, v[36:37], v[38:39] offset1:1
	s_waitcnt vmcnt(24)
	ds_write2_b64 v144, v[32:33], v[34:35] offset0:46 offset1:47
	s_waitcnt vmcnt(23)
	ds_write2_b64 v144, v[28:29], v[30:31] offset0:48 offset1:49
	;; [unrolled: 2-line block ×8, first 2 shown]
	ds_write2_b64 v144, v[0:1], v[2:3] offset0:62 offset1:63
	s_waitcnt vmcnt(15)
	ds_write2_b64 v144, v[128:129], v[130:131] offset0:64 offset1:65
	ds_read2_b64 v[132:135], v143 offset1:1
	s_waitcnt lgkmcnt(0)
	v_cmp_neq_f64_e32 vcc, 0, v[132:133]
	v_cmp_neq_f64_e64 s[2:3], 0, v[134:135]
	s_or_b64 s[2:3], vcc, s[2:3]
	s_and_b64 exec, exec, s[2:3]
	s_cbranch_execz .LBB65_206
; %bb.201:
	v_cmp_ngt_f64_e64 s[2:3], |v[132:133]|, |v[134:135]|
                                        ; implicit-def: $vgpr136_vgpr137
	s_and_saveexec_b64 s[10:11], s[2:3]
	s_xor_b64 s[2:3], exec, s[10:11]
                                        ; implicit-def: $vgpr138_vgpr139
	s_cbranch_execz .LBB65_203
; %bb.202:
	v_div_scale_f64 v[136:137], s[10:11], v[134:135], v[134:135], v[132:133]
	v_rcp_f64_e32 v[138:139], v[136:137]
	v_div_scale_f64 v[146:147], vcc, v[132:133], v[134:135], v[132:133]
	v_fma_f64 v[220:221], -v[136:137], v[138:139], 1.0
	v_fmac_f64_e32 v[138:139], v[138:139], v[220:221]
	v_fma_f64 v[220:221], -v[136:137], v[138:139], 1.0
	v_fmac_f64_e32 v[138:139], v[138:139], v[220:221]
	v_mul_f64 v[220:221], v[146:147], v[138:139]
	v_fma_f64 v[136:137], -v[136:137], v[220:221], v[146:147]
	v_div_fmas_f64 v[136:137], v[136:137], v[138:139], v[220:221]
	v_div_fixup_f64 v[136:137], v[136:137], v[134:135], v[132:133]
	v_fmac_f64_e32 v[134:135], v[132:133], v[136:137]
	v_div_scale_f64 v[132:133], s[10:11], v[134:135], v[134:135], 1.0
	v_rcp_f64_e32 v[138:139], v[132:133]
	s_nop 0
	v_fma_f64 v[146:147], -v[132:133], v[138:139], 1.0
	v_fmac_f64_e32 v[138:139], v[138:139], v[146:147]
	v_fma_f64 v[146:147], -v[132:133], v[138:139], 1.0
	v_fmac_f64_e32 v[138:139], v[138:139], v[146:147]
	v_div_scale_f64 v[146:147], vcc, 1.0, v[134:135], 1.0
	v_mul_f64 v[220:221], v[146:147], v[138:139]
	v_fma_f64 v[132:133], -v[132:133], v[220:221], v[146:147]
	s_nop 1
	v_div_fmas_f64 v[132:133], v[132:133], v[138:139], v[220:221]
	v_div_fixup_f64 v[138:139], v[132:133], v[134:135], 1.0
	v_mul_f64 v[136:137], v[136:137], v[138:139]
	v_xor_b32_e32 v139, 0x80000000, v139
                                        ; implicit-def: $vgpr132_vgpr133
.LBB65_203:
	s_andn2_saveexec_b64 s[2:3], s[2:3]
	s_cbranch_execz .LBB65_205
; %bb.204:
	v_div_scale_f64 v[136:137], s[10:11], v[132:133], v[132:133], v[134:135]
	v_rcp_f64_e32 v[138:139], v[136:137]
	v_div_scale_f64 v[146:147], vcc, v[134:135], v[132:133], v[134:135]
	v_fma_f64 v[220:221], -v[136:137], v[138:139], 1.0
	v_fmac_f64_e32 v[138:139], v[138:139], v[220:221]
	v_fma_f64 v[220:221], -v[136:137], v[138:139], 1.0
	v_fmac_f64_e32 v[138:139], v[138:139], v[220:221]
	v_mul_f64 v[220:221], v[146:147], v[138:139]
	v_fma_f64 v[136:137], -v[136:137], v[220:221], v[146:147]
	v_div_fmas_f64 v[136:137], v[136:137], v[138:139], v[220:221]
	v_div_fixup_f64 v[138:139], v[136:137], v[132:133], v[134:135]
	v_fmac_f64_e32 v[132:133], v[134:135], v[138:139]
	v_div_scale_f64 v[134:135], s[10:11], v[132:133], v[132:133], 1.0
	v_rcp_f64_e32 v[136:137], v[134:135]
	s_nop 0
	v_fma_f64 v[146:147], -v[134:135], v[136:137], 1.0
	v_fmac_f64_e32 v[136:137], v[136:137], v[146:147]
	v_fma_f64 v[146:147], -v[134:135], v[136:137], 1.0
	v_fmac_f64_e32 v[136:137], v[136:137], v[146:147]
	v_div_scale_f64 v[146:147], vcc, 1.0, v[132:133], 1.0
	v_mul_f64 v[220:221], v[146:147], v[136:137]
	v_fma_f64 v[134:135], -v[134:135], v[220:221], v[146:147]
	s_nop 1
	v_div_fmas_f64 v[134:135], v[134:135], v[136:137], v[220:221]
	v_div_fixup_f64 v[136:137], v[134:135], v[132:133], 1.0
	v_mul_f64 v[138:139], v[138:139], -v[136:137]
.LBB65_205:
	s_or_b64 exec, exec, s[2:3]
	ds_write2_b64 v143, v[136:137], v[138:139] offset1:1
.LBB65_206:
	s_or_b64 exec, exec, s[4:5]
	s_waitcnt lgkmcnt(0)
	s_barrier
	ds_read2_b64 v[220:223], v143 offset1:1
	v_cmp_lt_u32_e32 vcc, 22, v142
	s_and_saveexec_b64 s[2:3], vcc
	s_cbranch_execz .LBB65_208
; %bb.207:
	ds_read2_b64 v[134:137], v144 offset0:46 offset1:47
	s_waitcnt vmcnt(25) lgkmcnt(1)
	v_mul_f64 v[132:133], v[220:221], v[38:39]
	v_fmac_f64_e32 v[132:133], v[222:223], v[36:37]
	v_mul_f64 v[38:39], v[222:223], v[38:39]
	v_fma_f64 v[36:37], v[220:221], v[36:37], -v[38:39]
	s_waitcnt lgkmcnt(0)
	v_mul_f64 v[38:39], v[136:137], v[132:133]
	v_fma_f64 v[38:39], v[134:135], v[36:37], -v[38:39]
	v_mul_f64 v[134:135], v[134:135], v[132:133]
	v_fmac_f64_e32 v[134:135], v[136:137], v[36:37]
	s_waitcnt vmcnt(24)
	v_add_f64 v[34:35], v[34:35], -v[134:135]
	ds_read2_b64 v[134:137], v144 offset0:48 offset1:49
	v_add_f64 v[32:33], v[32:33], -v[38:39]
	s_waitcnt lgkmcnt(0)
	v_mul_f64 v[38:39], v[136:137], v[132:133]
	v_fma_f64 v[38:39], v[134:135], v[36:37], -v[38:39]
	v_mul_f64 v[134:135], v[134:135], v[132:133]
	v_fmac_f64_e32 v[134:135], v[136:137], v[36:37]
	s_waitcnt vmcnt(23)
	v_add_f64 v[30:31], v[30:31], -v[134:135]
	ds_read2_b64 v[134:137], v144 offset0:50 offset1:51
	v_add_f64 v[28:29], v[28:29], -v[38:39]
	;; [unrolled: 9-line block ×8, first 2 shown]
	s_waitcnt lgkmcnt(0)
	v_mul_f64 v[38:39], v[136:137], v[132:133]
	v_fma_f64 v[38:39], v[134:135], v[36:37], -v[38:39]
	v_mul_f64 v[134:135], v[134:135], v[132:133]
	v_fmac_f64_e32 v[134:135], v[136:137], v[36:37]
	v_add_f64 v[2:3], v[2:3], -v[134:135]
	ds_read2_b64 v[134:137], v144 offset0:64 offset1:65
	v_add_f64 v[0:1], v[0:1], -v[38:39]
	s_waitcnt lgkmcnt(0)
	v_mul_f64 v[38:39], v[136:137], v[132:133]
	v_fma_f64 v[38:39], v[134:135], v[36:37], -v[38:39]
	v_mul_f64 v[134:135], v[134:135], v[132:133]
	v_fmac_f64_e32 v[134:135], v[136:137], v[36:37]
	s_waitcnt vmcnt(15)
	v_add_f64 v[128:129], v[128:129], -v[38:39]
	v_add_f64 v[130:131], v[130:131], -v[134:135]
	v_mov_b64_e32 v[38:39], v[132:133]
.LBB65_208:
	s_or_b64 exec, exec, s[2:3]
	v_cmp_eq_u32_e32 vcc, 23, v142
	s_waitcnt lgkmcnt(0)
	s_barrier
	s_and_saveexec_b64 s[4:5], vcc
	s_cbranch_execz .LBB65_215
; %bb.209:
	s_waitcnt vmcnt(24)
	ds_write2_b64 v143, v[32:33], v[34:35] offset1:1
	s_waitcnt vmcnt(23)
	ds_write2_b64 v144, v[28:29], v[30:31] offset0:48 offset1:49
	s_waitcnt vmcnt(22)
	ds_write2_b64 v144, v[24:25], v[26:27] offset0:50 offset1:51
	;; [unrolled: 2-line block ×7, first 2 shown]
	ds_write2_b64 v144, v[0:1], v[2:3] offset0:62 offset1:63
	s_waitcnt vmcnt(15)
	ds_write2_b64 v144, v[128:129], v[130:131] offset0:64 offset1:65
	ds_read2_b64 v[132:135], v143 offset1:1
	s_waitcnt lgkmcnt(0)
	v_cmp_neq_f64_e32 vcc, 0, v[132:133]
	v_cmp_neq_f64_e64 s[2:3], 0, v[134:135]
	s_or_b64 s[2:3], vcc, s[2:3]
	s_and_b64 exec, exec, s[2:3]
	s_cbranch_execz .LBB65_215
; %bb.210:
	v_cmp_ngt_f64_e64 s[2:3], |v[132:133]|, |v[134:135]|
                                        ; implicit-def: $vgpr136_vgpr137
	s_and_saveexec_b64 s[10:11], s[2:3]
	s_xor_b64 s[2:3], exec, s[10:11]
                                        ; implicit-def: $vgpr138_vgpr139
	s_cbranch_execz .LBB65_212
; %bb.211:
	v_div_scale_f64 v[136:137], s[10:11], v[134:135], v[134:135], v[132:133]
	v_rcp_f64_e32 v[138:139], v[136:137]
	v_div_scale_f64 v[146:147], vcc, v[132:133], v[134:135], v[132:133]
	v_fma_f64 v[224:225], -v[136:137], v[138:139], 1.0
	v_fmac_f64_e32 v[138:139], v[138:139], v[224:225]
	v_fma_f64 v[224:225], -v[136:137], v[138:139], 1.0
	v_fmac_f64_e32 v[138:139], v[138:139], v[224:225]
	v_mul_f64 v[224:225], v[146:147], v[138:139]
	v_fma_f64 v[136:137], -v[136:137], v[224:225], v[146:147]
	v_div_fmas_f64 v[136:137], v[136:137], v[138:139], v[224:225]
	v_div_fixup_f64 v[136:137], v[136:137], v[134:135], v[132:133]
	v_fmac_f64_e32 v[134:135], v[132:133], v[136:137]
	v_div_scale_f64 v[132:133], s[10:11], v[134:135], v[134:135], 1.0
	v_rcp_f64_e32 v[138:139], v[132:133]
	s_nop 0
	v_fma_f64 v[146:147], -v[132:133], v[138:139], 1.0
	v_fmac_f64_e32 v[138:139], v[138:139], v[146:147]
	v_fma_f64 v[146:147], -v[132:133], v[138:139], 1.0
	v_fmac_f64_e32 v[138:139], v[138:139], v[146:147]
	v_div_scale_f64 v[146:147], vcc, 1.0, v[134:135], 1.0
	v_mul_f64 v[224:225], v[146:147], v[138:139]
	v_fma_f64 v[132:133], -v[132:133], v[224:225], v[146:147]
	s_nop 1
	v_div_fmas_f64 v[132:133], v[132:133], v[138:139], v[224:225]
	v_div_fixup_f64 v[138:139], v[132:133], v[134:135], 1.0
	v_mul_f64 v[136:137], v[136:137], v[138:139]
	v_xor_b32_e32 v139, 0x80000000, v139
                                        ; implicit-def: $vgpr132_vgpr133
.LBB65_212:
	s_andn2_saveexec_b64 s[2:3], s[2:3]
	s_cbranch_execz .LBB65_214
; %bb.213:
	v_div_scale_f64 v[136:137], s[10:11], v[132:133], v[132:133], v[134:135]
	v_rcp_f64_e32 v[138:139], v[136:137]
	v_div_scale_f64 v[146:147], vcc, v[134:135], v[132:133], v[134:135]
	v_fma_f64 v[224:225], -v[136:137], v[138:139], 1.0
	v_fmac_f64_e32 v[138:139], v[138:139], v[224:225]
	v_fma_f64 v[224:225], -v[136:137], v[138:139], 1.0
	v_fmac_f64_e32 v[138:139], v[138:139], v[224:225]
	v_mul_f64 v[224:225], v[146:147], v[138:139]
	v_fma_f64 v[136:137], -v[136:137], v[224:225], v[146:147]
	v_div_fmas_f64 v[136:137], v[136:137], v[138:139], v[224:225]
	v_div_fixup_f64 v[138:139], v[136:137], v[132:133], v[134:135]
	v_fmac_f64_e32 v[132:133], v[134:135], v[138:139]
	v_div_scale_f64 v[134:135], s[10:11], v[132:133], v[132:133], 1.0
	v_rcp_f64_e32 v[136:137], v[134:135]
	s_nop 0
	v_fma_f64 v[146:147], -v[134:135], v[136:137], 1.0
	v_fmac_f64_e32 v[136:137], v[136:137], v[146:147]
	v_fma_f64 v[146:147], -v[134:135], v[136:137], 1.0
	v_fmac_f64_e32 v[136:137], v[136:137], v[146:147]
	v_div_scale_f64 v[146:147], vcc, 1.0, v[132:133], 1.0
	v_mul_f64 v[224:225], v[146:147], v[136:137]
	v_fma_f64 v[134:135], -v[134:135], v[224:225], v[146:147]
	s_nop 1
	v_div_fmas_f64 v[134:135], v[134:135], v[136:137], v[224:225]
	v_div_fixup_f64 v[136:137], v[134:135], v[132:133], 1.0
	v_mul_f64 v[138:139], v[138:139], -v[136:137]
.LBB65_214:
	s_or_b64 exec, exec, s[2:3]
	ds_write2_b64 v143, v[136:137], v[138:139] offset1:1
.LBB65_215:
	s_or_b64 exec, exec, s[4:5]
	s_waitcnt lgkmcnt(0)
	s_barrier
	ds_read2_b64 v[224:227], v143 offset1:1
	v_cmp_lt_u32_e32 vcc, 23, v142
	s_and_saveexec_b64 s[2:3], vcc
	s_cbranch_execz .LBB65_217
; %bb.216:
	ds_read2_b64 v[134:137], v144 offset0:48 offset1:49
	s_waitcnt vmcnt(24) lgkmcnt(1)
	v_mul_f64 v[132:133], v[224:225], v[34:35]
	v_fmac_f64_e32 v[132:133], v[226:227], v[32:33]
	v_mul_f64 v[34:35], v[226:227], v[34:35]
	v_fma_f64 v[32:33], v[224:225], v[32:33], -v[34:35]
	s_waitcnt lgkmcnt(0)
	v_mul_f64 v[34:35], v[136:137], v[132:133]
	v_fma_f64 v[34:35], v[134:135], v[32:33], -v[34:35]
	v_mul_f64 v[134:135], v[134:135], v[132:133]
	v_fmac_f64_e32 v[134:135], v[136:137], v[32:33]
	s_waitcnt vmcnt(23)
	v_add_f64 v[30:31], v[30:31], -v[134:135]
	ds_read2_b64 v[134:137], v144 offset0:50 offset1:51
	v_add_f64 v[28:29], v[28:29], -v[34:35]
	s_waitcnt lgkmcnt(0)
	v_mul_f64 v[34:35], v[136:137], v[132:133]
	v_fma_f64 v[34:35], v[134:135], v[32:33], -v[34:35]
	v_mul_f64 v[134:135], v[134:135], v[132:133]
	v_fmac_f64_e32 v[134:135], v[136:137], v[32:33]
	s_waitcnt vmcnt(22)
	v_add_f64 v[26:27], v[26:27], -v[134:135]
	ds_read2_b64 v[134:137], v144 offset0:52 offset1:53
	v_add_f64 v[24:25], v[24:25], -v[34:35]
	;; [unrolled: 9-line block ×7, first 2 shown]
	s_waitcnt lgkmcnt(0)
	v_mul_f64 v[34:35], v[136:137], v[132:133]
	v_fma_f64 v[34:35], v[134:135], v[32:33], -v[34:35]
	v_mul_f64 v[134:135], v[134:135], v[132:133]
	v_fmac_f64_e32 v[134:135], v[136:137], v[32:33]
	v_add_f64 v[2:3], v[2:3], -v[134:135]
	ds_read2_b64 v[134:137], v144 offset0:64 offset1:65
	v_add_f64 v[0:1], v[0:1], -v[34:35]
	s_waitcnt lgkmcnt(0)
	v_mul_f64 v[34:35], v[136:137], v[132:133]
	v_fma_f64 v[34:35], v[134:135], v[32:33], -v[34:35]
	v_mul_f64 v[134:135], v[134:135], v[132:133]
	v_fmac_f64_e32 v[134:135], v[136:137], v[32:33]
	s_waitcnt vmcnt(15)
	v_add_f64 v[128:129], v[128:129], -v[34:35]
	v_add_f64 v[130:131], v[130:131], -v[134:135]
	v_mov_b64_e32 v[34:35], v[132:133]
.LBB65_217:
	s_or_b64 exec, exec, s[2:3]
	v_cmp_eq_u32_e32 vcc, 24, v142
	s_waitcnt lgkmcnt(0)
	s_barrier
	s_and_saveexec_b64 s[4:5], vcc
	s_cbranch_execz .LBB65_224
; %bb.218:
	s_waitcnt vmcnt(23)
	ds_write2_b64 v143, v[28:29], v[30:31] offset1:1
	s_waitcnt vmcnt(22)
	ds_write2_b64 v144, v[24:25], v[26:27] offset0:50 offset1:51
	s_waitcnt vmcnt(21)
	ds_write2_b64 v144, v[20:21], v[22:23] offset0:52 offset1:53
	;; [unrolled: 2-line block ×6, first 2 shown]
	ds_write2_b64 v144, v[0:1], v[2:3] offset0:62 offset1:63
	s_waitcnt vmcnt(15)
	ds_write2_b64 v144, v[128:129], v[130:131] offset0:64 offset1:65
	ds_read2_b64 v[132:135], v143 offset1:1
	s_waitcnt lgkmcnt(0)
	v_cmp_neq_f64_e32 vcc, 0, v[132:133]
	v_cmp_neq_f64_e64 s[2:3], 0, v[134:135]
	s_or_b64 s[2:3], vcc, s[2:3]
	s_and_b64 exec, exec, s[2:3]
	s_cbranch_execz .LBB65_224
; %bb.219:
	v_cmp_ngt_f64_e64 s[2:3], |v[132:133]|, |v[134:135]|
                                        ; implicit-def: $vgpr136_vgpr137
	s_and_saveexec_b64 s[10:11], s[2:3]
	s_xor_b64 s[2:3], exec, s[10:11]
                                        ; implicit-def: $vgpr138_vgpr139
	s_cbranch_execz .LBB65_221
; %bb.220:
	v_div_scale_f64 v[136:137], s[10:11], v[134:135], v[134:135], v[132:133]
	v_rcp_f64_e32 v[138:139], v[136:137]
	v_div_scale_f64 v[146:147], vcc, v[132:133], v[134:135], v[132:133]
	v_fma_f64 v[228:229], -v[136:137], v[138:139], 1.0
	v_fmac_f64_e32 v[138:139], v[138:139], v[228:229]
	v_fma_f64 v[228:229], -v[136:137], v[138:139], 1.0
	v_fmac_f64_e32 v[138:139], v[138:139], v[228:229]
	v_mul_f64 v[228:229], v[146:147], v[138:139]
	v_fma_f64 v[136:137], -v[136:137], v[228:229], v[146:147]
	v_div_fmas_f64 v[136:137], v[136:137], v[138:139], v[228:229]
	v_div_fixup_f64 v[136:137], v[136:137], v[134:135], v[132:133]
	v_fmac_f64_e32 v[134:135], v[132:133], v[136:137]
	v_div_scale_f64 v[132:133], s[10:11], v[134:135], v[134:135], 1.0
	v_rcp_f64_e32 v[138:139], v[132:133]
	s_nop 0
	v_fma_f64 v[146:147], -v[132:133], v[138:139], 1.0
	v_fmac_f64_e32 v[138:139], v[138:139], v[146:147]
	v_fma_f64 v[146:147], -v[132:133], v[138:139], 1.0
	v_fmac_f64_e32 v[138:139], v[138:139], v[146:147]
	v_div_scale_f64 v[146:147], vcc, 1.0, v[134:135], 1.0
	v_mul_f64 v[228:229], v[146:147], v[138:139]
	v_fma_f64 v[132:133], -v[132:133], v[228:229], v[146:147]
	s_nop 1
	v_div_fmas_f64 v[132:133], v[132:133], v[138:139], v[228:229]
	v_div_fixup_f64 v[138:139], v[132:133], v[134:135], 1.0
	v_mul_f64 v[136:137], v[136:137], v[138:139]
	v_xor_b32_e32 v139, 0x80000000, v139
                                        ; implicit-def: $vgpr132_vgpr133
.LBB65_221:
	s_andn2_saveexec_b64 s[2:3], s[2:3]
	s_cbranch_execz .LBB65_223
; %bb.222:
	v_div_scale_f64 v[136:137], s[10:11], v[132:133], v[132:133], v[134:135]
	v_rcp_f64_e32 v[138:139], v[136:137]
	v_div_scale_f64 v[146:147], vcc, v[134:135], v[132:133], v[134:135]
	v_fma_f64 v[228:229], -v[136:137], v[138:139], 1.0
	v_fmac_f64_e32 v[138:139], v[138:139], v[228:229]
	v_fma_f64 v[228:229], -v[136:137], v[138:139], 1.0
	v_fmac_f64_e32 v[138:139], v[138:139], v[228:229]
	v_mul_f64 v[228:229], v[146:147], v[138:139]
	v_fma_f64 v[136:137], -v[136:137], v[228:229], v[146:147]
	v_div_fmas_f64 v[136:137], v[136:137], v[138:139], v[228:229]
	v_div_fixup_f64 v[138:139], v[136:137], v[132:133], v[134:135]
	v_fmac_f64_e32 v[132:133], v[134:135], v[138:139]
	v_div_scale_f64 v[134:135], s[10:11], v[132:133], v[132:133], 1.0
	v_rcp_f64_e32 v[136:137], v[134:135]
	s_nop 0
	v_fma_f64 v[146:147], -v[134:135], v[136:137], 1.0
	v_fmac_f64_e32 v[136:137], v[136:137], v[146:147]
	v_fma_f64 v[146:147], -v[134:135], v[136:137], 1.0
	v_fmac_f64_e32 v[136:137], v[136:137], v[146:147]
	v_div_scale_f64 v[146:147], vcc, 1.0, v[132:133], 1.0
	v_mul_f64 v[228:229], v[146:147], v[136:137]
	v_fma_f64 v[134:135], -v[134:135], v[228:229], v[146:147]
	s_nop 1
	v_div_fmas_f64 v[134:135], v[134:135], v[136:137], v[228:229]
	v_div_fixup_f64 v[136:137], v[134:135], v[132:133], 1.0
	v_mul_f64 v[138:139], v[138:139], -v[136:137]
.LBB65_223:
	s_or_b64 exec, exec, s[2:3]
	ds_write2_b64 v143, v[136:137], v[138:139] offset1:1
.LBB65_224:
	s_or_b64 exec, exec, s[4:5]
	s_waitcnt lgkmcnt(0)
	s_barrier
	ds_read2_b64 v[228:231], v143 offset1:1
	v_cmp_lt_u32_e32 vcc, 24, v142
	s_and_saveexec_b64 s[2:3], vcc
	s_cbranch_execz .LBB65_226
; %bb.225:
	ds_read2_b64 v[134:137], v144 offset0:50 offset1:51
	s_waitcnt vmcnt(23) lgkmcnt(1)
	v_mul_f64 v[132:133], v[228:229], v[30:31]
	v_fmac_f64_e32 v[132:133], v[230:231], v[28:29]
	v_mul_f64 v[30:31], v[230:231], v[30:31]
	v_fma_f64 v[28:29], v[228:229], v[28:29], -v[30:31]
	s_waitcnt lgkmcnt(0)
	v_mul_f64 v[30:31], v[136:137], v[132:133]
	v_fma_f64 v[30:31], v[134:135], v[28:29], -v[30:31]
	v_mul_f64 v[134:135], v[134:135], v[132:133]
	v_fmac_f64_e32 v[134:135], v[136:137], v[28:29]
	s_waitcnt vmcnt(22)
	v_add_f64 v[26:27], v[26:27], -v[134:135]
	ds_read2_b64 v[134:137], v144 offset0:52 offset1:53
	v_add_f64 v[24:25], v[24:25], -v[30:31]
	s_waitcnt lgkmcnt(0)
	v_mul_f64 v[30:31], v[136:137], v[132:133]
	v_fma_f64 v[30:31], v[134:135], v[28:29], -v[30:31]
	v_mul_f64 v[134:135], v[134:135], v[132:133]
	v_fmac_f64_e32 v[134:135], v[136:137], v[28:29]
	s_waitcnt vmcnt(21)
	v_add_f64 v[22:23], v[22:23], -v[134:135]
	ds_read2_b64 v[134:137], v144 offset0:54 offset1:55
	v_add_f64 v[20:21], v[20:21], -v[30:31]
	;; [unrolled: 9-line block ×6, first 2 shown]
	s_waitcnt lgkmcnt(0)
	v_mul_f64 v[30:31], v[136:137], v[132:133]
	v_fma_f64 v[30:31], v[134:135], v[28:29], -v[30:31]
	v_mul_f64 v[134:135], v[134:135], v[132:133]
	v_fmac_f64_e32 v[134:135], v[136:137], v[28:29]
	v_add_f64 v[2:3], v[2:3], -v[134:135]
	ds_read2_b64 v[134:137], v144 offset0:64 offset1:65
	v_add_f64 v[0:1], v[0:1], -v[30:31]
	s_waitcnt lgkmcnt(0)
	v_mul_f64 v[30:31], v[136:137], v[132:133]
	v_fma_f64 v[30:31], v[134:135], v[28:29], -v[30:31]
	v_mul_f64 v[134:135], v[134:135], v[132:133]
	v_fmac_f64_e32 v[134:135], v[136:137], v[28:29]
	s_waitcnt vmcnt(15)
	v_add_f64 v[128:129], v[128:129], -v[30:31]
	v_add_f64 v[130:131], v[130:131], -v[134:135]
	v_mov_b64_e32 v[30:31], v[132:133]
.LBB65_226:
	s_or_b64 exec, exec, s[2:3]
	v_cmp_eq_u32_e32 vcc, 25, v142
	s_waitcnt lgkmcnt(0)
	s_barrier
	s_and_saveexec_b64 s[4:5], vcc
	s_cbranch_execz .LBB65_233
; %bb.227:
	s_waitcnt vmcnt(22)
	ds_write2_b64 v143, v[24:25], v[26:27] offset1:1
	s_waitcnt vmcnt(21)
	ds_write2_b64 v144, v[20:21], v[22:23] offset0:52 offset1:53
	s_waitcnt vmcnt(20)
	ds_write2_b64 v144, v[16:17], v[18:19] offset0:54 offset1:55
	;; [unrolled: 2-line block ×5, first 2 shown]
	ds_write2_b64 v144, v[0:1], v[2:3] offset0:62 offset1:63
	s_waitcnt vmcnt(15)
	ds_write2_b64 v144, v[128:129], v[130:131] offset0:64 offset1:65
	ds_read2_b64 v[132:135], v143 offset1:1
	s_waitcnt lgkmcnt(0)
	v_cmp_neq_f64_e32 vcc, 0, v[132:133]
	v_cmp_neq_f64_e64 s[2:3], 0, v[134:135]
	s_or_b64 s[2:3], vcc, s[2:3]
	s_and_b64 exec, exec, s[2:3]
	s_cbranch_execz .LBB65_233
; %bb.228:
	v_cmp_ngt_f64_e64 s[2:3], |v[132:133]|, |v[134:135]|
                                        ; implicit-def: $vgpr136_vgpr137
	s_and_saveexec_b64 s[10:11], s[2:3]
	s_xor_b64 s[2:3], exec, s[10:11]
                                        ; implicit-def: $vgpr138_vgpr139
	s_cbranch_execz .LBB65_230
; %bb.229:
	v_div_scale_f64 v[136:137], s[10:11], v[134:135], v[134:135], v[132:133]
	v_rcp_f64_e32 v[138:139], v[136:137]
	v_div_scale_f64 v[146:147], vcc, v[132:133], v[134:135], v[132:133]
	v_fma_f64 v[232:233], -v[136:137], v[138:139], 1.0
	v_fmac_f64_e32 v[138:139], v[138:139], v[232:233]
	v_fma_f64 v[232:233], -v[136:137], v[138:139], 1.0
	v_fmac_f64_e32 v[138:139], v[138:139], v[232:233]
	v_mul_f64 v[232:233], v[146:147], v[138:139]
	v_fma_f64 v[136:137], -v[136:137], v[232:233], v[146:147]
	v_div_fmas_f64 v[136:137], v[136:137], v[138:139], v[232:233]
	v_div_fixup_f64 v[136:137], v[136:137], v[134:135], v[132:133]
	v_fmac_f64_e32 v[134:135], v[132:133], v[136:137]
	v_div_scale_f64 v[132:133], s[10:11], v[134:135], v[134:135], 1.0
	v_rcp_f64_e32 v[138:139], v[132:133]
	s_nop 0
	v_fma_f64 v[146:147], -v[132:133], v[138:139], 1.0
	v_fmac_f64_e32 v[138:139], v[138:139], v[146:147]
	v_fma_f64 v[146:147], -v[132:133], v[138:139], 1.0
	v_fmac_f64_e32 v[138:139], v[138:139], v[146:147]
	v_div_scale_f64 v[146:147], vcc, 1.0, v[134:135], 1.0
	v_mul_f64 v[232:233], v[146:147], v[138:139]
	v_fma_f64 v[132:133], -v[132:133], v[232:233], v[146:147]
	s_nop 1
	v_div_fmas_f64 v[132:133], v[132:133], v[138:139], v[232:233]
	v_div_fixup_f64 v[138:139], v[132:133], v[134:135], 1.0
	v_mul_f64 v[136:137], v[136:137], v[138:139]
	v_xor_b32_e32 v139, 0x80000000, v139
                                        ; implicit-def: $vgpr132_vgpr133
.LBB65_230:
	s_andn2_saveexec_b64 s[2:3], s[2:3]
	s_cbranch_execz .LBB65_232
; %bb.231:
	v_div_scale_f64 v[136:137], s[10:11], v[132:133], v[132:133], v[134:135]
	v_rcp_f64_e32 v[138:139], v[136:137]
	v_div_scale_f64 v[146:147], vcc, v[134:135], v[132:133], v[134:135]
	v_fma_f64 v[232:233], -v[136:137], v[138:139], 1.0
	v_fmac_f64_e32 v[138:139], v[138:139], v[232:233]
	v_fma_f64 v[232:233], -v[136:137], v[138:139], 1.0
	v_fmac_f64_e32 v[138:139], v[138:139], v[232:233]
	v_mul_f64 v[232:233], v[146:147], v[138:139]
	v_fma_f64 v[136:137], -v[136:137], v[232:233], v[146:147]
	v_div_fmas_f64 v[136:137], v[136:137], v[138:139], v[232:233]
	v_div_fixup_f64 v[138:139], v[136:137], v[132:133], v[134:135]
	v_fmac_f64_e32 v[132:133], v[134:135], v[138:139]
	v_div_scale_f64 v[134:135], s[10:11], v[132:133], v[132:133], 1.0
	v_rcp_f64_e32 v[136:137], v[134:135]
	s_nop 0
	v_fma_f64 v[146:147], -v[134:135], v[136:137], 1.0
	v_fmac_f64_e32 v[136:137], v[136:137], v[146:147]
	v_fma_f64 v[146:147], -v[134:135], v[136:137], 1.0
	v_fmac_f64_e32 v[136:137], v[136:137], v[146:147]
	v_div_scale_f64 v[146:147], vcc, 1.0, v[132:133], 1.0
	v_mul_f64 v[232:233], v[146:147], v[136:137]
	v_fma_f64 v[134:135], -v[134:135], v[232:233], v[146:147]
	s_nop 1
	v_div_fmas_f64 v[134:135], v[134:135], v[136:137], v[232:233]
	v_div_fixup_f64 v[136:137], v[134:135], v[132:133], 1.0
	v_mul_f64 v[138:139], v[138:139], -v[136:137]
.LBB65_232:
	s_or_b64 exec, exec, s[2:3]
	ds_write2_b64 v143, v[136:137], v[138:139] offset1:1
.LBB65_233:
	s_or_b64 exec, exec, s[4:5]
	s_waitcnt lgkmcnt(0)
	s_barrier
	ds_read2_b64 v[232:235], v143 offset1:1
	v_cmp_lt_u32_e32 vcc, 25, v142
	s_and_saveexec_b64 s[2:3], vcc
	s_cbranch_execz .LBB65_235
; %bb.234:
	ds_read2_b64 v[134:137], v144 offset0:52 offset1:53
	s_waitcnt vmcnt(22) lgkmcnt(1)
	v_mul_f64 v[132:133], v[232:233], v[26:27]
	v_fmac_f64_e32 v[132:133], v[234:235], v[24:25]
	v_mul_f64 v[26:27], v[234:235], v[26:27]
	v_fma_f64 v[24:25], v[232:233], v[24:25], -v[26:27]
	s_waitcnt lgkmcnt(0)
	v_mul_f64 v[26:27], v[136:137], v[132:133]
	v_fma_f64 v[26:27], v[134:135], v[24:25], -v[26:27]
	v_mul_f64 v[134:135], v[134:135], v[132:133]
	v_fmac_f64_e32 v[134:135], v[136:137], v[24:25]
	s_waitcnt vmcnt(21)
	v_add_f64 v[22:23], v[22:23], -v[134:135]
	ds_read2_b64 v[134:137], v144 offset0:54 offset1:55
	v_add_f64 v[20:21], v[20:21], -v[26:27]
	s_waitcnt lgkmcnt(0)
	v_mul_f64 v[26:27], v[136:137], v[132:133]
	v_fma_f64 v[26:27], v[134:135], v[24:25], -v[26:27]
	v_mul_f64 v[134:135], v[134:135], v[132:133]
	v_fmac_f64_e32 v[134:135], v[136:137], v[24:25]
	s_waitcnt vmcnt(20)
	v_add_f64 v[18:19], v[18:19], -v[134:135]
	ds_read2_b64 v[134:137], v144 offset0:56 offset1:57
	v_add_f64 v[16:17], v[16:17], -v[26:27]
	;; [unrolled: 9-line block ×5, first 2 shown]
	s_waitcnt lgkmcnt(0)
	v_mul_f64 v[26:27], v[136:137], v[132:133]
	v_fma_f64 v[26:27], v[134:135], v[24:25], -v[26:27]
	v_mul_f64 v[134:135], v[134:135], v[132:133]
	v_fmac_f64_e32 v[134:135], v[136:137], v[24:25]
	v_add_f64 v[2:3], v[2:3], -v[134:135]
	ds_read2_b64 v[134:137], v144 offset0:64 offset1:65
	v_add_f64 v[0:1], v[0:1], -v[26:27]
	s_waitcnt lgkmcnt(0)
	v_mul_f64 v[26:27], v[136:137], v[132:133]
	v_fma_f64 v[26:27], v[134:135], v[24:25], -v[26:27]
	v_mul_f64 v[134:135], v[134:135], v[132:133]
	v_fmac_f64_e32 v[134:135], v[136:137], v[24:25]
	s_waitcnt vmcnt(15)
	v_add_f64 v[128:129], v[128:129], -v[26:27]
	v_add_f64 v[130:131], v[130:131], -v[134:135]
	v_mov_b64_e32 v[26:27], v[132:133]
.LBB65_235:
	s_or_b64 exec, exec, s[2:3]
	v_cmp_eq_u32_e32 vcc, 26, v142
	s_waitcnt lgkmcnt(0)
	s_barrier
	s_and_saveexec_b64 s[4:5], vcc
	s_cbranch_execz .LBB65_242
; %bb.236:
	s_waitcnt vmcnt(21)
	ds_write2_b64 v143, v[20:21], v[22:23] offset1:1
	s_waitcnt vmcnt(20)
	ds_write2_b64 v144, v[16:17], v[18:19] offset0:54 offset1:55
	s_waitcnt vmcnt(19)
	ds_write2_b64 v144, v[12:13], v[14:15] offset0:56 offset1:57
	;; [unrolled: 2-line block ×4, first 2 shown]
	ds_write2_b64 v144, v[0:1], v[2:3] offset0:62 offset1:63
	s_waitcnt vmcnt(15)
	ds_write2_b64 v144, v[128:129], v[130:131] offset0:64 offset1:65
	ds_read2_b64 v[132:135], v143 offset1:1
	s_waitcnt lgkmcnt(0)
	v_cmp_neq_f64_e32 vcc, 0, v[132:133]
	v_cmp_neq_f64_e64 s[2:3], 0, v[134:135]
	s_or_b64 s[2:3], vcc, s[2:3]
	s_and_b64 exec, exec, s[2:3]
	s_cbranch_execz .LBB65_242
; %bb.237:
	v_cmp_ngt_f64_e64 s[2:3], |v[132:133]|, |v[134:135]|
                                        ; implicit-def: $vgpr136_vgpr137
	s_and_saveexec_b64 s[10:11], s[2:3]
	s_xor_b64 s[2:3], exec, s[10:11]
                                        ; implicit-def: $vgpr138_vgpr139
	s_cbranch_execz .LBB65_239
; %bb.238:
	v_div_scale_f64 v[136:137], s[10:11], v[134:135], v[134:135], v[132:133]
	v_rcp_f64_e32 v[138:139], v[136:137]
	v_div_scale_f64 v[146:147], vcc, v[132:133], v[134:135], v[132:133]
	v_fma_f64 v[236:237], -v[136:137], v[138:139], 1.0
	v_fmac_f64_e32 v[138:139], v[138:139], v[236:237]
	v_fma_f64 v[236:237], -v[136:137], v[138:139], 1.0
	v_fmac_f64_e32 v[138:139], v[138:139], v[236:237]
	v_mul_f64 v[236:237], v[146:147], v[138:139]
	v_fma_f64 v[136:137], -v[136:137], v[236:237], v[146:147]
	v_div_fmas_f64 v[136:137], v[136:137], v[138:139], v[236:237]
	v_div_fixup_f64 v[136:137], v[136:137], v[134:135], v[132:133]
	v_fmac_f64_e32 v[134:135], v[132:133], v[136:137]
	v_div_scale_f64 v[132:133], s[10:11], v[134:135], v[134:135], 1.0
	v_rcp_f64_e32 v[138:139], v[132:133]
	s_nop 0
	v_fma_f64 v[146:147], -v[132:133], v[138:139], 1.0
	v_fmac_f64_e32 v[138:139], v[138:139], v[146:147]
	v_fma_f64 v[146:147], -v[132:133], v[138:139], 1.0
	v_fmac_f64_e32 v[138:139], v[138:139], v[146:147]
	v_div_scale_f64 v[146:147], vcc, 1.0, v[134:135], 1.0
	v_mul_f64 v[236:237], v[146:147], v[138:139]
	v_fma_f64 v[132:133], -v[132:133], v[236:237], v[146:147]
	s_nop 1
	v_div_fmas_f64 v[132:133], v[132:133], v[138:139], v[236:237]
	v_div_fixup_f64 v[138:139], v[132:133], v[134:135], 1.0
	v_mul_f64 v[136:137], v[136:137], v[138:139]
	v_xor_b32_e32 v139, 0x80000000, v139
                                        ; implicit-def: $vgpr132_vgpr133
.LBB65_239:
	s_andn2_saveexec_b64 s[2:3], s[2:3]
	s_cbranch_execz .LBB65_241
; %bb.240:
	v_div_scale_f64 v[136:137], s[10:11], v[132:133], v[132:133], v[134:135]
	v_rcp_f64_e32 v[138:139], v[136:137]
	v_div_scale_f64 v[146:147], vcc, v[134:135], v[132:133], v[134:135]
	v_fma_f64 v[236:237], -v[136:137], v[138:139], 1.0
	v_fmac_f64_e32 v[138:139], v[138:139], v[236:237]
	v_fma_f64 v[236:237], -v[136:137], v[138:139], 1.0
	v_fmac_f64_e32 v[138:139], v[138:139], v[236:237]
	v_mul_f64 v[236:237], v[146:147], v[138:139]
	v_fma_f64 v[136:137], -v[136:137], v[236:237], v[146:147]
	v_div_fmas_f64 v[136:137], v[136:137], v[138:139], v[236:237]
	v_div_fixup_f64 v[138:139], v[136:137], v[132:133], v[134:135]
	v_fmac_f64_e32 v[132:133], v[134:135], v[138:139]
	v_div_scale_f64 v[134:135], s[10:11], v[132:133], v[132:133], 1.0
	v_rcp_f64_e32 v[136:137], v[134:135]
	s_nop 0
	v_fma_f64 v[146:147], -v[134:135], v[136:137], 1.0
	v_fmac_f64_e32 v[136:137], v[136:137], v[146:147]
	v_fma_f64 v[146:147], -v[134:135], v[136:137], 1.0
	v_fmac_f64_e32 v[136:137], v[136:137], v[146:147]
	v_div_scale_f64 v[146:147], vcc, 1.0, v[132:133], 1.0
	v_mul_f64 v[236:237], v[146:147], v[136:137]
	v_fma_f64 v[134:135], -v[134:135], v[236:237], v[146:147]
	s_nop 1
	v_div_fmas_f64 v[134:135], v[134:135], v[136:137], v[236:237]
	v_div_fixup_f64 v[136:137], v[134:135], v[132:133], 1.0
	v_mul_f64 v[138:139], v[138:139], -v[136:137]
.LBB65_241:
	s_or_b64 exec, exec, s[2:3]
	ds_write2_b64 v143, v[136:137], v[138:139] offset1:1
.LBB65_242:
	s_or_b64 exec, exec, s[4:5]
	s_waitcnt lgkmcnt(0)
	s_barrier
	ds_read2_b64 v[236:239], v143 offset1:1
	v_cmp_lt_u32_e32 vcc, 26, v142
	s_and_saveexec_b64 s[2:3], vcc
	s_cbranch_execz .LBB65_244
; %bb.243:
	ds_read2_b64 v[132:135], v144 offset0:54 offset1:55
	s_waitcnt vmcnt(21) lgkmcnt(1)
	v_mul_f64 v[136:137], v[236:237], v[22:23]
	v_fmac_f64_e32 v[136:137], v[238:239], v[20:21]
	v_mul_f64 v[22:23], v[238:239], v[22:23]
	v_fma_f64 v[20:21], v[236:237], v[20:21], -v[22:23]
	s_waitcnt lgkmcnt(0)
	v_mul_f64 v[22:23], v[134:135], v[136:137]
	v_fma_f64 v[22:23], v[132:133], v[20:21], -v[22:23]
	v_mul_f64 v[132:133], v[132:133], v[136:137]
	v_fmac_f64_e32 v[132:133], v[134:135], v[20:21]
	s_waitcnt vmcnt(20)
	v_add_f64 v[18:19], v[18:19], -v[132:133]
	ds_read2_b64 v[132:135], v144 offset0:56 offset1:57
	v_add_f64 v[16:17], v[16:17], -v[22:23]
	s_waitcnt lgkmcnt(0)
	v_mul_f64 v[22:23], v[134:135], v[136:137]
	v_fma_f64 v[22:23], v[132:133], v[20:21], -v[22:23]
	v_mul_f64 v[132:133], v[132:133], v[136:137]
	v_fmac_f64_e32 v[132:133], v[134:135], v[20:21]
	s_waitcnt vmcnt(19)
	v_add_f64 v[14:15], v[14:15], -v[132:133]
	ds_read2_b64 v[132:135], v144 offset0:58 offset1:59
	v_add_f64 v[12:13], v[12:13], -v[22:23]
	;; [unrolled: 9-line block ×4, first 2 shown]
	s_waitcnt lgkmcnt(0)
	v_mul_f64 v[22:23], v[134:135], v[136:137]
	v_fma_f64 v[22:23], v[132:133], v[20:21], -v[22:23]
	v_mul_f64 v[132:133], v[132:133], v[136:137]
	v_fmac_f64_e32 v[132:133], v[134:135], v[20:21]
	v_add_f64 v[2:3], v[2:3], -v[132:133]
	ds_read2_b64 v[132:135], v144 offset0:64 offset1:65
	v_add_f64 v[0:1], v[0:1], -v[22:23]
	s_waitcnt lgkmcnt(0)
	v_mul_f64 v[22:23], v[134:135], v[136:137]
	v_fma_f64 v[22:23], v[132:133], v[20:21], -v[22:23]
	v_mul_f64 v[132:133], v[132:133], v[136:137]
	v_fmac_f64_e32 v[132:133], v[134:135], v[20:21]
	s_waitcnt vmcnt(15)
	v_add_f64 v[128:129], v[128:129], -v[22:23]
	v_add_f64 v[130:131], v[130:131], -v[132:133]
	v_mov_b64_e32 v[22:23], v[136:137]
.LBB65_244:
	s_or_b64 exec, exec, s[2:3]
	v_cmp_eq_u32_e32 vcc, 27, v142
	s_waitcnt lgkmcnt(0)
	s_barrier
	s_and_saveexec_b64 s[4:5], vcc
	s_cbranch_execz .LBB65_251
; %bb.245:
	s_waitcnt vmcnt(20)
	ds_write2_b64 v143, v[16:17], v[18:19] offset1:1
	s_waitcnt vmcnt(19)
	ds_write2_b64 v144, v[12:13], v[14:15] offset0:56 offset1:57
	s_waitcnt vmcnt(18)
	ds_write2_b64 v144, v[8:9], v[10:11] offset0:58 offset1:59
	;; [unrolled: 2-line block ×3, first 2 shown]
	ds_write2_b64 v144, v[0:1], v[2:3] offset0:62 offset1:63
	s_waitcnt vmcnt(15)
	ds_write2_b64 v144, v[128:129], v[130:131] offset0:64 offset1:65
	ds_read2_b64 v[132:135], v143 offset1:1
	s_waitcnt lgkmcnt(0)
	v_cmp_neq_f64_e32 vcc, 0, v[132:133]
	v_cmp_neq_f64_e64 s[2:3], 0, v[134:135]
	s_or_b64 s[2:3], vcc, s[2:3]
	s_and_b64 exec, exec, s[2:3]
	s_cbranch_execz .LBB65_251
; %bb.246:
	v_cmp_ngt_f64_e64 s[2:3], |v[132:133]|, |v[134:135]|
                                        ; implicit-def: $vgpr136_vgpr137
	s_and_saveexec_b64 s[10:11], s[2:3]
	s_xor_b64 s[2:3], exec, s[10:11]
                                        ; implicit-def: $vgpr138_vgpr139
	s_cbranch_execz .LBB65_248
; %bb.247:
	v_div_scale_f64 v[136:137], s[10:11], v[134:135], v[134:135], v[132:133]
	v_rcp_f64_e32 v[138:139], v[136:137]
	v_div_scale_f64 v[146:147], vcc, v[132:133], v[134:135], v[132:133]
	v_fma_f64 v[240:241], -v[136:137], v[138:139], 1.0
	v_fmac_f64_e32 v[138:139], v[138:139], v[240:241]
	v_fma_f64 v[240:241], -v[136:137], v[138:139], 1.0
	v_fmac_f64_e32 v[138:139], v[138:139], v[240:241]
	v_mul_f64 v[240:241], v[146:147], v[138:139]
	v_fma_f64 v[136:137], -v[136:137], v[240:241], v[146:147]
	v_div_fmas_f64 v[136:137], v[136:137], v[138:139], v[240:241]
	v_div_fixup_f64 v[136:137], v[136:137], v[134:135], v[132:133]
	v_fmac_f64_e32 v[134:135], v[132:133], v[136:137]
	v_div_scale_f64 v[132:133], s[10:11], v[134:135], v[134:135], 1.0
	v_rcp_f64_e32 v[138:139], v[132:133]
	s_nop 0
	v_fma_f64 v[146:147], -v[132:133], v[138:139], 1.0
	v_fmac_f64_e32 v[138:139], v[138:139], v[146:147]
	v_fma_f64 v[146:147], -v[132:133], v[138:139], 1.0
	v_fmac_f64_e32 v[138:139], v[138:139], v[146:147]
	v_div_scale_f64 v[146:147], vcc, 1.0, v[134:135], 1.0
	v_mul_f64 v[240:241], v[146:147], v[138:139]
	v_fma_f64 v[132:133], -v[132:133], v[240:241], v[146:147]
	s_nop 1
	v_div_fmas_f64 v[132:133], v[132:133], v[138:139], v[240:241]
	v_div_fixup_f64 v[138:139], v[132:133], v[134:135], 1.0
	v_mul_f64 v[136:137], v[136:137], v[138:139]
	v_xor_b32_e32 v139, 0x80000000, v139
                                        ; implicit-def: $vgpr132_vgpr133
.LBB65_248:
	s_andn2_saveexec_b64 s[2:3], s[2:3]
	s_cbranch_execz .LBB65_250
; %bb.249:
	v_div_scale_f64 v[136:137], s[10:11], v[132:133], v[132:133], v[134:135]
	v_rcp_f64_e32 v[138:139], v[136:137]
	v_div_scale_f64 v[146:147], vcc, v[134:135], v[132:133], v[134:135]
	v_fma_f64 v[240:241], -v[136:137], v[138:139], 1.0
	v_fmac_f64_e32 v[138:139], v[138:139], v[240:241]
	v_fma_f64 v[240:241], -v[136:137], v[138:139], 1.0
	v_fmac_f64_e32 v[138:139], v[138:139], v[240:241]
	v_mul_f64 v[240:241], v[146:147], v[138:139]
	v_fma_f64 v[136:137], -v[136:137], v[240:241], v[146:147]
	v_div_fmas_f64 v[136:137], v[136:137], v[138:139], v[240:241]
	v_div_fixup_f64 v[138:139], v[136:137], v[132:133], v[134:135]
	v_fmac_f64_e32 v[132:133], v[134:135], v[138:139]
	v_div_scale_f64 v[134:135], s[10:11], v[132:133], v[132:133], 1.0
	v_rcp_f64_e32 v[136:137], v[134:135]
	s_nop 0
	v_fma_f64 v[146:147], -v[134:135], v[136:137], 1.0
	v_fmac_f64_e32 v[136:137], v[136:137], v[146:147]
	v_fma_f64 v[146:147], -v[134:135], v[136:137], 1.0
	v_fmac_f64_e32 v[136:137], v[136:137], v[146:147]
	v_div_scale_f64 v[146:147], vcc, 1.0, v[132:133], 1.0
	v_mul_f64 v[240:241], v[146:147], v[136:137]
	v_fma_f64 v[134:135], -v[134:135], v[240:241], v[146:147]
	s_nop 1
	v_div_fmas_f64 v[134:135], v[134:135], v[136:137], v[240:241]
	v_div_fixup_f64 v[136:137], v[134:135], v[132:133], 1.0
	v_mul_f64 v[138:139], v[138:139], -v[136:137]
.LBB65_250:
	s_or_b64 exec, exec, s[2:3]
	ds_write2_b64 v143, v[136:137], v[138:139] offset1:1
.LBB65_251:
	s_or_b64 exec, exec, s[4:5]
	s_waitcnt lgkmcnt(0)
	s_barrier
	ds_read2_b64 v[240:243], v143 offset1:1
	v_cmp_lt_u32_e32 vcc, 27, v142
	s_and_saveexec_b64 s[2:3], vcc
	s_cbranch_execz .LBB65_253
; %bb.252:
	ds_read2_b64 v[132:135], v144 offset0:56 offset1:57
	s_waitcnt vmcnt(20) lgkmcnt(1)
	v_mul_f64 v[136:137], v[240:241], v[18:19]
	v_fmac_f64_e32 v[136:137], v[242:243], v[16:17]
	v_mul_f64 v[18:19], v[242:243], v[18:19]
	v_fma_f64 v[16:17], v[240:241], v[16:17], -v[18:19]
	s_waitcnt lgkmcnt(0)
	v_mul_f64 v[18:19], v[134:135], v[136:137]
	v_fma_f64 v[18:19], v[132:133], v[16:17], -v[18:19]
	v_mul_f64 v[132:133], v[132:133], v[136:137]
	v_fmac_f64_e32 v[132:133], v[134:135], v[16:17]
	s_waitcnt vmcnt(19)
	v_add_f64 v[14:15], v[14:15], -v[132:133]
	ds_read2_b64 v[132:135], v144 offset0:58 offset1:59
	v_add_f64 v[12:13], v[12:13], -v[18:19]
	s_waitcnt lgkmcnt(0)
	v_mul_f64 v[18:19], v[134:135], v[136:137]
	v_fma_f64 v[18:19], v[132:133], v[16:17], -v[18:19]
	v_mul_f64 v[132:133], v[132:133], v[136:137]
	v_fmac_f64_e32 v[132:133], v[134:135], v[16:17]
	s_waitcnt vmcnt(18)
	v_add_f64 v[10:11], v[10:11], -v[132:133]
	ds_read2_b64 v[132:135], v144 offset0:60 offset1:61
	v_add_f64 v[8:9], v[8:9], -v[18:19]
	;; [unrolled: 9-line block ×3, first 2 shown]
	s_waitcnt lgkmcnt(0)
	v_mul_f64 v[18:19], v[134:135], v[136:137]
	v_fma_f64 v[18:19], v[132:133], v[16:17], -v[18:19]
	v_mul_f64 v[132:133], v[132:133], v[136:137]
	v_fmac_f64_e32 v[132:133], v[134:135], v[16:17]
	v_add_f64 v[2:3], v[2:3], -v[132:133]
	ds_read2_b64 v[132:135], v144 offset0:64 offset1:65
	v_add_f64 v[0:1], v[0:1], -v[18:19]
	s_waitcnt lgkmcnt(0)
	v_mul_f64 v[18:19], v[134:135], v[136:137]
	v_fma_f64 v[18:19], v[132:133], v[16:17], -v[18:19]
	v_mul_f64 v[132:133], v[132:133], v[136:137]
	v_fmac_f64_e32 v[132:133], v[134:135], v[16:17]
	s_waitcnt vmcnt(15)
	v_add_f64 v[128:129], v[128:129], -v[18:19]
	v_add_f64 v[130:131], v[130:131], -v[132:133]
	v_mov_b64_e32 v[18:19], v[136:137]
.LBB65_253:
	s_or_b64 exec, exec, s[2:3]
	v_cmp_eq_u32_e32 vcc, 28, v142
	s_waitcnt lgkmcnt(0)
	s_barrier
	s_and_saveexec_b64 s[4:5], vcc
	s_cbranch_execz .LBB65_260
; %bb.254:
	s_waitcnt vmcnt(19)
	ds_write2_b64 v143, v[12:13], v[14:15] offset1:1
	s_waitcnt vmcnt(18)
	ds_write2_b64 v144, v[8:9], v[10:11] offset0:58 offset1:59
	s_waitcnt vmcnt(17)
	ds_write2_b64 v144, v[4:5], v[6:7] offset0:60 offset1:61
	ds_write2_b64 v144, v[0:1], v[2:3] offset0:62 offset1:63
	s_waitcnt vmcnt(15)
	ds_write2_b64 v144, v[128:129], v[130:131] offset0:64 offset1:65
	ds_read2_b64 v[132:135], v143 offset1:1
	s_waitcnt lgkmcnt(0)
	v_cmp_neq_f64_e32 vcc, 0, v[132:133]
	v_cmp_neq_f64_e64 s[2:3], 0, v[134:135]
	s_or_b64 s[2:3], vcc, s[2:3]
	s_and_b64 exec, exec, s[2:3]
	s_cbranch_execz .LBB65_260
; %bb.255:
	v_cmp_ngt_f64_e64 s[2:3], |v[132:133]|, |v[134:135]|
                                        ; implicit-def: $vgpr136_vgpr137
	s_and_saveexec_b64 s[10:11], s[2:3]
	s_xor_b64 s[2:3], exec, s[10:11]
                                        ; implicit-def: $vgpr138_vgpr139
	s_cbranch_execz .LBB65_257
; %bb.256:
	v_div_scale_f64 v[136:137], s[10:11], v[134:135], v[134:135], v[132:133]
	v_rcp_f64_e32 v[138:139], v[136:137]
	v_div_scale_f64 v[146:147], vcc, v[132:133], v[134:135], v[132:133]
	v_fma_f64 v[244:245], -v[136:137], v[138:139], 1.0
	v_fmac_f64_e32 v[138:139], v[138:139], v[244:245]
	v_fma_f64 v[244:245], -v[136:137], v[138:139], 1.0
	v_fmac_f64_e32 v[138:139], v[138:139], v[244:245]
	v_mul_f64 v[244:245], v[146:147], v[138:139]
	v_fma_f64 v[136:137], -v[136:137], v[244:245], v[146:147]
	v_div_fmas_f64 v[136:137], v[136:137], v[138:139], v[244:245]
	v_div_fixup_f64 v[136:137], v[136:137], v[134:135], v[132:133]
	v_fmac_f64_e32 v[134:135], v[132:133], v[136:137]
	v_div_scale_f64 v[132:133], s[10:11], v[134:135], v[134:135], 1.0
	v_rcp_f64_e32 v[138:139], v[132:133]
	s_nop 0
	v_fma_f64 v[146:147], -v[132:133], v[138:139], 1.0
	v_fmac_f64_e32 v[138:139], v[138:139], v[146:147]
	v_fma_f64 v[146:147], -v[132:133], v[138:139], 1.0
	v_fmac_f64_e32 v[138:139], v[138:139], v[146:147]
	v_div_scale_f64 v[146:147], vcc, 1.0, v[134:135], 1.0
	v_mul_f64 v[244:245], v[146:147], v[138:139]
	v_fma_f64 v[132:133], -v[132:133], v[244:245], v[146:147]
	s_nop 1
	v_div_fmas_f64 v[132:133], v[132:133], v[138:139], v[244:245]
	v_div_fixup_f64 v[138:139], v[132:133], v[134:135], 1.0
	v_mul_f64 v[136:137], v[136:137], v[138:139]
	v_xor_b32_e32 v139, 0x80000000, v139
                                        ; implicit-def: $vgpr132_vgpr133
.LBB65_257:
	s_andn2_saveexec_b64 s[2:3], s[2:3]
	s_cbranch_execz .LBB65_259
; %bb.258:
	v_div_scale_f64 v[136:137], s[10:11], v[132:133], v[132:133], v[134:135]
	v_rcp_f64_e32 v[138:139], v[136:137]
	v_div_scale_f64 v[146:147], vcc, v[134:135], v[132:133], v[134:135]
	v_fma_f64 v[244:245], -v[136:137], v[138:139], 1.0
	v_fmac_f64_e32 v[138:139], v[138:139], v[244:245]
	v_fma_f64 v[244:245], -v[136:137], v[138:139], 1.0
	v_fmac_f64_e32 v[138:139], v[138:139], v[244:245]
	v_mul_f64 v[244:245], v[146:147], v[138:139]
	v_fma_f64 v[136:137], -v[136:137], v[244:245], v[146:147]
	v_div_fmas_f64 v[136:137], v[136:137], v[138:139], v[244:245]
	v_div_fixup_f64 v[138:139], v[136:137], v[132:133], v[134:135]
	v_fmac_f64_e32 v[132:133], v[134:135], v[138:139]
	v_div_scale_f64 v[134:135], s[10:11], v[132:133], v[132:133], 1.0
	v_rcp_f64_e32 v[136:137], v[134:135]
	s_nop 0
	v_fma_f64 v[146:147], -v[134:135], v[136:137], 1.0
	v_fmac_f64_e32 v[136:137], v[136:137], v[146:147]
	v_fma_f64 v[146:147], -v[134:135], v[136:137], 1.0
	v_fmac_f64_e32 v[136:137], v[136:137], v[146:147]
	v_div_scale_f64 v[146:147], vcc, 1.0, v[132:133], 1.0
	v_mul_f64 v[244:245], v[146:147], v[136:137]
	v_fma_f64 v[134:135], -v[134:135], v[244:245], v[146:147]
	s_nop 1
	v_div_fmas_f64 v[134:135], v[134:135], v[136:137], v[244:245]
	v_div_fixup_f64 v[136:137], v[134:135], v[132:133], 1.0
	v_mul_f64 v[138:139], v[138:139], -v[136:137]
.LBB65_259:
	s_or_b64 exec, exec, s[2:3]
	ds_write2_b64 v143, v[136:137], v[138:139] offset1:1
.LBB65_260:
	s_or_b64 exec, exec, s[4:5]
	s_waitcnt lgkmcnt(0)
	s_barrier
	ds_read2_b64 v[244:247], v143 offset1:1
	v_cmp_lt_u32_e32 vcc, 28, v142
	s_and_saveexec_b64 s[2:3], vcc
	s_cbranch_execz .LBB65_262
; %bb.261:
	ds_read2_b64 v[132:135], v144 offset0:58 offset1:59
	s_waitcnt vmcnt(19) lgkmcnt(1)
	v_mul_f64 v[136:137], v[244:245], v[14:15]
	v_fmac_f64_e32 v[136:137], v[246:247], v[12:13]
	v_mul_f64 v[14:15], v[246:247], v[14:15]
	v_fma_f64 v[12:13], v[244:245], v[12:13], -v[14:15]
	s_waitcnt lgkmcnt(0)
	v_mul_f64 v[14:15], v[134:135], v[136:137]
	v_fma_f64 v[14:15], v[132:133], v[12:13], -v[14:15]
	v_mul_f64 v[132:133], v[132:133], v[136:137]
	v_fmac_f64_e32 v[132:133], v[134:135], v[12:13]
	s_waitcnt vmcnt(18)
	v_add_f64 v[10:11], v[10:11], -v[132:133]
	ds_read2_b64 v[132:135], v144 offset0:60 offset1:61
	v_add_f64 v[8:9], v[8:9], -v[14:15]
	s_waitcnt lgkmcnt(0)
	v_mul_f64 v[14:15], v[134:135], v[136:137]
	v_fma_f64 v[14:15], v[132:133], v[12:13], -v[14:15]
	v_mul_f64 v[132:133], v[132:133], v[136:137]
	v_fmac_f64_e32 v[132:133], v[134:135], v[12:13]
	s_waitcnt vmcnt(17)
	v_add_f64 v[6:7], v[6:7], -v[132:133]
	ds_read2_b64 v[132:135], v144 offset0:62 offset1:63
	v_add_f64 v[4:5], v[4:5], -v[14:15]
	s_waitcnt lgkmcnt(0)
	v_mul_f64 v[14:15], v[134:135], v[136:137]
	v_fma_f64 v[14:15], v[132:133], v[12:13], -v[14:15]
	v_mul_f64 v[132:133], v[132:133], v[136:137]
	v_fmac_f64_e32 v[132:133], v[134:135], v[12:13]
	v_add_f64 v[2:3], v[2:3], -v[132:133]
	ds_read2_b64 v[132:135], v144 offset0:64 offset1:65
	v_add_f64 v[0:1], v[0:1], -v[14:15]
	s_waitcnt lgkmcnt(0)
	v_mul_f64 v[14:15], v[134:135], v[136:137]
	v_fma_f64 v[14:15], v[132:133], v[12:13], -v[14:15]
	v_mul_f64 v[132:133], v[132:133], v[136:137]
	v_fmac_f64_e32 v[132:133], v[134:135], v[12:13]
	s_waitcnt vmcnt(15)
	v_add_f64 v[128:129], v[128:129], -v[14:15]
	v_add_f64 v[130:131], v[130:131], -v[132:133]
	v_mov_b64_e32 v[14:15], v[136:137]
.LBB65_262:
	s_or_b64 exec, exec, s[2:3]
	v_cmp_eq_u32_e32 vcc, 29, v142
	s_waitcnt lgkmcnt(0)
	s_barrier
	s_and_saveexec_b64 s[4:5], vcc
	s_cbranch_execz .LBB65_269
; %bb.263:
	s_waitcnt vmcnt(18)
	ds_write2_b64 v143, v[8:9], v[10:11] offset1:1
	s_waitcnt vmcnt(17)
	ds_write2_b64 v144, v[4:5], v[6:7] offset0:60 offset1:61
	ds_write2_b64 v144, v[0:1], v[2:3] offset0:62 offset1:63
	s_waitcnt vmcnt(15)
	ds_write2_b64 v144, v[128:129], v[130:131] offset0:64 offset1:65
	ds_read2_b64 v[132:135], v143 offset1:1
	s_waitcnt lgkmcnt(0)
	v_cmp_neq_f64_e32 vcc, 0, v[132:133]
	v_cmp_neq_f64_e64 s[2:3], 0, v[134:135]
	s_or_b64 s[2:3], vcc, s[2:3]
	s_and_b64 exec, exec, s[2:3]
	s_cbranch_execz .LBB65_269
; %bb.264:
	v_cmp_ngt_f64_e64 s[2:3], |v[132:133]|, |v[134:135]|
                                        ; implicit-def: $vgpr136_vgpr137
	s_and_saveexec_b64 s[10:11], s[2:3]
	s_xor_b64 s[2:3], exec, s[10:11]
                                        ; implicit-def: $vgpr138_vgpr139
	s_cbranch_execz .LBB65_266
; %bb.265:
	v_div_scale_f64 v[136:137], s[10:11], v[134:135], v[134:135], v[132:133]
	v_rcp_f64_e32 v[138:139], v[136:137]
	v_div_scale_f64 v[146:147], vcc, v[132:133], v[134:135], v[132:133]
	v_fma_f64 v[248:249], -v[136:137], v[138:139], 1.0
	v_fmac_f64_e32 v[138:139], v[138:139], v[248:249]
	v_fma_f64 v[248:249], -v[136:137], v[138:139], 1.0
	v_fmac_f64_e32 v[138:139], v[138:139], v[248:249]
	v_mul_f64 v[248:249], v[146:147], v[138:139]
	v_fma_f64 v[136:137], -v[136:137], v[248:249], v[146:147]
	v_div_fmas_f64 v[136:137], v[136:137], v[138:139], v[248:249]
	v_div_fixup_f64 v[136:137], v[136:137], v[134:135], v[132:133]
	v_fmac_f64_e32 v[134:135], v[132:133], v[136:137]
	v_div_scale_f64 v[132:133], s[10:11], v[134:135], v[134:135], 1.0
	v_rcp_f64_e32 v[138:139], v[132:133]
	s_nop 0
	v_fma_f64 v[146:147], -v[132:133], v[138:139], 1.0
	v_fmac_f64_e32 v[138:139], v[138:139], v[146:147]
	v_fma_f64 v[146:147], -v[132:133], v[138:139], 1.0
	v_fmac_f64_e32 v[138:139], v[138:139], v[146:147]
	v_div_scale_f64 v[146:147], vcc, 1.0, v[134:135], 1.0
	v_mul_f64 v[248:249], v[146:147], v[138:139]
	v_fma_f64 v[132:133], -v[132:133], v[248:249], v[146:147]
	s_nop 1
	v_div_fmas_f64 v[132:133], v[132:133], v[138:139], v[248:249]
	v_div_fixup_f64 v[138:139], v[132:133], v[134:135], 1.0
	v_mul_f64 v[136:137], v[136:137], v[138:139]
	v_xor_b32_e32 v139, 0x80000000, v139
                                        ; implicit-def: $vgpr132_vgpr133
.LBB65_266:
	s_andn2_saveexec_b64 s[2:3], s[2:3]
	s_cbranch_execz .LBB65_268
; %bb.267:
	v_div_scale_f64 v[136:137], s[10:11], v[132:133], v[132:133], v[134:135]
	v_rcp_f64_e32 v[138:139], v[136:137]
	v_div_scale_f64 v[146:147], vcc, v[134:135], v[132:133], v[134:135]
	v_fma_f64 v[248:249], -v[136:137], v[138:139], 1.0
	v_fmac_f64_e32 v[138:139], v[138:139], v[248:249]
	v_fma_f64 v[248:249], -v[136:137], v[138:139], 1.0
	v_fmac_f64_e32 v[138:139], v[138:139], v[248:249]
	v_mul_f64 v[248:249], v[146:147], v[138:139]
	v_fma_f64 v[136:137], -v[136:137], v[248:249], v[146:147]
	v_div_fmas_f64 v[136:137], v[136:137], v[138:139], v[248:249]
	v_div_fixup_f64 v[138:139], v[136:137], v[132:133], v[134:135]
	v_fmac_f64_e32 v[132:133], v[134:135], v[138:139]
	v_div_scale_f64 v[134:135], s[10:11], v[132:133], v[132:133], 1.0
	v_rcp_f64_e32 v[136:137], v[134:135]
	s_nop 0
	v_fma_f64 v[146:147], -v[134:135], v[136:137], 1.0
	v_fmac_f64_e32 v[136:137], v[136:137], v[146:147]
	v_fma_f64 v[146:147], -v[134:135], v[136:137], 1.0
	v_fmac_f64_e32 v[136:137], v[136:137], v[146:147]
	v_div_scale_f64 v[146:147], vcc, 1.0, v[132:133], 1.0
	v_mul_f64 v[248:249], v[146:147], v[136:137]
	v_fma_f64 v[134:135], -v[134:135], v[248:249], v[146:147]
	s_nop 1
	v_div_fmas_f64 v[134:135], v[134:135], v[136:137], v[248:249]
	v_div_fixup_f64 v[136:137], v[134:135], v[132:133], 1.0
	v_mul_f64 v[138:139], v[138:139], -v[136:137]
.LBB65_268:
	s_or_b64 exec, exec, s[2:3]
	ds_write2_b64 v143, v[136:137], v[138:139] offset1:1
.LBB65_269:
	s_or_b64 exec, exec, s[4:5]
	s_waitcnt lgkmcnt(0)
	s_barrier
	ds_read2_b64 v[248:251], v143 offset1:1
	v_cmp_lt_u32_e32 vcc, 29, v142
	s_and_saveexec_b64 s[2:3], vcc
	s_cbranch_execz .LBB65_271
; %bb.270:
	ds_read2_b64 v[132:135], v144 offset0:60 offset1:61
	s_waitcnt vmcnt(18) lgkmcnt(1)
	v_mul_f64 v[136:137], v[248:249], v[10:11]
	v_fmac_f64_e32 v[136:137], v[250:251], v[8:9]
	v_mul_f64 v[10:11], v[250:251], v[10:11]
	v_fma_f64 v[8:9], v[248:249], v[8:9], -v[10:11]
	s_waitcnt lgkmcnt(0)
	v_mul_f64 v[10:11], v[134:135], v[136:137]
	v_fma_f64 v[10:11], v[132:133], v[8:9], -v[10:11]
	v_mul_f64 v[132:133], v[132:133], v[136:137]
	v_fmac_f64_e32 v[132:133], v[134:135], v[8:9]
	s_waitcnt vmcnt(17)
	v_add_f64 v[6:7], v[6:7], -v[132:133]
	ds_read2_b64 v[132:135], v144 offset0:62 offset1:63
	v_add_f64 v[4:5], v[4:5], -v[10:11]
	s_waitcnt lgkmcnt(0)
	v_mul_f64 v[10:11], v[134:135], v[136:137]
	v_fma_f64 v[10:11], v[132:133], v[8:9], -v[10:11]
	v_mul_f64 v[132:133], v[132:133], v[136:137]
	v_fmac_f64_e32 v[132:133], v[134:135], v[8:9]
	v_add_f64 v[2:3], v[2:3], -v[132:133]
	ds_read2_b64 v[132:135], v144 offset0:64 offset1:65
	v_add_f64 v[0:1], v[0:1], -v[10:11]
	s_waitcnt lgkmcnt(0)
	v_mul_f64 v[10:11], v[134:135], v[136:137]
	v_fma_f64 v[10:11], v[132:133], v[8:9], -v[10:11]
	v_mul_f64 v[132:133], v[132:133], v[136:137]
	v_fmac_f64_e32 v[132:133], v[134:135], v[8:9]
	s_waitcnt vmcnt(15)
	v_add_f64 v[128:129], v[128:129], -v[10:11]
	v_add_f64 v[130:131], v[130:131], -v[132:133]
	v_mov_b64_e32 v[10:11], v[136:137]
.LBB65_271:
	s_or_b64 exec, exec, s[2:3]
	v_cmp_eq_u32_e32 vcc, 30, v142
	s_waitcnt lgkmcnt(0)
	s_barrier
	s_and_saveexec_b64 s[4:5], vcc
	s_cbranch_execz .LBB65_278
; %bb.272:
	s_waitcnt vmcnt(17)
	ds_write2_b64 v143, v[4:5], v[6:7] offset1:1
	ds_write2_b64 v144, v[0:1], v[2:3] offset0:62 offset1:63
	s_waitcnt vmcnt(15)
	ds_write2_b64 v144, v[128:129], v[130:131] offset0:64 offset1:65
	ds_read2_b64 v[132:135], v143 offset1:1
	s_waitcnt lgkmcnt(0)
	v_cmp_neq_f64_e32 vcc, 0, v[132:133]
	v_cmp_neq_f64_e64 s[2:3], 0, v[134:135]
	s_or_b64 s[2:3], vcc, s[2:3]
	s_and_b64 exec, exec, s[2:3]
	s_cbranch_execz .LBB65_278
; %bb.273:
	v_cmp_ngt_f64_e64 s[2:3], |v[132:133]|, |v[134:135]|
                                        ; implicit-def: $vgpr136_vgpr137
	s_and_saveexec_b64 s[10:11], s[2:3]
	s_xor_b64 s[2:3], exec, s[10:11]
                                        ; implicit-def: $vgpr138_vgpr139
	s_cbranch_execz .LBB65_275
; %bb.274:
	v_div_scale_f64 v[136:137], s[10:11], v[134:135], v[134:135], v[132:133]
	v_rcp_f64_e32 v[138:139], v[136:137]
	v_div_scale_f64 v[146:147], vcc, v[132:133], v[134:135], v[132:133]
	v_fma_f64 v[252:253], -v[136:137], v[138:139], 1.0
	v_fmac_f64_e32 v[138:139], v[138:139], v[252:253]
	v_fma_f64 v[252:253], -v[136:137], v[138:139], 1.0
	v_fmac_f64_e32 v[138:139], v[138:139], v[252:253]
	v_mul_f64 v[252:253], v[146:147], v[138:139]
	v_fma_f64 v[136:137], -v[136:137], v[252:253], v[146:147]
	v_div_fmas_f64 v[136:137], v[136:137], v[138:139], v[252:253]
	v_div_fixup_f64 v[136:137], v[136:137], v[134:135], v[132:133]
	v_fmac_f64_e32 v[134:135], v[132:133], v[136:137]
	v_div_scale_f64 v[132:133], s[10:11], v[134:135], v[134:135], 1.0
	v_rcp_f64_e32 v[138:139], v[132:133]
	s_nop 0
	v_fma_f64 v[146:147], -v[132:133], v[138:139], 1.0
	v_fmac_f64_e32 v[138:139], v[138:139], v[146:147]
	v_fma_f64 v[146:147], -v[132:133], v[138:139], 1.0
	v_fmac_f64_e32 v[138:139], v[138:139], v[146:147]
	v_div_scale_f64 v[146:147], vcc, 1.0, v[134:135], 1.0
	v_mul_f64 v[252:253], v[146:147], v[138:139]
	v_fma_f64 v[132:133], -v[132:133], v[252:253], v[146:147]
	s_nop 1
	v_div_fmas_f64 v[132:133], v[132:133], v[138:139], v[252:253]
	v_div_fixup_f64 v[138:139], v[132:133], v[134:135], 1.0
	v_mul_f64 v[136:137], v[136:137], v[138:139]
	v_xor_b32_e32 v139, 0x80000000, v139
                                        ; implicit-def: $vgpr132_vgpr133
.LBB65_275:
	s_andn2_saveexec_b64 s[2:3], s[2:3]
	s_cbranch_execz .LBB65_277
; %bb.276:
	v_div_scale_f64 v[136:137], s[10:11], v[132:133], v[132:133], v[134:135]
	v_rcp_f64_e32 v[138:139], v[136:137]
	v_div_scale_f64 v[146:147], vcc, v[134:135], v[132:133], v[134:135]
	v_fma_f64 v[252:253], -v[136:137], v[138:139], 1.0
	v_fmac_f64_e32 v[138:139], v[138:139], v[252:253]
	v_fma_f64 v[252:253], -v[136:137], v[138:139], 1.0
	v_fmac_f64_e32 v[138:139], v[138:139], v[252:253]
	v_mul_f64 v[252:253], v[146:147], v[138:139]
	v_fma_f64 v[136:137], -v[136:137], v[252:253], v[146:147]
	v_div_fmas_f64 v[136:137], v[136:137], v[138:139], v[252:253]
	v_div_fixup_f64 v[138:139], v[136:137], v[132:133], v[134:135]
	v_fmac_f64_e32 v[132:133], v[134:135], v[138:139]
	v_div_scale_f64 v[134:135], s[10:11], v[132:133], v[132:133], 1.0
	v_rcp_f64_e32 v[136:137], v[134:135]
	s_nop 0
	v_fma_f64 v[146:147], -v[134:135], v[136:137], 1.0
	v_fmac_f64_e32 v[136:137], v[136:137], v[146:147]
	v_fma_f64 v[146:147], -v[134:135], v[136:137], 1.0
	v_fmac_f64_e32 v[136:137], v[136:137], v[146:147]
	v_div_scale_f64 v[146:147], vcc, 1.0, v[132:133], 1.0
	v_mul_f64 v[252:253], v[146:147], v[136:137]
	v_fma_f64 v[134:135], -v[134:135], v[252:253], v[146:147]
	s_nop 1
	v_div_fmas_f64 v[134:135], v[134:135], v[136:137], v[252:253]
	v_div_fixup_f64 v[136:137], v[134:135], v[132:133], 1.0
	v_mul_f64 v[138:139], v[138:139], -v[136:137]
.LBB65_277:
	s_or_b64 exec, exec, s[2:3]
	ds_write2_b64 v143, v[136:137], v[138:139] offset1:1
.LBB65_278:
	s_or_b64 exec, exec, s[4:5]
	s_waitcnt lgkmcnt(0)
	s_barrier
	ds_read2_b64 v[252:255], v143 offset1:1
	v_cmp_lt_u32_e32 vcc, 30, v142
	s_and_saveexec_b64 s[2:3], vcc
	s_cbranch_execz .LBB65_280
; %bb.279:
	ds_read2_b64 v[132:135], v144 offset0:62 offset1:63
	s_waitcnt vmcnt(17) lgkmcnt(1)
	v_mul_f64 v[136:137], v[252:253], v[6:7]
	v_fmac_f64_e32 v[136:137], v[254:255], v[4:5]
	v_mul_f64 v[6:7], v[254:255], v[6:7]
	v_fma_f64 v[4:5], v[252:253], v[4:5], -v[6:7]
	s_waitcnt lgkmcnt(0)
	v_mul_f64 v[6:7], v[134:135], v[136:137]
	v_fma_f64 v[6:7], v[132:133], v[4:5], -v[6:7]
	v_mul_f64 v[132:133], v[132:133], v[136:137]
	v_fmac_f64_e32 v[132:133], v[134:135], v[4:5]
	v_add_f64 v[2:3], v[2:3], -v[132:133]
	ds_read2_b64 v[132:135], v144 offset0:64 offset1:65
	v_add_f64 v[0:1], v[0:1], -v[6:7]
	s_waitcnt lgkmcnt(0)
	v_mul_f64 v[6:7], v[134:135], v[136:137]
	v_fma_f64 v[6:7], v[132:133], v[4:5], -v[6:7]
	v_mul_f64 v[132:133], v[132:133], v[136:137]
	v_fmac_f64_e32 v[132:133], v[134:135], v[4:5]
	s_waitcnt vmcnt(15)
	v_add_f64 v[128:129], v[128:129], -v[6:7]
	v_add_f64 v[130:131], v[130:131], -v[132:133]
	v_mov_b64_e32 v[6:7], v[136:137]
.LBB65_280:
	s_or_b64 exec, exec, s[2:3]
	v_cmp_eq_u32_e32 vcc, 31, v142
	s_waitcnt lgkmcnt(0)
	s_barrier
	s_and_saveexec_b64 s[4:5], vcc
	s_cbranch_execz .LBB65_287
; %bb.281:
	s_waitcnt vmcnt(47)
	ds_write2_b64 v143, v[0:1], v[2:3] offset1:1
	s_waitcnt vmcnt(15)
	ds_write2_b64 v144, v[128:129], v[130:131] offset0:64 offset1:65
	ds_read2_b64 v[132:135], v143 offset1:1
	s_waitcnt lgkmcnt(0)
	v_cmp_neq_f64_e32 vcc, 0, v[132:133]
	v_cmp_neq_f64_e64 s[2:3], 0, v[134:135]
	s_or_b64 s[2:3], vcc, s[2:3]
	s_and_b64 exec, exec, s[2:3]
	s_cbranch_execz .LBB65_287
; %bb.282:
	v_cmp_ngt_f64_e64 s[2:3], |v[132:133]|, |v[134:135]|
                                        ; implicit-def: $vgpr136_vgpr137
	s_and_saveexec_b64 s[10:11], s[2:3]
	s_xor_b64 s[2:3], exec, s[10:11]
                                        ; implicit-def: $vgpr138_vgpr139
	s_cbranch_execz .LBB65_284
; %bb.283:
	v_div_scale_f64 v[136:137], s[10:11], v[134:135], v[134:135], v[132:133]
	v_rcp_f64_e32 v[138:139], v[136:137]
	v_div_scale_f64 v[146:147], vcc, v[132:133], v[134:135], v[132:133]
	v_fma_f64 v[148:149], -v[136:137], v[138:139], 1.0
	v_fmac_f64_e32 v[138:139], v[138:139], v[148:149]
	v_fma_f64 v[148:149], -v[136:137], v[138:139], 1.0
	v_fmac_f64_e32 v[138:139], v[138:139], v[148:149]
	v_mul_f64 v[148:149], v[146:147], v[138:139]
	v_fma_f64 v[136:137], -v[136:137], v[148:149], v[146:147]
	v_div_fmas_f64 v[136:137], v[136:137], v[138:139], v[148:149]
	v_div_fixup_f64 v[136:137], v[136:137], v[134:135], v[132:133]
	v_fmac_f64_e32 v[134:135], v[132:133], v[136:137]
	v_div_scale_f64 v[132:133], s[10:11], v[134:135], v[134:135], 1.0
	v_rcp_f64_e32 v[138:139], v[132:133]
	s_nop 0
	v_fma_f64 v[146:147], -v[132:133], v[138:139], 1.0
	v_fmac_f64_e32 v[138:139], v[138:139], v[146:147]
	v_fma_f64 v[146:147], -v[132:133], v[138:139], 1.0
	v_fmac_f64_e32 v[138:139], v[138:139], v[146:147]
	v_div_scale_f64 v[146:147], vcc, 1.0, v[134:135], 1.0
	v_mul_f64 v[148:149], v[146:147], v[138:139]
	v_fma_f64 v[132:133], -v[132:133], v[148:149], v[146:147]
	s_nop 1
	v_div_fmas_f64 v[132:133], v[132:133], v[138:139], v[148:149]
	v_div_fixup_f64 v[138:139], v[132:133], v[134:135], 1.0
	v_mul_f64 v[136:137], v[136:137], v[138:139]
	v_xor_b32_e32 v139, 0x80000000, v139
                                        ; implicit-def: $vgpr132_vgpr133
.LBB65_284:
	s_andn2_saveexec_b64 s[2:3], s[2:3]
	s_cbranch_execz .LBB65_286
; %bb.285:
	v_div_scale_f64 v[136:137], s[10:11], v[132:133], v[132:133], v[134:135]
	v_rcp_f64_e32 v[138:139], v[136:137]
	v_div_scale_f64 v[146:147], vcc, v[134:135], v[132:133], v[134:135]
	v_fma_f64 v[148:149], -v[136:137], v[138:139], 1.0
	v_fmac_f64_e32 v[138:139], v[138:139], v[148:149]
	v_fma_f64 v[148:149], -v[136:137], v[138:139], 1.0
	v_fmac_f64_e32 v[138:139], v[138:139], v[148:149]
	v_mul_f64 v[148:149], v[146:147], v[138:139]
	v_fma_f64 v[136:137], -v[136:137], v[148:149], v[146:147]
	v_div_fmas_f64 v[136:137], v[136:137], v[138:139], v[148:149]
	v_div_fixup_f64 v[138:139], v[136:137], v[132:133], v[134:135]
	v_fmac_f64_e32 v[132:133], v[134:135], v[138:139]
	v_div_scale_f64 v[134:135], s[10:11], v[132:133], v[132:133], 1.0
	v_rcp_f64_e32 v[136:137], v[134:135]
	s_nop 0
	v_fma_f64 v[146:147], -v[134:135], v[136:137], 1.0
	v_fmac_f64_e32 v[136:137], v[136:137], v[146:147]
	v_fma_f64 v[146:147], -v[134:135], v[136:137], 1.0
	v_fmac_f64_e32 v[136:137], v[136:137], v[146:147]
	v_div_scale_f64 v[146:147], vcc, 1.0, v[132:133], 1.0
	v_mul_f64 v[148:149], v[146:147], v[136:137]
	v_fma_f64 v[134:135], -v[134:135], v[148:149], v[146:147]
	s_nop 1
	v_div_fmas_f64 v[134:135], v[134:135], v[136:137], v[148:149]
	v_div_fixup_f64 v[136:137], v[134:135], v[132:133], 1.0
	v_mul_f64 v[138:139], v[138:139], -v[136:137]
.LBB65_286:
	s_or_b64 exec, exec, s[2:3]
	ds_write2_b64 v143, v[136:137], v[138:139] offset1:1
.LBB65_287:
	s_or_b64 exec, exec, s[4:5]
	s_waitcnt lgkmcnt(0)
	s_barrier
	ds_read2_b64 v[132:135], v143 offset1:1
	v_cmp_lt_u32_e32 vcc, 31, v142
	s_and_saveexec_b64 s[2:3], vcc
	s_cbranch_execz .LBB65_289
; %bb.288:
	ds_read2_b64 v[136:139], v144 offset0:64 offset1:65
	s_waitcnt vmcnt(47) lgkmcnt(1)
	v_mul_f64 v[144:145], v[132:133], v[2:3]
	v_mul_f64 v[2:3], v[134:135], v[2:3]
	v_fmac_f64_e32 v[144:145], v[134:135], v[0:1]
	v_fma_f64 v[0:1], v[132:133], v[0:1], -v[2:3]
	s_waitcnt lgkmcnt(0)
	v_mul_f64 v[2:3], v[138:139], v[144:145]
	v_fma_f64 v[2:3], v[136:137], v[0:1], -v[2:3]
	v_mul_f64 v[136:137], v[136:137], v[144:145]
	v_fmac_f64_e32 v[136:137], v[138:139], v[0:1]
	s_waitcnt vmcnt(15)
	v_add_f64 v[128:129], v[128:129], -v[2:3]
	v_add_f64 v[130:131], v[130:131], -v[136:137]
	v_mov_b64_e32 v[2:3], v[144:145]
.LBB65_289:
	s_or_b64 exec, exec, s[2:3]
	v_cmp_eq_u32_e32 vcc, 32, v142
	s_waitcnt lgkmcnt(0)
	s_barrier
	s_and_saveexec_b64 s[4:5], vcc
	s_cbranch_execz .LBB65_296
; %bb.290:
	s_waitcnt vmcnt(15)
	v_cmp_neq_f64_e32 vcc, 0, v[128:129]
	v_cmp_neq_f64_e64 s[2:3], 0, v[130:131]
	s_or_b64 s[2:3], vcc, s[2:3]
	ds_write2_b64 v143, v[128:129], v[130:131] offset1:1
	s_and_b64 exec, exec, s[2:3]
	s_cbranch_execz .LBB65_296
; %bb.291:
	v_cmp_ngt_f64_e64 s[2:3], |v[128:129]|, |v[130:131]|
                                        ; implicit-def: $vgpr136_vgpr137
	s_and_saveexec_b64 s[10:11], s[2:3]
	s_xor_b64 s[2:3], exec, s[10:11]
                                        ; implicit-def: $vgpr138_vgpr139
	s_cbranch_execz .LBB65_293
; %bb.292:
	v_div_scale_f64 v[136:137], s[10:11], v[130:131], v[130:131], v[128:129]
	v_rcp_f64_e32 v[138:139], v[136:137]
	v_div_scale_f64 v[144:145], vcc, v[128:129], v[130:131], v[128:129]
	v_mov_b64_e32 v[152:153], v[150:151]
	v_fma_f64 v[146:147], -v[136:137], v[138:139], 1.0
	v_fmac_f64_e32 v[138:139], v[138:139], v[146:147]
	v_fma_f64 v[146:147], -v[136:137], v[138:139], 1.0
	v_fmac_f64_e32 v[138:139], v[138:139], v[146:147]
	v_mul_f64 v[146:147], v[144:145], v[138:139]
	v_fma_f64 v[136:137], -v[136:137], v[146:147], v[144:145]
	v_div_fmas_f64 v[136:137], v[136:137], v[138:139], v[146:147]
	v_div_fixup_f64 v[136:137], v[136:137], v[130:131], v[128:129]
	v_fma_f64 v[138:139], v[128:129], v[136:137], v[130:131]
	v_div_scale_f64 v[144:145], s[10:11], v[138:139], v[138:139], 1.0
	v_rcp_f64_e32 v[146:147], v[144:145]
	s_nop 0
	v_fma_f64 v[148:149], -v[144:145], v[146:147], 1.0
	v_fmac_f64_e32 v[146:147], v[146:147], v[148:149]
	v_fma_f64 v[148:149], -v[144:145], v[146:147], 1.0
	v_fmac_f64_e32 v[146:147], v[146:147], v[148:149]
	v_div_scale_f64 v[148:149], vcc, 1.0, v[138:139], 1.0
	v_mul_f64 v[150:151], v[148:149], v[146:147]
	v_fma_f64 v[144:145], -v[144:145], v[150:151], v[148:149]
	s_nop 1
	v_div_fmas_f64 v[144:145], v[144:145], v[146:147], v[150:151]
	v_div_fixup_f64 v[138:139], v[144:145], v[138:139], 1.0
	v_mov_b64_e32 v[150:151], v[152:153]
	v_mul_f64 v[136:137], v[136:137], v[138:139]
	v_xor_b32_e32 v139, 0x80000000, v139
.LBB65_293:
	s_andn2_saveexec_b64 s[2:3], s[2:3]
	s_cbranch_execz .LBB65_295
; %bb.294:
	v_div_scale_f64 v[136:137], s[10:11], v[128:129], v[128:129], v[130:131]
	v_rcp_f64_e32 v[138:139], v[136:137]
	v_div_scale_f64 v[144:145], vcc, v[130:131], v[128:129], v[130:131]
	v_mov_b64_e32 v[152:153], v[150:151]
	v_fma_f64 v[146:147], -v[136:137], v[138:139], 1.0
	v_fmac_f64_e32 v[138:139], v[138:139], v[146:147]
	v_fma_f64 v[146:147], -v[136:137], v[138:139], 1.0
	v_fmac_f64_e32 v[138:139], v[138:139], v[146:147]
	v_mul_f64 v[146:147], v[144:145], v[138:139]
	v_fma_f64 v[136:137], -v[136:137], v[146:147], v[144:145]
	v_div_fmas_f64 v[136:137], v[136:137], v[138:139], v[146:147]
	v_div_fixup_f64 v[138:139], v[136:137], v[128:129], v[130:131]
	v_fma_f64 v[136:137], v[130:131], v[138:139], v[128:129]
	v_div_scale_f64 v[144:145], s[10:11], v[136:137], v[136:137], 1.0
	v_rcp_f64_e32 v[146:147], v[144:145]
	s_nop 0
	v_fma_f64 v[148:149], -v[144:145], v[146:147], 1.0
	v_fmac_f64_e32 v[146:147], v[146:147], v[148:149]
	v_fma_f64 v[148:149], -v[144:145], v[146:147], 1.0
	v_fmac_f64_e32 v[146:147], v[146:147], v[148:149]
	v_div_scale_f64 v[148:149], vcc, 1.0, v[136:137], 1.0
	v_mul_f64 v[150:151], v[148:149], v[146:147]
	v_fma_f64 v[144:145], -v[144:145], v[150:151], v[148:149]
	s_nop 1
	v_div_fmas_f64 v[144:145], v[144:145], v[146:147], v[150:151]
	v_div_fixup_f64 v[136:137], v[144:145], v[136:137], 1.0
	v_mov_b64_e32 v[150:151], v[152:153]
	v_mul_f64 v[138:139], v[138:139], -v[136:137]
.LBB65_295:
	s_or_b64 exec, exec, s[2:3]
	ds_write2_b64 v143, v[136:137], v[138:139] offset1:1
.LBB65_296:
	s_or_b64 exec, exec, s[4:5]
	s_waitcnt lgkmcnt(0)
	s_barrier
	ds_read2_b64 v[136:139], v143 offset1:1
	s_waitcnt lgkmcnt(0)
	s_barrier
	s_and_saveexec_b64 s[2:3], s[0:1]
	s_cbranch_execz .LBB65_299
; %bb.297:
	scratch_load_dwordx4 v[144:147], off, off offset:248 ; 16-byte Folded Reload
	s_waitcnt vmcnt(0)
	v_cmp_eq_f64_e32 vcc, 0, v[144:145]
	v_cmp_eq_f64_e64 s[0:1], 0, v[146:147]
	scratch_load_dwordx4 v[144:147], off, off offset:264 ; 16-byte Folded Reload
	s_and_b64 s[4:5], vcc, s[0:1]
	v_cndmask_b32_e64 v143, 0, 1, s[4:5]
	s_waitcnt vmcnt(0)
	v_cmp_neq_f64_e32 vcc, 0, v[144:145]
	v_cmp_neq_f64_e64 s[0:1], 0, v[146:147]
	scratch_load_dwordx4 v[144:147], off, off offset:280 ; 16-byte Folded Reload
	s_or_b64 s[0:1], vcc, s[0:1]
	s_or_b64 vcc, s[0:1], s[4:5]
	v_cndmask_b32_e32 v143, 2, v143, vcc
	s_waitcnt vmcnt(0)
	v_cmp_eq_f64_e32 vcc, 0, v[144:145]
	v_cmp_eq_f64_e64 s[0:1], 0, v[146:147]
	scratch_load_dwordx4 v[144:147], off, off offset:296 ; 16-byte Folded Reload
	s_and_b64 s[0:1], vcc, s[0:1]
	v_cmp_eq_u32_e32 vcc, 0, v143
	s_and_b64 s[0:1], s[0:1], vcc
	v_cndmask_b32_e64 v143, v143, 3, s[0:1]
	s_waitcnt vmcnt(0)
	v_cmp_eq_f64_e32 vcc, 0, v[144:145]
	v_cmp_eq_f64_e64 s[0:1], 0, v[146:147]
	scratch_load_dwordx4 v[144:147], off, off offset:312 ; 16-byte Folded Reload
	s_and_b64 s[0:1], vcc, s[0:1]
	v_cmp_eq_u32_e32 vcc, 0, v143
	s_and_b64 s[0:1], s[0:1], vcc
	v_cndmask_b32_e64 v143, v143, 4, s[0:1]
	;; [unrolled: 8-line block ×3, first 2 shown]
	s_waitcnt vmcnt(0)
	v_cmp_eq_f64_e32 vcc, 0, v[144:145]
	v_cmp_eq_f64_e64 s[0:1], 0, v[146:147]
	s_and_b64 s[0:1], vcc, s[0:1]
	v_cmp_eq_u32_e32 vcc, 0, v143
	s_and_b64 s[0:1], s[0:1], vcc
	v_cndmask_b32_e64 v143, v143, 6, s[0:1]
	v_cmp_eq_f64_e32 vcc, 0, v[156:157]
	v_cmp_eq_f64_e64 s[0:1], 0, v[158:159]
	v_mov_b32_e32 v144, s6
	v_mov_b32_e32 v145, s7
	s_and_b64 s[0:1], vcc, s[0:1]
	v_cmp_eq_u32_e32 vcc, 0, v143
	v_lshl_add_u64 v[140:141], v[140:141], 2, v[144:145]
	s_and_b64 s[0:1], s[0:1], vcc
	global_load_dword v144, v[140:141], off
	v_cndmask_b32_e64 v143, v143, 7, s[0:1]
	v_cmp_eq_f64_e32 vcc, 0, v[160:161]
	v_cmp_eq_f64_e64 s[0:1], 0, v[162:163]
	s_and_b64 s[0:1], vcc, s[0:1]
	v_cmp_eq_u32_e32 vcc, 0, v143
	s_and_b64 s[0:1], s[0:1], vcc
	v_cndmask_b32_e64 v143, v143, 8, s[0:1]
	v_cmp_eq_f64_e32 vcc, 0, v[164:165]
	v_cmp_eq_f64_e64 s[0:1], 0, v[166:167]
	s_and_b64 s[0:1], vcc, s[0:1]
	v_cmp_eq_u32_e32 vcc, 0, v143
	s_and_b64 s[0:1], s[0:1], vcc
	v_cndmask_b32_e64 v143, v143, 9, s[0:1]
	v_cmp_eq_f64_e32 vcc, 0, v[168:169]
	v_cmp_eq_f64_e64 s[0:1], 0, v[170:171]
	s_and_b64 s[0:1], vcc, s[0:1]
	v_cmp_eq_u32_e32 vcc, 0, v143
	s_and_b64 s[0:1], s[0:1], vcc
	v_cndmask_b32_e64 v143, v143, 10, s[0:1]
	v_cmp_eq_f64_e32 vcc, 0, v[172:173]
	v_cmp_eq_f64_e64 s[0:1], 0, v[174:175]
	s_and_b64 s[0:1], vcc, s[0:1]
	v_cmp_eq_u32_e32 vcc, 0, v143
	s_and_b64 s[0:1], s[0:1], vcc
	v_cndmask_b32_e64 v143, v143, 11, s[0:1]
	v_cmp_eq_f64_e32 vcc, 0, v[176:177]
	v_cmp_eq_f64_e64 s[0:1], 0, v[178:179]
	s_and_b64 s[0:1], vcc, s[0:1]
	v_cmp_eq_u32_e32 vcc, 0, v143
	s_and_b64 s[0:1], s[0:1], vcc
	v_cndmask_b32_e64 v143, v143, 12, s[0:1]
	v_cmp_eq_f64_e32 vcc, 0, v[180:181]
	v_cmp_eq_f64_e64 s[0:1], 0, v[182:183]
	s_and_b64 s[0:1], vcc, s[0:1]
	v_cmp_eq_u32_e32 vcc, 0, v143
	s_and_b64 s[0:1], s[0:1], vcc
	v_cndmask_b32_e64 v143, v143, 13, s[0:1]
	v_cmp_eq_f64_e32 vcc, 0, v[184:185]
	v_cmp_eq_f64_e64 s[0:1], 0, v[186:187]
	s_and_b64 s[0:1], vcc, s[0:1]
	v_cmp_eq_u32_e32 vcc, 0, v143
	s_and_b64 s[0:1], s[0:1], vcc
	v_cndmask_b32_e64 v143, v143, 14, s[0:1]
	v_cmp_eq_f64_e32 vcc, 0, v[188:189]
	v_cmp_eq_f64_e64 s[0:1], 0, v[190:191]
	s_and_b64 s[0:1], vcc, s[0:1]
	v_cmp_eq_u32_e32 vcc, 0, v143
	s_and_b64 s[0:1], s[0:1], vcc
	v_cndmask_b32_e64 v143, v143, 15, s[0:1]
	v_cmp_eq_f64_e32 vcc, 0, v[192:193]
	v_cmp_eq_f64_e64 s[0:1], 0, v[194:195]
	s_and_b64 s[0:1], vcc, s[0:1]
	v_cmp_eq_u32_e32 vcc, 0, v143
	s_and_b64 s[0:1], s[0:1], vcc
	v_cndmask_b32_e64 v143, v143, 16, s[0:1]
	v_cmp_eq_f64_e32 vcc, 0, v[196:197]
	v_cmp_eq_f64_e64 s[0:1], 0, v[198:199]
	s_and_b64 s[0:1], vcc, s[0:1]
	v_cmp_eq_u32_e32 vcc, 0, v143
	s_and_b64 s[0:1], s[0:1], vcc
	v_cndmask_b32_e64 v143, v143, 17, s[0:1]
	v_cmp_eq_f64_e32 vcc, 0, v[200:201]
	v_cmp_eq_f64_e64 s[0:1], 0, v[202:203]
	s_and_b64 s[0:1], vcc, s[0:1]
	v_cmp_eq_u32_e32 vcc, 0, v143
	s_and_b64 s[0:1], s[0:1], vcc
	v_cndmask_b32_e64 v143, v143, 18, s[0:1]
	v_cmp_eq_f64_e32 vcc, 0, v[204:205]
	v_cmp_eq_f64_e64 s[0:1], 0, v[206:207]
	s_and_b64 s[0:1], vcc, s[0:1]
	v_cmp_eq_u32_e32 vcc, 0, v143
	s_and_b64 s[0:1], s[0:1], vcc
	v_cndmask_b32_e64 v143, v143, 19, s[0:1]
	v_cmp_eq_f64_e32 vcc, 0, v[208:209]
	v_cmp_eq_f64_e64 s[0:1], 0, v[210:211]
	s_and_b64 s[0:1], vcc, s[0:1]
	v_cmp_eq_u32_e32 vcc, 0, v143
	s_and_b64 s[0:1], s[0:1], vcc
	v_cndmask_b32_e64 v143, v143, 20, s[0:1]
	v_cmp_eq_f64_e32 vcc, 0, v[212:213]
	v_cmp_eq_f64_e64 s[0:1], 0, v[214:215]
	s_and_b64 s[0:1], vcc, s[0:1]
	v_cmp_eq_u32_e32 vcc, 0, v143
	s_and_b64 s[0:1], s[0:1], vcc
	v_cndmask_b32_e64 v143, v143, 21, s[0:1]
	v_cmp_eq_f64_e32 vcc, 0, v[216:217]
	v_cmp_eq_f64_e64 s[0:1], 0, v[218:219]
	s_and_b64 s[0:1], vcc, s[0:1]
	v_cmp_eq_u32_e32 vcc, 0, v143
	s_and_b64 s[0:1], s[0:1], vcc
	v_cndmask_b32_e64 v143, v143, 22, s[0:1]
	v_cmp_eq_f64_e32 vcc, 0, v[220:221]
	v_cmp_eq_f64_e64 s[0:1], 0, v[222:223]
	s_and_b64 s[0:1], vcc, s[0:1]
	v_cmp_eq_u32_e32 vcc, 0, v143
	s_and_b64 s[0:1], s[0:1], vcc
	v_cndmask_b32_e64 v143, v143, 23, s[0:1]
	v_cmp_eq_f64_e32 vcc, 0, v[224:225]
	v_cmp_eq_f64_e64 s[0:1], 0, v[226:227]
	s_and_b64 s[0:1], vcc, s[0:1]
	v_cmp_eq_u32_e32 vcc, 0, v143
	s_and_b64 s[0:1], s[0:1], vcc
	v_cndmask_b32_e64 v143, v143, 24, s[0:1]
	v_cmp_eq_f64_e32 vcc, 0, v[228:229]
	v_cmp_eq_f64_e64 s[0:1], 0, v[230:231]
	s_and_b64 s[0:1], vcc, s[0:1]
	v_cmp_eq_u32_e32 vcc, 0, v143
	s_and_b64 s[0:1], s[0:1], vcc
	v_cndmask_b32_e64 v143, v143, 25, s[0:1]
	v_cmp_eq_f64_e32 vcc, 0, v[232:233]
	v_cmp_eq_f64_e64 s[0:1], 0, v[234:235]
	s_and_b64 s[0:1], vcc, s[0:1]
	v_cmp_eq_u32_e32 vcc, 0, v143
	s_and_b64 s[0:1], s[0:1], vcc
	v_cndmask_b32_e64 v143, v143, 26, s[0:1]
	v_cmp_eq_f64_e32 vcc, 0, v[236:237]
	v_cmp_eq_f64_e64 s[0:1], 0, v[238:239]
	s_and_b64 s[0:1], vcc, s[0:1]
	v_cmp_eq_u32_e32 vcc, 0, v143
	s_and_b64 s[0:1], s[0:1], vcc
	v_cndmask_b32_e64 v143, v143, 27, s[0:1]
	v_cmp_eq_f64_e32 vcc, 0, v[240:241]
	v_cmp_eq_f64_e64 s[0:1], 0, v[242:243]
	s_and_b64 s[0:1], vcc, s[0:1]
	v_cmp_eq_u32_e32 vcc, 0, v143
	s_and_b64 s[0:1], s[0:1], vcc
	v_cndmask_b32_e64 v143, v143, 28, s[0:1]
	v_cmp_eq_f64_e32 vcc, 0, v[244:245]
	v_cmp_eq_f64_e64 s[0:1], 0, v[246:247]
	s_and_b64 s[0:1], vcc, s[0:1]
	v_cmp_eq_u32_e32 vcc, 0, v143
	s_and_b64 s[0:1], s[0:1], vcc
	v_cndmask_b32_e64 v143, v143, 29, s[0:1]
	v_cmp_eq_f64_e32 vcc, 0, v[248:249]
	v_cmp_eq_f64_e64 s[0:1], 0, v[250:251]
	s_and_b64 s[0:1], vcc, s[0:1]
	v_cmp_eq_u32_e32 vcc, 0, v143
	s_and_b64 s[0:1], s[0:1], vcc
	v_cndmask_b32_e64 v143, v143, 30, s[0:1]
	v_cmp_eq_f64_e32 vcc, 0, v[252:253]
	v_cmp_eq_f64_e64 s[0:1], 0, v[254:255]
	s_and_b64 s[0:1], vcc, s[0:1]
	v_cmp_eq_u32_e32 vcc, 0, v143
	s_and_b64 s[0:1], s[0:1], vcc
	v_cndmask_b32_e64 v143, v143, 31, s[0:1]
	v_cmp_eq_f64_e32 vcc, 0, v[132:133]
	v_cmp_eq_f64_e64 s[0:1], 0, v[134:135]
	s_and_b64 s[0:1], vcc, s[0:1]
	v_cmp_eq_u32_e32 vcc, 0, v143
	s_and_b64 s[0:1], s[0:1], vcc
	v_cndmask_b32_e64 v132, v143, 32, s[0:1]
	v_cmp_eq_f64_e32 vcc, 0, v[136:137]
	v_cmp_eq_f64_e64 s[0:1], 0, v[138:139]
	s_and_b64 s[0:1], vcc, s[0:1]
	v_cmp_eq_u32_e32 vcc, 0, v132
	s_and_b64 s[0:1], s[0:1], vcc
	v_cndmask_b32_e64 v132, v132, 33, s[0:1]
	s_waitcnt vmcnt(0)
	v_cmp_eq_u32_e32 vcc, 0, v144
	v_cmp_ne_u32_e64 s[0:1], 0, v132
	s_and_b64 s[0:1], vcc, s[0:1]
	s_and_b64 exec, exec, s[0:1]
	s_cbranch_execz .LBB65_299
; %bb.298:
	v_add_u32_e32 v132, s9, v132
	global_store_dword v[140:141], v132, off
.LBB65_299:
	s_or_b64 exec, exec, s[2:3]
	global_store_dwordx4 v[150:151], v[124:127], off
	scratch_load_dwordx2 v[124:125], off, off offset:240 ; 8-byte Folded Reload
	s_waitcnt vmcnt(17)
	v_mul_f64 v[132:133], v[138:139], v[130:131]
	v_mul_f64 v[134:135], v[136:137], v[130:131]
	v_fma_f64 v[132:133], v[136:137], v[128:129], -v[132:133]
	v_fmac_f64_e32 v[134:135], v[138:139], v[128:129]
	v_cmp_lt_u32_e32 vcc, 32, v142
	s_waitcnt vmcnt(0)
	global_store_dwordx4 v[124:125], v[120:123], off
	global_store_dwordx4 v[154:155], v[116:119], off
	scratch_load_dwordx2 v[116:117], off, off ; 8-byte Folded Reload
	v_cndmask_b32_e32 v131, v131, v135, vcc
	v_cndmask_b32_e32 v130, v130, v134, vcc
	;; [unrolled: 1-line block ×4, first 2 shown]
	s_waitcnt vmcnt(0)
	global_store_dwordx4 v[116:117], v[112:115], off
	scratch_load_dwordx2 v[112:113], off, off offset:8 ; 8-byte Folded Reload
	s_waitcnt vmcnt(0)
	global_store_dwordx4 v[112:113], v[108:111], off
	scratch_load_dwordx2 v[108:109], off, off offset:16 ; 8-byte Folded Reload
	;; [unrolled: 3-line block ×29, first 2 shown]
	s_waitcnt vmcnt(0)
	global_store_dwordx4 v[0:1], v[128:131], off
.LBB65_300:
	s_endpgm
	.section	.rodata,"a",@progbits
	.p2align	6, 0x0
	.amdhsa_kernel _ZN9rocsolver6v33100L23getf2_npvt_small_kernelILi33E19rocblas_complex_numIdEiiPS3_EEvT1_T3_lS5_lPT2_S5_S5_
		.amdhsa_group_segment_fixed_size 0
		.amdhsa_private_segment_fixed_size 348
		.amdhsa_kernarg_size 312
		.amdhsa_user_sgpr_count 2
		.amdhsa_user_sgpr_dispatch_ptr 0
		.amdhsa_user_sgpr_queue_ptr 0
		.amdhsa_user_sgpr_kernarg_segment_ptr 1
		.amdhsa_user_sgpr_dispatch_id 0
		.amdhsa_user_sgpr_kernarg_preload_length 0
		.amdhsa_user_sgpr_kernarg_preload_offset 0
		.amdhsa_user_sgpr_private_segment_size 0
		.amdhsa_uses_dynamic_stack 0
		.amdhsa_enable_private_segment 1
		.amdhsa_system_sgpr_workgroup_id_x 1
		.amdhsa_system_sgpr_workgroup_id_y 1
		.amdhsa_system_sgpr_workgroup_id_z 0
		.amdhsa_system_sgpr_workgroup_info 0
		.amdhsa_system_vgpr_workitem_id 1
		.amdhsa_next_free_vgpr 256
		.amdhsa_next_free_sgpr 16
		.amdhsa_accum_offset 256
		.amdhsa_reserve_vcc 1
		.amdhsa_float_round_mode_32 0
		.amdhsa_float_round_mode_16_64 0
		.amdhsa_float_denorm_mode_32 3
		.amdhsa_float_denorm_mode_16_64 3
		.amdhsa_dx10_clamp 1
		.amdhsa_ieee_mode 1
		.amdhsa_fp16_overflow 0
		.amdhsa_tg_split 0
		.amdhsa_exception_fp_ieee_invalid_op 0
		.amdhsa_exception_fp_denorm_src 0
		.amdhsa_exception_fp_ieee_div_zero 0
		.amdhsa_exception_fp_ieee_overflow 0
		.amdhsa_exception_fp_ieee_underflow 0
		.amdhsa_exception_fp_ieee_inexact 0
		.amdhsa_exception_int_div_zero 0
	.end_amdhsa_kernel
	.section	.text._ZN9rocsolver6v33100L23getf2_npvt_small_kernelILi33E19rocblas_complex_numIdEiiPS3_EEvT1_T3_lS5_lPT2_S5_S5_,"axG",@progbits,_ZN9rocsolver6v33100L23getf2_npvt_small_kernelILi33E19rocblas_complex_numIdEiiPS3_EEvT1_T3_lS5_lPT2_S5_S5_,comdat
.Lfunc_end65:
	.size	_ZN9rocsolver6v33100L23getf2_npvt_small_kernelILi33E19rocblas_complex_numIdEiiPS3_EEvT1_T3_lS5_lPT2_S5_S5_, .Lfunc_end65-_ZN9rocsolver6v33100L23getf2_npvt_small_kernelILi33E19rocblas_complex_numIdEiiPS3_EEvT1_T3_lS5_lPT2_S5_S5_
                                        ; -- End function
	.set _ZN9rocsolver6v33100L23getf2_npvt_small_kernelILi33E19rocblas_complex_numIdEiiPS3_EEvT1_T3_lS5_lPT2_S5_S5_.num_vgpr, 256
	.set _ZN9rocsolver6v33100L23getf2_npvt_small_kernelILi33E19rocblas_complex_numIdEiiPS3_EEvT1_T3_lS5_lPT2_S5_S5_.num_agpr, 0
	.set _ZN9rocsolver6v33100L23getf2_npvt_small_kernelILi33E19rocblas_complex_numIdEiiPS3_EEvT1_T3_lS5_lPT2_S5_S5_.numbered_sgpr, 16
	.set _ZN9rocsolver6v33100L23getf2_npvt_small_kernelILi33E19rocblas_complex_numIdEiiPS3_EEvT1_T3_lS5_lPT2_S5_S5_.num_named_barrier, 0
	.set _ZN9rocsolver6v33100L23getf2_npvt_small_kernelILi33E19rocblas_complex_numIdEiiPS3_EEvT1_T3_lS5_lPT2_S5_S5_.private_seg_size, 348
	.set _ZN9rocsolver6v33100L23getf2_npvt_small_kernelILi33E19rocblas_complex_numIdEiiPS3_EEvT1_T3_lS5_lPT2_S5_S5_.uses_vcc, 1
	.set _ZN9rocsolver6v33100L23getf2_npvt_small_kernelILi33E19rocblas_complex_numIdEiiPS3_EEvT1_T3_lS5_lPT2_S5_S5_.uses_flat_scratch, 0
	.set _ZN9rocsolver6v33100L23getf2_npvt_small_kernelILi33E19rocblas_complex_numIdEiiPS3_EEvT1_T3_lS5_lPT2_S5_S5_.has_dyn_sized_stack, 0
	.set _ZN9rocsolver6v33100L23getf2_npvt_small_kernelILi33E19rocblas_complex_numIdEiiPS3_EEvT1_T3_lS5_lPT2_S5_S5_.has_recursion, 0
	.set _ZN9rocsolver6v33100L23getf2_npvt_small_kernelILi33E19rocblas_complex_numIdEiiPS3_EEvT1_T3_lS5_lPT2_S5_S5_.has_indirect_call, 0
	.section	.AMDGPU.csdata,"",@progbits
; Kernel info:
; codeLenInByte = 57832
; TotalNumSgprs: 22
; NumVgprs: 256
; NumAgprs: 0
; TotalNumVgprs: 256
; ScratchSize: 348
; MemoryBound: 1
; FloatMode: 240
; IeeeMode: 1
; LDSByteSize: 0 bytes/workgroup (compile time only)
; SGPRBlocks: 2
; VGPRBlocks: 31
; NumSGPRsForWavesPerEU: 22
; NumVGPRsForWavesPerEU: 256
; AccumOffset: 256
; Occupancy: 2
; WaveLimiterHint : 0
; COMPUTE_PGM_RSRC2:SCRATCH_EN: 1
; COMPUTE_PGM_RSRC2:USER_SGPR: 2
; COMPUTE_PGM_RSRC2:TRAP_HANDLER: 0
; COMPUTE_PGM_RSRC2:TGID_X_EN: 1
; COMPUTE_PGM_RSRC2:TGID_Y_EN: 1
; COMPUTE_PGM_RSRC2:TGID_Z_EN: 0
; COMPUTE_PGM_RSRC2:TIDIG_COMP_CNT: 1
; COMPUTE_PGM_RSRC3_GFX90A:ACCUM_OFFSET: 63
; COMPUTE_PGM_RSRC3_GFX90A:TG_SPLIT: 0
	.section	.text._ZN9rocsolver6v33100L18getf2_small_kernelILi34E19rocblas_complex_numIdEiiPS3_EEvT1_T3_lS5_lPS5_llPT2_S5_S5_S7_l,"axG",@progbits,_ZN9rocsolver6v33100L18getf2_small_kernelILi34E19rocblas_complex_numIdEiiPS3_EEvT1_T3_lS5_lPS5_llPT2_S5_S5_S7_l,comdat
	.globl	_ZN9rocsolver6v33100L18getf2_small_kernelILi34E19rocblas_complex_numIdEiiPS3_EEvT1_T3_lS5_lPS5_llPT2_S5_S5_S7_l ; -- Begin function _ZN9rocsolver6v33100L18getf2_small_kernelILi34E19rocblas_complex_numIdEiiPS3_EEvT1_T3_lS5_lPS5_llPT2_S5_S5_S7_l
	.p2align	8
	.type	_ZN9rocsolver6v33100L18getf2_small_kernelILi34E19rocblas_complex_numIdEiiPS3_EEvT1_T3_lS5_lPS5_llPT2_S5_S5_S7_l,@function
_ZN9rocsolver6v33100L18getf2_small_kernelILi34E19rocblas_complex_numIdEiiPS3_EEvT1_T3_lS5_lPS5_llPT2_S5_S5_S7_l: ; @_ZN9rocsolver6v33100L18getf2_small_kernelILi34E19rocblas_complex_numIdEiiPS3_EEvT1_T3_lS5_lPS5_llPT2_S5_S5_S7_l
; %bb.0:
	s_load_dword s2, s[0:1], 0x6c
	s_load_dwordx2 s[12:13], s[0:1], 0x48
	v_bfe_u32 v136, v0, 10, 10
	s_waitcnt lgkmcnt(0)
	s_lshr_b32 s2, s2, 16
	s_mul_i32 s3, s3, s2
	v_add_u32_e32 v142, s3, v136
	v_cmp_gt_i32_e32 vcc, s12, v142
	s_and_saveexec_b64 s[2:3], vcc
	s_cbranch_execz .LBB66_715
; %bb.1:
	s_load_dwordx4 s[4:7], s[0:1], 0x50
	v_ashrrev_i32_e32 v143, 31, v142
	v_mov_b64_e32 v[144:145], 0
	s_waitcnt lgkmcnt(0)
	s_cmp_eq_u64 s[4:5], 0
	s_cselect_b64 s[14:15], -1, 0
	s_and_b64 vcc, exec, s[14:15]
	s_cbranch_vccnz .LBB66_3
; %bb.2:
	v_mul_lo_u32 v1, s7, v142
	v_mul_lo_u32 v4, s6, v143
	v_mad_u64_u32 v[2:3], s[2:3], s6, v142, 0
	v_add3_u32 v3, v3, v4, v1
	v_lshl_add_u64 v[144:145], v[2:3], 2, s[4:5]
.LBB66_3:
	s_load_dwordx4 s[16:19], s[0:1], 0x8
	s_load_dwordx8 s[4:11], s[0:1], 0x20
	s_load_dword s2, s[0:1], 0x18
	s_load_dword s20, s[0:1], 0x0
	v_and_b32_e32 v151, 0x3ff, v0
	s_waitcnt lgkmcnt(0)
	v_mov_b32_e32 v2, s16
	v_mul_lo_u32 v1, s5, v142
	v_mul_lo_u32 v6, s4, v143
	v_mad_u64_u32 v[4:5], s[4:5], s4, v142, 0
	v_mov_b32_e32 v3, s17
	v_add3_u32 v5, v5, v6, v1
	v_lshl_add_u64 v[2:3], v[4:5], 4, v[2:3]
	s_add_i32 s12, s2, s2
	v_lshl_add_u64 v[140:141], s[18:19], 4, v[2:3]
	v_add_u32_e32 v2, s12, v151
	v_add_u32_e32 v4, s2, v2
	;; [unrolled: 1-line block ×3, first 2 shown]
	v_lshlrev_b32_e32 v146, 4, v151
	v_mov_b32_e32 v147, 0
	v_add_u32_e32 v8, s2, v6
	v_lshl_add_u64 v[0:1], v[140:141], 0, v[146:147]
	s_ashr_i32 s3, s2, 31
	v_ashrrev_i32_e32 v9, 31, v8
	v_add_u32_e32 v12, s2, v8
	v_lshl_add_u64 v[10:11], s[2:3], 4, v[0:1]
	global_load_dwordx4 v[92:95], v[0:1], off
	global_load_dwordx4 v[88:91], v[10:11], off
	v_lshl_add_u64 v[0:1], v[8:9], 4, v[140:141]
	v_ashrrev_i32_e32 v13, 31, v12
	v_add_u32_e32 v8, s2, v12
	v_lshl_add_u64 v[10:11], v[12:13], 4, v[140:141]
	v_add_u32_e32 v12, s2, v8
	v_add_u32_e32 v14, s2, v12
	;; [unrolled: 1-line block ×15, first 2 shown]
	v_ashrrev_i32_e32 v41, 31, v40
	v_lshl_add_u64 v[42:43], v[40:41], 4, v[140:141]
	v_add_u32_e32 v40, s2, v40
	v_ashrrev_i32_e32 v41, 31, v40
	v_lshl_add_u64 v[132:133], v[40:41], 4, v[140:141]
	v_add_u32_e32 v40, s2, v40
	;; [unrolled: 3-line block ×10, first 2 shown]
	v_ashrrev_i32_e32 v41, 31, v40
	v_ashrrev_i32_e32 v3, 31, v2
	;; [unrolled: 1-line block ×19, first 2 shown]
	v_lshl_add_u64 v[162:163], v[40:41], 4, v[140:141]
	v_add_u32_e32 v40, s2, v40
	v_lshl_add_u64 v[2:3], v[2:3], 4, v[140:141]
	v_lshl_add_u64 v[4:5], v[4:5], 4, v[140:141]
	;; [unrolled: 1-line block ×18, first 2 shown]
	v_ashrrev_i32_e32 v41, 31, v40
	v_lshl_add_u64 v[164:165], v[40:41], 4, v[140:141]
	global_load_dwordx4 v[128:131], v[2:3], off
	global_load_dwordx4 v[124:127], v[4:5], off
	;; [unrolled: 1-line block ×11, first 2 shown]
                                        ; kill: killed $vgpr6_vgpr7
                                        ; kill: killed $vgpr0_vgpr1
                                        ; kill: killed $vgpr10_vgpr11
                                        ; kill: killed $vgpr8_vgpr9
                                        ; kill: killed $vgpr12_vgpr13
                                        ; kill: killed $vgpr14_vgpr15
                                        ; kill: killed $vgpr16_vgpr17
                                        ; kill: killed $vgpr18_vgpr19
                                        ; kill: killed $vgpr2_vgpr3
                                        ; kill: killed $vgpr20_vgpr21
                                        ; kill: killed $vgpr4_vgpr5
	global_load_dwordx4 v[80:83], v[22:23], off
	global_load_dwordx4 v[72:75], v[24:25], off
	;; [unrolled: 1-line block ×6, first 2 shown]
                                        ; kill: killed $vgpr22_vgpr23
                                        ; kill: killed $vgpr24_vgpr25
                                        ; kill: killed $vgpr26_vgpr27
                                        ; kill: killed $vgpr28_vgpr29
                                        ; kill: killed $vgpr30_vgpr31
                                        ; kill: killed $vgpr32_vgpr33
	global_load_dwordx4 v[52:55], v[34:35], off
	global_load_dwordx4 v[48:51], v[36:37], off
	;; [unrolled: 1-line block ×3, first 2 shown]
                                        ; kill: killed $vgpr34_vgpr35
                                        ; kill: killed $vgpr36_vgpr37
                                        ; kill: killed $vgpr38_vgpr39
	s_nop 0
	global_load_dwordx4 v[40:43], v[42:43], off
	s_nop 0
	global_load_dwordx4 v[36:39], v[132:133], off
	global_load_dwordx4 v[32:35], v[134:135], off
	;; [unrolled: 1-line block ×11, first 2 shown]
	s_load_dwordx2 s[4:5], s[0:1], 0x40
	s_max_i32 s0, s20, 34
	v_mul_lo_u32 v149, s0, v136
	v_lshl_add_u32 v148, v149, 4, 0
	v_add_u32_e32 v136, v148, v146
	s_waitcnt vmcnt(33)
	ds_write2_b64 v136, v[92:93], v[94:95] offset1:1
	s_waitcnt lgkmcnt(0)
	s_barrier
	ds_read2_b64 v[136:139], v148 offset1:1
	s_cmp_lt_i32 s20, 2
	v_lshlrev_b32_e32 v152, 4, v149
	s_cbranch_scc1 .LBB66_6
; %bb.4:
	v_add3_u32 v146, v152, 0, 16
	s_mov_b32 s16, 1
	v_mov_b32_e32 v147, 0
.LBB66_5:                               ; =>This Inner Loop Header: Depth=1
	ds_read2_b64 v[154:157], v146 offset1:1
	s_waitcnt lgkmcnt(1)
	v_xor_b32_e32 v149, 0x80000000, v137
	v_xor_b32_e32 v150, 0x80000000, v139
	v_cmp_gt_f64_e32 vcc, 0, v[138:139]
	v_cmp_gt_f64_e64 s[0:1], 0, v[136:137]
	v_mov_b32_e32 v158, v136
	v_mov_b32_e32 v160, v138
	v_cndmask_b32_e64 v159, v137, v149, s[0:1]
	v_cndmask_b32_e32 v161, v139, v150, vcc
	s_waitcnt lgkmcnt(0)
	v_xor_b32_e32 v149, 0x80000000, v155
	v_xor_b32_e32 v150, 0x80000000, v157
	v_cmp_gt_f64_e32 vcc, 0, v[156:157]
	v_cmp_gt_f64_e64 s[0:1], 0, v[154:155]
	v_add_f64 v[158:159], v[158:159], v[160:161]
	v_mov_b32_e32 v160, v154
	v_mov_b32_e32 v162, v156
	v_cndmask_b32_e64 v161, v155, v149, s[0:1]
	v_cndmask_b32_e32 v163, v157, v150, vcc
	v_add_f64 v[160:161], v[160:161], v[162:163]
	v_mov_b32_e32 v153, s16
	s_add_i32 s16, s16, 1
	v_cmp_lt_f64_e32 vcc, v[158:159], v[160:161]
	v_add_u32_e32 v146, 16, v146
	s_cmp_eq_u32 s20, s16
	v_cndmask_b32_e32 v137, v137, v155, vcc
	v_cndmask_b32_e32 v136, v136, v154, vcc
	;; [unrolled: 1-line block ×5, first 2 shown]
	s_cbranch_scc0 .LBB66_5
.LBB66_6:
	s_waitcnt lgkmcnt(0)
	v_cmp_neq_f64_e32 vcc, 0, v[136:137]
	v_cmp_neq_f64_e64 s[0:1], 0, v[138:139]
	s_or_b64 s[16:17], vcc, s[0:1]
	v_mov_b32_e32 v150, 1
	v_mov_b32_e32 v153, 1
	s_and_saveexec_b64 s[0:1], s[16:17]
	s_cbranch_execz .LBB66_12
; %bb.7:
	v_cmp_ngt_f64_e64 s[16:17], |v[136:137]|, |v[138:139]|
	s_and_saveexec_b64 s[18:19], s[16:17]
	s_xor_b64 s[16:17], exec, s[18:19]
	s_cbranch_execz .LBB66_9
; %bb.8:
	v_div_scale_f64 v[154:155], s[18:19], v[138:139], v[138:139], v[136:137]
	v_rcp_f64_e32 v[156:157], v[154:155]
	v_div_scale_f64 v[158:159], vcc, v[136:137], v[138:139], v[136:137]
	v_fma_f64 v[160:161], -v[154:155], v[156:157], 1.0
	v_fmac_f64_e32 v[156:157], v[156:157], v[160:161]
	v_fma_f64 v[160:161], -v[154:155], v[156:157], 1.0
	v_fmac_f64_e32 v[156:157], v[156:157], v[160:161]
	v_mul_f64 v[160:161], v[158:159], v[156:157]
	v_fma_f64 v[154:155], -v[154:155], v[160:161], v[158:159]
	v_div_fmas_f64 v[154:155], v[154:155], v[156:157], v[160:161]
	v_div_fixup_f64 v[154:155], v[154:155], v[138:139], v[136:137]
	v_fmac_f64_e32 v[138:139], v[136:137], v[154:155]
	v_div_scale_f64 v[136:137], s[18:19], v[138:139], v[138:139], 1.0
	v_rcp_f64_e32 v[156:157], v[136:137]
	s_nop 0
	v_fma_f64 v[158:159], -v[136:137], v[156:157], 1.0
	v_fmac_f64_e32 v[156:157], v[156:157], v[158:159]
	v_fma_f64 v[158:159], -v[136:137], v[156:157], 1.0
	v_fmac_f64_e32 v[156:157], v[156:157], v[158:159]
	v_div_scale_f64 v[158:159], vcc, 1.0, v[138:139], 1.0
	v_mul_f64 v[160:161], v[158:159], v[156:157]
	v_fma_f64 v[136:137], -v[136:137], v[160:161], v[158:159]
	s_nop 1
	v_div_fmas_f64 v[136:137], v[136:137], v[156:157], v[160:161]
	v_div_fixup_f64 v[138:139], v[136:137], v[138:139], 1.0
	v_mul_f64 v[136:137], v[154:155], v[138:139]
	v_xor_b32_e32 v139, 0x80000000, v139
.LBB66_9:
	s_andn2_saveexec_b64 s[16:17], s[16:17]
	s_cbranch_execz .LBB66_11
; %bb.10:
	v_div_scale_f64 v[154:155], s[18:19], v[136:137], v[136:137], v[138:139]
	v_rcp_f64_e32 v[156:157], v[154:155]
	v_div_scale_f64 v[158:159], vcc, v[138:139], v[136:137], v[138:139]
	v_fma_f64 v[160:161], -v[154:155], v[156:157], 1.0
	v_fmac_f64_e32 v[156:157], v[156:157], v[160:161]
	v_fma_f64 v[160:161], -v[154:155], v[156:157], 1.0
	v_fmac_f64_e32 v[156:157], v[156:157], v[160:161]
	v_mul_f64 v[160:161], v[158:159], v[156:157]
	v_fma_f64 v[154:155], -v[154:155], v[160:161], v[158:159]
	v_div_fmas_f64 v[154:155], v[154:155], v[156:157], v[160:161]
	v_div_fixup_f64 v[154:155], v[154:155], v[136:137], v[138:139]
	v_fmac_f64_e32 v[136:137], v[138:139], v[154:155]
	v_div_scale_f64 v[138:139], s[18:19], v[136:137], v[136:137], 1.0
	v_rcp_f64_e32 v[156:157], v[138:139]
	s_nop 0
	v_fma_f64 v[158:159], -v[138:139], v[156:157], 1.0
	v_fmac_f64_e32 v[156:157], v[156:157], v[158:159]
	v_fma_f64 v[158:159], -v[138:139], v[156:157], 1.0
	v_fmac_f64_e32 v[156:157], v[156:157], v[158:159]
	v_div_scale_f64 v[158:159], vcc, 1.0, v[136:137], 1.0
	v_mul_f64 v[160:161], v[158:159], v[156:157]
	v_fma_f64 v[138:139], -v[138:139], v[160:161], v[158:159]
	s_nop 1
	v_div_fmas_f64 v[138:139], v[138:139], v[156:157], v[160:161]
	v_div_fixup_f64 v[136:137], v[138:139], v[136:137], 1.0
	v_mul_f64 v[138:139], v[154:155], -v[136:137]
.LBB66_11:
	s_or_b64 exec, exec, s[16:17]
	v_mov_b32_e32 v153, 0
	v_mov_b32_e32 v150, 2
.LBB66_12:
	s_or_b64 exec, exec, s[0:1]
	v_cmp_ne_u32_e32 vcc, v151, v147
	s_and_saveexec_b64 s[0:1], vcc
	s_xor_b64 s[0:1], exec, s[0:1]
	s_cbranch_execz .LBB66_18
; %bb.13:
	v_cmp_eq_u32_e32 vcc, 0, v151
	s_and_saveexec_b64 s[16:17], vcc
	s_cbranch_execz .LBB66_17
; %bb.14:
	v_cmp_ne_u32_e32 vcc, 0, v147
	s_xor_b64 s[18:19], s[14:15], -1
	s_and_b64 s[22:23], s[18:19], vcc
	s_and_saveexec_b64 s[18:19], s[22:23]
	s_cbranch_execz .LBB66_16
; %bb.15:
	v_ashrrev_i32_e32 v155, 31, v147
	v_mov_b32_e32 v154, v147
	v_lshl_add_u64 v[154:155], v[154:155], 2, v[144:145]
	global_load_dword v146, v[154:155], off
	global_load_dword v149, v[144:145], off
	s_waitcnt vmcnt(1)
	global_store_dword v[144:145], v146, off
	s_waitcnt vmcnt(1)
	global_store_dword v[154:155], v149, off
.LBB66_16:
	s_or_b64 exec, exec, s[18:19]
	v_mov_b32_e32 v151, v147
.LBB66_17:
	s_or_b64 exec, exec, s[16:17]
.LBB66_18:
	s_or_saveexec_b64 s[0:1], s[0:1]
	v_mov_b32_e32 v149, v151
	s_xor_b64 exec, exec, s[0:1]
	s_cbranch_execz .LBB66_20
; %bb.19:
	v_mov_b32_e32 v149, 0
	s_waitcnt vmcnt(32)
	ds_write2_b64 v148, v[88:89], v[90:91] offset0:2 offset1:3
	s_waitcnt vmcnt(31)
	ds_write2_b64 v148, v[128:129], v[130:131] offset0:4 offset1:5
	s_waitcnt vmcnt(30)
	ds_write2_b64 v148, v[124:125], v[126:127] offset0:6 offset1:7
	s_waitcnt vmcnt(29)
	ds_write2_b64 v148, v[120:121], v[122:123] offset0:8 offset1:9
	s_waitcnt vmcnt(28)
	ds_write2_b64 v148, v[116:117], v[118:119] offset0:10 offset1:11
	s_waitcnt vmcnt(27)
	ds_write2_b64 v148, v[112:113], v[114:115] offset0:12 offset1:13
	s_waitcnt vmcnt(26)
	ds_write2_b64 v148, v[108:109], v[110:111] offset0:14 offset1:15
	s_waitcnt vmcnt(25)
	ds_write2_b64 v148, v[104:105], v[106:107] offset0:16 offset1:17
	s_waitcnt vmcnt(24)
	ds_write2_b64 v148, v[100:101], v[102:103] offset0:18 offset1:19
	s_waitcnt vmcnt(23)
	ds_write2_b64 v148, v[96:97], v[98:99] offset0:20 offset1:21
	s_waitcnt vmcnt(22)
	ds_write2_b64 v148, v[84:85], v[86:87] offset0:22 offset1:23
	s_waitcnt vmcnt(21)
	ds_write2_b64 v148, v[76:77], v[78:79] offset0:24 offset1:25
	s_waitcnt vmcnt(20)
	ds_write2_b64 v148, v[80:81], v[82:83] offset0:26 offset1:27
	s_waitcnt vmcnt(19)
	ds_write2_b64 v148, v[72:73], v[74:75] offset0:28 offset1:29
	s_waitcnt vmcnt(18)
	ds_write2_b64 v148, v[68:69], v[70:71] offset0:30 offset1:31
	s_waitcnt vmcnt(17)
	ds_write2_b64 v148, v[64:65], v[66:67] offset0:32 offset1:33
	s_waitcnt vmcnt(16)
	ds_write2_b64 v148, v[60:61], v[62:63] offset0:34 offset1:35
	s_waitcnt vmcnt(15)
	ds_write2_b64 v148, v[56:57], v[58:59] offset0:36 offset1:37
	s_waitcnt vmcnt(14)
	ds_write2_b64 v148, v[52:53], v[54:55] offset0:38 offset1:39
	s_waitcnt vmcnt(13)
	ds_write2_b64 v148, v[48:49], v[50:51] offset0:40 offset1:41
	s_waitcnt vmcnt(12)
	ds_write2_b64 v148, v[44:45], v[46:47] offset0:42 offset1:43
	s_waitcnt vmcnt(11)
	ds_write2_b64 v148, v[40:41], v[42:43] offset0:44 offset1:45
	s_waitcnt vmcnt(10)
	ds_write2_b64 v148, v[36:37], v[38:39] offset0:46 offset1:47
	s_waitcnt vmcnt(9)
	ds_write2_b64 v148, v[32:33], v[34:35] offset0:48 offset1:49
	s_waitcnt vmcnt(8)
	ds_write2_b64 v148, v[28:29], v[30:31] offset0:50 offset1:51
	s_waitcnt vmcnt(7)
	ds_write2_b64 v148, v[24:25], v[26:27] offset0:52 offset1:53
	s_waitcnt vmcnt(6)
	ds_write2_b64 v148, v[20:21], v[22:23] offset0:54 offset1:55
	s_waitcnt vmcnt(5)
	ds_write2_b64 v148, v[16:17], v[18:19] offset0:56 offset1:57
	s_waitcnt vmcnt(4)
	ds_write2_b64 v148, v[12:13], v[14:15] offset0:58 offset1:59
	s_waitcnt vmcnt(3)
	ds_write2_b64 v148, v[8:9], v[10:11] offset0:60 offset1:61
	s_waitcnt vmcnt(2)
	ds_write2_b64 v148, v[4:5], v[6:7] offset0:62 offset1:63
	s_waitcnt vmcnt(1)
	ds_write2_b64 v148, v[0:1], v[2:3] offset0:64 offset1:65
	s_waitcnt vmcnt(0)
	ds_write2_b64 v148, v[132:133], v[134:135] offset0:66 offset1:67
.LBB66_20:
	s_or_b64 exec, exec, s[0:1]
	v_cmp_lt_i32_e32 vcc, 0, v149
	s_waitcnt lgkmcnt(0)
	s_barrier
	s_and_saveexec_b64 s[0:1], vcc
	s_cbranch_execz .LBB66_22
; %bb.21:
	ds_read2_b64 v[154:157], v148 offset0:2 offset1:3
	v_mul_f64 v[146:147], v[138:139], v[94:95]
	v_mul_f64 v[94:95], v[136:137], v[94:95]
	v_fmac_f64_e32 v[94:95], v[138:139], v[92:93]
	v_fma_f64 v[146:147], v[136:137], v[92:93], -v[146:147]
	ds_read2_b64 v[136:139], v148 offset0:4 offset1:5
	s_waitcnt lgkmcnt(1)
	v_mul_f64 v[92:93], v[156:157], v[94:95]
	v_fma_f64 v[92:93], v[154:155], v[146:147], -v[92:93]
	v_mul_f64 v[154:155], v[154:155], v[94:95]
	v_fmac_f64_e32 v[154:155], v[156:157], v[146:147]
	s_waitcnt vmcnt(32)
	v_add_f64 v[90:91], v[90:91], -v[154:155]
	ds_read2_b64 v[154:157], v148 offset0:6 offset1:7
	v_add_f64 v[88:89], v[88:89], -v[92:93]
	s_waitcnt lgkmcnt(1)
	v_mul_f64 v[92:93], v[138:139], v[94:95]
	v_fma_f64 v[92:93], v[136:137], v[146:147], -v[92:93]
	v_mul_f64 v[136:137], v[136:137], v[94:95]
	v_fmac_f64_e32 v[136:137], v[138:139], v[146:147]
	s_waitcnt vmcnt(31)
	v_add_f64 v[128:129], v[128:129], -v[92:93]
	v_add_f64 v[130:131], v[130:131], -v[136:137]
	ds_read2_b64 v[136:139], v148 offset0:8 offset1:9
	s_waitcnt lgkmcnt(1)
	v_mul_f64 v[92:93], v[156:157], v[94:95]
	v_fma_f64 v[92:93], v[154:155], v[146:147], -v[92:93]
	v_mul_f64 v[154:155], v[154:155], v[94:95]
	v_fmac_f64_e32 v[154:155], v[156:157], v[146:147]
	s_waitcnt vmcnt(30)
	v_add_f64 v[126:127], v[126:127], -v[154:155]
	ds_read2_b64 v[154:157], v148 offset0:10 offset1:11
	v_add_f64 v[124:125], v[124:125], -v[92:93]
	s_waitcnt lgkmcnt(1)
	v_mul_f64 v[92:93], v[138:139], v[94:95]
	v_fma_f64 v[92:93], v[136:137], v[146:147], -v[92:93]
	v_mul_f64 v[136:137], v[136:137], v[94:95]
	v_fmac_f64_e32 v[136:137], v[138:139], v[146:147]
	s_waitcnt vmcnt(29)
	v_add_f64 v[120:121], v[120:121], -v[92:93]
	v_add_f64 v[122:123], v[122:123], -v[136:137]
	;; [unrolled: 18-line block ×16, first 2 shown]
	s_waitcnt lgkmcnt(0)
	v_mul_f64 v[92:93], v[156:157], v[94:95]
	v_mul_f64 v[136:137], v[154:155], v[94:95]
	v_fma_f64 v[92:93], v[154:155], v[146:147], -v[92:93]
	v_fmac_f64_e32 v[136:137], v[156:157], v[146:147]
	s_waitcnt vmcnt(0)
	v_add_f64 v[132:133], v[132:133], -v[92:93]
	v_add_f64 v[134:135], v[134:135], -v[136:137]
	v_mov_b64_e32 v[92:93], v[146:147]
.LBB66_22:
	s_or_b64 exec, exec, s[0:1]
	v_lshl_add_u32 v136, v149, 4, v148
	s_barrier
	s_waitcnt vmcnt(32)
	ds_write2_b64 v136, v[88:89], v[90:91] offset1:1
	s_waitcnt lgkmcnt(0)
	s_barrier
	ds_read2_b64 v[136:139], v148 offset0:2 offset1:3
	s_cmp_lt_i32 s20, 3
	v_mov_b32_e32 v146, 1
	s_cbranch_scc1 .LBB66_25
; %bb.23:
	v_add3_u32 v147, v152, 0, 32
	s_mov_b32 s16, 2
	v_mov_b32_e32 v146, 1
.LBB66_24:                              ; =>This Inner Loop Header: Depth=1
	ds_read2_b64 v[154:157], v147 offset1:1
	s_waitcnt lgkmcnt(1)
	v_xor_b32_e32 v159, 0x80000000, v137
	v_xor_b32_e32 v161, 0x80000000, v139
	v_cmp_gt_f64_e32 vcc, 0, v[138:139]
	v_cmp_gt_f64_e64 s[0:1], 0, v[136:137]
	v_mov_b32_e32 v158, v136
	v_mov_b32_e32 v160, v138
	v_cndmask_b32_e64 v159, v137, v159, s[0:1]
	v_cndmask_b32_e32 v161, v139, v161, vcc
	v_add_f64 v[158:159], v[158:159], v[160:161]
	s_waitcnt lgkmcnt(0)
	v_xor_b32_e32 v161, 0x80000000, v155
	v_xor_b32_e32 v163, 0x80000000, v157
	v_cmp_gt_f64_e32 vcc, 0, v[156:157]
	v_cmp_gt_f64_e64 s[0:1], 0, v[154:155]
	v_mov_b32_e32 v160, v154
	v_mov_b32_e32 v162, v156
	v_cndmask_b32_e64 v161, v155, v161, s[0:1]
	v_cndmask_b32_e32 v163, v157, v163, vcc
	v_add_f64 v[160:161], v[160:161], v[162:163]
	v_mov_b32_e32 v164, s16
	s_add_i32 s16, s16, 1
	v_cmp_lt_f64_e32 vcc, v[158:159], v[160:161]
	v_add_u32_e32 v147, 16, v147
	s_cmp_lg_u32 s20, s16
	v_cndmask_b32_e32 v137, v137, v155, vcc
	v_cndmask_b32_e32 v136, v136, v154, vcc
	;; [unrolled: 1-line block ×5, first 2 shown]
	s_cbranch_scc1 .LBB66_24
.LBB66_25:
	s_waitcnt lgkmcnt(0)
	v_cmp_neq_f64_e32 vcc, 0, v[136:137]
	v_cmp_neq_f64_e64 s[0:1], 0, v[138:139]
	s_or_b64 s[16:17], vcc, s[0:1]
	s_and_saveexec_b64 s[0:1], s[16:17]
	s_cbranch_execz .LBB66_31
; %bb.26:
	v_cmp_ngt_f64_e64 s[16:17], |v[136:137]|, |v[138:139]|
	s_and_saveexec_b64 s[18:19], s[16:17]
	s_xor_b64 s[16:17], exec, s[18:19]
	s_cbranch_execz .LBB66_28
; %bb.27:
	v_div_scale_f64 v[154:155], s[18:19], v[138:139], v[138:139], v[136:137]
	v_rcp_f64_e32 v[156:157], v[154:155]
	v_div_scale_f64 v[158:159], vcc, v[136:137], v[138:139], v[136:137]
	v_fma_f64 v[160:161], -v[154:155], v[156:157], 1.0
	v_fmac_f64_e32 v[156:157], v[156:157], v[160:161]
	v_fma_f64 v[160:161], -v[154:155], v[156:157], 1.0
	v_fmac_f64_e32 v[156:157], v[156:157], v[160:161]
	v_mul_f64 v[160:161], v[158:159], v[156:157]
	v_fma_f64 v[154:155], -v[154:155], v[160:161], v[158:159]
	v_div_fmas_f64 v[154:155], v[154:155], v[156:157], v[160:161]
	v_div_fixup_f64 v[154:155], v[154:155], v[138:139], v[136:137]
	v_fmac_f64_e32 v[138:139], v[136:137], v[154:155]
	v_div_scale_f64 v[136:137], s[18:19], v[138:139], v[138:139], 1.0
	v_rcp_f64_e32 v[156:157], v[136:137]
	s_nop 0
	v_fma_f64 v[158:159], -v[136:137], v[156:157], 1.0
	v_fmac_f64_e32 v[156:157], v[156:157], v[158:159]
	v_fma_f64 v[158:159], -v[136:137], v[156:157], 1.0
	v_fmac_f64_e32 v[156:157], v[156:157], v[158:159]
	v_div_scale_f64 v[158:159], vcc, 1.0, v[138:139], 1.0
	v_mul_f64 v[160:161], v[158:159], v[156:157]
	v_fma_f64 v[136:137], -v[136:137], v[160:161], v[158:159]
	s_nop 1
	v_div_fmas_f64 v[136:137], v[136:137], v[156:157], v[160:161]
	v_div_fixup_f64 v[138:139], v[136:137], v[138:139], 1.0
	v_mul_f64 v[136:137], v[154:155], v[138:139]
	v_xor_b32_e32 v139, 0x80000000, v139
.LBB66_28:
	s_andn2_saveexec_b64 s[16:17], s[16:17]
	s_cbranch_execz .LBB66_30
; %bb.29:
	v_div_scale_f64 v[154:155], s[18:19], v[136:137], v[136:137], v[138:139]
	v_rcp_f64_e32 v[156:157], v[154:155]
	v_div_scale_f64 v[158:159], vcc, v[138:139], v[136:137], v[138:139]
	v_fma_f64 v[160:161], -v[154:155], v[156:157], 1.0
	v_fmac_f64_e32 v[156:157], v[156:157], v[160:161]
	v_fma_f64 v[160:161], -v[154:155], v[156:157], 1.0
	v_fmac_f64_e32 v[156:157], v[156:157], v[160:161]
	v_mul_f64 v[160:161], v[158:159], v[156:157]
	v_fma_f64 v[154:155], -v[154:155], v[160:161], v[158:159]
	v_div_fmas_f64 v[154:155], v[154:155], v[156:157], v[160:161]
	v_div_fixup_f64 v[154:155], v[154:155], v[136:137], v[138:139]
	v_fmac_f64_e32 v[136:137], v[138:139], v[154:155]
	v_div_scale_f64 v[138:139], s[18:19], v[136:137], v[136:137], 1.0
	v_rcp_f64_e32 v[156:157], v[138:139]
	s_nop 0
	v_fma_f64 v[158:159], -v[138:139], v[156:157], 1.0
	v_fmac_f64_e32 v[156:157], v[156:157], v[158:159]
	v_fma_f64 v[158:159], -v[138:139], v[156:157], 1.0
	v_fmac_f64_e32 v[156:157], v[156:157], v[158:159]
	v_div_scale_f64 v[158:159], vcc, 1.0, v[136:137], 1.0
	v_mul_f64 v[160:161], v[158:159], v[156:157]
	v_fma_f64 v[138:139], -v[138:139], v[160:161], v[158:159]
	s_nop 1
	v_div_fmas_f64 v[138:139], v[138:139], v[156:157], v[160:161]
	v_div_fixup_f64 v[136:137], v[138:139], v[136:137], 1.0
	v_mul_f64 v[138:139], v[154:155], -v[136:137]
.LBB66_30:
	s_or_b64 exec, exec, s[16:17]
	v_mov_b32_e32 v150, v153
.LBB66_31:
	s_or_b64 exec, exec, s[0:1]
	v_cmp_ne_u32_e32 vcc, v149, v146
	s_and_saveexec_b64 s[0:1], vcc
	s_xor_b64 s[0:1], exec, s[0:1]
	s_cbranch_execz .LBB66_37
; %bb.32:
	v_cmp_eq_u32_e32 vcc, 1, v149
	s_and_saveexec_b64 s[16:17], vcc
	s_cbranch_execz .LBB66_36
; %bb.33:
	v_cmp_ne_u32_e32 vcc, 1, v146
	s_xor_b64 s[18:19], s[14:15], -1
	s_and_b64 s[22:23], s[18:19], vcc
	s_and_saveexec_b64 s[18:19], s[22:23]
	s_cbranch_execz .LBB66_35
; %bb.34:
	v_ashrrev_i32_e32 v147, 31, v146
	v_lshl_add_u64 v[154:155], v[146:147], 2, v[144:145]
	global_load_dword v147, v[154:155], off
	global_load_dword v149, v[144:145], off offset:4
	s_waitcnt vmcnt(1)
	global_store_dword v[144:145], v147, off offset:4
	s_waitcnt vmcnt(1)
	global_store_dword v[154:155], v149, off
.LBB66_35:
	s_or_b64 exec, exec, s[18:19]
	v_mov_b32_e32 v149, v146
	v_mov_b32_e32 v151, v146
.LBB66_36:
	s_or_b64 exec, exec, s[16:17]
.LBB66_37:
	s_andn2_saveexec_b64 s[0:1], s[0:1]
	s_cbranch_execz .LBB66_39
; %bb.38:
	v_mov_b32_e32 v149, 1
	s_waitcnt vmcnt(31)
	ds_write2_b64 v148, v[128:129], v[130:131] offset0:4 offset1:5
	s_waitcnt vmcnt(30)
	ds_write2_b64 v148, v[124:125], v[126:127] offset0:6 offset1:7
	;; [unrolled: 2-line block ×32, first 2 shown]
.LBB66_39:
	s_or_b64 exec, exec, s[0:1]
	v_cmp_lt_i32_e32 vcc, 1, v149
	s_waitcnt lgkmcnt(0)
	s_barrier
	s_and_saveexec_b64 s[0:1], vcc
	s_cbranch_execz .LBB66_41
; %bb.40:
	ds_read2_b64 v[154:157], v148 offset0:4 offset1:5
	v_mul_f64 v[146:147], v[138:139], v[90:91]
	v_mul_f64 v[90:91], v[136:137], v[90:91]
	v_fma_f64 v[146:147], v[136:137], v[88:89], -v[146:147]
	v_fmac_f64_e32 v[90:91], v[138:139], v[88:89]
	ds_read2_b64 v[136:139], v148 offset0:6 offset1:7
	s_waitcnt lgkmcnt(1)
	v_mul_f64 v[88:89], v[156:157], v[90:91]
	v_fma_f64 v[88:89], v[154:155], v[146:147], -v[88:89]
	v_mul_f64 v[154:155], v[154:155], v[90:91]
	v_fmac_f64_e32 v[154:155], v[156:157], v[146:147]
	s_waitcnt vmcnt(31)
	v_add_f64 v[128:129], v[128:129], -v[88:89]
	s_waitcnt lgkmcnt(0)
	v_mul_f64 v[88:89], v[138:139], v[90:91]
	v_add_f64 v[130:131], v[130:131], -v[154:155]
	v_fma_f64 v[88:89], v[136:137], v[146:147], -v[88:89]
	v_mul_f64 v[136:137], v[136:137], v[90:91]
	ds_read2_b64 v[154:157], v148 offset0:8 offset1:9
	v_fmac_f64_e32 v[136:137], v[138:139], v[146:147]
	s_waitcnt vmcnt(30)
	v_add_f64 v[126:127], v[126:127], -v[136:137]
	ds_read2_b64 v[136:139], v148 offset0:10 offset1:11
	v_add_f64 v[124:125], v[124:125], -v[88:89]
	s_waitcnt lgkmcnt(1)
	v_mul_f64 v[88:89], v[156:157], v[90:91]
	v_fma_f64 v[88:89], v[154:155], v[146:147], -v[88:89]
	v_mul_f64 v[154:155], v[154:155], v[90:91]
	v_fmac_f64_e32 v[154:155], v[156:157], v[146:147]
	s_waitcnt vmcnt(29)
	v_add_f64 v[120:121], v[120:121], -v[88:89]
	s_waitcnt lgkmcnt(0)
	v_mul_f64 v[88:89], v[138:139], v[90:91]
	v_add_f64 v[122:123], v[122:123], -v[154:155]
	v_fma_f64 v[88:89], v[136:137], v[146:147], -v[88:89]
	v_mul_f64 v[136:137], v[136:137], v[90:91]
	ds_read2_b64 v[154:157], v148 offset0:12 offset1:13
	v_fmac_f64_e32 v[136:137], v[138:139], v[146:147]
	s_waitcnt vmcnt(28)
	v_add_f64 v[118:119], v[118:119], -v[136:137]
	ds_read2_b64 v[136:139], v148 offset0:14 offset1:15
	v_add_f64 v[116:117], v[116:117], -v[88:89]
	;; [unrolled: 18-line block ×15, first 2 shown]
	s_waitcnt lgkmcnt(1)
	v_mul_f64 v[88:89], v[156:157], v[90:91]
	v_fma_f64 v[88:89], v[154:155], v[146:147], -v[88:89]
	s_waitcnt vmcnt(1)
	v_add_f64 v[0:1], v[0:1], -v[88:89]
	s_waitcnt lgkmcnt(0)
	v_mul_f64 v[88:89], v[138:139], v[90:91]
	v_mul_f64 v[154:155], v[154:155], v[90:91]
	v_fma_f64 v[88:89], v[136:137], v[146:147], -v[88:89]
	v_mul_f64 v[136:137], v[136:137], v[90:91]
	v_fmac_f64_e32 v[154:155], v[156:157], v[146:147]
	v_fmac_f64_e32 v[136:137], v[138:139], v[146:147]
	v_add_f64 v[2:3], v[2:3], -v[154:155]
	s_waitcnt vmcnt(0)
	v_add_f64 v[132:133], v[132:133], -v[88:89]
	v_add_f64 v[134:135], v[134:135], -v[136:137]
	v_mov_b64_e32 v[88:89], v[146:147]
.LBB66_41:
	s_or_b64 exec, exec, s[0:1]
	v_lshl_add_u32 v136, v149, 4, v148
	s_barrier
	s_waitcnt vmcnt(31)
	ds_write2_b64 v136, v[128:129], v[130:131] offset1:1
	s_waitcnt lgkmcnt(0)
	s_barrier
	ds_read2_b64 v[136:139], v148 offset0:4 offset1:5
	s_cmp_lt_i32 s20, 4
	v_mov_b32_e32 v146, 2
	s_cbranch_scc1 .LBB66_44
; %bb.42:
	v_add3_u32 v147, v152, 0, 48
	s_mov_b32 s16, 3
	v_mov_b32_e32 v146, 2
.LBB66_43:                              ; =>This Inner Loop Header: Depth=1
	ds_read2_b64 v[154:157], v147 offset1:1
	s_waitcnt lgkmcnt(1)
	v_xor_b32_e32 v153, 0x80000000, v137
	v_xor_b32_e32 v161, 0x80000000, v139
	v_cmp_gt_f64_e32 vcc, 0, v[138:139]
	v_cmp_gt_f64_e64 s[0:1], 0, v[136:137]
	v_mov_b32_e32 v158, v136
	v_mov_b32_e32 v160, v138
	v_cndmask_b32_e64 v159, v137, v153, s[0:1]
	v_cndmask_b32_e32 v161, v139, v161, vcc
	s_waitcnt lgkmcnt(0)
	v_xor_b32_e32 v153, 0x80000000, v155
	v_xor_b32_e32 v163, 0x80000000, v157
	v_cmp_gt_f64_e32 vcc, 0, v[156:157]
	v_cmp_gt_f64_e64 s[0:1], 0, v[154:155]
	v_add_f64 v[158:159], v[158:159], v[160:161]
	v_mov_b32_e32 v160, v154
	v_mov_b32_e32 v162, v156
	v_cndmask_b32_e64 v161, v155, v153, s[0:1]
	v_cndmask_b32_e32 v163, v157, v163, vcc
	v_add_f64 v[160:161], v[160:161], v[162:163]
	v_mov_b32_e32 v164, s16
	s_add_i32 s16, s16, 1
	v_cmp_lt_f64_e32 vcc, v[158:159], v[160:161]
	v_add_u32_e32 v147, 16, v147
	s_cmp_lg_u32 s20, s16
	v_cndmask_b32_e32 v137, v137, v155, vcc
	v_cndmask_b32_e32 v136, v136, v154, vcc
	v_cndmask_b32_e32 v139, v139, v157, vcc
	v_cndmask_b32_e32 v138, v138, v156, vcc
	v_cndmask_b32_e32 v146, v146, v164, vcc
	s_cbranch_scc1 .LBB66_43
.LBB66_44:
	s_waitcnt lgkmcnt(0)
	v_cmp_eq_f64_e32 vcc, 0, v[136:137]
	v_cmp_eq_f64_e64 s[0:1], 0, v[138:139]
	s_and_b64 s[0:1], vcc, s[0:1]
	s_and_saveexec_b64 s[16:17], s[0:1]
	s_xor_b64 s[0:1], exec, s[16:17]
; %bb.45:
	v_cmp_ne_u32_e32 vcc, 0, v150
	s_nop 1
	v_cndmask_b32_e32 v150, 3, v150, vcc
; %bb.46:
	s_andn2_saveexec_b64 s[0:1], s[0:1]
	s_cbranch_execz .LBB66_52
; %bb.47:
	v_cmp_ngt_f64_e64 s[16:17], |v[136:137]|, |v[138:139]|
	s_and_saveexec_b64 s[18:19], s[16:17]
	s_xor_b64 s[16:17], exec, s[18:19]
	s_cbranch_execz .LBB66_49
; %bb.48:
	v_div_scale_f64 v[154:155], s[18:19], v[138:139], v[138:139], v[136:137]
	v_rcp_f64_e32 v[156:157], v[154:155]
	v_div_scale_f64 v[158:159], vcc, v[136:137], v[138:139], v[136:137]
	v_fma_f64 v[160:161], -v[154:155], v[156:157], 1.0
	v_fmac_f64_e32 v[156:157], v[156:157], v[160:161]
	v_fma_f64 v[160:161], -v[154:155], v[156:157], 1.0
	v_fmac_f64_e32 v[156:157], v[156:157], v[160:161]
	v_mul_f64 v[160:161], v[158:159], v[156:157]
	v_fma_f64 v[154:155], -v[154:155], v[160:161], v[158:159]
	v_div_fmas_f64 v[154:155], v[154:155], v[156:157], v[160:161]
	v_div_fixup_f64 v[154:155], v[154:155], v[138:139], v[136:137]
	v_fmac_f64_e32 v[138:139], v[136:137], v[154:155]
	v_div_scale_f64 v[136:137], s[18:19], v[138:139], v[138:139], 1.0
	v_rcp_f64_e32 v[156:157], v[136:137]
	s_nop 0
	v_fma_f64 v[158:159], -v[136:137], v[156:157], 1.0
	v_fmac_f64_e32 v[156:157], v[156:157], v[158:159]
	v_fma_f64 v[158:159], -v[136:137], v[156:157], 1.0
	v_fmac_f64_e32 v[156:157], v[156:157], v[158:159]
	v_div_scale_f64 v[158:159], vcc, 1.0, v[138:139], 1.0
	v_mul_f64 v[160:161], v[158:159], v[156:157]
	v_fma_f64 v[136:137], -v[136:137], v[160:161], v[158:159]
	s_nop 1
	v_div_fmas_f64 v[136:137], v[136:137], v[156:157], v[160:161]
	v_div_fixup_f64 v[138:139], v[136:137], v[138:139], 1.0
	v_mul_f64 v[136:137], v[154:155], v[138:139]
	v_xor_b32_e32 v139, 0x80000000, v139
.LBB66_49:
	s_andn2_saveexec_b64 s[16:17], s[16:17]
	s_cbranch_execz .LBB66_51
; %bb.50:
	v_div_scale_f64 v[154:155], s[18:19], v[136:137], v[136:137], v[138:139]
	v_rcp_f64_e32 v[156:157], v[154:155]
	v_div_scale_f64 v[158:159], vcc, v[138:139], v[136:137], v[138:139]
	v_fma_f64 v[160:161], -v[154:155], v[156:157], 1.0
	v_fmac_f64_e32 v[156:157], v[156:157], v[160:161]
	v_fma_f64 v[160:161], -v[154:155], v[156:157], 1.0
	v_fmac_f64_e32 v[156:157], v[156:157], v[160:161]
	v_mul_f64 v[160:161], v[158:159], v[156:157]
	v_fma_f64 v[154:155], -v[154:155], v[160:161], v[158:159]
	v_div_fmas_f64 v[154:155], v[154:155], v[156:157], v[160:161]
	v_div_fixup_f64 v[154:155], v[154:155], v[136:137], v[138:139]
	v_fmac_f64_e32 v[136:137], v[138:139], v[154:155]
	v_div_scale_f64 v[138:139], s[18:19], v[136:137], v[136:137], 1.0
	v_rcp_f64_e32 v[156:157], v[138:139]
	s_nop 0
	v_fma_f64 v[158:159], -v[138:139], v[156:157], 1.0
	v_fmac_f64_e32 v[156:157], v[156:157], v[158:159]
	v_fma_f64 v[158:159], -v[138:139], v[156:157], 1.0
	v_fmac_f64_e32 v[156:157], v[156:157], v[158:159]
	v_div_scale_f64 v[158:159], vcc, 1.0, v[136:137], 1.0
	v_mul_f64 v[160:161], v[158:159], v[156:157]
	v_fma_f64 v[138:139], -v[138:139], v[160:161], v[158:159]
	s_nop 1
	v_div_fmas_f64 v[138:139], v[138:139], v[156:157], v[160:161]
	v_div_fixup_f64 v[136:137], v[138:139], v[136:137], 1.0
	v_mul_f64 v[138:139], v[154:155], -v[136:137]
.LBB66_51:
	s_or_b64 exec, exec, s[16:17]
.LBB66_52:
	s_or_b64 exec, exec, s[0:1]
	v_cmp_ne_u32_e32 vcc, v149, v146
	s_and_saveexec_b64 s[0:1], vcc
	s_xor_b64 s[0:1], exec, s[0:1]
	s_cbranch_execz .LBB66_58
; %bb.53:
	v_cmp_eq_u32_e32 vcc, 2, v149
	s_and_saveexec_b64 s[16:17], vcc
	s_cbranch_execz .LBB66_57
; %bb.54:
	v_cmp_ne_u32_e32 vcc, 2, v146
	s_xor_b64 s[18:19], s[14:15], -1
	s_and_b64 s[22:23], s[18:19], vcc
	s_and_saveexec_b64 s[18:19], s[22:23]
	s_cbranch_execz .LBB66_56
; %bb.55:
	v_ashrrev_i32_e32 v147, 31, v146
	v_lshl_add_u64 v[154:155], v[146:147], 2, v[144:145]
	global_load_dword v147, v[154:155], off
	global_load_dword v149, v[144:145], off offset:8
	s_waitcnt vmcnt(1)
	global_store_dword v[144:145], v147, off offset:8
	s_waitcnt vmcnt(1)
	global_store_dword v[154:155], v149, off
.LBB66_56:
	s_or_b64 exec, exec, s[18:19]
	v_mov_b32_e32 v149, v146
	v_mov_b32_e32 v151, v146
.LBB66_57:
	s_or_b64 exec, exec, s[16:17]
.LBB66_58:
	s_andn2_saveexec_b64 s[0:1], s[0:1]
	s_cbranch_execz .LBB66_60
; %bb.59:
	v_mov_b32_e32 v149, 2
	s_waitcnt vmcnt(30)
	ds_write2_b64 v148, v[124:125], v[126:127] offset0:6 offset1:7
	s_waitcnt vmcnt(29)
	ds_write2_b64 v148, v[120:121], v[122:123] offset0:8 offset1:9
	;; [unrolled: 2-line block ×31, first 2 shown]
.LBB66_60:
	s_or_b64 exec, exec, s[0:1]
	v_cmp_lt_i32_e32 vcc, 2, v149
	s_waitcnt lgkmcnt(0)
	s_barrier
	s_and_saveexec_b64 s[0:1], vcc
	s_cbranch_execz .LBB66_62
; %bb.61:
	ds_read2_b64 v[154:157], v148 offset0:6 offset1:7
	v_mul_f64 v[146:147], v[138:139], v[130:131]
	v_mul_f64 v[130:131], v[136:137], v[130:131]
	v_fmac_f64_e32 v[130:131], v[138:139], v[128:129]
	v_fma_f64 v[146:147], v[136:137], v[128:129], -v[146:147]
	ds_read2_b64 v[136:139], v148 offset0:8 offset1:9
	s_waitcnt lgkmcnt(1)
	v_mul_f64 v[128:129], v[156:157], v[130:131]
	v_fma_f64 v[128:129], v[154:155], v[146:147], -v[128:129]
	v_mul_f64 v[154:155], v[154:155], v[130:131]
	v_fmac_f64_e32 v[154:155], v[156:157], v[146:147]
	s_waitcnt vmcnt(30)
	v_add_f64 v[126:127], v[126:127], -v[154:155]
	ds_read2_b64 v[154:157], v148 offset0:10 offset1:11
	v_add_f64 v[124:125], v[124:125], -v[128:129]
	s_waitcnt lgkmcnt(1)
	v_mul_f64 v[128:129], v[138:139], v[130:131]
	v_fma_f64 v[128:129], v[136:137], v[146:147], -v[128:129]
	v_mul_f64 v[136:137], v[136:137], v[130:131]
	v_fmac_f64_e32 v[136:137], v[138:139], v[146:147]
	s_waitcnt vmcnt(29)
	v_add_f64 v[120:121], v[120:121], -v[128:129]
	v_add_f64 v[122:123], v[122:123], -v[136:137]
	ds_read2_b64 v[136:139], v148 offset0:12 offset1:13
	s_waitcnt lgkmcnt(1)
	v_mul_f64 v[128:129], v[156:157], v[130:131]
	v_fma_f64 v[128:129], v[154:155], v[146:147], -v[128:129]
	v_mul_f64 v[154:155], v[154:155], v[130:131]
	v_fmac_f64_e32 v[154:155], v[156:157], v[146:147]
	s_waitcnt vmcnt(28)
	v_add_f64 v[118:119], v[118:119], -v[154:155]
	ds_read2_b64 v[154:157], v148 offset0:14 offset1:15
	v_add_f64 v[116:117], v[116:117], -v[128:129]
	s_waitcnt lgkmcnt(1)
	v_mul_f64 v[128:129], v[138:139], v[130:131]
	v_fma_f64 v[128:129], v[136:137], v[146:147], -v[128:129]
	v_mul_f64 v[136:137], v[136:137], v[130:131]
	v_fmac_f64_e32 v[136:137], v[138:139], v[146:147]
	s_waitcnt vmcnt(27)
	v_add_f64 v[112:113], v[112:113], -v[128:129]
	v_add_f64 v[114:115], v[114:115], -v[136:137]
	;; [unrolled: 18-line block ×15, first 2 shown]
	s_waitcnt lgkmcnt(0)
	v_mul_f64 v[128:129], v[156:157], v[130:131]
	v_mul_f64 v[136:137], v[154:155], v[130:131]
	v_fma_f64 v[128:129], v[154:155], v[146:147], -v[128:129]
	v_fmac_f64_e32 v[136:137], v[156:157], v[146:147]
	s_waitcnt vmcnt(0)
	v_add_f64 v[132:133], v[132:133], -v[128:129]
	v_add_f64 v[134:135], v[134:135], -v[136:137]
	v_mov_b64_e32 v[128:129], v[146:147]
.LBB66_62:
	s_or_b64 exec, exec, s[0:1]
	v_lshl_add_u32 v136, v149, 4, v148
	s_barrier
	s_waitcnt vmcnt(30)
	ds_write2_b64 v136, v[124:125], v[126:127] offset1:1
	s_waitcnt lgkmcnt(0)
	s_barrier
	ds_read2_b64 v[136:139], v148 offset0:6 offset1:7
	s_mov_b32 s16, 4
	s_cmp_lt_i32 s20, 5
	v_mov_b32_e32 v146, 3
	s_cbranch_scc1 .LBB66_65
; %bb.63:
	v_add3_u32 v147, v152, 0, 64
	v_mov_b32_e32 v146, 3
.LBB66_64:                              ; =>This Inner Loop Header: Depth=1
	ds_read2_b64 v[152:155], v147 offset1:1
	s_waitcnt lgkmcnt(1)
	v_xor_b32_e32 v157, 0x80000000, v137
	v_xor_b32_e32 v159, 0x80000000, v139
	v_cmp_gt_f64_e32 vcc, 0, v[138:139]
	v_cmp_gt_f64_e64 s[0:1], 0, v[136:137]
	v_mov_b32_e32 v156, v136
	v_mov_b32_e32 v158, v138
	v_cndmask_b32_e64 v157, v137, v157, s[0:1]
	v_cndmask_b32_e32 v159, v139, v159, vcc
	v_add_f64 v[156:157], v[156:157], v[158:159]
	s_waitcnt lgkmcnt(0)
	v_xor_b32_e32 v159, 0x80000000, v153
	v_xor_b32_e32 v161, 0x80000000, v155
	v_cmp_gt_f64_e32 vcc, 0, v[154:155]
	v_cmp_gt_f64_e64 s[0:1], 0, v[152:153]
	v_mov_b32_e32 v158, v152
	v_mov_b32_e32 v160, v154
	v_cndmask_b32_e64 v159, v153, v159, s[0:1]
	v_cndmask_b32_e32 v161, v155, v161, vcc
	v_add_f64 v[158:159], v[158:159], v[160:161]
	v_mov_b32_e32 v162, s16
	s_add_i32 s16, s16, 1
	v_cmp_lt_f64_e32 vcc, v[156:157], v[158:159]
	v_add_u32_e32 v147, 16, v147
	s_cmp_lg_u32 s20, s16
	v_cndmask_b32_e32 v137, v137, v153, vcc
	v_cndmask_b32_e32 v136, v136, v152, vcc
	;; [unrolled: 1-line block ×5, first 2 shown]
	s_cbranch_scc1 .LBB66_64
.LBB66_65:
	s_waitcnt lgkmcnt(0)
	v_cmp_eq_f64_e32 vcc, 0, v[136:137]
	v_cmp_eq_f64_e64 s[0:1], 0, v[138:139]
	s_and_b64 s[0:1], vcc, s[0:1]
	s_and_saveexec_b64 s[16:17], s[0:1]
	s_xor_b64 s[0:1], exec, s[16:17]
; %bb.66:
	v_cmp_ne_u32_e32 vcc, 0, v150
	s_nop 1
	v_cndmask_b32_e32 v150, 4, v150, vcc
; %bb.67:
	s_andn2_saveexec_b64 s[0:1], s[0:1]
	s_cbranch_execz .LBB66_73
; %bb.68:
	v_cmp_ngt_f64_e64 s[16:17], |v[136:137]|, |v[138:139]|
	s_and_saveexec_b64 s[18:19], s[16:17]
	s_xor_b64 s[16:17], exec, s[18:19]
	s_cbranch_execz .LBB66_70
; %bb.69:
	v_div_scale_f64 v[152:153], s[18:19], v[138:139], v[138:139], v[136:137]
	v_rcp_f64_e32 v[154:155], v[152:153]
	v_div_scale_f64 v[156:157], vcc, v[136:137], v[138:139], v[136:137]
	v_fma_f64 v[158:159], -v[152:153], v[154:155], 1.0
	v_fmac_f64_e32 v[154:155], v[154:155], v[158:159]
	v_fma_f64 v[158:159], -v[152:153], v[154:155], 1.0
	v_fmac_f64_e32 v[154:155], v[154:155], v[158:159]
	v_mul_f64 v[158:159], v[156:157], v[154:155]
	v_fma_f64 v[152:153], -v[152:153], v[158:159], v[156:157]
	v_div_fmas_f64 v[152:153], v[152:153], v[154:155], v[158:159]
	v_div_fixup_f64 v[152:153], v[152:153], v[138:139], v[136:137]
	v_fmac_f64_e32 v[138:139], v[136:137], v[152:153]
	v_div_scale_f64 v[136:137], s[18:19], v[138:139], v[138:139], 1.0
	v_rcp_f64_e32 v[154:155], v[136:137]
	s_nop 0
	v_fma_f64 v[156:157], -v[136:137], v[154:155], 1.0
	v_fmac_f64_e32 v[154:155], v[154:155], v[156:157]
	v_fma_f64 v[156:157], -v[136:137], v[154:155], 1.0
	v_fmac_f64_e32 v[154:155], v[154:155], v[156:157]
	v_div_scale_f64 v[156:157], vcc, 1.0, v[138:139], 1.0
	v_mul_f64 v[158:159], v[156:157], v[154:155]
	v_fma_f64 v[136:137], -v[136:137], v[158:159], v[156:157]
	s_nop 1
	v_div_fmas_f64 v[136:137], v[136:137], v[154:155], v[158:159]
	v_div_fixup_f64 v[138:139], v[136:137], v[138:139], 1.0
	v_mul_f64 v[136:137], v[152:153], v[138:139]
	v_xor_b32_e32 v139, 0x80000000, v139
.LBB66_70:
	s_andn2_saveexec_b64 s[16:17], s[16:17]
	s_cbranch_execz .LBB66_72
; %bb.71:
	v_div_scale_f64 v[152:153], s[18:19], v[136:137], v[136:137], v[138:139]
	v_rcp_f64_e32 v[154:155], v[152:153]
	v_div_scale_f64 v[156:157], vcc, v[138:139], v[136:137], v[138:139]
	v_fma_f64 v[158:159], -v[152:153], v[154:155], 1.0
	v_fmac_f64_e32 v[154:155], v[154:155], v[158:159]
	v_fma_f64 v[158:159], -v[152:153], v[154:155], 1.0
	v_fmac_f64_e32 v[154:155], v[154:155], v[158:159]
	v_mul_f64 v[158:159], v[156:157], v[154:155]
	v_fma_f64 v[152:153], -v[152:153], v[158:159], v[156:157]
	v_div_fmas_f64 v[152:153], v[152:153], v[154:155], v[158:159]
	v_div_fixup_f64 v[152:153], v[152:153], v[136:137], v[138:139]
	v_fmac_f64_e32 v[136:137], v[138:139], v[152:153]
	v_div_scale_f64 v[138:139], s[18:19], v[136:137], v[136:137], 1.0
	v_rcp_f64_e32 v[154:155], v[138:139]
	s_nop 0
	v_fma_f64 v[156:157], -v[138:139], v[154:155], 1.0
	v_fmac_f64_e32 v[154:155], v[154:155], v[156:157]
	v_fma_f64 v[156:157], -v[138:139], v[154:155], 1.0
	v_fmac_f64_e32 v[154:155], v[154:155], v[156:157]
	v_div_scale_f64 v[156:157], vcc, 1.0, v[136:137], 1.0
	v_mul_f64 v[158:159], v[156:157], v[154:155]
	v_fma_f64 v[138:139], -v[138:139], v[158:159], v[156:157]
	s_nop 1
	v_div_fmas_f64 v[138:139], v[138:139], v[154:155], v[158:159]
	v_div_fixup_f64 v[136:137], v[138:139], v[136:137], 1.0
	v_mul_f64 v[138:139], v[152:153], -v[136:137]
.LBB66_72:
	s_or_b64 exec, exec, s[16:17]
.LBB66_73:
	s_or_b64 exec, exec, s[0:1]
	v_cmp_ne_u32_e32 vcc, v149, v146
	s_and_saveexec_b64 s[0:1], vcc
	s_xor_b64 s[0:1], exec, s[0:1]
	s_cbranch_execz .LBB66_79
; %bb.74:
	v_cmp_eq_u32_e32 vcc, 3, v149
	s_and_saveexec_b64 s[16:17], vcc
	s_cbranch_execz .LBB66_78
; %bb.75:
	v_cmp_ne_u32_e32 vcc, 3, v146
	s_xor_b64 s[18:19], s[14:15], -1
	s_and_b64 s[22:23], s[18:19], vcc
	s_and_saveexec_b64 s[18:19], s[22:23]
	s_cbranch_execz .LBB66_77
; %bb.76:
	v_ashrrev_i32_e32 v147, 31, v146
	v_lshl_add_u64 v[152:153], v[146:147], 2, v[144:145]
	global_load_dword v147, v[152:153], off
	global_load_dword v149, v[144:145], off offset:12
	s_waitcnt vmcnt(1)
	global_store_dword v[144:145], v147, off offset:12
	s_waitcnt vmcnt(1)
	global_store_dword v[152:153], v149, off
.LBB66_77:
	s_or_b64 exec, exec, s[18:19]
	v_mov_b32_e32 v149, v146
	v_mov_b32_e32 v151, v146
.LBB66_78:
	s_or_b64 exec, exec, s[16:17]
.LBB66_79:
	s_andn2_saveexec_b64 s[0:1], s[0:1]
	s_cbranch_execz .LBB66_81
; %bb.80:
	v_mov_b32_e32 v149, 3
	s_waitcnt vmcnt(29)
	ds_write2_b64 v148, v[120:121], v[122:123] offset0:8 offset1:9
	s_waitcnt vmcnt(28)
	ds_write2_b64 v148, v[116:117], v[118:119] offset0:10 offset1:11
	;; [unrolled: 2-line block ×30, first 2 shown]
.LBB66_81:
	s_or_b64 exec, exec, s[0:1]
	v_cmp_lt_i32_e32 vcc, 3, v149
	s_waitcnt lgkmcnt(0)
	s_barrier
	s_and_saveexec_b64 s[0:1], vcc
	s_cbranch_execz .LBB66_83
; %bb.82:
	ds_read2_b64 v[152:155], v148 offset0:8 offset1:9
	v_mul_f64 v[146:147], v[138:139], v[126:127]
	v_mul_f64 v[126:127], v[136:137], v[126:127]
	v_fma_f64 v[146:147], v[136:137], v[124:125], -v[146:147]
	v_fmac_f64_e32 v[126:127], v[138:139], v[124:125]
	ds_read2_b64 v[136:139], v148 offset0:10 offset1:11
	s_waitcnt lgkmcnt(1)
	v_mul_f64 v[124:125], v[154:155], v[126:127]
	v_fma_f64 v[124:125], v[152:153], v[146:147], -v[124:125]
	v_mul_f64 v[152:153], v[152:153], v[126:127]
	v_fmac_f64_e32 v[152:153], v[154:155], v[146:147]
	s_waitcnt vmcnt(29)
	v_add_f64 v[120:121], v[120:121], -v[124:125]
	s_waitcnt lgkmcnt(0)
	v_mul_f64 v[124:125], v[138:139], v[126:127]
	v_add_f64 v[122:123], v[122:123], -v[152:153]
	v_fma_f64 v[124:125], v[136:137], v[146:147], -v[124:125]
	v_mul_f64 v[136:137], v[136:137], v[126:127]
	ds_read2_b64 v[152:155], v148 offset0:12 offset1:13
	v_fmac_f64_e32 v[136:137], v[138:139], v[146:147]
	s_waitcnt vmcnt(28)
	v_add_f64 v[118:119], v[118:119], -v[136:137]
	ds_read2_b64 v[136:139], v148 offset0:14 offset1:15
	v_add_f64 v[116:117], v[116:117], -v[124:125]
	s_waitcnt lgkmcnt(1)
	v_mul_f64 v[124:125], v[154:155], v[126:127]
	v_fma_f64 v[124:125], v[152:153], v[146:147], -v[124:125]
	v_mul_f64 v[152:153], v[152:153], v[126:127]
	v_fmac_f64_e32 v[152:153], v[154:155], v[146:147]
	s_waitcnt vmcnt(27)
	v_add_f64 v[112:113], v[112:113], -v[124:125]
	s_waitcnt lgkmcnt(0)
	v_mul_f64 v[124:125], v[138:139], v[126:127]
	v_add_f64 v[114:115], v[114:115], -v[152:153]
	v_fma_f64 v[124:125], v[136:137], v[146:147], -v[124:125]
	v_mul_f64 v[136:137], v[136:137], v[126:127]
	ds_read2_b64 v[152:155], v148 offset0:16 offset1:17
	v_fmac_f64_e32 v[136:137], v[138:139], v[146:147]
	s_waitcnt vmcnt(26)
	v_add_f64 v[110:111], v[110:111], -v[136:137]
	ds_read2_b64 v[136:139], v148 offset0:18 offset1:19
	v_add_f64 v[108:109], v[108:109], -v[124:125]
	s_waitcnt lgkmcnt(1)
	v_mul_f64 v[124:125], v[154:155], v[126:127]
	v_fma_f64 v[124:125], v[152:153], v[146:147], -v[124:125]
	v_mul_f64 v[152:153], v[152:153], v[126:127]
	v_fmac_f64_e32 v[152:153], v[154:155], v[146:147]
	s_waitcnt vmcnt(25)
	v_add_f64 v[104:105], v[104:105], -v[124:125]
	s_waitcnt lgkmcnt(0)
	v_mul_f64 v[124:125], v[138:139], v[126:127]
	v_add_f64 v[106:107], v[106:107], -v[152:153]
	v_fma_f64 v[124:125], v[136:137], v[146:147], -v[124:125]
	v_mul_f64 v[136:137], v[136:137], v[126:127]
	ds_read2_b64 v[152:155], v148 offset0:20 offset1:21
	v_fmac_f64_e32 v[136:137], v[138:139], v[146:147]
	s_waitcnt vmcnt(24)
	v_add_f64 v[102:103], v[102:103], -v[136:137]
	ds_read2_b64 v[136:139], v148 offset0:22 offset1:23
	v_add_f64 v[100:101], v[100:101], -v[124:125]
	s_waitcnt lgkmcnt(1)
	v_mul_f64 v[124:125], v[154:155], v[126:127]
	v_fma_f64 v[124:125], v[152:153], v[146:147], -v[124:125]
	v_mul_f64 v[152:153], v[152:153], v[126:127]
	v_fmac_f64_e32 v[152:153], v[154:155], v[146:147]
	s_waitcnt vmcnt(23)
	v_add_f64 v[96:97], v[96:97], -v[124:125]
	s_waitcnt lgkmcnt(0)
	v_mul_f64 v[124:125], v[138:139], v[126:127]
	v_add_f64 v[98:99], v[98:99], -v[152:153]
	v_fma_f64 v[124:125], v[136:137], v[146:147], -v[124:125]
	v_mul_f64 v[136:137], v[136:137], v[126:127]
	ds_read2_b64 v[152:155], v148 offset0:24 offset1:25
	v_fmac_f64_e32 v[136:137], v[138:139], v[146:147]
	s_waitcnt vmcnt(22)
	v_add_f64 v[86:87], v[86:87], -v[136:137]
	ds_read2_b64 v[136:139], v148 offset0:26 offset1:27
	v_add_f64 v[84:85], v[84:85], -v[124:125]
	s_waitcnt lgkmcnt(1)
	v_mul_f64 v[124:125], v[154:155], v[126:127]
	v_fma_f64 v[124:125], v[152:153], v[146:147], -v[124:125]
	v_mul_f64 v[152:153], v[152:153], v[126:127]
	v_fmac_f64_e32 v[152:153], v[154:155], v[146:147]
	s_waitcnt vmcnt(21)
	v_add_f64 v[76:77], v[76:77], -v[124:125]
	s_waitcnt lgkmcnt(0)
	v_mul_f64 v[124:125], v[138:139], v[126:127]
	v_add_f64 v[78:79], v[78:79], -v[152:153]
	v_fma_f64 v[124:125], v[136:137], v[146:147], -v[124:125]
	v_mul_f64 v[136:137], v[136:137], v[126:127]
	ds_read2_b64 v[152:155], v148 offset0:28 offset1:29
	v_fmac_f64_e32 v[136:137], v[138:139], v[146:147]
	s_waitcnt vmcnt(20)
	v_add_f64 v[82:83], v[82:83], -v[136:137]
	ds_read2_b64 v[136:139], v148 offset0:30 offset1:31
	v_add_f64 v[80:81], v[80:81], -v[124:125]
	s_waitcnt lgkmcnt(1)
	v_mul_f64 v[124:125], v[154:155], v[126:127]
	v_fma_f64 v[124:125], v[152:153], v[146:147], -v[124:125]
	v_mul_f64 v[152:153], v[152:153], v[126:127]
	v_fmac_f64_e32 v[152:153], v[154:155], v[146:147]
	s_waitcnt vmcnt(19)
	v_add_f64 v[72:73], v[72:73], -v[124:125]
	s_waitcnt lgkmcnt(0)
	v_mul_f64 v[124:125], v[138:139], v[126:127]
	v_add_f64 v[74:75], v[74:75], -v[152:153]
	v_fma_f64 v[124:125], v[136:137], v[146:147], -v[124:125]
	v_mul_f64 v[136:137], v[136:137], v[126:127]
	ds_read2_b64 v[152:155], v148 offset0:32 offset1:33
	v_fmac_f64_e32 v[136:137], v[138:139], v[146:147]
	s_waitcnt vmcnt(18)
	v_add_f64 v[70:71], v[70:71], -v[136:137]
	ds_read2_b64 v[136:139], v148 offset0:34 offset1:35
	v_add_f64 v[68:69], v[68:69], -v[124:125]
	s_waitcnt lgkmcnt(1)
	v_mul_f64 v[124:125], v[154:155], v[126:127]
	v_fma_f64 v[124:125], v[152:153], v[146:147], -v[124:125]
	v_mul_f64 v[152:153], v[152:153], v[126:127]
	v_fmac_f64_e32 v[152:153], v[154:155], v[146:147]
	s_waitcnt vmcnt(17)
	v_add_f64 v[64:65], v[64:65], -v[124:125]
	s_waitcnt lgkmcnt(0)
	v_mul_f64 v[124:125], v[138:139], v[126:127]
	v_add_f64 v[66:67], v[66:67], -v[152:153]
	v_fma_f64 v[124:125], v[136:137], v[146:147], -v[124:125]
	v_mul_f64 v[136:137], v[136:137], v[126:127]
	ds_read2_b64 v[152:155], v148 offset0:36 offset1:37
	v_fmac_f64_e32 v[136:137], v[138:139], v[146:147]
	s_waitcnt vmcnt(16)
	v_add_f64 v[62:63], v[62:63], -v[136:137]
	ds_read2_b64 v[136:139], v148 offset0:38 offset1:39
	v_add_f64 v[60:61], v[60:61], -v[124:125]
	s_waitcnt lgkmcnt(1)
	v_mul_f64 v[124:125], v[154:155], v[126:127]
	v_fma_f64 v[124:125], v[152:153], v[146:147], -v[124:125]
	v_mul_f64 v[152:153], v[152:153], v[126:127]
	v_fmac_f64_e32 v[152:153], v[154:155], v[146:147]
	s_waitcnt vmcnt(15)
	v_add_f64 v[56:57], v[56:57], -v[124:125]
	s_waitcnt lgkmcnt(0)
	v_mul_f64 v[124:125], v[138:139], v[126:127]
	v_add_f64 v[58:59], v[58:59], -v[152:153]
	v_fma_f64 v[124:125], v[136:137], v[146:147], -v[124:125]
	v_mul_f64 v[136:137], v[136:137], v[126:127]
	ds_read2_b64 v[152:155], v148 offset0:40 offset1:41
	v_fmac_f64_e32 v[136:137], v[138:139], v[146:147]
	s_waitcnt vmcnt(14)
	v_add_f64 v[54:55], v[54:55], -v[136:137]
	ds_read2_b64 v[136:139], v148 offset0:42 offset1:43
	v_add_f64 v[52:53], v[52:53], -v[124:125]
	s_waitcnt lgkmcnt(1)
	v_mul_f64 v[124:125], v[154:155], v[126:127]
	v_fma_f64 v[124:125], v[152:153], v[146:147], -v[124:125]
	v_mul_f64 v[152:153], v[152:153], v[126:127]
	v_fmac_f64_e32 v[152:153], v[154:155], v[146:147]
	s_waitcnt vmcnt(13)
	v_add_f64 v[48:49], v[48:49], -v[124:125]
	s_waitcnt lgkmcnt(0)
	v_mul_f64 v[124:125], v[138:139], v[126:127]
	v_add_f64 v[50:51], v[50:51], -v[152:153]
	v_fma_f64 v[124:125], v[136:137], v[146:147], -v[124:125]
	v_mul_f64 v[136:137], v[136:137], v[126:127]
	ds_read2_b64 v[152:155], v148 offset0:44 offset1:45
	v_fmac_f64_e32 v[136:137], v[138:139], v[146:147]
	s_waitcnt vmcnt(12)
	v_add_f64 v[46:47], v[46:47], -v[136:137]
	ds_read2_b64 v[136:139], v148 offset0:46 offset1:47
	v_add_f64 v[44:45], v[44:45], -v[124:125]
	s_waitcnt lgkmcnt(1)
	v_mul_f64 v[124:125], v[154:155], v[126:127]
	v_fma_f64 v[124:125], v[152:153], v[146:147], -v[124:125]
	v_mul_f64 v[152:153], v[152:153], v[126:127]
	v_fmac_f64_e32 v[152:153], v[154:155], v[146:147]
	s_waitcnt vmcnt(11)
	v_add_f64 v[40:41], v[40:41], -v[124:125]
	s_waitcnt lgkmcnt(0)
	v_mul_f64 v[124:125], v[138:139], v[126:127]
	v_add_f64 v[42:43], v[42:43], -v[152:153]
	v_fma_f64 v[124:125], v[136:137], v[146:147], -v[124:125]
	v_mul_f64 v[136:137], v[136:137], v[126:127]
	ds_read2_b64 v[152:155], v148 offset0:48 offset1:49
	v_fmac_f64_e32 v[136:137], v[138:139], v[146:147]
	s_waitcnt vmcnt(10)
	v_add_f64 v[38:39], v[38:39], -v[136:137]
	ds_read2_b64 v[136:139], v148 offset0:50 offset1:51
	v_add_f64 v[36:37], v[36:37], -v[124:125]
	s_waitcnt lgkmcnt(1)
	v_mul_f64 v[124:125], v[154:155], v[126:127]
	v_fma_f64 v[124:125], v[152:153], v[146:147], -v[124:125]
	v_mul_f64 v[152:153], v[152:153], v[126:127]
	v_fmac_f64_e32 v[152:153], v[154:155], v[146:147]
	s_waitcnt vmcnt(9)
	v_add_f64 v[32:33], v[32:33], -v[124:125]
	s_waitcnt lgkmcnt(0)
	v_mul_f64 v[124:125], v[138:139], v[126:127]
	v_add_f64 v[34:35], v[34:35], -v[152:153]
	v_fma_f64 v[124:125], v[136:137], v[146:147], -v[124:125]
	v_mul_f64 v[136:137], v[136:137], v[126:127]
	ds_read2_b64 v[152:155], v148 offset0:52 offset1:53
	v_fmac_f64_e32 v[136:137], v[138:139], v[146:147]
	s_waitcnt vmcnt(8)
	v_add_f64 v[30:31], v[30:31], -v[136:137]
	ds_read2_b64 v[136:139], v148 offset0:54 offset1:55
	v_add_f64 v[28:29], v[28:29], -v[124:125]
	s_waitcnt lgkmcnt(1)
	v_mul_f64 v[124:125], v[154:155], v[126:127]
	v_fma_f64 v[124:125], v[152:153], v[146:147], -v[124:125]
	v_mul_f64 v[152:153], v[152:153], v[126:127]
	v_fmac_f64_e32 v[152:153], v[154:155], v[146:147]
	s_waitcnt vmcnt(7)
	v_add_f64 v[24:25], v[24:25], -v[124:125]
	s_waitcnt lgkmcnt(0)
	v_mul_f64 v[124:125], v[138:139], v[126:127]
	v_add_f64 v[26:27], v[26:27], -v[152:153]
	v_fma_f64 v[124:125], v[136:137], v[146:147], -v[124:125]
	v_mul_f64 v[136:137], v[136:137], v[126:127]
	ds_read2_b64 v[152:155], v148 offset0:56 offset1:57
	v_fmac_f64_e32 v[136:137], v[138:139], v[146:147]
	s_waitcnt vmcnt(6)
	v_add_f64 v[22:23], v[22:23], -v[136:137]
	ds_read2_b64 v[136:139], v148 offset0:58 offset1:59
	v_add_f64 v[20:21], v[20:21], -v[124:125]
	s_waitcnt lgkmcnt(1)
	v_mul_f64 v[124:125], v[154:155], v[126:127]
	v_fma_f64 v[124:125], v[152:153], v[146:147], -v[124:125]
	v_mul_f64 v[152:153], v[152:153], v[126:127]
	v_fmac_f64_e32 v[152:153], v[154:155], v[146:147]
	s_waitcnt vmcnt(5)
	v_add_f64 v[16:17], v[16:17], -v[124:125]
	s_waitcnt lgkmcnt(0)
	v_mul_f64 v[124:125], v[138:139], v[126:127]
	v_add_f64 v[18:19], v[18:19], -v[152:153]
	v_fma_f64 v[124:125], v[136:137], v[146:147], -v[124:125]
	v_mul_f64 v[136:137], v[136:137], v[126:127]
	ds_read2_b64 v[152:155], v148 offset0:60 offset1:61
	v_fmac_f64_e32 v[136:137], v[138:139], v[146:147]
	s_waitcnt vmcnt(4)
	v_add_f64 v[14:15], v[14:15], -v[136:137]
	ds_read2_b64 v[136:139], v148 offset0:62 offset1:63
	v_add_f64 v[12:13], v[12:13], -v[124:125]
	s_waitcnt lgkmcnt(1)
	v_mul_f64 v[124:125], v[154:155], v[126:127]
	v_fma_f64 v[124:125], v[152:153], v[146:147], -v[124:125]
	v_mul_f64 v[152:153], v[152:153], v[126:127]
	v_fmac_f64_e32 v[152:153], v[154:155], v[146:147]
	s_waitcnt vmcnt(3)
	v_add_f64 v[8:9], v[8:9], -v[124:125]
	s_waitcnt lgkmcnt(0)
	v_mul_f64 v[124:125], v[138:139], v[126:127]
	v_add_f64 v[10:11], v[10:11], -v[152:153]
	v_fma_f64 v[124:125], v[136:137], v[146:147], -v[124:125]
	v_mul_f64 v[136:137], v[136:137], v[126:127]
	ds_read2_b64 v[152:155], v148 offset0:64 offset1:65
	v_fmac_f64_e32 v[136:137], v[138:139], v[146:147]
	s_waitcnt vmcnt(2)
	v_add_f64 v[6:7], v[6:7], -v[136:137]
	ds_read2_b64 v[136:139], v148 offset0:66 offset1:67
	v_add_f64 v[4:5], v[4:5], -v[124:125]
	s_waitcnt lgkmcnt(1)
	v_mul_f64 v[124:125], v[154:155], v[126:127]
	v_fma_f64 v[124:125], v[152:153], v[146:147], -v[124:125]
	s_waitcnt vmcnt(1)
	v_add_f64 v[0:1], v[0:1], -v[124:125]
	s_waitcnt lgkmcnt(0)
	v_mul_f64 v[124:125], v[138:139], v[126:127]
	v_mul_f64 v[152:153], v[152:153], v[126:127]
	v_fma_f64 v[124:125], v[136:137], v[146:147], -v[124:125]
	v_mul_f64 v[136:137], v[136:137], v[126:127]
	v_fmac_f64_e32 v[152:153], v[154:155], v[146:147]
	v_fmac_f64_e32 v[136:137], v[138:139], v[146:147]
	v_add_f64 v[2:3], v[2:3], -v[152:153]
	s_waitcnt vmcnt(0)
	v_add_f64 v[132:133], v[132:133], -v[124:125]
	v_add_f64 v[134:135], v[134:135], -v[136:137]
	v_mov_b64_e32 v[124:125], v[146:147]
.LBB66_83:
	s_or_b64 exec, exec, s[0:1]
	v_lshl_add_u32 v136, v149, 4, v148
	s_barrier
	s_waitcnt vmcnt(29)
	ds_write2_b64 v136, v[120:121], v[122:123] offset1:1
	s_waitcnt lgkmcnt(0)
	s_barrier
	ds_read2_b64 v[136:139], v148 offset0:8 offset1:9
	s_cmp_lt_i32 s20, 6
	v_mov_b32_e32 v146, 4
	s_cbranch_scc1 .LBB66_86
; %bb.84:
	v_mov_b32_e32 v146, 4
	v_add_u32_e32 v147, 0x50, v148
	s_mov_b32 s16, 5
.LBB66_85:                              ; =>This Inner Loop Header: Depth=1
	ds_read2_b64 v[152:155], v147 offset1:1
	s_waitcnt lgkmcnt(1)
	v_xor_b32_e32 v157, 0x80000000, v137
	v_xor_b32_e32 v159, 0x80000000, v139
	v_cmp_gt_f64_e32 vcc, 0, v[138:139]
	v_cmp_gt_f64_e64 s[0:1], 0, v[136:137]
	v_mov_b32_e32 v156, v136
	v_mov_b32_e32 v158, v138
	v_cndmask_b32_e64 v157, v137, v157, s[0:1]
	v_cndmask_b32_e32 v159, v139, v159, vcc
	v_add_f64 v[156:157], v[156:157], v[158:159]
	s_waitcnt lgkmcnt(0)
	v_xor_b32_e32 v159, 0x80000000, v153
	v_xor_b32_e32 v161, 0x80000000, v155
	v_cmp_gt_f64_e32 vcc, 0, v[154:155]
	v_cmp_gt_f64_e64 s[0:1], 0, v[152:153]
	v_mov_b32_e32 v158, v152
	v_mov_b32_e32 v160, v154
	v_cndmask_b32_e64 v159, v153, v159, s[0:1]
	v_cndmask_b32_e32 v161, v155, v161, vcc
	v_add_f64 v[158:159], v[158:159], v[160:161]
	v_mov_b32_e32 v162, s16
	s_add_i32 s16, s16, 1
	v_cmp_lt_f64_e32 vcc, v[156:157], v[158:159]
	v_add_u32_e32 v147, 16, v147
	s_cmp_lg_u32 s20, s16
	v_cndmask_b32_e32 v137, v137, v153, vcc
	v_cndmask_b32_e32 v136, v136, v152, vcc
	;; [unrolled: 1-line block ×5, first 2 shown]
	s_cbranch_scc1 .LBB66_85
.LBB66_86:
	s_waitcnt lgkmcnt(0)
	v_cmp_eq_f64_e32 vcc, 0, v[136:137]
	v_cmp_eq_f64_e64 s[0:1], 0, v[138:139]
	s_and_b64 s[0:1], vcc, s[0:1]
	s_and_saveexec_b64 s[16:17], s[0:1]
	s_xor_b64 s[0:1], exec, s[16:17]
; %bb.87:
	v_cmp_ne_u32_e32 vcc, 0, v150
	s_nop 1
	v_cndmask_b32_e32 v150, 5, v150, vcc
; %bb.88:
	s_andn2_saveexec_b64 s[0:1], s[0:1]
	s_cbranch_execz .LBB66_94
; %bb.89:
	v_cmp_ngt_f64_e64 s[16:17], |v[136:137]|, |v[138:139]|
	s_and_saveexec_b64 s[18:19], s[16:17]
	s_xor_b64 s[16:17], exec, s[18:19]
	s_cbranch_execz .LBB66_91
; %bb.90:
	v_div_scale_f64 v[152:153], s[18:19], v[138:139], v[138:139], v[136:137]
	v_rcp_f64_e32 v[154:155], v[152:153]
	v_div_scale_f64 v[156:157], vcc, v[136:137], v[138:139], v[136:137]
	v_fma_f64 v[158:159], -v[152:153], v[154:155], 1.0
	v_fmac_f64_e32 v[154:155], v[154:155], v[158:159]
	v_fma_f64 v[158:159], -v[152:153], v[154:155], 1.0
	v_fmac_f64_e32 v[154:155], v[154:155], v[158:159]
	v_mul_f64 v[158:159], v[156:157], v[154:155]
	v_fma_f64 v[152:153], -v[152:153], v[158:159], v[156:157]
	v_div_fmas_f64 v[152:153], v[152:153], v[154:155], v[158:159]
	v_div_fixup_f64 v[152:153], v[152:153], v[138:139], v[136:137]
	v_fmac_f64_e32 v[138:139], v[136:137], v[152:153]
	v_div_scale_f64 v[136:137], s[18:19], v[138:139], v[138:139], 1.0
	v_rcp_f64_e32 v[154:155], v[136:137]
	s_nop 0
	v_fma_f64 v[156:157], -v[136:137], v[154:155], 1.0
	v_fmac_f64_e32 v[154:155], v[154:155], v[156:157]
	v_fma_f64 v[156:157], -v[136:137], v[154:155], 1.0
	v_fmac_f64_e32 v[154:155], v[154:155], v[156:157]
	v_div_scale_f64 v[156:157], vcc, 1.0, v[138:139], 1.0
	v_mul_f64 v[158:159], v[156:157], v[154:155]
	v_fma_f64 v[136:137], -v[136:137], v[158:159], v[156:157]
	s_nop 1
	v_div_fmas_f64 v[136:137], v[136:137], v[154:155], v[158:159]
	v_div_fixup_f64 v[138:139], v[136:137], v[138:139], 1.0
	v_mul_f64 v[136:137], v[152:153], v[138:139]
	v_xor_b32_e32 v139, 0x80000000, v139
.LBB66_91:
	s_andn2_saveexec_b64 s[16:17], s[16:17]
	s_cbranch_execz .LBB66_93
; %bb.92:
	v_div_scale_f64 v[152:153], s[18:19], v[136:137], v[136:137], v[138:139]
	v_rcp_f64_e32 v[154:155], v[152:153]
	v_div_scale_f64 v[156:157], vcc, v[138:139], v[136:137], v[138:139]
	v_fma_f64 v[158:159], -v[152:153], v[154:155], 1.0
	v_fmac_f64_e32 v[154:155], v[154:155], v[158:159]
	v_fma_f64 v[158:159], -v[152:153], v[154:155], 1.0
	v_fmac_f64_e32 v[154:155], v[154:155], v[158:159]
	v_mul_f64 v[158:159], v[156:157], v[154:155]
	v_fma_f64 v[152:153], -v[152:153], v[158:159], v[156:157]
	v_div_fmas_f64 v[152:153], v[152:153], v[154:155], v[158:159]
	v_div_fixup_f64 v[152:153], v[152:153], v[136:137], v[138:139]
	v_fmac_f64_e32 v[136:137], v[138:139], v[152:153]
	v_div_scale_f64 v[138:139], s[18:19], v[136:137], v[136:137], 1.0
	v_rcp_f64_e32 v[154:155], v[138:139]
	s_nop 0
	v_fma_f64 v[156:157], -v[138:139], v[154:155], 1.0
	v_fmac_f64_e32 v[154:155], v[154:155], v[156:157]
	v_fma_f64 v[156:157], -v[138:139], v[154:155], 1.0
	v_fmac_f64_e32 v[154:155], v[154:155], v[156:157]
	v_div_scale_f64 v[156:157], vcc, 1.0, v[136:137], 1.0
	v_mul_f64 v[158:159], v[156:157], v[154:155]
	v_fma_f64 v[138:139], -v[138:139], v[158:159], v[156:157]
	s_nop 1
	v_div_fmas_f64 v[138:139], v[138:139], v[154:155], v[158:159]
	v_div_fixup_f64 v[136:137], v[138:139], v[136:137], 1.0
	v_mul_f64 v[138:139], v[152:153], -v[136:137]
.LBB66_93:
	s_or_b64 exec, exec, s[16:17]
.LBB66_94:
	s_or_b64 exec, exec, s[0:1]
	v_cmp_ne_u32_e32 vcc, v149, v146
	s_and_saveexec_b64 s[0:1], vcc
	s_xor_b64 s[0:1], exec, s[0:1]
	s_cbranch_execz .LBB66_100
; %bb.95:
	v_cmp_eq_u32_e32 vcc, 4, v149
	s_and_saveexec_b64 s[16:17], vcc
	s_cbranch_execz .LBB66_99
; %bb.96:
	v_cmp_ne_u32_e32 vcc, 4, v146
	s_xor_b64 s[18:19], s[14:15], -1
	s_and_b64 s[22:23], s[18:19], vcc
	s_and_saveexec_b64 s[18:19], s[22:23]
	s_cbranch_execz .LBB66_98
; %bb.97:
	v_ashrrev_i32_e32 v147, 31, v146
	v_lshl_add_u64 v[152:153], v[146:147], 2, v[144:145]
	global_load_dword v147, v[152:153], off
	global_load_dword v149, v[144:145], off offset:16
	s_waitcnt vmcnt(1)
	global_store_dword v[144:145], v147, off offset:16
	s_waitcnt vmcnt(1)
	global_store_dword v[152:153], v149, off
.LBB66_98:
	s_or_b64 exec, exec, s[18:19]
	v_mov_b32_e32 v149, v146
	v_mov_b32_e32 v151, v146
.LBB66_99:
	s_or_b64 exec, exec, s[16:17]
.LBB66_100:
	s_andn2_saveexec_b64 s[0:1], s[0:1]
	s_cbranch_execz .LBB66_102
; %bb.101:
	v_mov_b32_e32 v149, 4
	s_waitcnt vmcnt(28)
	ds_write2_b64 v148, v[116:117], v[118:119] offset0:10 offset1:11
	s_waitcnt vmcnt(27)
	ds_write2_b64 v148, v[112:113], v[114:115] offset0:12 offset1:13
	;; [unrolled: 2-line block ×29, first 2 shown]
.LBB66_102:
	s_or_b64 exec, exec, s[0:1]
	v_cmp_lt_i32_e32 vcc, 4, v149
	s_waitcnt lgkmcnt(0)
	s_barrier
	s_and_saveexec_b64 s[0:1], vcc
	s_cbranch_execz .LBB66_104
; %bb.103:
	ds_read2_b64 v[152:155], v148 offset0:10 offset1:11
	v_mul_f64 v[146:147], v[138:139], v[122:123]
	v_mul_f64 v[122:123], v[136:137], v[122:123]
	v_fmac_f64_e32 v[122:123], v[138:139], v[120:121]
	v_fma_f64 v[146:147], v[136:137], v[120:121], -v[146:147]
	ds_read2_b64 v[136:139], v148 offset0:12 offset1:13
	s_waitcnt lgkmcnt(1)
	v_mul_f64 v[120:121], v[154:155], v[122:123]
	v_fma_f64 v[120:121], v[152:153], v[146:147], -v[120:121]
	v_mul_f64 v[152:153], v[152:153], v[122:123]
	v_fmac_f64_e32 v[152:153], v[154:155], v[146:147]
	s_waitcnt vmcnt(28)
	v_add_f64 v[118:119], v[118:119], -v[152:153]
	ds_read2_b64 v[152:155], v148 offset0:14 offset1:15
	v_add_f64 v[116:117], v[116:117], -v[120:121]
	s_waitcnt lgkmcnt(1)
	v_mul_f64 v[120:121], v[138:139], v[122:123]
	v_fma_f64 v[120:121], v[136:137], v[146:147], -v[120:121]
	v_mul_f64 v[136:137], v[136:137], v[122:123]
	v_fmac_f64_e32 v[136:137], v[138:139], v[146:147]
	s_waitcnt vmcnt(27)
	v_add_f64 v[112:113], v[112:113], -v[120:121]
	v_add_f64 v[114:115], v[114:115], -v[136:137]
	ds_read2_b64 v[136:139], v148 offset0:16 offset1:17
	s_waitcnt lgkmcnt(1)
	v_mul_f64 v[120:121], v[154:155], v[122:123]
	v_fma_f64 v[120:121], v[152:153], v[146:147], -v[120:121]
	v_mul_f64 v[152:153], v[152:153], v[122:123]
	v_fmac_f64_e32 v[152:153], v[154:155], v[146:147]
	s_waitcnt vmcnt(26)
	v_add_f64 v[110:111], v[110:111], -v[152:153]
	ds_read2_b64 v[152:155], v148 offset0:18 offset1:19
	v_add_f64 v[108:109], v[108:109], -v[120:121]
	s_waitcnt lgkmcnt(1)
	v_mul_f64 v[120:121], v[138:139], v[122:123]
	v_fma_f64 v[120:121], v[136:137], v[146:147], -v[120:121]
	v_mul_f64 v[136:137], v[136:137], v[122:123]
	v_fmac_f64_e32 v[136:137], v[138:139], v[146:147]
	s_waitcnt vmcnt(25)
	v_add_f64 v[104:105], v[104:105], -v[120:121]
	v_add_f64 v[106:107], v[106:107], -v[136:137]
	;; [unrolled: 18-line block ×14, first 2 shown]
	s_waitcnt lgkmcnt(0)
	v_mul_f64 v[120:121], v[154:155], v[122:123]
	v_mul_f64 v[136:137], v[152:153], v[122:123]
	v_fma_f64 v[120:121], v[152:153], v[146:147], -v[120:121]
	v_fmac_f64_e32 v[136:137], v[154:155], v[146:147]
	s_waitcnt vmcnt(0)
	v_add_f64 v[132:133], v[132:133], -v[120:121]
	v_add_f64 v[134:135], v[134:135], -v[136:137]
	v_mov_b64_e32 v[120:121], v[146:147]
.LBB66_104:
	s_or_b64 exec, exec, s[0:1]
	v_lshl_add_u32 v136, v149, 4, v148
	s_barrier
	s_waitcnt vmcnt(28)
	ds_write2_b64 v136, v[116:117], v[118:119] offset1:1
	s_waitcnt lgkmcnt(0)
	s_barrier
	ds_read2_b64 v[136:139], v148 offset0:10 offset1:11
	s_cmp_lt_i32 s20, 7
	v_mov_b32_e32 v146, 5
	s_cbranch_scc1 .LBB66_107
; %bb.105:
	v_add_u32_e32 v147, 0x60, v148
	s_mov_b32 s16, 6
	v_mov_b32_e32 v146, 5
.LBB66_106:                             ; =>This Inner Loop Header: Depth=1
	ds_read2_b64 v[152:155], v147 offset1:1
	s_waitcnt lgkmcnt(1)
	v_xor_b32_e32 v157, 0x80000000, v137
	v_xor_b32_e32 v159, 0x80000000, v139
	v_cmp_gt_f64_e32 vcc, 0, v[138:139]
	v_cmp_gt_f64_e64 s[0:1], 0, v[136:137]
	v_mov_b32_e32 v156, v136
	v_mov_b32_e32 v158, v138
	v_cndmask_b32_e64 v157, v137, v157, s[0:1]
	v_cndmask_b32_e32 v159, v139, v159, vcc
	v_add_f64 v[156:157], v[156:157], v[158:159]
	s_waitcnt lgkmcnt(0)
	v_xor_b32_e32 v159, 0x80000000, v153
	v_xor_b32_e32 v161, 0x80000000, v155
	v_cmp_gt_f64_e32 vcc, 0, v[154:155]
	v_cmp_gt_f64_e64 s[0:1], 0, v[152:153]
	v_mov_b32_e32 v158, v152
	v_mov_b32_e32 v160, v154
	v_cndmask_b32_e64 v159, v153, v159, s[0:1]
	v_cndmask_b32_e32 v161, v155, v161, vcc
	v_add_f64 v[158:159], v[158:159], v[160:161]
	v_mov_b32_e32 v162, s16
	s_add_i32 s16, s16, 1
	v_cmp_lt_f64_e32 vcc, v[156:157], v[158:159]
	v_add_u32_e32 v147, 16, v147
	s_cmp_lg_u32 s20, s16
	v_cndmask_b32_e32 v137, v137, v153, vcc
	v_cndmask_b32_e32 v136, v136, v152, vcc
	;; [unrolled: 1-line block ×5, first 2 shown]
	s_cbranch_scc1 .LBB66_106
.LBB66_107:
	s_waitcnt lgkmcnt(0)
	v_cmp_eq_f64_e32 vcc, 0, v[136:137]
	v_cmp_eq_f64_e64 s[0:1], 0, v[138:139]
	s_and_b64 s[0:1], vcc, s[0:1]
	s_and_saveexec_b64 s[16:17], s[0:1]
	s_xor_b64 s[0:1], exec, s[16:17]
; %bb.108:
	v_cmp_ne_u32_e32 vcc, 0, v150
	s_nop 1
	v_cndmask_b32_e32 v150, 6, v150, vcc
; %bb.109:
	s_andn2_saveexec_b64 s[0:1], s[0:1]
	s_cbranch_execz .LBB66_115
; %bb.110:
	v_cmp_ngt_f64_e64 s[16:17], |v[136:137]|, |v[138:139]|
	s_and_saveexec_b64 s[18:19], s[16:17]
	s_xor_b64 s[16:17], exec, s[18:19]
	s_cbranch_execz .LBB66_112
; %bb.111:
	v_div_scale_f64 v[152:153], s[18:19], v[138:139], v[138:139], v[136:137]
	v_rcp_f64_e32 v[154:155], v[152:153]
	v_div_scale_f64 v[156:157], vcc, v[136:137], v[138:139], v[136:137]
	v_fma_f64 v[158:159], -v[152:153], v[154:155], 1.0
	v_fmac_f64_e32 v[154:155], v[154:155], v[158:159]
	v_fma_f64 v[158:159], -v[152:153], v[154:155], 1.0
	v_fmac_f64_e32 v[154:155], v[154:155], v[158:159]
	v_mul_f64 v[158:159], v[156:157], v[154:155]
	v_fma_f64 v[152:153], -v[152:153], v[158:159], v[156:157]
	v_div_fmas_f64 v[152:153], v[152:153], v[154:155], v[158:159]
	v_div_fixup_f64 v[152:153], v[152:153], v[138:139], v[136:137]
	v_fmac_f64_e32 v[138:139], v[136:137], v[152:153]
	v_div_scale_f64 v[136:137], s[18:19], v[138:139], v[138:139], 1.0
	v_rcp_f64_e32 v[154:155], v[136:137]
	s_nop 0
	v_fma_f64 v[156:157], -v[136:137], v[154:155], 1.0
	v_fmac_f64_e32 v[154:155], v[154:155], v[156:157]
	v_fma_f64 v[156:157], -v[136:137], v[154:155], 1.0
	v_fmac_f64_e32 v[154:155], v[154:155], v[156:157]
	v_div_scale_f64 v[156:157], vcc, 1.0, v[138:139], 1.0
	v_mul_f64 v[158:159], v[156:157], v[154:155]
	v_fma_f64 v[136:137], -v[136:137], v[158:159], v[156:157]
	s_nop 1
	v_div_fmas_f64 v[136:137], v[136:137], v[154:155], v[158:159]
	v_div_fixup_f64 v[138:139], v[136:137], v[138:139], 1.0
	v_mul_f64 v[136:137], v[152:153], v[138:139]
	v_xor_b32_e32 v139, 0x80000000, v139
.LBB66_112:
	s_andn2_saveexec_b64 s[16:17], s[16:17]
	s_cbranch_execz .LBB66_114
; %bb.113:
	v_div_scale_f64 v[152:153], s[18:19], v[136:137], v[136:137], v[138:139]
	v_rcp_f64_e32 v[154:155], v[152:153]
	v_div_scale_f64 v[156:157], vcc, v[138:139], v[136:137], v[138:139]
	v_fma_f64 v[158:159], -v[152:153], v[154:155], 1.0
	v_fmac_f64_e32 v[154:155], v[154:155], v[158:159]
	v_fma_f64 v[158:159], -v[152:153], v[154:155], 1.0
	v_fmac_f64_e32 v[154:155], v[154:155], v[158:159]
	v_mul_f64 v[158:159], v[156:157], v[154:155]
	v_fma_f64 v[152:153], -v[152:153], v[158:159], v[156:157]
	v_div_fmas_f64 v[152:153], v[152:153], v[154:155], v[158:159]
	v_div_fixup_f64 v[152:153], v[152:153], v[136:137], v[138:139]
	v_fmac_f64_e32 v[136:137], v[138:139], v[152:153]
	v_div_scale_f64 v[138:139], s[18:19], v[136:137], v[136:137], 1.0
	v_rcp_f64_e32 v[154:155], v[138:139]
	s_nop 0
	v_fma_f64 v[156:157], -v[138:139], v[154:155], 1.0
	v_fmac_f64_e32 v[154:155], v[154:155], v[156:157]
	v_fma_f64 v[156:157], -v[138:139], v[154:155], 1.0
	v_fmac_f64_e32 v[154:155], v[154:155], v[156:157]
	v_div_scale_f64 v[156:157], vcc, 1.0, v[136:137], 1.0
	v_mul_f64 v[158:159], v[156:157], v[154:155]
	v_fma_f64 v[138:139], -v[138:139], v[158:159], v[156:157]
	s_nop 1
	v_div_fmas_f64 v[138:139], v[138:139], v[154:155], v[158:159]
	v_div_fixup_f64 v[136:137], v[138:139], v[136:137], 1.0
	v_mul_f64 v[138:139], v[152:153], -v[136:137]
.LBB66_114:
	s_or_b64 exec, exec, s[16:17]
.LBB66_115:
	s_or_b64 exec, exec, s[0:1]
	v_cmp_ne_u32_e32 vcc, v149, v146
	s_and_saveexec_b64 s[0:1], vcc
	s_xor_b64 s[0:1], exec, s[0:1]
	s_cbranch_execz .LBB66_121
; %bb.116:
	v_cmp_eq_u32_e32 vcc, 5, v149
	s_and_saveexec_b64 s[16:17], vcc
	s_cbranch_execz .LBB66_120
; %bb.117:
	v_cmp_ne_u32_e32 vcc, 5, v146
	s_xor_b64 s[18:19], s[14:15], -1
	s_and_b64 s[22:23], s[18:19], vcc
	s_and_saveexec_b64 s[18:19], s[22:23]
	s_cbranch_execz .LBB66_119
; %bb.118:
	v_ashrrev_i32_e32 v147, 31, v146
	v_lshl_add_u64 v[152:153], v[146:147], 2, v[144:145]
	global_load_dword v147, v[152:153], off
	global_load_dword v149, v[144:145], off offset:20
	s_waitcnt vmcnt(1)
	global_store_dword v[144:145], v147, off offset:20
	s_waitcnt vmcnt(1)
	global_store_dword v[152:153], v149, off
.LBB66_119:
	s_or_b64 exec, exec, s[18:19]
	v_mov_b32_e32 v149, v146
	v_mov_b32_e32 v151, v146
.LBB66_120:
	s_or_b64 exec, exec, s[16:17]
.LBB66_121:
	s_andn2_saveexec_b64 s[0:1], s[0:1]
	s_cbranch_execz .LBB66_123
; %bb.122:
	v_mov_b32_e32 v149, 5
	s_waitcnt vmcnt(27)
	ds_write2_b64 v148, v[112:113], v[114:115] offset0:12 offset1:13
	s_waitcnt vmcnt(26)
	ds_write2_b64 v148, v[108:109], v[110:111] offset0:14 offset1:15
	;; [unrolled: 2-line block ×28, first 2 shown]
.LBB66_123:
	s_or_b64 exec, exec, s[0:1]
	v_cmp_lt_i32_e32 vcc, 5, v149
	s_waitcnt lgkmcnt(0)
	s_barrier
	s_and_saveexec_b64 s[0:1], vcc
	s_cbranch_execz .LBB66_125
; %bb.124:
	ds_read2_b64 v[152:155], v148 offset0:12 offset1:13
	v_mul_f64 v[146:147], v[138:139], v[118:119]
	v_mul_f64 v[118:119], v[136:137], v[118:119]
	v_fma_f64 v[146:147], v[136:137], v[116:117], -v[146:147]
	v_fmac_f64_e32 v[118:119], v[138:139], v[116:117]
	ds_read2_b64 v[136:139], v148 offset0:14 offset1:15
	s_waitcnt lgkmcnt(1)
	v_mul_f64 v[116:117], v[154:155], v[118:119]
	v_fma_f64 v[116:117], v[152:153], v[146:147], -v[116:117]
	v_mul_f64 v[152:153], v[152:153], v[118:119]
	v_fmac_f64_e32 v[152:153], v[154:155], v[146:147]
	s_waitcnt vmcnt(27)
	v_add_f64 v[112:113], v[112:113], -v[116:117]
	s_waitcnt lgkmcnt(0)
	v_mul_f64 v[116:117], v[138:139], v[118:119]
	v_add_f64 v[114:115], v[114:115], -v[152:153]
	v_fma_f64 v[116:117], v[136:137], v[146:147], -v[116:117]
	v_mul_f64 v[136:137], v[136:137], v[118:119]
	ds_read2_b64 v[152:155], v148 offset0:16 offset1:17
	v_fmac_f64_e32 v[136:137], v[138:139], v[146:147]
	s_waitcnt vmcnt(26)
	v_add_f64 v[110:111], v[110:111], -v[136:137]
	ds_read2_b64 v[136:139], v148 offset0:18 offset1:19
	v_add_f64 v[108:109], v[108:109], -v[116:117]
	s_waitcnt lgkmcnt(1)
	v_mul_f64 v[116:117], v[154:155], v[118:119]
	v_fma_f64 v[116:117], v[152:153], v[146:147], -v[116:117]
	v_mul_f64 v[152:153], v[152:153], v[118:119]
	v_fmac_f64_e32 v[152:153], v[154:155], v[146:147]
	s_waitcnt vmcnt(25)
	v_add_f64 v[104:105], v[104:105], -v[116:117]
	s_waitcnt lgkmcnt(0)
	v_mul_f64 v[116:117], v[138:139], v[118:119]
	v_add_f64 v[106:107], v[106:107], -v[152:153]
	v_fma_f64 v[116:117], v[136:137], v[146:147], -v[116:117]
	v_mul_f64 v[136:137], v[136:137], v[118:119]
	ds_read2_b64 v[152:155], v148 offset0:20 offset1:21
	v_fmac_f64_e32 v[136:137], v[138:139], v[146:147]
	s_waitcnt vmcnt(24)
	v_add_f64 v[102:103], v[102:103], -v[136:137]
	ds_read2_b64 v[136:139], v148 offset0:22 offset1:23
	v_add_f64 v[100:101], v[100:101], -v[116:117]
	;; [unrolled: 18-line block ×13, first 2 shown]
	s_waitcnt lgkmcnt(1)
	v_mul_f64 v[116:117], v[154:155], v[118:119]
	v_fma_f64 v[116:117], v[152:153], v[146:147], -v[116:117]
	s_waitcnt vmcnt(1)
	v_add_f64 v[0:1], v[0:1], -v[116:117]
	s_waitcnt lgkmcnt(0)
	v_mul_f64 v[116:117], v[138:139], v[118:119]
	v_mul_f64 v[152:153], v[152:153], v[118:119]
	v_fma_f64 v[116:117], v[136:137], v[146:147], -v[116:117]
	v_mul_f64 v[136:137], v[136:137], v[118:119]
	v_fmac_f64_e32 v[152:153], v[154:155], v[146:147]
	v_fmac_f64_e32 v[136:137], v[138:139], v[146:147]
	v_add_f64 v[2:3], v[2:3], -v[152:153]
	s_waitcnt vmcnt(0)
	v_add_f64 v[132:133], v[132:133], -v[116:117]
	v_add_f64 v[134:135], v[134:135], -v[136:137]
	v_mov_b64_e32 v[116:117], v[146:147]
.LBB66_125:
	s_or_b64 exec, exec, s[0:1]
	v_lshl_add_u32 v136, v149, 4, v148
	s_barrier
	s_waitcnt vmcnt(27)
	ds_write2_b64 v136, v[112:113], v[114:115] offset1:1
	s_waitcnt lgkmcnt(0)
	s_barrier
	ds_read2_b64 v[136:139], v148 offset0:12 offset1:13
	s_cmp_lt_i32 s20, 8
	v_mov_b32_e32 v146, 6
	s_cbranch_scc1 .LBB66_128
; %bb.126:
	v_add_u32_e32 v147, 0x70, v148
	s_mov_b32 s16, 7
	v_mov_b32_e32 v146, 6
.LBB66_127:                             ; =>This Inner Loop Header: Depth=1
	ds_read2_b64 v[152:155], v147 offset1:1
	s_waitcnt lgkmcnt(1)
	v_xor_b32_e32 v157, 0x80000000, v137
	v_xor_b32_e32 v159, 0x80000000, v139
	v_cmp_gt_f64_e32 vcc, 0, v[138:139]
	v_cmp_gt_f64_e64 s[0:1], 0, v[136:137]
	v_mov_b32_e32 v156, v136
	v_mov_b32_e32 v158, v138
	v_cndmask_b32_e64 v157, v137, v157, s[0:1]
	v_cndmask_b32_e32 v159, v139, v159, vcc
	v_add_f64 v[156:157], v[156:157], v[158:159]
	s_waitcnt lgkmcnt(0)
	v_xor_b32_e32 v159, 0x80000000, v153
	v_xor_b32_e32 v161, 0x80000000, v155
	v_cmp_gt_f64_e32 vcc, 0, v[154:155]
	v_cmp_gt_f64_e64 s[0:1], 0, v[152:153]
	v_mov_b32_e32 v158, v152
	v_mov_b32_e32 v160, v154
	v_cndmask_b32_e64 v159, v153, v159, s[0:1]
	v_cndmask_b32_e32 v161, v155, v161, vcc
	v_add_f64 v[158:159], v[158:159], v[160:161]
	v_mov_b32_e32 v162, s16
	s_add_i32 s16, s16, 1
	v_cmp_lt_f64_e32 vcc, v[156:157], v[158:159]
	v_add_u32_e32 v147, 16, v147
	s_cmp_lg_u32 s20, s16
	v_cndmask_b32_e32 v137, v137, v153, vcc
	v_cndmask_b32_e32 v136, v136, v152, vcc
	;; [unrolled: 1-line block ×5, first 2 shown]
	s_cbranch_scc1 .LBB66_127
.LBB66_128:
	s_waitcnt lgkmcnt(0)
	v_cmp_eq_f64_e32 vcc, 0, v[136:137]
	v_cmp_eq_f64_e64 s[0:1], 0, v[138:139]
	s_and_b64 s[0:1], vcc, s[0:1]
	s_and_saveexec_b64 s[16:17], s[0:1]
	s_xor_b64 s[0:1], exec, s[16:17]
; %bb.129:
	v_cmp_ne_u32_e32 vcc, 0, v150
	s_nop 1
	v_cndmask_b32_e32 v150, 7, v150, vcc
; %bb.130:
	s_andn2_saveexec_b64 s[0:1], s[0:1]
	s_cbranch_execz .LBB66_136
; %bb.131:
	v_cmp_ngt_f64_e64 s[16:17], |v[136:137]|, |v[138:139]|
	s_and_saveexec_b64 s[18:19], s[16:17]
	s_xor_b64 s[16:17], exec, s[18:19]
	s_cbranch_execz .LBB66_133
; %bb.132:
	v_div_scale_f64 v[152:153], s[18:19], v[138:139], v[138:139], v[136:137]
	v_rcp_f64_e32 v[154:155], v[152:153]
	v_div_scale_f64 v[156:157], vcc, v[136:137], v[138:139], v[136:137]
	v_fma_f64 v[158:159], -v[152:153], v[154:155], 1.0
	v_fmac_f64_e32 v[154:155], v[154:155], v[158:159]
	v_fma_f64 v[158:159], -v[152:153], v[154:155], 1.0
	v_fmac_f64_e32 v[154:155], v[154:155], v[158:159]
	v_mul_f64 v[158:159], v[156:157], v[154:155]
	v_fma_f64 v[152:153], -v[152:153], v[158:159], v[156:157]
	v_div_fmas_f64 v[152:153], v[152:153], v[154:155], v[158:159]
	v_div_fixup_f64 v[152:153], v[152:153], v[138:139], v[136:137]
	v_fmac_f64_e32 v[138:139], v[136:137], v[152:153]
	v_div_scale_f64 v[136:137], s[18:19], v[138:139], v[138:139], 1.0
	v_rcp_f64_e32 v[154:155], v[136:137]
	s_nop 0
	v_fma_f64 v[156:157], -v[136:137], v[154:155], 1.0
	v_fmac_f64_e32 v[154:155], v[154:155], v[156:157]
	v_fma_f64 v[156:157], -v[136:137], v[154:155], 1.0
	v_fmac_f64_e32 v[154:155], v[154:155], v[156:157]
	v_div_scale_f64 v[156:157], vcc, 1.0, v[138:139], 1.0
	v_mul_f64 v[158:159], v[156:157], v[154:155]
	v_fma_f64 v[136:137], -v[136:137], v[158:159], v[156:157]
	s_nop 1
	v_div_fmas_f64 v[136:137], v[136:137], v[154:155], v[158:159]
	v_div_fixup_f64 v[138:139], v[136:137], v[138:139], 1.0
	v_mul_f64 v[136:137], v[152:153], v[138:139]
	v_xor_b32_e32 v139, 0x80000000, v139
.LBB66_133:
	s_andn2_saveexec_b64 s[16:17], s[16:17]
	s_cbranch_execz .LBB66_135
; %bb.134:
	v_div_scale_f64 v[152:153], s[18:19], v[136:137], v[136:137], v[138:139]
	v_rcp_f64_e32 v[154:155], v[152:153]
	v_div_scale_f64 v[156:157], vcc, v[138:139], v[136:137], v[138:139]
	v_fma_f64 v[158:159], -v[152:153], v[154:155], 1.0
	v_fmac_f64_e32 v[154:155], v[154:155], v[158:159]
	v_fma_f64 v[158:159], -v[152:153], v[154:155], 1.0
	v_fmac_f64_e32 v[154:155], v[154:155], v[158:159]
	v_mul_f64 v[158:159], v[156:157], v[154:155]
	v_fma_f64 v[152:153], -v[152:153], v[158:159], v[156:157]
	v_div_fmas_f64 v[152:153], v[152:153], v[154:155], v[158:159]
	v_div_fixup_f64 v[152:153], v[152:153], v[136:137], v[138:139]
	v_fmac_f64_e32 v[136:137], v[138:139], v[152:153]
	v_div_scale_f64 v[138:139], s[18:19], v[136:137], v[136:137], 1.0
	v_rcp_f64_e32 v[154:155], v[138:139]
	s_nop 0
	v_fma_f64 v[156:157], -v[138:139], v[154:155], 1.0
	v_fmac_f64_e32 v[154:155], v[154:155], v[156:157]
	v_fma_f64 v[156:157], -v[138:139], v[154:155], 1.0
	v_fmac_f64_e32 v[154:155], v[154:155], v[156:157]
	v_div_scale_f64 v[156:157], vcc, 1.0, v[136:137], 1.0
	v_mul_f64 v[158:159], v[156:157], v[154:155]
	v_fma_f64 v[138:139], -v[138:139], v[158:159], v[156:157]
	s_nop 1
	v_div_fmas_f64 v[138:139], v[138:139], v[154:155], v[158:159]
	v_div_fixup_f64 v[136:137], v[138:139], v[136:137], 1.0
	v_mul_f64 v[138:139], v[152:153], -v[136:137]
.LBB66_135:
	s_or_b64 exec, exec, s[16:17]
.LBB66_136:
	s_or_b64 exec, exec, s[0:1]
	v_cmp_ne_u32_e32 vcc, v149, v146
	s_and_saveexec_b64 s[0:1], vcc
	s_xor_b64 s[0:1], exec, s[0:1]
	s_cbranch_execz .LBB66_142
; %bb.137:
	v_cmp_eq_u32_e32 vcc, 6, v149
	s_and_saveexec_b64 s[16:17], vcc
	s_cbranch_execz .LBB66_141
; %bb.138:
	v_cmp_ne_u32_e32 vcc, 6, v146
	s_xor_b64 s[18:19], s[14:15], -1
	s_and_b64 s[22:23], s[18:19], vcc
	s_and_saveexec_b64 s[18:19], s[22:23]
	s_cbranch_execz .LBB66_140
; %bb.139:
	v_ashrrev_i32_e32 v147, 31, v146
	v_lshl_add_u64 v[152:153], v[146:147], 2, v[144:145]
	global_load_dword v147, v[152:153], off
	global_load_dword v149, v[144:145], off offset:24
	s_waitcnt vmcnt(1)
	global_store_dword v[144:145], v147, off offset:24
	s_waitcnt vmcnt(1)
	global_store_dword v[152:153], v149, off
.LBB66_140:
	s_or_b64 exec, exec, s[18:19]
	v_mov_b32_e32 v149, v146
	v_mov_b32_e32 v151, v146
.LBB66_141:
	s_or_b64 exec, exec, s[16:17]
.LBB66_142:
	s_andn2_saveexec_b64 s[0:1], s[0:1]
	s_cbranch_execz .LBB66_144
; %bb.143:
	v_mov_b32_e32 v149, 6
	s_waitcnt vmcnt(26)
	ds_write2_b64 v148, v[108:109], v[110:111] offset0:14 offset1:15
	s_waitcnt vmcnt(25)
	ds_write2_b64 v148, v[104:105], v[106:107] offset0:16 offset1:17
	;; [unrolled: 2-line block ×27, first 2 shown]
.LBB66_144:
	s_or_b64 exec, exec, s[0:1]
	v_cmp_lt_i32_e32 vcc, 6, v149
	s_waitcnt lgkmcnt(0)
	s_barrier
	s_and_saveexec_b64 s[0:1], vcc
	s_cbranch_execz .LBB66_146
; %bb.145:
	ds_read2_b64 v[152:155], v148 offset0:14 offset1:15
	v_mul_f64 v[146:147], v[138:139], v[114:115]
	v_mul_f64 v[114:115], v[136:137], v[114:115]
	v_fmac_f64_e32 v[114:115], v[138:139], v[112:113]
	v_fma_f64 v[146:147], v[136:137], v[112:113], -v[146:147]
	ds_read2_b64 v[136:139], v148 offset0:16 offset1:17
	s_waitcnt lgkmcnt(1)
	v_mul_f64 v[112:113], v[154:155], v[114:115]
	v_fma_f64 v[112:113], v[152:153], v[146:147], -v[112:113]
	v_mul_f64 v[152:153], v[152:153], v[114:115]
	v_fmac_f64_e32 v[152:153], v[154:155], v[146:147]
	s_waitcnt vmcnt(26)
	v_add_f64 v[110:111], v[110:111], -v[152:153]
	ds_read2_b64 v[152:155], v148 offset0:18 offset1:19
	v_add_f64 v[108:109], v[108:109], -v[112:113]
	s_waitcnt lgkmcnt(1)
	v_mul_f64 v[112:113], v[138:139], v[114:115]
	v_fma_f64 v[112:113], v[136:137], v[146:147], -v[112:113]
	v_mul_f64 v[136:137], v[136:137], v[114:115]
	v_fmac_f64_e32 v[136:137], v[138:139], v[146:147]
	s_waitcnt vmcnt(25)
	v_add_f64 v[104:105], v[104:105], -v[112:113]
	v_add_f64 v[106:107], v[106:107], -v[136:137]
	ds_read2_b64 v[136:139], v148 offset0:20 offset1:21
	s_waitcnt lgkmcnt(1)
	v_mul_f64 v[112:113], v[154:155], v[114:115]
	v_fma_f64 v[112:113], v[152:153], v[146:147], -v[112:113]
	v_mul_f64 v[152:153], v[152:153], v[114:115]
	v_fmac_f64_e32 v[152:153], v[154:155], v[146:147]
	s_waitcnt vmcnt(24)
	v_add_f64 v[102:103], v[102:103], -v[152:153]
	ds_read2_b64 v[152:155], v148 offset0:22 offset1:23
	v_add_f64 v[100:101], v[100:101], -v[112:113]
	s_waitcnt lgkmcnt(1)
	v_mul_f64 v[112:113], v[138:139], v[114:115]
	v_fma_f64 v[112:113], v[136:137], v[146:147], -v[112:113]
	v_mul_f64 v[136:137], v[136:137], v[114:115]
	v_fmac_f64_e32 v[136:137], v[138:139], v[146:147]
	s_waitcnt vmcnt(23)
	v_add_f64 v[96:97], v[96:97], -v[112:113]
	v_add_f64 v[98:99], v[98:99], -v[136:137]
	;; [unrolled: 18-line block ×13, first 2 shown]
	s_waitcnt lgkmcnt(0)
	v_mul_f64 v[112:113], v[154:155], v[114:115]
	v_mul_f64 v[136:137], v[152:153], v[114:115]
	v_fma_f64 v[112:113], v[152:153], v[146:147], -v[112:113]
	v_fmac_f64_e32 v[136:137], v[154:155], v[146:147]
	s_waitcnt vmcnt(0)
	v_add_f64 v[132:133], v[132:133], -v[112:113]
	v_add_f64 v[134:135], v[134:135], -v[136:137]
	v_mov_b64_e32 v[112:113], v[146:147]
.LBB66_146:
	s_or_b64 exec, exec, s[0:1]
	v_lshl_add_u32 v136, v149, 4, v148
	s_barrier
	s_waitcnt vmcnt(26)
	ds_write2_b64 v136, v[108:109], v[110:111] offset1:1
	s_waitcnt lgkmcnt(0)
	s_barrier
	ds_read2_b64 v[136:139], v148 offset0:14 offset1:15
	s_cmp_lt_i32 s20, 9
	v_mov_b32_e32 v146, 7
	s_cbranch_scc1 .LBB66_149
; %bb.147:
	v_add_u32_e32 v147, 0x80, v148
	s_mov_b32 s16, 8
	v_mov_b32_e32 v146, 7
.LBB66_148:                             ; =>This Inner Loop Header: Depth=1
	ds_read2_b64 v[152:155], v147 offset1:1
	s_waitcnt lgkmcnt(1)
	v_xor_b32_e32 v157, 0x80000000, v137
	v_xor_b32_e32 v159, 0x80000000, v139
	v_cmp_gt_f64_e32 vcc, 0, v[138:139]
	v_cmp_gt_f64_e64 s[0:1], 0, v[136:137]
	v_mov_b32_e32 v156, v136
	v_mov_b32_e32 v158, v138
	v_cndmask_b32_e64 v157, v137, v157, s[0:1]
	v_cndmask_b32_e32 v159, v139, v159, vcc
	v_add_f64 v[156:157], v[156:157], v[158:159]
	s_waitcnt lgkmcnt(0)
	v_xor_b32_e32 v159, 0x80000000, v153
	v_xor_b32_e32 v161, 0x80000000, v155
	v_cmp_gt_f64_e32 vcc, 0, v[154:155]
	v_cmp_gt_f64_e64 s[0:1], 0, v[152:153]
	v_mov_b32_e32 v158, v152
	v_mov_b32_e32 v160, v154
	v_cndmask_b32_e64 v159, v153, v159, s[0:1]
	v_cndmask_b32_e32 v161, v155, v161, vcc
	v_add_f64 v[158:159], v[158:159], v[160:161]
	v_mov_b32_e32 v162, s16
	s_add_i32 s16, s16, 1
	v_cmp_lt_f64_e32 vcc, v[156:157], v[158:159]
	v_add_u32_e32 v147, 16, v147
	s_cmp_lg_u32 s20, s16
	v_cndmask_b32_e32 v137, v137, v153, vcc
	v_cndmask_b32_e32 v136, v136, v152, vcc
	;; [unrolled: 1-line block ×5, first 2 shown]
	s_cbranch_scc1 .LBB66_148
.LBB66_149:
	s_waitcnt lgkmcnt(0)
	v_cmp_eq_f64_e32 vcc, 0, v[136:137]
	v_cmp_eq_f64_e64 s[0:1], 0, v[138:139]
	s_and_b64 s[0:1], vcc, s[0:1]
	s_and_saveexec_b64 s[16:17], s[0:1]
	s_xor_b64 s[0:1], exec, s[16:17]
; %bb.150:
	v_cmp_ne_u32_e32 vcc, 0, v150
	s_nop 1
	v_cndmask_b32_e32 v150, 8, v150, vcc
; %bb.151:
	s_andn2_saveexec_b64 s[0:1], s[0:1]
	s_cbranch_execz .LBB66_157
; %bb.152:
	v_cmp_ngt_f64_e64 s[16:17], |v[136:137]|, |v[138:139]|
	s_and_saveexec_b64 s[18:19], s[16:17]
	s_xor_b64 s[16:17], exec, s[18:19]
	s_cbranch_execz .LBB66_154
; %bb.153:
	v_div_scale_f64 v[152:153], s[18:19], v[138:139], v[138:139], v[136:137]
	v_rcp_f64_e32 v[154:155], v[152:153]
	v_div_scale_f64 v[156:157], vcc, v[136:137], v[138:139], v[136:137]
	v_fma_f64 v[158:159], -v[152:153], v[154:155], 1.0
	v_fmac_f64_e32 v[154:155], v[154:155], v[158:159]
	v_fma_f64 v[158:159], -v[152:153], v[154:155], 1.0
	v_fmac_f64_e32 v[154:155], v[154:155], v[158:159]
	v_mul_f64 v[158:159], v[156:157], v[154:155]
	v_fma_f64 v[152:153], -v[152:153], v[158:159], v[156:157]
	v_div_fmas_f64 v[152:153], v[152:153], v[154:155], v[158:159]
	v_div_fixup_f64 v[152:153], v[152:153], v[138:139], v[136:137]
	v_fmac_f64_e32 v[138:139], v[136:137], v[152:153]
	v_div_scale_f64 v[136:137], s[18:19], v[138:139], v[138:139], 1.0
	v_rcp_f64_e32 v[154:155], v[136:137]
	s_nop 0
	v_fma_f64 v[156:157], -v[136:137], v[154:155], 1.0
	v_fmac_f64_e32 v[154:155], v[154:155], v[156:157]
	v_fma_f64 v[156:157], -v[136:137], v[154:155], 1.0
	v_fmac_f64_e32 v[154:155], v[154:155], v[156:157]
	v_div_scale_f64 v[156:157], vcc, 1.0, v[138:139], 1.0
	v_mul_f64 v[158:159], v[156:157], v[154:155]
	v_fma_f64 v[136:137], -v[136:137], v[158:159], v[156:157]
	s_nop 1
	v_div_fmas_f64 v[136:137], v[136:137], v[154:155], v[158:159]
	v_div_fixup_f64 v[138:139], v[136:137], v[138:139], 1.0
	v_mul_f64 v[136:137], v[152:153], v[138:139]
	v_xor_b32_e32 v139, 0x80000000, v139
.LBB66_154:
	s_andn2_saveexec_b64 s[16:17], s[16:17]
	s_cbranch_execz .LBB66_156
; %bb.155:
	v_div_scale_f64 v[152:153], s[18:19], v[136:137], v[136:137], v[138:139]
	v_rcp_f64_e32 v[154:155], v[152:153]
	v_div_scale_f64 v[156:157], vcc, v[138:139], v[136:137], v[138:139]
	v_fma_f64 v[158:159], -v[152:153], v[154:155], 1.0
	v_fmac_f64_e32 v[154:155], v[154:155], v[158:159]
	v_fma_f64 v[158:159], -v[152:153], v[154:155], 1.0
	v_fmac_f64_e32 v[154:155], v[154:155], v[158:159]
	v_mul_f64 v[158:159], v[156:157], v[154:155]
	v_fma_f64 v[152:153], -v[152:153], v[158:159], v[156:157]
	v_div_fmas_f64 v[152:153], v[152:153], v[154:155], v[158:159]
	v_div_fixup_f64 v[152:153], v[152:153], v[136:137], v[138:139]
	v_fmac_f64_e32 v[136:137], v[138:139], v[152:153]
	v_div_scale_f64 v[138:139], s[18:19], v[136:137], v[136:137], 1.0
	v_rcp_f64_e32 v[154:155], v[138:139]
	s_nop 0
	v_fma_f64 v[156:157], -v[138:139], v[154:155], 1.0
	v_fmac_f64_e32 v[154:155], v[154:155], v[156:157]
	v_fma_f64 v[156:157], -v[138:139], v[154:155], 1.0
	v_fmac_f64_e32 v[154:155], v[154:155], v[156:157]
	v_div_scale_f64 v[156:157], vcc, 1.0, v[136:137], 1.0
	v_mul_f64 v[158:159], v[156:157], v[154:155]
	v_fma_f64 v[138:139], -v[138:139], v[158:159], v[156:157]
	s_nop 1
	v_div_fmas_f64 v[138:139], v[138:139], v[154:155], v[158:159]
	v_div_fixup_f64 v[136:137], v[138:139], v[136:137], 1.0
	v_mul_f64 v[138:139], v[152:153], -v[136:137]
.LBB66_156:
	s_or_b64 exec, exec, s[16:17]
.LBB66_157:
	s_or_b64 exec, exec, s[0:1]
	v_cmp_ne_u32_e32 vcc, v149, v146
	s_and_saveexec_b64 s[0:1], vcc
	s_xor_b64 s[0:1], exec, s[0:1]
	s_cbranch_execz .LBB66_163
; %bb.158:
	v_cmp_eq_u32_e32 vcc, 7, v149
	s_and_saveexec_b64 s[16:17], vcc
	s_cbranch_execz .LBB66_162
; %bb.159:
	v_cmp_ne_u32_e32 vcc, 7, v146
	s_xor_b64 s[18:19], s[14:15], -1
	s_and_b64 s[22:23], s[18:19], vcc
	s_and_saveexec_b64 s[18:19], s[22:23]
	s_cbranch_execz .LBB66_161
; %bb.160:
	v_ashrrev_i32_e32 v147, 31, v146
	v_lshl_add_u64 v[152:153], v[146:147], 2, v[144:145]
	global_load_dword v147, v[152:153], off
	global_load_dword v149, v[144:145], off offset:28
	s_waitcnt vmcnt(1)
	global_store_dword v[144:145], v147, off offset:28
	s_waitcnt vmcnt(1)
	global_store_dword v[152:153], v149, off
.LBB66_161:
	s_or_b64 exec, exec, s[18:19]
	v_mov_b32_e32 v149, v146
	v_mov_b32_e32 v151, v146
.LBB66_162:
	s_or_b64 exec, exec, s[16:17]
.LBB66_163:
	s_andn2_saveexec_b64 s[0:1], s[0:1]
	s_cbranch_execz .LBB66_165
; %bb.164:
	v_mov_b32_e32 v149, 7
	s_waitcnt vmcnt(25)
	ds_write2_b64 v148, v[104:105], v[106:107] offset0:16 offset1:17
	s_waitcnt vmcnt(24)
	ds_write2_b64 v148, v[100:101], v[102:103] offset0:18 offset1:19
	;; [unrolled: 2-line block ×26, first 2 shown]
.LBB66_165:
	s_or_b64 exec, exec, s[0:1]
	v_cmp_lt_i32_e32 vcc, 7, v149
	s_waitcnt lgkmcnt(0)
	s_barrier
	s_and_saveexec_b64 s[0:1], vcc
	s_cbranch_execz .LBB66_167
; %bb.166:
	ds_read2_b64 v[152:155], v148 offset0:16 offset1:17
	v_mul_f64 v[146:147], v[138:139], v[110:111]
	v_mul_f64 v[110:111], v[136:137], v[110:111]
	v_fma_f64 v[146:147], v[136:137], v[108:109], -v[146:147]
	v_fmac_f64_e32 v[110:111], v[138:139], v[108:109]
	ds_read2_b64 v[136:139], v148 offset0:18 offset1:19
	s_waitcnt lgkmcnt(1)
	v_mul_f64 v[108:109], v[154:155], v[110:111]
	v_fma_f64 v[108:109], v[152:153], v[146:147], -v[108:109]
	v_mul_f64 v[152:153], v[152:153], v[110:111]
	v_fmac_f64_e32 v[152:153], v[154:155], v[146:147]
	s_waitcnt vmcnt(25)
	v_add_f64 v[104:105], v[104:105], -v[108:109]
	s_waitcnt lgkmcnt(0)
	v_mul_f64 v[108:109], v[138:139], v[110:111]
	v_add_f64 v[106:107], v[106:107], -v[152:153]
	v_fma_f64 v[108:109], v[136:137], v[146:147], -v[108:109]
	v_mul_f64 v[136:137], v[136:137], v[110:111]
	ds_read2_b64 v[152:155], v148 offset0:20 offset1:21
	v_fmac_f64_e32 v[136:137], v[138:139], v[146:147]
	s_waitcnt vmcnt(24)
	v_add_f64 v[102:103], v[102:103], -v[136:137]
	ds_read2_b64 v[136:139], v148 offset0:22 offset1:23
	v_add_f64 v[100:101], v[100:101], -v[108:109]
	s_waitcnt lgkmcnt(1)
	v_mul_f64 v[108:109], v[154:155], v[110:111]
	v_fma_f64 v[108:109], v[152:153], v[146:147], -v[108:109]
	v_mul_f64 v[152:153], v[152:153], v[110:111]
	v_fmac_f64_e32 v[152:153], v[154:155], v[146:147]
	s_waitcnt vmcnt(23)
	v_add_f64 v[96:97], v[96:97], -v[108:109]
	s_waitcnt lgkmcnt(0)
	v_mul_f64 v[108:109], v[138:139], v[110:111]
	v_add_f64 v[98:99], v[98:99], -v[152:153]
	v_fma_f64 v[108:109], v[136:137], v[146:147], -v[108:109]
	v_mul_f64 v[136:137], v[136:137], v[110:111]
	ds_read2_b64 v[152:155], v148 offset0:24 offset1:25
	v_fmac_f64_e32 v[136:137], v[138:139], v[146:147]
	s_waitcnt vmcnt(22)
	v_add_f64 v[86:87], v[86:87], -v[136:137]
	ds_read2_b64 v[136:139], v148 offset0:26 offset1:27
	v_add_f64 v[84:85], v[84:85], -v[108:109]
	s_waitcnt lgkmcnt(1)
	v_mul_f64 v[108:109], v[154:155], v[110:111]
	v_fma_f64 v[108:109], v[152:153], v[146:147], -v[108:109]
	v_mul_f64 v[152:153], v[152:153], v[110:111]
	v_fmac_f64_e32 v[152:153], v[154:155], v[146:147]
	s_waitcnt vmcnt(21)
	v_add_f64 v[76:77], v[76:77], -v[108:109]
	s_waitcnt lgkmcnt(0)
	v_mul_f64 v[108:109], v[138:139], v[110:111]
	v_add_f64 v[78:79], v[78:79], -v[152:153]
	v_fma_f64 v[108:109], v[136:137], v[146:147], -v[108:109]
	v_mul_f64 v[136:137], v[136:137], v[110:111]
	ds_read2_b64 v[152:155], v148 offset0:28 offset1:29
	v_fmac_f64_e32 v[136:137], v[138:139], v[146:147]
	s_waitcnt vmcnt(20)
	v_add_f64 v[82:83], v[82:83], -v[136:137]
	ds_read2_b64 v[136:139], v148 offset0:30 offset1:31
	v_add_f64 v[80:81], v[80:81], -v[108:109]
	s_waitcnt lgkmcnt(1)
	v_mul_f64 v[108:109], v[154:155], v[110:111]
	v_fma_f64 v[108:109], v[152:153], v[146:147], -v[108:109]
	v_mul_f64 v[152:153], v[152:153], v[110:111]
	v_fmac_f64_e32 v[152:153], v[154:155], v[146:147]
	s_waitcnt vmcnt(19)
	v_add_f64 v[72:73], v[72:73], -v[108:109]
	s_waitcnt lgkmcnt(0)
	v_mul_f64 v[108:109], v[138:139], v[110:111]
	v_add_f64 v[74:75], v[74:75], -v[152:153]
	v_fma_f64 v[108:109], v[136:137], v[146:147], -v[108:109]
	v_mul_f64 v[136:137], v[136:137], v[110:111]
	ds_read2_b64 v[152:155], v148 offset0:32 offset1:33
	v_fmac_f64_e32 v[136:137], v[138:139], v[146:147]
	s_waitcnt vmcnt(18)
	v_add_f64 v[70:71], v[70:71], -v[136:137]
	ds_read2_b64 v[136:139], v148 offset0:34 offset1:35
	v_add_f64 v[68:69], v[68:69], -v[108:109]
	s_waitcnt lgkmcnt(1)
	v_mul_f64 v[108:109], v[154:155], v[110:111]
	v_fma_f64 v[108:109], v[152:153], v[146:147], -v[108:109]
	v_mul_f64 v[152:153], v[152:153], v[110:111]
	v_fmac_f64_e32 v[152:153], v[154:155], v[146:147]
	s_waitcnt vmcnt(17)
	v_add_f64 v[64:65], v[64:65], -v[108:109]
	s_waitcnt lgkmcnt(0)
	v_mul_f64 v[108:109], v[138:139], v[110:111]
	v_add_f64 v[66:67], v[66:67], -v[152:153]
	v_fma_f64 v[108:109], v[136:137], v[146:147], -v[108:109]
	v_mul_f64 v[136:137], v[136:137], v[110:111]
	ds_read2_b64 v[152:155], v148 offset0:36 offset1:37
	v_fmac_f64_e32 v[136:137], v[138:139], v[146:147]
	s_waitcnt vmcnt(16)
	v_add_f64 v[62:63], v[62:63], -v[136:137]
	ds_read2_b64 v[136:139], v148 offset0:38 offset1:39
	v_add_f64 v[60:61], v[60:61], -v[108:109]
	s_waitcnt lgkmcnt(1)
	v_mul_f64 v[108:109], v[154:155], v[110:111]
	v_fma_f64 v[108:109], v[152:153], v[146:147], -v[108:109]
	v_mul_f64 v[152:153], v[152:153], v[110:111]
	v_fmac_f64_e32 v[152:153], v[154:155], v[146:147]
	s_waitcnt vmcnt(15)
	v_add_f64 v[56:57], v[56:57], -v[108:109]
	s_waitcnt lgkmcnt(0)
	v_mul_f64 v[108:109], v[138:139], v[110:111]
	v_add_f64 v[58:59], v[58:59], -v[152:153]
	v_fma_f64 v[108:109], v[136:137], v[146:147], -v[108:109]
	v_mul_f64 v[136:137], v[136:137], v[110:111]
	ds_read2_b64 v[152:155], v148 offset0:40 offset1:41
	v_fmac_f64_e32 v[136:137], v[138:139], v[146:147]
	s_waitcnt vmcnt(14)
	v_add_f64 v[54:55], v[54:55], -v[136:137]
	ds_read2_b64 v[136:139], v148 offset0:42 offset1:43
	v_add_f64 v[52:53], v[52:53], -v[108:109]
	s_waitcnt lgkmcnt(1)
	v_mul_f64 v[108:109], v[154:155], v[110:111]
	v_fma_f64 v[108:109], v[152:153], v[146:147], -v[108:109]
	v_mul_f64 v[152:153], v[152:153], v[110:111]
	v_fmac_f64_e32 v[152:153], v[154:155], v[146:147]
	s_waitcnt vmcnt(13)
	v_add_f64 v[48:49], v[48:49], -v[108:109]
	s_waitcnt lgkmcnt(0)
	v_mul_f64 v[108:109], v[138:139], v[110:111]
	v_add_f64 v[50:51], v[50:51], -v[152:153]
	v_fma_f64 v[108:109], v[136:137], v[146:147], -v[108:109]
	v_mul_f64 v[136:137], v[136:137], v[110:111]
	ds_read2_b64 v[152:155], v148 offset0:44 offset1:45
	v_fmac_f64_e32 v[136:137], v[138:139], v[146:147]
	s_waitcnt vmcnt(12)
	v_add_f64 v[46:47], v[46:47], -v[136:137]
	ds_read2_b64 v[136:139], v148 offset0:46 offset1:47
	v_add_f64 v[44:45], v[44:45], -v[108:109]
	s_waitcnt lgkmcnt(1)
	v_mul_f64 v[108:109], v[154:155], v[110:111]
	v_fma_f64 v[108:109], v[152:153], v[146:147], -v[108:109]
	v_mul_f64 v[152:153], v[152:153], v[110:111]
	v_fmac_f64_e32 v[152:153], v[154:155], v[146:147]
	s_waitcnt vmcnt(11)
	v_add_f64 v[40:41], v[40:41], -v[108:109]
	s_waitcnt lgkmcnt(0)
	v_mul_f64 v[108:109], v[138:139], v[110:111]
	v_add_f64 v[42:43], v[42:43], -v[152:153]
	v_fma_f64 v[108:109], v[136:137], v[146:147], -v[108:109]
	v_mul_f64 v[136:137], v[136:137], v[110:111]
	ds_read2_b64 v[152:155], v148 offset0:48 offset1:49
	v_fmac_f64_e32 v[136:137], v[138:139], v[146:147]
	s_waitcnt vmcnt(10)
	v_add_f64 v[38:39], v[38:39], -v[136:137]
	ds_read2_b64 v[136:139], v148 offset0:50 offset1:51
	v_add_f64 v[36:37], v[36:37], -v[108:109]
	s_waitcnt lgkmcnt(1)
	v_mul_f64 v[108:109], v[154:155], v[110:111]
	v_fma_f64 v[108:109], v[152:153], v[146:147], -v[108:109]
	v_mul_f64 v[152:153], v[152:153], v[110:111]
	v_fmac_f64_e32 v[152:153], v[154:155], v[146:147]
	s_waitcnt vmcnt(9)
	v_add_f64 v[32:33], v[32:33], -v[108:109]
	s_waitcnt lgkmcnt(0)
	v_mul_f64 v[108:109], v[138:139], v[110:111]
	v_add_f64 v[34:35], v[34:35], -v[152:153]
	v_fma_f64 v[108:109], v[136:137], v[146:147], -v[108:109]
	v_mul_f64 v[136:137], v[136:137], v[110:111]
	ds_read2_b64 v[152:155], v148 offset0:52 offset1:53
	v_fmac_f64_e32 v[136:137], v[138:139], v[146:147]
	s_waitcnt vmcnt(8)
	v_add_f64 v[30:31], v[30:31], -v[136:137]
	ds_read2_b64 v[136:139], v148 offset0:54 offset1:55
	v_add_f64 v[28:29], v[28:29], -v[108:109]
	s_waitcnt lgkmcnt(1)
	v_mul_f64 v[108:109], v[154:155], v[110:111]
	v_fma_f64 v[108:109], v[152:153], v[146:147], -v[108:109]
	v_mul_f64 v[152:153], v[152:153], v[110:111]
	v_fmac_f64_e32 v[152:153], v[154:155], v[146:147]
	s_waitcnt vmcnt(7)
	v_add_f64 v[24:25], v[24:25], -v[108:109]
	s_waitcnt lgkmcnt(0)
	v_mul_f64 v[108:109], v[138:139], v[110:111]
	v_add_f64 v[26:27], v[26:27], -v[152:153]
	v_fma_f64 v[108:109], v[136:137], v[146:147], -v[108:109]
	v_mul_f64 v[136:137], v[136:137], v[110:111]
	ds_read2_b64 v[152:155], v148 offset0:56 offset1:57
	v_fmac_f64_e32 v[136:137], v[138:139], v[146:147]
	s_waitcnt vmcnt(6)
	v_add_f64 v[22:23], v[22:23], -v[136:137]
	ds_read2_b64 v[136:139], v148 offset0:58 offset1:59
	v_add_f64 v[20:21], v[20:21], -v[108:109]
	s_waitcnt lgkmcnt(1)
	v_mul_f64 v[108:109], v[154:155], v[110:111]
	v_fma_f64 v[108:109], v[152:153], v[146:147], -v[108:109]
	v_mul_f64 v[152:153], v[152:153], v[110:111]
	v_fmac_f64_e32 v[152:153], v[154:155], v[146:147]
	s_waitcnt vmcnt(5)
	v_add_f64 v[16:17], v[16:17], -v[108:109]
	s_waitcnt lgkmcnt(0)
	v_mul_f64 v[108:109], v[138:139], v[110:111]
	v_add_f64 v[18:19], v[18:19], -v[152:153]
	v_fma_f64 v[108:109], v[136:137], v[146:147], -v[108:109]
	v_mul_f64 v[136:137], v[136:137], v[110:111]
	ds_read2_b64 v[152:155], v148 offset0:60 offset1:61
	v_fmac_f64_e32 v[136:137], v[138:139], v[146:147]
	s_waitcnt vmcnt(4)
	v_add_f64 v[14:15], v[14:15], -v[136:137]
	ds_read2_b64 v[136:139], v148 offset0:62 offset1:63
	v_add_f64 v[12:13], v[12:13], -v[108:109]
	s_waitcnt lgkmcnt(1)
	v_mul_f64 v[108:109], v[154:155], v[110:111]
	v_fma_f64 v[108:109], v[152:153], v[146:147], -v[108:109]
	v_mul_f64 v[152:153], v[152:153], v[110:111]
	v_fmac_f64_e32 v[152:153], v[154:155], v[146:147]
	s_waitcnt vmcnt(3)
	v_add_f64 v[8:9], v[8:9], -v[108:109]
	s_waitcnt lgkmcnt(0)
	v_mul_f64 v[108:109], v[138:139], v[110:111]
	v_add_f64 v[10:11], v[10:11], -v[152:153]
	v_fma_f64 v[108:109], v[136:137], v[146:147], -v[108:109]
	v_mul_f64 v[136:137], v[136:137], v[110:111]
	ds_read2_b64 v[152:155], v148 offset0:64 offset1:65
	v_fmac_f64_e32 v[136:137], v[138:139], v[146:147]
	s_waitcnt vmcnt(2)
	v_add_f64 v[6:7], v[6:7], -v[136:137]
	ds_read2_b64 v[136:139], v148 offset0:66 offset1:67
	v_add_f64 v[4:5], v[4:5], -v[108:109]
	s_waitcnt lgkmcnt(1)
	v_mul_f64 v[108:109], v[154:155], v[110:111]
	v_fma_f64 v[108:109], v[152:153], v[146:147], -v[108:109]
	s_waitcnt vmcnt(1)
	v_add_f64 v[0:1], v[0:1], -v[108:109]
	s_waitcnt lgkmcnt(0)
	v_mul_f64 v[108:109], v[138:139], v[110:111]
	v_mul_f64 v[152:153], v[152:153], v[110:111]
	v_fma_f64 v[108:109], v[136:137], v[146:147], -v[108:109]
	v_mul_f64 v[136:137], v[136:137], v[110:111]
	v_fmac_f64_e32 v[152:153], v[154:155], v[146:147]
	v_fmac_f64_e32 v[136:137], v[138:139], v[146:147]
	v_add_f64 v[2:3], v[2:3], -v[152:153]
	s_waitcnt vmcnt(0)
	v_add_f64 v[132:133], v[132:133], -v[108:109]
	v_add_f64 v[134:135], v[134:135], -v[136:137]
	v_mov_b64_e32 v[108:109], v[146:147]
.LBB66_167:
	s_or_b64 exec, exec, s[0:1]
	v_lshl_add_u32 v136, v149, 4, v148
	s_barrier
	s_waitcnt vmcnt(25)
	ds_write2_b64 v136, v[104:105], v[106:107] offset1:1
	s_waitcnt lgkmcnt(0)
	s_barrier
	ds_read2_b64 v[136:139], v148 offset0:16 offset1:17
	s_cmp_lt_i32 s20, 10
	v_mov_b32_e32 v146, 8
	s_cbranch_scc1 .LBB66_170
; %bb.168:
	v_add_u32_e32 v147, 0x90, v148
	s_mov_b32 s16, 9
	v_mov_b32_e32 v146, 8
.LBB66_169:                             ; =>This Inner Loop Header: Depth=1
	ds_read2_b64 v[152:155], v147 offset1:1
	s_waitcnt lgkmcnt(1)
	v_xor_b32_e32 v157, 0x80000000, v137
	v_xor_b32_e32 v159, 0x80000000, v139
	v_cmp_gt_f64_e32 vcc, 0, v[138:139]
	v_cmp_gt_f64_e64 s[0:1], 0, v[136:137]
	v_mov_b32_e32 v156, v136
	v_mov_b32_e32 v158, v138
	v_cndmask_b32_e64 v157, v137, v157, s[0:1]
	v_cndmask_b32_e32 v159, v139, v159, vcc
	v_add_f64 v[156:157], v[156:157], v[158:159]
	s_waitcnt lgkmcnt(0)
	v_xor_b32_e32 v159, 0x80000000, v153
	v_xor_b32_e32 v161, 0x80000000, v155
	v_cmp_gt_f64_e32 vcc, 0, v[154:155]
	v_cmp_gt_f64_e64 s[0:1], 0, v[152:153]
	v_mov_b32_e32 v158, v152
	v_mov_b32_e32 v160, v154
	v_cndmask_b32_e64 v159, v153, v159, s[0:1]
	v_cndmask_b32_e32 v161, v155, v161, vcc
	v_add_f64 v[158:159], v[158:159], v[160:161]
	v_mov_b32_e32 v162, s16
	s_add_i32 s16, s16, 1
	v_cmp_lt_f64_e32 vcc, v[156:157], v[158:159]
	v_add_u32_e32 v147, 16, v147
	s_cmp_lg_u32 s20, s16
	v_cndmask_b32_e32 v137, v137, v153, vcc
	v_cndmask_b32_e32 v136, v136, v152, vcc
	;; [unrolled: 1-line block ×5, first 2 shown]
	s_cbranch_scc1 .LBB66_169
.LBB66_170:
	s_waitcnt lgkmcnt(0)
	v_cmp_eq_f64_e32 vcc, 0, v[136:137]
	v_cmp_eq_f64_e64 s[0:1], 0, v[138:139]
	s_and_b64 s[0:1], vcc, s[0:1]
	s_and_saveexec_b64 s[16:17], s[0:1]
	s_xor_b64 s[0:1], exec, s[16:17]
; %bb.171:
	v_cmp_ne_u32_e32 vcc, 0, v150
	s_nop 1
	v_cndmask_b32_e32 v150, 9, v150, vcc
; %bb.172:
	s_andn2_saveexec_b64 s[0:1], s[0:1]
	s_cbranch_execz .LBB66_178
; %bb.173:
	v_cmp_ngt_f64_e64 s[16:17], |v[136:137]|, |v[138:139]|
	s_and_saveexec_b64 s[18:19], s[16:17]
	s_xor_b64 s[16:17], exec, s[18:19]
	s_cbranch_execz .LBB66_175
; %bb.174:
	v_div_scale_f64 v[152:153], s[18:19], v[138:139], v[138:139], v[136:137]
	v_rcp_f64_e32 v[154:155], v[152:153]
	v_div_scale_f64 v[156:157], vcc, v[136:137], v[138:139], v[136:137]
	v_fma_f64 v[158:159], -v[152:153], v[154:155], 1.0
	v_fmac_f64_e32 v[154:155], v[154:155], v[158:159]
	v_fma_f64 v[158:159], -v[152:153], v[154:155], 1.0
	v_fmac_f64_e32 v[154:155], v[154:155], v[158:159]
	v_mul_f64 v[158:159], v[156:157], v[154:155]
	v_fma_f64 v[152:153], -v[152:153], v[158:159], v[156:157]
	v_div_fmas_f64 v[152:153], v[152:153], v[154:155], v[158:159]
	v_div_fixup_f64 v[152:153], v[152:153], v[138:139], v[136:137]
	v_fmac_f64_e32 v[138:139], v[136:137], v[152:153]
	v_div_scale_f64 v[136:137], s[18:19], v[138:139], v[138:139], 1.0
	v_rcp_f64_e32 v[154:155], v[136:137]
	s_nop 0
	v_fma_f64 v[156:157], -v[136:137], v[154:155], 1.0
	v_fmac_f64_e32 v[154:155], v[154:155], v[156:157]
	v_fma_f64 v[156:157], -v[136:137], v[154:155], 1.0
	v_fmac_f64_e32 v[154:155], v[154:155], v[156:157]
	v_div_scale_f64 v[156:157], vcc, 1.0, v[138:139], 1.0
	v_mul_f64 v[158:159], v[156:157], v[154:155]
	v_fma_f64 v[136:137], -v[136:137], v[158:159], v[156:157]
	s_nop 1
	v_div_fmas_f64 v[136:137], v[136:137], v[154:155], v[158:159]
	v_div_fixup_f64 v[138:139], v[136:137], v[138:139], 1.0
	v_mul_f64 v[136:137], v[152:153], v[138:139]
	v_xor_b32_e32 v139, 0x80000000, v139
.LBB66_175:
	s_andn2_saveexec_b64 s[16:17], s[16:17]
	s_cbranch_execz .LBB66_177
; %bb.176:
	v_div_scale_f64 v[152:153], s[18:19], v[136:137], v[136:137], v[138:139]
	v_rcp_f64_e32 v[154:155], v[152:153]
	v_div_scale_f64 v[156:157], vcc, v[138:139], v[136:137], v[138:139]
	v_fma_f64 v[158:159], -v[152:153], v[154:155], 1.0
	v_fmac_f64_e32 v[154:155], v[154:155], v[158:159]
	v_fma_f64 v[158:159], -v[152:153], v[154:155], 1.0
	v_fmac_f64_e32 v[154:155], v[154:155], v[158:159]
	v_mul_f64 v[158:159], v[156:157], v[154:155]
	v_fma_f64 v[152:153], -v[152:153], v[158:159], v[156:157]
	v_div_fmas_f64 v[152:153], v[152:153], v[154:155], v[158:159]
	v_div_fixup_f64 v[152:153], v[152:153], v[136:137], v[138:139]
	v_fmac_f64_e32 v[136:137], v[138:139], v[152:153]
	v_div_scale_f64 v[138:139], s[18:19], v[136:137], v[136:137], 1.0
	v_rcp_f64_e32 v[154:155], v[138:139]
	s_nop 0
	v_fma_f64 v[156:157], -v[138:139], v[154:155], 1.0
	v_fmac_f64_e32 v[154:155], v[154:155], v[156:157]
	v_fma_f64 v[156:157], -v[138:139], v[154:155], 1.0
	v_fmac_f64_e32 v[154:155], v[154:155], v[156:157]
	v_div_scale_f64 v[156:157], vcc, 1.0, v[136:137], 1.0
	v_mul_f64 v[158:159], v[156:157], v[154:155]
	v_fma_f64 v[138:139], -v[138:139], v[158:159], v[156:157]
	s_nop 1
	v_div_fmas_f64 v[138:139], v[138:139], v[154:155], v[158:159]
	v_div_fixup_f64 v[136:137], v[138:139], v[136:137], 1.0
	v_mul_f64 v[138:139], v[152:153], -v[136:137]
.LBB66_177:
	s_or_b64 exec, exec, s[16:17]
.LBB66_178:
	s_or_b64 exec, exec, s[0:1]
	v_cmp_ne_u32_e32 vcc, v149, v146
	s_and_saveexec_b64 s[0:1], vcc
	s_xor_b64 s[0:1], exec, s[0:1]
	s_cbranch_execz .LBB66_184
; %bb.179:
	v_cmp_eq_u32_e32 vcc, 8, v149
	s_and_saveexec_b64 s[16:17], vcc
	s_cbranch_execz .LBB66_183
; %bb.180:
	v_cmp_ne_u32_e32 vcc, 8, v146
	s_xor_b64 s[18:19], s[14:15], -1
	s_and_b64 s[22:23], s[18:19], vcc
	s_and_saveexec_b64 s[18:19], s[22:23]
	s_cbranch_execz .LBB66_182
; %bb.181:
	v_ashrrev_i32_e32 v147, 31, v146
	v_lshl_add_u64 v[152:153], v[146:147], 2, v[144:145]
	global_load_dword v147, v[152:153], off
	global_load_dword v149, v[144:145], off offset:32
	s_waitcnt vmcnt(1)
	global_store_dword v[144:145], v147, off offset:32
	s_waitcnt vmcnt(1)
	global_store_dword v[152:153], v149, off
.LBB66_182:
	s_or_b64 exec, exec, s[18:19]
	v_mov_b32_e32 v149, v146
	v_mov_b32_e32 v151, v146
.LBB66_183:
	s_or_b64 exec, exec, s[16:17]
.LBB66_184:
	s_andn2_saveexec_b64 s[0:1], s[0:1]
	s_cbranch_execz .LBB66_186
; %bb.185:
	v_mov_b32_e32 v149, 8
	s_waitcnt vmcnt(24)
	ds_write2_b64 v148, v[100:101], v[102:103] offset0:18 offset1:19
	s_waitcnt vmcnt(23)
	ds_write2_b64 v148, v[96:97], v[98:99] offset0:20 offset1:21
	;; [unrolled: 2-line block ×25, first 2 shown]
.LBB66_186:
	s_or_b64 exec, exec, s[0:1]
	v_cmp_lt_i32_e32 vcc, 8, v149
	s_waitcnt lgkmcnt(0)
	s_barrier
	s_and_saveexec_b64 s[0:1], vcc
	s_cbranch_execz .LBB66_188
; %bb.187:
	ds_read2_b64 v[152:155], v148 offset0:18 offset1:19
	v_mul_f64 v[146:147], v[138:139], v[106:107]
	v_mul_f64 v[106:107], v[136:137], v[106:107]
	v_fmac_f64_e32 v[106:107], v[138:139], v[104:105]
	v_fma_f64 v[146:147], v[136:137], v[104:105], -v[146:147]
	ds_read2_b64 v[136:139], v148 offset0:20 offset1:21
	s_waitcnt lgkmcnt(1)
	v_mul_f64 v[104:105], v[154:155], v[106:107]
	v_fma_f64 v[104:105], v[152:153], v[146:147], -v[104:105]
	v_mul_f64 v[152:153], v[152:153], v[106:107]
	v_fmac_f64_e32 v[152:153], v[154:155], v[146:147]
	s_waitcnt vmcnt(24)
	v_add_f64 v[102:103], v[102:103], -v[152:153]
	ds_read2_b64 v[152:155], v148 offset0:22 offset1:23
	v_add_f64 v[100:101], v[100:101], -v[104:105]
	s_waitcnt lgkmcnt(1)
	v_mul_f64 v[104:105], v[138:139], v[106:107]
	v_fma_f64 v[104:105], v[136:137], v[146:147], -v[104:105]
	v_mul_f64 v[136:137], v[136:137], v[106:107]
	v_fmac_f64_e32 v[136:137], v[138:139], v[146:147]
	s_waitcnt vmcnt(23)
	v_add_f64 v[96:97], v[96:97], -v[104:105]
	v_add_f64 v[98:99], v[98:99], -v[136:137]
	ds_read2_b64 v[136:139], v148 offset0:24 offset1:25
	s_waitcnt lgkmcnt(1)
	v_mul_f64 v[104:105], v[154:155], v[106:107]
	v_fma_f64 v[104:105], v[152:153], v[146:147], -v[104:105]
	v_mul_f64 v[152:153], v[152:153], v[106:107]
	v_fmac_f64_e32 v[152:153], v[154:155], v[146:147]
	s_waitcnt vmcnt(22)
	v_add_f64 v[86:87], v[86:87], -v[152:153]
	ds_read2_b64 v[152:155], v148 offset0:26 offset1:27
	v_add_f64 v[84:85], v[84:85], -v[104:105]
	s_waitcnt lgkmcnt(1)
	v_mul_f64 v[104:105], v[138:139], v[106:107]
	v_fma_f64 v[104:105], v[136:137], v[146:147], -v[104:105]
	v_mul_f64 v[136:137], v[136:137], v[106:107]
	v_fmac_f64_e32 v[136:137], v[138:139], v[146:147]
	s_waitcnt vmcnt(21)
	v_add_f64 v[76:77], v[76:77], -v[104:105]
	v_add_f64 v[78:79], v[78:79], -v[136:137]
	;; [unrolled: 18-line block ×12, first 2 shown]
	s_waitcnt lgkmcnt(0)
	v_mul_f64 v[104:105], v[154:155], v[106:107]
	v_mul_f64 v[136:137], v[152:153], v[106:107]
	v_fma_f64 v[104:105], v[152:153], v[146:147], -v[104:105]
	v_fmac_f64_e32 v[136:137], v[154:155], v[146:147]
	s_waitcnt vmcnt(0)
	v_add_f64 v[132:133], v[132:133], -v[104:105]
	v_add_f64 v[134:135], v[134:135], -v[136:137]
	v_mov_b64_e32 v[104:105], v[146:147]
.LBB66_188:
	s_or_b64 exec, exec, s[0:1]
	v_lshl_add_u32 v136, v149, 4, v148
	s_barrier
	s_waitcnt vmcnt(24)
	ds_write2_b64 v136, v[100:101], v[102:103] offset1:1
	s_waitcnt lgkmcnt(0)
	s_barrier
	ds_read2_b64 v[136:139], v148 offset0:18 offset1:19
	s_cmp_lt_i32 s20, 11
	v_mov_b32_e32 v146, 9
	s_cbranch_scc1 .LBB66_191
; %bb.189:
	v_add_u32_e32 v147, 0xa0, v148
	s_mov_b32 s16, 10
	v_mov_b32_e32 v146, 9
.LBB66_190:                             ; =>This Inner Loop Header: Depth=1
	ds_read2_b64 v[152:155], v147 offset1:1
	s_waitcnt lgkmcnt(1)
	v_xor_b32_e32 v157, 0x80000000, v137
	v_xor_b32_e32 v159, 0x80000000, v139
	v_cmp_gt_f64_e32 vcc, 0, v[138:139]
	v_cmp_gt_f64_e64 s[0:1], 0, v[136:137]
	v_mov_b32_e32 v156, v136
	v_mov_b32_e32 v158, v138
	v_cndmask_b32_e64 v157, v137, v157, s[0:1]
	v_cndmask_b32_e32 v159, v139, v159, vcc
	v_add_f64 v[156:157], v[156:157], v[158:159]
	s_waitcnt lgkmcnt(0)
	v_xor_b32_e32 v159, 0x80000000, v153
	v_xor_b32_e32 v161, 0x80000000, v155
	v_cmp_gt_f64_e32 vcc, 0, v[154:155]
	v_cmp_gt_f64_e64 s[0:1], 0, v[152:153]
	v_mov_b32_e32 v158, v152
	v_mov_b32_e32 v160, v154
	v_cndmask_b32_e64 v159, v153, v159, s[0:1]
	v_cndmask_b32_e32 v161, v155, v161, vcc
	v_add_f64 v[158:159], v[158:159], v[160:161]
	v_mov_b32_e32 v162, s16
	s_add_i32 s16, s16, 1
	v_cmp_lt_f64_e32 vcc, v[156:157], v[158:159]
	v_add_u32_e32 v147, 16, v147
	s_cmp_lg_u32 s20, s16
	v_cndmask_b32_e32 v137, v137, v153, vcc
	v_cndmask_b32_e32 v136, v136, v152, vcc
	;; [unrolled: 1-line block ×5, first 2 shown]
	s_cbranch_scc1 .LBB66_190
.LBB66_191:
	s_waitcnt lgkmcnt(0)
	v_cmp_eq_f64_e32 vcc, 0, v[136:137]
	v_cmp_eq_f64_e64 s[0:1], 0, v[138:139]
	s_and_b64 s[0:1], vcc, s[0:1]
	s_and_saveexec_b64 s[16:17], s[0:1]
	s_xor_b64 s[0:1], exec, s[16:17]
; %bb.192:
	v_cmp_ne_u32_e32 vcc, 0, v150
	s_nop 1
	v_cndmask_b32_e32 v150, 10, v150, vcc
; %bb.193:
	s_andn2_saveexec_b64 s[0:1], s[0:1]
	s_cbranch_execz .LBB66_199
; %bb.194:
	v_cmp_ngt_f64_e64 s[16:17], |v[136:137]|, |v[138:139]|
	s_and_saveexec_b64 s[18:19], s[16:17]
	s_xor_b64 s[16:17], exec, s[18:19]
	s_cbranch_execz .LBB66_196
; %bb.195:
	v_div_scale_f64 v[152:153], s[18:19], v[138:139], v[138:139], v[136:137]
	v_rcp_f64_e32 v[154:155], v[152:153]
	v_div_scale_f64 v[156:157], vcc, v[136:137], v[138:139], v[136:137]
	v_fma_f64 v[158:159], -v[152:153], v[154:155], 1.0
	v_fmac_f64_e32 v[154:155], v[154:155], v[158:159]
	v_fma_f64 v[158:159], -v[152:153], v[154:155], 1.0
	v_fmac_f64_e32 v[154:155], v[154:155], v[158:159]
	v_mul_f64 v[158:159], v[156:157], v[154:155]
	v_fma_f64 v[152:153], -v[152:153], v[158:159], v[156:157]
	v_div_fmas_f64 v[152:153], v[152:153], v[154:155], v[158:159]
	v_div_fixup_f64 v[152:153], v[152:153], v[138:139], v[136:137]
	v_fmac_f64_e32 v[138:139], v[136:137], v[152:153]
	v_div_scale_f64 v[136:137], s[18:19], v[138:139], v[138:139], 1.0
	v_rcp_f64_e32 v[154:155], v[136:137]
	s_nop 0
	v_fma_f64 v[156:157], -v[136:137], v[154:155], 1.0
	v_fmac_f64_e32 v[154:155], v[154:155], v[156:157]
	v_fma_f64 v[156:157], -v[136:137], v[154:155], 1.0
	v_fmac_f64_e32 v[154:155], v[154:155], v[156:157]
	v_div_scale_f64 v[156:157], vcc, 1.0, v[138:139], 1.0
	v_mul_f64 v[158:159], v[156:157], v[154:155]
	v_fma_f64 v[136:137], -v[136:137], v[158:159], v[156:157]
	s_nop 1
	v_div_fmas_f64 v[136:137], v[136:137], v[154:155], v[158:159]
	v_div_fixup_f64 v[138:139], v[136:137], v[138:139], 1.0
	v_mul_f64 v[136:137], v[152:153], v[138:139]
	v_xor_b32_e32 v139, 0x80000000, v139
.LBB66_196:
	s_andn2_saveexec_b64 s[16:17], s[16:17]
	s_cbranch_execz .LBB66_198
; %bb.197:
	v_div_scale_f64 v[152:153], s[18:19], v[136:137], v[136:137], v[138:139]
	v_rcp_f64_e32 v[154:155], v[152:153]
	v_div_scale_f64 v[156:157], vcc, v[138:139], v[136:137], v[138:139]
	v_fma_f64 v[158:159], -v[152:153], v[154:155], 1.0
	v_fmac_f64_e32 v[154:155], v[154:155], v[158:159]
	v_fma_f64 v[158:159], -v[152:153], v[154:155], 1.0
	v_fmac_f64_e32 v[154:155], v[154:155], v[158:159]
	v_mul_f64 v[158:159], v[156:157], v[154:155]
	v_fma_f64 v[152:153], -v[152:153], v[158:159], v[156:157]
	v_div_fmas_f64 v[152:153], v[152:153], v[154:155], v[158:159]
	v_div_fixup_f64 v[152:153], v[152:153], v[136:137], v[138:139]
	v_fmac_f64_e32 v[136:137], v[138:139], v[152:153]
	v_div_scale_f64 v[138:139], s[18:19], v[136:137], v[136:137], 1.0
	v_rcp_f64_e32 v[154:155], v[138:139]
	s_nop 0
	v_fma_f64 v[156:157], -v[138:139], v[154:155], 1.0
	v_fmac_f64_e32 v[154:155], v[154:155], v[156:157]
	v_fma_f64 v[156:157], -v[138:139], v[154:155], 1.0
	v_fmac_f64_e32 v[154:155], v[154:155], v[156:157]
	v_div_scale_f64 v[156:157], vcc, 1.0, v[136:137], 1.0
	v_mul_f64 v[158:159], v[156:157], v[154:155]
	v_fma_f64 v[138:139], -v[138:139], v[158:159], v[156:157]
	s_nop 1
	v_div_fmas_f64 v[138:139], v[138:139], v[154:155], v[158:159]
	v_div_fixup_f64 v[136:137], v[138:139], v[136:137], 1.0
	v_mul_f64 v[138:139], v[152:153], -v[136:137]
.LBB66_198:
	s_or_b64 exec, exec, s[16:17]
.LBB66_199:
	s_or_b64 exec, exec, s[0:1]
	v_cmp_ne_u32_e32 vcc, v149, v146
	s_and_saveexec_b64 s[0:1], vcc
	s_xor_b64 s[0:1], exec, s[0:1]
	s_cbranch_execz .LBB66_205
; %bb.200:
	v_cmp_eq_u32_e32 vcc, 9, v149
	s_and_saveexec_b64 s[16:17], vcc
	s_cbranch_execz .LBB66_204
; %bb.201:
	v_cmp_ne_u32_e32 vcc, 9, v146
	s_xor_b64 s[18:19], s[14:15], -1
	s_and_b64 s[22:23], s[18:19], vcc
	s_and_saveexec_b64 s[18:19], s[22:23]
	s_cbranch_execz .LBB66_203
; %bb.202:
	v_ashrrev_i32_e32 v147, 31, v146
	v_lshl_add_u64 v[152:153], v[146:147], 2, v[144:145]
	global_load_dword v147, v[152:153], off
	global_load_dword v149, v[144:145], off offset:36
	s_waitcnt vmcnt(1)
	global_store_dword v[144:145], v147, off offset:36
	s_waitcnt vmcnt(1)
	global_store_dword v[152:153], v149, off
.LBB66_203:
	s_or_b64 exec, exec, s[18:19]
	v_mov_b32_e32 v149, v146
	v_mov_b32_e32 v151, v146
.LBB66_204:
	s_or_b64 exec, exec, s[16:17]
.LBB66_205:
	s_andn2_saveexec_b64 s[0:1], s[0:1]
	s_cbranch_execz .LBB66_207
; %bb.206:
	v_mov_b32_e32 v149, 9
	s_waitcnt vmcnt(23)
	ds_write2_b64 v148, v[96:97], v[98:99] offset0:20 offset1:21
	s_waitcnt vmcnt(22)
	ds_write2_b64 v148, v[84:85], v[86:87] offset0:22 offset1:23
	s_waitcnt vmcnt(21)
	ds_write2_b64 v148, v[76:77], v[78:79] offset0:24 offset1:25
	s_waitcnt vmcnt(20)
	ds_write2_b64 v148, v[80:81], v[82:83] offset0:26 offset1:27
	s_waitcnt vmcnt(19)
	ds_write2_b64 v148, v[72:73], v[74:75] offset0:28 offset1:29
	s_waitcnt vmcnt(18)
	ds_write2_b64 v148, v[68:69], v[70:71] offset0:30 offset1:31
	s_waitcnt vmcnt(17)
	ds_write2_b64 v148, v[64:65], v[66:67] offset0:32 offset1:33
	s_waitcnt vmcnt(16)
	ds_write2_b64 v148, v[60:61], v[62:63] offset0:34 offset1:35
	s_waitcnt vmcnt(15)
	ds_write2_b64 v148, v[56:57], v[58:59] offset0:36 offset1:37
	s_waitcnt vmcnt(14)
	ds_write2_b64 v148, v[52:53], v[54:55] offset0:38 offset1:39
	s_waitcnt vmcnt(13)
	ds_write2_b64 v148, v[48:49], v[50:51] offset0:40 offset1:41
	s_waitcnt vmcnt(12)
	ds_write2_b64 v148, v[44:45], v[46:47] offset0:42 offset1:43
	s_waitcnt vmcnt(11)
	ds_write2_b64 v148, v[40:41], v[42:43] offset0:44 offset1:45
	s_waitcnt vmcnt(10)
	ds_write2_b64 v148, v[36:37], v[38:39] offset0:46 offset1:47
	s_waitcnt vmcnt(9)
	ds_write2_b64 v148, v[32:33], v[34:35] offset0:48 offset1:49
	s_waitcnt vmcnt(8)
	ds_write2_b64 v148, v[28:29], v[30:31] offset0:50 offset1:51
	s_waitcnt vmcnt(7)
	ds_write2_b64 v148, v[24:25], v[26:27] offset0:52 offset1:53
	s_waitcnt vmcnt(6)
	ds_write2_b64 v148, v[20:21], v[22:23] offset0:54 offset1:55
	s_waitcnt vmcnt(5)
	ds_write2_b64 v148, v[16:17], v[18:19] offset0:56 offset1:57
	s_waitcnt vmcnt(4)
	ds_write2_b64 v148, v[12:13], v[14:15] offset0:58 offset1:59
	s_waitcnt vmcnt(3)
	ds_write2_b64 v148, v[8:9], v[10:11] offset0:60 offset1:61
	s_waitcnt vmcnt(2)
	ds_write2_b64 v148, v[4:5], v[6:7] offset0:62 offset1:63
	s_waitcnt vmcnt(1)
	ds_write2_b64 v148, v[0:1], v[2:3] offset0:64 offset1:65
	s_waitcnt vmcnt(0)
	ds_write2_b64 v148, v[132:133], v[134:135] offset0:66 offset1:67
.LBB66_207:
	s_or_b64 exec, exec, s[0:1]
	v_cmp_lt_i32_e32 vcc, 9, v149
	s_waitcnt lgkmcnt(0)
	s_barrier
	s_and_saveexec_b64 s[0:1], vcc
	s_cbranch_execz .LBB66_209
; %bb.208:
	ds_read2_b64 v[152:155], v148 offset0:20 offset1:21
	v_mul_f64 v[146:147], v[138:139], v[102:103]
	v_mul_f64 v[102:103], v[136:137], v[102:103]
	v_fma_f64 v[146:147], v[136:137], v[100:101], -v[146:147]
	v_fmac_f64_e32 v[102:103], v[138:139], v[100:101]
	ds_read2_b64 v[136:139], v148 offset0:22 offset1:23
	s_waitcnt lgkmcnt(1)
	v_mul_f64 v[100:101], v[154:155], v[102:103]
	v_fma_f64 v[100:101], v[152:153], v[146:147], -v[100:101]
	v_mul_f64 v[152:153], v[152:153], v[102:103]
	v_fmac_f64_e32 v[152:153], v[154:155], v[146:147]
	s_waitcnt vmcnt(23)
	v_add_f64 v[96:97], v[96:97], -v[100:101]
	s_waitcnt lgkmcnt(0)
	v_mul_f64 v[100:101], v[138:139], v[102:103]
	v_add_f64 v[98:99], v[98:99], -v[152:153]
	v_fma_f64 v[100:101], v[136:137], v[146:147], -v[100:101]
	v_mul_f64 v[136:137], v[136:137], v[102:103]
	ds_read2_b64 v[152:155], v148 offset0:24 offset1:25
	v_fmac_f64_e32 v[136:137], v[138:139], v[146:147]
	s_waitcnt vmcnt(22)
	v_add_f64 v[86:87], v[86:87], -v[136:137]
	ds_read2_b64 v[136:139], v148 offset0:26 offset1:27
	v_add_f64 v[84:85], v[84:85], -v[100:101]
	s_waitcnt lgkmcnt(1)
	v_mul_f64 v[100:101], v[154:155], v[102:103]
	v_fma_f64 v[100:101], v[152:153], v[146:147], -v[100:101]
	v_mul_f64 v[152:153], v[152:153], v[102:103]
	v_fmac_f64_e32 v[152:153], v[154:155], v[146:147]
	s_waitcnt vmcnt(21)
	v_add_f64 v[76:77], v[76:77], -v[100:101]
	s_waitcnt lgkmcnt(0)
	v_mul_f64 v[100:101], v[138:139], v[102:103]
	v_add_f64 v[78:79], v[78:79], -v[152:153]
	v_fma_f64 v[100:101], v[136:137], v[146:147], -v[100:101]
	v_mul_f64 v[136:137], v[136:137], v[102:103]
	ds_read2_b64 v[152:155], v148 offset0:28 offset1:29
	v_fmac_f64_e32 v[136:137], v[138:139], v[146:147]
	s_waitcnt vmcnt(20)
	v_add_f64 v[82:83], v[82:83], -v[136:137]
	ds_read2_b64 v[136:139], v148 offset0:30 offset1:31
	v_add_f64 v[80:81], v[80:81], -v[100:101]
	;; [unrolled: 18-line block ×11, first 2 shown]
	s_waitcnt lgkmcnt(1)
	v_mul_f64 v[100:101], v[154:155], v[102:103]
	v_fma_f64 v[100:101], v[152:153], v[146:147], -v[100:101]
	s_waitcnt vmcnt(1)
	v_add_f64 v[0:1], v[0:1], -v[100:101]
	s_waitcnt lgkmcnt(0)
	v_mul_f64 v[100:101], v[138:139], v[102:103]
	v_mul_f64 v[152:153], v[152:153], v[102:103]
	v_fma_f64 v[100:101], v[136:137], v[146:147], -v[100:101]
	v_mul_f64 v[136:137], v[136:137], v[102:103]
	v_fmac_f64_e32 v[152:153], v[154:155], v[146:147]
	v_fmac_f64_e32 v[136:137], v[138:139], v[146:147]
	v_add_f64 v[2:3], v[2:3], -v[152:153]
	s_waitcnt vmcnt(0)
	v_add_f64 v[132:133], v[132:133], -v[100:101]
	v_add_f64 v[134:135], v[134:135], -v[136:137]
	v_mov_b64_e32 v[100:101], v[146:147]
.LBB66_209:
	s_or_b64 exec, exec, s[0:1]
	v_lshl_add_u32 v136, v149, 4, v148
	s_barrier
	s_waitcnt vmcnt(23)
	ds_write2_b64 v136, v[96:97], v[98:99] offset1:1
	s_waitcnt lgkmcnt(0)
	s_barrier
	ds_read2_b64 v[136:139], v148 offset0:20 offset1:21
	s_cmp_lt_i32 s20, 12
	v_mov_b32_e32 v146, 10
	s_cbranch_scc1 .LBB66_212
; %bb.210:
	v_add_u32_e32 v147, 0xb0, v148
	s_mov_b32 s16, 11
	v_mov_b32_e32 v146, 10
.LBB66_211:                             ; =>This Inner Loop Header: Depth=1
	ds_read2_b64 v[152:155], v147 offset1:1
	s_waitcnt lgkmcnt(1)
	v_xor_b32_e32 v157, 0x80000000, v137
	v_xor_b32_e32 v159, 0x80000000, v139
	v_cmp_gt_f64_e32 vcc, 0, v[138:139]
	v_cmp_gt_f64_e64 s[0:1], 0, v[136:137]
	v_mov_b32_e32 v156, v136
	v_mov_b32_e32 v158, v138
	v_cndmask_b32_e64 v157, v137, v157, s[0:1]
	v_cndmask_b32_e32 v159, v139, v159, vcc
	v_add_f64 v[156:157], v[156:157], v[158:159]
	s_waitcnt lgkmcnt(0)
	v_xor_b32_e32 v159, 0x80000000, v153
	v_xor_b32_e32 v161, 0x80000000, v155
	v_cmp_gt_f64_e32 vcc, 0, v[154:155]
	v_cmp_gt_f64_e64 s[0:1], 0, v[152:153]
	v_mov_b32_e32 v158, v152
	v_mov_b32_e32 v160, v154
	v_cndmask_b32_e64 v159, v153, v159, s[0:1]
	v_cndmask_b32_e32 v161, v155, v161, vcc
	v_add_f64 v[158:159], v[158:159], v[160:161]
	v_mov_b32_e32 v162, s16
	s_add_i32 s16, s16, 1
	v_cmp_lt_f64_e32 vcc, v[156:157], v[158:159]
	v_add_u32_e32 v147, 16, v147
	s_cmp_lg_u32 s20, s16
	v_cndmask_b32_e32 v137, v137, v153, vcc
	v_cndmask_b32_e32 v136, v136, v152, vcc
	;; [unrolled: 1-line block ×5, first 2 shown]
	s_cbranch_scc1 .LBB66_211
.LBB66_212:
	s_waitcnt lgkmcnt(0)
	v_cmp_eq_f64_e32 vcc, 0, v[136:137]
	v_cmp_eq_f64_e64 s[0:1], 0, v[138:139]
	s_and_b64 s[0:1], vcc, s[0:1]
	s_and_saveexec_b64 s[16:17], s[0:1]
	s_xor_b64 s[0:1], exec, s[16:17]
; %bb.213:
	v_cmp_ne_u32_e32 vcc, 0, v150
	s_nop 1
	v_cndmask_b32_e32 v150, 11, v150, vcc
; %bb.214:
	s_andn2_saveexec_b64 s[0:1], s[0:1]
	s_cbranch_execz .LBB66_220
; %bb.215:
	v_cmp_ngt_f64_e64 s[16:17], |v[136:137]|, |v[138:139]|
	s_and_saveexec_b64 s[18:19], s[16:17]
	s_xor_b64 s[16:17], exec, s[18:19]
	s_cbranch_execz .LBB66_217
; %bb.216:
	v_div_scale_f64 v[152:153], s[18:19], v[138:139], v[138:139], v[136:137]
	v_rcp_f64_e32 v[154:155], v[152:153]
	v_div_scale_f64 v[156:157], vcc, v[136:137], v[138:139], v[136:137]
	v_fma_f64 v[158:159], -v[152:153], v[154:155], 1.0
	v_fmac_f64_e32 v[154:155], v[154:155], v[158:159]
	v_fma_f64 v[158:159], -v[152:153], v[154:155], 1.0
	v_fmac_f64_e32 v[154:155], v[154:155], v[158:159]
	v_mul_f64 v[158:159], v[156:157], v[154:155]
	v_fma_f64 v[152:153], -v[152:153], v[158:159], v[156:157]
	v_div_fmas_f64 v[152:153], v[152:153], v[154:155], v[158:159]
	v_div_fixup_f64 v[152:153], v[152:153], v[138:139], v[136:137]
	v_fmac_f64_e32 v[138:139], v[136:137], v[152:153]
	v_div_scale_f64 v[136:137], s[18:19], v[138:139], v[138:139], 1.0
	v_rcp_f64_e32 v[154:155], v[136:137]
	s_nop 0
	v_fma_f64 v[156:157], -v[136:137], v[154:155], 1.0
	v_fmac_f64_e32 v[154:155], v[154:155], v[156:157]
	v_fma_f64 v[156:157], -v[136:137], v[154:155], 1.0
	v_fmac_f64_e32 v[154:155], v[154:155], v[156:157]
	v_div_scale_f64 v[156:157], vcc, 1.0, v[138:139], 1.0
	v_mul_f64 v[158:159], v[156:157], v[154:155]
	v_fma_f64 v[136:137], -v[136:137], v[158:159], v[156:157]
	s_nop 1
	v_div_fmas_f64 v[136:137], v[136:137], v[154:155], v[158:159]
	v_div_fixup_f64 v[138:139], v[136:137], v[138:139], 1.0
	v_mul_f64 v[136:137], v[152:153], v[138:139]
	v_xor_b32_e32 v139, 0x80000000, v139
.LBB66_217:
	s_andn2_saveexec_b64 s[16:17], s[16:17]
	s_cbranch_execz .LBB66_219
; %bb.218:
	v_div_scale_f64 v[152:153], s[18:19], v[136:137], v[136:137], v[138:139]
	v_rcp_f64_e32 v[154:155], v[152:153]
	v_div_scale_f64 v[156:157], vcc, v[138:139], v[136:137], v[138:139]
	v_fma_f64 v[158:159], -v[152:153], v[154:155], 1.0
	v_fmac_f64_e32 v[154:155], v[154:155], v[158:159]
	v_fma_f64 v[158:159], -v[152:153], v[154:155], 1.0
	v_fmac_f64_e32 v[154:155], v[154:155], v[158:159]
	v_mul_f64 v[158:159], v[156:157], v[154:155]
	v_fma_f64 v[152:153], -v[152:153], v[158:159], v[156:157]
	v_div_fmas_f64 v[152:153], v[152:153], v[154:155], v[158:159]
	v_div_fixup_f64 v[152:153], v[152:153], v[136:137], v[138:139]
	v_fmac_f64_e32 v[136:137], v[138:139], v[152:153]
	v_div_scale_f64 v[138:139], s[18:19], v[136:137], v[136:137], 1.0
	v_rcp_f64_e32 v[154:155], v[138:139]
	s_nop 0
	v_fma_f64 v[156:157], -v[138:139], v[154:155], 1.0
	v_fmac_f64_e32 v[154:155], v[154:155], v[156:157]
	v_fma_f64 v[156:157], -v[138:139], v[154:155], 1.0
	v_fmac_f64_e32 v[154:155], v[154:155], v[156:157]
	v_div_scale_f64 v[156:157], vcc, 1.0, v[136:137], 1.0
	v_mul_f64 v[158:159], v[156:157], v[154:155]
	v_fma_f64 v[138:139], -v[138:139], v[158:159], v[156:157]
	s_nop 1
	v_div_fmas_f64 v[138:139], v[138:139], v[154:155], v[158:159]
	v_div_fixup_f64 v[136:137], v[138:139], v[136:137], 1.0
	v_mul_f64 v[138:139], v[152:153], -v[136:137]
.LBB66_219:
	s_or_b64 exec, exec, s[16:17]
.LBB66_220:
	s_or_b64 exec, exec, s[0:1]
	v_cmp_ne_u32_e32 vcc, v149, v146
	s_and_saveexec_b64 s[0:1], vcc
	s_xor_b64 s[0:1], exec, s[0:1]
	s_cbranch_execz .LBB66_226
; %bb.221:
	v_cmp_eq_u32_e32 vcc, 10, v149
	s_and_saveexec_b64 s[16:17], vcc
	s_cbranch_execz .LBB66_225
; %bb.222:
	v_cmp_ne_u32_e32 vcc, 10, v146
	s_xor_b64 s[18:19], s[14:15], -1
	s_and_b64 s[22:23], s[18:19], vcc
	s_and_saveexec_b64 s[18:19], s[22:23]
	s_cbranch_execz .LBB66_224
; %bb.223:
	v_ashrrev_i32_e32 v147, 31, v146
	v_lshl_add_u64 v[152:153], v[146:147], 2, v[144:145]
	global_load_dword v147, v[152:153], off
	global_load_dword v149, v[144:145], off offset:40
	s_waitcnt vmcnt(1)
	global_store_dword v[144:145], v147, off offset:40
	s_waitcnt vmcnt(1)
	global_store_dword v[152:153], v149, off
.LBB66_224:
	s_or_b64 exec, exec, s[18:19]
	v_mov_b32_e32 v149, v146
	v_mov_b32_e32 v151, v146
.LBB66_225:
	s_or_b64 exec, exec, s[16:17]
.LBB66_226:
	s_andn2_saveexec_b64 s[0:1], s[0:1]
	s_cbranch_execz .LBB66_228
; %bb.227:
	v_mov_b32_e32 v149, 10
	s_waitcnt vmcnt(22)
	ds_write2_b64 v148, v[84:85], v[86:87] offset0:22 offset1:23
	s_waitcnt vmcnt(21)
	ds_write2_b64 v148, v[76:77], v[78:79] offset0:24 offset1:25
	;; [unrolled: 2-line block ×23, first 2 shown]
.LBB66_228:
	s_or_b64 exec, exec, s[0:1]
	v_cmp_lt_i32_e32 vcc, 10, v149
	s_waitcnt lgkmcnt(0)
	s_barrier
	s_and_saveexec_b64 s[0:1], vcc
	s_cbranch_execz .LBB66_230
; %bb.229:
	ds_read2_b64 v[152:155], v148 offset0:22 offset1:23
	v_mul_f64 v[146:147], v[138:139], v[98:99]
	v_mul_f64 v[98:99], v[136:137], v[98:99]
	v_fmac_f64_e32 v[98:99], v[138:139], v[96:97]
	v_fma_f64 v[146:147], v[136:137], v[96:97], -v[146:147]
	ds_read2_b64 v[136:139], v148 offset0:24 offset1:25
	s_waitcnt lgkmcnt(1)
	v_mul_f64 v[96:97], v[154:155], v[98:99]
	v_fma_f64 v[96:97], v[152:153], v[146:147], -v[96:97]
	v_mul_f64 v[152:153], v[152:153], v[98:99]
	v_fmac_f64_e32 v[152:153], v[154:155], v[146:147]
	s_waitcnt vmcnt(22)
	v_add_f64 v[86:87], v[86:87], -v[152:153]
	ds_read2_b64 v[152:155], v148 offset0:26 offset1:27
	v_add_f64 v[84:85], v[84:85], -v[96:97]
	s_waitcnt lgkmcnt(1)
	v_mul_f64 v[96:97], v[138:139], v[98:99]
	v_fma_f64 v[96:97], v[136:137], v[146:147], -v[96:97]
	v_mul_f64 v[136:137], v[136:137], v[98:99]
	v_fmac_f64_e32 v[136:137], v[138:139], v[146:147]
	s_waitcnt vmcnt(21)
	v_add_f64 v[76:77], v[76:77], -v[96:97]
	v_add_f64 v[78:79], v[78:79], -v[136:137]
	ds_read2_b64 v[136:139], v148 offset0:28 offset1:29
	s_waitcnt lgkmcnt(1)
	v_mul_f64 v[96:97], v[154:155], v[98:99]
	v_fma_f64 v[96:97], v[152:153], v[146:147], -v[96:97]
	v_mul_f64 v[152:153], v[152:153], v[98:99]
	v_fmac_f64_e32 v[152:153], v[154:155], v[146:147]
	s_waitcnt vmcnt(20)
	v_add_f64 v[82:83], v[82:83], -v[152:153]
	ds_read2_b64 v[152:155], v148 offset0:30 offset1:31
	v_add_f64 v[80:81], v[80:81], -v[96:97]
	s_waitcnt lgkmcnt(1)
	v_mul_f64 v[96:97], v[138:139], v[98:99]
	v_fma_f64 v[96:97], v[136:137], v[146:147], -v[96:97]
	v_mul_f64 v[136:137], v[136:137], v[98:99]
	v_fmac_f64_e32 v[136:137], v[138:139], v[146:147]
	s_waitcnt vmcnt(19)
	v_add_f64 v[72:73], v[72:73], -v[96:97]
	v_add_f64 v[74:75], v[74:75], -v[136:137]
	;; [unrolled: 18-line block ×11, first 2 shown]
	s_waitcnt lgkmcnt(0)
	v_mul_f64 v[96:97], v[154:155], v[98:99]
	v_mul_f64 v[136:137], v[152:153], v[98:99]
	v_fma_f64 v[96:97], v[152:153], v[146:147], -v[96:97]
	v_fmac_f64_e32 v[136:137], v[154:155], v[146:147]
	s_waitcnt vmcnt(0)
	v_add_f64 v[132:133], v[132:133], -v[96:97]
	v_add_f64 v[134:135], v[134:135], -v[136:137]
	v_mov_b64_e32 v[96:97], v[146:147]
.LBB66_230:
	s_or_b64 exec, exec, s[0:1]
	v_lshl_add_u32 v136, v149, 4, v148
	s_barrier
	s_waitcnt vmcnt(22)
	ds_write2_b64 v136, v[84:85], v[86:87] offset1:1
	s_waitcnt lgkmcnt(0)
	s_barrier
	ds_read2_b64 v[136:139], v148 offset0:22 offset1:23
	s_cmp_lt_i32 s20, 13
	v_mov_b32_e32 v146, 11
	s_cbranch_scc1 .LBB66_233
; %bb.231:
	v_add_u32_e32 v147, 0xc0, v148
	s_mov_b32 s16, 12
	v_mov_b32_e32 v146, 11
.LBB66_232:                             ; =>This Inner Loop Header: Depth=1
	ds_read2_b64 v[152:155], v147 offset1:1
	s_waitcnt lgkmcnt(1)
	v_xor_b32_e32 v157, 0x80000000, v137
	v_xor_b32_e32 v159, 0x80000000, v139
	v_cmp_gt_f64_e32 vcc, 0, v[138:139]
	v_cmp_gt_f64_e64 s[0:1], 0, v[136:137]
	v_mov_b32_e32 v156, v136
	v_mov_b32_e32 v158, v138
	v_cndmask_b32_e64 v157, v137, v157, s[0:1]
	v_cndmask_b32_e32 v159, v139, v159, vcc
	v_add_f64 v[156:157], v[156:157], v[158:159]
	s_waitcnt lgkmcnt(0)
	v_xor_b32_e32 v159, 0x80000000, v153
	v_xor_b32_e32 v161, 0x80000000, v155
	v_cmp_gt_f64_e32 vcc, 0, v[154:155]
	v_cmp_gt_f64_e64 s[0:1], 0, v[152:153]
	v_mov_b32_e32 v158, v152
	v_mov_b32_e32 v160, v154
	v_cndmask_b32_e64 v159, v153, v159, s[0:1]
	v_cndmask_b32_e32 v161, v155, v161, vcc
	v_add_f64 v[158:159], v[158:159], v[160:161]
	v_mov_b32_e32 v162, s16
	s_add_i32 s16, s16, 1
	v_cmp_lt_f64_e32 vcc, v[156:157], v[158:159]
	v_add_u32_e32 v147, 16, v147
	s_cmp_lg_u32 s20, s16
	v_cndmask_b32_e32 v137, v137, v153, vcc
	v_cndmask_b32_e32 v136, v136, v152, vcc
	;; [unrolled: 1-line block ×5, first 2 shown]
	s_cbranch_scc1 .LBB66_232
.LBB66_233:
	s_waitcnt lgkmcnt(0)
	v_cmp_eq_f64_e32 vcc, 0, v[136:137]
	v_cmp_eq_f64_e64 s[0:1], 0, v[138:139]
	s_and_b64 s[0:1], vcc, s[0:1]
	s_and_saveexec_b64 s[16:17], s[0:1]
	s_xor_b64 s[0:1], exec, s[16:17]
; %bb.234:
	v_cmp_ne_u32_e32 vcc, 0, v150
	s_nop 1
	v_cndmask_b32_e32 v150, 12, v150, vcc
; %bb.235:
	s_andn2_saveexec_b64 s[0:1], s[0:1]
	s_cbranch_execz .LBB66_241
; %bb.236:
	v_cmp_ngt_f64_e64 s[16:17], |v[136:137]|, |v[138:139]|
	s_and_saveexec_b64 s[18:19], s[16:17]
	s_xor_b64 s[16:17], exec, s[18:19]
	s_cbranch_execz .LBB66_238
; %bb.237:
	v_div_scale_f64 v[152:153], s[18:19], v[138:139], v[138:139], v[136:137]
	v_rcp_f64_e32 v[154:155], v[152:153]
	v_div_scale_f64 v[156:157], vcc, v[136:137], v[138:139], v[136:137]
	v_fma_f64 v[158:159], -v[152:153], v[154:155], 1.0
	v_fmac_f64_e32 v[154:155], v[154:155], v[158:159]
	v_fma_f64 v[158:159], -v[152:153], v[154:155], 1.0
	v_fmac_f64_e32 v[154:155], v[154:155], v[158:159]
	v_mul_f64 v[158:159], v[156:157], v[154:155]
	v_fma_f64 v[152:153], -v[152:153], v[158:159], v[156:157]
	v_div_fmas_f64 v[152:153], v[152:153], v[154:155], v[158:159]
	v_div_fixup_f64 v[152:153], v[152:153], v[138:139], v[136:137]
	v_fmac_f64_e32 v[138:139], v[136:137], v[152:153]
	v_div_scale_f64 v[136:137], s[18:19], v[138:139], v[138:139], 1.0
	v_rcp_f64_e32 v[154:155], v[136:137]
	s_nop 0
	v_fma_f64 v[156:157], -v[136:137], v[154:155], 1.0
	v_fmac_f64_e32 v[154:155], v[154:155], v[156:157]
	v_fma_f64 v[156:157], -v[136:137], v[154:155], 1.0
	v_fmac_f64_e32 v[154:155], v[154:155], v[156:157]
	v_div_scale_f64 v[156:157], vcc, 1.0, v[138:139], 1.0
	v_mul_f64 v[158:159], v[156:157], v[154:155]
	v_fma_f64 v[136:137], -v[136:137], v[158:159], v[156:157]
	s_nop 1
	v_div_fmas_f64 v[136:137], v[136:137], v[154:155], v[158:159]
	v_div_fixup_f64 v[138:139], v[136:137], v[138:139], 1.0
	v_mul_f64 v[136:137], v[152:153], v[138:139]
	v_xor_b32_e32 v139, 0x80000000, v139
.LBB66_238:
	s_andn2_saveexec_b64 s[16:17], s[16:17]
	s_cbranch_execz .LBB66_240
; %bb.239:
	v_div_scale_f64 v[152:153], s[18:19], v[136:137], v[136:137], v[138:139]
	v_rcp_f64_e32 v[154:155], v[152:153]
	v_div_scale_f64 v[156:157], vcc, v[138:139], v[136:137], v[138:139]
	v_fma_f64 v[158:159], -v[152:153], v[154:155], 1.0
	v_fmac_f64_e32 v[154:155], v[154:155], v[158:159]
	v_fma_f64 v[158:159], -v[152:153], v[154:155], 1.0
	v_fmac_f64_e32 v[154:155], v[154:155], v[158:159]
	v_mul_f64 v[158:159], v[156:157], v[154:155]
	v_fma_f64 v[152:153], -v[152:153], v[158:159], v[156:157]
	v_div_fmas_f64 v[152:153], v[152:153], v[154:155], v[158:159]
	v_div_fixup_f64 v[152:153], v[152:153], v[136:137], v[138:139]
	v_fmac_f64_e32 v[136:137], v[138:139], v[152:153]
	v_div_scale_f64 v[138:139], s[18:19], v[136:137], v[136:137], 1.0
	v_rcp_f64_e32 v[154:155], v[138:139]
	s_nop 0
	v_fma_f64 v[156:157], -v[138:139], v[154:155], 1.0
	v_fmac_f64_e32 v[154:155], v[154:155], v[156:157]
	v_fma_f64 v[156:157], -v[138:139], v[154:155], 1.0
	v_fmac_f64_e32 v[154:155], v[154:155], v[156:157]
	v_div_scale_f64 v[156:157], vcc, 1.0, v[136:137], 1.0
	v_mul_f64 v[158:159], v[156:157], v[154:155]
	v_fma_f64 v[138:139], -v[138:139], v[158:159], v[156:157]
	s_nop 1
	v_div_fmas_f64 v[138:139], v[138:139], v[154:155], v[158:159]
	v_div_fixup_f64 v[136:137], v[138:139], v[136:137], 1.0
	v_mul_f64 v[138:139], v[152:153], -v[136:137]
.LBB66_240:
	s_or_b64 exec, exec, s[16:17]
.LBB66_241:
	s_or_b64 exec, exec, s[0:1]
	v_cmp_ne_u32_e32 vcc, v149, v146
	s_and_saveexec_b64 s[0:1], vcc
	s_xor_b64 s[0:1], exec, s[0:1]
	s_cbranch_execz .LBB66_247
; %bb.242:
	v_cmp_eq_u32_e32 vcc, 11, v149
	s_and_saveexec_b64 s[16:17], vcc
	s_cbranch_execz .LBB66_246
; %bb.243:
	v_cmp_ne_u32_e32 vcc, 11, v146
	s_xor_b64 s[18:19], s[14:15], -1
	s_and_b64 s[22:23], s[18:19], vcc
	s_and_saveexec_b64 s[18:19], s[22:23]
	s_cbranch_execz .LBB66_245
; %bb.244:
	v_ashrrev_i32_e32 v147, 31, v146
	v_lshl_add_u64 v[152:153], v[146:147], 2, v[144:145]
	global_load_dword v147, v[152:153], off
	global_load_dword v149, v[144:145], off offset:44
	s_waitcnt vmcnt(1)
	global_store_dword v[144:145], v147, off offset:44
	s_waitcnt vmcnt(1)
	global_store_dword v[152:153], v149, off
.LBB66_245:
	s_or_b64 exec, exec, s[18:19]
	v_mov_b32_e32 v149, v146
	v_mov_b32_e32 v151, v146
.LBB66_246:
	s_or_b64 exec, exec, s[16:17]
.LBB66_247:
	s_andn2_saveexec_b64 s[0:1], s[0:1]
	s_cbranch_execz .LBB66_249
; %bb.248:
	v_mov_b32_e32 v149, 11
	s_waitcnt vmcnt(21)
	ds_write2_b64 v148, v[76:77], v[78:79] offset0:24 offset1:25
	s_waitcnt vmcnt(20)
	ds_write2_b64 v148, v[80:81], v[82:83] offset0:26 offset1:27
	;; [unrolled: 2-line block ×22, first 2 shown]
.LBB66_249:
	s_or_b64 exec, exec, s[0:1]
	v_cmp_lt_i32_e32 vcc, 11, v149
	s_waitcnt lgkmcnt(0)
	s_barrier
	s_and_saveexec_b64 s[0:1], vcc
	s_cbranch_execz .LBB66_251
; %bb.250:
	ds_read2_b64 v[152:155], v148 offset0:24 offset1:25
	v_mul_f64 v[146:147], v[138:139], v[86:87]
	v_mul_f64 v[86:87], v[136:137], v[86:87]
	v_fma_f64 v[146:147], v[136:137], v[84:85], -v[146:147]
	v_fmac_f64_e32 v[86:87], v[138:139], v[84:85]
	ds_read2_b64 v[136:139], v148 offset0:26 offset1:27
	s_waitcnt lgkmcnt(1)
	v_mul_f64 v[84:85], v[154:155], v[86:87]
	v_fma_f64 v[84:85], v[152:153], v[146:147], -v[84:85]
	v_mul_f64 v[152:153], v[152:153], v[86:87]
	v_fmac_f64_e32 v[152:153], v[154:155], v[146:147]
	s_waitcnt vmcnt(21)
	v_add_f64 v[76:77], v[76:77], -v[84:85]
	s_waitcnt lgkmcnt(0)
	v_mul_f64 v[84:85], v[138:139], v[86:87]
	v_add_f64 v[78:79], v[78:79], -v[152:153]
	v_fma_f64 v[84:85], v[136:137], v[146:147], -v[84:85]
	v_mul_f64 v[136:137], v[136:137], v[86:87]
	ds_read2_b64 v[152:155], v148 offset0:28 offset1:29
	v_fmac_f64_e32 v[136:137], v[138:139], v[146:147]
	s_waitcnt vmcnt(20)
	v_add_f64 v[82:83], v[82:83], -v[136:137]
	ds_read2_b64 v[136:139], v148 offset0:30 offset1:31
	v_add_f64 v[80:81], v[80:81], -v[84:85]
	s_waitcnt lgkmcnt(1)
	v_mul_f64 v[84:85], v[154:155], v[86:87]
	v_fma_f64 v[84:85], v[152:153], v[146:147], -v[84:85]
	v_mul_f64 v[152:153], v[152:153], v[86:87]
	v_fmac_f64_e32 v[152:153], v[154:155], v[146:147]
	s_waitcnt vmcnt(19)
	v_add_f64 v[72:73], v[72:73], -v[84:85]
	s_waitcnt lgkmcnt(0)
	v_mul_f64 v[84:85], v[138:139], v[86:87]
	v_add_f64 v[74:75], v[74:75], -v[152:153]
	v_fma_f64 v[84:85], v[136:137], v[146:147], -v[84:85]
	v_mul_f64 v[136:137], v[136:137], v[86:87]
	ds_read2_b64 v[152:155], v148 offset0:32 offset1:33
	v_fmac_f64_e32 v[136:137], v[138:139], v[146:147]
	s_waitcnt vmcnt(18)
	v_add_f64 v[70:71], v[70:71], -v[136:137]
	ds_read2_b64 v[136:139], v148 offset0:34 offset1:35
	v_add_f64 v[68:69], v[68:69], -v[84:85]
	;; [unrolled: 18-line block ×10, first 2 shown]
	s_waitcnt lgkmcnt(1)
	v_mul_f64 v[84:85], v[154:155], v[86:87]
	v_fma_f64 v[84:85], v[152:153], v[146:147], -v[84:85]
	s_waitcnt vmcnt(1)
	v_add_f64 v[0:1], v[0:1], -v[84:85]
	s_waitcnt lgkmcnt(0)
	v_mul_f64 v[84:85], v[138:139], v[86:87]
	v_mul_f64 v[152:153], v[152:153], v[86:87]
	v_fma_f64 v[84:85], v[136:137], v[146:147], -v[84:85]
	v_mul_f64 v[136:137], v[136:137], v[86:87]
	v_fmac_f64_e32 v[152:153], v[154:155], v[146:147]
	v_fmac_f64_e32 v[136:137], v[138:139], v[146:147]
	v_add_f64 v[2:3], v[2:3], -v[152:153]
	s_waitcnt vmcnt(0)
	v_add_f64 v[132:133], v[132:133], -v[84:85]
	v_add_f64 v[134:135], v[134:135], -v[136:137]
	v_mov_b64_e32 v[84:85], v[146:147]
.LBB66_251:
	s_or_b64 exec, exec, s[0:1]
	v_lshl_add_u32 v136, v149, 4, v148
	s_barrier
	s_waitcnt vmcnt(21)
	ds_write2_b64 v136, v[76:77], v[78:79] offset1:1
	s_waitcnt lgkmcnt(0)
	s_barrier
	ds_read2_b64 v[136:139], v148 offset0:24 offset1:25
	s_cmp_lt_i32 s20, 14
	v_mov_b32_e32 v146, 12
	s_cbranch_scc1 .LBB66_254
; %bb.252:
	v_add_u32_e32 v147, 0xd0, v148
	s_mov_b32 s16, 13
	v_mov_b32_e32 v146, 12
.LBB66_253:                             ; =>This Inner Loop Header: Depth=1
	ds_read2_b64 v[152:155], v147 offset1:1
	s_waitcnt lgkmcnt(1)
	v_xor_b32_e32 v157, 0x80000000, v137
	v_xor_b32_e32 v159, 0x80000000, v139
	v_cmp_gt_f64_e32 vcc, 0, v[138:139]
	v_cmp_gt_f64_e64 s[0:1], 0, v[136:137]
	v_mov_b32_e32 v156, v136
	v_mov_b32_e32 v158, v138
	v_cndmask_b32_e64 v157, v137, v157, s[0:1]
	v_cndmask_b32_e32 v159, v139, v159, vcc
	v_add_f64 v[156:157], v[156:157], v[158:159]
	s_waitcnt lgkmcnt(0)
	v_xor_b32_e32 v159, 0x80000000, v153
	v_xor_b32_e32 v161, 0x80000000, v155
	v_cmp_gt_f64_e32 vcc, 0, v[154:155]
	v_cmp_gt_f64_e64 s[0:1], 0, v[152:153]
	v_mov_b32_e32 v158, v152
	v_mov_b32_e32 v160, v154
	v_cndmask_b32_e64 v159, v153, v159, s[0:1]
	v_cndmask_b32_e32 v161, v155, v161, vcc
	v_add_f64 v[158:159], v[158:159], v[160:161]
	v_mov_b32_e32 v162, s16
	s_add_i32 s16, s16, 1
	v_cmp_lt_f64_e32 vcc, v[156:157], v[158:159]
	v_add_u32_e32 v147, 16, v147
	s_cmp_lg_u32 s20, s16
	v_cndmask_b32_e32 v137, v137, v153, vcc
	v_cndmask_b32_e32 v136, v136, v152, vcc
	v_cndmask_b32_e32 v139, v139, v155, vcc
	v_cndmask_b32_e32 v138, v138, v154, vcc
	v_cndmask_b32_e32 v146, v146, v162, vcc
	s_cbranch_scc1 .LBB66_253
.LBB66_254:
	s_waitcnt lgkmcnt(0)
	v_cmp_eq_f64_e32 vcc, 0, v[136:137]
	v_cmp_eq_f64_e64 s[0:1], 0, v[138:139]
	s_and_b64 s[0:1], vcc, s[0:1]
	s_and_saveexec_b64 s[16:17], s[0:1]
	s_xor_b64 s[0:1], exec, s[16:17]
; %bb.255:
	v_cmp_ne_u32_e32 vcc, 0, v150
	s_nop 1
	v_cndmask_b32_e32 v150, 13, v150, vcc
; %bb.256:
	s_andn2_saveexec_b64 s[0:1], s[0:1]
	s_cbranch_execz .LBB66_262
; %bb.257:
	v_cmp_ngt_f64_e64 s[16:17], |v[136:137]|, |v[138:139]|
	s_and_saveexec_b64 s[18:19], s[16:17]
	s_xor_b64 s[16:17], exec, s[18:19]
	s_cbranch_execz .LBB66_259
; %bb.258:
	v_div_scale_f64 v[152:153], s[18:19], v[138:139], v[138:139], v[136:137]
	v_rcp_f64_e32 v[154:155], v[152:153]
	v_div_scale_f64 v[156:157], vcc, v[136:137], v[138:139], v[136:137]
	v_fma_f64 v[158:159], -v[152:153], v[154:155], 1.0
	v_fmac_f64_e32 v[154:155], v[154:155], v[158:159]
	v_fma_f64 v[158:159], -v[152:153], v[154:155], 1.0
	v_fmac_f64_e32 v[154:155], v[154:155], v[158:159]
	v_mul_f64 v[158:159], v[156:157], v[154:155]
	v_fma_f64 v[152:153], -v[152:153], v[158:159], v[156:157]
	v_div_fmas_f64 v[152:153], v[152:153], v[154:155], v[158:159]
	v_div_fixup_f64 v[152:153], v[152:153], v[138:139], v[136:137]
	v_fmac_f64_e32 v[138:139], v[136:137], v[152:153]
	v_div_scale_f64 v[136:137], s[18:19], v[138:139], v[138:139], 1.0
	v_rcp_f64_e32 v[154:155], v[136:137]
	s_nop 0
	v_fma_f64 v[156:157], -v[136:137], v[154:155], 1.0
	v_fmac_f64_e32 v[154:155], v[154:155], v[156:157]
	v_fma_f64 v[156:157], -v[136:137], v[154:155], 1.0
	v_fmac_f64_e32 v[154:155], v[154:155], v[156:157]
	v_div_scale_f64 v[156:157], vcc, 1.0, v[138:139], 1.0
	v_mul_f64 v[158:159], v[156:157], v[154:155]
	v_fma_f64 v[136:137], -v[136:137], v[158:159], v[156:157]
	s_nop 1
	v_div_fmas_f64 v[136:137], v[136:137], v[154:155], v[158:159]
	v_div_fixup_f64 v[138:139], v[136:137], v[138:139], 1.0
	v_mul_f64 v[136:137], v[152:153], v[138:139]
	v_xor_b32_e32 v139, 0x80000000, v139
.LBB66_259:
	s_andn2_saveexec_b64 s[16:17], s[16:17]
	s_cbranch_execz .LBB66_261
; %bb.260:
	v_div_scale_f64 v[152:153], s[18:19], v[136:137], v[136:137], v[138:139]
	v_rcp_f64_e32 v[154:155], v[152:153]
	v_div_scale_f64 v[156:157], vcc, v[138:139], v[136:137], v[138:139]
	v_fma_f64 v[158:159], -v[152:153], v[154:155], 1.0
	v_fmac_f64_e32 v[154:155], v[154:155], v[158:159]
	v_fma_f64 v[158:159], -v[152:153], v[154:155], 1.0
	v_fmac_f64_e32 v[154:155], v[154:155], v[158:159]
	v_mul_f64 v[158:159], v[156:157], v[154:155]
	v_fma_f64 v[152:153], -v[152:153], v[158:159], v[156:157]
	v_div_fmas_f64 v[152:153], v[152:153], v[154:155], v[158:159]
	v_div_fixup_f64 v[152:153], v[152:153], v[136:137], v[138:139]
	v_fmac_f64_e32 v[136:137], v[138:139], v[152:153]
	v_div_scale_f64 v[138:139], s[18:19], v[136:137], v[136:137], 1.0
	v_rcp_f64_e32 v[154:155], v[138:139]
	s_nop 0
	v_fma_f64 v[156:157], -v[138:139], v[154:155], 1.0
	v_fmac_f64_e32 v[154:155], v[154:155], v[156:157]
	v_fma_f64 v[156:157], -v[138:139], v[154:155], 1.0
	v_fmac_f64_e32 v[154:155], v[154:155], v[156:157]
	v_div_scale_f64 v[156:157], vcc, 1.0, v[136:137], 1.0
	v_mul_f64 v[158:159], v[156:157], v[154:155]
	v_fma_f64 v[138:139], -v[138:139], v[158:159], v[156:157]
	s_nop 1
	v_div_fmas_f64 v[138:139], v[138:139], v[154:155], v[158:159]
	v_div_fixup_f64 v[136:137], v[138:139], v[136:137], 1.0
	v_mul_f64 v[138:139], v[152:153], -v[136:137]
.LBB66_261:
	s_or_b64 exec, exec, s[16:17]
.LBB66_262:
	s_or_b64 exec, exec, s[0:1]
	v_cmp_ne_u32_e32 vcc, v149, v146
	s_and_saveexec_b64 s[0:1], vcc
	s_xor_b64 s[0:1], exec, s[0:1]
	s_cbranch_execz .LBB66_268
; %bb.263:
	v_cmp_eq_u32_e32 vcc, 12, v149
	s_and_saveexec_b64 s[16:17], vcc
	s_cbranch_execz .LBB66_267
; %bb.264:
	v_cmp_ne_u32_e32 vcc, 12, v146
	s_xor_b64 s[18:19], s[14:15], -1
	s_and_b64 s[22:23], s[18:19], vcc
	s_and_saveexec_b64 s[18:19], s[22:23]
	s_cbranch_execz .LBB66_266
; %bb.265:
	v_ashrrev_i32_e32 v147, 31, v146
	v_lshl_add_u64 v[152:153], v[146:147], 2, v[144:145]
	global_load_dword v147, v[152:153], off
	global_load_dword v149, v[144:145], off offset:48
	s_waitcnt vmcnt(1)
	global_store_dword v[144:145], v147, off offset:48
	s_waitcnt vmcnt(1)
	global_store_dword v[152:153], v149, off
.LBB66_266:
	s_or_b64 exec, exec, s[18:19]
	v_mov_b32_e32 v149, v146
	v_mov_b32_e32 v151, v146
.LBB66_267:
	s_or_b64 exec, exec, s[16:17]
.LBB66_268:
	s_andn2_saveexec_b64 s[0:1], s[0:1]
	s_cbranch_execz .LBB66_270
; %bb.269:
	v_mov_b32_e32 v149, 12
	s_waitcnt vmcnt(20)
	ds_write2_b64 v148, v[80:81], v[82:83] offset0:26 offset1:27
	s_waitcnt vmcnt(19)
	ds_write2_b64 v148, v[72:73], v[74:75] offset0:28 offset1:29
	;; [unrolled: 2-line block ×21, first 2 shown]
.LBB66_270:
	s_or_b64 exec, exec, s[0:1]
	v_cmp_lt_i32_e32 vcc, 12, v149
	s_waitcnt lgkmcnt(0)
	s_barrier
	s_and_saveexec_b64 s[0:1], vcc
	s_cbranch_execz .LBB66_272
; %bb.271:
	ds_read2_b64 v[152:155], v148 offset0:26 offset1:27
	v_mul_f64 v[146:147], v[138:139], v[78:79]
	v_mul_f64 v[78:79], v[136:137], v[78:79]
	v_fmac_f64_e32 v[78:79], v[138:139], v[76:77]
	v_fma_f64 v[146:147], v[136:137], v[76:77], -v[146:147]
	ds_read2_b64 v[136:139], v148 offset0:28 offset1:29
	s_waitcnt lgkmcnt(1)
	v_mul_f64 v[76:77], v[154:155], v[78:79]
	v_fma_f64 v[76:77], v[152:153], v[146:147], -v[76:77]
	v_mul_f64 v[152:153], v[152:153], v[78:79]
	v_fmac_f64_e32 v[152:153], v[154:155], v[146:147]
	s_waitcnt vmcnt(20)
	v_add_f64 v[82:83], v[82:83], -v[152:153]
	ds_read2_b64 v[152:155], v148 offset0:30 offset1:31
	v_add_f64 v[80:81], v[80:81], -v[76:77]
	s_waitcnt lgkmcnt(1)
	v_mul_f64 v[76:77], v[138:139], v[78:79]
	v_fma_f64 v[76:77], v[136:137], v[146:147], -v[76:77]
	v_mul_f64 v[136:137], v[136:137], v[78:79]
	v_fmac_f64_e32 v[136:137], v[138:139], v[146:147]
	s_waitcnt vmcnt(19)
	v_add_f64 v[72:73], v[72:73], -v[76:77]
	v_add_f64 v[74:75], v[74:75], -v[136:137]
	ds_read2_b64 v[136:139], v148 offset0:32 offset1:33
	s_waitcnt lgkmcnt(1)
	v_mul_f64 v[76:77], v[154:155], v[78:79]
	v_fma_f64 v[76:77], v[152:153], v[146:147], -v[76:77]
	v_mul_f64 v[152:153], v[152:153], v[78:79]
	v_fmac_f64_e32 v[152:153], v[154:155], v[146:147]
	s_waitcnt vmcnt(18)
	v_add_f64 v[70:71], v[70:71], -v[152:153]
	ds_read2_b64 v[152:155], v148 offset0:34 offset1:35
	v_add_f64 v[68:69], v[68:69], -v[76:77]
	s_waitcnt lgkmcnt(1)
	v_mul_f64 v[76:77], v[138:139], v[78:79]
	v_fma_f64 v[76:77], v[136:137], v[146:147], -v[76:77]
	v_mul_f64 v[136:137], v[136:137], v[78:79]
	v_fmac_f64_e32 v[136:137], v[138:139], v[146:147]
	s_waitcnt vmcnt(17)
	v_add_f64 v[64:65], v[64:65], -v[76:77]
	v_add_f64 v[66:67], v[66:67], -v[136:137]
	;; [unrolled: 18-line block ×10, first 2 shown]
	s_waitcnt lgkmcnt(0)
	v_mul_f64 v[76:77], v[154:155], v[78:79]
	v_mul_f64 v[136:137], v[152:153], v[78:79]
	v_fma_f64 v[76:77], v[152:153], v[146:147], -v[76:77]
	v_fmac_f64_e32 v[136:137], v[154:155], v[146:147]
	s_waitcnt vmcnt(0)
	v_add_f64 v[132:133], v[132:133], -v[76:77]
	v_add_f64 v[134:135], v[134:135], -v[136:137]
	v_mov_b64_e32 v[76:77], v[146:147]
.LBB66_272:
	s_or_b64 exec, exec, s[0:1]
	v_lshl_add_u32 v136, v149, 4, v148
	s_barrier
	s_waitcnt vmcnt(20)
	ds_write2_b64 v136, v[80:81], v[82:83] offset1:1
	s_waitcnt lgkmcnt(0)
	s_barrier
	ds_read2_b64 v[136:139], v148 offset0:26 offset1:27
	s_cmp_lt_i32 s20, 15
	v_mov_b32_e32 v146, 13
	s_cbranch_scc1 .LBB66_275
; %bb.273:
	v_add_u32_e32 v147, 0xe0, v148
	s_mov_b32 s16, 14
	v_mov_b32_e32 v146, 13
.LBB66_274:                             ; =>This Inner Loop Header: Depth=1
	ds_read2_b64 v[152:155], v147 offset1:1
	s_waitcnt lgkmcnt(1)
	v_xor_b32_e32 v157, 0x80000000, v137
	v_xor_b32_e32 v159, 0x80000000, v139
	v_cmp_gt_f64_e32 vcc, 0, v[138:139]
	v_cmp_gt_f64_e64 s[0:1], 0, v[136:137]
	v_mov_b32_e32 v156, v136
	v_mov_b32_e32 v158, v138
	v_cndmask_b32_e64 v157, v137, v157, s[0:1]
	v_cndmask_b32_e32 v159, v139, v159, vcc
	v_add_f64 v[156:157], v[156:157], v[158:159]
	s_waitcnt lgkmcnt(0)
	v_xor_b32_e32 v159, 0x80000000, v153
	v_xor_b32_e32 v161, 0x80000000, v155
	v_cmp_gt_f64_e32 vcc, 0, v[154:155]
	v_cmp_gt_f64_e64 s[0:1], 0, v[152:153]
	v_mov_b32_e32 v158, v152
	v_mov_b32_e32 v160, v154
	v_cndmask_b32_e64 v159, v153, v159, s[0:1]
	v_cndmask_b32_e32 v161, v155, v161, vcc
	v_add_f64 v[158:159], v[158:159], v[160:161]
	v_mov_b32_e32 v162, s16
	s_add_i32 s16, s16, 1
	v_cmp_lt_f64_e32 vcc, v[156:157], v[158:159]
	v_add_u32_e32 v147, 16, v147
	s_cmp_lg_u32 s20, s16
	v_cndmask_b32_e32 v137, v137, v153, vcc
	v_cndmask_b32_e32 v136, v136, v152, vcc
	;; [unrolled: 1-line block ×5, first 2 shown]
	s_cbranch_scc1 .LBB66_274
.LBB66_275:
	s_waitcnt lgkmcnt(0)
	v_cmp_eq_f64_e32 vcc, 0, v[136:137]
	v_cmp_eq_f64_e64 s[0:1], 0, v[138:139]
	s_and_b64 s[0:1], vcc, s[0:1]
	s_and_saveexec_b64 s[16:17], s[0:1]
	s_xor_b64 s[0:1], exec, s[16:17]
; %bb.276:
	v_cmp_ne_u32_e32 vcc, 0, v150
	s_nop 1
	v_cndmask_b32_e32 v150, 14, v150, vcc
; %bb.277:
	s_andn2_saveexec_b64 s[0:1], s[0:1]
	s_cbranch_execz .LBB66_283
; %bb.278:
	v_cmp_ngt_f64_e64 s[16:17], |v[136:137]|, |v[138:139]|
	s_and_saveexec_b64 s[18:19], s[16:17]
	s_xor_b64 s[16:17], exec, s[18:19]
	s_cbranch_execz .LBB66_280
; %bb.279:
	v_div_scale_f64 v[152:153], s[18:19], v[138:139], v[138:139], v[136:137]
	v_rcp_f64_e32 v[154:155], v[152:153]
	v_div_scale_f64 v[156:157], vcc, v[136:137], v[138:139], v[136:137]
	v_fma_f64 v[158:159], -v[152:153], v[154:155], 1.0
	v_fmac_f64_e32 v[154:155], v[154:155], v[158:159]
	v_fma_f64 v[158:159], -v[152:153], v[154:155], 1.0
	v_fmac_f64_e32 v[154:155], v[154:155], v[158:159]
	v_mul_f64 v[158:159], v[156:157], v[154:155]
	v_fma_f64 v[152:153], -v[152:153], v[158:159], v[156:157]
	v_div_fmas_f64 v[152:153], v[152:153], v[154:155], v[158:159]
	v_div_fixup_f64 v[152:153], v[152:153], v[138:139], v[136:137]
	v_fmac_f64_e32 v[138:139], v[136:137], v[152:153]
	v_div_scale_f64 v[136:137], s[18:19], v[138:139], v[138:139], 1.0
	v_rcp_f64_e32 v[154:155], v[136:137]
	s_nop 0
	v_fma_f64 v[156:157], -v[136:137], v[154:155], 1.0
	v_fmac_f64_e32 v[154:155], v[154:155], v[156:157]
	v_fma_f64 v[156:157], -v[136:137], v[154:155], 1.0
	v_fmac_f64_e32 v[154:155], v[154:155], v[156:157]
	v_div_scale_f64 v[156:157], vcc, 1.0, v[138:139], 1.0
	v_mul_f64 v[158:159], v[156:157], v[154:155]
	v_fma_f64 v[136:137], -v[136:137], v[158:159], v[156:157]
	s_nop 1
	v_div_fmas_f64 v[136:137], v[136:137], v[154:155], v[158:159]
	v_div_fixup_f64 v[138:139], v[136:137], v[138:139], 1.0
	v_mul_f64 v[136:137], v[152:153], v[138:139]
	v_xor_b32_e32 v139, 0x80000000, v139
.LBB66_280:
	s_andn2_saveexec_b64 s[16:17], s[16:17]
	s_cbranch_execz .LBB66_282
; %bb.281:
	v_div_scale_f64 v[152:153], s[18:19], v[136:137], v[136:137], v[138:139]
	v_rcp_f64_e32 v[154:155], v[152:153]
	v_div_scale_f64 v[156:157], vcc, v[138:139], v[136:137], v[138:139]
	v_fma_f64 v[158:159], -v[152:153], v[154:155], 1.0
	v_fmac_f64_e32 v[154:155], v[154:155], v[158:159]
	v_fma_f64 v[158:159], -v[152:153], v[154:155], 1.0
	v_fmac_f64_e32 v[154:155], v[154:155], v[158:159]
	v_mul_f64 v[158:159], v[156:157], v[154:155]
	v_fma_f64 v[152:153], -v[152:153], v[158:159], v[156:157]
	v_div_fmas_f64 v[152:153], v[152:153], v[154:155], v[158:159]
	v_div_fixup_f64 v[152:153], v[152:153], v[136:137], v[138:139]
	v_fmac_f64_e32 v[136:137], v[138:139], v[152:153]
	v_div_scale_f64 v[138:139], s[18:19], v[136:137], v[136:137], 1.0
	v_rcp_f64_e32 v[154:155], v[138:139]
	s_nop 0
	v_fma_f64 v[156:157], -v[138:139], v[154:155], 1.0
	v_fmac_f64_e32 v[154:155], v[154:155], v[156:157]
	v_fma_f64 v[156:157], -v[138:139], v[154:155], 1.0
	v_fmac_f64_e32 v[154:155], v[154:155], v[156:157]
	v_div_scale_f64 v[156:157], vcc, 1.0, v[136:137], 1.0
	v_mul_f64 v[158:159], v[156:157], v[154:155]
	v_fma_f64 v[138:139], -v[138:139], v[158:159], v[156:157]
	s_nop 1
	v_div_fmas_f64 v[138:139], v[138:139], v[154:155], v[158:159]
	v_div_fixup_f64 v[136:137], v[138:139], v[136:137], 1.0
	v_mul_f64 v[138:139], v[152:153], -v[136:137]
.LBB66_282:
	s_or_b64 exec, exec, s[16:17]
.LBB66_283:
	s_or_b64 exec, exec, s[0:1]
	v_cmp_ne_u32_e32 vcc, v149, v146
	s_and_saveexec_b64 s[0:1], vcc
	s_xor_b64 s[0:1], exec, s[0:1]
	s_cbranch_execz .LBB66_289
; %bb.284:
	v_cmp_eq_u32_e32 vcc, 13, v149
	s_and_saveexec_b64 s[16:17], vcc
	s_cbranch_execz .LBB66_288
; %bb.285:
	v_cmp_ne_u32_e32 vcc, 13, v146
	s_xor_b64 s[18:19], s[14:15], -1
	s_and_b64 s[22:23], s[18:19], vcc
	s_and_saveexec_b64 s[18:19], s[22:23]
	s_cbranch_execz .LBB66_287
; %bb.286:
	v_ashrrev_i32_e32 v147, 31, v146
	v_lshl_add_u64 v[152:153], v[146:147], 2, v[144:145]
	global_load_dword v147, v[152:153], off
	global_load_dword v149, v[144:145], off offset:52
	s_waitcnt vmcnt(1)
	global_store_dword v[144:145], v147, off offset:52
	s_waitcnt vmcnt(1)
	global_store_dword v[152:153], v149, off
.LBB66_287:
	s_or_b64 exec, exec, s[18:19]
	v_mov_b32_e32 v149, v146
	v_mov_b32_e32 v151, v146
.LBB66_288:
	s_or_b64 exec, exec, s[16:17]
.LBB66_289:
	s_andn2_saveexec_b64 s[0:1], s[0:1]
	s_cbranch_execz .LBB66_291
; %bb.290:
	v_mov_b32_e32 v149, 13
	s_waitcnt vmcnt(19)
	ds_write2_b64 v148, v[72:73], v[74:75] offset0:28 offset1:29
	s_waitcnt vmcnt(18)
	ds_write2_b64 v148, v[68:69], v[70:71] offset0:30 offset1:31
	;; [unrolled: 2-line block ×20, first 2 shown]
.LBB66_291:
	s_or_b64 exec, exec, s[0:1]
	v_cmp_lt_i32_e32 vcc, 13, v149
	s_waitcnt lgkmcnt(0)
	s_barrier
	s_and_saveexec_b64 s[0:1], vcc
	s_cbranch_execz .LBB66_293
; %bb.292:
	ds_read2_b64 v[152:155], v148 offset0:28 offset1:29
	v_mul_f64 v[146:147], v[138:139], v[82:83]
	v_mul_f64 v[82:83], v[136:137], v[82:83]
	v_fma_f64 v[146:147], v[136:137], v[80:81], -v[146:147]
	v_fmac_f64_e32 v[82:83], v[138:139], v[80:81]
	ds_read2_b64 v[136:139], v148 offset0:30 offset1:31
	s_waitcnt lgkmcnt(1)
	v_mul_f64 v[80:81], v[154:155], v[82:83]
	v_fma_f64 v[80:81], v[152:153], v[146:147], -v[80:81]
	v_mul_f64 v[152:153], v[152:153], v[82:83]
	v_fmac_f64_e32 v[152:153], v[154:155], v[146:147]
	s_waitcnt vmcnt(19)
	v_add_f64 v[72:73], v[72:73], -v[80:81]
	s_waitcnt lgkmcnt(0)
	v_mul_f64 v[80:81], v[138:139], v[82:83]
	v_add_f64 v[74:75], v[74:75], -v[152:153]
	v_fma_f64 v[80:81], v[136:137], v[146:147], -v[80:81]
	v_mul_f64 v[136:137], v[136:137], v[82:83]
	ds_read2_b64 v[152:155], v148 offset0:32 offset1:33
	v_fmac_f64_e32 v[136:137], v[138:139], v[146:147]
	s_waitcnt vmcnt(18)
	v_add_f64 v[70:71], v[70:71], -v[136:137]
	ds_read2_b64 v[136:139], v148 offset0:34 offset1:35
	v_add_f64 v[68:69], v[68:69], -v[80:81]
	s_waitcnt lgkmcnt(1)
	v_mul_f64 v[80:81], v[154:155], v[82:83]
	v_fma_f64 v[80:81], v[152:153], v[146:147], -v[80:81]
	v_mul_f64 v[152:153], v[152:153], v[82:83]
	v_fmac_f64_e32 v[152:153], v[154:155], v[146:147]
	s_waitcnt vmcnt(17)
	v_add_f64 v[64:65], v[64:65], -v[80:81]
	s_waitcnt lgkmcnt(0)
	v_mul_f64 v[80:81], v[138:139], v[82:83]
	v_add_f64 v[66:67], v[66:67], -v[152:153]
	v_fma_f64 v[80:81], v[136:137], v[146:147], -v[80:81]
	v_mul_f64 v[136:137], v[136:137], v[82:83]
	ds_read2_b64 v[152:155], v148 offset0:36 offset1:37
	v_fmac_f64_e32 v[136:137], v[138:139], v[146:147]
	s_waitcnt vmcnt(16)
	v_add_f64 v[62:63], v[62:63], -v[136:137]
	ds_read2_b64 v[136:139], v148 offset0:38 offset1:39
	v_add_f64 v[60:61], v[60:61], -v[80:81]
	;; [unrolled: 18-line block ×9, first 2 shown]
	s_waitcnt lgkmcnt(1)
	v_mul_f64 v[80:81], v[154:155], v[82:83]
	v_fma_f64 v[80:81], v[152:153], v[146:147], -v[80:81]
	s_waitcnt vmcnt(1)
	v_add_f64 v[0:1], v[0:1], -v[80:81]
	s_waitcnt lgkmcnt(0)
	v_mul_f64 v[80:81], v[138:139], v[82:83]
	v_mul_f64 v[152:153], v[152:153], v[82:83]
	v_fma_f64 v[80:81], v[136:137], v[146:147], -v[80:81]
	v_mul_f64 v[136:137], v[136:137], v[82:83]
	v_fmac_f64_e32 v[152:153], v[154:155], v[146:147]
	v_fmac_f64_e32 v[136:137], v[138:139], v[146:147]
	v_add_f64 v[2:3], v[2:3], -v[152:153]
	s_waitcnt vmcnt(0)
	v_add_f64 v[132:133], v[132:133], -v[80:81]
	v_add_f64 v[134:135], v[134:135], -v[136:137]
	v_mov_b64_e32 v[80:81], v[146:147]
.LBB66_293:
	s_or_b64 exec, exec, s[0:1]
	v_lshl_add_u32 v136, v149, 4, v148
	s_barrier
	s_waitcnt vmcnt(19)
	ds_write2_b64 v136, v[72:73], v[74:75] offset1:1
	s_waitcnt lgkmcnt(0)
	s_barrier
	ds_read2_b64 v[136:139], v148 offset0:28 offset1:29
	s_cmp_lt_i32 s20, 16
	v_mov_b32_e32 v146, 14
	s_cbranch_scc1 .LBB66_296
; %bb.294:
	v_add_u32_e32 v147, 0xf0, v148
	s_mov_b32 s16, 15
	v_mov_b32_e32 v146, 14
.LBB66_295:                             ; =>This Inner Loop Header: Depth=1
	ds_read2_b64 v[152:155], v147 offset1:1
	s_waitcnt lgkmcnt(1)
	v_xor_b32_e32 v157, 0x80000000, v137
	v_xor_b32_e32 v159, 0x80000000, v139
	v_cmp_gt_f64_e32 vcc, 0, v[138:139]
	v_cmp_gt_f64_e64 s[0:1], 0, v[136:137]
	v_mov_b32_e32 v156, v136
	v_mov_b32_e32 v158, v138
	v_cndmask_b32_e64 v157, v137, v157, s[0:1]
	v_cndmask_b32_e32 v159, v139, v159, vcc
	v_add_f64 v[156:157], v[156:157], v[158:159]
	s_waitcnt lgkmcnt(0)
	v_xor_b32_e32 v159, 0x80000000, v153
	v_xor_b32_e32 v161, 0x80000000, v155
	v_cmp_gt_f64_e32 vcc, 0, v[154:155]
	v_cmp_gt_f64_e64 s[0:1], 0, v[152:153]
	v_mov_b32_e32 v158, v152
	v_mov_b32_e32 v160, v154
	v_cndmask_b32_e64 v159, v153, v159, s[0:1]
	v_cndmask_b32_e32 v161, v155, v161, vcc
	v_add_f64 v[158:159], v[158:159], v[160:161]
	v_mov_b32_e32 v162, s16
	s_add_i32 s16, s16, 1
	v_cmp_lt_f64_e32 vcc, v[156:157], v[158:159]
	v_add_u32_e32 v147, 16, v147
	s_cmp_lg_u32 s20, s16
	v_cndmask_b32_e32 v137, v137, v153, vcc
	v_cndmask_b32_e32 v136, v136, v152, vcc
	;; [unrolled: 1-line block ×5, first 2 shown]
	s_cbranch_scc1 .LBB66_295
.LBB66_296:
	s_waitcnt lgkmcnt(0)
	v_cmp_eq_f64_e32 vcc, 0, v[136:137]
	v_cmp_eq_f64_e64 s[0:1], 0, v[138:139]
	s_and_b64 s[0:1], vcc, s[0:1]
	s_and_saveexec_b64 s[16:17], s[0:1]
	s_xor_b64 s[0:1], exec, s[16:17]
; %bb.297:
	v_cmp_ne_u32_e32 vcc, 0, v150
	s_nop 1
	v_cndmask_b32_e32 v150, 15, v150, vcc
; %bb.298:
	s_andn2_saveexec_b64 s[0:1], s[0:1]
	s_cbranch_execz .LBB66_304
; %bb.299:
	v_cmp_ngt_f64_e64 s[16:17], |v[136:137]|, |v[138:139]|
	s_and_saveexec_b64 s[18:19], s[16:17]
	s_xor_b64 s[16:17], exec, s[18:19]
	s_cbranch_execz .LBB66_301
; %bb.300:
	v_div_scale_f64 v[152:153], s[18:19], v[138:139], v[138:139], v[136:137]
	v_rcp_f64_e32 v[154:155], v[152:153]
	v_div_scale_f64 v[156:157], vcc, v[136:137], v[138:139], v[136:137]
	v_fma_f64 v[158:159], -v[152:153], v[154:155], 1.0
	v_fmac_f64_e32 v[154:155], v[154:155], v[158:159]
	v_fma_f64 v[158:159], -v[152:153], v[154:155], 1.0
	v_fmac_f64_e32 v[154:155], v[154:155], v[158:159]
	v_mul_f64 v[158:159], v[156:157], v[154:155]
	v_fma_f64 v[152:153], -v[152:153], v[158:159], v[156:157]
	v_div_fmas_f64 v[152:153], v[152:153], v[154:155], v[158:159]
	v_div_fixup_f64 v[152:153], v[152:153], v[138:139], v[136:137]
	v_fmac_f64_e32 v[138:139], v[136:137], v[152:153]
	v_div_scale_f64 v[136:137], s[18:19], v[138:139], v[138:139], 1.0
	v_rcp_f64_e32 v[154:155], v[136:137]
	s_nop 0
	v_fma_f64 v[156:157], -v[136:137], v[154:155], 1.0
	v_fmac_f64_e32 v[154:155], v[154:155], v[156:157]
	v_fma_f64 v[156:157], -v[136:137], v[154:155], 1.0
	v_fmac_f64_e32 v[154:155], v[154:155], v[156:157]
	v_div_scale_f64 v[156:157], vcc, 1.0, v[138:139], 1.0
	v_mul_f64 v[158:159], v[156:157], v[154:155]
	v_fma_f64 v[136:137], -v[136:137], v[158:159], v[156:157]
	s_nop 1
	v_div_fmas_f64 v[136:137], v[136:137], v[154:155], v[158:159]
	v_div_fixup_f64 v[138:139], v[136:137], v[138:139], 1.0
	v_mul_f64 v[136:137], v[152:153], v[138:139]
	v_xor_b32_e32 v139, 0x80000000, v139
.LBB66_301:
	s_andn2_saveexec_b64 s[16:17], s[16:17]
	s_cbranch_execz .LBB66_303
; %bb.302:
	v_div_scale_f64 v[152:153], s[18:19], v[136:137], v[136:137], v[138:139]
	v_rcp_f64_e32 v[154:155], v[152:153]
	v_div_scale_f64 v[156:157], vcc, v[138:139], v[136:137], v[138:139]
	v_fma_f64 v[158:159], -v[152:153], v[154:155], 1.0
	v_fmac_f64_e32 v[154:155], v[154:155], v[158:159]
	v_fma_f64 v[158:159], -v[152:153], v[154:155], 1.0
	v_fmac_f64_e32 v[154:155], v[154:155], v[158:159]
	v_mul_f64 v[158:159], v[156:157], v[154:155]
	v_fma_f64 v[152:153], -v[152:153], v[158:159], v[156:157]
	v_div_fmas_f64 v[152:153], v[152:153], v[154:155], v[158:159]
	v_div_fixup_f64 v[152:153], v[152:153], v[136:137], v[138:139]
	v_fmac_f64_e32 v[136:137], v[138:139], v[152:153]
	v_div_scale_f64 v[138:139], s[18:19], v[136:137], v[136:137], 1.0
	v_rcp_f64_e32 v[154:155], v[138:139]
	s_nop 0
	v_fma_f64 v[156:157], -v[138:139], v[154:155], 1.0
	v_fmac_f64_e32 v[154:155], v[154:155], v[156:157]
	v_fma_f64 v[156:157], -v[138:139], v[154:155], 1.0
	v_fmac_f64_e32 v[154:155], v[154:155], v[156:157]
	v_div_scale_f64 v[156:157], vcc, 1.0, v[136:137], 1.0
	v_mul_f64 v[158:159], v[156:157], v[154:155]
	v_fma_f64 v[138:139], -v[138:139], v[158:159], v[156:157]
	s_nop 1
	v_div_fmas_f64 v[138:139], v[138:139], v[154:155], v[158:159]
	v_div_fixup_f64 v[136:137], v[138:139], v[136:137], 1.0
	v_mul_f64 v[138:139], v[152:153], -v[136:137]
.LBB66_303:
	s_or_b64 exec, exec, s[16:17]
.LBB66_304:
	s_or_b64 exec, exec, s[0:1]
	v_cmp_ne_u32_e32 vcc, v149, v146
	s_and_saveexec_b64 s[0:1], vcc
	s_xor_b64 s[0:1], exec, s[0:1]
	s_cbranch_execz .LBB66_310
; %bb.305:
	v_cmp_eq_u32_e32 vcc, 14, v149
	s_and_saveexec_b64 s[16:17], vcc
	s_cbranch_execz .LBB66_309
; %bb.306:
	v_cmp_ne_u32_e32 vcc, 14, v146
	s_xor_b64 s[18:19], s[14:15], -1
	s_and_b64 s[22:23], s[18:19], vcc
	s_and_saveexec_b64 s[18:19], s[22:23]
	s_cbranch_execz .LBB66_308
; %bb.307:
	v_ashrrev_i32_e32 v147, 31, v146
	v_lshl_add_u64 v[152:153], v[146:147], 2, v[144:145]
	global_load_dword v147, v[152:153], off
	global_load_dword v149, v[144:145], off offset:56
	s_waitcnt vmcnt(1)
	global_store_dword v[144:145], v147, off offset:56
	s_waitcnt vmcnt(1)
	global_store_dword v[152:153], v149, off
.LBB66_308:
	s_or_b64 exec, exec, s[18:19]
	v_mov_b32_e32 v149, v146
	v_mov_b32_e32 v151, v146
.LBB66_309:
	s_or_b64 exec, exec, s[16:17]
.LBB66_310:
	s_andn2_saveexec_b64 s[0:1], s[0:1]
	s_cbranch_execz .LBB66_312
; %bb.311:
	v_mov_b32_e32 v149, 14
	s_waitcnt vmcnt(18)
	ds_write2_b64 v148, v[68:69], v[70:71] offset0:30 offset1:31
	s_waitcnt vmcnt(17)
	ds_write2_b64 v148, v[64:65], v[66:67] offset0:32 offset1:33
	;; [unrolled: 2-line block ×19, first 2 shown]
.LBB66_312:
	s_or_b64 exec, exec, s[0:1]
	v_cmp_lt_i32_e32 vcc, 14, v149
	s_waitcnt lgkmcnt(0)
	s_barrier
	s_and_saveexec_b64 s[0:1], vcc
	s_cbranch_execz .LBB66_314
; %bb.313:
	ds_read2_b64 v[152:155], v148 offset0:30 offset1:31
	v_mul_f64 v[146:147], v[138:139], v[74:75]
	v_mul_f64 v[74:75], v[136:137], v[74:75]
	v_fmac_f64_e32 v[74:75], v[138:139], v[72:73]
	v_fma_f64 v[146:147], v[136:137], v[72:73], -v[146:147]
	ds_read2_b64 v[136:139], v148 offset0:32 offset1:33
	s_waitcnt lgkmcnt(1)
	v_mul_f64 v[72:73], v[154:155], v[74:75]
	v_fma_f64 v[72:73], v[152:153], v[146:147], -v[72:73]
	v_mul_f64 v[152:153], v[152:153], v[74:75]
	v_fmac_f64_e32 v[152:153], v[154:155], v[146:147]
	s_waitcnt vmcnt(18)
	v_add_f64 v[70:71], v[70:71], -v[152:153]
	ds_read2_b64 v[152:155], v148 offset0:34 offset1:35
	v_add_f64 v[68:69], v[68:69], -v[72:73]
	s_waitcnt lgkmcnt(1)
	v_mul_f64 v[72:73], v[138:139], v[74:75]
	v_fma_f64 v[72:73], v[136:137], v[146:147], -v[72:73]
	v_mul_f64 v[136:137], v[136:137], v[74:75]
	v_fmac_f64_e32 v[136:137], v[138:139], v[146:147]
	s_waitcnt vmcnt(17)
	v_add_f64 v[64:65], v[64:65], -v[72:73]
	v_add_f64 v[66:67], v[66:67], -v[136:137]
	ds_read2_b64 v[136:139], v148 offset0:36 offset1:37
	s_waitcnt lgkmcnt(1)
	v_mul_f64 v[72:73], v[154:155], v[74:75]
	v_fma_f64 v[72:73], v[152:153], v[146:147], -v[72:73]
	v_mul_f64 v[152:153], v[152:153], v[74:75]
	v_fmac_f64_e32 v[152:153], v[154:155], v[146:147]
	s_waitcnt vmcnt(16)
	v_add_f64 v[62:63], v[62:63], -v[152:153]
	ds_read2_b64 v[152:155], v148 offset0:38 offset1:39
	v_add_f64 v[60:61], v[60:61], -v[72:73]
	s_waitcnt lgkmcnt(1)
	v_mul_f64 v[72:73], v[138:139], v[74:75]
	v_fma_f64 v[72:73], v[136:137], v[146:147], -v[72:73]
	v_mul_f64 v[136:137], v[136:137], v[74:75]
	v_fmac_f64_e32 v[136:137], v[138:139], v[146:147]
	s_waitcnt vmcnt(15)
	v_add_f64 v[56:57], v[56:57], -v[72:73]
	v_add_f64 v[58:59], v[58:59], -v[136:137]
	;; [unrolled: 18-line block ×9, first 2 shown]
	s_waitcnt lgkmcnt(0)
	v_mul_f64 v[72:73], v[154:155], v[74:75]
	v_mul_f64 v[136:137], v[152:153], v[74:75]
	v_fma_f64 v[72:73], v[152:153], v[146:147], -v[72:73]
	v_fmac_f64_e32 v[136:137], v[154:155], v[146:147]
	s_waitcnt vmcnt(0)
	v_add_f64 v[132:133], v[132:133], -v[72:73]
	v_add_f64 v[134:135], v[134:135], -v[136:137]
	v_mov_b64_e32 v[72:73], v[146:147]
.LBB66_314:
	s_or_b64 exec, exec, s[0:1]
	v_lshl_add_u32 v136, v149, 4, v148
	s_barrier
	s_waitcnt vmcnt(18)
	ds_write2_b64 v136, v[68:69], v[70:71] offset1:1
	s_waitcnt lgkmcnt(0)
	s_barrier
	ds_read2_b64 v[136:139], v148 offset0:30 offset1:31
	s_cmp_lt_i32 s20, 17
	v_mov_b32_e32 v146, 15
	s_cbranch_scc1 .LBB66_317
; %bb.315:
	v_add_u32_e32 v147, 0x100, v148
	s_mov_b32 s16, 16
	v_mov_b32_e32 v146, 15
.LBB66_316:                             ; =>This Inner Loop Header: Depth=1
	ds_read2_b64 v[152:155], v147 offset1:1
	s_waitcnt lgkmcnt(1)
	v_xor_b32_e32 v157, 0x80000000, v137
	v_xor_b32_e32 v159, 0x80000000, v139
	v_cmp_gt_f64_e32 vcc, 0, v[138:139]
	v_cmp_gt_f64_e64 s[0:1], 0, v[136:137]
	v_mov_b32_e32 v156, v136
	v_mov_b32_e32 v158, v138
	v_cndmask_b32_e64 v157, v137, v157, s[0:1]
	v_cndmask_b32_e32 v159, v139, v159, vcc
	v_add_f64 v[156:157], v[156:157], v[158:159]
	s_waitcnt lgkmcnt(0)
	v_xor_b32_e32 v159, 0x80000000, v153
	v_xor_b32_e32 v161, 0x80000000, v155
	v_cmp_gt_f64_e32 vcc, 0, v[154:155]
	v_cmp_gt_f64_e64 s[0:1], 0, v[152:153]
	v_mov_b32_e32 v158, v152
	v_mov_b32_e32 v160, v154
	v_cndmask_b32_e64 v159, v153, v159, s[0:1]
	v_cndmask_b32_e32 v161, v155, v161, vcc
	v_add_f64 v[158:159], v[158:159], v[160:161]
	v_mov_b32_e32 v162, s16
	s_add_i32 s16, s16, 1
	v_cmp_lt_f64_e32 vcc, v[156:157], v[158:159]
	v_add_u32_e32 v147, 16, v147
	s_cmp_lg_u32 s20, s16
	v_cndmask_b32_e32 v137, v137, v153, vcc
	v_cndmask_b32_e32 v136, v136, v152, vcc
	;; [unrolled: 1-line block ×5, first 2 shown]
	s_cbranch_scc1 .LBB66_316
.LBB66_317:
	s_waitcnt lgkmcnt(0)
	v_cmp_eq_f64_e32 vcc, 0, v[136:137]
	v_cmp_eq_f64_e64 s[0:1], 0, v[138:139]
	s_and_b64 s[0:1], vcc, s[0:1]
	s_and_saveexec_b64 s[16:17], s[0:1]
	s_xor_b64 s[0:1], exec, s[16:17]
; %bb.318:
	v_cmp_ne_u32_e32 vcc, 0, v150
	s_nop 1
	v_cndmask_b32_e32 v150, 16, v150, vcc
; %bb.319:
	s_andn2_saveexec_b64 s[0:1], s[0:1]
	s_cbranch_execz .LBB66_325
; %bb.320:
	v_cmp_ngt_f64_e64 s[16:17], |v[136:137]|, |v[138:139]|
	s_and_saveexec_b64 s[18:19], s[16:17]
	s_xor_b64 s[16:17], exec, s[18:19]
	s_cbranch_execz .LBB66_322
; %bb.321:
	v_div_scale_f64 v[152:153], s[18:19], v[138:139], v[138:139], v[136:137]
	v_rcp_f64_e32 v[154:155], v[152:153]
	v_div_scale_f64 v[156:157], vcc, v[136:137], v[138:139], v[136:137]
	v_fma_f64 v[158:159], -v[152:153], v[154:155], 1.0
	v_fmac_f64_e32 v[154:155], v[154:155], v[158:159]
	v_fma_f64 v[158:159], -v[152:153], v[154:155], 1.0
	v_fmac_f64_e32 v[154:155], v[154:155], v[158:159]
	v_mul_f64 v[158:159], v[156:157], v[154:155]
	v_fma_f64 v[152:153], -v[152:153], v[158:159], v[156:157]
	v_div_fmas_f64 v[152:153], v[152:153], v[154:155], v[158:159]
	v_div_fixup_f64 v[152:153], v[152:153], v[138:139], v[136:137]
	v_fmac_f64_e32 v[138:139], v[136:137], v[152:153]
	v_div_scale_f64 v[136:137], s[18:19], v[138:139], v[138:139], 1.0
	v_rcp_f64_e32 v[154:155], v[136:137]
	s_nop 0
	v_fma_f64 v[156:157], -v[136:137], v[154:155], 1.0
	v_fmac_f64_e32 v[154:155], v[154:155], v[156:157]
	v_fma_f64 v[156:157], -v[136:137], v[154:155], 1.0
	v_fmac_f64_e32 v[154:155], v[154:155], v[156:157]
	v_div_scale_f64 v[156:157], vcc, 1.0, v[138:139], 1.0
	v_mul_f64 v[158:159], v[156:157], v[154:155]
	v_fma_f64 v[136:137], -v[136:137], v[158:159], v[156:157]
	s_nop 1
	v_div_fmas_f64 v[136:137], v[136:137], v[154:155], v[158:159]
	v_div_fixup_f64 v[138:139], v[136:137], v[138:139], 1.0
	v_mul_f64 v[136:137], v[152:153], v[138:139]
	v_xor_b32_e32 v139, 0x80000000, v139
.LBB66_322:
	s_andn2_saveexec_b64 s[16:17], s[16:17]
	s_cbranch_execz .LBB66_324
; %bb.323:
	v_div_scale_f64 v[152:153], s[18:19], v[136:137], v[136:137], v[138:139]
	v_rcp_f64_e32 v[154:155], v[152:153]
	v_div_scale_f64 v[156:157], vcc, v[138:139], v[136:137], v[138:139]
	v_fma_f64 v[158:159], -v[152:153], v[154:155], 1.0
	v_fmac_f64_e32 v[154:155], v[154:155], v[158:159]
	v_fma_f64 v[158:159], -v[152:153], v[154:155], 1.0
	v_fmac_f64_e32 v[154:155], v[154:155], v[158:159]
	v_mul_f64 v[158:159], v[156:157], v[154:155]
	v_fma_f64 v[152:153], -v[152:153], v[158:159], v[156:157]
	v_div_fmas_f64 v[152:153], v[152:153], v[154:155], v[158:159]
	v_div_fixup_f64 v[152:153], v[152:153], v[136:137], v[138:139]
	v_fmac_f64_e32 v[136:137], v[138:139], v[152:153]
	v_div_scale_f64 v[138:139], s[18:19], v[136:137], v[136:137], 1.0
	v_rcp_f64_e32 v[154:155], v[138:139]
	s_nop 0
	v_fma_f64 v[156:157], -v[138:139], v[154:155], 1.0
	v_fmac_f64_e32 v[154:155], v[154:155], v[156:157]
	v_fma_f64 v[156:157], -v[138:139], v[154:155], 1.0
	v_fmac_f64_e32 v[154:155], v[154:155], v[156:157]
	v_div_scale_f64 v[156:157], vcc, 1.0, v[136:137], 1.0
	v_mul_f64 v[158:159], v[156:157], v[154:155]
	v_fma_f64 v[138:139], -v[138:139], v[158:159], v[156:157]
	s_nop 1
	v_div_fmas_f64 v[138:139], v[138:139], v[154:155], v[158:159]
	v_div_fixup_f64 v[136:137], v[138:139], v[136:137], 1.0
	v_mul_f64 v[138:139], v[152:153], -v[136:137]
.LBB66_324:
	s_or_b64 exec, exec, s[16:17]
.LBB66_325:
	s_or_b64 exec, exec, s[0:1]
	v_cmp_ne_u32_e32 vcc, v149, v146
	s_and_saveexec_b64 s[0:1], vcc
	s_xor_b64 s[0:1], exec, s[0:1]
	s_cbranch_execz .LBB66_331
; %bb.326:
	v_cmp_eq_u32_e32 vcc, 15, v149
	s_and_saveexec_b64 s[16:17], vcc
	s_cbranch_execz .LBB66_330
; %bb.327:
	v_cmp_ne_u32_e32 vcc, 15, v146
	s_xor_b64 s[18:19], s[14:15], -1
	s_and_b64 s[22:23], s[18:19], vcc
	s_and_saveexec_b64 s[18:19], s[22:23]
	s_cbranch_execz .LBB66_329
; %bb.328:
	v_ashrrev_i32_e32 v147, 31, v146
	v_lshl_add_u64 v[152:153], v[146:147], 2, v[144:145]
	global_load_dword v147, v[152:153], off
	global_load_dword v149, v[144:145], off offset:60
	s_waitcnt vmcnt(1)
	global_store_dword v[144:145], v147, off offset:60
	s_waitcnt vmcnt(1)
	global_store_dword v[152:153], v149, off
.LBB66_329:
	s_or_b64 exec, exec, s[18:19]
	v_mov_b32_e32 v149, v146
	v_mov_b32_e32 v151, v146
.LBB66_330:
	s_or_b64 exec, exec, s[16:17]
.LBB66_331:
	s_andn2_saveexec_b64 s[0:1], s[0:1]
	s_cbranch_execz .LBB66_333
; %bb.332:
	v_mov_b32_e32 v149, 15
	s_waitcnt vmcnt(17)
	ds_write2_b64 v148, v[64:65], v[66:67] offset0:32 offset1:33
	s_waitcnt vmcnt(16)
	ds_write2_b64 v148, v[60:61], v[62:63] offset0:34 offset1:35
	;; [unrolled: 2-line block ×18, first 2 shown]
.LBB66_333:
	s_or_b64 exec, exec, s[0:1]
	v_cmp_lt_i32_e32 vcc, 15, v149
	s_waitcnt lgkmcnt(0)
	s_barrier
	s_and_saveexec_b64 s[0:1], vcc
	s_cbranch_execz .LBB66_335
; %bb.334:
	ds_read2_b64 v[152:155], v148 offset0:32 offset1:33
	v_mul_f64 v[146:147], v[138:139], v[70:71]
	v_mul_f64 v[70:71], v[136:137], v[70:71]
	v_fma_f64 v[146:147], v[136:137], v[68:69], -v[146:147]
	v_fmac_f64_e32 v[70:71], v[138:139], v[68:69]
	ds_read2_b64 v[136:139], v148 offset0:34 offset1:35
	s_waitcnt lgkmcnt(1)
	v_mul_f64 v[68:69], v[154:155], v[70:71]
	v_fma_f64 v[68:69], v[152:153], v[146:147], -v[68:69]
	v_mul_f64 v[152:153], v[152:153], v[70:71]
	v_fmac_f64_e32 v[152:153], v[154:155], v[146:147]
	s_waitcnt vmcnt(17)
	v_add_f64 v[64:65], v[64:65], -v[68:69]
	s_waitcnt lgkmcnt(0)
	v_mul_f64 v[68:69], v[138:139], v[70:71]
	v_add_f64 v[66:67], v[66:67], -v[152:153]
	v_fma_f64 v[68:69], v[136:137], v[146:147], -v[68:69]
	v_mul_f64 v[136:137], v[136:137], v[70:71]
	ds_read2_b64 v[152:155], v148 offset0:36 offset1:37
	v_fmac_f64_e32 v[136:137], v[138:139], v[146:147]
	s_waitcnt vmcnt(16)
	v_add_f64 v[62:63], v[62:63], -v[136:137]
	ds_read2_b64 v[136:139], v148 offset0:38 offset1:39
	v_add_f64 v[60:61], v[60:61], -v[68:69]
	s_waitcnt lgkmcnt(1)
	v_mul_f64 v[68:69], v[154:155], v[70:71]
	v_fma_f64 v[68:69], v[152:153], v[146:147], -v[68:69]
	v_mul_f64 v[152:153], v[152:153], v[70:71]
	v_fmac_f64_e32 v[152:153], v[154:155], v[146:147]
	s_waitcnt vmcnt(15)
	v_add_f64 v[56:57], v[56:57], -v[68:69]
	s_waitcnt lgkmcnt(0)
	v_mul_f64 v[68:69], v[138:139], v[70:71]
	v_add_f64 v[58:59], v[58:59], -v[152:153]
	v_fma_f64 v[68:69], v[136:137], v[146:147], -v[68:69]
	v_mul_f64 v[136:137], v[136:137], v[70:71]
	ds_read2_b64 v[152:155], v148 offset0:40 offset1:41
	v_fmac_f64_e32 v[136:137], v[138:139], v[146:147]
	s_waitcnt vmcnt(14)
	v_add_f64 v[54:55], v[54:55], -v[136:137]
	ds_read2_b64 v[136:139], v148 offset0:42 offset1:43
	v_add_f64 v[52:53], v[52:53], -v[68:69]
	;; [unrolled: 18-line block ×8, first 2 shown]
	s_waitcnt lgkmcnt(1)
	v_mul_f64 v[68:69], v[154:155], v[70:71]
	v_fma_f64 v[68:69], v[152:153], v[146:147], -v[68:69]
	s_waitcnt vmcnt(1)
	v_add_f64 v[0:1], v[0:1], -v[68:69]
	s_waitcnt lgkmcnt(0)
	v_mul_f64 v[68:69], v[138:139], v[70:71]
	v_mul_f64 v[152:153], v[152:153], v[70:71]
	v_fma_f64 v[68:69], v[136:137], v[146:147], -v[68:69]
	v_mul_f64 v[136:137], v[136:137], v[70:71]
	v_fmac_f64_e32 v[152:153], v[154:155], v[146:147]
	v_fmac_f64_e32 v[136:137], v[138:139], v[146:147]
	v_add_f64 v[2:3], v[2:3], -v[152:153]
	s_waitcnt vmcnt(0)
	v_add_f64 v[132:133], v[132:133], -v[68:69]
	v_add_f64 v[134:135], v[134:135], -v[136:137]
	v_mov_b64_e32 v[68:69], v[146:147]
.LBB66_335:
	s_or_b64 exec, exec, s[0:1]
	v_lshl_add_u32 v136, v149, 4, v148
	s_barrier
	s_waitcnt vmcnt(17)
	ds_write2_b64 v136, v[64:65], v[66:67] offset1:1
	s_waitcnt lgkmcnt(0)
	s_barrier
	ds_read2_b64 v[136:139], v148 offset0:32 offset1:33
	s_cmp_lt_i32 s20, 18
	v_mov_b32_e32 v146, 16
	s_cbranch_scc1 .LBB66_338
; %bb.336:
	v_add_u32_e32 v147, 0x110, v148
	s_mov_b32 s16, 17
	v_mov_b32_e32 v146, 16
.LBB66_337:                             ; =>This Inner Loop Header: Depth=1
	ds_read2_b64 v[152:155], v147 offset1:1
	s_waitcnt lgkmcnt(1)
	v_xor_b32_e32 v157, 0x80000000, v137
	v_xor_b32_e32 v159, 0x80000000, v139
	v_cmp_gt_f64_e32 vcc, 0, v[138:139]
	v_cmp_gt_f64_e64 s[0:1], 0, v[136:137]
	v_mov_b32_e32 v156, v136
	v_mov_b32_e32 v158, v138
	v_cndmask_b32_e64 v157, v137, v157, s[0:1]
	v_cndmask_b32_e32 v159, v139, v159, vcc
	v_add_f64 v[156:157], v[156:157], v[158:159]
	s_waitcnt lgkmcnt(0)
	v_xor_b32_e32 v159, 0x80000000, v153
	v_xor_b32_e32 v161, 0x80000000, v155
	v_cmp_gt_f64_e32 vcc, 0, v[154:155]
	v_cmp_gt_f64_e64 s[0:1], 0, v[152:153]
	v_mov_b32_e32 v158, v152
	v_mov_b32_e32 v160, v154
	v_cndmask_b32_e64 v159, v153, v159, s[0:1]
	v_cndmask_b32_e32 v161, v155, v161, vcc
	v_add_f64 v[158:159], v[158:159], v[160:161]
	v_mov_b32_e32 v162, s16
	s_add_i32 s16, s16, 1
	v_cmp_lt_f64_e32 vcc, v[156:157], v[158:159]
	v_add_u32_e32 v147, 16, v147
	s_cmp_lg_u32 s20, s16
	v_cndmask_b32_e32 v137, v137, v153, vcc
	v_cndmask_b32_e32 v136, v136, v152, vcc
	;; [unrolled: 1-line block ×5, first 2 shown]
	s_cbranch_scc1 .LBB66_337
.LBB66_338:
	s_waitcnt lgkmcnt(0)
	v_cmp_eq_f64_e32 vcc, 0, v[136:137]
	v_cmp_eq_f64_e64 s[0:1], 0, v[138:139]
	s_and_b64 s[0:1], vcc, s[0:1]
	s_and_saveexec_b64 s[16:17], s[0:1]
	s_xor_b64 s[0:1], exec, s[16:17]
; %bb.339:
	v_cmp_ne_u32_e32 vcc, 0, v150
	s_nop 1
	v_cndmask_b32_e32 v150, 17, v150, vcc
; %bb.340:
	s_andn2_saveexec_b64 s[0:1], s[0:1]
	s_cbranch_execz .LBB66_346
; %bb.341:
	v_cmp_ngt_f64_e64 s[16:17], |v[136:137]|, |v[138:139]|
	s_and_saveexec_b64 s[18:19], s[16:17]
	s_xor_b64 s[16:17], exec, s[18:19]
	s_cbranch_execz .LBB66_343
; %bb.342:
	v_div_scale_f64 v[152:153], s[18:19], v[138:139], v[138:139], v[136:137]
	v_rcp_f64_e32 v[154:155], v[152:153]
	v_div_scale_f64 v[156:157], vcc, v[136:137], v[138:139], v[136:137]
	v_fma_f64 v[158:159], -v[152:153], v[154:155], 1.0
	v_fmac_f64_e32 v[154:155], v[154:155], v[158:159]
	v_fma_f64 v[158:159], -v[152:153], v[154:155], 1.0
	v_fmac_f64_e32 v[154:155], v[154:155], v[158:159]
	v_mul_f64 v[158:159], v[156:157], v[154:155]
	v_fma_f64 v[152:153], -v[152:153], v[158:159], v[156:157]
	v_div_fmas_f64 v[152:153], v[152:153], v[154:155], v[158:159]
	v_div_fixup_f64 v[152:153], v[152:153], v[138:139], v[136:137]
	v_fmac_f64_e32 v[138:139], v[136:137], v[152:153]
	v_div_scale_f64 v[136:137], s[18:19], v[138:139], v[138:139], 1.0
	v_rcp_f64_e32 v[154:155], v[136:137]
	s_nop 0
	v_fma_f64 v[156:157], -v[136:137], v[154:155], 1.0
	v_fmac_f64_e32 v[154:155], v[154:155], v[156:157]
	v_fma_f64 v[156:157], -v[136:137], v[154:155], 1.0
	v_fmac_f64_e32 v[154:155], v[154:155], v[156:157]
	v_div_scale_f64 v[156:157], vcc, 1.0, v[138:139], 1.0
	v_mul_f64 v[158:159], v[156:157], v[154:155]
	v_fma_f64 v[136:137], -v[136:137], v[158:159], v[156:157]
	s_nop 1
	v_div_fmas_f64 v[136:137], v[136:137], v[154:155], v[158:159]
	v_div_fixup_f64 v[138:139], v[136:137], v[138:139], 1.0
	v_mul_f64 v[136:137], v[152:153], v[138:139]
	v_xor_b32_e32 v139, 0x80000000, v139
.LBB66_343:
	s_andn2_saveexec_b64 s[16:17], s[16:17]
	s_cbranch_execz .LBB66_345
; %bb.344:
	v_div_scale_f64 v[152:153], s[18:19], v[136:137], v[136:137], v[138:139]
	v_rcp_f64_e32 v[154:155], v[152:153]
	v_div_scale_f64 v[156:157], vcc, v[138:139], v[136:137], v[138:139]
	v_fma_f64 v[158:159], -v[152:153], v[154:155], 1.0
	v_fmac_f64_e32 v[154:155], v[154:155], v[158:159]
	v_fma_f64 v[158:159], -v[152:153], v[154:155], 1.0
	v_fmac_f64_e32 v[154:155], v[154:155], v[158:159]
	v_mul_f64 v[158:159], v[156:157], v[154:155]
	v_fma_f64 v[152:153], -v[152:153], v[158:159], v[156:157]
	v_div_fmas_f64 v[152:153], v[152:153], v[154:155], v[158:159]
	v_div_fixup_f64 v[152:153], v[152:153], v[136:137], v[138:139]
	v_fmac_f64_e32 v[136:137], v[138:139], v[152:153]
	v_div_scale_f64 v[138:139], s[18:19], v[136:137], v[136:137], 1.0
	v_rcp_f64_e32 v[154:155], v[138:139]
	s_nop 0
	v_fma_f64 v[156:157], -v[138:139], v[154:155], 1.0
	v_fmac_f64_e32 v[154:155], v[154:155], v[156:157]
	v_fma_f64 v[156:157], -v[138:139], v[154:155], 1.0
	v_fmac_f64_e32 v[154:155], v[154:155], v[156:157]
	v_div_scale_f64 v[156:157], vcc, 1.0, v[136:137], 1.0
	v_mul_f64 v[158:159], v[156:157], v[154:155]
	v_fma_f64 v[138:139], -v[138:139], v[158:159], v[156:157]
	s_nop 1
	v_div_fmas_f64 v[138:139], v[138:139], v[154:155], v[158:159]
	v_div_fixup_f64 v[136:137], v[138:139], v[136:137], 1.0
	v_mul_f64 v[138:139], v[152:153], -v[136:137]
.LBB66_345:
	s_or_b64 exec, exec, s[16:17]
.LBB66_346:
	s_or_b64 exec, exec, s[0:1]
	v_cmp_ne_u32_e32 vcc, v149, v146
	s_and_saveexec_b64 s[0:1], vcc
	s_xor_b64 s[0:1], exec, s[0:1]
	s_cbranch_execz .LBB66_352
; %bb.347:
	v_cmp_eq_u32_e32 vcc, 16, v149
	s_and_saveexec_b64 s[16:17], vcc
	s_cbranch_execz .LBB66_351
; %bb.348:
	v_cmp_ne_u32_e32 vcc, 16, v146
	s_xor_b64 s[18:19], s[14:15], -1
	s_and_b64 s[22:23], s[18:19], vcc
	s_and_saveexec_b64 s[18:19], s[22:23]
	s_cbranch_execz .LBB66_350
; %bb.349:
	v_ashrrev_i32_e32 v147, 31, v146
	v_lshl_add_u64 v[152:153], v[146:147], 2, v[144:145]
	global_load_dword v147, v[152:153], off
	global_load_dword v149, v[144:145], off offset:64
	s_waitcnt vmcnt(1)
	global_store_dword v[144:145], v147, off offset:64
	s_waitcnt vmcnt(1)
	global_store_dword v[152:153], v149, off
.LBB66_350:
	s_or_b64 exec, exec, s[18:19]
	v_mov_b32_e32 v149, v146
	v_mov_b32_e32 v151, v146
.LBB66_351:
	s_or_b64 exec, exec, s[16:17]
.LBB66_352:
	s_andn2_saveexec_b64 s[0:1], s[0:1]
	s_cbranch_execz .LBB66_354
; %bb.353:
	v_mov_b32_e32 v149, 16
	s_waitcnt vmcnt(16)
	ds_write2_b64 v148, v[60:61], v[62:63] offset0:34 offset1:35
	s_waitcnt vmcnt(15)
	ds_write2_b64 v148, v[56:57], v[58:59] offset0:36 offset1:37
	;; [unrolled: 2-line block ×17, first 2 shown]
.LBB66_354:
	s_or_b64 exec, exec, s[0:1]
	v_cmp_lt_i32_e32 vcc, 16, v149
	s_waitcnt lgkmcnt(0)
	s_barrier
	s_and_saveexec_b64 s[0:1], vcc
	s_cbranch_execz .LBB66_356
; %bb.355:
	ds_read2_b64 v[152:155], v148 offset0:34 offset1:35
	v_mul_f64 v[146:147], v[138:139], v[66:67]
	v_mul_f64 v[66:67], v[136:137], v[66:67]
	v_fmac_f64_e32 v[66:67], v[138:139], v[64:65]
	v_fma_f64 v[146:147], v[136:137], v[64:65], -v[146:147]
	ds_read2_b64 v[136:139], v148 offset0:36 offset1:37
	s_waitcnt lgkmcnt(1)
	v_mul_f64 v[64:65], v[154:155], v[66:67]
	v_fma_f64 v[64:65], v[152:153], v[146:147], -v[64:65]
	v_mul_f64 v[152:153], v[152:153], v[66:67]
	v_fmac_f64_e32 v[152:153], v[154:155], v[146:147]
	s_waitcnt vmcnt(16)
	v_add_f64 v[62:63], v[62:63], -v[152:153]
	ds_read2_b64 v[152:155], v148 offset0:38 offset1:39
	v_add_f64 v[60:61], v[60:61], -v[64:65]
	s_waitcnt lgkmcnt(1)
	v_mul_f64 v[64:65], v[138:139], v[66:67]
	v_fma_f64 v[64:65], v[136:137], v[146:147], -v[64:65]
	v_mul_f64 v[136:137], v[136:137], v[66:67]
	v_fmac_f64_e32 v[136:137], v[138:139], v[146:147]
	s_waitcnt vmcnt(15)
	v_add_f64 v[56:57], v[56:57], -v[64:65]
	v_add_f64 v[58:59], v[58:59], -v[136:137]
	ds_read2_b64 v[136:139], v148 offset0:40 offset1:41
	s_waitcnt lgkmcnt(1)
	v_mul_f64 v[64:65], v[154:155], v[66:67]
	v_fma_f64 v[64:65], v[152:153], v[146:147], -v[64:65]
	v_mul_f64 v[152:153], v[152:153], v[66:67]
	v_fmac_f64_e32 v[152:153], v[154:155], v[146:147]
	s_waitcnt vmcnt(14)
	v_add_f64 v[54:55], v[54:55], -v[152:153]
	ds_read2_b64 v[152:155], v148 offset0:42 offset1:43
	v_add_f64 v[52:53], v[52:53], -v[64:65]
	s_waitcnt lgkmcnt(1)
	v_mul_f64 v[64:65], v[138:139], v[66:67]
	v_fma_f64 v[64:65], v[136:137], v[146:147], -v[64:65]
	v_mul_f64 v[136:137], v[136:137], v[66:67]
	v_fmac_f64_e32 v[136:137], v[138:139], v[146:147]
	s_waitcnt vmcnt(13)
	v_add_f64 v[48:49], v[48:49], -v[64:65]
	v_add_f64 v[50:51], v[50:51], -v[136:137]
	;; [unrolled: 18-line block ×8, first 2 shown]
	s_waitcnt lgkmcnt(0)
	v_mul_f64 v[64:65], v[154:155], v[66:67]
	v_mul_f64 v[136:137], v[152:153], v[66:67]
	v_fma_f64 v[64:65], v[152:153], v[146:147], -v[64:65]
	v_fmac_f64_e32 v[136:137], v[154:155], v[146:147]
	s_waitcnt vmcnt(0)
	v_add_f64 v[132:133], v[132:133], -v[64:65]
	v_add_f64 v[134:135], v[134:135], -v[136:137]
	v_mov_b64_e32 v[64:65], v[146:147]
.LBB66_356:
	s_or_b64 exec, exec, s[0:1]
	v_lshl_add_u32 v136, v149, 4, v148
	s_barrier
	s_waitcnt vmcnt(16)
	ds_write2_b64 v136, v[60:61], v[62:63] offset1:1
	s_waitcnt lgkmcnt(0)
	s_barrier
	ds_read2_b64 v[136:139], v148 offset0:34 offset1:35
	s_cmp_lt_i32 s20, 19
	v_mov_b32_e32 v146, 17
	s_cbranch_scc1 .LBB66_359
; %bb.357:
	v_add_u32_e32 v147, 0x120, v148
	s_mov_b32 s16, 18
	v_mov_b32_e32 v146, 17
.LBB66_358:                             ; =>This Inner Loop Header: Depth=1
	ds_read2_b64 v[152:155], v147 offset1:1
	s_waitcnt lgkmcnt(1)
	v_xor_b32_e32 v157, 0x80000000, v137
	v_xor_b32_e32 v159, 0x80000000, v139
	v_cmp_gt_f64_e32 vcc, 0, v[138:139]
	v_cmp_gt_f64_e64 s[0:1], 0, v[136:137]
	v_mov_b32_e32 v156, v136
	v_mov_b32_e32 v158, v138
	v_cndmask_b32_e64 v157, v137, v157, s[0:1]
	v_cndmask_b32_e32 v159, v139, v159, vcc
	v_add_f64 v[156:157], v[156:157], v[158:159]
	s_waitcnt lgkmcnt(0)
	v_xor_b32_e32 v159, 0x80000000, v153
	v_xor_b32_e32 v161, 0x80000000, v155
	v_cmp_gt_f64_e32 vcc, 0, v[154:155]
	v_cmp_gt_f64_e64 s[0:1], 0, v[152:153]
	v_mov_b32_e32 v158, v152
	v_mov_b32_e32 v160, v154
	v_cndmask_b32_e64 v159, v153, v159, s[0:1]
	v_cndmask_b32_e32 v161, v155, v161, vcc
	v_add_f64 v[158:159], v[158:159], v[160:161]
	v_mov_b32_e32 v162, s16
	s_add_i32 s16, s16, 1
	v_cmp_lt_f64_e32 vcc, v[156:157], v[158:159]
	v_add_u32_e32 v147, 16, v147
	s_cmp_lg_u32 s20, s16
	v_cndmask_b32_e32 v137, v137, v153, vcc
	v_cndmask_b32_e32 v136, v136, v152, vcc
	;; [unrolled: 1-line block ×5, first 2 shown]
	s_cbranch_scc1 .LBB66_358
.LBB66_359:
	s_waitcnt lgkmcnt(0)
	v_cmp_eq_f64_e32 vcc, 0, v[136:137]
	v_cmp_eq_f64_e64 s[0:1], 0, v[138:139]
	s_and_b64 s[0:1], vcc, s[0:1]
	s_and_saveexec_b64 s[16:17], s[0:1]
	s_xor_b64 s[0:1], exec, s[16:17]
; %bb.360:
	v_cmp_ne_u32_e32 vcc, 0, v150
	s_nop 1
	v_cndmask_b32_e32 v150, 18, v150, vcc
; %bb.361:
	s_andn2_saveexec_b64 s[0:1], s[0:1]
	s_cbranch_execz .LBB66_367
; %bb.362:
	v_cmp_ngt_f64_e64 s[16:17], |v[136:137]|, |v[138:139]|
	s_and_saveexec_b64 s[18:19], s[16:17]
	s_xor_b64 s[16:17], exec, s[18:19]
	s_cbranch_execz .LBB66_364
; %bb.363:
	v_div_scale_f64 v[152:153], s[18:19], v[138:139], v[138:139], v[136:137]
	v_rcp_f64_e32 v[154:155], v[152:153]
	v_div_scale_f64 v[156:157], vcc, v[136:137], v[138:139], v[136:137]
	v_fma_f64 v[158:159], -v[152:153], v[154:155], 1.0
	v_fmac_f64_e32 v[154:155], v[154:155], v[158:159]
	v_fma_f64 v[158:159], -v[152:153], v[154:155], 1.0
	v_fmac_f64_e32 v[154:155], v[154:155], v[158:159]
	v_mul_f64 v[158:159], v[156:157], v[154:155]
	v_fma_f64 v[152:153], -v[152:153], v[158:159], v[156:157]
	v_div_fmas_f64 v[152:153], v[152:153], v[154:155], v[158:159]
	v_div_fixup_f64 v[152:153], v[152:153], v[138:139], v[136:137]
	v_fmac_f64_e32 v[138:139], v[136:137], v[152:153]
	v_div_scale_f64 v[136:137], s[18:19], v[138:139], v[138:139], 1.0
	v_rcp_f64_e32 v[154:155], v[136:137]
	s_nop 0
	v_fma_f64 v[156:157], -v[136:137], v[154:155], 1.0
	v_fmac_f64_e32 v[154:155], v[154:155], v[156:157]
	v_fma_f64 v[156:157], -v[136:137], v[154:155], 1.0
	v_fmac_f64_e32 v[154:155], v[154:155], v[156:157]
	v_div_scale_f64 v[156:157], vcc, 1.0, v[138:139], 1.0
	v_mul_f64 v[158:159], v[156:157], v[154:155]
	v_fma_f64 v[136:137], -v[136:137], v[158:159], v[156:157]
	s_nop 1
	v_div_fmas_f64 v[136:137], v[136:137], v[154:155], v[158:159]
	v_div_fixup_f64 v[138:139], v[136:137], v[138:139], 1.0
	v_mul_f64 v[136:137], v[152:153], v[138:139]
	v_xor_b32_e32 v139, 0x80000000, v139
.LBB66_364:
	s_andn2_saveexec_b64 s[16:17], s[16:17]
	s_cbranch_execz .LBB66_366
; %bb.365:
	v_div_scale_f64 v[152:153], s[18:19], v[136:137], v[136:137], v[138:139]
	v_rcp_f64_e32 v[154:155], v[152:153]
	v_div_scale_f64 v[156:157], vcc, v[138:139], v[136:137], v[138:139]
	v_fma_f64 v[158:159], -v[152:153], v[154:155], 1.0
	v_fmac_f64_e32 v[154:155], v[154:155], v[158:159]
	v_fma_f64 v[158:159], -v[152:153], v[154:155], 1.0
	v_fmac_f64_e32 v[154:155], v[154:155], v[158:159]
	v_mul_f64 v[158:159], v[156:157], v[154:155]
	v_fma_f64 v[152:153], -v[152:153], v[158:159], v[156:157]
	v_div_fmas_f64 v[152:153], v[152:153], v[154:155], v[158:159]
	v_div_fixup_f64 v[152:153], v[152:153], v[136:137], v[138:139]
	v_fmac_f64_e32 v[136:137], v[138:139], v[152:153]
	v_div_scale_f64 v[138:139], s[18:19], v[136:137], v[136:137], 1.0
	v_rcp_f64_e32 v[154:155], v[138:139]
	s_nop 0
	v_fma_f64 v[156:157], -v[138:139], v[154:155], 1.0
	v_fmac_f64_e32 v[154:155], v[154:155], v[156:157]
	v_fma_f64 v[156:157], -v[138:139], v[154:155], 1.0
	v_fmac_f64_e32 v[154:155], v[154:155], v[156:157]
	v_div_scale_f64 v[156:157], vcc, 1.0, v[136:137], 1.0
	v_mul_f64 v[158:159], v[156:157], v[154:155]
	v_fma_f64 v[138:139], -v[138:139], v[158:159], v[156:157]
	s_nop 1
	v_div_fmas_f64 v[138:139], v[138:139], v[154:155], v[158:159]
	v_div_fixup_f64 v[136:137], v[138:139], v[136:137], 1.0
	v_mul_f64 v[138:139], v[152:153], -v[136:137]
.LBB66_366:
	s_or_b64 exec, exec, s[16:17]
.LBB66_367:
	s_or_b64 exec, exec, s[0:1]
	v_cmp_ne_u32_e32 vcc, v149, v146
	s_and_saveexec_b64 s[0:1], vcc
	s_xor_b64 s[0:1], exec, s[0:1]
	s_cbranch_execz .LBB66_373
; %bb.368:
	v_cmp_eq_u32_e32 vcc, 17, v149
	s_and_saveexec_b64 s[16:17], vcc
	s_cbranch_execz .LBB66_372
; %bb.369:
	v_cmp_ne_u32_e32 vcc, 17, v146
	s_xor_b64 s[18:19], s[14:15], -1
	s_and_b64 s[22:23], s[18:19], vcc
	s_and_saveexec_b64 s[18:19], s[22:23]
	s_cbranch_execz .LBB66_371
; %bb.370:
	v_ashrrev_i32_e32 v147, 31, v146
	v_lshl_add_u64 v[152:153], v[146:147], 2, v[144:145]
	global_load_dword v147, v[152:153], off
	global_load_dword v149, v[144:145], off offset:68
	s_waitcnt vmcnt(1)
	global_store_dword v[144:145], v147, off offset:68
	s_waitcnt vmcnt(1)
	global_store_dword v[152:153], v149, off
.LBB66_371:
	s_or_b64 exec, exec, s[18:19]
	v_mov_b32_e32 v149, v146
	v_mov_b32_e32 v151, v146
.LBB66_372:
	s_or_b64 exec, exec, s[16:17]
.LBB66_373:
	s_andn2_saveexec_b64 s[0:1], s[0:1]
	s_cbranch_execz .LBB66_375
; %bb.374:
	v_mov_b32_e32 v149, 17
	s_waitcnt vmcnt(15)
	ds_write2_b64 v148, v[56:57], v[58:59] offset0:36 offset1:37
	s_waitcnt vmcnt(14)
	ds_write2_b64 v148, v[52:53], v[54:55] offset0:38 offset1:39
	;; [unrolled: 2-line block ×16, first 2 shown]
.LBB66_375:
	s_or_b64 exec, exec, s[0:1]
	v_cmp_lt_i32_e32 vcc, 17, v149
	s_waitcnt lgkmcnt(0)
	s_barrier
	s_and_saveexec_b64 s[0:1], vcc
	s_cbranch_execz .LBB66_377
; %bb.376:
	ds_read2_b64 v[152:155], v148 offset0:36 offset1:37
	v_mul_f64 v[146:147], v[136:137], v[62:63]
	v_mul_f64 v[62:63], v[138:139], v[62:63]
	v_fmac_f64_e32 v[146:147], v[138:139], v[60:61]
	v_fma_f64 v[60:61], v[136:137], v[60:61], -v[62:63]
	ds_read2_b64 v[136:139], v148 offset0:38 offset1:39
	s_waitcnt lgkmcnt(1)
	v_mul_f64 v[62:63], v[154:155], v[146:147]
	v_fma_f64 v[62:63], v[152:153], v[60:61], -v[62:63]
	v_mul_f64 v[152:153], v[152:153], v[146:147]
	v_fmac_f64_e32 v[152:153], v[154:155], v[60:61]
	s_waitcnt vmcnt(15)
	v_add_f64 v[56:57], v[56:57], -v[62:63]
	s_waitcnt lgkmcnt(0)
	v_mul_f64 v[62:63], v[138:139], v[146:147]
	v_add_f64 v[58:59], v[58:59], -v[152:153]
	v_fma_f64 v[62:63], v[136:137], v[60:61], -v[62:63]
	v_mul_f64 v[136:137], v[136:137], v[146:147]
	ds_read2_b64 v[152:155], v148 offset0:40 offset1:41
	v_fmac_f64_e32 v[136:137], v[138:139], v[60:61]
	s_waitcnt vmcnt(14)
	v_add_f64 v[54:55], v[54:55], -v[136:137]
	ds_read2_b64 v[136:139], v148 offset0:42 offset1:43
	v_add_f64 v[52:53], v[52:53], -v[62:63]
	s_waitcnt lgkmcnt(1)
	v_mul_f64 v[62:63], v[154:155], v[146:147]
	v_fma_f64 v[62:63], v[152:153], v[60:61], -v[62:63]
	v_mul_f64 v[152:153], v[152:153], v[146:147]
	v_fmac_f64_e32 v[152:153], v[154:155], v[60:61]
	s_waitcnt vmcnt(13)
	v_add_f64 v[48:49], v[48:49], -v[62:63]
	s_waitcnt lgkmcnt(0)
	v_mul_f64 v[62:63], v[138:139], v[146:147]
	v_add_f64 v[50:51], v[50:51], -v[152:153]
	v_fma_f64 v[62:63], v[136:137], v[60:61], -v[62:63]
	v_mul_f64 v[136:137], v[136:137], v[146:147]
	ds_read2_b64 v[152:155], v148 offset0:44 offset1:45
	v_fmac_f64_e32 v[136:137], v[138:139], v[60:61]
	s_waitcnt vmcnt(12)
	v_add_f64 v[46:47], v[46:47], -v[136:137]
	ds_read2_b64 v[136:139], v148 offset0:46 offset1:47
	v_add_f64 v[44:45], v[44:45], -v[62:63]
	;; [unrolled: 18-line block ×7, first 2 shown]
	s_waitcnt lgkmcnt(1)
	v_mul_f64 v[62:63], v[154:155], v[146:147]
	v_fma_f64 v[62:63], v[152:153], v[60:61], -v[62:63]
	s_waitcnt vmcnt(1)
	v_add_f64 v[0:1], v[0:1], -v[62:63]
	s_waitcnt lgkmcnt(0)
	v_mul_f64 v[62:63], v[138:139], v[146:147]
	v_mul_f64 v[152:153], v[152:153], v[146:147]
	v_fma_f64 v[62:63], v[136:137], v[60:61], -v[62:63]
	v_mul_f64 v[136:137], v[136:137], v[146:147]
	v_fmac_f64_e32 v[152:153], v[154:155], v[60:61]
	v_fmac_f64_e32 v[136:137], v[138:139], v[60:61]
	v_add_f64 v[2:3], v[2:3], -v[152:153]
	s_waitcnt vmcnt(0)
	v_add_f64 v[132:133], v[132:133], -v[62:63]
	v_add_f64 v[134:135], v[134:135], -v[136:137]
	v_mov_b64_e32 v[62:63], v[146:147]
.LBB66_377:
	s_or_b64 exec, exec, s[0:1]
	v_lshl_add_u32 v136, v149, 4, v148
	s_barrier
	s_waitcnt vmcnt(15)
	ds_write2_b64 v136, v[56:57], v[58:59] offset1:1
	s_waitcnt lgkmcnt(0)
	s_barrier
	ds_read2_b64 v[136:139], v148 offset0:36 offset1:37
	s_cmp_lt_i32 s20, 20
	v_mov_b32_e32 v146, 18
	s_cbranch_scc1 .LBB66_380
; %bb.378:
	v_add_u32_e32 v147, 0x130, v148
	s_mov_b32 s16, 19
	v_mov_b32_e32 v146, 18
.LBB66_379:                             ; =>This Inner Loop Header: Depth=1
	ds_read2_b64 v[152:155], v147 offset1:1
	s_waitcnt lgkmcnt(1)
	v_xor_b32_e32 v157, 0x80000000, v137
	v_xor_b32_e32 v159, 0x80000000, v139
	v_cmp_gt_f64_e32 vcc, 0, v[138:139]
	v_cmp_gt_f64_e64 s[0:1], 0, v[136:137]
	v_mov_b32_e32 v156, v136
	v_mov_b32_e32 v158, v138
	v_cndmask_b32_e64 v157, v137, v157, s[0:1]
	v_cndmask_b32_e32 v159, v139, v159, vcc
	v_add_f64 v[156:157], v[156:157], v[158:159]
	s_waitcnt lgkmcnt(0)
	v_xor_b32_e32 v159, 0x80000000, v153
	v_xor_b32_e32 v161, 0x80000000, v155
	v_cmp_gt_f64_e32 vcc, 0, v[154:155]
	v_cmp_gt_f64_e64 s[0:1], 0, v[152:153]
	v_mov_b32_e32 v158, v152
	v_mov_b32_e32 v160, v154
	v_cndmask_b32_e64 v159, v153, v159, s[0:1]
	v_cndmask_b32_e32 v161, v155, v161, vcc
	v_add_f64 v[158:159], v[158:159], v[160:161]
	v_mov_b32_e32 v162, s16
	s_add_i32 s16, s16, 1
	v_cmp_lt_f64_e32 vcc, v[156:157], v[158:159]
	v_add_u32_e32 v147, 16, v147
	s_cmp_lg_u32 s20, s16
	v_cndmask_b32_e32 v137, v137, v153, vcc
	v_cndmask_b32_e32 v136, v136, v152, vcc
	;; [unrolled: 1-line block ×5, first 2 shown]
	s_cbranch_scc1 .LBB66_379
.LBB66_380:
	s_waitcnt lgkmcnt(0)
	v_cmp_eq_f64_e32 vcc, 0, v[136:137]
	v_cmp_eq_f64_e64 s[0:1], 0, v[138:139]
	s_and_b64 s[0:1], vcc, s[0:1]
	s_and_saveexec_b64 s[16:17], s[0:1]
	s_xor_b64 s[0:1], exec, s[16:17]
; %bb.381:
	v_cmp_ne_u32_e32 vcc, 0, v150
	s_nop 1
	v_cndmask_b32_e32 v150, 19, v150, vcc
; %bb.382:
	s_andn2_saveexec_b64 s[0:1], s[0:1]
	s_cbranch_execz .LBB66_388
; %bb.383:
	v_cmp_ngt_f64_e64 s[16:17], |v[136:137]|, |v[138:139]|
	s_and_saveexec_b64 s[18:19], s[16:17]
	s_xor_b64 s[16:17], exec, s[18:19]
	s_cbranch_execz .LBB66_385
; %bb.384:
	v_div_scale_f64 v[152:153], s[18:19], v[138:139], v[138:139], v[136:137]
	v_rcp_f64_e32 v[154:155], v[152:153]
	v_div_scale_f64 v[156:157], vcc, v[136:137], v[138:139], v[136:137]
	v_fma_f64 v[158:159], -v[152:153], v[154:155], 1.0
	v_fmac_f64_e32 v[154:155], v[154:155], v[158:159]
	v_fma_f64 v[158:159], -v[152:153], v[154:155], 1.0
	v_fmac_f64_e32 v[154:155], v[154:155], v[158:159]
	v_mul_f64 v[158:159], v[156:157], v[154:155]
	v_fma_f64 v[152:153], -v[152:153], v[158:159], v[156:157]
	v_div_fmas_f64 v[152:153], v[152:153], v[154:155], v[158:159]
	v_div_fixup_f64 v[152:153], v[152:153], v[138:139], v[136:137]
	v_fmac_f64_e32 v[138:139], v[136:137], v[152:153]
	v_div_scale_f64 v[136:137], s[18:19], v[138:139], v[138:139], 1.0
	v_rcp_f64_e32 v[154:155], v[136:137]
	s_nop 0
	v_fma_f64 v[156:157], -v[136:137], v[154:155], 1.0
	v_fmac_f64_e32 v[154:155], v[154:155], v[156:157]
	v_fma_f64 v[156:157], -v[136:137], v[154:155], 1.0
	v_fmac_f64_e32 v[154:155], v[154:155], v[156:157]
	v_div_scale_f64 v[156:157], vcc, 1.0, v[138:139], 1.0
	v_mul_f64 v[158:159], v[156:157], v[154:155]
	v_fma_f64 v[136:137], -v[136:137], v[158:159], v[156:157]
	s_nop 1
	v_div_fmas_f64 v[136:137], v[136:137], v[154:155], v[158:159]
	v_div_fixup_f64 v[138:139], v[136:137], v[138:139], 1.0
	v_mul_f64 v[136:137], v[152:153], v[138:139]
	v_xor_b32_e32 v139, 0x80000000, v139
.LBB66_385:
	s_andn2_saveexec_b64 s[16:17], s[16:17]
	s_cbranch_execz .LBB66_387
; %bb.386:
	v_div_scale_f64 v[152:153], s[18:19], v[136:137], v[136:137], v[138:139]
	v_rcp_f64_e32 v[154:155], v[152:153]
	v_div_scale_f64 v[156:157], vcc, v[138:139], v[136:137], v[138:139]
	v_fma_f64 v[158:159], -v[152:153], v[154:155], 1.0
	v_fmac_f64_e32 v[154:155], v[154:155], v[158:159]
	v_fma_f64 v[158:159], -v[152:153], v[154:155], 1.0
	v_fmac_f64_e32 v[154:155], v[154:155], v[158:159]
	v_mul_f64 v[158:159], v[156:157], v[154:155]
	v_fma_f64 v[152:153], -v[152:153], v[158:159], v[156:157]
	v_div_fmas_f64 v[152:153], v[152:153], v[154:155], v[158:159]
	v_div_fixup_f64 v[152:153], v[152:153], v[136:137], v[138:139]
	v_fmac_f64_e32 v[136:137], v[138:139], v[152:153]
	v_div_scale_f64 v[138:139], s[18:19], v[136:137], v[136:137], 1.0
	v_rcp_f64_e32 v[154:155], v[138:139]
	s_nop 0
	v_fma_f64 v[156:157], -v[138:139], v[154:155], 1.0
	v_fmac_f64_e32 v[154:155], v[154:155], v[156:157]
	v_fma_f64 v[156:157], -v[138:139], v[154:155], 1.0
	v_fmac_f64_e32 v[154:155], v[154:155], v[156:157]
	v_div_scale_f64 v[156:157], vcc, 1.0, v[136:137], 1.0
	v_mul_f64 v[158:159], v[156:157], v[154:155]
	v_fma_f64 v[138:139], -v[138:139], v[158:159], v[156:157]
	s_nop 1
	v_div_fmas_f64 v[138:139], v[138:139], v[154:155], v[158:159]
	v_div_fixup_f64 v[136:137], v[138:139], v[136:137], 1.0
	v_mul_f64 v[138:139], v[152:153], -v[136:137]
.LBB66_387:
	s_or_b64 exec, exec, s[16:17]
.LBB66_388:
	s_or_b64 exec, exec, s[0:1]
	v_cmp_ne_u32_e32 vcc, v149, v146
	s_and_saveexec_b64 s[0:1], vcc
	s_xor_b64 s[0:1], exec, s[0:1]
	s_cbranch_execz .LBB66_394
; %bb.389:
	v_cmp_eq_u32_e32 vcc, 18, v149
	s_and_saveexec_b64 s[16:17], vcc
	s_cbranch_execz .LBB66_393
; %bb.390:
	v_cmp_ne_u32_e32 vcc, 18, v146
	s_xor_b64 s[18:19], s[14:15], -1
	s_and_b64 s[22:23], s[18:19], vcc
	s_and_saveexec_b64 s[18:19], s[22:23]
	s_cbranch_execz .LBB66_392
; %bb.391:
	v_ashrrev_i32_e32 v147, 31, v146
	v_lshl_add_u64 v[152:153], v[146:147], 2, v[144:145]
	global_load_dword v147, v[152:153], off
	global_load_dword v149, v[144:145], off offset:72
	s_waitcnt vmcnt(1)
	global_store_dword v[144:145], v147, off offset:72
	s_waitcnt vmcnt(1)
	global_store_dword v[152:153], v149, off
.LBB66_392:
	s_or_b64 exec, exec, s[18:19]
	v_mov_b32_e32 v149, v146
	v_mov_b32_e32 v151, v146
.LBB66_393:
	s_or_b64 exec, exec, s[16:17]
.LBB66_394:
	s_andn2_saveexec_b64 s[0:1], s[0:1]
	s_cbranch_execz .LBB66_396
; %bb.395:
	v_mov_b32_e32 v149, 18
	s_waitcnt vmcnt(14)
	ds_write2_b64 v148, v[52:53], v[54:55] offset0:38 offset1:39
	s_waitcnt vmcnt(13)
	ds_write2_b64 v148, v[48:49], v[50:51] offset0:40 offset1:41
	;; [unrolled: 2-line block ×15, first 2 shown]
.LBB66_396:
	s_or_b64 exec, exec, s[0:1]
	v_cmp_lt_i32_e32 vcc, 18, v149
	s_waitcnt lgkmcnt(0)
	s_barrier
	s_and_saveexec_b64 s[0:1], vcc
	s_cbranch_execz .LBB66_398
; %bb.397:
	ds_read2_b64 v[152:155], v148 offset0:38 offset1:39
	v_mul_f64 v[146:147], v[136:137], v[58:59]
	v_fmac_f64_e32 v[146:147], v[138:139], v[56:57]
	v_mul_f64 v[58:59], v[138:139], v[58:59]
	v_fma_f64 v[56:57], v[136:137], v[56:57], -v[58:59]
	ds_read2_b64 v[136:139], v148 offset0:40 offset1:41
	s_waitcnt lgkmcnt(1)
	v_mul_f64 v[58:59], v[154:155], v[146:147]
	v_fma_f64 v[58:59], v[152:153], v[56:57], -v[58:59]
	v_mul_f64 v[152:153], v[152:153], v[146:147]
	v_fmac_f64_e32 v[152:153], v[154:155], v[56:57]
	s_waitcnt vmcnt(14)
	v_add_f64 v[54:55], v[54:55], -v[152:153]
	ds_read2_b64 v[152:155], v148 offset0:42 offset1:43
	v_add_f64 v[52:53], v[52:53], -v[58:59]
	s_waitcnt lgkmcnt(1)
	v_mul_f64 v[58:59], v[138:139], v[146:147]
	v_fma_f64 v[58:59], v[136:137], v[56:57], -v[58:59]
	v_mul_f64 v[136:137], v[136:137], v[146:147]
	v_fmac_f64_e32 v[136:137], v[138:139], v[56:57]
	s_waitcnt vmcnt(13)
	v_add_f64 v[48:49], v[48:49], -v[58:59]
	v_add_f64 v[50:51], v[50:51], -v[136:137]
	ds_read2_b64 v[136:139], v148 offset0:44 offset1:45
	s_waitcnt lgkmcnt(1)
	v_mul_f64 v[58:59], v[154:155], v[146:147]
	v_fma_f64 v[58:59], v[152:153], v[56:57], -v[58:59]
	v_mul_f64 v[152:153], v[152:153], v[146:147]
	v_fmac_f64_e32 v[152:153], v[154:155], v[56:57]
	s_waitcnt vmcnt(12)
	v_add_f64 v[46:47], v[46:47], -v[152:153]
	ds_read2_b64 v[152:155], v148 offset0:46 offset1:47
	v_add_f64 v[44:45], v[44:45], -v[58:59]
	s_waitcnt lgkmcnt(1)
	v_mul_f64 v[58:59], v[138:139], v[146:147]
	v_fma_f64 v[58:59], v[136:137], v[56:57], -v[58:59]
	v_mul_f64 v[136:137], v[136:137], v[146:147]
	v_fmac_f64_e32 v[136:137], v[138:139], v[56:57]
	s_waitcnt vmcnt(11)
	v_add_f64 v[40:41], v[40:41], -v[58:59]
	v_add_f64 v[42:43], v[42:43], -v[136:137]
	;; [unrolled: 18-line block ×7, first 2 shown]
	s_waitcnt lgkmcnt(0)
	v_mul_f64 v[58:59], v[154:155], v[146:147]
	v_mul_f64 v[136:137], v[152:153], v[146:147]
	v_fma_f64 v[58:59], v[152:153], v[56:57], -v[58:59]
	v_fmac_f64_e32 v[136:137], v[154:155], v[56:57]
	s_waitcnt vmcnt(0)
	v_add_f64 v[132:133], v[132:133], -v[58:59]
	v_add_f64 v[134:135], v[134:135], -v[136:137]
	v_mov_b64_e32 v[58:59], v[146:147]
.LBB66_398:
	s_or_b64 exec, exec, s[0:1]
	v_lshl_add_u32 v136, v149, 4, v148
	s_barrier
	s_waitcnt vmcnt(14)
	ds_write2_b64 v136, v[52:53], v[54:55] offset1:1
	s_waitcnt lgkmcnt(0)
	s_barrier
	ds_read2_b64 v[136:139], v148 offset0:38 offset1:39
	s_cmp_lt_i32 s20, 21
	v_mov_b32_e32 v146, 19
	s_cbranch_scc1 .LBB66_401
; %bb.399:
	v_add_u32_e32 v147, 0x140, v148
	s_mov_b32 s16, 20
	v_mov_b32_e32 v146, 19
.LBB66_400:                             ; =>This Inner Loop Header: Depth=1
	ds_read2_b64 v[152:155], v147 offset1:1
	s_waitcnt lgkmcnt(1)
	v_xor_b32_e32 v157, 0x80000000, v137
	v_xor_b32_e32 v159, 0x80000000, v139
	v_cmp_gt_f64_e32 vcc, 0, v[138:139]
	v_cmp_gt_f64_e64 s[0:1], 0, v[136:137]
	v_mov_b32_e32 v156, v136
	v_mov_b32_e32 v158, v138
	v_cndmask_b32_e64 v157, v137, v157, s[0:1]
	v_cndmask_b32_e32 v159, v139, v159, vcc
	v_add_f64 v[156:157], v[156:157], v[158:159]
	s_waitcnt lgkmcnt(0)
	v_xor_b32_e32 v159, 0x80000000, v153
	v_xor_b32_e32 v161, 0x80000000, v155
	v_cmp_gt_f64_e32 vcc, 0, v[154:155]
	v_cmp_gt_f64_e64 s[0:1], 0, v[152:153]
	v_mov_b32_e32 v158, v152
	v_mov_b32_e32 v160, v154
	v_cndmask_b32_e64 v159, v153, v159, s[0:1]
	v_cndmask_b32_e32 v161, v155, v161, vcc
	v_add_f64 v[158:159], v[158:159], v[160:161]
	v_mov_b32_e32 v162, s16
	s_add_i32 s16, s16, 1
	v_cmp_lt_f64_e32 vcc, v[156:157], v[158:159]
	v_add_u32_e32 v147, 16, v147
	s_cmp_lg_u32 s20, s16
	v_cndmask_b32_e32 v137, v137, v153, vcc
	v_cndmask_b32_e32 v136, v136, v152, vcc
	;; [unrolled: 1-line block ×5, first 2 shown]
	s_cbranch_scc1 .LBB66_400
.LBB66_401:
	s_waitcnt lgkmcnt(0)
	v_cmp_eq_f64_e32 vcc, 0, v[136:137]
	v_cmp_eq_f64_e64 s[0:1], 0, v[138:139]
	s_and_b64 s[0:1], vcc, s[0:1]
	s_and_saveexec_b64 s[16:17], s[0:1]
	s_xor_b64 s[0:1], exec, s[16:17]
; %bb.402:
	v_cmp_ne_u32_e32 vcc, 0, v150
	s_nop 1
	v_cndmask_b32_e32 v150, 20, v150, vcc
; %bb.403:
	s_andn2_saveexec_b64 s[0:1], s[0:1]
	s_cbranch_execz .LBB66_409
; %bb.404:
	v_cmp_ngt_f64_e64 s[16:17], |v[136:137]|, |v[138:139]|
	s_and_saveexec_b64 s[18:19], s[16:17]
	s_xor_b64 s[16:17], exec, s[18:19]
	s_cbranch_execz .LBB66_406
; %bb.405:
	v_div_scale_f64 v[152:153], s[18:19], v[138:139], v[138:139], v[136:137]
	v_rcp_f64_e32 v[154:155], v[152:153]
	v_div_scale_f64 v[156:157], vcc, v[136:137], v[138:139], v[136:137]
	v_fma_f64 v[158:159], -v[152:153], v[154:155], 1.0
	v_fmac_f64_e32 v[154:155], v[154:155], v[158:159]
	v_fma_f64 v[158:159], -v[152:153], v[154:155], 1.0
	v_fmac_f64_e32 v[154:155], v[154:155], v[158:159]
	v_mul_f64 v[158:159], v[156:157], v[154:155]
	v_fma_f64 v[152:153], -v[152:153], v[158:159], v[156:157]
	v_div_fmas_f64 v[152:153], v[152:153], v[154:155], v[158:159]
	v_div_fixup_f64 v[152:153], v[152:153], v[138:139], v[136:137]
	v_fmac_f64_e32 v[138:139], v[136:137], v[152:153]
	v_div_scale_f64 v[136:137], s[18:19], v[138:139], v[138:139], 1.0
	v_rcp_f64_e32 v[154:155], v[136:137]
	s_nop 0
	v_fma_f64 v[156:157], -v[136:137], v[154:155], 1.0
	v_fmac_f64_e32 v[154:155], v[154:155], v[156:157]
	v_fma_f64 v[156:157], -v[136:137], v[154:155], 1.0
	v_fmac_f64_e32 v[154:155], v[154:155], v[156:157]
	v_div_scale_f64 v[156:157], vcc, 1.0, v[138:139], 1.0
	v_mul_f64 v[158:159], v[156:157], v[154:155]
	v_fma_f64 v[136:137], -v[136:137], v[158:159], v[156:157]
	s_nop 1
	v_div_fmas_f64 v[136:137], v[136:137], v[154:155], v[158:159]
	v_div_fixup_f64 v[138:139], v[136:137], v[138:139], 1.0
	v_mul_f64 v[136:137], v[152:153], v[138:139]
	v_xor_b32_e32 v139, 0x80000000, v139
.LBB66_406:
	s_andn2_saveexec_b64 s[16:17], s[16:17]
	s_cbranch_execz .LBB66_408
; %bb.407:
	v_div_scale_f64 v[152:153], s[18:19], v[136:137], v[136:137], v[138:139]
	v_rcp_f64_e32 v[154:155], v[152:153]
	v_div_scale_f64 v[156:157], vcc, v[138:139], v[136:137], v[138:139]
	v_fma_f64 v[158:159], -v[152:153], v[154:155], 1.0
	v_fmac_f64_e32 v[154:155], v[154:155], v[158:159]
	v_fma_f64 v[158:159], -v[152:153], v[154:155], 1.0
	v_fmac_f64_e32 v[154:155], v[154:155], v[158:159]
	v_mul_f64 v[158:159], v[156:157], v[154:155]
	v_fma_f64 v[152:153], -v[152:153], v[158:159], v[156:157]
	v_div_fmas_f64 v[152:153], v[152:153], v[154:155], v[158:159]
	v_div_fixup_f64 v[152:153], v[152:153], v[136:137], v[138:139]
	v_fmac_f64_e32 v[136:137], v[138:139], v[152:153]
	v_div_scale_f64 v[138:139], s[18:19], v[136:137], v[136:137], 1.0
	v_rcp_f64_e32 v[154:155], v[138:139]
	s_nop 0
	v_fma_f64 v[156:157], -v[138:139], v[154:155], 1.0
	v_fmac_f64_e32 v[154:155], v[154:155], v[156:157]
	v_fma_f64 v[156:157], -v[138:139], v[154:155], 1.0
	v_fmac_f64_e32 v[154:155], v[154:155], v[156:157]
	v_div_scale_f64 v[156:157], vcc, 1.0, v[136:137], 1.0
	v_mul_f64 v[158:159], v[156:157], v[154:155]
	v_fma_f64 v[138:139], -v[138:139], v[158:159], v[156:157]
	s_nop 1
	v_div_fmas_f64 v[138:139], v[138:139], v[154:155], v[158:159]
	v_div_fixup_f64 v[136:137], v[138:139], v[136:137], 1.0
	v_mul_f64 v[138:139], v[152:153], -v[136:137]
.LBB66_408:
	s_or_b64 exec, exec, s[16:17]
.LBB66_409:
	s_or_b64 exec, exec, s[0:1]
	v_cmp_ne_u32_e32 vcc, v149, v146
	s_and_saveexec_b64 s[0:1], vcc
	s_xor_b64 s[0:1], exec, s[0:1]
	s_cbranch_execz .LBB66_415
; %bb.410:
	v_cmp_eq_u32_e32 vcc, 19, v149
	s_and_saveexec_b64 s[16:17], vcc
	s_cbranch_execz .LBB66_414
; %bb.411:
	v_cmp_ne_u32_e32 vcc, 19, v146
	s_xor_b64 s[18:19], s[14:15], -1
	s_and_b64 s[22:23], s[18:19], vcc
	s_and_saveexec_b64 s[18:19], s[22:23]
	s_cbranch_execz .LBB66_413
; %bb.412:
	v_ashrrev_i32_e32 v147, 31, v146
	v_lshl_add_u64 v[152:153], v[146:147], 2, v[144:145]
	global_load_dword v147, v[152:153], off
	global_load_dword v149, v[144:145], off offset:76
	s_waitcnt vmcnt(1)
	global_store_dword v[144:145], v147, off offset:76
	s_waitcnt vmcnt(1)
	global_store_dword v[152:153], v149, off
.LBB66_413:
	s_or_b64 exec, exec, s[18:19]
	v_mov_b32_e32 v149, v146
	v_mov_b32_e32 v151, v146
.LBB66_414:
	s_or_b64 exec, exec, s[16:17]
.LBB66_415:
	s_andn2_saveexec_b64 s[0:1], s[0:1]
	s_cbranch_execz .LBB66_417
; %bb.416:
	v_mov_b32_e32 v149, 19
	s_waitcnt vmcnt(13)
	ds_write2_b64 v148, v[48:49], v[50:51] offset0:40 offset1:41
	s_waitcnt vmcnt(12)
	ds_write2_b64 v148, v[44:45], v[46:47] offset0:42 offset1:43
	;; [unrolled: 2-line block ×14, first 2 shown]
.LBB66_417:
	s_or_b64 exec, exec, s[0:1]
	v_cmp_lt_i32_e32 vcc, 19, v149
	s_waitcnt lgkmcnt(0)
	s_barrier
	s_and_saveexec_b64 s[0:1], vcc
	s_cbranch_execz .LBB66_419
; %bb.418:
	ds_read2_b64 v[152:155], v148 offset0:40 offset1:41
	v_mul_f64 v[146:147], v[136:137], v[54:55]
	v_mul_f64 v[54:55], v[138:139], v[54:55]
	v_fmac_f64_e32 v[146:147], v[138:139], v[52:53]
	v_fma_f64 v[52:53], v[136:137], v[52:53], -v[54:55]
	ds_read2_b64 v[136:139], v148 offset0:42 offset1:43
	s_waitcnt lgkmcnt(1)
	v_mul_f64 v[54:55], v[154:155], v[146:147]
	v_fma_f64 v[54:55], v[152:153], v[52:53], -v[54:55]
	v_mul_f64 v[152:153], v[152:153], v[146:147]
	v_fmac_f64_e32 v[152:153], v[154:155], v[52:53]
	s_waitcnt vmcnt(13)
	v_add_f64 v[48:49], v[48:49], -v[54:55]
	s_waitcnt lgkmcnt(0)
	v_mul_f64 v[54:55], v[138:139], v[146:147]
	v_add_f64 v[50:51], v[50:51], -v[152:153]
	v_fma_f64 v[54:55], v[136:137], v[52:53], -v[54:55]
	v_mul_f64 v[136:137], v[136:137], v[146:147]
	ds_read2_b64 v[152:155], v148 offset0:44 offset1:45
	v_fmac_f64_e32 v[136:137], v[138:139], v[52:53]
	s_waitcnt vmcnt(12)
	v_add_f64 v[46:47], v[46:47], -v[136:137]
	ds_read2_b64 v[136:139], v148 offset0:46 offset1:47
	v_add_f64 v[44:45], v[44:45], -v[54:55]
	s_waitcnt lgkmcnt(1)
	v_mul_f64 v[54:55], v[154:155], v[146:147]
	v_fma_f64 v[54:55], v[152:153], v[52:53], -v[54:55]
	v_mul_f64 v[152:153], v[152:153], v[146:147]
	v_fmac_f64_e32 v[152:153], v[154:155], v[52:53]
	s_waitcnt vmcnt(11)
	v_add_f64 v[40:41], v[40:41], -v[54:55]
	s_waitcnt lgkmcnt(0)
	v_mul_f64 v[54:55], v[138:139], v[146:147]
	v_add_f64 v[42:43], v[42:43], -v[152:153]
	v_fma_f64 v[54:55], v[136:137], v[52:53], -v[54:55]
	v_mul_f64 v[136:137], v[136:137], v[146:147]
	ds_read2_b64 v[152:155], v148 offset0:48 offset1:49
	v_fmac_f64_e32 v[136:137], v[138:139], v[52:53]
	s_waitcnt vmcnt(10)
	v_add_f64 v[38:39], v[38:39], -v[136:137]
	ds_read2_b64 v[136:139], v148 offset0:50 offset1:51
	v_add_f64 v[36:37], v[36:37], -v[54:55]
	;; [unrolled: 18-line block ×6, first 2 shown]
	s_waitcnt lgkmcnt(1)
	v_mul_f64 v[54:55], v[154:155], v[146:147]
	v_fma_f64 v[54:55], v[152:153], v[52:53], -v[54:55]
	s_waitcnt vmcnt(1)
	v_add_f64 v[0:1], v[0:1], -v[54:55]
	s_waitcnt lgkmcnt(0)
	v_mul_f64 v[54:55], v[138:139], v[146:147]
	v_mul_f64 v[152:153], v[152:153], v[146:147]
	v_fma_f64 v[54:55], v[136:137], v[52:53], -v[54:55]
	v_mul_f64 v[136:137], v[136:137], v[146:147]
	v_fmac_f64_e32 v[152:153], v[154:155], v[52:53]
	v_fmac_f64_e32 v[136:137], v[138:139], v[52:53]
	v_add_f64 v[2:3], v[2:3], -v[152:153]
	s_waitcnt vmcnt(0)
	v_add_f64 v[132:133], v[132:133], -v[54:55]
	v_add_f64 v[134:135], v[134:135], -v[136:137]
	v_mov_b64_e32 v[54:55], v[146:147]
.LBB66_419:
	s_or_b64 exec, exec, s[0:1]
	v_lshl_add_u32 v136, v149, 4, v148
	s_barrier
	s_waitcnt vmcnt(13)
	ds_write2_b64 v136, v[48:49], v[50:51] offset1:1
	s_waitcnt lgkmcnt(0)
	s_barrier
	ds_read2_b64 v[136:139], v148 offset0:40 offset1:41
	s_cmp_lt_i32 s20, 22
	v_mov_b32_e32 v146, 20
	s_cbranch_scc1 .LBB66_422
; %bb.420:
	v_add_u32_e32 v147, 0x150, v148
	s_mov_b32 s16, 21
	v_mov_b32_e32 v146, 20
.LBB66_421:                             ; =>This Inner Loop Header: Depth=1
	ds_read2_b64 v[152:155], v147 offset1:1
	s_waitcnt lgkmcnt(1)
	v_xor_b32_e32 v157, 0x80000000, v137
	v_xor_b32_e32 v159, 0x80000000, v139
	v_cmp_gt_f64_e32 vcc, 0, v[138:139]
	v_cmp_gt_f64_e64 s[0:1], 0, v[136:137]
	v_mov_b32_e32 v156, v136
	v_mov_b32_e32 v158, v138
	v_cndmask_b32_e64 v157, v137, v157, s[0:1]
	v_cndmask_b32_e32 v159, v139, v159, vcc
	v_add_f64 v[156:157], v[156:157], v[158:159]
	s_waitcnt lgkmcnt(0)
	v_xor_b32_e32 v159, 0x80000000, v153
	v_xor_b32_e32 v161, 0x80000000, v155
	v_cmp_gt_f64_e32 vcc, 0, v[154:155]
	v_cmp_gt_f64_e64 s[0:1], 0, v[152:153]
	v_mov_b32_e32 v158, v152
	v_mov_b32_e32 v160, v154
	v_cndmask_b32_e64 v159, v153, v159, s[0:1]
	v_cndmask_b32_e32 v161, v155, v161, vcc
	v_add_f64 v[158:159], v[158:159], v[160:161]
	v_mov_b32_e32 v162, s16
	s_add_i32 s16, s16, 1
	v_cmp_lt_f64_e32 vcc, v[156:157], v[158:159]
	v_add_u32_e32 v147, 16, v147
	s_cmp_lg_u32 s20, s16
	v_cndmask_b32_e32 v137, v137, v153, vcc
	v_cndmask_b32_e32 v136, v136, v152, vcc
	;; [unrolled: 1-line block ×5, first 2 shown]
	s_cbranch_scc1 .LBB66_421
.LBB66_422:
	s_waitcnt lgkmcnt(0)
	v_cmp_eq_f64_e32 vcc, 0, v[136:137]
	v_cmp_eq_f64_e64 s[0:1], 0, v[138:139]
	s_and_b64 s[0:1], vcc, s[0:1]
	s_and_saveexec_b64 s[16:17], s[0:1]
	s_xor_b64 s[0:1], exec, s[16:17]
; %bb.423:
	v_cmp_ne_u32_e32 vcc, 0, v150
	s_nop 1
	v_cndmask_b32_e32 v150, 21, v150, vcc
; %bb.424:
	s_andn2_saveexec_b64 s[0:1], s[0:1]
	s_cbranch_execz .LBB66_430
; %bb.425:
	v_cmp_ngt_f64_e64 s[16:17], |v[136:137]|, |v[138:139]|
	s_and_saveexec_b64 s[18:19], s[16:17]
	s_xor_b64 s[16:17], exec, s[18:19]
	s_cbranch_execz .LBB66_427
; %bb.426:
	v_div_scale_f64 v[152:153], s[18:19], v[138:139], v[138:139], v[136:137]
	v_rcp_f64_e32 v[154:155], v[152:153]
	v_div_scale_f64 v[156:157], vcc, v[136:137], v[138:139], v[136:137]
	v_fma_f64 v[158:159], -v[152:153], v[154:155], 1.0
	v_fmac_f64_e32 v[154:155], v[154:155], v[158:159]
	v_fma_f64 v[158:159], -v[152:153], v[154:155], 1.0
	v_fmac_f64_e32 v[154:155], v[154:155], v[158:159]
	v_mul_f64 v[158:159], v[156:157], v[154:155]
	v_fma_f64 v[152:153], -v[152:153], v[158:159], v[156:157]
	v_div_fmas_f64 v[152:153], v[152:153], v[154:155], v[158:159]
	v_div_fixup_f64 v[152:153], v[152:153], v[138:139], v[136:137]
	v_fmac_f64_e32 v[138:139], v[136:137], v[152:153]
	v_div_scale_f64 v[136:137], s[18:19], v[138:139], v[138:139], 1.0
	v_rcp_f64_e32 v[154:155], v[136:137]
	s_nop 0
	v_fma_f64 v[156:157], -v[136:137], v[154:155], 1.0
	v_fmac_f64_e32 v[154:155], v[154:155], v[156:157]
	v_fma_f64 v[156:157], -v[136:137], v[154:155], 1.0
	v_fmac_f64_e32 v[154:155], v[154:155], v[156:157]
	v_div_scale_f64 v[156:157], vcc, 1.0, v[138:139], 1.0
	v_mul_f64 v[158:159], v[156:157], v[154:155]
	v_fma_f64 v[136:137], -v[136:137], v[158:159], v[156:157]
	s_nop 1
	v_div_fmas_f64 v[136:137], v[136:137], v[154:155], v[158:159]
	v_div_fixup_f64 v[138:139], v[136:137], v[138:139], 1.0
	v_mul_f64 v[136:137], v[152:153], v[138:139]
	v_xor_b32_e32 v139, 0x80000000, v139
.LBB66_427:
	s_andn2_saveexec_b64 s[16:17], s[16:17]
	s_cbranch_execz .LBB66_429
; %bb.428:
	v_div_scale_f64 v[152:153], s[18:19], v[136:137], v[136:137], v[138:139]
	v_rcp_f64_e32 v[154:155], v[152:153]
	v_div_scale_f64 v[156:157], vcc, v[138:139], v[136:137], v[138:139]
	v_fma_f64 v[158:159], -v[152:153], v[154:155], 1.0
	v_fmac_f64_e32 v[154:155], v[154:155], v[158:159]
	v_fma_f64 v[158:159], -v[152:153], v[154:155], 1.0
	v_fmac_f64_e32 v[154:155], v[154:155], v[158:159]
	v_mul_f64 v[158:159], v[156:157], v[154:155]
	v_fma_f64 v[152:153], -v[152:153], v[158:159], v[156:157]
	v_div_fmas_f64 v[152:153], v[152:153], v[154:155], v[158:159]
	v_div_fixup_f64 v[152:153], v[152:153], v[136:137], v[138:139]
	v_fmac_f64_e32 v[136:137], v[138:139], v[152:153]
	v_div_scale_f64 v[138:139], s[18:19], v[136:137], v[136:137], 1.0
	v_rcp_f64_e32 v[154:155], v[138:139]
	s_nop 0
	v_fma_f64 v[156:157], -v[138:139], v[154:155], 1.0
	v_fmac_f64_e32 v[154:155], v[154:155], v[156:157]
	v_fma_f64 v[156:157], -v[138:139], v[154:155], 1.0
	v_fmac_f64_e32 v[154:155], v[154:155], v[156:157]
	v_div_scale_f64 v[156:157], vcc, 1.0, v[136:137], 1.0
	v_mul_f64 v[158:159], v[156:157], v[154:155]
	v_fma_f64 v[138:139], -v[138:139], v[158:159], v[156:157]
	s_nop 1
	v_div_fmas_f64 v[138:139], v[138:139], v[154:155], v[158:159]
	v_div_fixup_f64 v[136:137], v[138:139], v[136:137], 1.0
	v_mul_f64 v[138:139], v[152:153], -v[136:137]
.LBB66_429:
	s_or_b64 exec, exec, s[16:17]
.LBB66_430:
	s_or_b64 exec, exec, s[0:1]
	v_cmp_ne_u32_e32 vcc, v149, v146
	s_and_saveexec_b64 s[0:1], vcc
	s_xor_b64 s[0:1], exec, s[0:1]
	s_cbranch_execz .LBB66_436
; %bb.431:
	v_cmp_eq_u32_e32 vcc, 20, v149
	s_and_saveexec_b64 s[16:17], vcc
	s_cbranch_execz .LBB66_435
; %bb.432:
	v_cmp_ne_u32_e32 vcc, 20, v146
	s_xor_b64 s[18:19], s[14:15], -1
	s_and_b64 s[22:23], s[18:19], vcc
	s_and_saveexec_b64 s[18:19], s[22:23]
	s_cbranch_execz .LBB66_434
; %bb.433:
	v_ashrrev_i32_e32 v147, 31, v146
	v_lshl_add_u64 v[152:153], v[146:147], 2, v[144:145]
	global_load_dword v147, v[152:153], off
	global_load_dword v149, v[144:145], off offset:80
	s_waitcnt vmcnt(1)
	global_store_dword v[144:145], v147, off offset:80
	s_waitcnt vmcnt(1)
	global_store_dword v[152:153], v149, off
.LBB66_434:
	s_or_b64 exec, exec, s[18:19]
	v_mov_b32_e32 v149, v146
	v_mov_b32_e32 v151, v146
.LBB66_435:
	s_or_b64 exec, exec, s[16:17]
.LBB66_436:
	s_andn2_saveexec_b64 s[0:1], s[0:1]
	s_cbranch_execz .LBB66_438
; %bb.437:
	v_mov_b32_e32 v149, 20
	s_waitcnt vmcnt(12)
	ds_write2_b64 v148, v[44:45], v[46:47] offset0:42 offset1:43
	s_waitcnt vmcnt(11)
	ds_write2_b64 v148, v[40:41], v[42:43] offset0:44 offset1:45
	;; [unrolled: 2-line block ×13, first 2 shown]
.LBB66_438:
	s_or_b64 exec, exec, s[0:1]
	v_cmp_lt_i32_e32 vcc, 20, v149
	s_waitcnt lgkmcnt(0)
	s_barrier
	s_and_saveexec_b64 s[0:1], vcc
	s_cbranch_execz .LBB66_440
; %bb.439:
	ds_read2_b64 v[152:155], v148 offset0:42 offset1:43
	v_mul_f64 v[146:147], v[136:137], v[50:51]
	v_fmac_f64_e32 v[146:147], v[138:139], v[48:49]
	v_mul_f64 v[50:51], v[138:139], v[50:51]
	v_fma_f64 v[48:49], v[136:137], v[48:49], -v[50:51]
	ds_read2_b64 v[136:139], v148 offset0:44 offset1:45
	s_waitcnt lgkmcnt(1)
	v_mul_f64 v[50:51], v[154:155], v[146:147]
	v_fma_f64 v[50:51], v[152:153], v[48:49], -v[50:51]
	v_mul_f64 v[152:153], v[152:153], v[146:147]
	v_fmac_f64_e32 v[152:153], v[154:155], v[48:49]
	s_waitcnt vmcnt(12)
	v_add_f64 v[46:47], v[46:47], -v[152:153]
	ds_read2_b64 v[152:155], v148 offset0:46 offset1:47
	v_add_f64 v[44:45], v[44:45], -v[50:51]
	s_waitcnt lgkmcnt(1)
	v_mul_f64 v[50:51], v[138:139], v[146:147]
	v_fma_f64 v[50:51], v[136:137], v[48:49], -v[50:51]
	v_mul_f64 v[136:137], v[136:137], v[146:147]
	v_fmac_f64_e32 v[136:137], v[138:139], v[48:49]
	s_waitcnt vmcnt(11)
	v_add_f64 v[40:41], v[40:41], -v[50:51]
	v_add_f64 v[42:43], v[42:43], -v[136:137]
	ds_read2_b64 v[136:139], v148 offset0:48 offset1:49
	s_waitcnt lgkmcnt(1)
	v_mul_f64 v[50:51], v[154:155], v[146:147]
	v_fma_f64 v[50:51], v[152:153], v[48:49], -v[50:51]
	v_mul_f64 v[152:153], v[152:153], v[146:147]
	v_fmac_f64_e32 v[152:153], v[154:155], v[48:49]
	s_waitcnt vmcnt(10)
	v_add_f64 v[38:39], v[38:39], -v[152:153]
	ds_read2_b64 v[152:155], v148 offset0:50 offset1:51
	v_add_f64 v[36:37], v[36:37], -v[50:51]
	s_waitcnt lgkmcnt(1)
	v_mul_f64 v[50:51], v[138:139], v[146:147]
	v_fma_f64 v[50:51], v[136:137], v[48:49], -v[50:51]
	v_mul_f64 v[136:137], v[136:137], v[146:147]
	v_fmac_f64_e32 v[136:137], v[138:139], v[48:49]
	s_waitcnt vmcnt(9)
	v_add_f64 v[32:33], v[32:33], -v[50:51]
	v_add_f64 v[34:35], v[34:35], -v[136:137]
	;; [unrolled: 18-line block ×6, first 2 shown]
	s_waitcnt lgkmcnt(0)
	v_mul_f64 v[50:51], v[154:155], v[146:147]
	v_mul_f64 v[136:137], v[152:153], v[146:147]
	v_fma_f64 v[50:51], v[152:153], v[48:49], -v[50:51]
	v_fmac_f64_e32 v[136:137], v[154:155], v[48:49]
	s_waitcnt vmcnt(0)
	v_add_f64 v[132:133], v[132:133], -v[50:51]
	v_add_f64 v[134:135], v[134:135], -v[136:137]
	v_mov_b64_e32 v[50:51], v[146:147]
.LBB66_440:
	s_or_b64 exec, exec, s[0:1]
	v_lshl_add_u32 v136, v149, 4, v148
	s_barrier
	s_waitcnt vmcnt(12)
	ds_write2_b64 v136, v[44:45], v[46:47] offset1:1
	s_waitcnt lgkmcnt(0)
	s_barrier
	ds_read2_b64 v[136:139], v148 offset0:42 offset1:43
	s_cmp_lt_i32 s20, 23
	v_mov_b32_e32 v146, 21
	s_cbranch_scc1 .LBB66_443
; %bb.441:
	v_add_u32_e32 v147, 0x160, v148
	s_mov_b32 s16, 22
	v_mov_b32_e32 v146, 21
.LBB66_442:                             ; =>This Inner Loop Header: Depth=1
	ds_read2_b64 v[152:155], v147 offset1:1
	s_waitcnt lgkmcnt(1)
	v_xor_b32_e32 v157, 0x80000000, v137
	v_xor_b32_e32 v159, 0x80000000, v139
	v_cmp_gt_f64_e32 vcc, 0, v[138:139]
	v_cmp_gt_f64_e64 s[0:1], 0, v[136:137]
	v_mov_b32_e32 v156, v136
	v_mov_b32_e32 v158, v138
	v_cndmask_b32_e64 v157, v137, v157, s[0:1]
	v_cndmask_b32_e32 v159, v139, v159, vcc
	v_add_f64 v[156:157], v[156:157], v[158:159]
	s_waitcnt lgkmcnt(0)
	v_xor_b32_e32 v159, 0x80000000, v153
	v_xor_b32_e32 v161, 0x80000000, v155
	v_cmp_gt_f64_e32 vcc, 0, v[154:155]
	v_cmp_gt_f64_e64 s[0:1], 0, v[152:153]
	v_mov_b32_e32 v158, v152
	v_mov_b32_e32 v160, v154
	v_cndmask_b32_e64 v159, v153, v159, s[0:1]
	v_cndmask_b32_e32 v161, v155, v161, vcc
	v_add_f64 v[158:159], v[158:159], v[160:161]
	v_mov_b32_e32 v162, s16
	s_add_i32 s16, s16, 1
	v_cmp_lt_f64_e32 vcc, v[156:157], v[158:159]
	v_add_u32_e32 v147, 16, v147
	s_cmp_lg_u32 s20, s16
	v_cndmask_b32_e32 v137, v137, v153, vcc
	v_cndmask_b32_e32 v136, v136, v152, vcc
	;; [unrolled: 1-line block ×5, first 2 shown]
	s_cbranch_scc1 .LBB66_442
.LBB66_443:
	s_waitcnt lgkmcnt(0)
	v_cmp_eq_f64_e32 vcc, 0, v[136:137]
	v_cmp_eq_f64_e64 s[0:1], 0, v[138:139]
	s_and_b64 s[0:1], vcc, s[0:1]
	s_and_saveexec_b64 s[16:17], s[0:1]
	s_xor_b64 s[0:1], exec, s[16:17]
; %bb.444:
	v_cmp_ne_u32_e32 vcc, 0, v150
	s_nop 1
	v_cndmask_b32_e32 v150, 22, v150, vcc
; %bb.445:
	s_andn2_saveexec_b64 s[0:1], s[0:1]
	s_cbranch_execz .LBB66_451
; %bb.446:
	v_cmp_ngt_f64_e64 s[16:17], |v[136:137]|, |v[138:139]|
	s_and_saveexec_b64 s[18:19], s[16:17]
	s_xor_b64 s[16:17], exec, s[18:19]
	s_cbranch_execz .LBB66_448
; %bb.447:
	v_div_scale_f64 v[152:153], s[18:19], v[138:139], v[138:139], v[136:137]
	v_rcp_f64_e32 v[154:155], v[152:153]
	v_div_scale_f64 v[156:157], vcc, v[136:137], v[138:139], v[136:137]
	v_fma_f64 v[158:159], -v[152:153], v[154:155], 1.0
	v_fmac_f64_e32 v[154:155], v[154:155], v[158:159]
	v_fma_f64 v[158:159], -v[152:153], v[154:155], 1.0
	v_fmac_f64_e32 v[154:155], v[154:155], v[158:159]
	v_mul_f64 v[158:159], v[156:157], v[154:155]
	v_fma_f64 v[152:153], -v[152:153], v[158:159], v[156:157]
	v_div_fmas_f64 v[152:153], v[152:153], v[154:155], v[158:159]
	v_div_fixup_f64 v[152:153], v[152:153], v[138:139], v[136:137]
	v_fmac_f64_e32 v[138:139], v[136:137], v[152:153]
	v_div_scale_f64 v[136:137], s[18:19], v[138:139], v[138:139], 1.0
	v_rcp_f64_e32 v[154:155], v[136:137]
	s_nop 0
	v_fma_f64 v[156:157], -v[136:137], v[154:155], 1.0
	v_fmac_f64_e32 v[154:155], v[154:155], v[156:157]
	v_fma_f64 v[156:157], -v[136:137], v[154:155], 1.0
	v_fmac_f64_e32 v[154:155], v[154:155], v[156:157]
	v_div_scale_f64 v[156:157], vcc, 1.0, v[138:139], 1.0
	v_mul_f64 v[158:159], v[156:157], v[154:155]
	v_fma_f64 v[136:137], -v[136:137], v[158:159], v[156:157]
	s_nop 1
	v_div_fmas_f64 v[136:137], v[136:137], v[154:155], v[158:159]
	v_div_fixup_f64 v[138:139], v[136:137], v[138:139], 1.0
	v_mul_f64 v[136:137], v[152:153], v[138:139]
	v_xor_b32_e32 v139, 0x80000000, v139
.LBB66_448:
	s_andn2_saveexec_b64 s[16:17], s[16:17]
	s_cbranch_execz .LBB66_450
; %bb.449:
	v_div_scale_f64 v[152:153], s[18:19], v[136:137], v[136:137], v[138:139]
	v_rcp_f64_e32 v[154:155], v[152:153]
	v_div_scale_f64 v[156:157], vcc, v[138:139], v[136:137], v[138:139]
	v_fma_f64 v[158:159], -v[152:153], v[154:155], 1.0
	v_fmac_f64_e32 v[154:155], v[154:155], v[158:159]
	v_fma_f64 v[158:159], -v[152:153], v[154:155], 1.0
	v_fmac_f64_e32 v[154:155], v[154:155], v[158:159]
	v_mul_f64 v[158:159], v[156:157], v[154:155]
	v_fma_f64 v[152:153], -v[152:153], v[158:159], v[156:157]
	v_div_fmas_f64 v[152:153], v[152:153], v[154:155], v[158:159]
	v_div_fixup_f64 v[152:153], v[152:153], v[136:137], v[138:139]
	v_fmac_f64_e32 v[136:137], v[138:139], v[152:153]
	v_div_scale_f64 v[138:139], s[18:19], v[136:137], v[136:137], 1.0
	v_rcp_f64_e32 v[154:155], v[138:139]
	s_nop 0
	v_fma_f64 v[156:157], -v[138:139], v[154:155], 1.0
	v_fmac_f64_e32 v[154:155], v[154:155], v[156:157]
	v_fma_f64 v[156:157], -v[138:139], v[154:155], 1.0
	v_fmac_f64_e32 v[154:155], v[154:155], v[156:157]
	v_div_scale_f64 v[156:157], vcc, 1.0, v[136:137], 1.0
	v_mul_f64 v[158:159], v[156:157], v[154:155]
	v_fma_f64 v[138:139], -v[138:139], v[158:159], v[156:157]
	s_nop 1
	v_div_fmas_f64 v[138:139], v[138:139], v[154:155], v[158:159]
	v_div_fixup_f64 v[136:137], v[138:139], v[136:137], 1.0
	v_mul_f64 v[138:139], v[152:153], -v[136:137]
.LBB66_450:
	s_or_b64 exec, exec, s[16:17]
.LBB66_451:
	s_or_b64 exec, exec, s[0:1]
	v_cmp_ne_u32_e32 vcc, v149, v146
	s_and_saveexec_b64 s[0:1], vcc
	s_xor_b64 s[0:1], exec, s[0:1]
	s_cbranch_execz .LBB66_457
; %bb.452:
	v_cmp_eq_u32_e32 vcc, 21, v149
	s_and_saveexec_b64 s[16:17], vcc
	s_cbranch_execz .LBB66_456
; %bb.453:
	v_cmp_ne_u32_e32 vcc, 21, v146
	s_xor_b64 s[18:19], s[14:15], -1
	s_and_b64 s[22:23], s[18:19], vcc
	s_and_saveexec_b64 s[18:19], s[22:23]
	s_cbranch_execz .LBB66_455
; %bb.454:
	v_ashrrev_i32_e32 v147, 31, v146
	v_lshl_add_u64 v[152:153], v[146:147], 2, v[144:145]
	global_load_dword v147, v[152:153], off
	global_load_dword v149, v[144:145], off offset:84
	s_waitcnt vmcnt(1)
	global_store_dword v[144:145], v147, off offset:84
	s_waitcnt vmcnt(1)
	global_store_dword v[152:153], v149, off
.LBB66_455:
	s_or_b64 exec, exec, s[18:19]
	v_mov_b32_e32 v149, v146
	v_mov_b32_e32 v151, v146
.LBB66_456:
	s_or_b64 exec, exec, s[16:17]
.LBB66_457:
	s_andn2_saveexec_b64 s[0:1], s[0:1]
	s_cbranch_execz .LBB66_459
; %bb.458:
	v_mov_b32_e32 v149, 21
	s_waitcnt vmcnt(11)
	ds_write2_b64 v148, v[40:41], v[42:43] offset0:44 offset1:45
	s_waitcnt vmcnt(10)
	ds_write2_b64 v148, v[36:37], v[38:39] offset0:46 offset1:47
	;; [unrolled: 2-line block ×12, first 2 shown]
.LBB66_459:
	s_or_b64 exec, exec, s[0:1]
	v_cmp_lt_i32_e32 vcc, 21, v149
	s_waitcnt lgkmcnt(0)
	s_barrier
	s_and_saveexec_b64 s[0:1], vcc
	s_cbranch_execz .LBB66_461
; %bb.460:
	ds_read2_b64 v[152:155], v148 offset0:44 offset1:45
	v_mul_f64 v[146:147], v[136:137], v[46:47]
	v_mul_f64 v[46:47], v[138:139], v[46:47]
	v_fmac_f64_e32 v[146:147], v[138:139], v[44:45]
	v_fma_f64 v[44:45], v[136:137], v[44:45], -v[46:47]
	ds_read2_b64 v[136:139], v148 offset0:46 offset1:47
	s_waitcnt lgkmcnt(1)
	v_mul_f64 v[46:47], v[154:155], v[146:147]
	v_fma_f64 v[46:47], v[152:153], v[44:45], -v[46:47]
	v_mul_f64 v[152:153], v[152:153], v[146:147]
	v_fmac_f64_e32 v[152:153], v[154:155], v[44:45]
	s_waitcnt vmcnt(11)
	v_add_f64 v[40:41], v[40:41], -v[46:47]
	s_waitcnt lgkmcnt(0)
	v_mul_f64 v[46:47], v[138:139], v[146:147]
	v_add_f64 v[42:43], v[42:43], -v[152:153]
	v_fma_f64 v[46:47], v[136:137], v[44:45], -v[46:47]
	v_mul_f64 v[136:137], v[136:137], v[146:147]
	ds_read2_b64 v[152:155], v148 offset0:48 offset1:49
	v_fmac_f64_e32 v[136:137], v[138:139], v[44:45]
	s_waitcnt vmcnt(10)
	v_add_f64 v[38:39], v[38:39], -v[136:137]
	ds_read2_b64 v[136:139], v148 offset0:50 offset1:51
	v_add_f64 v[36:37], v[36:37], -v[46:47]
	s_waitcnt lgkmcnt(1)
	v_mul_f64 v[46:47], v[154:155], v[146:147]
	v_fma_f64 v[46:47], v[152:153], v[44:45], -v[46:47]
	v_mul_f64 v[152:153], v[152:153], v[146:147]
	v_fmac_f64_e32 v[152:153], v[154:155], v[44:45]
	s_waitcnt vmcnt(9)
	v_add_f64 v[32:33], v[32:33], -v[46:47]
	s_waitcnt lgkmcnt(0)
	v_mul_f64 v[46:47], v[138:139], v[146:147]
	v_add_f64 v[34:35], v[34:35], -v[152:153]
	v_fma_f64 v[46:47], v[136:137], v[44:45], -v[46:47]
	v_mul_f64 v[136:137], v[136:137], v[146:147]
	ds_read2_b64 v[152:155], v148 offset0:52 offset1:53
	v_fmac_f64_e32 v[136:137], v[138:139], v[44:45]
	s_waitcnt vmcnt(8)
	v_add_f64 v[30:31], v[30:31], -v[136:137]
	ds_read2_b64 v[136:139], v148 offset0:54 offset1:55
	v_add_f64 v[28:29], v[28:29], -v[46:47]
	;; [unrolled: 18-line block ×5, first 2 shown]
	s_waitcnt lgkmcnt(1)
	v_mul_f64 v[46:47], v[154:155], v[146:147]
	v_fma_f64 v[46:47], v[152:153], v[44:45], -v[46:47]
	s_waitcnt vmcnt(1)
	v_add_f64 v[0:1], v[0:1], -v[46:47]
	s_waitcnt lgkmcnt(0)
	v_mul_f64 v[46:47], v[138:139], v[146:147]
	v_mul_f64 v[152:153], v[152:153], v[146:147]
	v_fma_f64 v[46:47], v[136:137], v[44:45], -v[46:47]
	v_mul_f64 v[136:137], v[136:137], v[146:147]
	v_fmac_f64_e32 v[152:153], v[154:155], v[44:45]
	v_fmac_f64_e32 v[136:137], v[138:139], v[44:45]
	v_add_f64 v[2:3], v[2:3], -v[152:153]
	s_waitcnt vmcnt(0)
	v_add_f64 v[132:133], v[132:133], -v[46:47]
	v_add_f64 v[134:135], v[134:135], -v[136:137]
	v_mov_b64_e32 v[46:47], v[146:147]
.LBB66_461:
	s_or_b64 exec, exec, s[0:1]
	v_lshl_add_u32 v136, v149, 4, v148
	s_barrier
	s_waitcnt vmcnt(11)
	ds_write2_b64 v136, v[40:41], v[42:43] offset1:1
	s_waitcnt lgkmcnt(0)
	s_barrier
	ds_read2_b64 v[136:139], v148 offset0:44 offset1:45
	s_cmp_lt_i32 s20, 24
	v_mov_b32_e32 v146, 22
	s_cbranch_scc1 .LBB66_464
; %bb.462:
	v_add_u32_e32 v147, 0x170, v148
	s_mov_b32 s16, 23
	v_mov_b32_e32 v146, 22
.LBB66_463:                             ; =>This Inner Loop Header: Depth=1
	ds_read2_b64 v[152:155], v147 offset1:1
	s_waitcnt lgkmcnt(1)
	v_xor_b32_e32 v157, 0x80000000, v137
	v_xor_b32_e32 v159, 0x80000000, v139
	v_cmp_gt_f64_e32 vcc, 0, v[138:139]
	v_cmp_gt_f64_e64 s[0:1], 0, v[136:137]
	v_mov_b32_e32 v156, v136
	v_mov_b32_e32 v158, v138
	v_cndmask_b32_e64 v157, v137, v157, s[0:1]
	v_cndmask_b32_e32 v159, v139, v159, vcc
	v_add_f64 v[156:157], v[156:157], v[158:159]
	s_waitcnt lgkmcnt(0)
	v_xor_b32_e32 v159, 0x80000000, v153
	v_xor_b32_e32 v161, 0x80000000, v155
	v_cmp_gt_f64_e32 vcc, 0, v[154:155]
	v_cmp_gt_f64_e64 s[0:1], 0, v[152:153]
	v_mov_b32_e32 v158, v152
	v_mov_b32_e32 v160, v154
	v_cndmask_b32_e64 v159, v153, v159, s[0:1]
	v_cndmask_b32_e32 v161, v155, v161, vcc
	v_add_f64 v[158:159], v[158:159], v[160:161]
	v_mov_b32_e32 v162, s16
	s_add_i32 s16, s16, 1
	v_cmp_lt_f64_e32 vcc, v[156:157], v[158:159]
	v_add_u32_e32 v147, 16, v147
	s_cmp_lg_u32 s20, s16
	v_cndmask_b32_e32 v137, v137, v153, vcc
	v_cndmask_b32_e32 v136, v136, v152, vcc
	;; [unrolled: 1-line block ×5, first 2 shown]
	s_cbranch_scc1 .LBB66_463
.LBB66_464:
	s_waitcnt lgkmcnt(0)
	v_cmp_eq_f64_e32 vcc, 0, v[136:137]
	v_cmp_eq_f64_e64 s[0:1], 0, v[138:139]
	s_and_b64 s[0:1], vcc, s[0:1]
	s_and_saveexec_b64 s[16:17], s[0:1]
	s_xor_b64 s[0:1], exec, s[16:17]
; %bb.465:
	v_cmp_ne_u32_e32 vcc, 0, v150
	s_nop 1
	v_cndmask_b32_e32 v150, 23, v150, vcc
; %bb.466:
	s_andn2_saveexec_b64 s[0:1], s[0:1]
	s_cbranch_execz .LBB66_472
; %bb.467:
	v_cmp_ngt_f64_e64 s[16:17], |v[136:137]|, |v[138:139]|
	s_and_saveexec_b64 s[18:19], s[16:17]
	s_xor_b64 s[16:17], exec, s[18:19]
	s_cbranch_execz .LBB66_469
; %bb.468:
	v_div_scale_f64 v[152:153], s[18:19], v[138:139], v[138:139], v[136:137]
	v_rcp_f64_e32 v[154:155], v[152:153]
	v_div_scale_f64 v[156:157], vcc, v[136:137], v[138:139], v[136:137]
	v_fma_f64 v[158:159], -v[152:153], v[154:155], 1.0
	v_fmac_f64_e32 v[154:155], v[154:155], v[158:159]
	v_fma_f64 v[158:159], -v[152:153], v[154:155], 1.0
	v_fmac_f64_e32 v[154:155], v[154:155], v[158:159]
	v_mul_f64 v[158:159], v[156:157], v[154:155]
	v_fma_f64 v[152:153], -v[152:153], v[158:159], v[156:157]
	v_div_fmas_f64 v[152:153], v[152:153], v[154:155], v[158:159]
	v_div_fixup_f64 v[152:153], v[152:153], v[138:139], v[136:137]
	v_fmac_f64_e32 v[138:139], v[136:137], v[152:153]
	v_div_scale_f64 v[136:137], s[18:19], v[138:139], v[138:139], 1.0
	v_rcp_f64_e32 v[154:155], v[136:137]
	s_nop 0
	v_fma_f64 v[156:157], -v[136:137], v[154:155], 1.0
	v_fmac_f64_e32 v[154:155], v[154:155], v[156:157]
	v_fma_f64 v[156:157], -v[136:137], v[154:155], 1.0
	v_fmac_f64_e32 v[154:155], v[154:155], v[156:157]
	v_div_scale_f64 v[156:157], vcc, 1.0, v[138:139], 1.0
	v_mul_f64 v[158:159], v[156:157], v[154:155]
	v_fma_f64 v[136:137], -v[136:137], v[158:159], v[156:157]
	s_nop 1
	v_div_fmas_f64 v[136:137], v[136:137], v[154:155], v[158:159]
	v_div_fixup_f64 v[138:139], v[136:137], v[138:139], 1.0
	v_mul_f64 v[136:137], v[152:153], v[138:139]
	v_xor_b32_e32 v139, 0x80000000, v139
.LBB66_469:
	s_andn2_saveexec_b64 s[16:17], s[16:17]
	s_cbranch_execz .LBB66_471
; %bb.470:
	v_div_scale_f64 v[152:153], s[18:19], v[136:137], v[136:137], v[138:139]
	v_rcp_f64_e32 v[154:155], v[152:153]
	v_div_scale_f64 v[156:157], vcc, v[138:139], v[136:137], v[138:139]
	v_fma_f64 v[158:159], -v[152:153], v[154:155], 1.0
	v_fmac_f64_e32 v[154:155], v[154:155], v[158:159]
	v_fma_f64 v[158:159], -v[152:153], v[154:155], 1.0
	v_fmac_f64_e32 v[154:155], v[154:155], v[158:159]
	v_mul_f64 v[158:159], v[156:157], v[154:155]
	v_fma_f64 v[152:153], -v[152:153], v[158:159], v[156:157]
	v_div_fmas_f64 v[152:153], v[152:153], v[154:155], v[158:159]
	v_div_fixup_f64 v[152:153], v[152:153], v[136:137], v[138:139]
	v_fmac_f64_e32 v[136:137], v[138:139], v[152:153]
	v_div_scale_f64 v[138:139], s[18:19], v[136:137], v[136:137], 1.0
	v_rcp_f64_e32 v[154:155], v[138:139]
	s_nop 0
	v_fma_f64 v[156:157], -v[138:139], v[154:155], 1.0
	v_fmac_f64_e32 v[154:155], v[154:155], v[156:157]
	v_fma_f64 v[156:157], -v[138:139], v[154:155], 1.0
	v_fmac_f64_e32 v[154:155], v[154:155], v[156:157]
	v_div_scale_f64 v[156:157], vcc, 1.0, v[136:137], 1.0
	v_mul_f64 v[158:159], v[156:157], v[154:155]
	v_fma_f64 v[138:139], -v[138:139], v[158:159], v[156:157]
	s_nop 1
	v_div_fmas_f64 v[138:139], v[138:139], v[154:155], v[158:159]
	v_div_fixup_f64 v[136:137], v[138:139], v[136:137], 1.0
	v_mul_f64 v[138:139], v[152:153], -v[136:137]
.LBB66_471:
	s_or_b64 exec, exec, s[16:17]
.LBB66_472:
	s_or_b64 exec, exec, s[0:1]
	v_cmp_ne_u32_e32 vcc, v149, v146
	s_and_saveexec_b64 s[0:1], vcc
	s_xor_b64 s[0:1], exec, s[0:1]
	s_cbranch_execz .LBB66_478
; %bb.473:
	v_cmp_eq_u32_e32 vcc, 22, v149
	s_and_saveexec_b64 s[16:17], vcc
	s_cbranch_execz .LBB66_477
; %bb.474:
	v_cmp_ne_u32_e32 vcc, 22, v146
	s_xor_b64 s[18:19], s[14:15], -1
	s_and_b64 s[22:23], s[18:19], vcc
	s_and_saveexec_b64 s[18:19], s[22:23]
	s_cbranch_execz .LBB66_476
; %bb.475:
	v_ashrrev_i32_e32 v147, 31, v146
	v_lshl_add_u64 v[152:153], v[146:147], 2, v[144:145]
	global_load_dword v147, v[152:153], off
	global_load_dword v149, v[144:145], off offset:88
	s_waitcnt vmcnt(1)
	global_store_dword v[144:145], v147, off offset:88
	s_waitcnt vmcnt(1)
	global_store_dword v[152:153], v149, off
.LBB66_476:
	s_or_b64 exec, exec, s[18:19]
	v_mov_b32_e32 v149, v146
	v_mov_b32_e32 v151, v146
.LBB66_477:
	s_or_b64 exec, exec, s[16:17]
.LBB66_478:
	s_andn2_saveexec_b64 s[0:1], s[0:1]
	s_cbranch_execz .LBB66_480
; %bb.479:
	v_mov_b32_e32 v149, 22
	s_waitcnt vmcnt(10)
	ds_write2_b64 v148, v[36:37], v[38:39] offset0:46 offset1:47
	s_waitcnt vmcnt(9)
	ds_write2_b64 v148, v[32:33], v[34:35] offset0:48 offset1:49
	;; [unrolled: 2-line block ×11, first 2 shown]
.LBB66_480:
	s_or_b64 exec, exec, s[0:1]
	v_cmp_lt_i32_e32 vcc, 22, v149
	s_waitcnt lgkmcnt(0)
	s_barrier
	s_and_saveexec_b64 s[0:1], vcc
	s_cbranch_execz .LBB66_482
; %bb.481:
	ds_read2_b64 v[152:155], v148 offset0:46 offset1:47
	v_mul_f64 v[146:147], v[136:137], v[42:43]
	v_fmac_f64_e32 v[146:147], v[138:139], v[40:41]
	v_mul_f64 v[42:43], v[138:139], v[42:43]
	v_fma_f64 v[40:41], v[136:137], v[40:41], -v[42:43]
	ds_read2_b64 v[136:139], v148 offset0:48 offset1:49
	s_waitcnt lgkmcnt(1)
	v_mul_f64 v[42:43], v[154:155], v[146:147]
	v_fma_f64 v[42:43], v[152:153], v[40:41], -v[42:43]
	v_mul_f64 v[152:153], v[152:153], v[146:147]
	v_fmac_f64_e32 v[152:153], v[154:155], v[40:41]
	s_waitcnt vmcnt(10)
	v_add_f64 v[38:39], v[38:39], -v[152:153]
	ds_read2_b64 v[152:155], v148 offset0:50 offset1:51
	v_add_f64 v[36:37], v[36:37], -v[42:43]
	s_waitcnt lgkmcnt(1)
	v_mul_f64 v[42:43], v[138:139], v[146:147]
	v_fma_f64 v[42:43], v[136:137], v[40:41], -v[42:43]
	v_mul_f64 v[136:137], v[136:137], v[146:147]
	v_fmac_f64_e32 v[136:137], v[138:139], v[40:41]
	s_waitcnt vmcnt(9)
	v_add_f64 v[32:33], v[32:33], -v[42:43]
	v_add_f64 v[34:35], v[34:35], -v[136:137]
	ds_read2_b64 v[136:139], v148 offset0:52 offset1:53
	s_waitcnt lgkmcnt(1)
	v_mul_f64 v[42:43], v[154:155], v[146:147]
	v_fma_f64 v[42:43], v[152:153], v[40:41], -v[42:43]
	v_mul_f64 v[152:153], v[152:153], v[146:147]
	v_fmac_f64_e32 v[152:153], v[154:155], v[40:41]
	s_waitcnt vmcnt(8)
	v_add_f64 v[30:31], v[30:31], -v[152:153]
	ds_read2_b64 v[152:155], v148 offset0:54 offset1:55
	v_add_f64 v[28:29], v[28:29], -v[42:43]
	s_waitcnt lgkmcnt(1)
	v_mul_f64 v[42:43], v[138:139], v[146:147]
	v_fma_f64 v[42:43], v[136:137], v[40:41], -v[42:43]
	v_mul_f64 v[136:137], v[136:137], v[146:147]
	v_fmac_f64_e32 v[136:137], v[138:139], v[40:41]
	s_waitcnt vmcnt(7)
	v_add_f64 v[24:25], v[24:25], -v[42:43]
	v_add_f64 v[26:27], v[26:27], -v[136:137]
	;; [unrolled: 18-line block ×5, first 2 shown]
	s_waitcnt lgkmcnt(0)
	v_mul_f64 v[42:43], v[154:155], v[146:147]
	v_mul_f64 v[136:137], v[152:153], v[146:147]
	v_fma_f64 v[42:43], v[152:153], v[40:41], -v[42:43]
	v_fmac_f64_e32 v[136:137], v[154:155], v[40:41]
	s_waitcnt vmcnt(0)
	v_add_f64 v[132:133], v[132:133], -v[42:43]
	v_add_f64 v[134:135], v[134:135], -v[136:137]
	v_mov_b64_e32 v[42:43], v[146:147]
.LBB66_482:
	s_or_b64 exec, exec, s[0:1]
	v_lshl_add_u32 v136, v149, 4, v148
	s_barrier
	s_waitcnt vmcnt(10)
	ds_write2_b64 v136, v[36:37], v[38:39] offset1:1
	s_waitcnt lgkmcnt(0)
	s_barrier
	ds_read2_b64 v[136:139], v148 offset0:46 offset1:47
	s_cmp_lt_i32 s20, 25
	v_mov_b32_e32 v146, 23
	s_cbranch_scc1 .LBB66_485
; %bb.483:
	v_add_u32_e32 v147, 0x180, v148
	s_mov_b32 s16, 24
	v_mov_b32_e32 v146, 23
.LBB66_484:                             ; =>This Inner Loop Header: Depth=1
	ds_read2_b64 v[152:155], v147 offset1:1
	s_waitcnt lgkmcnt(1)
	v_xor_b32_e32 v157, 0x80000000, v137
	v_xor_b32_e32 v159, 0x80000000, v139
	v_cmp_gt_f64_e32 vcc, 0, v[138:139]
	v_cmp_gt_f64_e64 s[0:1], 0, v[136:137]
	v_mov_b32_e32 v156, v136
	v_mov_b32_e32 v158, v138
	v_cndmask_b32_e64 v157, v137, v157, s[0:1]
	v_cndmask_b32_e32 v159, v139, v159, vcc
	v_add_f64 v[156:157], v[156:157], v[158:159]
	s_waitcnt lgkmcnt(0)
	v_xor_b32_e32 v159, 0x80000000, v153
	v_xor_b32_e32 v161, 0x80000000, v155
	v_cmp_gt_f64_e32 vcc, 0, v[154:155]
	v_cmp_gt_f64_e64 s[0:1], 0, v[152:153]
	v_mov_b32_e32 v158, v152
	v_mov_b32_e32 v160, v154
	v_cndmask_b32_e64 v159, v153, v159, s[0:1]
	v_cndmask_b32_e32 v161, v155, v161, vcc
	v_add_f64 v[158:159], v[158:159], v[160:161]
	v_mov_b32_e32 v162, s16
	s_add_i32 s16, s16, 1
	v_cmp_lt_f64_e32 vcc, v[156:157], v[158:159]
	v_add_u32_e32 v147, 16, v147
	s_cmp_lg_u32 s20, s16
	v_cndmask_b32_e32 v137, v137, v153, vcc
	v_cndmask_b32_e32 v136, v136, v152, vcc
	;; [unrolled: 1-line block ×5, first 2 shown]
	s_cbranch_scc1 .LBB66_484
.LBB66_485:
	s_waitcnt lgkmcnt(0)
	v_cmp_eq_f64_e32 vcc, 0, v[136:137]
	v_cmp_eq_f64_e64 s[0:1], 0, v[138:139]
	s_and_b64 s[0:1], vcc, s[0:1]
	s_and_saveexec_b64 s[16:17], s[0:1]
	s_xor_b64 s[0:1], exec, s[16:17]
; %bb.486:
	v_cmp_ne_u32_e32 vcc, 0, v150
	s_nop 1
	v_cndmask_b32_e32 v150, 24, v150, vcc
; %bb.487:
	s_andn2_saveexec_b64 s[0:1], s[0:1]
	s_cbranch_execz .LBB66_493
; %bb.488:
	v_cmp_ngt_f64_e64 s[16:17], |v[136:137]|, |v[138:139]|
	s_and_saveexec_b64 s[18:19], s[16:17]
	s_xor_b64 s[16:17], exec, s[18:19]
	s_cbranch_execz .LBB66_490
; %bb.489:
	v_div_scale_f64 v[152:153], s[18:19], v[138:139], v[138:139], v[136:137]
	v_rcp_f64_e32 v[154:155], v[152:153]
	v_div_scale_f64 v[156:157], vcc, v[136:137], v[138:139], v[136:137]
	v_fma_f64 v[158:159], -v[152:153], v[154:155], 1.0
	v_fmac_f64_e32 v[154:155], v[154:155], v[158:159]
	v_fma_f64 v[158:159], -v[152:153], v[154:155], 1.0
	v_fmac_f64_e32 v[154:155], v[154:155], v[158:159]
	v_mul_f64 v[158:159], v[156:157], v[154:155]
	v_fma_f64 v[152:153], -v[152:153], v[158:159], v[156:157]
	v_div_fmas_f64 v[152:153], v[152:153], v[154:155], v[158:159]
	v_div_fixup_f64 v[152:153], v[152:153], v[138:139], v[136:137]
	v_fmac_f64_e32 v[138:139], v[136:137], v[152:153]
	v_div_scale_f64 v[136:137], s[18:19], v[138:139], v[138:139], 1.0
	v_rcp_f64_e32 v[154:155], v[136:137]
	s_nop 0
	v_fma_f64 v[156:157], -v[136:137], v[154:155], 1.0
	v_fmac_f64_e32 v[154:155], v[154:155], v[156:157]
	v_fma_f64 v[156:157], -v[136:137], v[154:155], 1.0
	v_fmac_f64_e32 v[154:155], v[154:155], v[156:157]
	v_div_scale_f64 v[156:157], vcc, 1.0, v[138:139], 1.0
	v_mul_f64 v[158:159], v[156:157], v[154:155]
	v_fma_f64 v[136:137], -v[136:137], v[158:159], v[156:157]
	s_nop 1
	v_div_fmas_f64 v[136:137], v[136:137], v[154:155], v[158:159]
	v_div_fixup_f64 v[138:139], v[136:137], v[138:139], 1.0
	v_mul_f64 v[136:137], v[152:153], v[138:139]
	v_xor_b32_e32 v139, 0x80000000, v139
.LBB66_490:
	s_andn2_saveexec_b64 s[16:17], s[16:17]
	s_cbranch_execz .LBB66_492
; %bb.491:
	v_div_scale_f64 v[152:153], s[18:19], v[136:137], v[136:137], v[138:139]
	v_rcp_f64_e32 v[154:155], v[152:153]
	v_div_scale_f64 v[156:157], vcc, v[138:139], v[136:137], v[138:139]
	v_fma_f64 v[158:159], -v[152:153], v[154:155], 1.0
	v_fmac_f64_e32 v[154:155], v[154:155], v[158:159]
	v_fma_f64 v[158:159], -v[152:153], v[154:155], 1.0
	v_fmac_f64_e32 v[154:155], v[154:155], v[158:159]
	v_mul_f64 v[158:159], v[156:157], v[154:155]
	v_fma_f64 v[152:153], -v[152:153], v[158:159], v[156:157]
	v_div_fmas_f64 v[152:153], v[152:153], v[154:155], v[158:159]
	v_div_fixup_f64 v[152:153], v[152:153], v[136:137], v[138:139]
	v_fmac_f64_e32 v[136:137], v[138:139], v[152:153]
	v_div_scale_f64 v[138:139], s[18:19], v[136:137], v[136:137], 1.0
	v_rcp_f64_e32 v[154:155], v[138:139]
	s_nop 0
	v_fma_f64 v[156:157], -v[138:139], v[154:155], 1.0
	v_fmac_f64_e32 v[154:155], v[154:155], v[156:157]
	v_fma_f64 v[156:157], -v[138:139], v[154:155], 1.0
	v_fmac_f64_e32 v[154:155], v[154:155], v[156:157]
	v_div_scale_f64 v[156:157], vcc, 1.0, v[136:137], 1.0
	v_mul_f64 v[158:159], v[156:157], v[154:155]
	v_fma_f64 v[138:139], -v[138:139], v[158:159], v[156:157]
	s_nop 1
	v_div_fmas_f64 v[138:139], v[138:139], v[154:155], v[158:159]
	v_div_fixup_f64 v[136:137], v[138:139], v[136:137], 1.0
	v_mul_f64 v[138:139], v[152:153], -v[136:137]
.LBB66_492:
	s_or_b64 exec, exec, s[16:17]
.LBB66_493:
	s_or_b64 exec, exec, s[0:1]
	v_cmp_ne_u32_e32 vcc, v149, v146
	s_and_saveexec_b64 s[0:1], vcc
	s_xor_b64 s[0:1], exec, s[0:1]
	s_cbranch_execz .LBB66_499
; %bb.494:
	v_cmp_eq_u32_e32 vcc, 23, v149
	s_and_saveexec_b64 s[16:17], vcc
	s_cbranch_execz .LBB66_498
; %bb.495:
	v_cmp_ne_u32_e32 vcc, 23, v146
	s_xor_b64 s[18:19], s[14:15], -1
	s_and_b64 s[22:23], s[18:19], vcc
	s_and_saveexec_b64 s[18:19], s[22:23]
	s_cbranch_execz .LBB66_497
; %bb.496:
	v_ashrrev_i32_e32 v147, 31, v146
	v_lshl_add_u64 v[152:153], v[146:147], 2, v[144:145]
	global_load_dword v147, v[152:153], off
	global_load_dword v149, v[144:145], off offset:92
	s_waitcnt vmcnt(1)
	global_store_dword v[144:145], v147, off offset:92
	s_waitcnt vmcnt(1)
	global_store_dword v[152:153], v149, off
.LBB66_497:
	s_or_b64 exec, exec, s[18:19]
	v_mov_b32_e32 v149, v146
	v_mov_b32_e32 v151, v146
.LBB66_498:
	s_or_b64 exec, exec, s[16:17]
.LBB66_499:
	s_andn2_saveexec_b64 s[0:1], s[0:1]
	s_cbranch_execz .LBB66_501
; %bb.500:
	v_mov_b32_e32 v149, 23
	s_waitcnt vmcnt(9)
	ds_write2_b64 v148, v[32:33], v[34:35] offset0:48 offset1:49
	s_waitcnt vmcnt(8)
	ds_write2_b64 v148, v[28:29], v[30:31] offset0:50 offset1:51
	;; [unrolled: 2-line block ×10, first 2 shown]
.LBB66_501:
	s_or_b64 exec, exec, s[0:1]
	v_cmp_lt_i32_e32 vcc, 23, v149
	s_waitcnt lgkmcnt(0)
	s_barrier
	s_and_saveexec_b64 s[0:1], vcc
	s_cbranch_execz .LBB66_503
; %bb.502:
	ds_read2_b64 v[152:155], v148 offset0:48 offset1:49
	v_mul_f64 v[146:147], v[136:137], v[38:39]
	v_mul_f64 v[38:39], v[138:139], v[38:39]
	v_fmac_f64_e32 v[146:147], v[138:139], v[36:37]
	v_fma_f64 v[36:37], v[136:137], v[36:37], -v[38:39]
	ds_read2_b64 v[136:139], v148 offset0:50 offset1:51
	s_waitcnt lgkmcnt(1)
	v_mul_f64 v[38:39], v[154:155], v[146:147]
	v_fma_f64 v[38:39], v[152:153], v[36:37], -v[38:39]
	v_mul_f64 v[152:153], v[152:153], v[146:147]
	v_fmac_f64_e32 v[152:153], v[154:155], v[36:37]
	s_waitcnt vmcnt(9)
	v_add_f64 v[32:33], v[32:33], -v[38:39]
	s_waitcnt lgkmcnt(0)
	v_mul_f64 v[38:39], v[138:139], v[146:147]
	v_add_f64 v[34:35], v[34:35], -v[152:153]
	v_fma_f64 v[38:39], v[136:137], v[36:37], -v[38:39]
	v_mul_f64 v[136:137], v[136:137], v[146:147]
	ds_read2_b64 v[152:155], v148 offset0:52 offset1:53
	v_fmac_f64_e32 v[136:137], v[138:139], v[36:37]
	s_waitcnt vmcnt(8)
	v_add_f64 v[30:31], v[30:31], -v[136:137]
	ds_read2_b64 v[136:139], v148 offset0:54 offset1:55
	v_add_f64 v[28:29], v[28:29], -v[38:39]
	s_waitcnt lgkmcnt(1)
	v_mul_f64 v[38:39], v[154:155], v[146:147]
	v_fma_f64 v[38:39], v[152:153], v[36:37], -v[38:39]
	v_mul_f64 v[152:153], v[152:153], v[146:147]
	v_fmac_f64_e32 v[152:153], v[154:155], v[36:37]
	s_waitcnt vmcnt(7)
	v_add_f64 v[24:25], v[24:25], -v[38:39]
	s_waitcnt lgkmcnt(0)
	v_mul_f64 v[38:39], v[138:139], v[146:147]
	v_add_f64 v[26:27], v[26:27], -v[152:153]
	v_fma_f64 v[38:39], v[136:137], v[36:37], -v[38:39]
	v_mul_f64 v[136:137], v[136:137], v[146:147]
	ds_read2_b64 v[152:155], v148 offset0:56 offset1:57
	v_fmac_f64_e32 v[136:137], v[138:139], v[36:37]
	s_waitcnt vmcnt(6)
	v_add_f64 v[22:23], v[22:23], -v[136:137]
	ds_read2_b64 v[136:139], v148 offset0:58 offset1:59
	v_add_f64 v[20:21], v[20:21], -v[38:39]
	;; [unrolled: 18-line block ×4, first 2 shown]
	s_waitcnt lgkmcnt(1)
	v_mul_f64 v[38:39], v[154:155], v[146:147]
	v_fma_f64 v[38:39], v[152:153], v[36:37], -v[38:39]
	s_waitcnt vmcnt(1)
	v_add_f64 v[0:1], v[0:1], -v[38:39]
	s_waitcnt lgkmcnt(0)
	v_mul_f64 v[38:39], v[138:139], v[146:147]
	v_mul_f64 v[152:153], v[152:153], v[146:147]
	v_fma_f64 v[38:39], v[136:137], v[36:37], -v[38:39]
	v_mul_f64 v[136:137], v[136:137], v[146:147]
	v_fmac_f64_e32 v[152:153], v[154:155], v[36:37]
	v_fmac_f64_e32 v[136:137], v[138:139], v[36:37]
	v_add_f64 v[2:3], v[2:3], -v[152:153]
	s_waitcnt vmcnt(0)
	v_add_f64 v[132:133], v[132:133], -v[38:39]
	v_add_f64 v[134:135], v[134:135], -v[136:137]
	v_mov_b64_e32 v[38:39], v[146:147]
.LBB66_503:
	s_or_b64 exec, exec, s[0:1]
	v_lshl_add_u32 v136, v149, 4, v148
	s_barrier
	s_waitcnt vmcnt(9)
	ds_write2_b64 v136, v[32:33], v[34:35] offset1:1
	s_waitcnt lgkmcnt(0)
	s_barrier
	ds_read2_b64 v[136:139], v148 offset0:48 offset1:49
	s_cmp_lt_i32 s20, 26
	v_mov_b32_e32 v146, 24
	s_cbranch_scc1 .LBB66_506
; %bb.504:
	v_add_u32_e32 v147, 0x190, v148
	s_mov_b32 s16, 25
	v_mov_b32_e32 v146, 24
.LBB66_505:                             ; =>This Inner Loop Header: Depth=1
	ds_read2_b64 v[152:155], v147 offset1:1
	s_waitcnt lgkmcnt(1)
	v_xor_b32_e32 v157, 0x80000000, v137
	v_xor_b32_e32 v159, 0x80000000, v139
	v_cmp_gt_f64_e32 vcc, 0, v[138:139]
	v_cmp_gt_f64_e64 s[0:1], 0, v[136:137]
	v_mov_b32_e32 v156, v136
	v_mov_b32_e32 v158, v138
	v_cndmask_b32_e64 v157, v137, v157, s[0:1]
	v_cndmask_b32_e32 v159, v139, v159, vcc
	v_add_f64 v[156:157], v[156:157], v[158:159]
	s_waitcnt lgkmcnt(0)
	v_xor_b32_e32 v159, 0x80000000, v153
	v_xor_b32_e32 v161, 0x80000000, v155
	v_cmp_gt_f64_e32 vcc, 0, v[154:155]
	v_cmp_gt_f64_e64 s[0:1], 0, v[152:153]
	v_mov_b32_e32 v158, v152
	v_mov_b32_e32 v160, v154
	v_cndmask_b32_e64 v159, v153, v159, s[0:1]
	v_cndmask_b32_e32 v161, v155, v161, vcc
	v_add_f64 v[158:159], v[158:159], v[160:161]
	v_mov_b32_e32 v162, s16
	s_add_i32 s16, s16, 1
	v_cmp_lt_f64_e32 vcc, v[156:157], v[158:159]
	v_add_u32_e32 v147, 16, v147
	s_cmp_lg_u32 s20, s16
	v_cndmask_b32_e32 v137, v137, v153, vcc
	v_cndmask_b32_e32 v136, v136, v152, vcc
	;; [unrolled: 1-line block ×5, first 2 shown]
	s_cbranch_scc1 .LBB66_505
.LBB66_506:
	s_waitcnt lgkmcnt(0)
	v_cmp_eq_f64_e32 vcc, 0, v[136:137]
	v_cmp_eq_f64_e64 s[0:1], 0, v[138:139]
	s_and_b64 s[0:1], vcc, s[0:1]
	s_and_saveexec_b64 s[16:17], s[0:1]
	s_xor_b64 s[0:1], exec, s[16:17]
; %bb.507:
	v_cmp_ne_u32_e32 vcc, 0, v150
	s_nop 1
	v_cndmask_b32_e32 v150, 25, v150, vcc
; %bb.508:
	s_andn2_saveexec_b64 s[0:1], s[0:1]
	s_cbranch_execz .LBB66_514
; %bb.509:
	v_cmp_ngt_f64_e64 s[16:17], |v[136:137]|, |v[138:139]|
	s_and_saveexec_b64 s[18:19], s[16:17]
	s_xor_b64 s[16:17], exec, s[18:19]
	s_cbranch_execz .LBB66_511
; %bb.510:
	v_div_scale_f64 v[152:153], s[18:19], v[138:139], v[138:139], v[136:137]
	v_rcp_f64_e32 v[154:155], v[152:153]
	v_div_scale_f64 v[156:157], vcc, v[136:137], v[138:139], v[136:137]
	v_fma_f64 v[158:159], -v[152:153], v[154:155], 1.0
	v_fmac_f64_e32 v[154:155], v[154:155], v[158:159]
	v_fma_f64 v[158:159], -v[152:153], v[154:155], 1.0
	v_fmac_f64_e32 v[154:155], v[154:155], v[158:159]
	v_mul_f64 v[158:159], v[156:157], v[154:155]
	v_fma_f64 v[152:153], -v[152:153], v[158:159], v[156:157]
	v_div_fmas_f64 v[152:153], v[152:153], v[154:155], v[158:159]
	v_div_fixup_f64 v[152:153], v[152:153], v[138:139], v[136:137]
	v_fmac_f64_e32 v[138:139], v[136:137], v[152:153]
	v_div_scale_f64 v[136:137], s[18:19], v[138:139], v[138:139], 1.0
	v_rcp_f64_e32 v[154:155], v[136:137]
	s_nop 0
	v_fma_f64 v[156:157], -v[136:137], v[154:155], 1.0
	v_fmac_f64_e32 v[154:155], v[154:155], v[156:157]
	v_fma_f64 v[156:157], -v[136:137], v[154:155], 1.0
	v_fmac_f64_e32 v[154:155], v[154:155], v[156:157]
	v_div_scale_f64 v[156:157], vcc, 1.0, v[138:139], 1.0
	v_mul_f64 v[158:159], v[156:157], v[154:155]
	v_fma_f64 v[136:137], -v[136:137], v[158:159], v[156:157]
	s_nop 1
	v_div_fmas_f64 v[136:137], v[136:137], v[154:155], v[158:159]
	v_div_fixup_f64 v[138:139], v[136:137], v[138:139], 1.0
	v_mul_f64 v[136:137], v[152:153], v[138:139]
	v_xor_b32_e32 v139, 0x80000000, v139
.LBB66_511:
	s_andn2_saveexec_b64 s[16:17], s[16:17]
	s_cbranch_execz .LBB66_513
; %bb.512:
	v_div_scale_f64 v[152:153], s[18:19], v[136:137], v[136:137], v[138:139]
	v_rcp_f64_e32 v[154:155], v[152:153]
	v_div_scale_f64 v[156:157], vcc, v[138:139], v[136:137], v[138:139]
	v_fma_f64 v[158:159], -v[152:153], v[154:155], 1.0
	v_fmac_f64_e32 v[154:155], v[154:155], v[158:159]
	v_fma_f64 v[158:159], -v[152:153], v[154:155], 1.0
	v_fmac_f64_e32 v[154:155], v[154:155], v[158:159]
	v_mul_f64 v[158:159], v[156:157], v[154:155]
	v_fma_f64 v[152:153], -v[152:153], v[158:159], v[156:157]
	v_div_fmas_f64 v[152:153], v[152:153], v[154:155], v[158:159]
	v_div_fixup_f64 v[152:153], v[152:153], v[136:137], v[138:139]
	v_fmac_f64_e32 v[136:137], v[138:139], v[152:153]
	v_div_scale_f64 v[138:139], s[18:19], v[136:137], v[136:137], 1.0
	v_rcp_f64_e32 v[154:155], v[138:139]
	s_nop 0
	v_fma_f64 v[156:157], -v[138:139], v[154:155], 1.0
	v_fmac_f64_e32 v[154:155], v[154:155], v[156:157]
	v_fma_f64 v[156:157], -v[138:139], v[154:155], 1.0
	v_fmac_f64_e32 v[154:155], v[154:155], v[156:157]
	v_div_scale_f64 v[156:157], vcc, 1.0, v[136:137], 1.0
	v_mul_f64 v[158:159], v[156:157], v[154:155]
	v_fma_f64 v[138:139], -v[138:139], v[158:159], v[156:157]
	s_nop 1
	v_div_fmas_f64 v[138:139], v[138:139], v[154:155], v[158:159]
	v_div_fixup_f64 v[136:137], v[138:139], v[136:137], 1.0
	v_mul_f64 v[138:139], v[152:153], -v[136:137]
.LBB66_513:
	s_or_b64 exec, exec, s[16:17]
.LBB66_514:
	s_or_b64 exec, exec, s[0:1]
	v_cmp_ne_u32_e32 vcc, v149, v146
	s_and_saveexec_b64 s[0:1], vcc
	s_xor_b64 s[0:1], exec, s[0:1]
	s_cbranch_execz .LBB66_520
; %bb.515:
	v_cmp_eq_u32_e32 vcc, 24, v149
	s_and_saveexec_b64 s[16:17], vcc
	s_cbranch_execz .LBB66_519
; %bb.516:
	v_cmp_ne_u32_e32 vcc, 24, v146
	s_xor_b64 s[18:19], s[14:15], -1
	s_and_b64 s[22:23], s[18:19], vcc
	s_and_saveexec_b64 s[18:19], s[22:23]
	s_cbranch_execz .LBB66_518
; %bb.517:
	v_ashrrev_i32_e32 v147, 31, v146
	v_lshl_add_u64 v[152:153], v[146:147], 2, v[144:145]
	global_load_dword v147, v[152:153], off
	global_load_dword v149, v[144:145], off offset:96
	s_waitcnt vmcnt(1)
	global_store_dword v[144:145], v147, off offset:96
	s_waitcnt vmcnt(1)
	global_store_dword v[152:153], v149, off
.LBB66_518:
	s_or_b64 exec, exec, s[18:19]
	v_mov_b32_e32 v149, v146
	v_mov_b32_e32 v151, v146
.LBB66_519:
	s_or_b64 exec, exec, s[16:17]
.LBB66_520:
	s_andn2_saveexec_b64 s[0:1], s[0:1]
	s_cbranch_execz .LBB66_522
; %bb.521:
	v_mov_b32_e32 v149, 24
	s_waitcnt vmcnt(8)
	ds_write2_b64 v148, v[28:29], v[30:31] offset0:50 offset1:51
	s_waitcnt vmcnt(7)
	ds_write2_b64 v148, v[24:25], v[26:27] offset0:52 offset1:53
	;; [unrolled: 2-line block ×9, first 2 shown]
.LBB66_522:
	s_or_b64 exec, exec, s[0:1]
	v_cmp_lt_i32_e32 vcc, 24, v149
	s_waitcnt lgkmcnt(0)
	s_barrier
	s_and_saveexec_b64 s[0:1], vcc
	s_cbranch_execz .LBB66_524
; %bb.523:
	ds_read2_b64 v[152:155], v148 offset0:50 offset1:51
	v_mul_f64 v[146:147], v[136:137], v[34:35]
	v_fmac_f64_e32 v[146:147], v[138:139], v[32:33]
	v_mul_f64 v[34:35], v[138:139], v[34:35]
	v_fma_f64 v[32:33], v[136:137], v[32:33], -v[34:35]
	ds_read2_b64 v[136:139], v148 offset0:52 offset1:53
	s_waitcnt lgkmcnt(1)
	v_mul_f64 v[34:35], v[154:155], v[146:147]
	v_fma_f64 v[34:35], v[152:153], v[32:33], -v[34:35]
	v_mul_f64 v[152:153], v[152:153], v[146:147]
	v_fmac_f64_e32 v[152:153], v[154:155], v[32:33]
	s_waitcnt vmcnt(8)
	v_add_f64 v[30:31], v[30:31], -v[152:153]
	ds_read2_b64 v[152:155], v148 offset0:54 offset1:55
	v_add_f64 v[28:29], v[28:29], -v[34:35]
	s_waitcnt lgkmcnt(1)
	v_mul_f64 v[34:35], v[138:139], v[146:147]
	v_fma_f64 v[34:35], v[136:137], v[32:33], -v[34:35]
	v_mul_f64 v[136:137], v[136:137], v[146:147]
	v_fmac_f64_e32 v[136:137], v[138:139], v[32:33]
	s_waitcnt vmcnt(7)
	v_add_f64 v[24:25], v[24:25], -v[34:35]
	v_add_f64 v[26:27], v[26:27], -v[136:137]
	ds_read2_b64 v[136:139], v148 offset0:56 offset1:57
	s_waitcnt lgkmcnt(1)
	v_mul_f64 v[34:35], v[154:155], v[146:147]
	v_fma_f64 v[34:35], v[152:153], v[32:33], -v[34:35]
	v_mul_f64 v[152:153], v[152:153], v[146:147]
	v_fmac_f64_e32 v[152:153], v[154:155], v[32:33]
	s_waitcnt vmcnt(6)
	v_add_f64 v[22:23], v[22:23], -v[152:153]
	ds_read2_b64 v[152:155], v148 offset0:58 offset1:59
	v_add_f64 v[20:21], v[20:21], -v[34:35]
	s_waitcnt lgkmcnt(1)
	v_mul_f64 v[34:35], v[138:139], v[146:147]
	v_fma_f64 v[34:35], v[136:137], v[32:33], -v[34:35]
	v_mul_f64 v[136:137], v[136:137], v[146:147]
	v_fmac_f64_e32 v[136:137], v[138:139], v[32:33]
	s_waitcnt vmcnt(5)
	v_add_f64 v[16:17], v[16:17], -v[34:35]
	v_add_f64 v[18:19], v[18:19], -v[136:137]
	;; [unrolled: 18-line block ×4, first 2 shown]
	s_waitcnt lgkmcnt(0)
	v_mul_f64 v[34:35], v[154:155], v[146:147]
	v_mul_f64 v[136:137], v[152:153], v[146:147]
	v_fma_f64 v[34:35], v[152:153], v[32:33], -v[34:35]
	v_fmac_f64_e32 v[136:137], v[154:155], v[32:33]
	s_waitcnt vmcnt(0)
	v_add_f64 v[132:133], v[132:133], -v[34:35]
	v_add_f64 v[134:135], v[134:135], -v[136:137]
	v_mov_b64_e32 v[34:35], v[146:147]
.LBB66_524:
	s_or_b64 exec, exec, s[0:1]
	v_lshl_add_u32 v136, v149, 4, v148
	s_barrier
	s_waitcnt vmcnt(8)
	ds_write2_b64 v136, v[28:29], v[30:31] offset1:1
	s_waitcnt lgkmcnt(0)
	s_barrier
	ds_read2_b64 v[136:139], v148 offset0:50 offset1:51
	s_cmp_lt_i32 s20, 27
	v_mov_b32_e32 v146, 25
	s_cbranch_scc1 .LBB66_527
; %bb.525:
	v_add_u32_e32 v147, 0x1a0, v148
	s_mov_b32 s16, 26
	v_mov_b32_e32 v146, 25
.LBB66_526:                             ; =>This Inner Loop Header: Depth=1
	ds_read2_b64 v[152:155], v147 offset1:1
	s_waitcnt lgkmcnt(1)
	v_xor_b32_e32 v157, 0x80000000, v137
	v_xor_b32_e32 v159, 0x80000000, v139
	v_cmp_gt_f64_e32 vcc, 0, v[138:139]
	v_cmp_gt_f64_e64 s[0:1], 0, v[136:137]
	v_mov_b32_e32 v156, v136
	v_mov_b32_e32 v158, v138
	v_cndmask_b32_e64 v157, v137, v157, s[0:1]
	v_cndmask_b32_e32 v159, v139, v159, vcc
	v_add_f64 v[156:157], v[156:157], v[158:159]
	s_waitcnt lgkmcnt(0)
	v_xor_b32_e32 v159, 0x80000000, v153
	v_xor_b32_e32 v161, 0x80000000, v155
	v_cmp_gt_f64_e32 vcc, 0, v[154:155]
	v_cmp_gt_f64_e64 s[0:1], 0, v[152:153]
	v_mov_b32_e32 v158, v152
	v_mov_b32_e32 v160, v154
	v_cndmask_b32_e64 v159, v153, v159, s[0:1]
	v_cndmask_b32_e32 v161, v155, v161, vcc
	v_add_f64 v[158:159], v[158:159], v[160:161]
	v_mov_b32_e32 v162, s16
	s_add_i32 s16, s16, 1
	v_cmp_lt_f64_e32 vcc, v[156:157], v[158:159]
	v_add_u32_e32 v147, 16, v147
	s_cmp_lg_u32 s20, s16
	v_cndmask_b32_e32 v137, v137, v153, vcc
	v_cndmask_b32_e32 v136, v136, v152, vcc
	;; [unrolled: 1-line block ×5, first 2 shown]
	s_cbranch_scc1 .LBB66_526
.LBB66_527:
	s_waitcnt lgkmcnt(0)
	v_cmp_eq_f64_e32 vcc, 0, v[136:137]
	v_cmp_eq_f64_e64 s[0:1], 0, v[138:139]
	s_and_b64 s[0:1], vcc, s[0:1]
	s_and_saveexec_b64 s[16:17], s[0:1]
	s_xor_b64 s[0:1], exec, s[16:17]
; %bb.528:
	v_cmp_ne_u32_e32 vcc, 0, v150
	s_nop 1
	v_cndmask_b32_e32 v150, 26, v150, vcc
; %bb.529:
	s_andn2_saveexec_b64 s[0:1], s[0:1]
	s_cbranch_execz .LBB66_535
; %bb.530:
	v_cmp_ngt_f64_e64 s[16:17], |v[136:137]|, |v[138:139]|
	s_and_saveexec_b64 s[18:19], s[16:17]
	s_xor_b64 s[16:17], exec, s[18:19]
	s_cbranch_execz .LBB66_532
; %bb.531:
	v_div_scale_f64 v[152:153], s[18:19], v[138:139], v[138:139], v[136:137]
	v_rcp_f64_e32 v[154:155], v[152:153]
	v_div_scale_f64 v[156:157], vcc, v[136:137], v[138:139], v[136:137]
	v_fma_f64 v[158:159], -v[152:153], v[154:155], 1.0
	v_fmac_f64_e32 v[154:155], v[154:155], v[158:159]
	v_fma_f64 v[158:159], -v[152:153], v[154:155], 1.0
	v_fmac_f64_e32 v[154:155], v[154:155], v[158:159]
	v_mul_f64 v[158:159], v[156:157], v[154:155]
	v_fma_f64 v[152:153], -v[152:153], v[158:159], v[156:157]
	v_div_fmas_f64 v[152:153], v[152:153], v[154:155], v[158:159]
	v_div_fixup_f64 v[152:153], v[152:153], v[138:139], v[136:137]
	v_fmac_f64_e32 v[138:139], v[136:137], v[152:153]
	v_div_scale_f64 v[136:137], s[18:19], v[138:139], v[138:139], 1.0
	v_rcp_f64_e32 v[154:155], v[136:137]
	s_nop 0
	v_fma_f64 v[156:157], -v[136:137], v[154:155], 1.0
	v_fmac_f64_e32 v[154:155], v[154:155], v[156:157]
	v_fma_f64 v[156:157], -v[136:137], v[154:155], 1.0
	v_fmac_f64_e32 v[154:155], v[154:155], v[156:157]
	v_div_scale_f64 v[156:157], vcc, 1.0, v[138:139], 1.0
	v_mul_f64 v[158:159], v[156:157], v[154:155]
	v_fma_f64 v[136:137], -v[136:137], v[158:159], v[156:157]
	s_nop 1
	v_div_fmas_f64 v[136:137], v[136:137], v[154:155], v[158:159]
	v_div_fixup_f64 v[138:139], v[136:137], v[138:139], 1.0
	v_mul_f64 v[136:137], v[152:153], v[138:139]
	v_xor_b32_e32 v139, 0x80000000, v139
.LBB66_532:
	s_andn2_saveexec_b64 s[16:17], s[16:17]
	s_cbranch_execz .LBB66_534
; %bb.533:
	v_div_scale_f64 v[152:153], s[18:19], v[136:137], v[136:137], v[138:139]
	v_rcp_f64_e32 v[154:155], v[152:153]
	v_div_scale_f64 v[156:157], vcc, v[138:139], v[136:137], v[138:139]
	v_fma_f64 v[158:159], -v[152:153], v[154:155], 1.0
	v_fmac_f64_e32 v[154:155], v[154:155], v[158:159]
	v_fma_f64 v[158:159], -v[152:153], v[154:155], 1.0
	v_fmac_f64_e32 v[154:155], v[154:155], v[158:159]
	v_mul_f64 v[158:159], v[156:157], v[154:155]
	v_fma_f64 v[152:153], -v[152:153], v[158:159], v[156:157]
	v_div_fmas_f64 v[152:153], v[152:153], v[154:155], v[158:159]
	v_div_fixup_f64 v[152:153], v[152:153], v[136:137], v[138:139]
	v_fmac_f64_e32 v[136:137], v[138:139], v[152:153]
	v_div_scale_f64 v[138:139], s[18:19], v[136:137], v[136:137], 1.0
	v_rcp_f64_e32 v[154:155], v[138:139]
	s_nop 0
	v_fma_f64 v[156:157], -v[138:139], v[154:155], 1.0
	v_fmac_f64_e32 v[154:155], v[154:155], v[156:157]
	v_fma_f64 v[156:157], -v[138:139], v[154:155], 1.0
	v_fmac_f64_e32 v[154:155], v[154:155], v[156:157]
	v_div_scale_f64 v[156:157], vcc, 1.0, v[136:137], 1.0
	v_mul_f64 v[158:159], v[156:157], v[154:155]
	v_fma_f64 v[138:139], -v[138:139], v[158:159], v[156:157]
	s_nop 1
	v_div_fmas_f64 v[138:139], v[138:139], v[154:155], v[158:159]
	v_div_fixup_f64 v[136:137], v[138:139], v[136:137], 1.0
	v_mul_f64 v[138:139], v[152:153], -v[136:137]
.LBB66_534:
	s_or_b64 exec, exec, s[16:17]
.LBB66_535:
	s_or_b64 exec, exec, s[0:1]
	v_cmp_ne_u32_e32 vcc, v149, v146
	s_and_saveexec_b64 s[0:1], vcc
	s_xor_b64 s[0:1], exec, s[0:1]
	s_cbranch_execz .LBB66_541
; %bb.536:
	v_cmp_eq_u32_e32 vcc, 25, v149
	s_and_saveexec_b64 s[16:17], vcc
	s_cbranch_execz .LBB66_540
; %bb.537:
	v_cmp_ne_u32_e32 vcc, 25, v146
	s_xor_b64 s[18:19], s[14:15], -1
	s_and_b64 s[22:23], s[18:19], vcc
	s_and_saveexec_b64 s[18:19], s[22:23]
	s_cbranch_execz .LBB66_539
; %bb.538:
	v_ashrrev_i32_e32 v147, 31, v146
	v_lshl_add_u64 v[152:153], v[146:147], 2, v[144:145]
	global_load_dword v147, v[152:153], off
	global_load_dword v149, v[144:145], off offset:100
	s_waitcnt vmcnt(1)
	global_store_dword v[144:145], v147, off offset:100
	s_waitcnt vmcnt(1)
	global_store_dword v[152:153], v149, off
.LBB66_539:
	s_or_b64 exec, exec, s[18:19]
	v_mov_b32_e32 v149, v146
	v_mov_b32_e32 v151, v146
.LBB66_540:
	s_or_b64 exec, exec, s[16:17]
.LBB66_541:
	s_andn2_saveexec_b64 s[0:1], s[0:1]
	s_cbranch_execz .LBB66_543
; %bb.542:
	v_mov_b32_e32 v149, 25
	s_waitcnt vmcnt(7)
	ds_write2_b64 v148, v[24:25], v[26:27] offset0:52 offset1:53
	s_waitcnt vmcnt(6)
	ds_write2_b64 v148, v[20:21], v[22:23] offset0:54 offset1:55
	;; [unrolled: 2-line block ×8, first 2 shown]
.LBB66_543:
	s_or_b64 exec, exec, s[0:1]
	v_cmp_lt_i32_e32 vcc, 25, v149
	s_waitcnt lgkmcnt(0)
	s_barrier
	s_and_saveexec_b64 s[0:1], vcc
	s_cbranch_execz .LBB66_545
; %bb.544:
	ds_read2_b64 v[152:155], v148 offset0:52 offset1:53
	v_mul_f64 v[146:147], v[136:137], v[30:31]
	v_mul_f64 v[30:31], v[138:139], v[30:31]
	v_fmac_f64_e32 v[146:147], v[138:139], v[28:29]
	v_fma_f64 v[28:29], v[136:137], v[28:29], -v[30:31]
	ds_read2_b64 v[136:139], v148 offset0:54 offset1:55
	s_waitcnt lgkmcnt(1)
	v_mul_f64 v[30:31], v[154:155], v[146:147]
	v_fma_f64 v[30:31], v[152:153], v[28:29], -v[30:31]
	v_mul_f64 v[152:153], v[152:153], v[146:147]
	v_fmac_f64_e32 v[152:153], v[154:155], v[28:29]
	s_waitcnt vmcnt(7)
	v_add_f64 v[24:25], v[24:25], -v[30:31]
	s_waitcnt lgkmcnt(0)
	v_mul_f64 v[30:31], v[138:139], v[146:147]
	v_add_f64 v[26:27], v[26:27], -v[152:153]
	v_fma_f64 v[30:31], v[136:137], v[28:29], -v[30:31]
	v_mul_f64 v[136:137], v[136:137], v[146:147]
	ds_read2_b64 v[152:155], v148 offset0:56 offset1:57
	v_fmac_f64_e32 v[136:137], v[138:139], v[28:29]
	s_waitcnt vmcnt(6)
	v_add_f64 v[22:23], v[22:23], -v[136:137]
	ds_read2_b64 v[136:139], v148 offset0:58 offset1:59
	v_add_f64 v[20:21], v[20:21], -v[30:31]
	s_waitcnt lgkmcnt(1)
	v_mul_f64 v[30:31], v[154:155], v[146:147]
	v_fma_f64 v[30:31], v[152:153], v[28:29], -v[30:31]
	v_mul_f64 v[152:153], v[152:153], v[146:147]
	v_fmac_f64_e32 v[152:153], v[154:155], v[28:29]
	s_waitcnt vmcnt(5)
	v_add_f64 v[16:17], v[16:17], -v[30:31]
	s_waitcnt lgkmcnt(0)
	v_mul_f64 v[30:31], v[138:139], v[146:147]
	v_add_f64 v[18:19], v[18:19], -v[152:153]
	v_fma_f64 v[30:31], v[136:137], v[28:29], -v[30:31]
	v_mul_f64 v[136:137], v[136:137], v[146:147]
	ds_read2_b64 v[152:155], v148 offset0:60 offset1:61
	v_fmac_f64_e32 v[136:137], v[138:139], v[28:29]
	s_waitcnt vmcnt(4)
	v_add_f64 v[14:15], v[14:15], -v[136:137]
	ds_read2_b64 v[136:139], v148 offset0:62 offset1:63
	v_add_f64 v[12:13], v[12:13], -v[30:31]
	;; [unrolled: 18-line block ×3, first 2 shown]
	s_waitcnt lgkmcnt(1)
	v_mul_f64 v[30:31], v[154:155], v[146:147]
	v_fma_f64 v[30:31], v[152:153], v[28:29], -v[30:31]
	s_waitcnt vmcnt(1)
	v_add_f64 v[0:1], v[0:1], -v[30:31]
	s_waitcnt lgkmcnt(0)
	v_mul_f64 v[30:31], v[138:139], v[146:147]
	v_mul_f64 v[152:153], v[152:153], v[146:147]
	v_fma_f64 v[30:31], v[136:137], v[28:29], -v[30:31]
	v_mul_f64 v[136:137], v[136:137], v[146:147]
	v_fmac_f64_e32 v[152:153], v[154:155], v[28:29]
	v_fmac_f64_e32 v[136:137], v[138:139], v[28:29]
	v_add_f64 v[2:3], v[2:3], -v[152:153]
	s_waitcnt vmcnt(0)
	v_add_f64 v[132:133], v[132:133], -v[30:31]
	v_add_f64 v[134:135], v[134:135], -v[136:137]
	v_mov_b64_e32 v[30:31], v[146:147]
.LBB66_545:
	s_or_b64 exec, exec, s[0:1]
	v_lshl_add_u32 v136, v149, 4, v148
	s_barrier
	s_waitcnt vmcnt(7)
	ds_write2_b64 v136, v[24:25], v[26:27] offset1:1
	s_waitcnt lgkmcnt(0)
	s_barrier
	ds_read2_b64 v[136:139], v148 offset0:52 offset1:53
	s_cmp_lt_i32 s20, 28
	v_mov_b32_e32 v146, 26
	s_cbranch_scc1 .LBB66_548
; %bb.546:
	v_add_u32_e32 v147, 0x1b0, v148
	s_mov_b32 s16, 27
	v_mov_b32_e32 v146, 26
.LBB66_547:                             ; =>This Inner Loop Header: Depth=1
	ds_read2_b64 v[152:155], v147 offset1:1
	s_waitcnt lgkmcnt(1)
	v_xor_b32_e32 v157, 0x80000000, v137
	v_xor_b32_e32 v159, 0x80000000, v139
	v_cmp_gt_f64_e32 vcc, 0, v[138:139]
	v_cmp_gt_f64_e64 s[0:1], 0, v[136:137]
	v_mov_b32_e32 v156, v136
	v_mov_b32_e32 v158, v138
	v_cndmask_b32_e64 v157, v137, v157, s[0:1]
	v_cndmask_b32_e32 v159, v139, v159, vcc
	v_add_f64 v[156:157], v[156:157], v[158:159]
	s_waitcnt lgkmcnt(0)
	v_xor_b32_e32 v159, 0x80000000, v153
	v_xor_b32_e32 v161, 0x80000000, v155
	v_cmp_gt_f64_e32 vcc, 0, v[154:155]
	v_cmp_gt_f64_e64 s[0:1], 0, v[152:153]
	v_mov_b32_e32 v158, v152
	v_mov_b32_e32 v160, v154
	v_cndmask_b32_e64 v159, v153, v159, s[0:1]
	v_cndmask_b32_e32 v161, v155, v161, vcc
	v_add_f64 v[158:159], v[158:159], v[160:161]
	v_mov_b32_e32 v162, s16
	s_add_i32 s16, s16, 1
	v_cmp_lt_f64_e32 vcc, v[156:157], v[158:159]
	v_add_u32_e32 v147, 16, v147
	s_cmp_lg_u32 s20, s16
	v_cndmask_b32_e32 v137, v137, v153, vcc
	v_cndmask_b32_e32 v136, v136, v152, vcc
	;; [unrolled: 1-line block ×5, first 2 shown]
	s_cbranch_scc1 .LBB66_547
.LBB66_548:
	s_waitcnt lgkmcnt(0)
	v_cmp_eq_f64_e32 vcc, 0, v[136:137]
	v_cmp_eq_f64_e64 s[0:1], 0, v[138:139]
	s_and_b64 s[0:1], vcc, s[0:1]
	s_and_saveexec_b64 s[16:17], s[0:1]
	s_xor_b64 s[0:1], exec, s[16:17]
; %bb.549:
	v_cmp_ne_u32_e32 vcc, 0, v150
	s_nop 1
	v_cndmask_b32_e32 v150, 27, v150, vcc
; %bb.550:
	s_andn2_saveexec_b64 s[0:1], s[0:1]
	s_cbranch_execz .LBB66_556
; %bb.551:
	v_cmp_ngt_f64_e64 s[16:17], |v[136:137]|, |v[138:139]|
	s_and_saveexec_b64 s[18:19], s[16:17]
	s_xor_b64 s[16:17], exec, s[18:19]
	s_cbranch_execz .LBB66_553
; %bb.552:
	v_div_scale_f64 v[152:153], s[18:19], v[138:139], v[138:139], v[136:137]
	v_rcp_f64_e32 v[154:155], v[152:153]
	v_div_scale_f64 v[156:157], vcc, v[136:137], v[138:139], v[136:137]
	v_fma_f64 v[158:159], -v[152:153], v[154:155], 1.0
	v_fmac_f64_e32 v[154:155], v[154:155], v[158:159]
	v_fma_f64 v[158:159], -v[152:153], v[154:155], 1.0
	v_fmac_f64_e32 v[154:155], v[154:155], v[158:159]
	v_mul_f64 v[158:159], v[156:157], v[154:155]
	v_fma_f64 v[152:153], -v[152:153], v[158:159], v[156:157]
	v_div_fmas_f64 v[152:153], v[152:153], v[154:155], v[158:159]
	v_div_fixup_f64 v[152:153], v[152:153], v[138:139], v[136:137]
	v_fmac_f64_e32 v[138:139], v[136:137], v[152:153]
	v_div_scale_f64 v[136:137], s[18:19], v[138:139], v[138:139], 1.0
	v_rcp_f64_e32 v[154:155], v[136:137]
	s_nop 0
	v_fma_f64 v[156:157], -v[136:137], v[154:155], 1.0
	v_fmac_f64_e32 v[154:155], v[154:155], v[156:157]
	v_fma_f64 v[156:157], -v[136:137], v[154:155], 1.0
	v_fmac_f64_e32 v[154:155], v[154:155], v[156:157]
	v_div_scale_f64 v[156:157], vcc, 1.0, v[138:139], 1.0
	v_mul_f64 v[158:159], v[156:157], v[154:155]
	v_fma_f64 v[136:137], -v[136:137], v[158:159], v[156:157]
	s_nop 1
	v_div_fmas_f64 v[136:137], v[136:137], v[154:155], v[158:159]
	v_div_fixup_f64 v[138:139], v[136:137], v[138:139], 1.0
	v_mul_f64 v[136:137], v[152:153], v[138:139]
	v_xor_b32_e32 v139, 0x80000000, v139
.LBB66_553:
	s_andn2_saveexec_b64 s[16:17], s[16:17]
	s_cbranch_execz .LBB66_555
; %bb.554:
	v_div_scale_f64 v[152:153], s[18:19], v[136:137], v[136:137], v[138:139]
	v_rcp_f64_e32 v[154:155], v[152:153]
	v_div_scale_f64 v[156:157], vcc, v[138:139], v[136:137], v[138:139]
	v_fma_f64 v[158:159], -v[152:153], v[154:155], 1.0
	v_fmac_f64_e32 v[154:155], v[154:155], v[158:159]
	v_fma_f64 v[158:159], -v[152:153], v[154:155], 1.0
	v_fmac_f64_e32 v[154:155], v[154:155], v[158:159]
	v_mul_f64 v[158:159], v[156:157], v[154:155]
	v_fma_f64 v[152:153], -v[152:153], v[158:159], v[156:157]
	v_div_fmas_f64 v[152:153], v[152:153], v[154:155], v[158:159]
	v_div_fixup_f64 v[152:153], v[152:153], v[136:137], v[138:139]
	v_fmac_f64_e32 v[136:137], v[138:139], v[152:153]
	v_div_scale_f64 v[138:139], s[18:19], v[136:137], v[136:137], 1.0
	v_rcp_f64_e32 v[154:155], v[138:139]
	s_nop 0
	v_fma_f64 v[156:157], -v[138:139], v[154:155], 1.0
	v_fmac_f64_e32 v[154:155], v[154:155], v[156:157]
	v_fma_f64 v[156:157], -v[138:139], v[154:155], 1.0
	v_fmac_f64_e32 v[154:155], v[154:155], v[156:157]
	v_div_scale_f64 v[156:157], vcc, 1.0, v[136:137], 1.0
	v_mul_f64 v[158:159], v[156:157], v[154:155]
	v_fma_f64 v[138:139], -v[138:139], v[158:159], v[156:157]
	s_nop 1
	v_div_fmas_f64 v[138:139], v[138:139], v[154:155], v[158:159]
	v_div_fixup_f64 v[136:137], v[138:139], v[136:137], 1.0
	v_mul_f64 v[138:139], v[152:153], -v[136:137]
.LBB66_555:
	s_or_b64 exec, exec, s[16:17]
.LBB66_556:
	s_or_b64 exec, exec, s[0:1]
	v_cmp_ne_u32_e32 vcc, v149, v146
	s_and_saveexec_b64 s[0:1], vcc
	s_xor_b64 s[0:1], exec, s[0:1]
	s_cbranch_execz .LBB66_562
; %bb.557:
	v_cmp_eq_u32_e32 vcc, 26, v149
	s_and_saveexec_b64 s[16:17], vcc
	s_cbranch_execz .LBB66_561
; %bb.558:
	v_cmp_ne_u32_e32 vcc, 26, v146
	s_xor_b64 s[18:19], s[14:15], -1
	s_and_b64 s[22:23], s[18:19], vcc
	s_and_saveexec_b64 s[18:19], s[22:23]
	s_cbranch_execz .LBB66_560
; %bb.559:
	v_ashrrev_i32_e32 v147, 31, v146
	v_lshl_add_u64 v[152:153], v[146:147], 2, v[144:145]
	global_load_dword v147, v[152:153], off
	global_load_dword v149, v[144:145], off offset:104
	s_waitcnt vmcnt(1)
	global_store_dword v[144:145], v147, off offset:104
	s_waitcnt vmcnt(1)
	global_store_dword v[152:153], v149, off
.LBB66_560:
	s_or_b64 exec, exec, s[18:19]
	v_mov_b32_e32 v149, v146
	v_mov_b32_e32 v151, v146
.LBB66_561:
	s_or_b64 exec, exec, s[16:17]
.LBB66_562:
	s_andn2_saveexec_b64 s[0:1], s[0:1]
	s_cbranch_execz .LBB66_564
; %bb.563:
	v_mov_b32_e32 v149, 26
	s_waitcnt vmcnt(6)
	ds_write2_b64 v148, v[20:21], v[22:23] offset0:54 offset1:55
	s_waitcnt vmcnt(5)
	ds_write2_b64 v148, v[16:17], v[18:19] offset0:56 offset1:57
	;; [unrolled: 2-line block ×7, first 2 shown]
.LBB66_564:
	s_or_b64 exec, exec, s[0:1]
	v_cmp_lt_i32_e32 vcc, 26, v149
	s_waitcnt lgkmcnt(0)
	s_barrier
	s_and_saveexec_b64 s[0:1], vcc
	s_cbranch_execz .LBB66_566
; %bb.565:
	ds_read2_b64 v[152:155], v148 offset0:54 offset1:55
	v_mul_f64 v[146:147], v[136:137], v[26:27]
	v_fmac_f64_e32 v[146:147], v[138:139], v[24:25]
	v_mul_f64 v[26:27], v[138:139], v[26:27]
	v_fma_f64 v[24:25], v[136:137], v[24:25], -v[26:27]
	ds_read2_b64 v[136:139], v148 offset0:56 offset1:57
	s_waitcnt lgkmcnt(1)
	v_mul_f64 v[26:27], v[154:155], v[146:147]
	v_fma_f64 v[26:27], v[152:153], v[24:25], -v[26:27]
	v_mul_f64 v[152:153], v[152:153], v[146:147]
	v_fmac_f64_e32 v[152:153], v[154:155], v[24:25]
	s_waitcnt vmcnt(6)
	v_add_f64 v[22:23], v[22:23], -v[152:153]
	ds_read2_b64 v[152:155], v148 offset0:58 offset1:59
	v_add_f64 v[20:21], v[20:21], -v[26:27]
	s_waitcnt lgkmcnt(1)
	v_mul_f64 v[26:27], v[138:139], v[146:147]
	v_fma_f64 v[26:27], v[136:137], v[24:25], -v[26:27]
	v_mul_f64 v[136:137], v[136:137], v[146:147]
	v_fmac_f64_e32 v[136:137], v[138:139], v[24:25]
	s_waitcnt vmcnt(5)
	v_add_f64 v[16:17], v[16:17], -v[26:27]
	v_add_f64 v[18:19], v[18:19], -v[136:137]
	ds_read2_b64 v[136:139], v148 offset0:60 offset1:61
	s_waitcnt lgkmcnt(1)
	v_mul_f64 v[26:27], v[154:155], v[146:147]
	v_fma_f64 v[26:27], v[152:153], v[24:25], -v[26:27]
	v_mul_f64 v[152:153], v[152:153], v[146:147]
	v_fmac_f64_e32 v[152:153], v[154:155], v[24:25]
	s_waitcnt vmcnt(4)
	v_add_f64 v[14:15], v[14:15], -v[152:153]
	ds_read2_b64 v[152:155], v148 offset0:62 offset1:63
	v_add_f64 v[12:13], v[12:13], -v[26:27]
	s_waitcnt lgkmcnt(1)
	v_mul_f64 v[26:27], v[138:139], v[146:147]
	v_fma_f64 v[26:27], v[136:137], v[24:25], -v[26:27]
	v_mul_f64 v[136:137], v[136:137], v[146:147]
	v_fmac_f64_e32 v[136:137], v[138:139], v[24:25]
	s_waitcnt vmcnt(3)
	v_add_f64 v[8:9], v[8:9], -v[26:27]
	v_add_f64 v[10:11], v[10:11], -v[136:137]
	;; [unrolled: 18-line block ×3, first 2 shown]
	s_waitcnt lgkmcnt(0)
	v_mul_f64 v[26:27], v[154:155], v[146:147]
	v_mul_f64 v[136:137], v[152:153], v[146:147]
	v_fma_f64 v[26:27], v[152:153], v[24:25], -v[26:27]
	v_fmac_f64_e32 v[136:137], v[154:155], v[24:25]
	s_waitcnt vmcnt(0)
	v_add_f64 v[132:133], v[132:133], -v[26:27]
	v_add_f64 v[134:135], v[134:135], -v[136:137]
	v_mov_b64_e32 v[26:27], v[146:147]
.LBB66_566:
	s_or_b64 exec, exec, s[0:1]
	v_lshl_add_u32 v136, v149, 4, v148
	s_barrier
	s_waitcnt vmcnt(6)
	ds_write2_b64 v136, v[20:21], v[22:23] offset1:1
	s_waitcnt lgkmcnt(0)
	s_barrier
	ds_read2_b64 v[136:139], v148 offset0:54 offset1:55
	s_cmp_lt_i32 s20, 29
	v_mov_b32_e32 v146, 27
	s_cbranch_scc1 .LBB66_569
; %bb.567:
	v_add_u32_e32 v147, 0x1c0, v148
	s_mov_b32 s16, 28
	v_mov_b32_e32 v146, 27
.LBB66_568:                             ; =>This Inner Loop Header: Depth=1
	ds_read2_b64 v[152:155], v147 offset1:1
	s_waitcnt lgkmcnt(1)
	v_xor_b32_e32 v157, 0x80000000, v137
	v_xor_b32_e32 v159, 0x80000000, v139
	v_cmp_gt_f64_e32 vcc, 0, v[138:139]
	v_cmp_gt_f64_e64 s[0:1], 0, v[136:137]
	v_mov_b32_e32 v156, v136
	v_mov_b32_e32 v158, v138
	v_cndmask_b32_e64 v157, v137, v157, s[0:1]
	v_cndmask_b32_e32 v159, v139, v159, vcc
	v_add_f64 v[156:157], v[156:157], v[158:159]
	s_waitcnt lgkmcnt(0)
	v_xor_b32_e32 v159, 0x80000000, v153
	v_xor_b32_e32 v161, 0x80000000, v155
	v_cmp_gt_f64_e32 vcc, 0, v[154:155]
	v_cmp_gt_f64_e64 s[0:1], 0, v[152:153]
	v_mov_b32_e32 v158, v152
	v_mov_b32_e32 v160, v154
	v_cndmask_b32_e64 v159, v153, v159, s[0:1]
	v_cndmask_b32_e32 v161, v155, v161, vcc
	v_add_f64 v[158:159], v[158:159], v[160:161]
	v_mov_b32_e32 v162, s16
	s_add_i32 s16, s16, 1
	v_cmp_lt_f64_e32 vcc, v[156:157], v[158:159]
	v_add_u32_e32 v147, 16, v147
	s_cmp_lg_u32 s20, s16
	v_cndmask_b32_e32 v137, v137, v153, vcc
	v_cndmask_b32_e32 v136, v136, v152, vcc
	v_cndmask_b32_e32 v139, v139, v155, vcc
	v_cndmask_b32_e32 v138, v138, v154, vcc
	v_cndmask_b32_e32 v146, v146, v162, vcc
	s_cbranch_scc1 .LBB66_568
.LBB66_569:
	s_waitcnt lgkmcnt(0)
	v_cmp_eq_f64_e32 vcc, 0, v[136:137]
	v_cmp_eq_f64_e64 s[0:1], 0, v[138:139]
	s_and_b64 s[0:1], vcc, s[0:1]
	s_and_saveexec_b64 s[16:17], s[0:1]
	s_xor_b64 s[0:1], exec, s[16:17]
; %bb.570:
	v_cmp_ne_u32_e32 vcc, 0, v150
	s_nop 1
	v_cndmask_b32_e32 v150, 28, v150, vcc
; %bb.571:
	s_andn2_saveexec_b64 s[0:1], s[0:1]
	s_cbranch_execz .LBB66_577
; %bb.572:
	v_cmp_ngt_f64_e64 s[16:17], |v[136:137]|, |v[138:139]|
	s_and_saveexec_b64 s[18:19], s[16:17]
	s_xor_b64 s[16:17], exec, s[18:19]
	s_cbranch_execz .LBB66_574
; %bb.573:
	v_div_scale_f64 v[152:153], s[18:19], v[138:139], v[138:139], v[136:137]
	v_rcp_f64_e32 v[154:155], v[152:153]
	v_div_scale_f64 v[156:157], vcc, v[136:137], v[138:139], v[136:137]
	v_fma_f64 v[158:159], -v[152:153], v[154:155], 1.0
	v_fmac_f64_e32 v[154:155], v[154:155], v[158:159]
	v_fma_f64 v[158:159], -v[152:153], v[154:155], 1.0
	v_fmac_f64_e32 v[154:155], v[154:155], v[158:159]
	v_mul_f64 v[158:159], v[156:157], v[154:155]
	v_fma_f64 v[152:153], -v[152:153], v[158:159], v[156:157]
	v_div_fmas_f64 v[152:153], v[152:153], v[154:155], v[158:159]
	v_div_fixup_f64 v[152:153], v[152:153], v[138:139], v[136:137]
	v_fmac_f64_e32 v[138:139], v[136:137], v[152:153]
	v_div_scale_f64 v[136:137], s[18:19], v[138:139], v[138:139], 1.0
	v_rcp_f64_e32 v[154:155], v[136:137]
	s_nop 0
	v_fma_f64 v[156:157], -v[136:137], v[154:155], 1.0
	v_fmac_f64_e32 v[154:155], v[154:155], v[156:157]
	v_fma_f64 v[156:157], -v[136:137], v[154:155], 1.0
	v_fmac_f64_e32 v[154:155], v[154:155], v[156:157]
	v_div_scale_f64 v[156:157], vcc, 1.0, v[138:139], 1.0
	v_mul_f64 v[158:159], v[156:157], v[154:155]
	v_fma_f64 v[136:137], -v[136:137], v[158:159], v[156:157]
	s_nop 1
	v_div_fmas_f64 v[136:137], v[136:137], v[154:155], v[158:159]
	v_div_fixup_f64 v[138:139], v[136:137], v[138:139], 1.0
	v_mul_f64 v[136:137], v[152:153], v[138:139]
	v_xor_b32_e32 v139, 0x80000000, v139
.LBB66_574:
	s_andn2_saveexec_b64 s[16:17], s[16:17]
	s_cbranch_execz .LBB66_576
; %bb.575:
	v_div_scale_f64 v[152:153], s[18:19], v[136:137], v[136:137], v[138:139]
	v_rcp_f64_e32 v[154:155], v[152:153]
	v_div_scale_f64 v[156:157], vcc, v[138:139], v[136:137], v[138:139]
	v_fma_f64 v[158:159], -v[152:153], v[154:155], 1.0
	v_fmac_f64_e32 v[154:155], v[154:155], v[158:159]
	v_fma_f64 v[158:159], -v[152:153], v[154:155], 1.0
	v_fmac_f64_e32 v[154:155], v[154:155], v[158:159]
	v_mul_f64 v[158:159], v[156:157], v[154:155]
	v_fma_f64 v[152:153], -v[152:153], v[158:159], v[156:157]
	v_div_fmas_f64 v[152:153], v[152:153], v[154:155], v[158:159]
	v_div_fixup_f64 v[152:153], v[152:153], v[136:137], v[138:139]
	v_fmac_f64_e32 v[136:137], v[138:139], v[152:153]
	v_div_scale_f64 v[138:139], s[18:19], v[136:137], v[136:137], 1.0
	v_rcp_f64_e32 v[154:155], v[138:139]
	s_nop 0
	v_fma_f64 v[156:157], -v[138:139], v[154:155], 1.0
	v_fmac_f64_e32 v[154:155], v[154:155], v[156:157]
	v_fma_f64 v[156:157], -v[138:139], v[154:155], 1.0
	v_fmac_f64_e32 v[154:155], v[154:155], v[156:157]
	v_div_scale_f64 v[156:157], vcc, 1.0, v[136:137], 1.0
	v_mul_f64 v[158:159], v[156:157], v[154:155]
	v_fma_f64 v[138:139], -v[138:139], v[158:159], v[156:157]
	s_nop 1
	v_div_fmas_f64 v[138:139], v[138:139], v[154:155], v[158:159]
	v_div_fixup_f64 v[136:137], v[138:139], v[136:137], 1.0
	v_mul_f64 v[138:139], v[152:153], -v[136:137]
.LBB66_576:
	s_or_b64 exec, exec, s[16:17]
.LBB66_577:
	s_or_b64 exec, exec, s[0:1]
	v_cmp_ne_u32_e32 vcc, v149, v146
	s_and_saveexec_b64 s[0:1], vcc
	s_xor_b64 s[0:1], exec, s[0:1]
	s_cbranch_execz .LBB66_583
; %bb.578:
	v_cmp_eq_u32_e32 vcc, 27, v149
	s_and_saveexec_b64 s[16:17], vcc
	s_cbranch_execz .LBB66_582
; %bb.579:
	v_cmp_ne_u32_e32 vcc, 27, v146
	s_xor_b64 s[18:19], s[14:15], -1
	s_and_b64 s[22:23], s[18:19], vcc
	s_and_saveexec_b64 s[18:19], s[22:23]
	s_cbranch_execz .LBB66_581
; %bb.580:
	v_ashrrev_i32_e32 v147, 31, v146
	v_lshl_add_u64 v[152:153], v[146:147], 2, v[144:145]
	global_load_dword v147, v[152:153], off
	global_load_dword v149, v[144:145], off offset:108
	s_waitcnt vmcnt(1)
	global_store_dword v[144:145], v147, off offset:108
	s_waitcnt vmcnt(1)
	global_store_dword v[152:153], v149, off
.LBB66_581:
	s_or_b64 exec, exec, s[18:19]
	v_mov_b32_e32 v149, v146
	v_mov_b32_e32 v151, v146
.LBB66_582:
	s_or_b64 exec, exec, s[16:17]
.LBB66_583:
	s_andn2_saveexec_b64 s[0:1], s[0:1]
	s_cbranch_execz .LBB66_585
; %bb.584:
	v_mov_b32_e32 v149, 27
	s_waitcnt vmcnt(5)
	ds_write2_b64 v148, v[16:17], v[18:19] offset0:56 offset1:57
	s_waitcnt vmcnt(4)
	ds_write2_b64 v148, v[12:13], v[14:15] offset0:58 offset1:59
	;; [unrolled: 2-line block ×6, first 2 shown]
.LBB66_585:
	s_or_b64 exec, exec, s[0:1]
	v_cmp_lt_i32_e32 vcc, 27, v149
	s_waitcnt lgkmcnt(0)
	s_barrier
	s_and_saveexec_b64 s[0:1], vcc
	s_cbranch_execz .LBB66_587
; %bb.586:
	ds_read2_b64 v[152:155], v148 offset0:56 offset1:57
	v_mul_f64 v[146:147], v[136:137], v[22:23]
	v_mul_f64 v[22:23], v[138:139], v[22:23]
	v_fmac_f64_e32 v[146:147], v[138:139], v[20:21]
	v_fma_f64 v[20:21], v[136:137], v[20:21], -v[22:23]
	ds_read2_b64 v[136:139], v148 offset0:58 offset1:59
	s_waitcnt lgkmcnt(1)
	v_mul_f64 v[22:23], v[154:155], v[146:147]
	v_fma_f64 v[22:23], v[152:153], v[20:21], -v[22:23]
	v_mul_f64 v[152:153], v[152:153], v[146:147]
	v_fmac_f64_e32 v[152:153], v[154:155], v[20:21]
	s_waitcnt vmcnt(5)
	v_add_f64 v[16:17], v[16:17], -v[22:23]
	s_waitcnt lgkmcnt(0)
	v_mul_f64 v[22:23], v[138:139], v[146:147]
	v_add_f64 v[18:19], v[18:19], -v[152:153]
	v_fma_f64 v[22:23], v[136:137], v[20:21], -v[22:23]
	v_mul_f64 v[136:137], v[136:137], v[146:147]
	ds_read2_b64 v[152:155], v148 offset0:60 offset1:61
	v_fmac_f64_e32 v[136:137], v[138:139], v[20:21]
	s_waitcnt vmcnt(4)
	v_add_f64 v[14:15], v[14:15], -v[136:137]
	ds_read2_b64 v[136:139], v148 offset0:62 offset1:63
	v_add_f64 v[12:13], v[12:13], -v[22:23]
	s_waitcnt lgkmcnt(1)
	v_mul_f64 v[22:23], v[154:155], v[146:147]
	v_fma_f64 v[22:23], v[152:153], v[20:21], -v[22:23]
	v_mul_f64 v[152:153], v[152:153], v[146:147]
	v_fmac_f64_e32 v[152:153], v[154:155], v[20:21]
	s_waitcnt vmcnt(3)
	v_add_f64 v[8:9], v[8:9], -v[22:23]
	s_waitcnt lgkmcnt(0)
	v_mul_f64 v[22:23], v[138:139], v[146:147]
	v_add_f64 v[10:11], v[10:11], -v[152:153]
	v_fma_f64 v[22:23], v[136:137], v[20:21], -v[22:23]
	v_mul_f64 v[136:137], v[136:137], v[146:147]
	ds_read2_b64 v[152:155], v148 offset0:64 offset1:65
	v_fmac_f64_e32 v[136:137], v[138:139], v[20:21]
	s_waitcnt vmcnt(2)
	v_add_f64 v[6:7], v[6:7], -v[136:137]
	ds_read2_b64 v[136:139], v148 offset0:66 offset1:67
	v_add_f64 v[4:5], v[4:5], -v[22:23]
	s_waitcnt lgkmcnt(1)
	v_mul_f64 v[22:23], v[154:155], v[146:147]
	v_fma_f64 v[22:23], v[152:153], v[20:21], -v[22:23]
	s_waitcnt vmcnt(1)
	v_add_f64 v[0:1], v[0:1], -v[22:23]
	s_waitcnt lgkmcnt(0)
	v_mul_f64 v[22:23], v[138:139], v[146:147]
	v_mul_f64 v[152:153], v[152:153], v[146:147]
	v_fma_f64 v[22:23], v[136:137], v[20:21], -v[22:23]
	v_mul_f64 v[136:137], v[136:137], v[146:147]
	v_fmac_f64_e32 v[152:153], v[154:155], v[20:21]
	v_fmac_f64_e32 v[136:137], v[138:139], v[20:21]
	v_add_f64 v[2:3], v[2:3], -v[152:153]
	s_waitcnt vmcnt(0)
	v_add_f64 v[132:133], v[132:133], -v[22:23]
	v_add_f64 v[134:135], v[134:135], -v[136:137]
	v_mov_b64_e32 v[22:23], v[146:147]
.LBB66_587:
	s_or_b64 exec, exec, s[0:1]
	v_lshl_add_u32 v136, v149, 4, v148
	s_barrier
	s_waitcnt vmcnt(5)
	ds_write2_b64 v136, v[16:17], v[18:19] offset1:1
	s_waitcnt lgkmcnt(0)
	s_barrier
	ds_read2_b64 v[136:139], v148 offset0:56 offset1:57
	s_cmp_lt_i32 s20, 30
	v_mov_b32_e32 v146, 28
	s_cbranch_scc1 .LBB66_590
; %bb.588:
	v_add_u32_e32 v147, 0x1d0, v148
	s_mov_b32 s16, 29
	v_mov_b32_e32 v146, 28
.LBB66_589:                             ; =>This Inner Loop Header: Depth=1
	ds_read2_b64 v[152:155], v147 offset1:1
	s_waitcnt lgkmcnt(1)
	v_xor_b32_e32 v157, 0x80000000, v137
	v_xor_b32_e32 v159, 0x80000000, v139
	v_cmp_gt_f64_e32 vcc, 0, v[138:139]
	v_cmp_gt_f64_e64 s[0:1], 0, v[136:137]
	v_mov_b32_e32 v156, v136
	v_mov_b32_e32 v158, v138
	v_cndmask_b32_e64 v157, v137, v157, s[0:1]
	v_cndmask_b32_e32 v159, v139, v159, vcc
	v_add_f64 v[156:157], v[156:157], v[158:159]
	s_waitcnt lgkmcnt(0)
	v_xor_b32_e32 v159, 0x80000000, v153
	v_xor_b32_e32 v161, 0x80000000, v155
	v_cmp_gt_f64_e32 vcc, 0, v[154:155]
	v_cmp_gt_f64_e64 s[0:1], 0, v[152:153]
	v_mov_b32_e32 v158, v152
	v_mov_b32_e32 v160, v154
	v_cndmask_b32_e64 v159, v153, v159, s[0:1]
	v_cndmask_b32_e32 v161, v155, v161, vcc
	v_add_f64 v[158:159], v[158:159], v[160:161]
	v_mov_b32_e32 v162, s16
	s_add_i32 s16, s16, 1
	v_cmp_lt_f64_e32 vcc, v[156:157], v[158:159]
	v_add_u32_e32 v147, 16, v147
	s_cmp_lg_u32 s20, s16
	v_cndmask_b32_e32 v137, v137, v153, vcc
	v_cndmask_b32_e32 v136, v136, v152, vcc
	;; [unrolled: 1-line block ×5, first 2 shown]
	s_cbranch_scc1 .LBB66_589
.LBB66_590:
	s_waitcnt lgkmcnt(0)
	v_cmp_eq_f64_e32 vcc, 0, v[136:137]
	v_cmp_eq_f64_e64 s[0:1], 0, v[138:139]
	s_and_b64 s[0:1], vcc, s[0:1]
	s_and_saveexec_b64 s[16:17], s[0:1]
	s_xor_b64 s[0:1], exec, s[16:17]
; %bb.591:
	v_cmp_ne_u32_e32 vcc, 0, v150
	s_nop 1
	v_cndmask_b32_e32 v150, 29, v150, vcc
; %bb.592:
	s_andn2_saveexec_b64 s[0:1], s[0:1]
	s_cbranch_execz .LBB66_598
; %bb.593:
	v_cmp_ngt_f64_e64 s[16:17], |v[136:137]|, |v[138:139]|
	s_and_saveexec_b64 s[18:19], s[16:17]
	s_xor_b64 s[16:17], exec, s[18:19]
	s_cbranch_execz .LBB66_595
; %bb.594:
	v_div_scale_f64 v[152:153], s[18:19], v[138:139], v[138:139], v[136:137]
	v_rcp_f64_e32 v[154:155], v[152:153]
	v_div_scale_f64 v[156:157], vcc, v[136:137], v[138:139], v[136:137]
	v_fma_f64 v[158:159], -v[152:153], v[154:155], 1.0
	v_fmac_f64_e32 v[154:155], v[154:155], v[158:159]
	v_fma_f64 v[158:159], -v[152:153], v[154:155], 1.0
	v_fmac_f64_e32 v[154:155], v[154:155], v[158:159]
	v_mul_f64 v[158:159], v[156:157], v[154:155]
	v_fma_f64 v[152:153], -v[152:153], v[158:159], v[156:157]
	v_div_fmas_f64 v[152:153], v[152:153], v[154:155], v[158:159]
	v_div_fixup_f64 v[152:153], v[152:153], v[138:139], v[136:137]
	v_fmac_f64_e32 v[138:139], v[136:137], v[152:153]
	v_div_scale_f64 v[136:137], s[18:19], v[138:139], v[138:139], 1.0
	v_rcp_f64_e32 v[154:155], v[136:137]
	s_nop 0
	v_fma_f64 v[156:157], -v[136:137], v[154:155], 1.0
	v_fmac_f64_e32 v[154:155], v[154:155], v[156:157]
	v_fma_f64 v[156:157], -v[136:137], v[154:155], 1.0
	v_fmac_f64_e32 v[154:155], v[154:155], v[156:157]
	v_div_scale_f64 v[156:157], vcc, 1.0, v[138:139], 1.0
	v_mul_f64 v[158:159], v[156:157], v[154:155]
	v_fma_f64 v[136:137], -v[136:137], v[158:159], v[156:157]
	s_nop 1
	v_div_fmas_f64 v[136:137], v[136:137], v[154:155], v[158:159]
	v_div_fixup_f64 v[138:139], v[136:137], v[138:139], 1.0
	v_mul_f64 v[136:137], v[152:153], v[138:139]
	v_xor_b32_e32 v139, 0x80000000, v139
.LBB66_595:
	s_andn2_saveexec_b64 s[16:17], s[16:17]
	s_cbranch_execz .LBB66_597
; %bb.596:
	v_div_scale_f64 v[152:153], s[18:19], v[136:137], v[136:137], v[138:139]
	v_rcp_f64_e32 v[154:155], v[152:153]
	v_div_scale_f64 v[156:157], vcc, v[138:139], v[136:137], v[138:139]
	v_fma_f64 v[158:159], -v[152:153], v[154:155], 1.0
	v_fmac_f64_e32 v[154:155], v[154:155], v[158:159]
	v_fma_f64 v[158:159], -v[152:153], v[154:155], 1.0
	v_fmac_f64_e32 v[154:155], v[154:155], v[158:159]
	v_mul_f64 v[158:159], v[156:157], v[154:155]
	v_fma_f64 v[152:153], -v[152:153], v[158:159], v[156:157]
	v_div_fmas_f64 v[152:153], v[152:153], v[154:155], v[158:159]
	v_div_fixup_f64 v[152:153], v[152:153], v[136:137], v[138:139]
	v_fmac_f64_e32 v[136:137], v[138:139], v[152:153]
	v_div_scale_f64 v[138:139], s[18:19], v[136:137], v[136:137], 1.0
	v_rcp_f64_e32 v[154:155], v[138:139]
	s_nop 0
	v_fma_f64 v[156:157], -v[138:139], v[154:155], 1.0
	v_fmac_f64_e32 v[154:155], v[154:155], v[156:157]
	v_fma_f64 v[156:157], -v[138:139], v[154:155], 1.0
	v_fmac_f64_e32 v[154:155], v[154:155], v[156:157]
	v_div_scale_f64 v[156:157], vcc, 1.0, v[136:137], 1.0
	v_mul_f64 v[158:159], v[156:157], v[154:155]
	v_fma_f64 v[138:139], -v[138:139], v[158:159], v[156:157]
	s_nop 1
	v_div_fmas_f64 v[138:139], v[138:139], v[154:155], v[158:159]
	v_div_fixup_f64 v[136:137], v[138:139], v[136:137], 1.0
	v_mul_f64 v[138:139], v[152:153], -v[136:137]
.LBB66_597:
	s_or_b64 exec, exec, s[16:17]
.LBB66_598:
	s_or_b64 exec, exec, s[0:1]
	v_cmp_ne_u32_e32 vcc, v149, v146
	s_and_saveexec_b64 s[0:1], vcc
	s_xor_b64 s[0:1], exec, s[0:1]
	s_cbranch_execz .LBB66_604
; %bb.599:
	v_cmp_eq_u32_e32 vcc, 28, v149
	s_and_saveexec_b64 s[16:17], vcc
	s_cbranch_execz .LBB66_603
; %bb.600:
	v_cmp_ne_u32_e32 vcc, 28, v146
	s_xor_b64 s[18:19], s[14:15], -1
	s_and_b64 s[22:23], s[18:19], vcc
	s_and_saveexec_b64 s[18:19], s[22:23]
	s_cbranch_execz .LBB66_602
; %bb.601:
	v_ashrrev_i32_e32 v147, 31, v146
	v_lshl_add_u64 v[152:153], v[146:147], 2, v[144:145]
	global_load_dword v147, v[152:153], off
	global_load_dword v149, v[144:145], off offset:112
	s_waitcnt vmcnt(1)
	global_store_dword v[144:145], v147, off offset:112
	s_waitcnt vmcnt(1)
	global_store_dword v[152:153], v149, off
.LBB66_602:
	s_or_b64 exec, exec, s[18:19]
	v_mov_b32_e32 v149, v146
	v_mov_b32_e32 v151, v146
.LBB66_603:
	s_or_b64 exec, exec, s[16:17]
.LBB66_604:
	s_andn2_saveexec_b64 s[0:1], s[0:1]
	s_cbranch_execz .LBB66_606
; %bb.605:
	v_mov_b32_e32 v149, 28
	s_waitcnt vmcnt(4)
	ds_write2_b64 v148, v[12:13], v[14:15] offset0:58 offset1:59
	s_waitcnt vmcnt(3)
	ds_write2_b64 v148, v[8:9], v[10:11] offset0:60 offset1:61
	;; [unrolled: 2-line block ×5, first 2 shown]
.LBB66_606:
	s_or_b64 exec, exec, s[0:1]
	v_cmp_lt_i32_e32 vcc, 28, v149
	s_waitcnt lgkmcnt(0)
	s_barrier
	s_and_saveexec_b64 s[0:1], vcc
	s_cbranch_execz .LBB66_608
; %bb.607:
	ds_read2_b64 v[152:155], v148 offset0:58 offset1:59
	v_mul_f64 v[146:147], v[136:137], v[18:19]
	v_fmac_f64_e32 v[146:147], v[138:139], v[16:17]
	v_mul_f64 v[18:19], v[138:139], v[18:19]
	v_fma_f64 v[16:17], v[136:137], v[16:17], -v[18:19]
	ds_read2_b64 v[136:139], v148 offset0:60 offset1:61
	s_waitcnt lgkmcnt(1)
	v_mul_f64 v[18:19], v[154:155], v[146:147]
	v_fma_f64 v[18:19], v[152:153], v[16:17], -v[18:19]
	v_mul_f64 v[152:153], v[152:153], v[146:147]
	v_fmac_f64_e32 v[152:153], v[154:155], v[16:17]
	s_waitcnt vmcnt(4)
	v_add_f64 v[14:15], v[14:15], -v[152:153]
	ds_read2_b64 v[152:155], v148 offset0:62 offset1:63
	v_add_f64 v[12:13], v[12:13], -v[18:19]
	s_waitcnt lgkmcnt(1)
	v_mul_f64 v[18:19], v[138:139], v[146:147]
	v_fma_f64 v[18:19], v[136:137], v[16:17], -v[18:19]
	v_mul_f64 v[136:137], v[136:137], v[146:147]
	v_fmac_f64_e32 v[136:137], v[138:139], v[16:17]
	s_waitcnt vmcnt(3)
	v_add_f64 v[8:9], v[8:9], -v[18:19]
	v_add_f64 v[10:11], v[10:11], -v[136:137]
	ds_read2_b64 v[136:139], v148 offset0:64 offset1:65
	s_waitcnt lgkmcnt(1)
	v_mul_f64 v[18:19], v[154:155], v[146:147]
	v_fma_f64 v[18:19], v[152:153], v[16:17], -v[18:19]
	v_mul_f64 v[152:153], v[152:153], v[146:147]
	v_fmac_f64_e32 v[152:153], v[154:155], v[16:17]
	s_waitcnt vmcnt(2)
	v_add_f64 v[6:7], v[6:7], -v[152:153]
	ds_read2_b64 v[152:155], v148 offset0:66 offset1:67
	v_add_f64 v[4:5], v[4:5], -v[18:19]
	s_waitcnt lgkmcnt(1)
	v_mul_f64 v[18:19], v[138:139], v[146:147]
	v_fma_f64 v[18:19], v[136:137], v[16:17], -v[18:19]
	v_mul_f64 v[136:137], v[136:137], v[146:147]
	v_fmac_f64_e32 v[136:137], v[138:139], v[16:17]
	s_waitcnt vmcnt(1)
	v_add_f64 v[0:1], v[0:1], -v[18:19]
	v_add_f64 v[2:3], v[2:3], -v[136:137]
	s_waitcnt lgkmcnt(0)
	v_mul_f64 v[18:19], v[154:155], v[146:147]
	v_mul_f64 v[136:137], v[152:153], v[146:147]
	v_fma_f64 v[18:19], v[152:153], v[16:17], -v[18:19]
	v_fmac_f64_e32 v[136:137], v[154:155], v[16:17]
	s_waitcnt vmcnt(0)
	v_add_f64 v[132:133], v[132:133], -v[18:19]
	v_add_f64 v[134:135], v[134:135], -v[136:137]
	v_mov_b64_e32 v[18:19], v[146:147]
.LBB66_608:
	s_or_b64 exec, exec, s[0:1]
	v_lshl_add_u32 v136, v149, 4, v148
	s_barrier
	s_waitcnt vmcnt(4)
	ds_write2_b64 v136, v[12:13], v[14:15] offset1:1
	s_waitcnt lgkmcnt(0)
	s_barrier
	ds_read2_b64 v[136:139], v148 offset0:58 offset1:59
	s_cmp_lt_i32 s20, 31
	v_mov_b32_e32 v146, 29
	s_cbranch_scc1 .LBB66_611
; %bb.609:
	v_add_u32_e32 v147, 0x1e0, v148
	s_mov_b32 s16, 30
	v_mov_b32_e32 v146, 29
.LBB66_610:                             ; =>This Inner Loop Header: Depth=1
	ds_read2_b64 v[152:155], v147 offset1:1
	s_waitcnt lgkmcnt(1)
	v_xor_b32_e32 v157, 0x80000000, v137
	v_xor_b32_e32 v159, 0x80000000, v139
	v_cmp_gt_f64_e32 vcc, 0, v[138:139]
	v_cmp_gt_f64_e64 s[0:1], 0, v[136:137]
	v_mov_b32_e32 v156, v136
	v_mov_b32_e32 v158, v138
	v_cndmask_b32_e64 v157, v137, v157, s[0:1]
	v_cndmask_b32_e32 v159, v139, v159, vcc
	v_add_f64 v[156:157], v[156:157], v[158:159]
	s_waitcnt lgkmcnt(0)
	v_xor_b32_e32 v159, 0x80000000, v153
	v_xor_b32_e32 v161, 0x80000000, v155
	v_cmp_gt_f64_e32 vcc, 0, v[154:155]
	v_cmp_gt_f64_e64 s[0:1], 0, v[152:153]
	v_mov_b32_e32 v158, v152
	v_mov_b32_e32 v160, v154
	v_cndmask_b32_e64 v159, v153, v159, s[0:1]
	v_cndmask_b32_e32 v161, v155, v161, vcc
	v_add_f64 v[158:159], v[158:159], v[160:161]
	v_mov_b32_e32 v162, s16
	s_add_i32 s16, s16, 1
	v_cmp_lt_f64_e32 vcc, v[156:157], v[158:159]
	v_add_u32_e32 v147, 16, v147
	s_cmp_lg_u32 s20, s16
	v_cndmask_b32_e32 v137, v137, v153, vcc
	v_cndmask_b32_e32 v136, v136, v152, vcc
	;; [unrolled: 1-line block ×5, first 2 shown]
	s_cbranch_scc1 .LBB66_610
.LBB66_611:
	s_waitcnt lgkmcnt(0)
	v_cmp_eq_f64_e32 vcc, 0, v[136:137]
	v_cmp_eq_f64_e64 s[0:1], 0, v[138:139]
	s_and_b64 s[0:1], vcc, s[0:1]
	s_and_saveexec_b64 s[16:17], s[0:1]
	s_xor_b64 s[0:1], exec, s[16:17]
; %bb.612:
	v_cmp_ne_u32_e32 vcc, 0, v150
	s_nop 1
	v_cndmask_b32_e32 v150, 30, v150, vcc
; %bb.613:
	s_andn2_saveexec_b64 s[0:1], s[0:1]
	s_cbranch_execz .LBB66_619
; %bb.614:
	v_cmp_ngt_f64_e64 s[16:17], |v[136:137]|, |v[138:139]|
	s_and_saveexec_b64 s[18:19], s[16:17]
	s_xor_b64 s[16:17], exec, s[18:19]
	s_cbranch_execz .LBB66_616
; %bb.615:
	v_div_scale_f64 v[152:153], s[18:19], v[138:139], v[138:139], v[136:137]
	v_rcp_f64_e32 v[154:155], v[152:153]
	v_div_scale_f64 v[156:157], vcc, v[136:137], v[138:139], v[136:137]
	v_fma_f64 v[158:159], -v[152:153], v[154:155], 1.0
	v_fmac_f64_e32 v[154:155], v[154:155], v[158:159]
	v_fma_f64 v[158:159], -v[152:153], v[154:155], 1.0
	v_fmac_f64_e32 v[154:155], v[154:155], v[158:159]
	v_mul_f64 v[158:159], v[156:157], v[154:155]
	v_fma_f64 v[152:153], -v[152:153], v[158:159], v[156:157]
	v_div_fmas_f64 v[152:153], v[152:153], v[154:155], v[158:159]
	v_div_fixup_f64 v[152:153], v[152:153], v[138:139], v[136:137]
	v_fmac_f64_e32 v[138:139], v[136:137], v[152:153]
	v_div_scale_f64 v[136:137], s[18:19], v[138:139], v[138:139], 1.0
	v_rcp_f64_e32 v[154:155], v[136:137]
	s_nop 0
	v_fma_f64 v[156:157], -v[136:137], v[154:155], 1.0
	v_fmac_f64_e32 v[154:155], v[154:155], v[156:157]
	v_fma_f64 v[156:157], -v[136:137], v[154:155], 1.0
	v_fmac_f64_e32 v[154:155], v[154:155], v[156:157]
	v_div_scale_f64 v[156:157], vcc, 1.0, v[138:139], 1.0
	v_mul_f64 v[158:159], v[156:157], v[154:155]
	v_fma_f64 v[136:137], -v[136:137], v[158:159], v[156:157]
	s_nop 1
	v_div_fmas_f64 v[136:137], v[136:137], v[154:155], v[158:159]
	v_div_fixup_f64 v[138:139], v[136:137], v[138:139], 1.0
	v_mul_f64 v[136:137], v[152:153], v[138:139]
	v_xor_b32_e32 v139, 0x80000000, v139
.LBB66_616:
	s_andn2_saveexec_b64 s[16:17], s[16:17]
	s_cbranch_execz .LBB66_618
; %bb.617:
	v_div_scale_f64 v[152:153], s[18:19], v[136:137], v[136:137], v[138:139]
	v_rcp_f64_e32 v[154:155], v[152:153]
	v_div_scale_f64 v[156:157], vcc, v[138:139], v[136:137], v[138:139]
	v_fma_f64 v[158:159], -v[152:153], v[154:155], 1.0
	v_fmac_f64_e32 v[154:155], v[154:155], v[158:159]
	v_fma_f64 v[158:159], -v[152:153], v[154:155], 1.0
	v_fmac_f64_e32 v[154:155], v[154:155], v[158:159]
	v_mul_f64 v[158:159], v[156:157], v[154:155]
	v_fma_f64 v[152:153], -v[152:153], v[158:159], v[156:157]
	v_div_fmas_f64 v[152:153], v[152:153], v[154:155], v[158:159]
	v_div_fixup_f64 v[152:153], v[152:153], v[136:137], v[138:139]
	v_fmac_f64_e32 v[136:137], v[138:139], v[152:153]
	v_div_scale_f64 v[138:139], s[18:19], v[136:137], v[136:137], 1.0
	v_rcp_f64_e32 v[154:155], v[138:139]
	s_nop 0
	v_fma_f64 v[156:157], -v[138:139], v[154:155], 1.0
	v_fmac_f64_e32 v[154:155], v[154:155], v[156:157]
	v_fma_f64 v[156:157], -v[138:139], v[154:155], 1.0
	v_fmac_f64_e32 v[154:155], v[154:155], v[156:157]
	v_div_scale_f64 v[156:157], vcc, 1.0, v[136:137], 1.0
	v_mul_f64 v[158:159], v[156:157], v[154:155]
	v_fma_f64 v[138:139], -v[138:139], v[158:159], v[156:157]
	s_nop 1
	v_div_fmas_f64 v[138:139], v[138:139], v[154:155], v[158:159]
	v_div_fixup_f64 v[136:137], v[138:139], v[136:137], 1.0
	v_mul_f64 v[138:139], v[152:153], -v[136:137]
.LBB66_618:
	s_or_b64 exec, exec, s[16:17]
.LBB66_619:
	s_or_b64 exec, exec, s[0:1]
	v_cmp_ne_u32_e32 vcc, v149, v146
	s_and_saveexec_b64 s[0:1], vcc
	s_xor_b64 s[0:1], exec, s[0:1]
	s_cbranch_execz .LBB66_625
; %bb.620:
	v_cmp_eq_u32_e32 vcc, 29, v149
	s_and_saveexec_b64 s[16:17], vcc
	s_cbranch_execz .LBB66_624
; %bb.621:
	v_cmp_ne_u32_e32 vcc, 29, v146
	s_xor_b64 s[18:19], s[14:15], -1
	s_and_b64 s[22:23], s[18:19], vcc
	s_and_saveexec_b64 s[18:19], s[22:23]
	s_cbranch_execz .LBB66_623
; %bb.622:
	v_ashrrev_i32_e32 v147, 31, v146
	v_lshl_add_u64 v[152:153], v[146:147], 2, v[144:145]
	global_load_dword v147, v[152:153], off
	global_load_dword v149, v[144:145], off offset:116
	s_waitcnt vmcnt(1)
	global_store_dword v[144:145], v147, off offset:116
	s_waitcnt vmcnt(1)
	global_store_dword v[152:153], v149, off
.LBB66_623:
	s_or_b64 exec, exec, s[18:19]
	v_mov_b32_e32 v149, v146
	v_mov_b32_e32 v151, v146
.LBB66_624:
	s_or_b64 exec, exec, s[16:17]
.LBB66_625:
	s_andn2_saveexec_b64 s[0:1], s[0:1]
	s_cbranch_execz .LBB66_627
; %bb.626:
	v_mov_b32_e32 v149, 29
	s_waitcnt vmcnt(3)
	ds_write2_b64 v148, v[8:9], v[10:11] offset0:60 offset1:61
	s_waitcnt vmcnt(2)
	ds_write2_b64 v148, v[4:5], v[6:7] offset0:62 offset1:63
	;; [unrolled: 2-line block ×4, first 2 shown]
.LBB66_627:
	s_or_b64 exec, exec, s[0:1]
	v_cmp_lt_i32_e32 vcc, 29, v149
	s_waitcnt lgkmcnt(0)
	s_barrier
	s_and_saveexec_b64 s[0:1], vcc
	s_cbranch_execz .LBB66_629
; %bb.628:
	ds_read2_b64 v[152:155], v148 offset0:60 offset1:61
	v_mul_f64 v[146:147], v[136:137], v[14:15]
	v_mul_f64 v[14:15], v[138:139], v[14:15]
	v_fmac_f64_e32 v[146:147], v[138:139], v[12:13]
	v_fma_f64 v[12:13], v[136:137], v[12:13], -v[14:15]
	ds_read2_b64 v[136:139], v148 offset0:62 offset1:63
	s_waitcnt lgkmcnt(1)
	v_mul_f64 v[14:15], v[154:155], v[146:147]
	v_fma_f64 v[14:15], v[152:153], v[12:13], -v[14:15]
	v_mul_f64 v[152:153], v[152:153], v[146:147]
	v_fmac_f64_e32 v[152:153], v[154:155], v[12:13]
	s_waitcnt vmcnt(3)
	v_add_f64 v[8:9], v[8:9], -v[14:15]
	s_waitcnt lgkmcnt(0)
	v_mul_f64 v[14:15], v[138:139], v[146:147]
	v_add_f64 v[10:11], v[10:11], -v[152:153]
	v_fma_f64 v[14:15], v[136:137], v[12:13], -v[14:15]
	v_mul_f64 v[136:137], v[136:137], v[146:147]
	ds_read2_b64 v[152:155], v148 offset0:64 offset1:65
	v_fmac_f64_e32 v[136:137], v[138:139], v[12:13]
	s_waitcnt vmcnt(2)
	v_add_f64 v[6:7], v[6:7], -v[136:137]
	ds_read2_b64 v[136:139], v148 offset0:66 offset1:67
	v_add_f64 v[4:5], v[4:5], -v[14:15]
	s_waitcnt lgkmcnt(1)
	v_mul_f64 v[14:15], v[154:155], v[146:147]
	v_fma_f64 v[14:15], v[152:153], v[12:13], -v[14:15]
	s_waitcnt vmcnt(1)
	v_add_f64 v[0:1], v[0:1], -v[14:15]
	s_waitcnt lgkmcnt(0)
	v_mul_f64 v[14:15], v[138:139], v[146:147]
	v_mul_f64 v[152:153], v[152:153], v[146:147]
	v_fma_f64 v[14:15], v[136:137], v[12:13], -v[14:15]
	v_mul_f64 v[136:137], v[136:137], v[146:147]
	v_fmac_f64_e32 v[152:153], v[154:155], v[12:13]
	v_fmac_f64_e32 v[136:137], v[138:139], v[12:13]
	v_add_f64 v[2:3], v[2:3], -v[152:153]
	s_waitcnt vmcnt(0)
	v_add_f64 v[132:133], v[132:133], -v[14:15]
	v_add_f64 v[134:135], v[134:135], -v[136:137]
	v_mov_b64_e32 v[14:15], v[146:147]
.LBB66_629:
	s_or_b64 exec, exec, s[0:1]
	v_lshl_add_u32 v136, v149, 4, v148
	s_barrier
	s_waitcnt vmcnt(3)
	ds_write2_b64 v136, v[8:9], v[10:11] offset1:1
	s_waitcnt lgkmcnt(0)
	s_barrier
	ds_read2_b64 v[136:139], v148 offset0:60 offset1:61
	s_cmp_lt_i32 s20, 32
	v_mov_b32_e32 v146, 30
	s_cbranch_scc1 .LBB66_632
; %bb.630:
	v_add_u32_e32 v147, 0x1f0, v148
	s_mov_b32 s16, 31
	v_mov_b32_e32 v146, 30
.LBB66_631:                             ; =>This Inner Loop Header: Depth=1
	ds_read2_b64 v[152:155], v147 offset1:1
	s_waitcnt lgkmcnt(1)
	v_xor_b32_e32 v157, 0x80000000, v137
	v_xor_b32_e32 v159, 0x80000000, v139
	v_cmp_gt_f64_e32 vcc, 0, v[138:139]
	v_cmp_gt_f64_e64 s[0:1], 0, v[136:137]
	v_mov_b32_e32 v156, v136
	v_mov_b32_e32 v158, v138
	v_cndmask_b32_e64 v157, v137, v157, s[0:1]
	v_cndmask_b32_e32 v159, v139, v159, vcc
	v_add_f64 v[156:157], v[156:157], v[158:159]
	s_waitcnt lgkmcnt(0)
	v_xor_b32_e32 v159, 0x80000000, v153
	v_xor_b32_e32 v161, 0x80000000, v155
	v_cmp_gt_f64_e32 vcc, 0, v[154:155]
	v_cmp_gt_f64_e64 s[0:1], 0, v[152:153]
	v_mov_b32_e32 v158, v152
	v_mov_b32_e32 v160, v154
	v_cndmask_b32_e64 v159, v153, v159, s[0:1]
	v_cndmask_b32_e32 v161, v155, v161, vcc
	v_add_f64 v[158:159], v[158:159], v[160:161]
	v_mov_b32_e32 v162, s16
	s_add_i32 s16, s16, 1
	v_cmp_lt_f64_e32 vcc, v[156:157], v[158:159]
	v_add_u32_e32 v147, 16, v147
	s_cmp_lg_u32 s20, s16
	v_cndmask_b32_e32 v137, v137, v153, vcc
	v_cndmask_b32_e32 v136, v136, v152, vcc
	;; [unrolled: 1-line block ×5, first 2 shown]
	s_cbranch_scc1 .LBB66_631
.LBB66_632:
	s_waitcnt lgkmcnt(0)
	v_cmp_eq_f64_e32 vcc, 0, v[136:137]
	v_cmp_eq_f64_e64 s[0:1], 0, v[138:139]
	s_and_b64 s[0:1], vcc, s[0:1]
	s_and_saveexec_b64 s[16:17], s[0:1]
	s_xor_b64 s[0:1], exec, s[16:17]
; %bb.633:
	v_cmp_ne_u32_e32 vcc, 0, v150
	s_nop 1
	v_cndmask_b32_e32 v150, 31, v150, vcc
; %bb.634:
	s_andn2_saveexec_b64 s[0:1], s[0:1]
	s_cbranch_execz .LBB66_640
; %bb.635:
	v_cmp_ngt_f64_e64 s[16:17], |v[136:137]|, |v[138:139]|
	s_and_saveexec_b64 s[18:19], s[16:17]
	s_xor_b64 s[16:17], exec, s[18:19]
	s_cbranch_execz .LBB66_637
; %bb.636:
	v_div_scale_f64 v[152:153], s[18:19], v[138:139], v[138:139], v[136:137]
	v_rcp_f64_e32 v[154:155], v[152:153]
	v_div_scale_f64 v[156:157], vcc, v[136:137], v[138:139], v[136:137]
	v_fma_f64 v[158:159], -v[152:153], v[154:155], 1.0
	v_fmac_f64_e32 v[154:155], v[154:155], v[158:159]
	v_fma_f64 v[158:159], -v[152:153], v[154:155], 1.0
	v_fmac_f64_e32 v[154:155], v[154:155], v[158:159]
	v_mul_f64 v[158:159], v[156:157], v[154:155]
	v_fma_f64 v[152:153], -v[152:153], v[158:159], v[156:157]
	v_div_fmas_f64 v[152:153], v[152:153], v[154:155], v[158:159]
	v_div_fixup_f64 v[152:153], v[152:153], v[138:139], v[136:137]
	v_fmac_f64_e32 v[138:139], v[136:137], v[152:153]
	v_div_scale_f64 v[136:137], s[18:19], v[138:139], v[138:139], 1.0
	v_rcp_f64_e32 v[154:155], v[136:137]
	s_nop 0
	v_fma_f64 v[156:157], -v[136:137], v[154:155], 1.0
	v_fmac_f64_e32 v[154:155], v[154:155], v[156:157]
	v_fma_f64 v[156:157], -v[136:137], v[154:155], 1.0
	v_fmac_f64_e32 v[154:155], v[154:155], v[156:157]
	v_div_scale_f64 v[156:157], vcc, 1.0, v[138:139], 1.0
	v_mul_f64 v[158:159], v[156:157], v[154:155]
	v_fma_f64 v[136:137], -v[136:137], v[158:159], v[156:157]
	s_nop 1
	v_div_fmas_f64 v[136:137], v[136:137], v[154:155], v[158:159]
	v_div_fixup_f64 v[138:139], v[136:137], v[138:139], 1.0
	v_mul_f64 v[136:137], v[152:153], v[138:139]
	v_xor_b32_e32 v139, 0x80000000, v139
.LBB66_637:
	s_andn2_saveexec_b64 s[16:17], s[16:17]
	s_cbranch_execz .LBB66_639
; %bb.638:
	v_div_scale_f64 v[152:153], s[18:19], v[136:137], v[136:137], v[138:139]
	v_rcp_f64_e32 v[154:155], v[152:153]
	v_div_scale_f64 v[156:157], vcc, v[138:139], v[136:137], v[138:139]
	v_fma_f64 v[158:159], -v[152:153], v[154:155], 1.0
	v_fmac_f64_e32 v[154:155], v[154:155], v[158:159]
	v_fma_f64 v[158:159], -v[152:153], v[154:155], 1.0
	v_fmac_f64_e32 v[154:155], v[154:155], v[158:159]
	v_mul_f64 v[158:159], v[156:157], v[154:155]
	v_fma_f64 v[152:153], -v[152:153], v[158:159], v[156:157]
	v_div_fmas_f64 v[152:153], v[152:153], v[154:155], v[158:159]
	v_div_fixup_f64 v[152:153], v[152:153], v[136:137], v[138:139]
	v_fmac_f64_e32 v[136:137], v[138:139], v[152:153]
	v_div_scale_f64 v[138:139], s[18:19], v[136:137], v[136:137], 1.0
	v_rcp_f64_e32 v[154:155], v[138:139]
	s_nop 0
	v_fma_f64 v[156:157], -v[138:139], v[154:155], 1.0
	v_fmac_f64_e32 v[154:155], v[154:155], v[156:157]
	v_fma_f64 v[156:157], -v[138:139], v[154:155], 1.0
	v_fmac_f64_e32 v[154:155], v[154:155], v[156:157]
	v_div_scale_f64 v[156:157], vcc, 1.0, v[136:137], 1.0
	v_mul_f64 v[158:159], v[156:157], v[154:155]
	v_fma_f64 v[138:139], -v[138:139], v[158:159], v[156:157]
	s_nop 1
	v_div_fmas_f64 v[138:139], v[138:139], v[154:155], v[158:159]
	v_div_fixup_f64 v[136:137], v[138:139], v[136:137], 1.0
	v_mul_f64 v[138:139], v[152:153], -v[136:137]
.LBB66_639:
	s_or_b64 exec, exec, s[16:17]
.LBB66_640:
	s_or_b64 exec, exec, s[0:1]
	v_cmp_ne_u32_e32 vcc, v149, v146
	s_and_saveexec_b64 s[0:1], vcc
	s_xor_b64 s[0:1], exec, s[0:1]
	s_cbranch_execz .LBB66_646
; %bb.641:
	v_cmp_eq_u32_e32 vcc, 30, v149
	s_and_saveexec_b64 s[16:17], vcc
	s_cbranch_execz .LBB66_645
; %bb.642:
	v_cmp_ne_u32_e32 vcc, 30, v146
	s_xor_b64 s[18:19], s[14:15], -1
	s_and_b64 s[22:23], s[18:19], vcc
	s_and_saveexec_b64 s[18:19], s[22:23]
	s_cbranch_execz .LBB66_644
; %bb.643:
	v_ashrrev_i32_e32 v147, 31, v146
	v_lshl_add_u64 v[152:153], v[146:147], 2, v[144:145]
	global_load_dword v147, v[152:153], off
	global_load_dword v149, v[144:145], off offset:120
	s_waitcnt vmcnt(1)
	global_store_dword v[144:145], v147, off offset:120
	s_waitcnt vmcnt(1)
	global_store_dword v[152:153], v149, off
.LBB66_644:
	s_or_b64 exec, exec, s[18:19]
	v_mov_b32_e32 v149, v146
	v_mov_b32_e32 v151, v146
.LBB66_645:
	s_or_b64 exec, exec, s[16:17]
.LBB66_646:
	s_andn2_saveexec_b64 s[0:1], s[0:1]
	s_cbranch_execz .LBB66_648
; %bb.647:
	v_mov_b32_e32 v149, 30
	s_waitcnt vmcnt(2)
	ds_write2_b64 v148, v[4:5], v[6:7] offset0:62 offset1:63
	s_waitcnt vmcnt(1)
	ds_write2_b64 v148, v[0:1], v[2:3] offset0:64 offset1:65
	;; [unrolled: 2-line block ×3, first 2 shown]
.LBB66_648:
	s_or_b64 exec, exec, s[0:1]
	v_cmp_lt_i32_e32 vcc, 30, v149
	s_waitcnt lgkmcnt(0)
	s_barrier
	s_and_saveexec_b64 s[0:1], vcc
	s_cbranch_execz .LBB66_650
; %bb.649:
	ds_read2_b64 v[152:155], v148 offset0:62 offset1:63
	v_mul_f64 v[146:147], v[136:137], v[10:11]
	v_fmac_f64_e32 v[146:147], v[138:139], v[8:9]
	v_mul_f64 v[10:11], v[138:139], v[10:11]
	v_fma_f64 v[8:9], v[136:137], v[8:9], -v[10:11]
	ds_read2_b64 v[136:139], v148 offset0:64 offset1:65
	s_waitcnt lgkmcnt(1)
	v_mul_f64 v[10:11], v[154:155], v[146:147]
	v_fma_f64 v[10:11], v[152:153], v[8:9], -v[10:11]
	v_mul_f64 v[152:153], v[152:153], v[146:147]
	v_fmac_f64_e32 v[152:153], v[154:155], v[8:9]
	s_waitcnt vmcnt(2)
	v_add_f64 v[6:7], v[6:7], -v[152:153]
	ds_read2_b64 v[152:155], v148 offset0:66 offset1:67
	v_add_f64 v[4:5], v[4:5], -v[10:11]
	s_waitcnt lgkmcnt(1)
	v_mul_f64 v[10:11], v[138:139], v[146:147]
	v_fma_f64 v[10:11], v[136:137], v[8:9], -v[10:11]
	v_mul_f64 v[136:137], v[136:137], v[146:147]
	v_fmac_f64_e32 v[136:137], v[138:139], v[8:9]
	s_waitcnt vmcnt(1)
	v_add_f64 v[0:1], v[0:1], -v[10:11]
	v_add_f64 v[2:3], v[2:3], -v[136:137]
	s_waitcnt lgkmcnt(0)
	v_mul_f64 v[10:11], v[154:155], v[146:147]
	v_mul_f64 v[136:137], v[152:153], v[146:147]
	v_fma_f64 v[10:11], v[152:153], v[8:9], -v[10:11]
	v_fmac_f64_e32 v[136:137], v[154:155], v[8:9]
	s_waitcnt vmcnt(0)
	v_add_f64 v[132:133], v[132:133], -v[10:11]
	v_add_f64 v[134:135], v[134:135], -v[136:137]
	v_mov_b64_e32 v[10:11], v[146:147]
.LBB66_650:
	s_or_b64 exec, exec, s[0:1]
	v_lshl_add_u32 v136, v149, 4, v148
	s_barrier
	s_waitcnt vmcnt(2)
	ds_write2_b64 v136, v[4:5], v[6:7] offset1:1
	s_waitcnt lgkmcnt(0)
	s_barrier
	ds_read2_b64 v[136:139], v148 offset0:62 offset1:63
	s_cmp_lt_i32 s20, 33
	v_mov_b32_e32 v146, 31
	s_cbranch_scc1 .LBB66_653
; %bb.651:
	v_add_u32_e32 v147, 0x200, v148
	s_mov_b32 s16, 32
	v_mov_b32_e32 v146, 31
.LBB66_652:                             ; =>This Inner Loop Header: Depth=1
	ds_read2_b64 v[152:155], v147 offset1:1
	s_waitcnt lgkmcnt(1)
	v_xor_b32_e32 v157, 0x80000000, v137
	v_xor_b32_e32 v159, 0x80000000, v139
	v_cmp_gt_f64_e32 vcc, 0, v[138:139]
	v_cmp_gt_f64_e64 s[0:1], 0, v[136:137]
	v_mov_b32_e32 v156, v136
	v_mov_b32_e32 v158, v138
	v_cndmask_b32_e64 v157, v137, v157, s[0:1]
	v_cndmask_b32_e32 v159, v139, v159, vcc
	v_add_f64 v[156:157], v[156:157], v[158:159]
	s_waitcnt lgkmcnt(0)
	v_xor_b32_e32 v159, 0x80000000, v153
	v_xor_b32_e32 v161, 0x80000000, v155
	v_cmp_gt_f64_e32 vcc, 0, v[154:155]
	v_cmp_gt_f64_e64 s[0:1], 0, v[152:153]
	v_mov_b32_e32 v158, v152
	v_mov_b32_e32 v160, v154
	v_cndmask_b32_e64 v159, v153, v159, s[0:1]
	v_cndmask_b32_e32 v161, v155, v161, vcc
	v_add_f64 v[158:159], v[158:159], v[160:161]
	v_mov_b32_e32 v162, s16
	s_add_i32 s16, s16, 1
	v_cmp_lt_f64_e32 vcc, v[156:157], v[158:159]
	v_add_u32_e32 v147, 16, v147
	s_cmp_lg_u32 s20, s16
	v_cndmask_b32_e32 v137, v137, v153, vcc
	v_cndmask_b32_e32 v136, v136, v152, vcc
	;; [unrolled: 1-line block ×5, first 2 shown]
	s_cbranch_scc1 .LBB66_652
.LBB66_653:
	s_waitcnt lgkmcnt(0)
	v_cmp_eq_f64_e32 vcc, 0, v[136:137]
	v_cmp_eq_f64_e64 s[0:1], 0, v[138:139]
	s_and_b64 s[0:1], vcc, s[0:1]
	s_and_saveexec_b64 s[16:17], s[0:1]
	s_xor_b64 s[0:1], exec, s[16:17]
; %bb.654:
	v_cmp_ne_u32_e32 vcc, 0, v150
	s_nop 1
	v_cndmask_b32_e32 v150, 32, v150, vcc
; %bb.655:
	s_andn2_saveexec_b64 s[0:1], s[0:1]
	s_cbranch_execz .LBB66_661
; %bb.656:
	v_cmp_ngt_f64_e64 s[16:17], |v[136:137]|, |v[138:139]|
	s_and_saveexec_b64 s[18:19], s[16:17]
	s_xor_b64 s[16:17], exec, s[18:19]
	s_cbranch_execz .LBB66_658
; %bb.657:
	v_div_scale_f64 v[152:153], s[18:19], v[138:139], v[138:139], v[136:137]
	v_rcp_f64_e32 v[154:155], v[152:153]
	v_div_scale_f64 v[156:157], vcc, v[136:137], v[138:139], v[136:137]
	v_fma_f64 v[158:159], -v[152:153], v[154:155], 1.0
	v_fmac_f64_e32 v[154:155], v[154:155], v[158:159]
	v_fma_f64 v[158:159], -v[152:153], v[154:155], 1.0
	v_fmac_f64_e32 v[154:155], v[154:155], v[158:159]
	v_mul_f64 v[158:159], v[156:157], v[154:155]
	v_fma_f64 v[152:153], -v[152:153], v[158:159], v[156:157]
	v_div_fmas_f64 v[152:153], v[152:153], v[154:155], v[158:159]
	v_div_fixup_f64 v[152:153], v[152:153], v[138:139], v[136:137]
	v_fmac_f64_e32 v[138:139], v[136:137], v[152:153]
	v_div_scale_f64 v[136:137], s[18:19], v[138:139], v[138:139], 1.0
	v_rcp_f64_e32 v[154:155], v[136:137]
	s_nop 0
	v_fma_f64 v[156:157], -v[136:137], v[154:155], 1.0
	v_fmac_f64_e32 v[154:155], v[154:155], v[156:157]
	v_fma_f64 v[156:157], -v[136:137], v[154:155], 1.0
	v_fmac_f64_e32 v[154:155], v[154:155], v[156:157]
	v_div_scale_f64 v[156:157], vcc, 1.0, v[138:139], 1.0
	v_mul_f64 v[158:159], v[156:157], v[154:155]
	v_fma_f64 v[136:137], -v[136:137], v[158:159], v[156:157]
	s_nop 1
	v_div_fmas_f64 v[136:137], v[136:137], v[154:155], v[158:159]
	v_div_fixup_f64 v[138:139], v[136:137], v[138:139], 1.0
	v_mul_f64 v[136:137], v[152:153], v[138:139]
	v_xor_b32_e32 v139, 0x80000000, v139
.LBB66_658:
	s_andn2_saveexec_b64 s[16:17], s[16:17]
	s_cbranch_execz .LBB66_660
; %bb.659:
	v_div_scale_f64 v[152:153], s[18:19], v[136:137], v[136:137], v[138:139]
	v_rcp_f64_e32 v[154:155], v[152:153]
	v_div_scale_f64 v[156:157], vcc, v[138:139], v[136:137], v[138:139]
	v_fma_f64 v[158:159], -v[152:153], v[154:155], 1.0
	v_fmac_f64_e32 v[154:155], v[154:155], v[158:159]
	v_fma_f64 v[158:159], -v[152:153], v[154:155], 1.0
	v_fmac_f64_e32 v[154:155], v[154:155], v[158:159]
	v_mul_f64 v[158:159], v[156:157], v[154:155]
	v_fma_f64 v[152:153], -v[152:153], v[158:159], v[156:157]
	v_div_fmas_f64 v[152:153], v[152:153], v[154:155], v[158:159]
	v_div_fixup_f64 v[152:153], v[152:153], v[136:137], v[138:139]
	v_fmac_f64_e32 v[136:137], v[138:139], v[152:153]
	v_div_scale_f64 v[138:139], s[18:19], v[136:137], v[136:137], 1.0
	v_rcp_f64_e32 v[154:155], v[138:139]
	s_nop 0
	v_fma_f64 v[156:157], -v[138:139], v[154:155], 1.0
	v_fmac_f64_e32 v[154:155], v[154:155], v[156:157]
	v_fma_f64 v[156:157], -v[138:139], v[154:155], 1.0
	v_fmac_f64_e32 v[154:155], v[154:155], v[156:157]
	v_div_scale_f64 v[156:157], vcc, 1.0, v[136:137], 1.0
	v_mul_f64 v[158:159], v[156:157], v[154:155]
	v_fma_f64 v[138:139], -v[138:139], v[158:159], v[156:157]
	s_nop 1
	v_div_fmas_f64 v[138:139], v[138:139], v[154:155], v[158:159]
	v_div_fixup_f64 v[136:137], v[138:139], v[136:137], 1.0
	v_mul_f64 v[138:139], v[152:153], -v[136:137]
.LBB66_660:
	s_or_b64 exec, exec, s[16:17]
.LBB66_661:
	s_or_b64 exec, exec, s[0:1]
	v_cmp_ne_u32_e32 vcc, v149, v146
	s_and_saveexec_b64 s[0:1], vcc
	s_xor_b64 s[0:1], exec, s[0:1]
	s_cbranch_execz .LBB66_667
; %bb.662:
	v_cmp_eq_u32_e32 vcc, 31, v149
	s_and_saveexec_b64 s[16:17], vcc
	s_cbranch_execz .LBB66_666
; %bb.663:
	v_cmp_ne_u32_e32 vcc, 31, v146
	s_xor_b64 s[18:19], s[14:15], -1
	s_and_b64 s[22:23], s[18:19], vcc
	s_and_saveexec_b64 s[18:19], s[22:23]
	s_cbranch_execz .LBB66_665
; %bb.664:
	v_ashrrev_i32_e32 v147, 31, v146
	v_lshl_add_u64 v[152:153], v[146:147], 2, v[144:145]
	global_load_dword v147, v[152:153], off
	global_load_dword v149, v[144:145], off offset:124
	s_waitcnt vmcnt(1)
	global_store_dword v[144:145], v147, off offset:124
	s_waitcnt vmcnt(1)
	global_store_dword v[152:153], v149, off
.LBB66_665:
	s_or_b64 exec, exec, s[18:19]
	v_mov_b32_e32 v149, v146
	v_mov_b32_e32 v151, v146
.LBB66_666:
	s_or_b64 exec, exec, s[16:17]
.LBB66_667:
	s_andn2_saveexec_b64 s[0:1], s[0:1]
	s_cbranch_execz .LBB66_669
; %bb.668:
	v_mov_b32_e32 v149, 31
	s_waitcnt vmcnt(1)
	ds_write2_b64 v148, v[0:1], v[2:3] offset0:64 offset1:65
	s_waitcnt vmcnt(0)
	ds_write2_b64 v148, v[132:133], v[134:135] offset0:66 offset1:67
.LBB66_669:
	s_or_b64 exec, exec, s[0:1]
	v_cmp_lt_i32_e32 vcc, 31, v149
	s_waitcnt lgkmcnt(0)
	s_barrier
	s_and_saveexec_b64 s[0:1], vcc
	s_cbranch_execz .LBB66_671
; %bb.670:
	ds_read2_b64 v[152:155], v148 offset0:64 offset1:65
	v_mul_f64 v[146:147], v[136:137], v[6:7]
	v_mul_f64 v[6:7], v[138:139], v[6:7]
	v_fmac_f64_e32 v[146:147], v[138:139], v[4:5]
	v_fma_f64 v[4:5], v[136:137], v[4:5], -v[6:7]
	ds_read2_b64 v[136:139], v148 offset0:66 offset1:67
	s_waitcnt lgkmcnt(1)
	v_mul_f64 v[6:7], v[154:155], v[146:147]
	v_fma_f64 v[6:7], v[152:153], v[4:5], -v[6:7]
	s_waitcnt vmcnt(1)
	v_add_f64 v[0:1], v[0:1], -v[6:7]
	v_mul_f64 v[152:153], v[152:153], v[146:147]
	s_waitcnt lgkmcnt(0)
	v_mul_f64 v[6:7], v[138:139], v[146:147]
	v_fma_f64 v[6:7], v[136:137], v[4:5], -v[6:7]
	v_mul_f64 v[136:137], v[136:137], v[146:147]
	v_fmac_f64_e32 v[152:153], v[154:155], v[4:5]
	v_fmac_f64_e32 v[136:137], v[138:139], v[4:5]
	v_add_f64 v[2:3], v[2:3], -v[152:153]
	s_waitcnt vmcnt(0)
	v_add_f64 v[132:133], v[132:133], -v[6:7]
	v_add_f64 v[134:135], v[134:135], -v[136:137]
	v_mov_b64_e32 v[6:7], v[146:147]
.LBB66_671:
	s_or_b64 exec, exec, s[0:1]
	v_lshl_add_u32 v136, v149, 4, v148
	s_barrier
	s_waitcnt vmcnt(1)
	ds_write2_b64 v136, v[0:1], v[2:3] offset1:1
	s_waitcnt lgkmcnt(0)
	s_barrier
	ds_read2_b64 v[136:139], v148 offset0:64 offset1:65
	s_cmp_lt_i32 s20, 34
	v_mov_b32_e32 v146, 32
	s_cbranch_scc1 .LBB66_674
; %bb.672:
	v_add_u32_e32 v147, 0x210, v148
	s_mov_b32 s16, 33
	v_mov_b32_e32 v146, 32
.LBB66_673:                             ; =>This Inner Loop Header: Depth=1
	ds_read2_b64 v[152:155], v147 offset1:1
	s_waitcnt lgkmcnt(1)
	v_xor_b32_e32 v157, 0x80000000, v137
	v_xor_b32_e32 v159, 0x80000000, v139
	v_cmp_gt_f64_e32 vcc, 0, v[138:139]
	v_cmp_gt_f64_e64 s[0:1], 0, v[136:137]
	v_mov_b32_e32 v156, v136
	v_mov_b32_e32 v158, v138
	v_cndmask_b32_e64 v157, v137, v157, s[0:1]
	v_cndmask_b32_e32 v159, v139, v159, vcc
	v_add_f64 v[156:157], v[156:157], v[158:159]
	s_waitcnt lgkmcnt(0)
	v_xor_b32_e32 v159, 0x80000000, v153
	v_xor_b32_e32 v161, 0x80000000, v155
	v_cmp_gt_f64_e32 vcc, 0, v[154:155]
	v_cmp_gt_f64_e64 s[0:1], 0, v[152:153]
	v_mov_b32_e32 v158, v152
	v_mov_b32_e32 v160, v154
	v_cndmask_b32_e64 v159, v153, v159, s[0:1]
	v_cndmask_b32_e32 v161, v155, v161, vcc
	v_add_f64 v[158:159], v[158:159], v[160:161]
	v_mov_b32_e32 v162, s16
	s_add_i32 s16, s16, 1
	v_cmp_lt_f64_e32 vcc, v[156:157], v[158:159]
	v_add_u32_e32 v147, 16, v147
	s_cmp_lg_u32 s20, s16
	v_cndmask_b32_e32 v137, v137, v153, vcc
	v_cndmask_b32_e32 v136, v136, v152, vcc
	;; [unrolled: 1-line block ×5, first 2 shown]
	s_cbranch_scc1 .LBB66_673
.LBB66_674:
	s_waitcnt lgkmcnt(0)
	v_cmp_eq_f64_e32 vcc, 0, v[136:137]
	v_cmp_eq_f64_e64 s[0:1], 0, v[138:139]
	s_and_b64 s[0:1], vcc, s[0:1]
	s_and_saveexec_b64 s[16:17], s[0:1]
	s_xor_b64 s[0:1], exec, s[16:17]
; %bb.675:
	v_cmp_ne_u32_e32 vcc, 0, v150
	s_nop 1
	v_cndmask_b32_e32 v150, 33, v150, vcc
; %bb.676:
	s_andn2_saveexec_b64 s[0:1], s[0:1]
	s_cbranch_execz .LBB66_682
; %bb.677:
	v_cmp_ngt_f64_e64 s[16:17], |v[136:137]|, |v[138:139]|
	s_and_saveexec_b64 s[18:19], s[16:17]
	s_xor_b64 s[16:17], exec, s[18:19]
	s_cbranch_execz .LBB66_679
; %bb.678:
	v_div_scale_f64 v[152:153], s[18:19], v[138:139], v[138:139], v[136:137]
	v_rcp_f64_e32 v[154:155], v[152:153]
	v_div_scale_f64 v[156:157], vcc, v[136:137], v[138:139], v[136:137]
	v_fma_f64 v[158:159], -v[152:153], v[154:155], 1.0
	v_fmac_f64_e32 v[154:155], v[154:155], v[158:159]
	v_fma_f64 v[158:159], -v[152:153], v[154:155], 1.0
	v_fmac_f64_e32 v[154:155], v[154:155], v[158:159]
	v_mul_f64 v[158:159], v[156:157], v[154:155]
	v_fma_f64 v[152:153], -v[152:153], v[158:159], v[156:157]
	v_div_fmas_f64 v[152:153], v[152:153], v[154:155], v[158:159]
	v_div_fixup_f64 v[152:153], v[152:153], v[138:139], v[136:137]
	v_fmac_f64_e32 v[138:139], v[136:137], v[152:153]
	v_div_scale_f64 v[136:137], s[18:19], v[138:139], v[138:139], 1.0
	v_rcp_f64_e32 v[154:155], v[136:137]
	s_nop 0
	v_fma_f64 v[156:157], -v[136:137], v[154:155], 1.0
	v_fmac_f64_e32 v[154:155], v[154:155], v[156:157]
	v_fma_f64 v[156:157], -v[136:137], v[154:155], 1.0
	v_fmac_f64_e32 v[154:155], v[154:155], v[156:157]
	v_div_scale_f64 v[156:157], vcc, 1.0, v[138:139], 1.0
	v_mul_f64 v[158:159], v[156:157], v[154:155]
	v_fma_f64 v[136:137], -v[136:137], v[158:159], v[156:157]
	s_nop 1
	v_div_fmas_f64 v[136:137], v[136:137], v[154:155], v[158:159]
	v_div_fixup_f64 v[138:139], v[136:137], v[138:139], 1.0
	v_mul_f64 v[136:137], v[152:153], v[138:139]
	v_xor_b32_e32 v139, 0x80000000, v139
.LBB66_679:
	s_andn2_saveexec_b64 s[16:17], s[16:17]
	s_cbranch_execz .LBB66_681
; %bb.680:
	v_div_scale_f64 v[152:153], s[18:19], v[136:137], v[136:137], v[138:139]
	v_rcp_f64_e32 v[154:155], v[152:153]
	v_div_scale_f64 v[156:157], vcc, v[138:139], v[136:137], v[138:139]
	v_fma_f64 v[158:159], -v[152:153], v[154:155], 1.0
	v_fmac_f64_e32 v[154:155], v[154:155], v[158:159]
	v_fma_f64 v[158:159], -v[152:153], v[154:155], 1.0
	v_fmac_f64_e32 v[154:155], v[154:155], v[158:159]
	v_mul_f64 v[158:159], v[156:157], v[154:155]
	v_fma_f64 v[152:153], -v[152:153], v[158:159], v[156:157]
	v_div_fmas_f64 v[152:153], v[152:153], v[154:155], v[158:159]
	v_div_fixup_f64 v[152:153], v[152:153], v[136:137], v[138:139]
	v_fmac_f64_e32 v[136:137], v[138:139], v[152:153]
	v_div_scale_f64 v[138:139], s[18:19], v[136:137], v[136:137], 1.0
	v_rcp_f64_e32 v[154:155], v[138:139]
	s_nop 0
	v_fma_f64 v[156:157], -v[138:139], v[154:155], 1.0
	v_fmac_f64_e32 v[154:155], v[154:155], v[156:157]
	v_fma_f64 v[156:157], -v[138:139], v[154:155], 1.0
	v_fmac_f64_e32 v[154:155], v[154:155], v[156:157]
	v_div_scale_f64 v[156:157], vcc, 1.0, v[136:137], 1.0
	v_mul_f64 v[158:159], v[156:157], v[154:155]
	v_fma_f64 v[138:139], -v[138:139], v[158:159], v[156:157]
	s_nop 1
	v_div_fmas_f64 v[138:139], v[138:139], v[154:155], v[158:159]
	v_div_fixup_f64 v[136:137], v[138:139], v[136:137], 1.0
	v_mul_f64 v[138:139], v[152:153], -v[136:137]
.LBB66_681:
	s_or_b64 exec, exec, s[16:17]
.LBB66_682:
	s_or_b64 exec, exec, s[0:1]
	v_cmp_ne_u32_e32 vcc, v149, v146
	s_and_saveexec_b64 s[0:1], vcc
	s_xor_b64 s[0:1], exec, s[0:1]
	s_cbranch_execz .LBB66_688
; %bb.683:
	v_cmp_eq_u32_e32 vcc, 32, v149
	s_and_saveexec_b64 s[16:17], vcc
	s_cbranch_execz .LBB66_687
; %bb.684:
	v_cmp_ne_u32_e32 vcc, 32, v146
	s_xor_b64 s[18:19], s[14:15], -1
	s_and_b64 s[22:23], s[18:19], vcc
	s_and_saveexec_b64 s[18:19], s[22:23]
	s_cbranch_execz .LBB66_686
; %bb.685:
	v_ashrrev_i32_e32 v147, 31, v146
	v_lshl_add_u64 v[152:153], v[146:147], 2, v[144:145]
	global_load_dword v147, v[152:153], off
	global_load_dword v149, v[144:145], off offset:128
	s_waitcnt vmcnt(1)
	global_store_dword v[144:145], v147, off offset:128
	s_waitcnt vmcnt(1)
	global_store_dword v[152:153], v149, off
.LBB66_686:
	s_or_b64 exec, exec, s[18:19]
	v_mov_b32_e32 v149, v146
	v_mov_b32_e32 v151, v146
.LBB66_687:
	s_or_b64 exec, exec, s[16:17]
.LBB66_688:
	s_andn2_saveexec_b64 s[0:1], s[0:1]
	s_cbranch_execz .LBB66_690
; %bb.689:
	v_mov_b32_e32 v149, 32
	s_waitcnt vmcnt(0)
	ds_write2_b64 v148, v[132:133], v[134:135] offset0:66 offset1:67
.LBB66_690:
	s_or_b64 exec, exec, s[0:1]
	v_cmp_lt_i32_e32 vcc, 32, v149
	s_waitcnt lgkmcnt(0)
	s_barrier
	s_and_saveexec_b64 s[0:1], vcc
	s_cbranch_execz .LBB66_692
; %bb.691:
	ds_read2_b64 v[152:155], v148 offset0:66 offset1:67
	v_mul_f64 v[146:147], v[136:137], v[2:3]
	v_mul_f64 v[2:3], v[138:139], v[2:3]
	v_fmac_f64_e32 v[146:147], v[138:139], v[0:1]
	v_fma_f64 v[0:1], v[136:137], v[0:1], -v[2:3]
	s_waitcnt lgkmcnt(0)
	v_mul_f64 v[2:3], v[154:155], v[146:147]
	v_mul_f64 v[136:137], v[152:153], v[146:147]
	v_fma_f64 v[2:3], v[152:153], v[0:1], -v[2:3]
	v_fmac_f64_e32 v[136:137], v[154:155], v[0:1]
	s_waitcnt vmcnt(0)
	v_add_f64 v[132:133], v[132:133], -v[2:3]
	v_add_f64 v[134:135], v[134:135], -v[136:137]
	v_mov_b64_e32 v[2:3], v[146:147]
.LBB66_692:
	s_or_b64 exec, exec, s[0:1]
	v_lshl_add_u32 v136, v149, 4, v148
	s_barrier
	s_waitcnt vmcnt(0)
	ds_write2_b64 v136, v[132:133], v[134:135] offset1:1
	s_waitcnt lgkmcnt(0)
	s_barrier
	ds_read2_b64 v[136:139], v148 offset0:66 offset1:67
	s_cmp_lt_i32 s20, 35
	v_mov_b32_e32 v146, 33
	s_cbranch_scc1 .LBB66_695
; %bb.693:
	v_add_u32_e32 v147, 0x220, v148
	s_mov_b32 s16, 34
	v_mov_b32_e32 v146, 33
.LBB66_694:                             ; =>This Inner Loop Header: Depth=1
	ds_read2_b64 v[152:155], v147 offset1:1
	s_waitcnt lgkmcnt(1)
	v_xor_b32_e32 v148, 0x80000000, v137
	v_xor_b32_e32 v159, 0x80000000, v139
	v_cmp_gt_f64_e32 vcc, 0, v[138:139]
	v_cmp_gt_f64_e64 s[0:1], 0, v[136:137]
	v_mov_b32_e32 v156, v136
	v_mov_b32_e32 v158, v138
	v_cndmask_b32_e64 v157, v137, v148, s[0:1]
	v_cndmask_b32_e32 v159, v139, v159, vcc
	s_waitcnt lgkmcnt(0)
	v_xor_b32_e32 v148, 0x80000000, v153
	v_xor_b32_e32 v161, 0x80000000, v155
	v_cmp_gt_f64_e32 vcc, 0, v[154:155]
	v_cmp_gt_f64_e64 s[0:1], 0, v[152:153]
	v_add_f64 v[156:157], v[156:157], v[158:159]
	v_mov_b32_e32 v158, v152
	v_mov_b32_e32 v160, v154
	v_cndmask_b32_e64 v159, v153, v148, s[0:1]
	v_cndmask_b32_e32 v161, v155, v161, vcc
	v_add_f64 v[158:159], v[158:159], v[160:161]
	v_mov_b32_e32 v162, s16
	s_add_i32 s16, s16, 1
	v_cmp_lt_f64_e32 vcc, v[156:157], v[158:159]
	v_add_u32_e32 v147, 16, v147
	s_cmp_lg_u32 s20, s16
	v_cndmask_b32_e32 v137, v137, v153, vcc
	v_cndmask_b32_e32 v136, v136, v152, vcc
	;; [unrolled: 1-line block ×5, first 2 shown]
	s_cbranch_scc1 .LBB66_694
.LBB66_695:
	s_waitcnt lgkmcnt(0)
	v_cmp_eq_f64_e32 vcc, 0, v[136:137]
	v_cmp_eq_f64_e64 s[0:1], 0, v[138:139]
	s_and_b64 s[0:1], vcc, s[0:1]
	s_and_saveexec_b64 s[16:17], s[0:1]
	s_xor_b64 s[0:1], exec, s[16:17]
; %bb.696:
	v_cmp_ne_u32_e32 vcc, 0, v150
	s_nop 1
	v_cndmask_b32_e32 v150, 34, v150, vcc
; %bb.697:
	s_andn2_saveexec_b64 s[0:1], s[0:1]
	s_cbranch_execz .LBB66_703
; %bb.698:
	v_cmp_ngt_f64_e64 s[16:17], |v[136:137]|, |v[138:139]|
	s_and_saveexec_b64 s[18:19], s[16:17]
	s_xor_b64 s[16:17], exec, s[18:19]
	s_cbranch_execz .LBB66_700
; %bb.699:
	v_div_scale_f64 v[152:153], s[18:19], v[138:139], v[138:139], v[136:137]
	v_rcp_f64_e32 v[154:155], v[152:153]
	v_div_scale_f64 v[156:157], vcc, v[136:137], v[138:139], v[136:137]
	v_fma_f64 v[158:159], -v[152:153], v[154:155], 1.0
	v_fmac_f64_e32 v[154:155], v[154:155], v[158:159]
	v_fma_f64 v[158:159], -v[152:153], v[154:155], 1.0
	v_fmac_f64_e32 v[154:155], v[154:155], v[158:159]
	v_mul_f64 v[158:159], v[156:157], v[154:155]
	v_fma_f64 v[152:153], -v[152:153], v[158:159], v[156:157]
	v_div_fmas_f64 v[152:153], v[152:153], v[154:155], v[158:159]
	v_div_fixup_f64 v[152:153], v[152:153], v[138:139], v[136:137]
	v_fmac_f64_e32 v[138:139], v[136:137], v[152:153]
	v_div_scale_f64 v[136:137], s[18:19], v[138:139], v[138:139], 1.0
	v_rcp_f64_e32 v[154:155], v[136:137]
	s_nop 0
	v_fma_f64 v[156:157], -v[136:137], v[154:155], 1.0
	v_fmac_f64_e32 v[154:155], v[154:155], v[156:157]
	v_fma_f64 v[156:157], -v[136:137], v[154:155], 1.0
	v_fmac_f64_e32 v[154:155], v[154:155], v[156:157]
	v_div_scale_f64 v[156:157], vcc, 1.0, v[138:139], 1.0
	v_mul_f64 v[158:159], v[156:157], v[154:155]
	v_fma_f64 v[136:137], -v[136:137], v[158:159], v[156:157]
	s_nop 1
	v_div_fmas_f64 v[136:137], v[136:137], v[154:155], v[158:159]
	v_div_fixup_f64 v[138:139], v[136:137], v[138:139], 1.0
	v_mul_f64 v[136:137], v[152:153], v[138:139]
	v_xor_b32_e32 v139, 0x80000000, v139
.LBB66_700:
	s_andn2_saveexec_b64 s[16:17], s[16:17]
	s_cbranch_execz .LBB66_702
; %bb.701:
	v_div_scale_f64 v[152:153], s[18:19], v[136:137], v[136:137], v[138:139]
	v_rcp_f64_e32 v[154:155], v[152:153]
	v_div_scale_f64 v[156:157], vcc, v[138:139], v[136:137], v[138:139]
	v_fma_f64 v[158:159], -v[152:153], v[154:155], 1.0
	v_fmac_f64_e32 v[154:155], v[154:155], v[158:159]
	v_fma_f64 v[158:159], -v[152:153], v[154:155], 1.0
	v_fmac_f64_e32 v[154:155], v[154:155], v[158:159]
	v_mul_f64 v[158:159], v[156:157], v[154:155]
	v_fma_f64 v[152:153], -v[152:153], v[158:159], v[156:157]
	v_div_fmas_f64 v[152:153], v[152:153], v[154:155], v[158:159]
	v_div_fixup_f64 v[152:153], v[152:153], v[136:137], v[138:139]
	v_fmac_f64_e32 v[136:137], v[138:139], v[152:153]
	v_div_scale_f64 v[138:139], s[18:19], v[136:137], v[136:137], 1.0
	v_rcp_f64_e32 v[154:155], v[138:139]
	s_nop 0
	v_fma_f64 v[156:157], -v[138:139], v[154:155], 1.0
	v_fmac_f64_e32 v[154:155], v[154:155], v[156:157]
	v_fma_f64 v[156:157], -v[138:139], v[154:155], 1.0
	v_fmac_f64_e32 v[154:155], v[154:155], v[156:157]
	v_div_scale_f64 v[156:157], vcc, 1.0, v[136:137], 1.0
	v_mul_f64 v[158:159], v[156:157], v[154:155]
	v_fma_f64 v[138:139], -v[138:139], v[158:159], v[156:157]
	s_nop 1
	v_div_fmas_f64 v[138:139], v[138:139], v[154:155], v[158:159]
	v_div_fixup_f64 v[136:137], v[138:139], v[136:137], 1.0
	v_mul_f64 v[138:139], v[152:153], -v[136:137]
.LBB66_702:
	s_or_b64 exec, exec, s[16:17]
.LBB66_703:
	s_or_b64 exec, exec, s[0:1]
	v_cmp_ne_u32_e32 vcc, v149, v146
	v_mov_b32_e32 v148, 33
	s_and_saveexec_b64 s[0:1], vcc
	s_cbranch_execz .LBB66_709
; %bb.704:
	v_cmp_eq_u32_e32 vcc, 33, v149
	s_and_saveexec_b64 s[16:17], vcc
	s_cbranch_execz .LBB66_708
; %bb.705:
	v_cmp_ne_u32_e32 vcc, 33, v146
	s_xor_b64 s[14:15], s[14:15], -1
	s_and_b64 s[18:19], s[14:15], vcc
	s_and_saveexec_b64 s[14:15], s[18:19]
	s_cbranch_execz .LBB66_707
; %bb.706:
	v_ashrrev_i32_e32 v147, 31, v146
	v_lshl_add_u64 v[148:149], v[146:147], 2, v[144:145]
	global_load_dword v147, v[148:149], off
	global_load_dword v151, v[144:145], off offset:132
	s_waitcnt vmcnt(1)
	global_store_dword v[144:145], v147, off offset:132
	s_waitcnt vmcnt(1)
	global_store_dword v[148:149], v151, off
.LBB66_707:
	s_or_b64 exec, exec, s[14:15]
	v_mov_b32_e32 v149, v146
	v_mov_b32_e32 v151, v146
.LBB66_708:
	s_or_b64 exec, exec, s[16:17]
	v_mov_b32_e32 v148, v149
.LBB66_709:
	s_or_b64 exec, exec, s[0:1]
	v_cmp_gt_i32_e32 vcc, 34, v148
	v_ashrrev_i32_e32 v149, 31, v148
	s_barrier
	s_barrier
	s_and_saveexec_b64 s[0:1], vcc
	s_cbranch_execz .LBB66_711
; %bb.710:
	v_mov_b32_e32 v144, s6
	v_mov_b32_e32 v145, s7
	v_mul_lo_u32 v152, s11, v142
	v_mul_lo_u32 v153, s10, v143
	v_mad_u64_u32 v[146:147], s[6:7], s10, v142, 0
	v_add3_u32 v147, v147, v153, v152
	v_lshl_add_u64 v[144:145], v[146:147], 2, v[144:145]
	v_lshl_add_u64 v[144:145], s[8:9], 2, v[144:145]
	;; [unrolled: 1-line block ×3, first 2 shown]
	v_add3_u32 v146, v151, s13, 1
	global_store_dword v[144:145], v146, off
.LBB66_711:
	s_or_b64 exec, exec, s[0:1]
	v_cmp_eq_u32_e32 vcc, 0, v148
	s_and_saveexec_b64 s[6:7], vcc
	s_cbranch_execz .LBB66_714
; %bb.712:
	v_mov_b32_e32 v144, s4
	v_mov_b32_e32 v145, s5
	v_lshl_add_u64 v[142:143], v[142:143], 2, v[144:145]
	global_load_dword v144, v[142:143], off
	v_cmp_ne_u32_e64 s[0:1], 0, v150
	s_waitcnt vmcnt(0)
	v_cmp_eq_u32_e32 vcc, 0, v144
	s_and_b64 s[0:1], vcc, s[0:1]
	s_and_b64 exec, exec, s[0:1]
	s_cbranch_execz .LBB66_714
; %bb.713:
	v_add_u32_e32 v144, s13, v150
	global_store_dword v[142:143], v144, off
.LBB66_714:
	s_or_b64 exec, exec, s[6:7]
	v_mul_f64 v[142:143], v[138:139], v[134:135]
	v_fma_f64 v[142:143], v[136:137], v[132:133], -v[142:143]
	v_mul_f64 v[136:137], v[136:137], v[134:135]
	v_fmac_f64_e32 v[136:137], v[138:139], v[132:133]
	v_cmp_lt_i32_e32 vcc, 33, v148
	s_nop 1
	v_cndmask_b32_e32 v135, v135, v137, vcc
	v_cndmask_b32_e32 v134, v134, v136, vcc
	v_lshl_add_u64 v[136:137], v[148:149], 4, v[140:141]
	global_store_dwordx4 v[136:137], v[92:95], off
	v_cndmask_b32_e32 v133, v133, v143, vcc
	v_cndmask_b32_e32 v132, v132, v142, vcc
	v_lshl_add_u64 v[92:93], s[2:3], 4, v[136:137]
	global_store_dwordx4 v[92:93], v[88:91], off
	s_nop 1
	v_add_u32_e32 v88, s12, v148
	v_ashrrev_i32_e32 v89, 31, v88
	v_lshl_add_u64 v[90:91], v[88:89], 4, v[140:141]
	v_add_u32_e32 v88, s2, v88
	v_ashrrev_i32_e32 v89, 31, v88
	global_store_dwordx4 v[90:91], v[128:131], off
	v_lshl_add_u64 v[90:91], v[88:89], 4, v[140:141]
	v_add_u32_e32 v88, s2, v88
	v_ashrrev_i32_e32 v89, 31, v88
	global_store_dwordx4 v[90:91], v[124:127], off
	;; [unrolled: 4-line block ×9, first 2 shown]
	v_lshl_add_u64 v[90:91], v[88:89], 4, v[140:141]
	global_store_dwordx4 v[90:91], v[84:87], off
	s_nop 1
	v_add_u32_e32 v84, s2, v88
	v_ashrrev_i32_e32 v85, 31, v84
	v_lshl_add_u64 v[86:87], v[84:85], 4, v[140:141]
	global_store_dwordx4 v[86:87], v[76:79], off
	s_nop 1
	v_add_u32_e32 v76, s2, v84
	v_ashrrev_i32_e32 v77, 31, v76
	v_lshl_add_u64 v[78:79], v[76:77], 4, v[140:141]
	v_add_u32_e32 v76, s2, v76
	v_ashrrev_i32_e32 v77, 31, v76
	global_store_dwordx4 v[78:79], v[80:83], off
	v_lshl_add_u64 v[78:79], v[76:77], 4, v[140:141]
	global_store_dwordx4 v[78:79], v[72:75], off
	s_nop 1
	v_add_u32_e32 v72, s2, v76
	v_ashrrev_i32_e32 v73, 31, v72
	v_lshl_add_u64 v[74:75], v[72:73], 4, v[140:141]
	global_store_dwordx4 v[74:75], v[68:71], off
	s_nop 1
	v_add_u32_e32 v68, s2, v72
	v_ashrrev_i32_e32 v69, 31, v68
	;; [unrolled: 5-line block ×19, first 2 shown]
	v_lshl_add_u64 v[0:1], v[0:1], 4, v[140:141]
	global_store_dwordx4 v[0:1], v[132:135], off
.LBB66_715:
	s_endpgm
	.section	.rodata,"a",@progbits
	.p2align	6, 0x0
	.amdhsa_kernel _ZN9rocsolver6v33100L18getf2_small_kernelILi34E19rocblas_complex_numIdEiiPS3_EEvT1_T3_lS5_lPS5_llPT2_S5_S5_S7_l
		.amdhsa_group_segment_fixed_size 0
		.amdhsa_private_segment_fixed_size 0
		.amdhsa_kernarg_size 352
		.amdhsa_user_sgpr_count 2
		.amdhsa_user_sgpr_dispatch_ptr 0
		.amdhsa_user_sgpr_queue_ptr 0
		.amdhsa_user_sgpr_kernarg_segment_ptr 1
		.amdhsa_user_sgpr_dispatch_id 0
		.amdhsa_user_sgpr_kernarg_preload_length 0
		.amdhsa_user_sgpr_kernarg_preload_offset 0
		.amdhsa_user_sgpr_private_segment_size 0
		.amdhsa_uses_dynamic_stack 0
		.amdhsa_enable_private_segment 0
		.amdhsa_system_sgpr_workgroup_id_x 1
		.amdhsa_system_sgpr_workgroup_id_y 1
		.amdhsa_system_sgpr_workgroup_id_z 0
		.amdhsa_system_sgpr_workgroup_info 0
		.amdhsa_system_vgpr_workitem_id 1
		.amdhsa_next_free_vgpr 166
		.amdhsa_next_free_sgpr 24
		.amdhsa_accum_offset 168
		.amdhsa_reserve_vcc 1
		.amdhsa_float_round_mode_32 0
		.amdhsa_float_round_mode_16_64 0
		.amdhsa_float_denorm_mode_32 3
		.amdhsa_float_denorm_mode_16_64 3
		.amdhsa_dx10_clamp 1
		.amdhsa_ieee_mode 1
		.amdhsa_fp16_overflow 0
		.amdhsa_tg_split 0
		.amdhsa_exception_fp_ieee_invalid_op 0
		.amdhsa_exception_fp_denorm_src 0
		.amdhsa_exception_fp_ieee_div_zero 0
		.amdhsa_exception_fp_ieee_overflow 0
		.amdhsa_exception_fp_ieee_underflow 0
		.amdhsa_exception_fp_ieee_inexact 0
		.amdhsa_exception_int_div_zero 0
	.end_amdhsa_kernel
	.section	.text._ZN9rocsolver6v33100L18getf2_small_kernelILi34E19rocblas_complex_numIdEiiPS3_EEvT1_T3_lS5_lPS5_llPT2_S5_S5_S7_l,"axG",@progbits,_ZN9rocsolver6v33100L18getf2_small_kernelILi34E19rocblas_complex_numIdEiiPS3_EEvT1_T3_lS5_lPS5_llPT2_S5_S5_S7_l,comdat
.Lfunc_end66:
	.size	_ZN9rocsolver6v33100L18getf2_small_kernelILi34E19rocblas_complex_numIdEiiPS3_EEvT1_T3_lS5_lPS5_llPT2_S5_S5_S7_l, .Lfunc_end66-_ZN9rocsolver6v33100L18getf2_small_kernelILi34E19rocblas_complex_numIdEiiPS3_EEvT1_T3_lS5_lPS5_llPT2_S5_S5_S7_l
                                        ; -- End function
	.set _ZN9rocsolver6v33100L18getf2_small_kernelILi34E19rocblas_complex_numIdEiiPS3_EEvT1_T3_lS5_lPS5_llPT2_S5_S5_S7_l.num_vgpr, 166
	.set _ZN9rocsolver6v33100L18getf2_small_kernelILi34E19rocblas_complex_numIdEiiPS3_EEvT1_T3_lS5_lPS5_llPT2_S5_S5_S7_l.num_agpr, 0
	.set _ZN9rocsolver6v33100L18getf2_small_kernelILi34E19rocblas_complex_numIdEiiPS3_EEvT1_T3_lS5_lPS5_llPT2_S5_S5_S7_l.numbered_sgpr, 24
	.set _ZN9rocsolver6v33100L18getf2_small_kernelILi34E19rocblas_complex_numIdEiiPS3_EEvT1_T3_lS5_lPS5_llPT2_S5_S5_S7_l.num_named_barrier, 0
	.set _ZN9rocsolver6v33100L18getf2_small_kernelILi34E19rocblas_complex_numIdEiiPS3_EEvT1_T3_lS5_lPS5_llPT2_S5_S5_S7_l.private_seg_size, 0
	.set _ZN9rocsolver6v33100L18getf2_small_kernelILi34E19rocblas_complex_numIdEiiPS3_EEvT1_T3_lS5_lPS5_llPT2_S5_S5_S7_l.uses_vcc, 1
	.set _ZN9rocsolver6v33100L18getf2_small_kernelILi34E19rocblas_complex_numIdEiiPS3_EEvT1_T3_lS5_lPS5_llPT2_S5_S5_S7_l.uses_flat_scratch, 0
	.set _ZN9rocsolver6v33100L18getf2_small_kernelILi34E19rocblas_complex_numIdEiiPS3_EEvT1_T3_lS5_lPS5_llPT2_S5_S5_S7_l.has_dyn_sized_stack, 0
	.set _ZN9rocsolver6v33100L18getf2_small_kernelILi34E19rocblas_complex_numIdEiiPS3_EEvT1_T3_lS5_lPS5_llPT2_S5_S5_S7_l.has_recursion, 0
	.set _ZN9rocsolver6v33100L18getf2_small_kernelILi34E19rocblas_complex_numIdEiiPS3_EEvT1_T3_lS5_lPS5_llPT2_S5_S5_S7_l.has_indirect_call, 0
	.section	.AMDGPU.csdata,"",@progbits
; Kernel info:
; codeLenInByte = 71896
; TotalNumSgprs: 30
; NumVgprs: 166
; NumAgprs: 0
; TotalNumVgprs: 166
; ScratchSize: 0
; MemoryBound: 0
; FloatMode: 240
; IeeeMode: 1
; LDSByteSize: 0 bytes/workgroup (compile time only)
; SGPRBlocks: 3
; VGPRBlocks: 20
; NumSGPRsForWavesPerEU: 30
; NumVGPRsForWavesPerEU: 166
; AccumOffset: 168
; Occupancy: 3
; WaveLimiterHint : 0
; COMPUTE_PGM_RSRC2:SCRATCH_EN: 0
; COMPUTE_PGM_RSRC2:USER_SGPR: 2
; COMPUTE_PGM_RSRC2:TRAP_HANDLER: 0
; COMPUTE_PGM_RSRC2:TGID_X_EN: 1
; COMPUTE_PGM_RSRC2:TGID_Y_EN: 1
; COMPUTE_PGM_RSRC2:TGID_Z_EN: 0
; COMPUTE_PGM_RSRC2:TIDIG_COMP_CNT: 1
; COMPUTE_PGM_RSRC3_GFX90A:ACCUM_OFFSET: 41
; COMPUTE_PGM_RSRC3_GFX90A:TG_SPLIT: 0
	.section	.text._ZN9rocsolver6v33100L23getf2_npvt_small_kernelILi34E19rocblas_complex_numIdEiiPS3_EEvT1_T3_lS5_lPT2_S5_S5_,"axG",@progbits,_ZN9rocsolver6v33100L23getf2_npvt_small_kernelILi34E19rocblas_complex_numIdEiiPS3_EEvT1_T3_lS5_lPT2_S5_S5_,comdat
	.globl	_ZN9rocsolver6v33100L23getf2_npvt_small_kernelILi34E19rocblas_complex_numIdEiiPS3_EEvT1_T3_lS5_lPT2_S5_S5_ ; -- Begin function _ZN9rocsolver6v33100L23getf2_npvt_small_kernelILi34E19rocblas_complex_numIdEiiPS3_EEvT1_T3_lS5_lPT2_S5_S5_
	.p2align	8
	.type	_ZN9rocsolver6v33100L23getf2_npvt_small_kernelILi34E19rocblas_complex_numIdEiiPS3_EEvT1_T3_lS5_lPT2_S5_S5_,@function
_ZN9rocsolver6v33100L23getf2_npvt_small_kernelILi34E19rocblas_complex_numIdEiiPS3_EEvT1_T3_lS5_lPT2_S5_S5_: ; @_ZN9rocsolver6v33100L23getf2_npvt_small_kernelILi34E19rocblas_complex_numIdEiiPS3_EEvT1_T3_lS5_lPT2_S5_S5_
; %bb.0:
	s_load_dword s2, s[0:1], 0x44
	s_load_dwordx2 s[8:9], s[0:1], 0x30
	v_bfe_u32 v136, v0, 10, 10
	s_waitcnt lgkmcnt(0)
	s_lshr_b32 s10, s2, 16
	s_mul_i32 s3, s3, s10
	v_add_u32_e32 v152, s3, v136
	v_cmp_gt_i32_e32 vcc, s8, v152
	s_and_saveexec_b64 s[2:3], vcc
	s_cbranch_execz .LBB67_309
; %bb.1:
	s_load_dwordx4 s[12:15], s[0:1], 0x8
	s_load_dword s2, s[0:1], 0x18
	s_load_dwordx4 s[4:7], s[0:1], 0x20
	v_ashrrev_i32_e32 v153, 31, v152
	v_and_b32_e32 v154, 0x3ff, v0
	s_waitcnt lgkmcnt(0)
	v_mov_b32_e32 v0, s12
	v_mov_b32_e32 v1, s13
	v_mul_lo_u32 v4, s5, v152
	v_mul_lo_u32 v5, s4, v153
	v_mad_u64_u32 v[2:3], s[0:1], s4, v152, 0
	v_add3_u32 v3, v3, v5, v4
	v_lshl_add_u64 v[0:1], v[2:3], 4, v[0:1]
	v_lshl_add_u64 v[0:1], s[14:15], 4, v[0:1]
	v_lshlrev_b32_e32 v2, 4, v154
	v_mov_b32_e32 v3, 0
	s_add_i32 s0, s2, s2
	v_lshl_add_u64 v[162:163], v[0:1], 0, v[2:3]
	v_add_u32_e32 v2, s0, v154
	v_ashrrev_i32_e32 v3, 31, v2
	v_lshl_add_u64 v[4:5], v[2:3], 4, v[0:1]
	v_add_u32_e32 v2, s2, v2
	v_ashrrev_i32_e32 v3, 31, v2
	;; [unrolled: 3-line block ×31, first 2 shown]
	v_lshl_add_u64 v[226:227], v[2:3], 4, v[0:1]
	v_add_u32_e32 v2, s2, v2
	s_ashr_i32 s3, s2, 31
	v_ashrrev_i32_e32 v3, 31, v2
	v_lshl_add_u64 v[250:251], s[2:3], 4, v[162:163]
	global_load_dwordx4 v[128:131], v[162:163], off
	global_load_dwordx4 v[124:127], v[250:251], off
	v_lshl_add_u64 v[224:225], v[2:3], 4, v[0:1]
	scratch_store_dwordx2 off, v[4:5], off  ; 8-byte Folded Spill
	global_load_dwordx4 v[120:123], v[4:5], off
	global_load_dwordx4 v[116:119], v[164:165], off
	global_load_dwordx4 v[112:115], v[170:171], off
	global_load_dwordx4 v[108:111], v[168:169], off
	global_load_dwordx4 v[104:107], v[174:175], off
	global_load_dwordx4 v[100:103], v[172:173], off
	global_load_dwordx4 v[96:99], v[178:179], off
	global_load_dwordx4 v[92:95], v[176:177], off
	global_load_dwordx4 v[88:91], v[182:183], off
	global_load_dwordx4 v[84:87], v[180:181], off
	global_load_dwordx4 v[80:83], v[186:187], off
	global_load_dwordx4 v[76:79], v[184:185], off
	global_load_dwordx4 v[72:75], v[190:191], off
	global_load_dwordx4 v[68:71], v[188:189], off
	global_load_dwordx4 v[64:67], v[194:195], off
	global_load_dwordx4 v[60:63], v[192:193], off
	global_load_dwordx4 v[56:59], v[198:199], off
	global_load_dwordx4 v[52:55], v[196:197], off
	global_load_dwordx4 v[48:51], v[202:203], off
	global_load_dwordx4 v[44:47], v[200:201], off
	global_load_dwordx4 v[40:43], v[206:207], off
	global_load_dwordx4 v[36:39], v[204:205], off
	global_load_dwordx4 v[32:35], v[210:211], off
	global_load_dwordx4 v[28:31], v[208:209], off
	global_load_dwordx4 v[24:27], v[214:215], off
	global_load_dwordx4 v[20:23], v[212:213], off
	global_load_dwordx4 v[16:19], v[218:219], off
	global_load_dwordx4 v[12:15], v[216:217], off
	global_load_dwordx4 v[8:11], v[222:223], off
	global_load_dwordx4 v[4:7], v[220:221], off
	global_load_dwordx4 v[0:3], v[226:227], off
	global_load_dwordx4 v[132:135], v[224:225], off
	s_mulk_i32 s10, 0x220
	s_movk_i32 s0, 0x220
	s_add_i32 s1, s10, 0
	v_mad_u32_u24 v156, v136, s0, 0
	v_lshl_add_u32 v155, v136, 4, s1
	v_cmp_ne_u32_e64 s[2:3], 0, v154
	v_cmp_eq_u32_e64 s[0:1], 0, v154
	s_and_saveexec_b64 s[10:11], s[0:1]
	s_cbranch_execz .LBB67_8
; %bb.2:
	s_waitcnt vmcnt(34)
	ds_write2_b64 v155, v[128:129], v[130:131] offset1:1
	s_waitcnt vmcnt(33)
	ds_write2_b64 v156, v[124:125], v[126:127] offset0:2 offset1:3
	s_waitcnt vmcnt(31)
	ds_write2_b64 v156, v[120:121], v[122:123] offset0:4 offset1:5
	;; [unrolled: 2-line block ×33, first 2 shown]
	ds_read2_b64 v[136:139], v155 offset1:1
	s_waitcnt lgkmcnt(0)
	v_cmp_neq_f64_e32 vcc, 0, v[136:137]
	v_cmp_neq_f64_e64 s[4:5], 0, v[138:139]
	s_or_b64 s[4:5], vcc, s[4:5]
	s_and_b64 exec, exec, s[4:5]
	s_cbranch_execz .LBB67_8
; %bb.3:
	v_cmp_ngt_f64_e64 s[4:5], |v[136:137]|, |v[138:139]|
                                        ; implicit-def: $vgpr140_vgpr141
	s_and_saveexec_b64 s[12:13], s[4:5]
	s_xor_b64 s[4:5], exec, s[12:13]
                                        ; implicit-def: $vgpr142_vgpr143
	s_cbranch_execz .LBB67_5
; %bb.4:
	v_div_scale_f64 v[140:141], s[12:13], v[138:139], v[138:139], v[136:137]
	v_rcp_f64_e32 v[142:143], v[140:141]
	v_div_scale_f64 v[144:145], vcc, v[136:137], v[138:139], v[136:137]
	v_fma_f64 v[146:147], -v[140:141], v[142:143], 1.0
	v_fmac_f64_e32 v[142:143], v[142:143], v[146:147]
	v_fma_f64 v[146:147], -v[140:141], v[142:143], 1.0
	v_fmac_f64_e32 v[142:143], v[142:143], v[146:147]
	v_mul_f64 v[146:147], v[144:145], v[142:143]
	v_fma_f64 v[140:141], -v[140:141], v[146:147], v[144:145]
	v_div_fmas_f64 v[140:141], v[140:141], v[142:143], v[146:147]
	v_div_fixup_f64 v[140:141], v[140:141], v[138:139], v[136:137]
	v_fmac_f64_e32 v[138:139], v[136:137], v[140:141]
	v_div_scale_f64 v[136:137], s[12:13], v[138:139], v[138:139], 1.0
	v_rcp_f64_e32 v[142:143], v[136:137]
	s_nop 0
	v_fma_f64 v[144:145], -v[136:137], v[142:143], 1.0
	v_fmac_f64_e32 v[142:143], v[142:143], v[144:145]
	v_fma_f64 v[144:145], -v[136:137], v[142:143], 1.0
	v_fmac_f64_e32 v[142:143], v[142:143], v[144:145]
	v_div_scale_f64 v[144:145], vcc, 1.0, v[138:139], 1.0
	v_mul_f64 v[146:147], v[144:145], v[142:143]
	v_fma_f64 v[136:137], -v[136:137], v[146:147], v[144:145]
	s_nop 1
	v_div_fmas_f64 v[136:137], v[136:137], v[142:143], v[146:147]
	v_div_fixup_f64 v[142:143], v[136:137], v[138:139], 1.0
	v_mul_f64 v[140:141], v[140:141], v[142:143]
	v_xor_b32_e32 v143, 0x80000000, v143
                                        ; implicit-def: $vgpr136_vgpr137
.LBB67_5:
	s_andn2_saveexec_b64 s[4:5], s[4:5]
	s_cbranch_execz .LBB67_7
; %bb.6:
	v_div_scale_f64 v[140:141], s[12:13], v[136:137], v[136:137], v[138:139]
	v_rcp_f64_e32 v[142:143], v[140:141]
	v_div_scale_f64 v[144:145], vcc, v[138:139], v[136:137], v[138:139]
	v_fma_f64 v[146:147], -v[140:141], v[142:143], 1.0
	v_fmac_f64_e32 v[142:143], v[142:143], v[146:147]
	v_fma_f64 v[146:147], -v[140:141], v[142:143], 1.0
	v_fmac_f64_e32 v[142:143], v[142:143], v[146:147]
	v_mul_f64 v[146:147], v[144:145], v[142:143]
	v_fma_f64 v[140:141], -v[140:141], v[146:147], v[144:145]
	v_div_fmas_f64 v[140:141], v[140:141], v[142:143], v[146:147]
	v_div_fixup_f64 v[142:143], v[140:141], v[136:137], v[138:139]
	v_fmac_f64_e32 v[136:137], v[138:139], v[142:143]
	v_div_scale_f64 v[138:139], s[12:13], v[136:137], v[136:137], 1.0
	v_rcp_f64_e32 v[140:141], v[138:139]
	s_nop 0
	v_fma_f64 v[144:145], -v[138:139], v[140:141], 1.0
	v_fmac_f64_e32 v[140:141], v[140:141], v[144:145]
	v_fma_f64 v[144:145], -v[138:139], v[140:141], 1.0
	v_fmac_f64_e32 v[140:141], v[140:141], v[144:145]
	v_div_scale_f64 v[144:145], vcc, 1.0, v[136:137], 1.0
	v_mul_f64 v[146:147], v[144:145], v[140:141]
	v_fma_f64 v[138:139], -v[138:139], v[146:147], v[144:145]
	s_nop 1
	v_div_fmas_f64 v[138:139], v[138:139], v[140:141], v[146:147]
	v_div_fixup_f64 v[140:141], v[138:139], v[136:137], 1.0
	v_mul_f64 v[142:143], v[142:143], -v[140:141]
.LBB67_7:
	s_or_b64 exec, exec, s[4:5]
	ds_write2_b64 v155, v[140:141], v[142:143] offset1:1
.LBB67_8:
	s_or_b64 exec, exec, s[10:11]
	s_waitcnt lgkmcnt(0)
	s_barrier
	ds_read2_b64 v[158:161], v155 offset1:1
	s_and_saveexec_b64 s[4:5], s[2:3]
	s_cbranch_execz .LBB67_10
; %bb.9:
	ds_read2_b64 v[138:141], v156 offset0:2 offset1:3
	ds_read2_b64 v[142:145], v156 offset0:4 offset1:5
	s_waitcnt vmcnt(34) lgkmcnt(2)
	v_mul_f64 v[136:137], v[160:161], v[130:131]
	v_mul_f64 v[130:131], v[158:159], v[130:131]
	v_fmac_f64_e32 v[130:131], v[160:161], v[128:129]
	v_fma_f64 v[136:137], v[158:159], v[128:129], -v[136:137]
	s_waitcnt lgkmcnt(1)
	v_mul_f64 v[128:129], v[140:141], v[130:131]
	v_fma_f64 v[128:129], v[138:139], v[136:137], -v[128:129]
	v_mul_f64 v[138:139], v[138:139], v[130:131]
	v_fmac_f64_e32 v[138:139], v[140:141], v[136:137]
	s_waitcnt vmcnt(33)
	v_add_f64 v[126:127], v[126:127], -v[138:139]
	ds_read2_b64 v[138:141], v156 offset0:6 offset1:7
	v_add_f64 v[124:125], v[124:125], -v[128:129]
	s_waitcnt lgkmcnt(1)
	v_mul_f64 v[128:129], v[144:145], v[130:131]
	v_fma_f64 v[128:129], v[142:143], v[136:137], -v[128:129]
	v_mul_f64 v[142:143], v[142:143], v[130:131]
	v_fmac_f64_e32 v[142:143], v[144:145], v[136:137]
	s_waitcnt vmcnt(31)
	v_add_f64 v[120:121], v[120:121], -v[128:129]
	v_add_f64 v[122:123], v[122:123], -v[142:143]
	ds_read2_b64 v[142:145], v156 offset0:8 offset1:9
	s_waitcnt lgkmcnt(1)
	v_mul_f64 v[128:129], v[140:141], v[130:131]
	v_fma_f64 v[128:129], v[138:139], v[136:137], -v[128:129]
	v_mul_f64 v[138:139], v[138:139], v[130:131]
	v_fmac_f64_e32 v[138:139], v[140:141], v[136:137]
	s_waitcnt vmcnt(30)
	v_add_f64 v[118:119], v[118:119], -v[138:139]
	ds_read2_b64 v[138:141], v156 offset0:10 offset1:11
	v_add_f64 v[116:117], v[116:117], -v[128:129]
	s_waitcnt lgkmcnt(1)
	v_mul_f64 v[128:129], v[144:145], v[130:131]
	v_fma_f64 v[128:129], v[142:143], v[136:137], -v[128:129]
	v_mul_f64 v[142:143], v[142:143], v[130:131]
	v_fmac_f64_e32 v[142:143], v[144:145], v[136:137]
	s_waitcnt vmcnt(29)
	v_add_f64 v[112:113], v[112:113], -v[128:129]
	v_add_f64 v[114:115], v[114:115], -v[142:143]
	ds_read2_b64 v[142:145], v156 offset0:12 offset1:13
	;; [unrolled: 18-line block ×15, first 2 shown]
	s_waitcnt lgkmcnt(1)
	v_mul_f64 v[128:129], v[140:141], v[130:131]
	v_fma_f64 v[128:129], v[138:139], v[136:137], -v[128:129]
	v_mul_f64 v[138:139], v[138:139], v[130:131]
	v_fmac_f64_e32 v[138:139], v[140:141], v[136:137]
	s_waitcnt vmcnt(2)
	v_add_f64 v[6:7], v[6:7], -v[138:139]
	ds_read2_b64 v[138:141], v156 offset0:66 offset1:67
	v_add_f64 v[4:5], v[4:5], -v[128:129]
	s_waitcnt lgkmcnt(1)
	v_mul_f64 v[128:129], v[144:145], v[130:131]
	v_fma_f64 v[128:129], v[142:143], v[136:137], -v[128:129]
	s_waitcnt vmcnt(1)
	v_add_f64 v[0:1], v[0:1], -v[128:129]
	s_waitcnt lgkmcnt(0)
	v_mul_f64 v[128:129], v[140:141], v[130:131]
	v_mul_f64 v[142:143], v[142:143], v[130:131]
	v_fma_f64 v[128:129], v[138:139], v[136:137], -v[128:129]
	v_mul_f64 v[138:139], v[138:139], v[130:131]
	v_fmac_f64_e32 v[142:143], v[144:145], v[136:137]
	v_fmac_f64_e32 v[138:139], v[140:141], v[136:137]
	v_add_f64 v[2:3], v[2:3], -v[142:143]
	s_waitcnt vmcnt(0)
	v_add_f64 v[132:133], v[132:133], -v[128:129]
	v_add_f64 v[134:135], v[134:135], -v[138:139]
	v_mov_b64_e32 v[128:129], v[136:137]
.LBB67_10:
	s_or_b64 exec, exec, s[4:5]
	v_cmp_eq_u32_e32 vcc, 1, v154
	s_waitcnt lgkmcnt(0)
	s_barrier
	s_and_saveexec_b64 s[4:5], vcc
	s_cbranch_execz .LBB67_17
; %bb.11:
	s_waitcnt vmcnt(33)
	ds_write2_b64 v155, v[124:125], v[126:127] offset1:1
	s_waitcnt vmcnt(31)
	ds_write2_b64 v156, v[120:121], v[122:123] offset0:4 offset1:5
	s_waitcnt vmcnt(30)
	ds_write2_b64 v156, v[116:117], v[118:119] offset0:6 offset1:7
	;; [unrolled: 2-line block ×32, first 2 shown]
	ds_read2_b64 v[136:139], v155 offset1:1
	s_waitcnt lgkmcnt(0)
	v_cmp_neq_f64_e32 vcc, 0, v[136:137]
	v_cmp_neq_f64_e64 s[2:3], 0, v[138:139]
	s_or_b64 s[2:3], vcc, s[2:3]
	s_and_b64 exec, exec, s[2:3]
	s_cbranch_execz .LBB67_17
; %bb.12:
	v_cmp_ngt_f64_e64 s[2:3], |v[136:137]|, |v[138:139]|
                                        ; implicit-def: $vgpr140_vgpr141
	s_and_saveexec_b64 s[10:11], s[2:3]
	s_xor_b64 s[2:3], exec, s[10:11]
                                        ; implicit-def: $vgpr142_vgpr143
	s_cbranch_execz .LBB67_14
; %bb.13:
	v_div_scale_f64 v[140:141], s[10:11], v[138:139], v[138:139], v[136:137]
	v_rcp_f64_e32 v[142:143], v[140:141]
	v_div_scale_f64 v[144:145], vcc, v[136:137], v[138:139], v[136:137]
	v_fma_f64 v[146:147], -v[140:141], v[142:143], 1.0
	v_fmac_f64_e32 v[142:143], v[142:143], v[146:147]
	v_fma_f64 v[146:147], -v[140:141], v[142:143], 1.0
	v_fmac_f64_e32 v[142:143], v[142:143], v[146:147]
	v_mul_f64 v[146:147], v[144:145], v[142:143]
	v_fma_f64 v[140:141], -v[140:141], v[146:147], v[144:145]
	v_div_fmas_f64 v[140:141], v[140:141], v[142:143], v[146:147]
	v_div_fixup_f64 v[140:141], v[140:141], v[138:139], v[136:137]
	v_fmac_f64_e32 v[138:139], v[136:137], v[140:141]
	v_div_scale_f64 v[136:137], s[10:11], v[138:139], v[138:139], 1.0
	v_rcp_f64_e32 v[142:143], v[136:137]
	s_nop 0
	v_fma_f64 v[144:145], -v[136:137], v[142:143], 1.0
	v_fmac_f64_e32 v[142:143], v[142:143], v[144:145]
	v_fma_f64 v[144:145], -v[136:137], v[142:143], 1.0
	v_fmac_f64_e32 v[142:143], v[142:143], v[144:145]
	v_div_scale_f64 v[144:145], vcc, 1.0, v[138:139], 1.0
	v_mul_f64 v[146:147], v[144:145], v[142:143]
	v_fma_f64 v[136:137], -v[136:137], v[146:147], v[144:145]
	s_nop 1
	v_div_fmas_f64 v[136:137], v[136:137], v[142:143], v[146:147]
	v_div_fixup_f64 v[142:143], v[136:137], v[138:139], 1.0
	v_mul_f64 v[140:141], v[140:141], v[142:143]
	v_xor_b32_e32 v143, 0x80000000, v143
                                        ; implicit-def: $vgpr136_vgpr137
.LBB67_14:
	s_andn2_saveexec_b64 s[2:3], s[2:3]
	s_cbranch_execz .LBB67_16
; %bb.15:
	v_div_scale_f64 v[140:141], s[10:11], v[136:137], v[136:137], v[138:139]
	v_rcp_f64_e32 v[142:143], v[140:141]
	v_div_scale_f64 v[144:145], vcc, v[138:139], v[136:137], v[138:139]
	v_fma_f64 v[146:147], -v[140:141], v[142:143], 1.0
	v_fmac_f64_e32 v[142:143], v[142:143], v[146:147]
	v_fma_f64 v[146:147], -v[140:141], v[142:143], 1.0
	v_fmac_f64_e32 v[142:143], v[142:143], v[146:147]
	v_mul_f64 v[146:147], v[144:145], v[142:143]
	v_fma_f64 v[140:141], -v[140:141], v[146:147], v[144:145]
	v_div_fmas_f64 v[140:141], v[140:141], v[142:143], v[146:147]
	v_div_fixup_f64 v[142:143], v[140:141], v[136:137], v[138:139]
	v_fmac_f64_e32 v[136:137], v[138:139], v[142:143]
	v_div_scale_f64 v[138:139], s[10:11], v[136:137], v[136:137], 1.0
	v_rcp_f64_e32 v[140:141], v[138:139]
	s_nop 0
	v_fma_f64 v[144:145], -v[138:139], v[140:141], 1.0
	v_fmac_f64_e32 v[140:141], v[140:141], v[144:145]
	v_fma_f64 v[144:145], -v[138:139], v[140:141], 1.0
	v_fmac_f64_e32 v[140:141], v[140:141], v[144:145]
	v_div_scale_f64 v[144:145], vcc, 1.0, v[136:137], 1.0
	v_mul_f64 v[146:147], v[144:145], v[140:141]
	v_fma_f64 v[138:139], -v[138:139], v[146:147], v[144:145]
	s_nop 1
	v_div_fmas_f64 v[138:139], v[138:139], v[140:141], v[146:147]
	v_div_fixup_f64 v[140:141], v[138:139], v[136:137], 1.0
	v_mul_f64 v[142:143], v[142:143], -v[140:141]
.LBB67_16:
	s_or_b64 exec, exec, s[2:3]
	ds_write2_b64 v155, v[140:141], v[142:143] offset1:1
.LBB67_17:
	s_or_b64 exec, exec, s[4:5]
	s_waitcnt lgkmcnt(0)
	s_barrier
	ds_read2_b64 v[228:231], v155 offset1:1
	v_cmp_lt_u32_e32 vcc, 1, v154
	s_and_saveexec_b64 s[2:3], vcc
	s_cbranch_execz .LBB67_19
; %bb.18:
	ds_read2_b64 v[138:141], v156 offset0:4 offset1:5
	ds_read2_b64 v[142:145], v156 offset0:6 offset1:7
	s_waitcnt vmcnt(33) lgkmcnt(2)
	v_mul_f64 v[136:137], v[230:231], v[126:127]
	v_mul_f64 v[126:127], v[228:229], v[126:127]
	v_fmac_f64_e32 v[126:127], v[230:231], v[124:125]
	v_fma_f64 v[136:137], v[228:229], v[124:125], -v[136:137]
	s_waitcnt lgkmcnt(1)
	v_mul_f64 v[124:125], v[140:141], v[126:127]
	v_fma_f64 v[124:125], v[138:139], v[136:137], -v[124:125]
	v_mul_f64 v[138:139], v[138:139], v[126:127]
	v_fmac_f64_e32 v[138:139], v[140:141], v[136:137]
	s_waitcnt vmcnt(31)
	v_add_f64 v[120:121], v[120:121], -v[124:125]
	v_add_f64 v[122:123], v[122:123], -v[138:139]
	s_waitcnt lgkmcnt(0)
	v_mul_f64 v[124:125], v[144:145], v[126:127]
	ds_read2_b64 v[138:141], v156 offset0:8 offset1:9
	v_fma_f64 v[124:125], v[142:143], v[136:137], -v[124:125]
	v_mul_f64 v[142:143], v[142:143], v[126:127]
	v_fmac_f64_e32 v[142:143], v[144:145], v[136:137]
	s_waitcnt vmcnt(30)
	v_add_f64 v[118:119], v[118:119], -v[142:143]
	ds_read2_b64 v[142:145], v156 offset0:10 offset1:11
	v_add_f64 v[116:117], v[116:117], -v[124:125]
	s_waitcnt lgkmcnt(1)
	v_mul_f64 v[124:125], v[140:141], v[126:127]
	v_fma_f64 v[124:125], v[138:139], v[136:137], -v[124:125]
	v_mul_f64 v[138:139], v[138:139], v[126:127]
	v_fmac_f64_e32 v[138:139], v[140:141], v[136:137]
	s_waitcnt vmcnt(29)
	v_add_f64 v[112:113], v[112:113], -v[124:125]
	v_add_f64 v[114:115], v[114:115], -v[138:139]
	s_waitcnt lgkmcnt(0)
	v_mul_f64 v[124:125], v[144:145], v[126:127]
	ds_read2_b64 v[138:141], v156 offset0:12 offset1:13
	v_fma_f64 v[124:125], v[142:143], v[136:137], -v[124:125]
	v_mul_f64 v[142:143], v[142:143], v[126:127]
	v_fmac_f64_e32 v[142:143], v[144:145], v[136:137]
	s_waitcnt vmcnt(28)
	v_add_f64 v[110:111], v[110:111], -v[142:143]
	ds_read2_b64 v[142:145], v156 offset0:14 offset1:15
	v_add_f64 v[108:109], v[108:109], -v[124:125]
	;; [unrolled: 18-line block ×15, first 2 shown]
	s_waitcnt lgkmcnt(1)
	v_mul_f64 v[124:125], v[140:141], v[126:127]
	v_fma_f64 v[124:125], v[138:139], v[136:137], -v[124:125]
	v_mul_f64 v[138:139], v[138:139], v[126:127]
	v_fmac_f64_e32 v[138:139], v[140:141], v[136:137]
	s_waitcnt vmcnt(1)
	v_add_f64 v[0:1], v[0:1], -v[124:125]
	v_add_f64 v[2:3], v[2:3], -v[138:139]
	s_waitcnt lgkmcnt(0)
	v_mul_f64 v[124:125], v[144:145], v[126:127]
	v_mul_f64 v[138:139], v[142:143], v[126:127]
	v_fma_f64 v[124:125], v[142:143], v[136:137], -v[124:125]
	v_fmac_f64_e32 v[138:139], v[144:145], v[136:137]
	s_waitcnt vmcnt(0)
	v_add_f64 v[132:133], v[132:133], -v[124:125]
	v_add_f64 v[134:135], v[134:135], -v[138:139]
	v_mov_b64_e32 v[124:125], v[136:137]
.LBB67_19:
	s_or_b64 exec, exec, s[2:3]
	v_cmp_eq_u32_e32 vcc, 2, v154
	s_waitcnt lgkmcnt(0)
	s_barrier
	s_and_saveexec_b64 s[4:5], vcc
	s_cbranch_execz .LBB67_26
; %bb.20:
	s_waitcnt vmcnt(31)
	ds_write2_b64 v155, v[120:121], v[122:123] offset1:1
	s_waitcnt vmcnt(30)
	ds_write2_b64 v156, v[116:117], v[118:119] offset0:6 offset1:7
	s_waitcnt vmcnt(29)
	ds_write2_b64 v156, v[112:113], v[114:115] offset0:8 offset1:9
	;; [unrolled: 2-line block ×31, first 2 shown]
	ds_read2_b64 v[136:139], v155 offset1:1
	s_waitcnt lgkmcnt(0)
	v_cmp_neq_f64_e32 vcc, 0, v[136:137]
	v_cmp_neq_f64_e64 s[2:3], 0, v[138:139]
	s_or_b64 s[2:3], vcc, s[2:3]
	s_and_b64 exec, exec, s[2:3]
	s_cbranch_execz .LBB67_26
; %bb.21:
	v_cmp_ngt_f64_e64 s[2:3], |v[136:137]|, |v[138:139]|
                                        ; implicit-def: $vgpr140_vgpr141
	s_and_saveexec_b64 s[10:11], s[2:3]
	s_xor_b64 s[2:3], exec, s[10:11]
                                        ; implicit-def: $vgpr142_vgpr143
	s_cbranch_execz .LBB67_23
; %bb.22:
	v_div_scale_f64 v[140:141], s[10:11], v[138:139], v[138:139], v[136:137]
	v_rcp_f64_e32 v[142:143], v[140:141]
	v_div_scale_f64 v[144:145], vcc, v[136:137], v[138:139], v[136:137]
	v_fma_f64 v[146:147], -v[140:141], v[142:143], 1.0
	v_fmac_f64_e32 v[142:143], v[142:143], v[146:147]
	v_fma_f64 v[146:147], -v[140:141], v[142:143], 1.0
	v_fmac_f64_e32 v[142:143], v[142:143], v[146:147]
	v_mul_f64 v[146:147], v[144:145], v[142:143]
	v_fma_f64 v[140:141], -v[140:141], v[146:147], v[144:145]
	v_div_fmas_f64 v[140:141], v[140:141], v[142:143], v[146:147]
	v_div_fixup_f64 v[140:141], v[140:141], v[138:139], v[136:137]
	v_fmac_f64_e32 v[138:139], v[136:137], v[140:141]
	v_div_scale_f64 v[136:137], s[10:11], v[138:139], v[138:139], 1.0
	v_rcp_f64_e32 v[142:143], v[136:137]
	s_nop 0
	v_fma_f64 v[144:145], -v[136:137], v[142:143], 1.0
	v_fmac_f64_e32 v[142:143], v[142:143], v[144:145]
	v_fma_f64 v[144:145], -v[136:137], v[142:143], 1.0
	v_fmac_f64_e32 v[142:143], v[142:143], v[144:145]
	v_div_scale_f64 v[144:145], vcc, 1.0, v[138:139], 1.0
	v_mul_f64 v[146:147], v[144:145], v[142:143]
	v_fma_f64 v[136:137], -v[136:137], v[146:147], v[144:145]
	s_nop 1
	v_div_fmas_f64 v[136:137], v[136:137], v[142:143], v[146:147]
	v_div_fixup_f64 v[142:143], v[136:137], v[138:139], 1.0
	v_mul_f64 v[140:141], v[140:141], v[142:143]
	v_xor_b32_e32 v143, 0x80000000, v143
                                        ; implicit-def: $vgpr136_vgpr137
.LBB67_23:
	s_andn2_saveexec_b64 s[2:3], s[2:3]
	s_cbranch_execz .LBB67_25
; %bb.24:
	v_div_scale_f64 v[140:141], s[10:11], v[136:137], v[136:137], v[138:139]
	v_rcp_f64_e32 v[142:143], v[140:141]
	v_div_scale_f64 v[144:145], vcc, v[138:139], v[136:137], v[138:139]
	v_fma_f64 v[146:147], -v[140:141], v[142:143], 1.0
	v_fmac_f64_e32 v[142:143], v[142:143], v[146:147]
	v_fma_f64 v[146:147], -v[140:141], v[142:143], 1.0
	v_fmac_f64_e32 v[142:143], v[142:143], v[146:147]
	v_mul_f64 v[146:147], v[144:145], v[142:143]
	v_fma_f64 v[140:141], -v[140:141], v[146:147], v[144:145]
	v_div_fmas_f64 v[140:141], v[140:141], v[142:143], v[146:147]
	v_div_fixup_f64 v[142:143], v[140:141], v[136:137], v[138:139]
	v_fmac_f64_e32 v[136:137], v[138:139], v[142:143]
	v_div_scale_f64 v[138:139], s[10:11], v[136:137], v[136:137], 1.0
	v_rcp_f64_e32 v[140:141], v[138:139]
	s_nop 0
	v_fma_f64 v[144:145], -v[138:139], v[140:141], 1.0
	v_fmac_f64_e32 v[140:141], v[140:141], v[144:145]
	v_fma_f64 v[144:145], -v[138:139], v[140:141], 1.0
	v_fmac_f64_e32 v[140:141], v[140:141], v[144:145]
	v_div_scale_f64 v[144:145], vcc, 1.0, v[136:137], 1.0
	v_mul_f64 v[146:147], v[144:145], v[140:141]
	v_fma_f64 v[138:139], -v[138:139], v[146:147], v[144:145]
	s_nop 1
	v_div_fmas_f64 v[138:139], v[138:139], v[140:141], v[146:147]
	v_div_fixup_f64 v[140:141], v[138:139], v[136:137], 1.0
	v_mul_f64 v[142:143], v[142:143], -v[140:141]
.LBB67_25:
	s_or_b64 exec, exec, s[2:3]
	ds_write2_b64 v155, v[140:141], v[142:143] offset1:1
.LBB67_26:
	s_or_b64 exec, exec, s[4:5]
	s_waitcnt lgkmcnt(0)
	s_barrier
	ds_read2_b64 v[232:235], v155 offset1:1
	v_cmp_lt_u32_e32 vcc, 2, v154
	s_and_saveexec_b64 s[2:3], vcc
	s_cbranch_execz .LBB67_28
; %bb.27:
	ds_read2_b64 v[138:141], v156 offset0:6 offset1:7
	ds_read2_b64 v[142:145], v156 offset0:8 offset1:9
	s_waitcnt vmcnt(31) lgkmcnt(2)
	v_mul_f64 v[136:137], v[234:235], v[122:123]
	v_mul_f64 v[122:123], v[232:233], v[122:123]
	v_fmac_f64_e32 v[122:123], v[234:235], v[120:121]
	v_fma_f64 v[136:137], v[232:233], v[120:121], -v[136:137]
	s_waitcnt lgkmcnt(1)
	v_mul_f64 v[120:121], v[140:141], v[122:123]
	v_fma_f64 v[120:121], v[138:139], v[136:137], -v[120:121]
	v_mul_f64 v[138:139], v[138:139], v[122:123]
	v_fmac_f64_e32 v[138:139], v[140:141], v[136:137]
	s_waitcnt vmcnt(30)
	v_add_f64 v[118:119], v[118:119], -v[138:139]
	ds_read2_b64 v[138:141], v156 offset0:10 offset1:11
	v_add_f64 v[116:117], v[116:117], -v[120:121]
	s_waitcnt lgkmcnt(1)
	v_mul_f64 v[120:121], v[144:145], v[122:123]
	v_fma_f64 v[120:121], v[142:143], v[136:137], -v[120:121]
	v_mul_f64 v[142:143], v[142:143], v[122:123]
	v_fmac_f64_e32 v[142:143], v[144:145], v[136:137]
	s_waitcnt vmcnt(29)
	v_add_f64 v[112:113], v[112:113], -v[120:121]
	v_add_f64 v[114:115], v[114:115], -v[142:143]
	ds_read2_b64 v[142:145], v156 offset0:12 offset1:13
	s_waitcnt lgkmcnt(1)
	v_mul_f64 v[120:121], v[140:141], v[122:123]
	v_fma_f64 v[120:121], v[138:139], v[136:137], -v[120:121]
	v_mul_f64 v[138:139], v[138:139], v[122:123]
	v_fmac_f64_e32 v[138:139], v[140:141], v[136:137]
	s_waitcnt vmcnt(28)
	v_add_f64 v[110:111], v[110:111], -v[138:139]
	ds_read2_b64 v[138:141], v156 offset0:14 offset1:15
	v_add_f64 v[108:109], v[108:109], -v[120:121]
	s_waitcnt lgkmcnt(1)
	v_mul_f64 v[120:121], v[144:145], v[122:123]
	v_fma_f64 v[120:121], v[142:143], v[136:137], -v[120:121]
	v_mul_f64 v[142:143], v[142:143], v[122:123]
	v_fmac_f64_e32 v[142:143], v[144:145], v[136:137]
	s_waitcnt vmcnt(27)
	v_add_f64 v[104:105], v[104:105], -v[120:121]
	v_add_f64 v[106:107], v[106:107], -v[142:143]
	ds_read2_b64 v[142:145], v156 offset0:16 offset1:17
	s_waitcnt lgkmcnt(1)
	v_mul_f64 v[120:121], v[140:141], v[122:123]
	v_fma_f64 v[120:121], v[138:139], v[136:137], -v[120:121]
	v_mul_f64 v[138:139], v[138:139], v[122:123]
	v_fmac_f64_e32 v[138:139], v[140:141], v[136:137]
	s_waitcnt vmcnt(26)
	v_add_f64 v[102:103], v[102:103], -v[138:139]
	ds_read2_b64 v[138:141], v156 offset0:18 offset1:19
	v_add_f64 v[100:101], v[100:101], -v[120:121]
	s_waitcnt lgkmcnt(1)
	v_mul_f64 v[120:121], v[144:145], v[122:123]
	v_fma_f64 v[120:121], v[142:143], v[136:137], -v[120:121]
	v_mul_f64 v[142:143], v[142:143], v[122:123]
	v_fmac_f64_e32 v[142:143], v[144:145], v[136:137]
	s_waitcnt vmcnt(25)
	v_add_f64 v[96:97], v[96:97], -v[120:121]
	v_add_f64 v[98:99], v[98:99], -v[142:143]
	ds_read2_b64 v[142:145], v156 offset0:20 offset1:21
	s_waitcnt lgkmcnt(1)
	v_mul_f64 v[120:121], v[140:141], v[122:123]
	v_fma_f64 v[120:121], v[138:139], v[136:137], -v[120:121]
	v_mul_f64 v[138:139], v[138:139], v[122:123]
	v_fmac_f64_e32 v[138:139], v[140:141], v[136:137]
	s_waitcnt vmcnt(24)
	v_add_f64 v[94:95], v[94:95], -v[138:139]
	ds_read2_b64 v[138:141], v156 offset0:22 offset1:23
	v_add_f64 v[92:93], v[92:93], -v[120:121]
	s_waitcnt lgkmcnt(1)
	v_mul_f64 v[120:121], v[144:145], v[122:123]
	v_fma_f64 v[120:121], v[142:143], v[136:137], -v[120:121]
	v_mul_f64 v[142:143], v[142:143], v[122:123]
	v_fmac_f64_e32 v[142:143], v[144:145], v[136:137]
	s_waitcnt vmcnt(23)
	v_add_f64 v[88:89], v[88:89], -v[120:121]
	v_add_f64 v[90:91], v[90:91], -v[142:143]
	ds_read2_b64 v[142:145], v156 offset0:24 offset1:25
	s_waitcnt lgkmcnt(1)
	v_mul_f64 v[120:121], v[140:141], v[122:123]
	v_fma_f64 v[120:121], v[138:139], v[136:137], -v[120:121]
	v_mul_f64 v[138:139], v[138:139], v[122:123]
	v_fmac_f64_e32 v[138:139], v[140:141], v[136:137]
	s_waitcnt vmcnt(22)
	v_add_f64 v[86:87], v[86:87], -v[138:139]
	ds_read2_b64 v[138:141], v156 offset0:26 offset1:27
	v_add_f64 v[84:85], v[84:85], -v[120:121]
	s_waitcnt lgkmcnt(1)
	v_mul_f64 v[120:121], v[144:145], v[122:123]
	v_fma_f64 v[120:121], v[142:143], v[136:137], -v[120:121]
	v_mul_f64 v[142:143], v[142:143], v[122:123]
	v_fmac_f64_e32 v[142:143], v[144:145], v[136:137]
	s_waitcnt vmcnt(21)
	v_add_f64 v[80:81], v[80:81], -v[120:121]
	v_add_f64 v[82:83], v[82:83], -v[142:143]
	ds_read2_b64 v[142:145], v156 offset0:28 offset1:29
	s_waitcnt lgkmcnt(1)
	v_mul_f64 v[120:121], v[140:141], v[122:123]
	v_fma_f64 v[120:121], v[138:139], v[136:137], -v[120:121]
	v_mul_f64 v[138:139], v[138:139], v[122:123]
	v_fmac_f64_e32 v[138:139], v[140:141], v[136:137]
	s_waitcnt vmcnt(20)
	v_add_f64 v[78:79], v[78:79], -v[138:139]
	ds_read2_b64 v[138:141], v156 offset0:30 offset1:31
	v_add_f64 v[76:77], v[76:77], -v[120:121]
	s_waitcnt lgkmcnt(1)
	v_mul_f64 v[120:121], v[144:145], v[122:123]
	v_fma_f64 v[120:121], v[142:143], v[136:137], -v[120:121]
	v_mul_f64 v[142:143], v[142:143], v[122:123]
	v_fmac_f64_e32 v[142:143], v[144:145], v[136:137]
	s_waitcnt vmcnt(19)
	v_add_f64 v[72:73], v[72:73], -v[120:121]
	v_add_f64 v[74:75], v[74:75], -v[142:143]
	ds_read2_b64 v[142:145], v156 offset0:32 offset1:33
	s_waitcnt lgkmcnt(1)
	v_mul_f64 v[120:121], v[140:141], v[122:123]
	v_fma_f64 v[120:121], v[138:139], v[136:137], -v[120:121]
	v_mul_f64 v[138:139], v[138:139], v[122:123]
	v_fmac_f64_e32 v[138:139], v[140:141], v[136:137]
	s_waitcnt vmcnt(18)
	v_add_f64 v[70:71], v[70:71], -v[138:139]
	ds_read2_b64 v[138:141], v156 offset0:34 offset1:35
	v_add_f64 v[68:69], v[68:69], -v[120:121]
	s_waitcnt lgkmcnt(1)
	v_mul_f64 v[120:121], v[144:145], v[122:123]
	v_fma_f64 v[120:121], v[142:143], v[136:137], -v[120:121]
	v_mul_f64 v[142:143], v[142:143], v[122:123]
	v_fmac_f64_e32 v[142:143], v[144:145], v[136:137]
	s_waitcnt vmcnt(17)
	v_add_f64 v[64:65], v[64:65], -v[120:121]
	v_add_f64 v[66:67], v[66:67], -v[142:143]
	ds_read2_b64 v[142:145], v156 offset0:36 offset1:37
	s_waitcnt lgkmcnt(1)
	v_mul_f64 v[120:121], v[140:141], v[122:123]
	v_fma_f64 v[120:121], v[138:139], v[136:137], -v[120:121]
	v_mul_f64 v[138:139], v[138:139], v[122:123]
	v_fmac_f64_e32 v[138:139], v[140:141], v[136:137]
	s_waitcnt vmcnt(16)
	v_add_f64 v[62:63], v[62:63], -v[138:139]
	ds_read2_b64 v[138:141], v156 offset0:38 offset1:39
	v_add_f64 v[60:61], v[60:61], -v[120:121]
	s_waitcnt lgkmcnt(1)
	v_mul_f64 v[120:121], v[144:145], v[122:123]
	v_fma_f64 v[120:121], v[142:143], v[136:137], -v[120:121]
	v_mul_f64 v[142:143], v[142:143], v[122:123]
	v_fmac_f64_e32 v[142:143], v[144:145], v[136:137]
	s_waitcnt vmcnt(15)
	v_add_f64 v[56:57], v[56:57], -v[120:121]
	v_add_f64 v[58:59], v[58:59], -v[142:143]
	ds_read2_b64 v[142:145], v156 offset0:40 offset1:41
	s_waitcnt lgkmcnt(1)
	v_mul_f64 v[120:121], v[140:141], v[122:123]
	v_fma_f64 v[120:121], v[138:139], v[136:137], -v[120:121]
	v_mul_f64 v[138:139], v[138:139], v[122:123]
	v_fmac_f64_e32 v[138:139], v[140:141], v[136:137]
	s_waitcnt vmcnt(14)
	v_add_f64 v[54:55], v[54:55], -v[138:139]
	ds_read2_b64 v[138:141], v156 offset0:42 offset1:43
	v_add_f64 v[52:53], v[52:53], -v[120:121]
	s_waitcnt lgkmcnt(1)
	v_mul_f64 v[120:121], v[144:145], v[122:123]
	v_fma_f64 v[120:121], v[142:143], v[136:137], -v[120:121]
	v_mul_f64 v[142:143], v[142:143], v[122:123]
	v_fmac_f64_e32 v[142:143], v[144:145], v[136:137]
	s_waitcnt vmcnt(13)
	v_add_f64 v[48:49], v[48:49], -v[120:121]
	v_add_f64 v[50:51], v[50:51], -v[142:143]
	ds_read2_b64 v[142:145], v156 offset0:44 offset1:45
	s_waitcnt lgkmcnt(1)
	v_mul_f64 v[120:121], v[140:141], v[122:123]
	v_fma_f64 v[120:121], v[138:139], v[136:137], -v[120:121]
	v_mul_f64 v[138:139], v[138:139], v[122:123]
	v_fmac_f64_e32 v[138:139], v[140:141], v[136:137]
	s_waitcnt vmcnt(12)
	v_add_f64 v[46:47], v[46:47], -v[138:139]
	ds_read2_b64 v[138:141], v156 offset0:46 offset1:47
	v_add_f64 v[44:45], v[44:45], -v[120:121]
	s_waitcnt lgkmcnt(1)
	v_mul_f64 v[120:121], v[144:145], v[122:123]
	v_fma_f64 v[120:121], v[142:143], v[136:137], -v[120:121]
	v_mul_f64 v[142:143], v[142:143], v[122:123]
	v_fmac_f64_e32 v[142:143], v[144:145], v[136:137]
	s_waitcnt vmcnt(11)
	v_add_f64 v[40:41], v[40:41], -v[120:121]
	v_add_f64 v[42:43], v[42:43], -v[142:143]
	ds_read2_b64 v[142:145], v156 offset0:48 offset1:49
	s_waitcnt lgkmcnt(1)
	v_mul_f64 v[120:121], v[140:141], v[122:123]
	v_fma_f64 v[120:121], v[138:139], v[136:137], -v[120:121]
	v_mul_f64 v[138:139], v[138:139], v[122:123]
	v_fmac_f64_e32 v[138:139], v[140:141], v[136:137]
	s_waitcnt vmcnt(10)
	v_add_f64 v[38:39], v[38:39], -v[138:139]
	ds_read2_b64 v[138:141], v156 offset0:50 offset1:51
	v_add_f64 v[36:37], v[36:37], -v[120:121]
	s_waitcnt lgkmcnt(1)
	v_mul_f64 v[120:121], v[144:145], v[122:123]
	v_fma_f64 v[120:121], v[142:143], v[136:137], -v[120:121]
	v_mul_f64 v[142:143], v[142:143], v[122:123]
	v_fmac_f64_e32 v[142:143], v[144:145], v[136:137]
	s_waitcnt vmcnt(9)
	v_add_f64 v[32:33], v[32:33], -v[120:121]
	v_add_f64 v[34:35], v[34:35], -v[142:143]
	ds_read2_b64 v[142:145], v156 offset0:52 offset1:53
	s_waitcnt lgkmcnt(1)
	v_mul_f64 v[120:121], v[140:141], v[122:123]
	v_fma_f64 v[120:121], v[138:139], v[136:137], -v[120:121]
	v_mul_f64 v[138:139], v[138:139], v[122:123]
	v_fmac_f64_e32 v[138:139], v[140:141], v[136:137]
	s_waitcnt vmcnt(8)
	v_add_f64 v[30:31], v[30:31], -v[138:139]
	ds_read2_b64 v[138:141], v156 offset0:54 offset1:55
	v_add_f64 v[28:29], v[28:29], -v[120:121]
	s_waitcnt lgkmcnt(1)
	v_mul_f64 v[120:121], v[144:145], v[122:123]
	v_fma_f64 v[120:121], v[142:143], v[136:137], -v[120:121]
	v_mul_f64 v[142:143], v[142:143], v[122:123]
	v_fmac_f64_e32 v[142:143], v[144:145], v[136:137]
	s_waitcnt vmcnt(7)
	v_add_f64 v[24:25], v[24:25], -v[120:121]
	v_add_f64 v[26:27], v[26:27], -v[142:143]
	ds_read2_b64 v[142:145], v156 offset0:56 offset1:57
	s_waitcnt lgkmcnt(1)
	v_mul_f64 v[120:121], v[140:141], v[122:123]
	v_fma_f64 v[120:121], v[138:139], v[136:137], -v[120:121]
	v_mul_f64 v[138:139], v[138:139], v[122:123]
	v_fmac_f64_e32 v[138:139], v[140:141], v[136:137]
	s_waitcnt vmcnt(6)
	v_add_f64 v[22:23], v[22:23], -v[138:139]
	ds_read2_b64 v[138:141], v156 offset0:58 offset1:59
	v_add_f64 v[20:21], v[20:21], -v[120:121]
	s_waitcnt lgkmcnt(1)
	v_mul_f64 v[120:121], v[144:145], v[122:123]
	v_fma_f64 v[120:121], v[142:143], v[136:137], -v[120:121]
	v_mul_f64 v[142:143], v[142:143], v[122:123]
	v_fmac_f64_e32 v[142:143], v[144:145], v[136:137]
	s_waitcnt vmcnt(5)
	v_add_f64 v[16:17], v[16:17], -v[120:121]
	v_add_f64 v[18:19], v[18:19], -v[142:143]
	ds_read2_b64 v[142:145], v156 offset0:60 offset1:61
	s_waitcnt lgkmcnt(1)
	v_mul_f64 v[120:121], v[140:141], v[122:123]
	v_fma_f64 v[120:121], v[138:139], v[136:137], -v[120:121]
	v_mul_f64 v[138:139], v[138:139], v[122:123]
	v_fmac_f64_e32 v[138:139], v[140:141], v[136:137]
	s_waitcnt vmcnt(4)
	v_add_f64 v[14:15], v[14:15], -v[138:139]
	ds_read2_b64 v[138:141], v156 offset0:62 offset1:63
	v_add_f64 v[12:13], v[12:13], -v[120:121]
	s_waitcnt lgkmcnt(1)
	v_mul_f64 v[120:121], v[144:145], v[122:123]
	v_fma_f64 v[120:121], v[142:143], v[136:137], -v[120:121]
	v_mul_f64 v[142:143], v[142:143], v[122:123]
	v_fmac_f64_e32 v[142:143], v[144:145], v[136:137]
	s_waitcnt vmcnt(3)
	v_add_f64 v[8:9], v[8:9], -v[120:121]
	v_add_f64 v[10:11], v[10:11], -v[142:143]
	ds_read2_b64 v[142:145], v156 offset0:64 offset1:65
	s_waitcnt lgkmcnt(1)
	v_mul_f64 v[120:121], v[140:141], v[122:123]
	v_fma_f64 v[120:121], v[138:139], v[136:137], -v[120:121]
	v_mul_f64 v[138:139], v[138:139], v[122:123]
	v_fmac_f64_e32 v[138:139], v[140:141], v[136:137]
	s_waitcnt vmcnt(2)
	v_add_f64 v[6:7], v[6:7], -v[138:139]
	ds_read2_b64 v[138:141], v156 offset0:66 offset1:67
	v_add_f64 v[4:5], v[4:5], -v[120:121]
	s_waitcnt lgkmcnt(1)
	v_mul_f64 v[120:121], v[144:145], v[122:123]
	v_fma_f64 v[120:121], v[142:143], v[136:137], -v[120:121]
	s_waitcnt vmcnt(1)
	v_add_f64 v[0:1], v[0:1], -v[120:121]
	s_waitcnt lgkmcnt(0)
	v_mul_f64 v[120:121], v[140:141], v[122:123]
	v_mul_f64 v[142:143], v[142:143], v[122:123]
	v_fma_f64 v[120:121], v[138:139], v[136:137], -v[120:121]
	v_mul_f64 v[138:139], v[138:139], v[122:123]
	v_fmac_f64_e32 v[142:143], v[144:145], v[136:137]
	v_fmac_f64_e32 v[138:139], v[140:141], v[136:137]
	v_add_f64 v[2:3], v[2:3], -v[142:143]
	s_waitcnt vmcnt(0)
	v_add_f64 v[132:133], v[132:133], -v[120:121]
	v_add_f64 v[134:135], v[134:135], -v[138:139]
	v_mov_b64_e32 v[120:121], v[136:137]
.LBB67_28:
	s_or_b64 exec, exec, s[2:3]
	v_cmp_eq_u32_e32 vcc, 3, v154
	s_waitcnt lgkmcnt(0)
	s_barrier
	s_and_saveexec_b64 s[4:5], vcc
	s_cbranch_execz .LBB67_35
; %bb.29:
	s_waitcnt vmcnt(30)
	ds_write2_b64 v155, v[116:117], v[118:119] offset1:1
	s_waitcnt vmcnt(29)
	ds_write2_b64 v156, v[112:113], v[114:115] offset0:8 offset1:9
	s_waitcnt vmcnt(28)
	ds_write2_b64 v156, v[108:109], v[110:111] offset0:10 offset1:11
	;; [unrolled: 2-line block ×30, first 2 shown]
	ds_read2_b64 v[136:139], v155 offset1:1
	s_waitcnt lgkmcnt(0)
	v_cmp_neq_f64_e32 vcc, 0, v[136:137]
	v_cmp_neq_f64_e64 s[2:3], 0, v[138:139]
	s_or_b64 s[2:3], vcc, s[2:3]
	s_and_b64 exec, exec, s[2:3]
	s_cbranch_execz .LBB67_35
; %bb.30:
	v_cmp_ngt_f64_e64 s[2:3], |v[136:137]|, |v[138:139]|
                                        ; implicit-def: $vgpr140_vgpr141
	s_and_saveexec_b64 s[10:11], s[2:3]
	s_xor_b64 s[2:3], exec, s[10:11]
                                        ; implicit-def: $vgpr142_vgpr143
	s_cbranch_execz .LBB67_32
; %bb.31:
	v_div_scale_f64 v[140:141], s[10:11], v[138:139], v[138:139], v[136:137]
	v_rcp_f64_e32 v[142:143], v[140:141]
	v_div_scale_f64 v[144:145], vcc, v[136:137], v[138:139], v[136:137]
	v_fma_f64 v[146:147], -v[140:141], v[142:143], 1.0
	v_fmac_f64_e32 v[142:143], v[142:143], v[146:147]
	v_fma_f64 v[146:147], -v[140:141], v[142:143], 1.0
	v_fmac_f64_e32 v[142:143], v[142:143], v[146:147]
	v_mul_f64 v[146:147], v[144:145], v[142:143]
	v_fma_f64 v[140:141], -v[140:141], v[146:147], v[144:145]
	v_div_fmas_f64 v[140:141], v[140:141], v[142:143], v[146:147]
	v_div_fixup_f64 v[140:141], v[140:141], v[138:139], v[136:137]
	v_fmac_f64_e32 v[138:139], v[136:137], v[140:141]
	v_div_scale_f64 v[136:137], s[10:11], v[138:139], v[138:139], 1.0
	v_rcp_f64_e32 v[142:143], v[136:137]
	s_nop 0
	v_fma_f64 v[144:145], -v[136:137], v[142:143], 1.0
	v_fmac_f64_e32 v[142:143], v[142:143], v[144:145]
	v_fma_f64 v[144:145], -v[136:137], v[142:143], 1.0
	v_fmac_f64_e32 v[142:143], v[142:143], v[144:145]
	v_div_scale_f64 v[144:145], vcc, 1.0, v[138:139], 1.0
	v_mul_f64 v[146:147], v[144:145], v[142:143]
	v_fma_f64 v[136:137], -v[136:137], v[146:147], v[144:145]
	s_nop 1
	v_div_fmas_f64 v[136:137], v[136:137], v[142:143], v[146:147]
	v_div_fixup_f64 v[142:143], v[136:137], v[138:139], 1.0
	v_mul_f64 v[140:141], v[140:141], v[142:143]
	v_xor_b32_e32 v143, 0x80000000, v143
                                        ; implicit-def: $vgpr136_vgpr137
.LBB67_32:
	s_andn2_saveexec_b64 s[2:3], s[2:3]
	s_cbranch_execz .LBB67_34
; %bb.33:
	v_div_scale_f64 v[140:141], s[10:11], v[136:137], v[136:137], v[138:139]
	v_rcp_f64_e32 v[142:143], v[140:141]
	v_div_scale_f64 v[144:145], vcc, v[138:139], v[136:137], v[138:139]
	v_fma_f64 v[146:147], -v[140:141], v[142:143], 1.0
	v_fmac_f64_e32 v[142:143], v[142:143], v[146:147]
	v_fma_f64 v[146:147], -v[140:141], v[142:143], 1.0
	v_fmac_f64_e32 v[142:143], v[142:143], v[146:147]
	v_mul_f64 v[146:147], v[144:145], v[142:143]
	v_fma_f64 v[140:141], -v[140:141], v[146:147], v[144:145]
	v_div_fmas_f64 v[140:141], v[140:141], v[142:143], v[146:147]
	v_div_fixup_f64 v[142:143], v[140:141], v[136:137], v[138:139]
	v_fmac_f64_e32 v[136:137], v[138:139], v[142:143]
	v_div_scale_f64 v[138:139], s[10:11], v[136:137], v[136:137], 1.0
	v_rcp_f64_e32 v[140:141], v[138:139]
	s_nop 0
	v_fma_f64 v[144:145], -v[138:139], v[140:141], 1.0
	v_fmac_f64_e32 v[140:141], v[140:141], v[144:145]
	v_fma_f64 v[144:145], -v[138:139], v[140:141], 1.0
	v_fmac_f64_e32 v[140:141], v[140:141], v[144:145]
	v_div_scale_f64 v[144:145], vcc, 1.0, v[136:137], 1.0
	v_mul_f64 v[146:147], v[144:145], v[140:141]
	v_fma_f64 v[138:139], -v[138:139], v[146:147], v[144:145]
	s_nop 1
	v_div_fmas_f64 v[138:139], v[138:139], v[140:141], v[146:147]
	v_div_fixup_f64 v[140:141], v[138:139], v[136:137], 1.0
	v_mul_f64 v[142:143], v[142:143], -v[140:141]
.LBB67_34:
	s_or_b64 exec, exec, s[2:3]
	ds_write2_b64 v155, v[140:141], v[142:143] offset1:1
.LBB67_35:
	s_or_b64 exec, exec, s[4:5]
	s_waitcnt lgkmcnt(0)
	s_barrier
	ds_read2_b64 v[236:239], v155 offset1:1
	v_cmp_lt_u32_e32 vcc, 3, v154
	s_and_saveexec_b64 s[2:3], vcc
	s_cbranch_execz .LBB67_37
; %bb.36:
	ds_read2_b64 v[138:141], v156 offset0:8 offset1:9
	ds_read2_b64 v[142:145], v156 offset0:10 offset1:11
	s_waitcnt vmcnt(30) lgkmcnt(2)
	v_mul_f64 v[136:137], v[238:239], v[118:119]
	v_mul_f64 v[118:119], v[236:237], v[118:119]
	v_fmac_f64_e32 v[118:119], v[238:239], v[116:117]
	v_fma_f64 v[136:137], v[236:237], v[116:117], -v[136:137]
	s_waitcnt lgkmcnt(1)
	v_mul_f64 v[116:117], v[140:141], v[118:119]
	v_fma_f64 v[116:117], v[138:139], v[136:137], -v[116:117]
	v_mul_f64 v[138:139], v[138:139], v[118:119]
	v_fmac_f64_e32 v[138:139], v[140:141], v[136:137]
	s_waitcnt vmcnt(29)
	v_add_f64 v[112:113], v[112:113], -v[116:117]
	v_add_f64 v[114:115], v[114:115], -v[138:139]
	s_waitcnt lgkmcnt(0)
	v_mul_f64 v[116:117], v[144:145], v[118:119]
	ds_read2_b64 v[138:141], v156 offset0:12 offset1:13
	v_fma_f64 v[116:117], v[142:143], v[136:137], -v[116:117]
	v_mul_f64 v[142:143], v[142:143], v[118:119]
	v_fmac_f64_e32 v[142:143], v[144:145], v[136:137]
	s_waitcnt vmcnt(28)
	v_add_f64 v[110:111], v[110:111], -v[142:143]
	ds_read2_b64 v[142:145], v156 offset0:14 offset1:15
	v_add_f64 v[108:109], v[108:109], -v[116:117]
	s_waitcnt lgkmcnt(1)
	v_mul_f64 v[116:117], v[140:141], v[118:119]
	v_fma_f64 v[116:117], v[138:139], v[136:137], -v[116:117]
	v_mul_f64 v[138:139], v[138:139], v[118:119]
	v_fmac_f64_e32 v[138:139], v[140:141], v[136:137]
	s_waitcnt vmcnt(27)
	v_add_f64 v[104:105], v[104:105], -v[116:117]
	v_add_f64 v[106:107], v[106:107], -v[138:139]
	s_waitcnt lgkmcnt(0)
	v_mul_f64 v[116:117], v[144:145], v[118:119]
	ds_read2_b64 v[138:141], v156 offset0:16 offset1:17
	v_fma_f64 v[116:117], v[142:143], v[136:137], -v[116:117]
	v_mul_f64 v[142:143], v[142:143], v[118:119]
	v_fmac_f64_e32 v[142:143], v[144:145], v[136:137]
	s_waitcnt vmcnt(26)
	v_add_f64 v[102:103], v[102:103], -v[142:143]
	ds_read2_b64 v[142:145], v156 offset0:18 offset1:19
	v_add_f64 v[100:101], v[100:101], -v[116:117]
	;; [unrolled: 18-line block ×14, first 2 shown]
	s_waitcnt lgkmcnt(1)
	v_mul_f64 v[116:117], v[140:141], v[118:119]
	v_fma_f64 v[116:117], v[138:139], v[136:137], -v[116:117]
	v_mul_f64 v[138:139], v[138:139], v[118:119]
	v_fmac_f64_e32 v[138:139], v[140:141], v[136:137]
	s_waitcnt vmcnt(1)
	v_add_f64 v[0:1], v[0:1], -v[116:117]
	v_add_f64 v[2:3], v[2:3], -v[138:139]
	s_waitcnt lgkmcnt(0)
	v_mul_f64 v[116:117], v[144:145], v[118:119]
	v_mul_f64 v[138:139], v[142:143], v[118:119]
	v_fma_f64 v[116:117], v[142:143], v[136:137], -v[116:117]
	v_fmac_f64_e32 v[138:139], v[144:145], v[136:137]
	s_waitcnt vmcnt(0)
	v_add_f64 v[132:133], v[132:133], -v[116:117]
	v_add_f64 v[134:135], v[134:135], -v[138:139]
	v_mov_b64_e32 v[116:117], v[136:137]
.LBB67_37:
	s_or_b64 exec, exec, s[2:3]
	v_cmp_eq_u32_e32 vcc, 4, v154
	s_waitcnt lgkmcnt(0)
	s_barrier
	s_and_saveexec_b64 s[4:5], vcc
	s_cbranch_execz .LBB67_44
; %bb.38:
	s_waitcnt vmcnt(29)
	ds_write2_b64 v155, v[112:113], v[114:115] offset1:1
	s_waitcnt vmcnt(28)
	ds_write2_b64 v156, v[108:109], v[110:111] offset0:10 offset1:11
	s_waitcnt vmcnt(27)
	ds_write2_b64 v156, v[104:105], v[106:107] offset0:12 offset1:13
	s_waitcnt vmcnt(26)
	ds_write2_b64 v156, v[100:101], v[102:103] offset0:14 offset1:15
	s_waitcnt vmcnt(25)
	ds_write2_b64 v156, v[96:97], v[98:99] offset0:16 offset1:17
	s_waitcnt vmcnt(24)
	ds_write2_b64 v156, v[92:93], v[94:95] offset0:18 offset1:19
	s_waitcnt vmcnt(23)
	ds_write2_b64 v156, v[88:89], v[90:91] offset0:20 offset1:21
	s_waitcnt vmcnt(22)
	ds_write2_b64 v156, v[84:85], v[86:87] offset0:22 offset1:23
	s_waitcnt vmcnt(21)
	ds_write2_b64 v156, v[80:81], v[82:83] offset0:24 offset1:25
	s_waitcnt vmcnt(20)
	ds_write2_b64 v156, v[76:77], v[78:79] offset0:26 offset1:27
	s_waitcnt vmcnt(19)
	ds_write2_b64 v156, v[72:73], v[74:75] offset0:28 offset1:29
	s_waitcnt vmcnt(18)
	ds_write2_b64 v156, v[68:69], v[70:71] offset0:30 offset1:31
	s_waitcnt vmcnt(17)
	ds_write2_b64 v156, v[64:65], v[66:67] offset0:32 offset1:33
	s_waitcnt vmcnt(16)
	ds_write2_b64 v156, v[60:61], v[62:63] offset0:34 offset1:35
	s_waitcnt vmcnt(15)
	ds_write2_b64 v156, v[56:57], v[58:59] offset0:36 offset1:37
	s_waitcnt vmcnt(14)
	ds_write2_b64 v156, v[52:53], v[54:55] offset0:38 offset1:39
	s_waitcnt vmcnt(13)
	ds_write2_b64 v156, v[48:49], v[50:51] offset0:40 offset1:41
	s_waitcnt vmcnt(12)
	ds_write2_b64 v156, v[44:45], v[46:47] offset0:42 offset1:43
	s_waitcnt vmcnt(11)
	ds_write2_b64 v156, v[40:41], v[42:43] offset0:44 offset1:45
	s_waitcnt vmcnt(10)
	ds_write2_b64 v156, v[36:37], v[38:39] offset0:46 offset1:47
	s_waitcnt vmcnt(9)
	ds_write2_b64 v156, v[32:33], v[34:35] offset0:48 offset1:49
	s_waitcnt vmcnt(8)
	ds_write2_b64 v156, v[28:29], v[30:31] offset0:50 offset1:51
	s_waitcnt vmcnt(7)
	ds_write2_b64 v156, v[24:25], v[26:27] offset0:52 offset1:53
	s_waitcnt vmcnt(6)
	ds_write2_b64 v156, v[20:21], v[22:23] offset0:54 offset1:55
	s_waitcnt vmcnt(5)
	ds_write2_b64 v156, v[16:17], v[18:19] offset0:56 offset1:57
	s_waitcnt vmcnt(4)
	ds_write2_b64 v156, v[12:13], v[14:15] offset0:58 offset1:59
	s_waitcnt vmcnt(3)
	ds_write2_b64 v156, v[8:9], v[10:11] offset0:60 offset1:61
	s_waitcnt vmcnt(2)
	ds_write2_b64 v156, v[4:5], v[6:7] offset0:62 offset1:63
	s_waitcnt vmcnt(1)
	ds_write2_b64 v156, v[0:1], v[2:3] offset0:64 offset1:65
	s_waitcnt vmcnt(0)
	ds_write2_b64 v156, v[132:133], v[134:135] offset0:66 offset1:67
	ds_read2_b64 v[136:139], v155 offset1:1
	s_waitcnt lgkmcnt(0)
	v_cmp_neq_f64_e32 vcc, 0, v[136:137]
	v_cmp_neq_f64_e64 s[2:3], 0, v[138:139]
	s_or_b64 s[2:3], vcc, s[2:3]
	s_and_b64 exec, exec, s[2:3]
	s_cbranch_execz .LBB67_44
; %bb.39:
	v_cmp_ngt_f64_e64 s[2:3], |v[136:137]|, |v[138:139]|
                                        ; implicit-def: $vgpr140_vgpr141
	s_and_saveexec_b64 s[10:11], s[2:3]
	s_xor_b64 s[2:3], exec, s[10:11]
                                        ; implicit-def: $vgpr142_vgpr143
	s_cbranch_execz .LBB67_41
; %bb.40:
	v_div_scale_f64 v[140:141], s[10:11], v[138:139], v[138:139], v[136:137]
	v_rcp_f64_e32 v[142:143], v[140:141]
	v_div_scale_f64 v[144:145], vcc, v[136:137], v[138:139], v[136:137]
	v_fma_f64 v[146:147], -v[140:141], v[142:143], 1.0
	v_fmac_f64_e32 v[142:143], v[142:143], v[146:147]
	v_fma_f64 v[146:147], -v[140:141], v[142:143], 1.0
	v_fmac_f64_e32 v[142:143], v[142:143], v[146:147]
	v_mul_f64 v[146:147], v[144:145], v[142:143]
	v_fma_f64 v[140:141], -v[140:141], v[146:147], v[144:145]
	v_div_fmas_f64 v[140:141], v[140:141], v[142:143], v[146:147]
	v_div_fixup_f64 v[140:141], v[140:141], v[138:139], v[136:137]
	v_fmac_f64_e32 v[138:139], v[136:137], v[140:141]
	v_div_scale_f64 v[136:137], s[10:11], v[138:139], v[138:139], 1.0
	v_rcp_f64_e32 v[142:143], v[136:137]
	s_nop 0
	v_fma_f64 v[144:145], -v[136:137], v[142:143], 1.0
	v_fmac_f64_e32 v[142:143], v[142:143], v[144:145]
	v_fma_f64 v[144:145], -v[136:137], v[142:143], 1.0
	v_fmac_f64_e32 v[142:143], v[142:143], v[144:145]
	v_div_scale_f64 v[144:145], vcc, 1.0, v[138:139], 1.0
	v_mul_f64 v[146:147], v[144:145], v[142:143]
	v_fma_f64 v[136:137], -v[136:137], v[146:147], v[144:145]
	s_nop 1
	v_div_fmas_f64 v[136:137], v[136:137], v[142:143], v[146:147]
	v_div_fixup_f64 v[142:143], v[136:137], v[138:139], 1.0
	v_mul_f64 v[140:141], v[140:141], v[142:143]
	v_xor_b32_e32 v143, 0x80000000, v143
                                        ; implicit-def: $vgpr136_vgpr137
.LBB67_41:
	s_andn2_saveexec_b64 s[2:3], s[2:3]
	s_cbranch_execz .LBB67_43
; %bb.42:
	v_div_scale_f64 v[140:141], s[10:11], v[136:137], v[136:137], v[138:139]
	v_rcp_f64_e32 v[142:143], v[140:141]
	v_div_scale_f64 v[144:145], vcc, v[138:139], v[136:137], v[138:139]
	v_fma_f64 v[146:147], -v[140:141], v[142:143], 1.0
	v_fmac_f64_e32 v[142:143], v[142:143], v[146:147]
	v_fma_f64 v[146:147], -v[140:141], v[142:143], 1.0
	v_fmac_f64_e32 v[142:143], v[142:143], v[146:147]
	v_mul_f64 v[146:147], v[144:145], v[142:143]
	v_fma_f64 v[140:141], -v[140:141], v[146:147], v[144:145]
	v_div_fmas_f64 v[140:141], v[140:141], v[142:143], v[146:147]
	v_div_fixup_f64 v[142:143], v[140:141], v[136:137], v[138:139]
	v_fmac_f64_e32 v[136:137], v[138:139], v[142:143]
	v_div_scale_f64 v[138:139], s[10:11], v[136:137], v[136:137], 1.0
	v_rcp_f64_e32 v[140:141], v[138:139]
	s_nop 0
	v_fma_f64 v[144:145], -v[138:139], v[140:141], 1.0
	v_fmac_f64_e32 v[140:141], v[140:141], v[144:145]
	v_fma_f64 v[144:145], -v[138:139], v[140:141], 1.0
	v_fmac_f64_e32 v[140:141], v[140:141], v[144:145]
	v_div_scale_f64 v[144:145], vcc, 1.0, v[136:137], 1.0
	v_mul_f64 v[146:147], v[144:145], v[140:141]
	v_fma_f64 v[138:139], -v[138:139], v[146:147], v[144:145]
	s_nop 1
	v_div_fmas_f64 v[138:139], v[138:139], v[140:141], v[146:147]
	v_div_fixup_f64 v[140:141], v[138:139], v[136:137], 1.0
	v_mul_f64 v[142:143], v[142:143], -v[140:141]
.LBB67_43:
	s_or_b64 exec, exec, s[2:3]
	ds_write2_b64 v155, v[140:141], v[142:143] offset1:1
.LBB67_44:
	s_or_b64 exec, exec, s[4:5]
	s_waitcnt lgkmcnt(0)
	s_barrier
	ds_read2_b64 v[240:243], v155 offset1:1
	v_cmp_lt_u32_e32 vcc, 4, v154
	s_and_saveexec_b64 s[2:3], vcc
	s_cbranch_execz .LBB67_46
; %bb.45:
	ds_read2_b64 v[138:141], v156 offset0:10 offset1:11
	ds_read2_b64 v[142:145], v156 offset0:12 offset1:13
	s_waitcnt vmcnt(29) lgkmcnt(2)
	v_mul_f64 v[136:137], v[242:243], v[114:115]
	v_mul_f64 v[114:115], v[240:241], v[114:115]
	v_fmac_f64_e32 v[114:115], v[242:243], v[112:113]
	v_fma_f64 v[136:137], v[240:241], v[112:113], -v[136:137]
	s_waitcnt lgkmcnt(1)
	v_mul_f64 v[112:113], v[140:141], v[114:115]
	v_fma_f64 v[112:113], v[138:139], v[136:137], -v[112:113]
	v_mul_f64 v[138:139], v[138:139], v[114:115]
	v_fmac_f64_e32 v[138:139], v[140:141], v[136:137]
	s_waitcnt vmcnt(28)
	v_add_f64 v[110:111], v[110:111], -v[138:139]
	ds_read2_b64 v[138:141], v156 offset0:14 offset1:15
	v_add_f64 v[108:109], v[108:109], -v[112:113]
	s_waitcnt lgkmcnt(1)
	v_mul_f64 v[112:113], v[144:145], v[114:115]
	v_fma_f64 v[112:113], v[142:143], v[136:137], -v[112:113]
	v_mul_f64 v[142:143], v[142:143], v[114:115]
	v_fmac_f64_e32 v[142:143], v[144:145], v[136:137]
	s_waitcnt vmcnt(27)
	v_add_f64 v[104:105], v[104:105], -v[112:113]
	v_add_f64 v[106:107], v[106:107], -v[142:143]
	ds_read2_b64 v[142:145], v156 offset0:16 offset1:17
	s_waitcnt lgkmcnt(1)
	v_mul_f64 v[112:113], v[140:141], v[114:115]
	v_fma_f64 v[112:113], v[138:139], v[136:137], -v[112:113]
	v_mul_f64 v[138:139], v[138:139], v[114:115]
	v_fmac_f64_e32 v[138:139], v[140:141], v[136:137]
	s_waitcnt vmcnt(26)
	v_add_f64 v[102:103], v[102:103], -v[138:139]
	ds_read2_b64 v[138:141], v156 offset0:18 offset1:19
	v_add_f64 v[100:101], v[100:101], -v[112:113]
	s_waitcnt lgkmcnt(1)
	v_mul_f64 v[112:113], v[144:145], v[114:115]
	v_fma_f64 v[112:113], v[142:143], v[136:137], -v[112:113]
	v_mul_f64 v[142:143], v[142:143], v[114:115]
	v_fmac_f64_e32 v[142:143], v[144:145], v[136:137]
	s_waitcnt vmcnt(25)
	v_add_f64 v[96:97], v[96:97], -v[112:113]
	v_add_f64 v[98:99], v[98:99], -v[142:143]
	ds_read2_b64 v[142:145], v156 offset0:20 offset1:21
	;; [unrolled: 18-line block ×13, first 2 shown]
	s_waitcnt lgkmcnt(1)
	v_mul_f64 v[112:113], v[140:141], v[114:115]
	v_fma_f64 v[112:113], v[138:139], v[136:137], -v[112:113]
	v_mul_f64 v[138:139], v[138:139], v[114:115]
	v_fmac_f64_e32 v[138:139], v[140:141], v[136:137]
	s_waitcnt vmcnt(2)
	v_add_f64 v[6:7], v[6:7], -v[138:139]
	ds_read2_b64 v[138:141], v156 offset0:66 offset1:67
	v_add_f64 v[4:5], v[4:5], -v[112:113]
	s_waitcnt lgkmcnt(1)
	v_mul_f64 v[112:113], v[144:145], v[114:115]
	v_fma_f64 v[112:113], v[142:143], v[136:137], -v[112:113]
	s_waitcnt vmcnt(1)
	v_add_f64 v[0:1], v[0:1], -v[112:113]
	s_waitcnt lgkmcnt(0)
	v_mul_f64 v[112:113], v[140:141], v[114:115]
	v_mul_f64 v[142:143], v[142:143], v[114:115]
	v_fma_f64 v[112:113], v[138:139], v[136:137], -v[112:113]
	v_mul_f64 v[138:139], v[138:139], v[114:115]
	v_fmac_f64_e32 v[142:143], v[144:145], v[136:137]
	v_fmac_f64_e32 v[138:139], v[140:141], v[136:137]
	v_add_f64 v[2:3], v[2:3], -v[142:143]
	s_waitcnt vmcnt(0)
	v_add_f64 v[132:133], v[132:133], -v[112:113]
	v_add_f64 v[134:135], v[134:135], -v[138:139]
	v_mov_b64_e32 v[112:113], v[136:137]
.LBB67_46:
	s_or_b64 exec, exec, s[2:3]
	v_cmp_eq_u32_e32 vcc, 5, v154
	s_waitcnt lgkmcnt(0)
	s_barrier
	s_and_saveexec_b64 s[4:5], vcc
	s_cbranch_execz .LBB67_53
; %bb.47:
	s_waitcnt vmcnt(28)
	ds_write2_b64 v155, v[108:109], v[110:111] offset1:1
	s_waitcnt vmcnt(27)
	ds_write2_b64 v156, v[104:105], v[106:107] offset0:12 offset1:13
	s_waitcnt vmcnt(26)
	ds_write2_b64 v156, v[100:101], v[102:103] offset0:14 offset1:15
	;; [unrolled: 2-line block ×28, first 2 shown]
	ds_read2_b64 v[136:139], v155 offset1:1
	s_waitcnt lgkmcnt(0)
	v_cmp_neq_f64_e32 vcc, 0, v[136:137]
	v_cmp_neq_f64_e64 s[2:3], 0, v[138:139]
	s_or_b64 s[2:3], vcc, s[2:3]
	s_and_b64 exec, exec, s[2:3]
	s_cbranch_execz .LBB67_53
; %bb.48:
	v_cmp_ngt_f64_e64 s[2:3], |v[136:137]|, |v[138:139]|
                                        ; implicit-def: $vgpr140_vgpr141
	s_and_saveexec_b64 s[10:11], s[2:3]
	s_xor_b64 s[2:3], exec, s[10:11]
                                        ; implicit-def: $vgpr142_vgpr143
	s_cbranch_execz .LBB67_50
; %bb.49:
	v_div_scale_f64 v[140:141], s[10:11], v[138:139], v[138:139], v[136:137]
	v_rcp_f64_e32 v[142:143], v[140:141]
	v_div_scale_f64 v[144:145], vcc, v[136:137], v[138:139], v[136:137]
	v_fma_f64 v[146:147], -v[140:141], v[142:143], 1.0
	v_fmac_f64_e32 v[142:143], v[142:143], v[146:147]
	v_fma_f64 v[146:147], -v[140:141], v[142:143], 1.0
	v_fmac_f64_e32 v[142:143], v[142:143], v[146:147]
	v_mul_f64 v[146:147], v[144:145], v[142:143]
	v_fma_f64 v[140:141], -v[140:141], v[146:147], v[144:145]
	v_div_fmas_f64 v[140:141], v[140:141], v[142:143], v[146:147]
	v_div_fixup_f64 v[140:141], v[140:141], v[138:139], v[136:137]
	v_fmac_f64_e32 v[138:139], v[136:137], v[140:141]
	v_div_scale_f64 v[136:137], s[10:11], v[138:139], v[138:139], 1.0
	v_rcp_f64_e32 v[142:143], v[136:137]
	s_nop 0
	v_fma_f64 v[144:145], -v[136:137], v[142:143], 1.0
	v_fmac_f64_e32 v[142:143], v[142:143], v[144:145]
	v_fma_f64 v[144:145], -v[136:137], v[142:143], 1.0
	v_fmac_f64_e32 v[142:143], v[142:143], v[144:145]
	v_div_scale_f64 v[144:145], vcc, 1.0, v[138:139], 1.0
	v_mul_f64 v[146:147], v[144:145], v[142:143]
	v_fma_f64 v[136:137], -v[136:137], v[146:147], v[144:145]
	s_nop 1
	v_div_fmas_f64 v[136:137], v[136:137], v[142:143], v[146:147]
	v_div_fixup_f64 v[142:143], v[136:137], v[138:139], 1.0
	v_mul_f64 v[140:141], v[140:141], v[142:143]
	v_xor_b32_e32 v143, 0x80000000, v143
                                        ; implicit-def: $vgpr136_vgpr137
.LBB67_50:
	s_andn2_saveexec_b64 s[2:3], s[2:3]
	s_cbranch_execz .LBB67_52
; %bb.51:
	v_div_scale_f64 v[140:141], s[10:11], v[136:137], v[136:137], v[138:139]
	v_rcp_f64_e32 v[142:143], v[140:141]
	v_div_scale_f64 v[144:145], vcc, v[138:139], v[136:137], v[138:139]
	v_fma_f64 v[146:147], -v[140:141], v[142:143], 1.0
	v_fmac_f64_e32 v[142:143], v[142:143], v[146:147]
	v_fma_f64 v[146:147], -v[140:141], v[142:143], 1.0
	v_fmac_f64_e32 v[142:143], v[142:143], v[146:147]
	v_mul_f64 v[146:147], v[144:145], v[142:143]
	v_fma_f64 v[140:141], -v[140:141], v[146:147], v[144:145]
	v_div_fmas_f64 v[140:141], v[140:141], v[142:143], v[146:147]
	v_div_fixup_f64 v[142:143], v[140:141], v[136:137], v[138:139]
	v_fmac_f64_e32 v[136:137], v[138:139], v[142:143]
	v_div_scale_f64 v[138:139], s[10:11], v[136:137], v[136:137], 1.0
	v_rcp_f64_e32 v[140:141], v[138:139]
	s_nop 0
	v_fma_f64 v[144:145], -v[138:139], v[140:141], 1.0
	v_fmac_f64_e32 v[140:141], v[140:141], v[144:145]
	v_fma_f64 v[144:145], -v[138:139], v[140:141], 1.0
	v_fmac_f64_e32 v[140:141], v[140:141], v[144:145]
	v_div_scale_f64 v[144:145], vcc, 1.0, v[136:137], 1.0
	v_mul_f64 v[146:147], v[144:145], v[140:141]
	v_fma_f64 v[138:139], -v[138:139], v[146:147], v[144:145]
	s_nop 1
	v_div_fmas_f64 v[138:139], v[138:139], v[140:141], v[146:147]
	v_div_fixup_f64 v[140:141], v[138:139], v[136:137], 1.0
	v_mul_f64 v[142:143], v[142:143], -v[140:141]
.LBB67_52:
	s_or_b64 exec, exec, s[2:3]
	ds_write2_b64 v155, v[140:141], v[142:143] offset1:1
.LBB67_53:
	s_or_b64 exec, exec, s[4:5]
	s_waitcnt lgkmcnt(0)
	s_barrier
	ds_read2_b64 v[244:247], v155 offset1:1
	v_cmp_lt_u32_e32 vcc, 5, v154
	s_and_saveexec_b64 s[2:3], vcc
	s_cbranch_execz .LBB67_55
; %bb.54:
	ds_read2_b64 v[138:141], v156 offset0:12 offset1:13
	ds_read2_b64 v[142:145], v156 offset0:14 offset1:15
	s_waitcnt vmcnt(28) lgkmcnt(2)
	v_mul_f64 v[136:137], v[246:247], v[110:111]
	v_mul_f64 v[110:111], v[244:245], v[110:111]
	v_fmac_f64_e32 v[110:111], v[246:247], v[108:109]
	v_fma_f64 v[136:137], v[244:245], v[108:109], -v[136:137]
	s_waitcnt lgkmcnt(1)
	v_mul_f64 v[108:109], v[140:141], v[110:111]
	v_fma_f64 v[108:109], v[138:139], v[136:137], -v[108:109]
	v_mul_f64 v[138:139], v[138:139], v[110:111]
	v_fmac_f64_e32 v[138:139], v[140:141], v[136:137]
	s_waitcnt vmcnt(27)
	v_add_f64 v[104:105], v[104:105], -v[108:109]
	v_add_f64 v[106:107], v[106:107], -v[138:139]
	s_waitcnt lgkmcnt(0)
	v_mul_f64 v[108:109], v[144:145], v[110:111]
	ds_read2_b64 v[138:141], v156 offset0:16 offset1:17
	v_fma_f64 v[108:109], v[142:143], v[136:137], -v[108:109]
	v_mul_f64 v[142:143], v[142:143], v[110:111]
	v_fmac_f64_e32 v[142:143], v[144:145], v[136:137]
	s_waitcnt vmcnt(26)
	v_add_f64 v[102:103], v[102:103], -v[142:143]
	ds_read2_b64 v[142:145], v156 offset0:18 offset1:19
	v_add_f64 v[100:101], v[100:101], -v[108:109]
	s_waitcnt lgkmcnt(1)
	v_mul_f64 v[108:109], v[140:141], v[110:111]
	v_fma_f64 v[108:109], v[138:139], v[136:137], -v[108:109]
	v_mul_f64 v[138:139], v[138:139], v[110:111]
	v_fmac_f64_e32 v[138:139], v[140:141], v[136:137]
	s_waitcnt vmcnt(25)
	v_add_f64 v[96:97], v[96:97], -v[108:109]
	v_add_f64 v[98:99], v[98:99], -v[138:139]
	s_waitcnt lgkmcnt(0)
	v_mul_f64 v[108:109], v[144:145], v[110:111]
	ds_read2_b64 v[138:141], v156 offset0:20 offset1:21
	v_fma_f64 v[108:109], v[142:143], v[136:137], -v[108:109]
	v_mul_f64 v[142:143], v[142:143], v[110:111]
	v_fmac_f64_e32 v[142:143], v[144:145], v[136:137]
	s_waitcnt vmcnt(24)
	v_add_f64 v[94:95], v[94:95], -v[142:143]
	ds_read2_b64 v[142:145], v156 offset0:22 offset1:23
	v_add_f64 v[92:93], v[92:93], -v[108:109]
	;; [unrolled: 18-line block ×13, first 2 shown]
	s_waitcnt lgkmcnt(1)
	v_mul_f64 v[108:109], v[140:141], v[110:111]
	v_fma_f64 v[108:109], v[138:139], v[136:137], -v[108:109]
	v_mul_f64 v[138:139], v[138:139], v[110:111]
	v_fmac_f64_e32 v[138:139], v[140:141], v[136:137]
	s_waitcnt vmcnt(1)
	v_add_f64 v[0:1], v[0:1], -v[108:109]
	v_add_f64 v[2:3], v[2:3], -v[138:139]
	s_waitcnt lgkmcnt(0)
	v_mul_f64 v[108:109], v[144:145], v[110:111]
	v_mul_f64 v[138:139], v[142:143], v[110:111]
	v_fma_f64 v[108:109], v[142:143], v[136:137], -v[108:109]
	v_fmac_f64_e32 v[138:139], v[144:145], v[136:137]
	s_waitcnt vmcnt(0)
	v_add_f64 v[132:133], v[132:133], -v[108:109]
	v_add_f64 v[134:135], v[134:135], -v[138:139]
	v_mov_b64_e32 v[108:109], v[136:137]
.LBB67_55:
	s_or_b64 exec, exec, s[2:3]
	v_cmp_eq_u32_e32 vcc, 6, v154
	s_waitcnt lgkmcnt(0)
	s_barrier
	s_and_saveexec_b64 s[4:5], vcc
	s_cbranch_execz .LBB67_62
; %bb.56:
	s_waitcnt vmcnt(27)
	ds_write2_b64 v155, v[104:105], v[106:107] offset1:1
	s_waitcnt vmcnt(26)
	ds_write2_b64 v156, v[100:101], v[102:103] offset0:14 offset1:15
	s_waitcnt vmcnt(25)
	ds_write2_b64 v156, v[96:97], v[98:99] offset0:16 offset1:17
	;; [unrolled: 2-line block ×27, first 2 shown]
	ds_read2_b64 v[136:139], v155 offset1:1
	s_waitcnt lgkmcnt(0)
	v_cmp_neq_f64_e32 vcc, 0, v[136:137]
	v_cmp_neq_f64_e64 s[2:3], 0, v[138:139]
	s_or_b64 s[2:3], vcc, s[2:3]
	s_and_b64 exec, exec, s[2:3]
	s_cbranch_execz .LBB67_62
; %bb.57:
	v_cmp_ngt_f64_e64 s[2:3], |v[136:137]|, |v[138:139]|
                                        ; implicit-def: $vgpr140_vgpr141
	s_and_saveexec_b64 s[10:11], s[2:3]
	s_xor_b64 s[2:3], exec, s[10:11]
                                        ; implicit-def: $vgpr142_vgpr143
	s_cbranch_execz .LBB67_59
; %bb.58:
	v_div_scale_f64 v[140:141], s[10:11], v[138:139], v[138:139], v[136:137]
	v_rcp_f64_e32 v[142:143], v[140:141]
	v_div_scale_f64 v[144:145], vcc, v[136:137], v[138:139], v[136:137]
	v_fma_f64 v[146:147], -v[140:141], v[142:143], 1.0
	v_fmac_f64_e32 v[142:143], v[142:143], v[146:147]
	v_fma_f64 v[146:147], -v[140:141], v[142:143], 1.0
	v_fmac_f64_e32 v[142:143], v[142:143], v[146:147]
	v_mul_f64 v[146:147], v[144:145], v[142:143]
	v_fma_f64 v[140:141], -v[140:141], v[146:147], v[144:145]
	v_div_fmas_f64 v[140:141], v[140:141], v[142:143], v[146:147]
	v_div_fixup_f64 v[140:141], v[140:141], v[138:139], v[136:137]
	v_fmac_f64_e32 v[138:139], v[136:137], v[140:141]
	v_div_scale_f64 v[136:137], s[10:11], v[138:139], v[138:139], 1.0
	v_rcp_f64_e32 v[142:143], v[136:137]
	s_nop 0
	v_fma_f64 v[144:145], -v[136:137], v[142:143], 1.0
	v_fmac_f64_e32 v[142:143], v[142:143], v[144:145]
	v_fma_f64 v[144:145], -v[136:137], v[142:143], 1.0
	v_fmac_f64_e32 v[142:143], v[142:143], v[144:145]
	v_div_scale_f64 v[144:145], vcc, 1.0, v[138:139], 1.0
	v_mul_f64 v[146:147], v[144:145], v[142:143]
	v_fma_f64 v[136:137], -v[136:137], v[146:147], v[144:145]
	s_nop 1
	v_div_fmas_f64 v[136:137], v[136:137], v[142:143], v[146:147]
	v_div_fixup_f64 v[142:143], v[136:137], v[138:139], 1.0
	v_mul_f64 v[140:141], v[140:141], v[142:143]
	v_xor_b32_e32 v143, 0x80000000, v143
                                        ; implicit-def: $vgpr136_vgpr137
.LBB67_59:
	s_andn2_saveexec_b64 s[2:3], s[2:3]
	s_cbranch_execz .LBB67_61
; %bb.60:
	v_div_scale_f64 v[140:141], s[10:11], v[136:137], v[136:137], v[138:139]
	v_rcp_f64_e32 v[142:143], v[140:141]
	v_div_scale_f64 v[144:145], vcc, v[138:139], v[136:137], v[138:139]
	v_fma_f64 v[146:147], -v[140:141], v[142:143], 1.0
	v_fmac_f64_e32 v[142:143], v[142:143], v[146:147]
	v_fma_f64 v[146:147], -v[140:141], v[142:143], 1.0
	v_fmac_f64_e32 v[142:143], v[142:143], v[146:147]
	v_mul_f64 v[146:147], v[144:145], v[142:143]
	v_fma_f64 v[140:141], -v[140:141], v[146:147], v[144:145]
	v_div_fmas_f64 v[140:141], v[140:141], v[142:143], v[146:147]
	v_div_fixup_f64 v[142:143], v[140:141], v[136:137], v[138:139]
	v_fmac_f64_e32 v[136:137], v[138:139], v[142:143]
	v_div_scale_f64 v[138:139], s[10:11], v[136:137], v[136:137], 1.0
	v_rcp_f64_e32 v[140:141], v[138:139]
	s_nop 0
	v_fma_f64 v[144:145], -v[138:139], v[140:141], 1.0
	v_fmac_f64_e32 v[140:141], v[140:141], v[144:145]
	v_fma_f64 v[144:145], -v[138:139], v[140:141], 1.0
	v_fmac_f64_e32 v[140:141], v[140:141], v[144:145]
	v_div_scale_f64 v[144:145], vcc, 1.0, v[136:137], 1.0
	v_mul_f64 v[146:147], v[144:145], v[140:141]
	v_fma_f64 v[138:139], -v[138:139], v[146:147], v[144:145]
	s_nop 1
	v_div_fmas_f64 v[138:139], v[138:139], v[140:141], v[146:147]
	v_div_fixup_f64 v[140:141], v[138:139], v[136:137], 1.0
	v_mul_f64 v[142:143], v[142:143], -v[140:141]
.LBB67_61:
	s_or_b64 exec, exec, s[2:3]
	ds_write2_b64 v155, v[140:141], v[142:143] offset1:1
.LBB67_62:
	s_or_b64 exec, exec, s[4:5]
	s_waitcnt lgkmcnt(0)
	s_barrier
	ds_read2_b64 v[136:139], v155 offset1:1
	v_cmp_lt_u32_e32 vcc, 6, v154
	s_waitcnt lgkmcnt(0)
	scratch_store_dwordx4 off, v[136:139], off offset:8 ; 16-byte Folded Spill
	s_and_saveexec_b64 s[2:3], vcc
	s_cbranch_execz .LBB67_64
; %bb.63:
	scratch_load_dwordx4 v[142:145], off, off offset:8 ; 16-byte Folded Reload
	ds_read2_b64 v[138:141], v156 offset0:14 offset1:15
	s_waitcnt vmcnt(0)
	v_mul_f64 v[136:137], v[144:145], v[106:107]
	v_mul_f64 v[106:107], v[142:143], v[106:107]
	v_fmac_f64_e32 v[106:107], v[144:145], v[104:105]
	v_fma_f64 v[136:137], v[142:143], v[104:105], -v[136:137]
	ds_read2_b64 v[142:145], v156 offset0:16 offset1:17
	s_waitcnt lgkmcnt(1)
	v_mul_f64 v[104:105], v[140:141], v[106:107]
	v_fma_f64 v[104:105], v[138:139], v[136:137], -v[104:105]
	v_mul_f64 v[138:139], v[138:139], v[106:107]
	v_fmac_f64_e32 v[138:139], v[140:141], v[136:137]
	v_add_f64 v[102:103], v[102:103], -v[138:139]
	ds_read2_b64 v[138:141], v156 offset0:18 offset1:19
	v_add_f64 v[100:101], v[100:101], -v[104:105]
	s_waitcnt lgkmcnt(1)
	v_mul_f64 v[104:105], v[144:145], v[106:107]
	v_fma_f64 v[104:105], v[142:143], v[136:137], -v[104:105]
	v_mul_f64 v[142:143], v[142:143], v[106:107]
	v_fmac_f64_e32 v[142:143], v[144:145], v[136:137]
	v_add_f64 v[96:97], v[96:97], -v[104:105]
	v_add_f64 v[98:99], v[98:99], -v[142:143]
	ds_read2_b64 v[142:145], v156 offset0:20 offset1:21
	s_waitcnt lgkmcnt(1)
	v_mul_f64 v[104:105], v[140:141], v[106:107]
	v_fma_f64 v[104:105], v[138:139], v[136:137], -v[104:105]
	v_mul_f64 v[138:139], v[138:139], v[106:107]
	v_fmac_f64_e32 v[138:139], v[140:141], v[136:137]
	v_add_f64 v[94:95], v[94:95], -v[138:139]
	ds_read2_b64 v[138:141], v156 offset0:22 offset1:23
	v_add_f64 v[92:93], v[92:93], -v[104:105]
	s_waitcnt lgkmcnt(1)
	v_mul_f64 v[104:105], v[144:145], v[106:107]
	v_fma_f64 v[104:105], v[142:143], v[136:137], -v[104:105]
	v_mul_f64 v[142:143], v[142:143], v[106:107]
	v_fmac_f64_e32 v[142:143], v[144:145], v[136:137]
	v_add_f64 v[88:89], v[88:89], -v[104:105]
	v_add_f64 v[90:91], v[90:91], -v[142:143]
	;; [unrolled: 16-line block ×12, first 2 shown]
	ds_read2_b64 v[142:145], v156 offset0:64 offset1:65
	s_waitcnt lgkmcnt(1)
	v_mul_f64 v[104:105], v[140:141], v[106:107]
	v_fma_f64 v[104:105], v[138:139], v[136:137], -v[104:105]
	v_mul_f64 v[138:139], v[138:139], v[106:107]
	v_fmac_f64_e32 v[138:139], v[140:141], v[136:137]
	v_add_f64 v[6:7], v[6:7], -v[138:139]
	ds_read2_b64 v[138:141], v156 offset0:66 offset1:67
	v_add_f64 v[4:5], v[4:5], -v[104:105]
	s_waitcnt lgkmcnt(1)
	v_mul_f64 v[104:105], v[144:145], v[106:107]
	v_fma_f64 v[104:105], v[142:143], v[136:137], -v[104:105]
	v_add_f64 v[0:1], v[0:1], -v[104:105]
	s_waitcnt lgkmcnt(0)
	v_mul_f64 v[104:105], v[140:141], v[106:107]
	v_mul_f64 v[142:143], v[142:143], v[106:107]
	v_fma_f64 v[104:105], v[138:139], v[136:137], -v[104:105]
	v_mul_f64 v[138:139], v[138:139], v[106:107]
	v_fmac_f64_e32 v[142:143], v[144:145], v[136:137]
	v_fmac_f64_e32 v[138:139], v[140:141], v[136:137]
	v_add_f64 v[2:3], v[2:3], -v[142:143]
	v_add_f64 v[132:133], v[132:133], -v[104:105]
	;; [unrolled: 1-line block ×3, first 2 shown]
	v_mov_b64_e32 v[104:105], v[136:137]
.LBB67_64:
	s_or_b64 exec, exec, s[2:3]
	v_cmp_eq_u32_e32 vcc, 7, v154
	s_barrier
	s_and_saveexec_b64 s[4:5], vcc
	s_cbranch_execz .LBB67_71
; %bb.65:
	s_waitcnt vmcnt(27)
	ds_write2_b64 v155, v[100:101], v[102:103] offset1:1
	s_waitcnt vmcnt(26)
	ds_write2_b64 v156, v[96:97], v[98:99] offset0:16 offset1:17
	s_waitcnt vmcnt(25)
	ds_write2_b64 v156, v[92:93], v[94:95] offset0:18 offset1:19
	;; [unrolled: 2-line block ×26, first 2 shown]
	ds_read2_b64 v[136:139], v155 offset1:1
	s_waitcnt lgkmcnt(0)
	v_cmp_neq_f64_e32 vcc, 0, v[136:137]
	v_cmp_neq_f64_e64 s[2:3], 0, v[138:139]
	s_or_b64 s[2:3], vcc, s[2:3]
	s_and_b64 exec, exec, s[2:3]
	s_cbranch_execz .LBB67_71
; %bb.66:
	v_cmp_ngt_f64_e64 s[2:3], |v[136:137]|, |v[138:139]|
                                        ; implicit-def: $vgpr140_vgpr141
	s_and_saveexec_b64 s[10:11], s[2:3]
	s_xor_b64 s[2:3], exec, s[10:11]
                                        ; implicit-def: $vgpr142_vgpr143
	s_cbranch_execz .LBB67_68
; %bb.67:
	v_div_scale_f64 v[140:141], s[10:11], v[138:139], v[138:139], v[136:137]
	v_rcp_f64_e32 v[142:143], v[140:141]
	v_div_scale_f64 v[144:145], vcc, v[136:137], v[138:139], v[136:137]
	v_fma_f64 v[146:147], -v[140:141], v[142:143], 1.0
	v_fmac_f64_e32 v[142:143], v[142:143], v[146:147]
	v_fma_f64 v[146:147], -v[140:141], v[142:143], 1.0
	v_fmac_f64_e32 v[142:143], v[142:143], v[146:147]
	v_mul_f64 v[146:147], v[144:145], v[142:143]
	v_fma_f64 v[140:141], -v[140:141], v[146:147], v[144:145]
	v_div_fmas_f64 v[140:141], v[140:141], v[142:143], v[146:147]
	v_div_fixup_f64 v[140:141], v[140:141], v[138:139], v[136:137]
	v_fmac_f64_e32 v[138:139], v[136:137], v[140:141]
	v_div_scale_f64 v[136:137], s[10:11], v[138:139], v[138:139], 1.0
	v_rcp_f64_e32 v[142:143], v[136:137]
	s_nop 0
	v_fma_f64 v[144:145], -v[136:137], v[142:143], 1.0
	v_fmac_f64_e32 v[142:143], v[142:143], v[144:145]
	v_fma_f64 v[144:145], -v[136:137], v[142:143], 1.0
	v_fmac_f64_e32 v[142:143], v[142:143], v[144:145]
	v_div_scale_f64 v[144:145], vcc, 1.0, v[138:139], 1.0
	v_mul_f64 v[146:147], v[144:145], v[142:143]
	v_fma_f64 v[136:137], -v[136:137], v[146:147], v[144:145]
	s_nop 1
	v_div_fmas_f64 v[136:137], v[136:137], v[142:143], v[146:147]
	v_div_fixup_f64 v[142:143], v[136:137], v[138:139], 1.0
	v_mul_f64 v[140:141], v[140:141], v[142:143]
	v_xor_b32_e32 v143, 0x80000000, v143
                                        ; implicit-def: $vgpr136_vgpr137
.LBB67_68:
	s_andn2_saveexec_b64 s[2:3], s[2:3]
	s_cbranch_execz .LBB67_70
; %bb.69:
	v_div_scale_f64 v[140:141], s[10:11], v[136:137], v[136:137], v[138:139]
	v_rcp_f64_e32 v[142:143], v[140:141]
	v_div_scale_f64 v[144:145], vcc, v[138:139], v[136:137], v[138:139]
	v_fma_f64 v[146:147], -v[140:141], v[142:143], 1.0
	v_fmac_f64_e32 v[142:143], v[142:143], v[146:147]
	v_fma_f64 v[146:147], -v[140:141], v[142:143], 1.0
	v_fmac_f64_e32 v[142:143], v[142:143], v[146:147]
	v_mul_f64 v[146:147], v[144:145], v[142:143]
	v_fma_f64 v[140:141], -v[140:141], v[146:147], v[144:145]
	v_div_fmas_f64 v[140:141], v[140:141], v[142:143], v[146:147]
	v_div_fixup_f64 v[142:143], v[140:141], v[136:137], v[138:139]
	v_fmac_f64_e32 v[136:137], v[138:139], v[142:143]
	v_div_scale_f64 v[138:139], s[10:11], v[136:137], v[136:137], 1.0
	v_rcp_f64_e32 v[140:141], v[138:139]
	s_nop 0
	v_fma_f64 v[144:145], -v[138:139], v[140:141], 1.0
	v_fmac_f64_e32 v[140:141], v[140:141], v[144:145]
	v_fma_f64 v[144:145], -v[138:139], v[140:141], 1.0
	v_fmac_f64_e32 v[140:141], v[140:141], v[144:145]
	v_div_scale_f64 v[144:145], vcc, 1.0, v[136:137], 1.0
	v_mul_f64 v[146:147], v[144:145], v[140:141]
	v_fma_f64 v[138:139], -v[138:139], v[146:147], v[144:145]
	s_nop 1
	v_div_fmas_f64 v[138:139], v[138:139], v[140:141], v[146:147]
	v_div_fixup_f64 v[140:141], v[138:139], v[136:137], 1.0
	v_mul_f64 v[142:143], v[142:143], -v[140:141]
.LBB67_70:
	s_or_b64 exec, exec, s[2:3]
	ds_write2_b64 v155, v[140:141], v[142:143] offset1:1
.LBB67_71:
	s_or_b64 exec, exec, s[4:5]
	s_waitcnt lgkmcnt(0)
	s_barrier
	ds_read2_b64 v[136:139], v155 offset1:1
	v_cmp_lt_u32_e32 vcc, 7, v154
	s_waitcnt lgkmcnt(0)
	scratch_store_dwordx4 off, v[136:139], off offset:24 ; 16-byte Folded Spill
	s_and_saveexec_b64 s[2:3], vcc
	s_cbranch_execz .LBB67_73
; %bb.72:
	scratch_load_dwordx4 v[142:145], off, off offset:24 ; 16-byte Folded Reload
	ds_read2_b64 v[138:141], v156 offset0:16 offset1:17
	s_waitcnt vmcnt(0)
	v_mul_f64 v[136:137], v[144:145], v[102:103]
	v_mul_f64 v[102:103], v[142:143], v[102:103]
	v_fma_f64 v[136:137], v[142:143], v[100:101], -v[136:137]
	v_fmac_f64_e32 v[102:103], v[144:145], v[100:101]
	ds_read2_b64 v[142:145], v156 offset0:18 offset1:19
	s_waitcnt lgkmcnt(1)
	v_mul_f64 v[100:101], v[140:141], v[102:103]
	v_fma_f64 v[100:101], v[138:139], v[136:137], -v[100:101]
	v_mul_f64 v[138:139], v[138:139], v[102:103]
	v_fmac_f64_e32 v[138:139], v[140:141], v[136:137]
	v_add_f64 v[96:97], v[96:97], -v[100:101]
	v_add_f64 v[98:99], v[98:99], -v[138:139]
	s_waitcnt lgkmcnt(0)
	v_mul_f64 v[100:101], v[144:145], v[102:103]
	ds_read2_b64 v[138:141], v156 offset0:20 offset1:21
	v_fma_f64 v[100:101], v[142:143], v[136:137], -v[100:101]
	v_mul_f64 v[142:143], v[142:143], v[102:103]
	v_fmac_f64_e32 v[142:143], v[144:145], v[136:137]
	v_add_f64 v[94:95], v[94:95], -v[142:143]
	ds_read2_b64 v[142:145], v156 offset0:22 offset1:23
	v_add_f64 v[92:93], v[92:93], -v[100:101]
	s_waitcnt lgkmcnt(1)
	v_mul_f64 v[100:101], v[140:141], v[102:103]
	v_fma_f64 v[100:101], v[138:139], v[136:137], -v[100:101]
	v_mul_f64 v[138:139], v[138:139], v[102:103]
	v_fmac_f64_e32 v[138:139], v[140:141], v[136:137]
	v_add_f64 v[88:89], v[88:89], -v[100:101]
	v_add_f64 v[90:91], v[90:91], -v[138:139]
	s_waitcnt lgkmcnt(0)
	v_mul_f64 v[100:101], v[144:145], v[102:103]
	ds_read2_b64 v[138:141], v156 offset0:24 offset1:25
	v_fma_f64 v[100:101], v[142:143], v[136:137], -v[100:101]
	v_mul_f64 v[142:143], v[142:143], v[102:103]
	v_fmac_f64_e32 v[142:143], v[144:145], v[136:137]
	v_add_f64 v[86:87], v[86:87], -v[142:143]
	ds_read2_b64 v[142:145], v156 offset0:26 offset1:27
	v_add_f64 v[84:85], v[84:85], -v[100:101]
	;; [unrolled: 16-line block ×12, first 2 shown]
	s_waitcnt lgkmcnt(1)
	v_mul_f64 v[100:101], v[140:141], v[102:103]
	v_fma_f64 v[100:101], v[138:139], v[136:137], -v[100:101]
	v_mul_f64 v[138:139], v[138:139], v[102:103]
	v_fmac_f64_e32 v[138:139], v[140:141], v[136:137]
	v_add_f64 v[0:1], v[0:1], -v[100:101]
	v_add_f64 v[2:3], v[2:3], -v[138:139]
	s_waitcnt lgkmcnt(0)
	v_mul_f64 v[100:101], v[144:145], v[102:103]
	v_mul_f64 v[138:139], v[142:143], v[102:103]
	v_fma_f64 v[100:101], v[142:143], v[136:137], -v[100:101]
	v_fmac_f64_e32 v[138:139], v[144:145], v[136:137]
	v_add_f64 v[132:133], v[132:133], -v[100:101]
	v_add_f64 v[134:135], v[134:135], -v[138:139]
	v_mov_b64_e32 v[100:101], v[136:137]
.LBB67_73:
	s_or_b64 exec, exec, s[2:3]
	v_cmp_eq_u32_e32 vcc, 8, v154
	s_barrier
	s_and_saveexec_b64 s[4:5], vcc
	s_cbranch_execz .LBB67_80
; %bb.74:
	s_waitcnt vmcnt(27)
	ds_write2_b64 v155, v[96:97], v[98:99] offset1:1
	s_waitcnt vmcnt(26)
	ds_write2_b64 v156, v[92:93], v[94:95] offset0:18 offset1:19
	s_waitcnt vmcnt(25)
	ds_write2_b64 v156, v[88:89], v[90:91] offset0:20 offset1:21
	;; [unrolled: 2-line block ×25, first 2 shown]
	ds_read2_b64 v[136:139], v155 offset1:1
	s_waitcnt lgkmcnt(0)
	v_cmp_neq_f64_e32 vcc, 0, v[136:137]
	v_cmp_neq_f64_e64 s[2:3], 0, v[138:139]
	s_or_b64 s[2:3], vcc, s[2:3]
	s_and_b64 exec, exec, s[2:3]
	s_cbranch_execz .LBB67_80
; %bb.75:
	v_cmp_ngt_f64_e64 s[2:3], |v[136:137]|, |v[138:139]|
                                        ; implicit-def: $vgpr140_vgpr141
	s_and_saveexec_b64 s[10:11], s[2:3]
	s_xor_b64 s[2:3], exec, s[10:11]
                                        ; implicit-def: $vgpr142_vgpr143
	s_cbranch_execz .LBB67_77
; %bb.76:
	v_div_scale_f64 v[140:141], s[10:11], v[138:139], v[138:139], v[136:137]
	v_rcp_f64_e32 v[142:143], v[140:141]
	v_div_scale_f64 v[144:145], vcc, v[136:137], v[138:139], v[136:137]
	v_fma_f64 v[146:147], -v[140:141], v[142:143], 1.0
	v_fmac_f64_e32 v[142:143], v[142:143], v[146:147]
	v_fma_f64 v[146:147], -v[140:141], v[142:143], 1.0
	v_fmac_f64_e32 v[142:143], v[142:143], v[146:147]
	v_mul_f64 v[146:147], v[144:145], v[142:143]
	v_fma_f64 v[140:141], -v[140:141], v[146:147], v[144:145]
	v_div_fmas_f64 v[140:141], v[140:141], v[142:143], v[146:147]
	v_div_fixup_f64 v[140:141], v[140:141], v[138:139], v[136:137]
	v_fmac_f64_e32 v[138:139], v[136:137], v[140:141]
	v_div_scale_f64 v[136:137], s[10:11], v[138:139], v[138:139], 1.0
	v_rcp_f64_e32 v[142:143], v[136:137]
	s_nop 0
	v_fma_f64 v[144:145], -v[136:137], v[142:143], 1.0
	v_fmac_f64_e32 v[142:143], v[142:143], v[144:145]
	v_fma_f64 v[144:145], -v[136:137], v[142:143], 1.0
	v_fmac_f64_e32 v[142:143], v[142:143], v[144:145]
	v_div_scale_f64 v[144:145], vcc, 1.0, v[138:139], 1.0
	v_mul_f64 v[146:147], v[144:145], v[142:143]
	v_fma_f64 v[136:137], -v[136:137], v[146:147], v[144:145]
	s_nop 1
	v_div_fmas_f64 v[136:137], v[136:137], v[142:143], v[146:147]
	v_div_fixup_f64 v[142:143], v[136:137], v[138:139], 1.0
	v_mul_f64 v[140:141], v[140:141], v[142:143]
	v_xor_b32_e32 v143, 0x80000000, v143
                                        ; implicit-def: $vgpr136_vgpr137
.LBB67_77:
	s_andn2_saveexec_b64 s[2:3], s[2:3]
	s_cbranch_execz .LBB67_79
; %bb.78:
	v_div_scale_f64 v[140:141], s[10:11], v[136:137], v[136:137], v[138:139]
	v_rcp_f64_e32 v[142:143], v[140:141]
	v_div_scale_f64 v[144:145], vcc, v[138:139], v[136:137], v[138:139]
	v_fma_f64 v[146:147], -v[140:141], v[142:143], 1.0
	v_fmac_f64_e32 v[142:143], v[142:143], v[146:147]
	v_fma_f64 v[146:147], -v[140:141], v[142:143], 1.0
	v_fmac_f64_e32 v[142:143], v[142:143], v[146:147]
	v_mul_f64 v[146:147], v[144:145], v[142:143]
	v_fma_f64 v[140:141], -v[140:141], v[146:147], v[144:145]
	v_div_fmas_f64 v[140:141], v[140:141], v[142:143], v[146:147]
	v_div_fixup_f64 v[142:143], v[140:141], v[136:137], v[138:139]
	v_fmac_f64_e32 v[136:137], v[138:139], v[142:143]
	v_div_scale_f64 v[138:139], s[10:11], v[136:137], v[136:137], 1.0
	v_rcp_f64_e32 v[140:141], v[138:139]
	s_nop 0
	v_fma_f64 v[144:145], -v[138:139], v[140:141], 1.0
	v_fmac_f64_e32 v[140:141], v[140:141], v[144:145]
	v_fma_f64 v[144:145], -v[138:139], v[140:141], 1.0
	v_fmac_f64_e32 v[140:141], v[140:141], v[144:145]
	v_div_scale_f64 v[144:145], vcc, 1.0, v[136:137], 1.0
	v_mul_f64 v[146:147], v[144:145], v[140:141]
	v_fma_f64 v[138:139], -v[138:139], v[146:147], v[144:145]
	s_nop 1
	v_div_fmas_f64 v[138:139], v[138:139], v[140:141], v[146:147]
	v_div_fixup_f64 v[140:141], v[138:139], v[136:137], 1.0
	v_mul_f64 v[142:143], v[142:143], -v[140:141]
.LBB67_79:
	s_or_b64 exec, exec, s[2:3]
	ds_write2_b64 v155, v[140:141], v[142:143] offset1:1
.LBB67_80:
	s_or_b64 exec, exec, s[4:5]
	s_waitcnt lgkmcnt(0)
	s_barrier
	ds_read2_b64 v[136:139], v155 offset1:1
	v_cmp_lt_u32_e32 vcc, 8, v154
	s_waitcnt lgkmcnt(0)
	scratch_store_dwordx4 off, v[136:139], off offset:40 ; 16-byte Folded Spill
	s_and_saveexec_b64 s[2:3], vcc
	s_cbranch_execz .LBB67_82
; %bb.81:
	scratch_load_dwordx4 v[138:141], off, off offset:40 ; 16-byte Folded Reload
	s_waitcnt vmcnt(0)
	v_mul_f64 v[136:137], v[140:141], v[98:99]
	v_mul_f64 v[98:99], v[138:139], v[98:99]
	v_fma_f64 v[136:137], v[138:139], v[96:97], -v[136:137]
	v_fmac_f64_e32 v[98:99], v[140:141], v[96:97]
	ds_read2_b64 v[138:141], v156 offset0:18 offset1:19
	s_waitcnt lgkmcnt(0)
	v_mul_f64 v[96:97], v[140:141], v[98:99]
	v_fma_f64 v[96:97], v[138:139], v[136:137], -v[96:97]
	v_mul_f64 v[138:139], v[138:139], v[98:99]
	v_fmac_f64_e32 v[138:139], v[140:141], v[136:137]
	v_add_f64 v[94:95], v[94:95], -v[138:139]
	ds_read2_b64 v[138:141], v156 offset0:20 offset1:21
	v_add_f64 v[92:93], v[92:93], -v[96:97]
	s_waitcnt lgkmcnt(0)
	v_mul_f64 v[96:97], v[140:141], v[98:99]
	v_fma_f64 v[96:97], v[138:139], v[136:137], -v[96:97]
	v_mul_f64 v[138:139], v[138:139], v[98:99]
	v_fmac_f64_e32 v[138:139], v[140:141], v[136:137]
	v_add_f64 v[90:91], v[90:91], -v[138:139]
	ds_read2_b64 v[138:141], v156 offset0:22 offset1:23
	v_add_f64 v[88:89], v[88:89], -v[96:97]
	s_waitcnt lgkmcnt(0)
	v_mul_f64 v[96:97], v[140:141], v[98:99]
	v_fma_f64 v[96:97], v[138:139], v[136:137], -v[96:97]
	v_mul_f64 v[138:139], v[138:139], v[98:99]
	v_fmac_f64_e32 v[138:139], v[140:141], v[136:137]
	v_add_f64 v[86:87], v[86:87], -v[138:139]
	ds_read2_b64 v[138:141], v156 offset0:24 offset1:25
	v_add_f64 v[84:85], v[84:85], -v[96:97]
	s_waitcnt lgkmcnt(0)
	v_mul_f64 v[96:97], v[140:141], v[98:99]
	v_fma_f64 v[96:97], v[138:139], v[136:137], -v[96:97]
	v_mul_f64 v[138:139], v[138:139], v[98:99]
	v_fmac_f64_e32 v[138:139], v[140:141], v[136:137]
	v_add_f64 v[82:83], v[82:83], -v[138:139]
	ds_read2_b64 v[138:141], v156 offset0:26 offset1:27
	v_add_f64 v[80:81], v[80:81], -v[96:97]
	s_waitcnt lgkmcnt(0)
	v_mul_f64 v[96:97], v[140:141], v[98:99]
	v_fma_f64 v[96:97], v[138:139], v[136:137], -v[96:97]
	v_mul_f64 v[138:139], v[138:139], v[98:99]
	v_fmac_f64_e32 v[138:139], v[140:141], v[136:137]
	v_add_f64 v[78:79], v[78:79], -v[138:139]
	ds_read2_b64 v[138:141], v156 offset0:28 offset1:29
	v_add_f64 v[76:77], v[76:77], -v[96:97]
	s_waitcnt lgkmcnt(0)
	v_mul_f64 v[96:97], v[140:141], v[98:99]
	v_fma_f64 v[96:97], v[138:139], v[136:137], -v[96:97]
	v_mul_f64 v[138:139], v[138:139], v[98:99]
	v_fmac_f64_e32 v[138:139], v[140:141], v[136:137]
	v_add_f64 v[74:75], v[74:75], -v[138:139]
	ds_read2_b64 v[138:141], v156 offset0:30 offset1:31
	v_add_f64 v[72:73], v[72:73], -v[96:97]
	s_waitcnt lgkmcnt(0)
	v_mul_f64 v[96:97], v[140:141], v[98:99]
	v_fma_f64 v[96:97], v[138:139], v[136:137], -v[96:97]
	v_mul_f64 v[138:139], v[138:139], v[98:99]
	v_fmac_f64_e32 v[138:139], v[140:141], v[136:137]
	v_add_f64 v[70:71], v[70:71], -v[138:139]
	ds_read2_b64 v[138:141], v156 offset0:32 offset1:33
	v_add_f64 v[68:69], v[68:69], -v[96:97]
	s_waitcnt lgkmcnt(0)
	v_mul_f64 v[96:97], v[140:141], v[98:99]
	v_fma_f64 v[96:97], v[138:139], v[136:137], -v[96:97]
	v_mul_f64 v[138:139], v[138:139], v[98:99]
	v_fmac_f64_e32 v[138:139], v[140:141], v[136:137]
	v_add_f64 v[66:67], v[66:67], -v[138:139]
	ds_read2_b64 v[138:141], v156 offset0:34 offset1:35
	v_add_f64 v[64:65], v[64:65], -v[96:97]
	s_waitcnt lgkmcnt(0)
	v_mul_f64 v[96:97], v[140:141], v[98:99]
	v_fma_f64 v[96:97], v[138:139], v[136:137], -v[96:97]
	v_mul_f64 v[138:139], v[138:139], v[98:99]
	v_fmac_f64_e32 v[138:139], v[140:141], v[136:137]
	v_add_f64 v[62:63], v[62:63], -v[138:139]
	ds_read2_b64 v[138:141], v156 offset0:36 offset1:37
	v_add_f64 v[60:61], v[60:61], -v[96:97]
	s_waitcnt lgkmcnt(0)
	v_mul_f64 v[96:97], v[140:141], v[98:99]
	v_fma_f64 v[96:97], v[138:139], v[136:137], -v[96:97]
	v_mul_f64 v[138:139], v[138:139], v[98:99]
	v_fmac_f64_e32 v[138:139], v[140:141], v[136:137]
	v_add_f64 v[58:59], v[58:59], -v[138:139]
	ds_read2_b64 v[138:141], v156 offset0:38 offset1:39
	v_add_f64 v[56:57], v[56:57], -v[96:97]
	s_waitcnt lgkmcnt(0)
	v_mul_f64 v[96:97], v[140:141], v[98:99]
	v_fma_f64 v[96:97], v[138:139], v[136:137], -v[96:97]
	v_mul_f64 v[138:139], v[138:139], v[98:99]
	v_fmac_f64_e32 v[138:139], v[140:141], v[136:137]
	v_add_f64 v[54:55], v[54:55], -v[138:139]
	ds_read2_b64 v[138:141], v156 offset0:40 offset1:41
	v_add_f64 v[52:53], v[52:53], -v[96:97]
	s_waitcnt lgkmcnt(0)
	v_mul_f64 v[96:97], v[140:141], v[98:99]
	v_fma_f64 v[96:97], v[138:139], v[136:137], -v[96:97]
	v_mul_f64 v[138:139], v[138:139], v[98:99]
	v_fmac_f64_e32 v[138:139], v[140:141], v[136:137]
	v_add_f64 v[50:51], v[50:51], -v[138:139]
	ds_read2_b64 v[138:141], v156 offset0:42 offset1:43
	v_add_f64 v[48:49], v[48:49], -v[96:97]
	s_waitcnt lgkmcnt(0)
	v_mul_f64 v[96:97], v[140:141], v[98:99]
	v_fma_f64 v[96:97], v[138:139], v[136:137], -v[96:97]
	v_mul_f64 v[138:139], v[138:139], v[98:99]
	v_fmac_f64_e32 v[138:139], v[140:141], v[136:137]
	v_add_f64 v[46:47], v[46:47], -v[138:139]
	ds_read2_b64 v[138:141], v156 offset0:44 offset1:45
	v_add_f64 v[44:45], v[44:45], -v[96:97]
	s_waitcnt lgkmcnt(0)
	v_mul_f64 v[96:97], v[140:141], v[98:99]
	v_fma_f64 v[96:97], v[138:139], v[136:137], -v[96:97]
	v_mul_f64 v[138:139], v[138:139], v[98:99]
	v_fmac_f64_e32 v[138:139], v[140:141], v[136:137]
	v_add_f64 v[42:43], v[42:43], -v[138:139]
	ds_read2_b64 v[138:141], v156 offset0:46 offset1:47
	v_add_f64 v[40:41], v[40:41], -v[96:97]
	s_waitcnt lgkmcnt(0)
	v_mul_f64 v[96:97], v[140:141], v[98:99]
	v_fma_f64 v[96:97], v[138:139], v[136:137], -v[96:97]
	v_mul_f64 v[138:139], v[138:139], v[98:99]
	v_fmac_f64_e32 v[138:139], v[140:141], v[136:137]
	v_add_f64 v[38:39], v[38:39], -v[138:139]
	ds_read2_b64 v[138:141], v156 offset0:48 offset1:49
	v_add_f64 v[36:37], v[36:37], -v[96:97]
	s_waitcnt lgkmcnt(0)
	v_mul_f64 v[96:97], v[140:141], v[98:99]
	v_fma_f64 v[96:97], v[138:139], v[136:137], -v[96:97]
	v_mul_f64 v[138:139], v[138:139], v[98:99]
	v_fmac_f64_e32 v[138:139], v[140:141], v[136:137]
	v_add_f64 v[34:35], v[34:35], -v[138:139]
	ds_read2_b64 v[138:141], v156 offset0:50 offset1:51
	v_add_f64 v[32:33], v[32:33], -v[96:97]
	s_waitcnt lgkmcnt(0)
	v_mul_f64 v[96:97], v[140:141], v[98:99]
	v_fma_f64 v[96:97], v[138:139], v[136:137], -v[96:97]
	v_mul_f64 v[138:139], v[138:139], v[98:99]
	v_fmac_f64_e32 v[138:139], v[140:141], v[136:137]
	v_add_f64 v[30:31], v[30:31], -v[138:139]
	ds_read2_b64 v[138:141], v156 offset0:52 offset1:53
	v_add_f64 v[28:29], v[28:29], -v[96:97]
	s_waitcnt lgkmcnt(0)
	v_mul_f64 v[96:97], v[140:141], v[98:99]
	v_fma_f64 v[96:97], v[138:139], v[136:137], -v[96:97]
	v_mul_f64 v[138:139], v[138:139], v[98:99]
	v_fmac_f64_e32 v[138:139], v[140:141], v[136:137]
	v_add_f64 v[26:27], v[26:27], -v[138:139]
	ds_read2_b64 v[138:141], v156 offset0:54 offset1:55
	v_add_f64 v[24:25], v[24:25], -v[96:97]
	s_waitcnt lgkmcnt(0)
	v_mul_f64 v[96:97], v[140:141], v[98:99]
	v_fma_f64 v[96:97], v[138:139], v[136:137], -v[96:97]
	v_mul_f64 v[138:139], v[138:139], v[98:99]
	v_fmac_f64_e32 v[138:139], v[140:141], v[136:137]
	v_add_f64 v[22:23], v[22:23], -v[138:139]
	ds_read2_b64 v[138:141], v156 offset0:56 offset1:57
	v_add_f64 v[20:21], v[20:21], -v[96:97]
	s_waitcnt lgkmcnt(0)
	v_mul_f64 v[96:97], v[140:141], v[98:99]
	v_fma_f64 v[96:97], v[138:139], v[136:137], -v[96:97]
	v_mul_f64 v[138:139], v[138:139], v[98:99]
	v_fmac_f64_e32 v[138:139], v[140:141], v[136:137]
	v_add_f64 v[18:19], v[18:19], -v[138:139]
	ds_read2_b64 v[138:141], v156 offset0:58 offset1:59
	v_add_f64 v[16:17], v[16:17], -v[96:97]
	s_waitcnt lgkmcnt(0)
	v_mul_f64 v[96:97], v[140:141], v[98:99]
	v_fma_f64 v[96:97], v[138:139], v[136:137], -v[96:97]
	v_mul_f64 v[138:139], v[138:139], v[98:99]
	v_fmac_f64_e32 v[138:139], v[140:141], v[136:137]
	v_add_f64 v[14:15], v[14:15], -v[138:139]
	ds_read2_b64 v[138:141], v156 offset0:60 offset1:61
	v_add_f64 v[12:13], v[12:13], -v[96:97]
	s_waitcnt lgkmcnt(0)
	v_mul_f64 v[96:97], v[140:141], v[98:99]
	v_fma_f64 v[96:97], v[138:139], v[136:137], -v[96:97]
	v_mul_f64 v[138:139], v[138:139], v[98:99]
	v_fmac_f64_e32 v[138:139], v[140:141], v[136:137]
	v_add_f64 v[10:11], v[10:11], -v[138:139]
	ds_read2_b64 v[138:141], v156 offset0:62 offset1:63
	v_add_f64 v[8:9], v[8:9], -v[96:97]
	s_waitcnt lgkmcnt(0)
	v_mul_f64 v[96:97], v[140:141], v[98:99]
	v_fma_f64 v[96:97], v[138:139], v[136:137], -v[96:97]
	v_mul_f64 v[138:139], v[138:139], v[98:99]
	v_fmac_f64_e32 v[138:139], v[140:141], v[136:137]
	v_add_f64 v[6:7], v[6:7], -v[138:139]
	ds_read2_b64 v[138:141], v156 offset0:64 offset1:65
	v_add_f64 v[4:5], v[4:5], -v[96:97]
	s_waitcnt lgkmcnt(0)
	v_mul_f64 v[96:97], v[140:141], v[98:99]
	v_fma_f64 v[96:97], v[138:139], v[136:137], -v[96:97]
	v_mul_f64 v[138:139], v[138:139], v[98:99]
	v_fmac_f64_e32 v[138:139], v[140:141], v[136:137]
	v_add_f64 v[2:3], v[2:3], -v[138:139]
	ds_read2_b64 v[138:141], v156 offset0:66 offset1:67
	v_add_f64 v[0:1], v[0:1], -v[96:97]
	s_waitcnt lgkmcnt(0)
	v_mul_f64 v[96:97], v[140:141], v[98:99]
	v_fma_f64 v[96:97], v[138:139], v[136:137], -v[96:97]
	v_mul_f64 v[138:139], v[138:139], v[98:99]
	v_fmac_f64_e32 v[138:139], v[140:141], v[136:137]
	v_add_f64 v[132:133], v[132:133], -v[96:97]
	v_add_f64 v[134:135], v[134:135], -v[138:139]
	v_mov_b64_e32 v[96:97], v[136:137]
.LBB67_82:
	s_or_b64 exec, exec, s[2:3]
	v_cmp_eq_u32_e32 vcc, 9, v154
	s_barrier
	s_and_saveexec_b64 s[4:5], vcc
	s_cbranch_execz .LBB67_89
; %bb.83:
	s_waitcnt vmcnt(27)
	ds_write2_b64 v155, v[92:93], v[94:95] offset1:1
	s_waitcnt vmcnt(26)
	ds_write2_b64 v156, v[88:89], v[90:91] offset0:20 offset1:21
	s_waitcnt vmcnt(25)
	ds_write2_b64 v156, v[84:85], v[86:87] offset0:22 offset1:23
	;; [unrolled: 2-line block ×24, first 2 shown]
	ds_read2_b64 v[136:139], v155 offset1:1
	s_waitcnt lgkmcnt(0)
	v_cmp_neq_f64_e32 vcc, 0, v[136:137]
	v_cmp_neq_f64_e64 s[2:3], 0, v[138:139]
	s_or_b64 s[2:3], vcc, s[2:3]
	s_and_b64 exec, exec, s[2:3]
	s_cbranch_execz .LBB67_89
; %bb.84:
	v_cmp_ngt_f64_e64 s[2:3], |v[136:137]|, |v[138:139]|
                                        ; implicit-def: $vgpr140_vgpr141
	s_and_saveexec_b64 s[10:11], s[2:3]
	s_xor_b64 s[2:3], exec, s[10:11]
                                        ; implicit-def: $vgpr142_vgpr143
	s_cbranch_execz .LBB67_86
; %bb.85:
	v_div_scale_f64 v[140:141], s[10:11], v[138:139], v[138:139], v[136:137]
	v_rcp_f64_e32 v[142:143], v[140:141]
	v_div_scale_f64 v[144:145], vcc, v[136:137], v[138:139], v[136:137]
	v_fma_f64 v[146:147], -v[140:141], v[142:143], 1.0
	v_fmac_f64_e32 v[142:143], v[142:143], v[146:147]
	v_fma_f64 v[146:147], -v[140:141], v[142:143], 1.0
	v_fmac_f64_e32 v[142:143], v[142:143], v[146:147]
	v_mul_f64 v[146:147], v[144:145], v[142:143]
	v_fma_f64 v[140:141], -v[140:141], v[146:147], v[144:145]
	v_div_fmas_f64 v[140:141], v[140:141], v[142:143], v[146:147]
	v_div_fixup_f64 v[140:141], v[140:141], v[138:139], v[136:137]
	v_fmac_f64_e32 v[138:139], v[136:137], v[140:141]
	v_div_scale_f64 v[136:137], s[10:11], v[138:139], v[138:139], 1.0
	v_rcp_f64_e32 v[142:143], v[136:137]
	s_nop 0
	v_fma_f64 v[144:145], -v[136:137], v[142:143], 1.0
	v_fmac_f64_e32 v[142:143], v[142:143], v[144:145]
	v_fma_f64 v[144:145], -v[136:137], v[142:143], 1.0
	v_fmac_f64_e32 v[142:143], v[142:143], v[144:145]
	v_div_scale_f64 v[144:145], vcc, 1.0, v[138:139], 1.0
	v_mul_f64 v[146:147], v[144:145], v[142:143]
	v_fma_f64 v[136:137], -v[136:137], v[146:147], v[144:145]
	s_nop 1
	v_div_fmas_f64 v[136:137], v[136:137], v[142:143], v[146:147]
	v_div_fixup_f64 v[142:143], v[136:137], v[138:139], 1.0
	v_mul_f64 v[140:141], v[140:141], v[142:143]
	v_xor_b32_e32 v143, 0x80000000, v143
                                        ; implicit-def: $vgpr136_vgpr137
.LBB67_86:
	s_andn2_saveexec_b64 s[2:3], s[2:3]
	s_cbranch_execz .LBB67_88
; %bb.87:
	v_div_scale_f64 v[140:141], s[10:11], v[136:137], v[136:137], v[138:139]
	v_rcp_f64_e32 v[142:143], v[140:141]
	v_div_scale_f64 v[144:145], vcc, v[138:139], v[136:137], v[138:139]
	v_fma_f64 v[146:147], -v[140:141], v[142:143], 1.0
	v_fmac_f64_e32 v[142:143], v[142:143], v[146:147]
	v_fma_f64 v[146:147], -v[140:141], v[142:143], 1.0
	v_fmac_f64_e32 v[142:143], v[142:143], v[146:147]
	v_mul_f64 v[146:147], v[144:145], v[142:143]
	v_fma_f64 v[140:141], -v[140:141], v[146:147], v[144:145]
	v_div_fmas_f64 v[140:141], v[140:141], v[142:143], v[146:147]
	v_div_fixup_f64 v[142:143], v[140:141], v[136:137], v[138:139]
	v_fmac_f64_e32 v[136:137], v[138:139], v[142:143]
	v_div_scale_f64 v[138:139], s[10:11], v[136:137], v[136:137], 1.0
	v_rcp_f64_e32 v[140:141], v[138:139]
	s_nop 0
	v_fma_f64 v[144:145], -v[138:139], v[140:141], 1.0
	v_fmac_f64_e32 v[140:141], v[140:141], v[144:145]
	v_fma_f64 v[144:145], -v[138:139], v[140:141], 1.0
	v_fmac_f64_e32 v[140:141], v[140:141], v[144:145]
	v_div_scale_f64 v[144:145], vcc, 1.0, v[136:137], 1.0
	v_mul_f64 v[146:147], v[144:145], v[140:141]
	v_fma_f64 v[138:139], -v[138:139], v[146:147], v[144:145]
	s_nop 1
	v_div_fmas_f64 v[138:139], v[138:139], v[140:141], v[146:147]
	v_div_fixup_f64 v[140:141], v[138:139], v[136:137], 1.0
	v_mul_f64 v[142:143], v[142:143], -v[140:141]
.LBB67_88:
	s_or_b64 exec, exec, s[2:3]
	ds_write2_b64 v155, v[140:141], v[142:143] offset1:1
.LBB67_89:
	s_or_b64 exec, exec, s[4:5]
	s_waitcnt lgkmcnt(0)
	s_barrier
	ds_read2_b64 v[136:139], v155 offset1:1
	v_cmp_lt_u32_e32 vcc, 9, v154
	s_waitcnt lgkmcnt(0)
	scratch_store_dwordx4 off, v[136:139], off offset:56 ; 16-byte Folded Spill
	s_and_saveexec_b64 s[2:3], vcc
	s_cbranch_execz .LBB67_91
; %bb.90:
	scratch_load_dwordx4 v[138:141], off, off offset:56 ; 16-byte Folded Reload
	s_waitcnt vmcnt(0)
	v_mul_f64 v[136:137], v[140:141], v[94:95]
	v_mul_f64 v[94:95], v[138:139], v[94:95]
	v_fma_f64 v[136:137], v[138:139], v[92:93], -v[136:137]
	v_fmac_f64_e32 v[94:95], v[140:141], v[92:93]
	ds_read2_b64 v[138:141], v156 offset0:20 offset1:21
	s_waitcnt lgkmcnt(0)
	v_mul_f64 v[92:93], v[140:141], v[94:95]
	v_fma_f64 v[92:93], v[138:139], v[136:137], -v[92:93]
	v_mul_f64 v[138:139], v[138:139], v[94:95]
	v_fmac_f64_e32 v[138:139], v[140:141], v[136:137]
	v_add_f64 v[90:91], v[90:91], -v[138:139]
	ds_read2_b64 v[138:141], v156 offset0:22 offset1:23
	v_add_f64 v[88:89], v[88:89], -v[92:93]
	s_waitcnt lgkmcnt(0)
	v_mul_f64 v[92:93], v[140:141], v[94:95]
	v_fma_f64 v[92:93], v[138:139], v[136:137], -v[92:93]
	v_mul_f64 v[138:139], v[138:139], v[94:95]
	v_fmac_f64_e32 v[138:139], v[140:141], v[136:137]
	v_add_f64 v[86:87], v[86:87], -v[138:139]
	ds_read2_b64 v[138:141], v156 offset0:24 offset1:25
	v_add_f64 v[84:85], v[84:85], -v[92:93]
	;; [unrolled: 8-line block ×23, first 2 shown]
	s_waitcnt lgkmcnt(0)
	v_mul_f64 v[92:93], v[140:141], v[94:95]
	v_fma_f64 v[92:93], v[138:139], v[136:137], -v[92:93]
	v_mul_f64 v[138:139], v[138:139], v[94:95]
	v_fmac_f64_e32 v[138:139], v[140:141], v[136:137]
	v_add_f64 v[132:133], v[132:133], -v[92:93]
	v_add_f64 v[134:135], v[134:135], -v[138:139]
	v_mov_b64_e32 v[92:93], v[136:137]
.LBB67_91:
	s_or_b64 exec, exec, s[2:3]
	v_cmp_eq_u32_e32 vcc, 10, v154
	s_barrier
	s_and_saveexec_b64 s[4:5], vcc
	s_cbranch_execz .LBB67_98
; %bb.92:
	s_waitcnt vmcnt(27)
	ds_write2_b64 v155, v[88:89], v[90:91] offset1:1
	s_waitcnt vmcnt(26)
	ds_write2_b64 v156, v[84:85], v[86:87] offset0:22 offset1:23
	s_waitcnt vmcnt(25)
	ds_write2_b64 v156, v[80:81], v[82:83] offset0:24 offset1:25
	s_waitcnt vmcnt(24)
	ds_write2_b64 v156, v[76:77], v[78:79] offset0:26 offset1:27
	s_waitcnt vmcnt(23)
	ds_write2_b64 v156, v[72:73], v[74:75] offset0:28 offset1:29
	s_waitcnt vmcnt(22)
	ds_write2_b64 v156, v[68:69], v[70:71] offset0:30 offset1:31
	s_waitcnt vmcnt(21)
	ds_write2_b64 v156, v[64:65], v[66:67] offset0:32 offset1:33
	s_waitcnt vmcnt(20)
	ds_write2_b64 v156, v[60:61], v[62:63] offset0:34 offset1:35
	s_waitcnt vmcnt(19)
	ds_write2_b64 v156, v[56:57], v[58:59] offset0:36 offset1:37
	s_waitcnt vmcnt(18)
	ds_write2_b64 v156, v[52:53], v[54:55] offset0:38 offset1:39
	s_waitcnt vmcnt(17)
	ds_write2_b64 v156, v[48:49], v[50:51] offset0:40 offset1:41
	s_waitcnt vmcnt(16)
	ds_write2_b64 v156, v[44:45], v[46:47] offset0:42 offset1:43
	s_waitcnt vmcnt(15)
	ds_write2_b64 v156, v[40:41], v[42:43] offset0:44 offset1:45
	s_waitcnt vmcnt(14)
	ds_write2_b64 v156, v[36:37], v[38:39] offset0:46 offset1:47
	s_waitcnt vmcnt(13)
	ds_write2_b64 v156, v[32:33], v[34:35] offset0:48 offset1:49
	s_waitcnt vmcnt(12)
	ds_write2_b64 v156, v[28:29], v[30:31] offset0:50 offset1:51
	s_waitcnt vmcnt(11)
	ds_write2_b64 v156, v[24:25], v[26:27] offset0:52 offset1:53
	s_waitcnt vmcnt(10)
	ds_write2_b64 v156, v[20:21], v[22:23] offset0:54 offset1:55
	s_waitcnt vmcnt(9)
	ds_write2_b64 v156, v[16:17], v[18:19] offset0:56 offset1:57
	s_waitcnt vmcnt(8)
	ds_write2_b64 v156, v[12:13], v[14:15] offset0:58 offset1:59
	s_waitcnt vmcnt(7)
	ds_write2_b64 v156, v[8:9], v[10:11] offset0:60 offset1:61
	s_waitcnt vmcnt(6)
	ds_write2_b64 v156, v[4:5], v[6:7] offset0:62 offset1:63
	s_waitcnt vmcnt(5)
	ds_write2_b64 v156, v[0:1], v[2:3] offset0:64 offset1:65
	s_waitcnt vmcnt(4)
	ds_write2_b64 v156, v[132:133], v[134:135] offset0:66 offset1:67
	ds_read2_b64 v[136:139], v155 offset1:1
	s_waitcnt lgkmcnt(0)
	v_cmp_neq_f64_e32 vcc, 0, v[136:137]
	v_cmp_neq_f64_e64 s[2:3], 0, v[138:139]
	s_or_b64 s[2:3], vcc, s[2:3]
	s_and_b64 exec, exec, s[2:3]
	s_cbranch_execz .LBB67_98
; %bb.93:
	v_cmp_ngt_f64_e64 s[2:3], |v[136:137]|, |v[138:139]|
                                        ; implicit-def: $vgpr140_vgpr141
	s_and_saveexec_b64 s[10:11], s[2:3]
	s_xor_b64 s[2:3], exec, s[10:11]
                                        ; implicit-def: $vgpr142_vgpr143
	s_cbranch_execz .LBB67_95
; %bb.94:
	v_div_scale_f64 v[140:141], s[10:11], v[138:139], v[138:139], v[136:137]
	v_rcp_f64_e32 v[142:143], v[140:141]
	v_div_scale_f64 v[144:145], vcc, v[136:137], v[138:139], v[136:137]
	v_fma_f64 v[146:147], -v[140:141], v[142:143], 1.0
	v_fmac_f64_e32 v[142:143], v[142:143], v[146:147]
	v_fma_f64 v[146:147], -v[140:141], v[142:143], 1.0
	v_fmac_f64_e32 v[142:143], v[142:143], v[146:147]
	v_mul_f64 v[146:147], v[144:145], v[142:143]
	v_fma_f64 v[140:141], -v[140:141], v[146:147], v[144:145]
	v_div_fmas_f64 v[140:141], v[140:141], v[142:143], v[146:147]
	v_div_fixup_f64 v[140:141], v[140:141], v[138:139], v[136:137]
	v_fmac_f64_e32 v[138:139], v[136:137], v[140:141]
	v_div_scale_f64 v[136:137], s[10:11], v[138:139], v[138:139], 1.0
	v_rcp_f64_e32 v[142:143], v[136:137]
	s_nop 0
	v_fma_f64 v[144:145], -v[136:137], v[142:143], 1.0
	v_fmac_f64_e32 v[142:143], v[142:143], v[144:145]
	v_fma_f64 v[144:145], -v[136:137], v[142:143], 1.0
	v_fmac_f64_e32 v[142:143], v[142:143], v[144:145]
	v_div_scale_f64 v[144:145], vcc, 1.0, v[138:139], 1.0
	v_mul_f64 v[146:147], v[144:145], v[142:143]
	v_fma_f64 v[136:137], -v[136:137], v[146:147], v[144:145]
	s_nop 1
	v_div_fmas_f64 v[136:137], v[136:137], v[142:143], v[146:147]
	v_div_fixup_f64 v[142:143], v[136:137], v[138:139], 1.0
	v_mul_f64 v[140:141], v[140:141], v[142:143]
	v_xor_b32_e32 v143, 0x80000000, v143
                                        ; implicit-def: $vgpr136_vgpr137
.LBB67_95:
	s_andn2_saveexec_b64 s[2:3], s[2:3]
	s_cbranch_execz .LBB67_97
; %bb.96:
	v_div_scale_f64 v[140:141], s[10:11], v[136:137], v[136:137], v[138:139]
	v_rcp_f64_e32 v[142:143], v[140:141]
	v_div_scale_f64 v[144:145], vcc, v[138:139], v[136:137], v[138:139]
	v_fma_f64 v[146:147], -v[140:141], v[142:143], 1.0
	v_fmac_f64_e32 v[142:143], v[142:143], v[146:147]
	v_fma_f64 v[146:147], -v[140:141], v[142:143], 1.0
	v_fmac_f64_e32 v[142:143], v[142:143], v[146:147]
	v_mul_f64 v[146:147], v[144:145], v[142:143]
	v_fma_f64 v[140:141], -v[140:141], v[146:147], v[144:145]
	v_div_fmas_f64 v[140:141], v[140:141], v[142:143], v[146:147]
	v_div_fixup_f64 v[142:143], v[140:141], v[136:137], v[138:139]
	v_fmac_f64_e32 v[136:137], v[138:139], v[142:143]
	v_div_scale_f64 v[138:139], s[10:11], v[136:137], v[136:137], 1.0
	v_rcp_f64_e32 v[140:141], v[138:139]
	s_nop 0
	v_fma_f64 v[144:145], -v[138:139], v[140:141], 1.0
	v_fmac_f64_e32 v[140:141], v[140:141], v[144:145]
	v_fma_f64 v[144:145], -v[138:139], v[140:141], 1.0
	v_fmac_f64_e32 v[140:141], v[140:141], v[144:145]
	v_div_scale_f64 v[144:145], vcc, 1.0, v[136:137], 1.0
	v_mul_f64 v[146:147], v[144:145], v[140:141]
	v_fma_f64 v[138:139], -v[138:139], v[146:147], v[144:145]
	s_nop 1
	v_div_fmas_f64 v[138:139], v[138:139], v[140:141], v[146:147]
	v_div_fixup_f64 v[140:141], v[138:139], v[136:137], 1.0
	v_mul_f64 v[142:143], v[142:143], -v[140:141]
.LBB67_97:
	s_or_b64 exec, exec, s[2:3]
	ds_write2_b64 v155, v[140:141], v[142:143] offset1:1
.LBB67_98:
	s_or_b64 exec, exec, s[4:5]
	s_waitcnt lgkmcnt(0)
	s_barrier
	ds_read2_b64 v[136:139], v155 offset1:1
	v_cmp_lt_u32_e32 vcc, 10, v154
	s_waitcnt lgkmcnt(0)
	scratch_store_dwordx4 off, v[136:139], off offset:72 ; 16-byte Folded Spill
	s_and_saveexec_b64 s[2:3], vcc
	s_cbranch_execz .LBB67_100
; %bb.99:
	scratch_load_dwordx4 v[138:141], off, off offset:72 ; 16-byte Folded Reload
	s_waitcnt vmcnt(0)
	v_mul_f64 v[136:137], v[140:141], v[90:91]
	v_mul_f64 v[90:91], v[138:139], v[90:91]
	v_fma_f64 v[136:137], v[138:139], v[88:89], -v[136:137]
	v_fmac_f64_e32 v[90:91], v[140:141], v[88:89]
	ds_read2_b64 v[138:141], v156 offset0:22 offset1:23
	s_waitcnt lgkmcnt(0)
	v_mul_f64 v[88:89], v[140:141], v[90:91]
	v_fma_f64 v[88:89], v[138:139], v[136:137], -v[88:89]
	v_mul_f64 v[138:139], v[138:139], v[90:91]
	v_fmac_f64_e32 v[138:139], v[140:141], v[136:137]
	v_add_f64 v[86:87], v[86:87], -v[138:139]
	ds_read2_b64 v[138:141], v156 offset0:24 offset1:25
	v_add_f64 v[84:85], v[84:85], -v[88:89]
	s_waitcnt lgkmcnt(0)
	v_mul_f64 v[88:89], v[140:141], v[90:91]
	v_fma_f64 v[88:89], v[138:139], v[136:137], -v[88:89]
	v_mul_f64 v[138:139], v[138:139], v[90:91]
	v_fmac_f64_e32 v[138:139], v[140:141], v[136:137]
	v_add_f64 v[82:83], v[82:83], -v[138:139]
	ds_read2_b64 v[138:141], v156 offset0:26 offset1:27
	v_add_f64 v[80:81], v[80:81], -v[88:89]
	;; [unrolled: 8-line block ×22, first 2 shown]
	s_waitcnt lgkmcnt(0)
	v_mul_f64 v[88:89], v[140:141], v[90:91]
	v_fma_f64 v[88:89], v[138:139], v[136:137], -v[88:89]
	v_mul_f64 v[138:139], v[138:139], v[90:91]
	v_fmac_f64_e32 v[138:139], v[140:141], v[136:137]
	v_add_f64 v[132:133], v[132:133], -v[88:89]
	v_add_f64 v[134:135], v[134:135], -v[138:139]
	v_mov_b64_e32 v[88:89], v[136:137]
.LBB67_100:
	s_or_b64 exec, exec, s[2:3]
	v_cmp_eq_u32_e32 vcc, 11, v154
	s_barrier
	s_and_saveexec_b64 s[4:5], vcc
	s_cbranch_execz .LBB67_107
; %bb.101:
	s_waitcnt vmcnt(27)
	ds_write2_b64 v155, v[84:85], v[86:87] offset1:1
	s_waitcnt vmcnt(26)
	ds_write2_b64 v156, v[80:81], v[82:83] offset0:24 offset1:25
	s_waitcnt vmcnt(25)
	ds_write2_b64 v156, v[76:77], v[78:79] offset0:26 offset1:27
	;; [unrolled: 2-line block ×22, first 2 shown]
	ds_read2_b64 v[136:139], v155 offset1:1
	s_waitcnt lgkmcnt(0)
	v_cmp_neq_f64_e32 vcc, 0, v[136:137]
	v_cmp_neq_f64_e64 s[2:3], 0, v[138:139]
	s_or_b64 s[2:3], vcc, s[2:3]
	s_and_b64 exec, exec, s[2:3]
	s_cbranch_execz .LBB67_107
; %bb.102:
	v_cmp_ngt_f64_e64 s[2:3], |v[136:137]|, |v[138:139]|
                                        ; implicit-def: $vgpr140_vgpr141
	s_and_saveexec_b64 s[10:11], s[2:3]
	s_xor_b64 s[2:3], exec, s[10:11]
                                        ; implicit-def: $vgpr142_vgpr143
	s_cbranch_execz .LBB67_104
; %bb.103:
	v_div_scale_f64 v[140:141], s[10:11], v[138:139], v[138:139], v[136:137]
	v_rcp_f64_e32 v[142:143], v[140:141]
	v_div_scale_f64 v[144:145], vcc, v[136:137], v[138:139], v[136:137]
	v_fma_f64 v[146:147], -v[140:141], v[142:143], 1.0
	v_fmac_f64_e32 v[142:143], v[142:143], v[146:147]
	v_fma_f64 v[146:147], -v[140:141], v[142:143], 1.0
	v_fmac_f64_e32 v[142:143], v[142:143], v[146:147]
	v_mul_f64 v[146:147], v[144:145], v[142:143]
	v_fma_f64 v[140:141], -v[140:141], v[146:147], v[144:145]
	v_div_fmas_f64 v[140:141], v[140:141], v[142:143], v[146:147]
	v_div_fixup_f64 v[140:141], v[140:141], v[138:139], v[136:137]
	v_fmac_f64_e32 v[138:139], v[136:137], v[140:141]
	v_div_scale_f64 v[136:137], s[10:11], v[138:139], v[138:139], 1.0
	v_rcp_f64_e32 v[142:143], v[136:137]
	s_nop 0
	v_fma_f64 v[144:145], -v[136:137], v[142:143], 1.0
	v_fmac_f64_e32 v[142:143], v[142:143], v[144:145]
	v_fma_f64 v[144:145], -v[136:137], v[142:143], 1.0
	v_fmac_f64_e32 v[142:143], v[142:143], v[144:145]
	v_div_scale_f64 v[144:145], vcc, 1.0, v[138:139], 1.0
	v_mul_f64 v[146:147], v[144:145], v[142:143]
	v_fma_f64 v[136:137], -v[136:137], v[146:147], v[144:145]
	s_nop 1
	v_div_fmas_f64 v[136:137], v[136:137], v[142:143], v[146:147]
	v_div_fixup_f64 v[142:143], v[136:137], v[138:139], 1.0
	v_mul_f64 v[140:141], v[140:141], v[142:143]
	v_xor_b32_e32 v143, 0x80000000, v143
                                        ; implicit-def: $vgpr136_vgpr137
.LBB67_104:
	s_andn2_saveexec_b64 s[2:3], s[2:3]
	s_cbranch_execz .LBB67_106
; %bb.105:
	v_div_scale_f64 v[140:141], s[10:11], v[136:137], v[136:137], v[138:139]
	v_rcp_f64_e32 v[142:143], v[140:141]
	v_div_scale_f64 v[144:145], vcc, v[138:139], v[136:137], v[138:139]
	v_fma_f64 v[146:147], -v[140:141], v[142:143], 1.0
	v_fmac_f64_e32 v[142:143], v[142:143], v[146:147]
	v_fma_f64 v[146:147], -v[140:141], v[142:143], 1.0
	v_fmac_f64_e32 v[142:143], v[142:143], v[146:147]
	v_mul_f64 v[146:147], v[144:145], v[142:143]
	v_fma_f64 v[140:141], -v[140:141], v[146:147], v[144:145]
	v_div_fmas_f64 v[140:141], v[140:141], v[142:143], v[146:147]
	v_div_fixup_f64 v[142:143], v[140:141], v[136:137], v[138:139]
	v_fmac_f64_e32 v[136:137], v[138:139], v[142:143]
	v_div_scale_f64 v[138:139], s[10:11], v[136:137], v[136:137], 1.0
	v_rcp_f64_e32 v[140:141], v[138:139]
	s_nop 0
	v_fma_f64 v[144:145], -v[138:139], v[140:141], 1.0
	v_fmac_f64_e32 v[140:141], v[140:141], v[144:145]
	v_fma_f64 v[144:145], -v[138:139], v[140:141], 1.0
	v_fmac_f64_e32 v[140:141], v[140:141], v[144:145]
	v_div_scale_f64 v[144:145], vcc, 1.0, v[136:137], 1.0
	v_mul_f64 v[146:147], v[144:145], v[140:141]
	v_fma_f64 v[138:139], -v[138:139], v[146:147], v[144:145]
	s_nop 1
	v_div_fmas_f64 v[138:139], v[138:139], v[140:141], v[146:147]
	v_div_fixup_f64 v[140:141], v[138:139], v[136:137], 1.0
	v_mul_f64 v[142:143], v[142:143], -v[140:141]
.LBB67_106:
	s_or_b64 exec, exec, s[2:3]
	ds_write2_b64 v155, v[140:141], v[142:143] offset1:1
.LBB67_107:
	s_or_b64 exec, exec, s[4:5]
	s_waitcnt lgkmcnt(0)
	s_barrier
	ds_read2_b64 v[136:139], v155 offset1:1
	v_cmp_lt_u32_e32 vcc, 11, v154
	s_waitcnt lgkmcnt(0)
	scratch_store_dwordx4 off, v[136:139], off offset:88 ; 16-byte Folded Spill
	s_and_saveexec_b64 s[2:3], vcc
	s_cbranch_execz .LBB67_109
; %bb.108:
	scratch_load_dwordx4 v[138:141], off, off offset:88 ; 16-byte Folded Reload
	s_waitcnt vmcnt(0)
	v_mul_f64 v[136:137], v[140:141], v[86:87]
	v_mul_f64 v[86:87], v[138:139], v[86:87]
	v_fma_f64 v[136:137], v[138:139], v[84:85], -v[136:137]
	v_fmac_f64_e32 v[86:87], v[140:141], v[84:85]
	ds_read2_b64 v[138:141], v156 offset0:24 offset1:25
	s_waitcnt lgkmcnt(0)
	v_mul_f64 v[84:85], v[140:141], v[86:87]
	v_fma_f64 v[84:85], v[138:139], v[136:137], -v[84:85]
	v_mul_f64 v[138:139], v[138:139], v[86:87]
	v_fmac_f64_e32 v[138:139], v[140:141], v[136:137]
	v_add_f64 v[82:83], v[82:83], -v[138:139]
	ds_read2_b64 v[138:141], v156 offset0:26 offset1:27
	v_add_f64 v[80:81], v[80:81], -v[84:85]
	s_waitcnt lgkmcnt(0)
	v_mul_f64 v[84:85], v[140:141], v[86:87]
	v_fma_f64 v[84:85], v[138:139], v[136:137], -v[84:85]
	v_mul_f64 v[138:139], v[138:139], v[86:87]
	v_fmac_f64_e32 v[138:139], v[140:141], v[136:137]
	v_add_f64 v[78:79], v[78:79], -v[138:139]
	ds_read2_b64 v[138:141], v156 offset0:28 offset1:29
	v_add_f64 v[76:77], v[76:77], -v[84:85]
	;; [unrolled: 8-line block ×21, first 2 shown]
	s_waitcnt lgkmcnt(0)
	v_mul_f64 v[84:85], v[140:141], v[86:87]
	v_fma_f64 v[84:85], v[138:139], v[136:137], -v[84:85]
	v_mul_f64 v[138:139], v[138:139], v[86:87]
	v_fmac_f64_e32 v[138:139], v[140:141], v[136:137]
	v_add_f64 v[132:133], v[132:133], -v[84:85]
	v_add_f64 v[134:135], v[134:135], -v[138:139]
	v_mov_b64_e32 v[84:85], v[136:137]
.LBB67_109:
	s_or_b64 exec, exec, s[2:3]
	v_cmp_eq_u32_e32 vcc, 12, v154
	s_barrier
	s_and_saveexec_b64 s[4:5], vcc
	s_cbranch_execz .LBB67_116
; %bb.110:
	s_waitcnt vmcnt(27)
	ds_write2_b64 v155, v[80:81], v[82:83] offset1:1
	s_waitcnt vmcnt(26)
	ds_write2_b64 v156, v[76:77], v[78:79] offset0:26 offset1:27
	s_waitcnt vmcnt(25)
	ds_write2_b64 v156, v[72:73], v[74:75] offset0:28 offset1:29
	;; [unrolled: 2-line block ×21, first 2 shown]
	ds_read2_b64 v[136:139], v155 offset1:1
	s_waitcnt lgkmcnt(0)
	v_cmp_neq_f64_e32 vcc, 0, v[136:137]
	v_cmp_neq_f64_e64 s[2:3], 0, v[138:139]
	s_or_b64 s[2:3], vcc, s[2:3]
	s_and_b64 exec, exec, s[2:3]
	s_cbranch_execz .LBB67_116
; %bb.111:
	v_cmp_ngt_f64_e64 s[2:3], |v[136:137]|, |v[138:139]|
                                        ; implicit-def: $vgpr140_vgpr141
	s_and_saveexec_b64 s[10:11], s[2:3]
	s_xor_b64 s[2:3], exec, s[10:11]
                                        ; implicit-def: $vgpr142_vgpr143
	s_cbranch_execz .LBB67_113
; %bb.112:
	v_div_scale_f64 v[140:141], s[10:11], v[138:139], v[138:139], v[136:137]
	v_rcp_f64_e32 v[142:143], v[140:141]
	v_div_scale_f64 v[144:145], vcc, v[136:137], v[138:139], v[136:137]
	v_fma_f64 v[146:147], -v[140:141], v[142:143], 1.0
	v_fmac_f64_e32 v[142:143], v[142:143], v[146:147]
	v_fma_f64 v[146:147], -v[140:141], v[142:143], 1.0
	v_fmac_f64_e32 v[142:143], v[142:143], v[146:147]
	v_mul_f64 v[146:147], v[144:145], v[142:143]
	v_fma_f64 v[140:141], -v[140:141], v[146:147], v[144:145]
	v_div_fmas_f64 v[140:141], v[140:141], v[142:143], v[146:147]
	v_div_fixup_f64 v[140:141], v[140:141], v[138:139], v[136:137]
	v_fmac_f64_e32 v[138:139], v[136:137], v[140:141]
	v_div_scale_f64 v[136:137], s[10:11], v[138:139], v[138:139], 1.0
	v_rcp_f64_e32 v[142:143], v[136:137]
	s_nop 0
	v_fma_f64 v[144:145], -v[136:137], v[142:143], 1.0
	v_fmac_f64_e32 v[142:143], v[142:143], v[144:145]
	v_fma_f64 v[144:145], -v[136:137], v[142:143], 1.0
	v_fmac_f64_e32 v[142:143], v[142:143], v[144:145]
	v_div_scale_f64 v[144:145], vcc, 1.0, v[138:139], 1.0
	v_mul_f64 v[146:147], v[144:145], v[142:143]
	v_fma_f64 v[136:137], -v[136:137], v[146:147], v[144:145]
	s_nop 1
	v_div_fmas_f64 v[136:137], v[136:137], v[142:143], v[146:147]
	v_div_fixup_f64 v[142:143], v[136:137], v[138:139], 1.0
	v_mul_f64 v[140:141], v[140:141], v[142:143]
	v_xor_b32_e32 v143, 0x80000000, v143
                                        ; implicit-def: $vgpr136_vgpr137
.LBB67_113:
	s_andn2_saveexec_b64 s[2:3], s[2:3]
	s_cbranch_execz .LBB67_115
; %bb.114:
	v_div_scale_f64 v[140:141], s[10:11], v[136:137], v[136:137], v[138:139]
	v_rcp_f64_e32 v[142:143], v[140:141]
	v_div_scale_f64 v[144:145], vcc, v[138:139], v[136:137], v[138:139]
	v_fma_f64 v[146:147], -v[140:141], v[142:143], 1.0
	v_fmac_f64_e32 v[142:143], v[142:143], v[146:147]
	v_fma_f64 v[146:147], -v[140:141], v[142:143], 1.0
	v_fmac_f64_e32 v[142:143], v[142:143], v[146:147]
	v_mul_f64 v[146:147], v[144:145], v[142:143]
	v_fma_f64 v[140:141], -v[140:141], v[146:147], v[144:145]
	v_div_fmas_f64 v[140:141], v[140:141], v[142:143], v[146:147]
	v_div_fixup_f64 v[142:143], v[140:141], v[136:137], v[138:139]
	v_fmac_f64_e32 v[136:137], v[138:139], v[142:143]
	v_div_scale_f64 v[138:139], s[10:11], v[136:137], v[136:137], 1.0
	v_rcp_f64_e32 v[140:141], v[138:139]
	s_nop 0
	v_fma_f64 v[144:145], -v[138:139], v[140:141], 1.0
	v_fmac_f64_e32 v[140:141], v[140:141], v[144:145]
	v_fma_f64 v[144:145], -v[138:139], v[140:141], 1.0
	v_fmac_f64_e32 v[140:141], v[140:141], v[144:145]
	v_div_scale_f64 v[144:145], vcc, 1.0, v[136:137], 1.0
	v_mul_f64 v[146:147], v[144:145], v[140:141]
	v_fma_f64 v[138:139], -v[138:139], v[146:147], v[144:145]
	s_nop 1
	v_div_fmas_f64 v[138:139], v[138:139], v[140:141], v[146:147]
	v_div_fixup_f64 v[140:141], v[138:139], v[136:137], 1.0
	v_mul_f64 v[142:143], v[142:143], -v[140:141]
.LBB67_115:
	s_or_b64 exec, exec, s[2:3]
	ds_write2_b64 v155, v[140:141], v[142:143] offset1:1
.LBB67_116:
	s_or_b64 exec, exec, s[4:5]
	s_waitcnt lgkmcnt(0)
	s_barrier
	ds_read2_b64 v[136:139], v155 offset1:1
	v_cmp_lt_u32_e32 vcc, 12, v154
	s_waitcnt lgkmcnt(0)
	scratch_store_dwordx4 off, v[136:139], off offset:104 ; 16-byte Folded Spill
	s_and_saveexec_b64 s[2:3], vcc
	s_cbranch_execz .LBB67_118
; %bb.117:
	scratch_load_dwordx4 v[138:141], off, off offset:104 ; 16-byte Folded Reload
	s_waitcnt vmcnt(0)
	v_mul_f64 v[136:137], v[140:141], v[82:83]
	v_mul_f64 v[82:83], v[138:139], v[82:83]
	v_fma_f64 v[136:137], v[138:139], v[80:81], -v[136:137]
	v_fmac_f64_e32 v[82:83], v[140:141], v[80:81]
	ds_read2_b64 v[138:141], v156 offset0:26 offset1:27
	s_waitcnt lgkmcnt(0)
	v_mul_f64 v[80:81], v[140:141], v[82:83]
	v_fma_f64 v[80:81], v[138:139], v[136:137], -v[80:81]
	v_mul_f64 v[138:139], v[138:139], v[82:83]
	v_fmac_f64_e32 v[138:139], v[140:141], v[136:137]
	v_add_f64 v[78:79], v[78:79], -v[138:139]
	ds_read2_b64 v[138:141], v156 offset0:28 offset1:29
	v_add_f64 v[76:77], v[76:77], -v[80:81]
	s_waitcnt lgkmcnt(0)
	v_mul_f64 v[80:81], v[140:141], v[82:83]
	v_fma_f64 v[80:81], v[138:139], v[136:137], -v[80:81]
	v_mul_f64 v[138:139], v[138:139], v[82:83]
	v_fmac_f64_e32 v[138:139], v[140:141], v[136:137]
	v_add_f64 v[74:75], v[74:75], -v[138:139]
	ds_read2_b64 v[138:141], v156 offset0:30 offset1:31
	v_add_f64 v[72:73], v[72:73], -v[80:81]
	s_waitcnt lgkmcnt(0)
	v_mul_f64 v[80:81], v[140:141], v[82:83]
	v_fma_f64 v[80:81], v[138:139], v[136:137], -v[80:81]
	v_mul_f64 v[138:139], v[138:139], v[82:83]
	v_fmac_f64_e32 v[138:139], v[140:141], v[136:137]
	v_add_f64 v[70:71], v[70:71], -v[138:139]
	ds_read2_b64 v[138:141], v156 offset0:32 offset1:33
	v_add_f64 v[68:69], v[68:69], -v[80:81]
	s_waitcnt lgkmcnt(0)
	v_mul_f64 v[80:81], v[140:141], v[82:83]
	v_fma_f64 v[80:81], v[138:139], v[136:137], -v[80:81]
	v_mul_f64 v[138:139], v[138:139], v[82:83]
	v_fmac_f64_e32 v[138:139], v[140:141], v[136:137]
	v_add_f64 v[66:67], v[66:67], -v[138:139]
	ds_read2_b64 v[138:141], v156 offset0:34 offset1:35
	v_add_f64 v[64:65], v[64:65], -v[80:81]
	s_waitcnt lgkmcnt(0)
	v_mul_f64 v[80:81], v[140:141], v[82:83]
	v_fma_f64 v[80:81], v[138:139], v[136:137], -v[80:81]
	v_mul_f64 v[138:139], v[138:139], v[82:83]
	v_fmac_f64_e32 v[138:139], v[140:141], v[136:137]
	v_add_f64 v[62:63], v[62:63], -v[138:139]
	ds_read2_b64 v[138:141], v156 offset0:36 offset1:37
	v_add_f64 v[60:61], v[60:61], -v[80:81]
	s_waitcnt lgkmcnt(0)
	v_mul_f64 v[80:81], v[140:141], v[82:83]
	v_fma_f64 v[80:81], v[138:139], v[136:137], -v[80:81]
	v_mul_f64 v[138:139], v[138:139], v[82:83]
	v_fmac_f64_e32 v[138:139], v[140:141], v[136:137]
	v_add_f64 v[58:59], v[58:59], -v[138:139]
	ds_read2_b64 v[138:141], v156 offset0:38 offset1:39
	v_add_f64 v[56:57], v[56:57], -v[80:81]
	s_waitcnt lgkmcnt(0)
	v_mul_f64 v[80:81], v[140:141], v[82:83]
	v_fma_f64 v[80:81], v[138:139], v[136:137], -v[80:81]
	v_mul_f64 v[138:139], v[138:139], v[82:83]
	v_fmac_f64_e32 v[138:139], v[140:141], v[136:137]
	v_add_f64 v[54:55], v[54:55], -v[138:139]
	ds_read2_b64 v[138:141], v156 offset0:40 offset1:41
	v_add_f64 v[52:53], v[52:53], -v[80:81]
	s_waitcnt lgkmcnt(0)
	v_mul_f64 v[80:81], v[140:141], v[82:83]
	v_fma_f64 v[80:81], v[138:139], v[136:137], -v[80:81]
	v_mul_f64 v[138:139], v[138:139], v[82:83]
	v_fmac_f64_e32 v[138:139], v[140:141], v[136:137]
	v_add_f64 v[50:51], v[50:51], -v[138:139]
	ds_read2_b64 v[138:141], v156 offset0:42 offset1:43
	v_add_f64 v[48:49], v[48:49], -v[80:81]
	s_waitcnt lgkmcnt(0)
	v_mul_f64 v[80:81], v[140:141], v[82:83]
	v_fma_f64 v[80:81], v[138:139], v[136:137], -v[80:81]
	v_mul_f64 v[138:139], v[138:139], v[82:83]
	v_fmac_f64_e32 v[138:139], v[140:141], v[136:137]
	v_add_f64 v[46:47], v[46:47], -v[138:139]
	ds_read2_b64 v[138:141], v156 offset0:44 offset1:45
	v_add_f64 v[44:45], v[44:45], -v[80:81]
	s_waitcnt lgkmcnt(0)
	v_mul_f64 v[80:81], v[140:141], v[82:83]
	v_fma_f64 v[80:81], v[138:139], v[136:137], -v[80:81]
	v_mul_f64 v[138:139], v[138:139], v[82:83]
	v_fmac_f64_e32 v[138:139], v[140:141], v[136:137]
	v_add_f64 v[42:43], v[42:43], -v[138:139]
	ds_read2_b64 v[138:141], v156 offset0:46 offset1:47
	v_add_f64 v[40:41], v[40:41], -v[80:81]
	s_waitcnt lgkmcnt(0)
	v_mul_f64 v[80:81], v[140:141], v[82:83]
	v_fma_f64 v[80:81], v[138:139], v[136:137], -v[80:81]
	v_mul_f64 v[138:139], v[138:139], v[82:83]
	v_fmac_f64_e32 v[138:139], v[140:141], v[136:137]
	v_add_f64 v[38:39], v[38:39], -v[138:139]
	ds_read2_b64 v[138:141], v156 offset0:48 offset1:49
	v_add_f64 v[36:37], v[36:37], -v[80:81]
	s_waitcnt lgkmcnt(0)
	v_mul_f64 v[80:81], v[140:141], v[82:83]
	v_fma_f64 v[80:81], v[138:139], v[136:137], -v[80:81]
	v_mul_f64 v[138:139], v[138:139], v[82:83]
	v_fmac_f64_e32 v[138:139], v[140:141], v[136:137]
	v_add_f64 v[34:35], v[34:35], -v[138:139]
	ds_read2_b64 v[138:141], v156 offset0:50 offset1:51
	v_add_f64 v[32:33], v[32:33], -v[80:81]
	s_waitcnt lgkmcnt(0)
	v_mul_f64 v[80:81], v[140:141], v[82:83]
	v_fma_f64 v[80:81], v[138:139], v[136:137], -v[80:81]
	v_mul_f64 v[138:139], v[138:139], v[82:83]
	v_fmac_f64_e32 v[138:139], v[140:141], v[136:137]
	v_add_f64 v[30:31], v[30:31], -v[138:139]
	ds_read2_b64 v[138:141], v156 offset0:52 offset1:53
	v_add_f64 v[28:29], v[28:29], -v[80:81]
	s_waitcnt lgkmcnt(0)
	v_mul_f64 v[80:81], v[140:141], v[82:83]
	v_fma_f64 v[80:81], v[138:139], v[136:137], -v[80:81]
	v_mul_f64 v[138:139], v[138:139], v[82:83]
	v_fmac_f64_e32 v[138:139], v[140:141], v[136:137]
	v_add_f64 v[26:27], v[26:27], -v[138:139]
	ds_read2_b64 v[138:141], v156 offset0:54 offset1:55
	v_add_f64 v[24:25], v[24:25], -v[80:81]
	s_waitcnt lgkmcnt(0)
	v_mul_f64 v[80:81], v[140:141], v[82:83]
	v_fma_f64 v[80:81], v[138:139], v[136:137], -v[80:81]
	v_mul_f64 v[138:139], v[138:139], v[82:83]
	v_fmac_f64_e32 v[138:139], v[140:141], v[136:137]
	v_add_f64 v[22:23], v[22:23], -v[138:139]
	ds_read2_b64 v[138:141], v156 offset0:56 offset1:57
	v_add_f64 v[20:21], v[20:21], -v[80:81]
	s_waitcnt lgkmcnt(0)
	v_mul_f64 v[80:81], v[140:141], v[82:83]
	v_fma_f64 v[80:81], v[138:139], v[136:137], -v[80:81]
	v_mul_f64 v[138:139], v[138:139], v[82:83]
	v_fmac_f64_e32 v[138:139], v[140:141], v[136:137]
	v_add_f64 v[18:19], v[18:19], -v[138:139]
	ds_read2_b64 v[138:141], v156 offset0:58 offset1:59
	v_add_f64 v[16:17], v[16:17], -v[80:81]
	s_waitcnt lgkmcnt(0)
	v_mul_f64 v[80:81], v[140:141], v[82:83]
	v_fma_f64 v[80:81], v[138:139], v[136:137], -v[80:81]
	v_mul_f64 v[138:139], v[138:139], v[82:83]
	v_fmac_f64_e32 v[138:139], v[140:141], v[136:137]
	v_add_f64 v[14:15], v[14:15], -v[138:139]
	ds_read2_b64 v[138:141], v156 offset0:60 offset1:61
	v_add_f64 v[12:13], v[12:13], -v[80:81]
	s_waitcnt lgkmcnt(0)
	v_mul_f64 v[80:81], v[140:141], v[82:83]
	v_fma_f64 v[80:81], v[138:139], v[136:137], -v[80:81]
	v_mul_f64 v[138:139], v[138:139], v[82:83]
	v_fmac_f64_e32 v[138:139], v[140:141], v[136:137]
	v_add_f64 v[10:11], v[10:11], -v[138:139]
	ds_read2_b64 v[138:141], v156 offset0:62 offset1:63
	v_add_f64 v[8:9], v[8:9], -v[80:81]
	s_waitcnt lgkmcnt(0)
	v_mul_f64 v[80:81], v[140:141], v[82:83]
	v_fma_f64 v[80:81], v[138:139], v[136:137], -v[80:81]
	v_mul_f64 v[138:139], v[138:139], v[82:83]
	v_fmac_f64_e32 v[138:139], v[140:141], v[136:137]
	v_add_f64 v[6:7], v[6:7], -v[138:139]
	ds_read2_b64 v[138:141], v156 offset0:64 offset1:65
	v_add_f64 v[4:5], v[4:5], -v[80:81]
	s_waitcnt lgkmcnt(0)
	v_mul_f64 v[80:81], v[140:141], v[82:83]
	v_fma_f64 v[80:81], v[138:139], v[136:137], -v[80:81]
	v_mul_f64 v[138:139], v[138:139], v[82:83]
	v_fmac_f64_e32 v[138:139], v[140:141], v[136:137]
	v_add_f64 v[2:3], v[2:3], -v[138:139]
	ds_read2_b64 v[138:141], v156 offset0:66 offset1:67
	v_add_f64 v[0:1], v[0:1], -v[80:81]
	s_waitcnt lgkmcnt(0)
	v_mul_f64 v[80:81], v[140:141], v[82:83]
	v_fma_f64 v[80:81], v[138:139], v[136:137], -v[80:81]
	v_mul_f64 v[138:139], v[138:139], v[82:83]
	v_fmac_f64_e32 v[138:139], v[140:141], v[136:137]
	v_add_f64 v[132:133], v[132:133], -v[80:81]
	v_add_f64 v[134:135], v[134:135], -v[138:139]
	v_mov_b64_e32 v[80:81], v[136:137]
.LBB67_118:
	s_or_b64 exec, exec, s[2:3]
	v_cmp_eq_u32_e32 vcc, 13, v154
	s_barrier
	s_and_saveexec_b64 s[4:5], vcc
	s_cbranch_execz .LBB67_125
; %bb.119:
	s_waitcnt vmcnt(27)
	ds_write2_b64 v155, v[76:77], v[78:79] offset1:1
	s_waitcnt vmcnt(26)
	ds_write2_b64 v156, v[72:73], v[74:75] offset0:28 offset1:29
	s_waitcnt vmcnt(25)
	ds_write2_b64 v156, v[68:69], v[70:71] offset0:30 offset1:31
	;; [unrolled: 2-line block ×20, first 2 shown]
	ds_read2_b64 v[136:139], v155 offset1:1
	s_waitcnt lgkmcnt(0)
	v_cmp_neq_f64_e32 vcc, 0, v[136:137]
	v_cmp_neq_f64_e64 s[2:3], 0, v[138:139]
	s_or_b64 s[2:3], vcc, s[2:3]
	s_and_b64 exec, exec, s[2:3]
	s_cbranch_execz .LBB67_125
; %bb.120:
	v_cmp_ngt_f64_e64 s[2:3], |v[136:137]|, |v[138:139]|
                                        ; implicit-def: $vgpr140_vgpr141
	s_and_saveexec_b64 s[10:11], s[2:3]
	s_xor_b64 s[2:3], exec, s[10:11]
                                        ; implicit-def: $vgpr142_vgpr143
	s_cbranch_execz .LBB67_122
; %bb.121:
	v_div_scale_f64 v[140:141], s[10:11], v[138:139], v[138:139], v[136:137]
	v_rcp_f64_e32 v[142:143], v[140:141]
	v_div_scale_f64 v[144:145], vcc, v[136:137], v[138:139], v[136:137]
	v_fma_f64 v[146:147], -v[140:141], v[142:143], 1.0
	v_fmac_f64_e32 v[142:143], v[142:143], v[146:147]
	v_fma_f64 v[146:147], -v[140:141], v[142:143], 1.0
	v_fmac_f64_e32 v[142:143], v[142:143], v[146:147]
	v_mul_f64 v[146:147], v[144:145], v[142:143]
	v_fma_f64 v[140:141], -v[140:141], v[146:147], v[144:145]
	v_div_fmas_f64 v[140:141], v[140:141], v[142:143], v[146:147]
	v_div_fixup_f64 v[140:141], v[140:141], v[138:139], v[136:137]
	v_fmac_f64_e32 v[138:139], v[136:137], v[140:141]
	v_div_scale_f64 v[136:137], s[10:11], v[138:139], v[138:139], 1.0
	v_rcp_f64_e32 v[142:143], v[136:137]
	s_nop 0
	v_fma_f64 v[144:145], -v[136:137], v[142:143], 1.0
	v_fmac_f64_e32 v[142:143], v[142:143], v[144:145]
	v_fma_f64 v[144:145], -v[136:137], v[142:143], 1.0
	v_fmac_f64_e32 v[142:143], v[142:143], v[144:145]
	v_div_scale_f64 v[144:145], vcc, 1.0, v[138:139], 1.0
	v_mul_f64 v[146:147], v[144:145], v[142:143]
	v_fma_f64 v[136:137], -v[136:137], v[146:147], v[144:145]
	s_nop 1
	v_div_fmas_f64 v[136:137], v[136:137], v[142:143], v[146:147]
	v_div_fixup_f64 v[142:143], v[136:137], v[138:139], 1.0
	v_mul_f64 v[140:141], v[140:141], v[142:143]
	v_xor_b32_e32 v143, 0x80000000, v143
                                        ; implicit-def: $vgpr136_vgpr137
.LBB67_122:
	s_andn2_saveexec_b64 s[2:3], s[2:3]
	s_cbranch_execz .LBB67_124
; %bb.123:
	v_div_scale_f64 v[140:141], s[10:11], v[136:137], v[136:137], v[138:139]
	v_rcp_f64_e32 v[142:143], v[140:141]
	v_div_scale_f64 v[144:145], vcc, v[138:139], v[136:137], v[138:139]
	v_fma_f64 v[146:147], -v[140:141], v[142:143], 1.0
	v_fmac_f64_e32 v[142:143], v[142:143], v[146:147]
	v_fma_f64 v[146:147], -v[140:141], v[142:143], 1.0
	v_fmac_f64_e32 v[142:143], v[142:143], v[146:147]
	v_mul_f64 v[146:147], v[144:145], v[142:143]
	v_fma_f64 v[140:141], -v[140:141], v[146:147], v[144:145]
	v_div_fmas_f64 v[140:141], v[140:141], v[142:143], v[146:147]
	v_div_fixup_f64 v[142:143], v[140:141], v[136:137], v[138:139]
	v_fmac_f64_e32 v[136:137], v[138:139], v[142:143]
	v_div_scale_f64 v[138:139], s[10:11], v[136:137], v[136:137], 1.0
	v_rcp_f64_e32 v[140:141], v[138:139]
	s_nop 0
	v_fma_f64 v[144:145], -v[138:139], v[140:141], 1.0
	v_fmac_f64_e32 v[140:141], v[140:141], v[144:145]
	v_fma_f64 v[144:145], -v[138:139], v[140:141], 1.0
	v_fmac_f64_e32 v[140:141], v[140:141], v[144:145]
	v_div_scale_f64 v[144:145], vcc, 1.0, v[136:137], 1.0
	v_mul_f64 v[146:147], v[144:145], v[140:141]
	v_fma_f64 v[138:139], -v[138:139], v[146:147], v[144:145]
	s_nop 1
	v_div_fmas_f64 v[138:139], v[138:139], v[140:141], v[146:147]
	v_div_fixup_f64 v[140:141], v[138:139], v[136:137], 1.0
	v_mul_f64 v[142:143], v[142:143], -v[140:141]
.LBB67_124:
	s_or_b64 exec, exec, s[2:3]
	ds_write2_b64 v155, v[140:141], v[142:143] offset1:1
.LBB67_125:
	s_or_b64 exec, exec, s[4:5]
	s_waitcnt lgkmcnt(0)
	s_barrier
	ds_read2_b64 v[136:139], v155 offset1:1
	v_cmp_lt_u32_e32 vcc, 13, v154
	s_waitcnt lgkmcnt(0)
	scratch_store_dwordx4 off, v[136:139], off offset:120 ; 16-byte Folded Spill
	s_and_saveexec_b64 s[2:3], vcc
	s_cbranch_execz .LBB67_127
; %bb.126:
	scratch_load_dwordx4 v[138:141], off, off offset:120 ; 16-byte Folded Reload
	s_waitcnt vmcnt(0)
	v_mul_f64 v[136:137], v[140:141], v[78:79]
	v_mul_f64 v[78:79], v[138:139], v[78:79]
	v_fma_f64 v[136:137], v[138:139], v[76:77], -v[136:137]
	v_fmac_f64_e32 v[78:79], v[140:141], v[76:77]
	ds_read2_b64 v[138:141], v156 offset0:28 offset1:29
	s_waitcnt lgkmcnt(0)
	v_mul_f64 v[76:77], v[140:141], v[78:79]
	v_fma_f64 v[76:77], v[138:139], v[136:137], -v[76:77]
	v_mul_f64 v[138:139], v[138:139], v[78:79]
	v_fmac_f64_e32 v[138:139], v[140:141], v[136:137]
	v_add_f64 v[74:75], v[74:75], -v[138:139]
	ds_read2_b64 v[138:141], v156 offset0:30 offset1:31
	v_add_f64 v[72:73], v[72:73], -v[76:77]
	s_waitcnt lgkmcnt(0)
	v_mul_f64 v[76:77], v[140:141], v[78:79]
	v_fma_f64 v[76:77], v[138:139], v[136:137], -v[76:77]
	v_mul_f64 v[138:139], v[138:139], v[78:79]
	v_fmac_f64_e32 v[138:139], v[140:141], v[136:137]
	v_add_f64 v[70:71], v[70:71], -v[138:139]
	ds_read2_b64 v[138:141], v156 offset0:32 offset1:33
	v_add_f64 v[68:69], v[68:69], -v[76:77]
	;; [unrolled: 8-line block ×19, first 2 shown]
	s_waitcnt lgkmcnt(0)
	v_mul_f64 v[76:77], v[140:141], v[78:79]
	v_fma_f64 v[76:77], v[138:139], v[136:137], -v[76:77]
	v_mul_f64 v[138:139], v[138:139], v[78:79]
	v_fmac_f64_e32 v[138:139], v[140:141], v[136:137]
	v_add_f64 v[132:133], v[132:133], -v[76:77]
	v_add_f64 v[134:135], v[134:135], -v[138:139]
	v_mov_b64_e32 v[76:77], v[136:137]
.LBB67_127:
	s_or_b64 exec, exec, s[2:3]
	v_cmp_eq_u32_e32 vcc, 14, v154
	s_barrier
	s_and_saveexec_b64 s[4:5], vcc
	s_cbranch_execz .LBB67_134
; %bb.128:
	s_waitcnt vmcnt(27)
	ds_write2_b64 v155, v[72:73], v[74:75] offset1:1
	s_waitcnt vmcnt(26)
	ds_write2_b64 v156, v[68:69], v[70:71] offset0:30 offset1:31
	s_waitcnt vmcnt(25)
	ds_write2_b64 v156, v[64:65], v[66:67] offset0:32 offset1:33
	;; [unrolled: 2-line block ×19, first 2 shown]
	ds_read2_b64 v[136:139], v155 offset1:1
	s_waitcnt lgkmcnt(0)
	v_cmp_neq_f64_e32 vcc, 0, v[136:137]
	v_cmp_neq_f64_e64 s[2:3], 0, v[138:139]
	s_or_b64 s[2:3], vcc, s[2:3]
	s_and_b64 exec, exec, s[2:3]
	s_cbranch_execz .LBB67_134
; %bb.129:
	v_cmp_ngt_f64_e64 s[2:3], |v[136:137]|, |v[138:139]|
                                        ; implicit-def: $vgpr140_vgpr141
	s_and_saveexec_b64 s[10:11], s[2:3]
	s_xor_b64 s[2:3], exec, s[10:11]
                                        ; implicit-def: $vgpr142_vgpr143
	s_cbranch_execz .LBB67_131
; %bb.130:
	v_div_scale_f64 v[140:141], s[10:11], v[138:139], v[138:139], v[136:137]
	v_rcp_f64_e32 v[142:143], v[140:141]
	v_div_scale_f64 v[144:145], vcc, v[136:137], v[138:139], v[136:137]
	v_fma_f64 v[146:147], -v[140:141], v[142:143], 1.0
	v_fmac_f64_e32 v[142:143], v[142:143], v[146:147]
	v_fma_f64 v[146:147], -v[140:141], v[142:143], 1.0
	v_fmac_f64_e32 v[142:143], v[142:143], v[146:147]
	v_mul_f64 v[146:147], v[144:145], v[142:143]
	v_fma_f64 v[140:141], -v[140:141], v[146:147], v[144:145]
	v_div_fmas_f64 v[140:141], v[140:141], v[142:143], v[146:147]
	v_div_fixup_f64 v[140:141], v[140:141], v[138:139], v[136:137]
	v_fmac_f64_e32 v[138:139], v[136:137], v[140:141]
	v_div_scale_f64 v[136:137], s[10:11], v[138:139], v[138:139], 1.0
	v_rcp_f64_e32 v[142:143], v[136:137]
	s_nop 0
	v_fma_f64 v[144:145], -v[136:137], v[142:143], 1.0
	v_fmac_f64_e32 v[142:143], v[142:143], v[144:145]
	v_fma_f64 v[144:145], -v[136:137], v[142:143], 1.0
	v_fmac_f64_e32 v[142:143], v[142:143], v[144:145]
	v_div_scale_f64 v[144:145], vcc, 1.0, v[138:139], 1.0
	v_mul_f64 v[146:147], v[144:145], v[142:143]
	v_fma_f64 v[136:137], -v[136:137], v[146:147], v[144:145]
	s_nop 1
	v_div_fmas_f64 v[136:137], v[136:137], v[142:143], v[146:147]
	v_div_fixup_f64 v[142:143], v[136:137], v[138:139], 1.0
	v_mul_f64 v[140:141], v[140:141], v[142:143]
	v_xor_b32_e32 v143, 0x80000000, v143
                                        ; implicit-def: $vgpr136_vgpr137
.LBB67_131:
	s_andn2_saveexec_b64 s[2:3], s[2:3]
	s_cbranch_execz .LBB67_133
; %bb.132:
	v_div_scale_f64 v[140:141], s[10:11], v[136:137], v[136:137], v[138:139]
	v_rcp_f64_e32 v[142:143], v[140:141]
	v_div_scale_f64 v[144:145], vcc, v[138:139], v[136:137], v[138:139]
	v_fma_f64 v[146:147], -v[140:141], v[142:143], 1.0
	v_fmac_f64_e32 v[142:143], v[142:143], v[146:147]
	v_fma_f64 v[146:147], -v[140:141], v[142:143], 1.0
	v_fmac_f64_e32 v[142:143], v[142:143], v[146:147]
	v_mul_f64 v[146:147], v[144:145], v[142:143]
	v_fma_f64 v[140:141], -v[140:141], v[146:147], v[144:145]
	v_div_fmas_f64 v[140:141], v[140:141], v[142:143], v[146:147]
	v_div_fixup_f64 v[142:143], v[140:141], v[136:137], v[138:139]
	v_fmac_f64_e32 v[136:137], v[138:139], v[142:143]
	v_div_scale_f64 v[138:139], s[10:11], v[136:137], v[136:137], 1.0
	v_rcp_f64_e32 v[140:141], v[138:139]
	s_nop 0
	v_fma_f64 v[144:145], -v[138:139], v[140:141], 1.0
	v_fmac_f64_e32 v[140:141], v[140:141], v[144:145]
	v_fma_f64 v[144:145], -v[138:139], v[140:141], 1.0
	v_fmac_f64_e32 v[140:141], v[140:141], v[144:145]
	v_div_scale_f64 v[144:145], vcc, 1.0, v[136:137], 1.0
	v_mul_f64 v[146:147], v[144:145], v[140:141]
	v_fma_f64 v[138:139], -v[138:139], v[146:147], v[144:145]
	s_nop 1
	v_div_fmas_f64 v[138:139], v[138:139], v[140:141], v[146:147]
	v_div_fixup_f64 v[140:141], v[138:139], v[136:137], 1.0
	v_mul_f64 v[142:143], v[142:143], -v[140:141]
.LBB67_133:
	s_or_b64 exec, exec, s[2:3]
	ds_write2_b64 v155, v[140:141], v[142:143] offset1:1
.LBB67_134:
	s_or_b64 exec, exec, s[4:5]
	s_waitcnt lgkmcnt(0)
	s_barrier
	ds_read2_b64 v[136:139], v155 offset1:1
	v_cmp_lt_u32_e32 vcc, 14, v154
	s_waitcnt lgkmcnt(0)
	scratch_store_dwordx4 off, v[136:139], off offset:136 ; 16-byte Folded Spill
	s_and_saveexec_b64 s[2:3], vcc
	s_cbranch_execz .LBB67_136
; %bb.135:
	scratch_load_dwordx4 v[138:141], off, off offset:136 ; 16-byte Folded Reload
	s_waitcnt vmcnt(0)
	v_mul_f64 v[136:137], v[140:141], v[74:75]
	v_mul_f64 v[74:75], v[138:139], v[74:75]
	v_fma_f64 v[136:137], v[138:139], v[72:73], -v[136:137]
	v_fmac_f64_e32 v[74:75], v[140:141], v[72:73]
	ds_read2_b64 v[138:141], v156 offset0:30 offset1:31
	s_waitcnt lgkmcnt(0)
	v_mul_f64 v[72:73], v[140:141], v[74:75]
	v_fma_f64 v[72:73], v[138:139], v[136:137], -v[72:73]
	v_mul_f64 v[138:139], v[138:139], v[74:75]
	v_fmac_f64_e32 v[138:139], v[140:141], v[136:137]
	v_add_f64 v[70:71], v[70:71], -v[138:139]
	ds_read2_b64 v[138:141], v156 offset0:32 offset1:33
	v_add_f64 v[68:69], v[68:69], -v[72:73]
	s_waitcnt lgkmcnt(0)
	v_mul_f64 v[72:73], v[140:141], v[74:75]
	v_fma_f64 v[72:73], v[138:139], v[136:137], -v[72:73]
	v_mul_f64 v[138:139], v[138:139], v[74:75]
	v_fmac_f64_e32 v[138:139], v[140:141], v[136:137]
	v_add_f64 v[66:67], v[66:67], -v[138:139]
	ds_read2_b64 v[138:141], v156 offset0:34 offset1:35
	v_add_f64 v[64:65], v[64:65], -v[72:73]
	;; [unrolled: 8-line block ×18, first 2 shown]
	s_waitcnt lgkmcnt(0)
	v_mul_f64 v[72:73], v[140:141], v[74:75]
	v_fma_f64 v[72:73], v[138:139], v[136:137], -v[72:73]
	v_mul_f64 v[138:139], v[138:139], v[74:75]
	v_fmac_f64_e32 v[138:139], v[140:141], v[136:137]
	v_add_f64 v[132:133], v[132:133], -v[72:73]
	v_add_f64 v[134:135], v[134:135], -v[138:139]
	v_mov_b64_e32 v[72:73], v[136:137]
.LBB67_136:
	s_or_b64 exec, exec, s[2:3]
	v_cmp_eq_u32_e32 vcc, 15, v154
	s_barrier
	s_and_saveexec_b64 s[4:5], vcc
	s_cbranch_execz .LBB67_143
; %bb.137:
	s_waitcnt vmcnt(27)
	ds_write2_b64 v155, v[68:69], v[70:71] offset1:1
	s_waitcnt vmcnt(26)
	ds_write2_b64 v156, v[64:65], v[66:67] offset0:32 offset1:33
	s_waitcnt vmcnt(25)
	ds_write2_b64 v156, v[60:61], v[62:63] offset0:34 offset1:35
	s_waitcnt vmcnt(24)
	ds_write2_b64 v156, v[56:57], v[58:59] offset0:36 offset1:37
	s_waitcnt vmcnt(23)
	ds_write2_b64 v156, v[52:53], v[54:55] offset0:38 offset1:39
	s_waitcnt vmcnt(22)
	ds_write2_b64 v156, v[48:49], v[50:51] offset0:40 offset1:41
	s_waitcnt vmcnt(21)
	ds_write2_b64 v156, v[44:45], v[46:47] offset0:42 offset1:43
	s_waitcnt vmcnt(20)
	ds_write2_b64 v156, v[40:41], v[42:43] offset0:44 offset1:45
	s_waitcnt vmcnt(19)
	ds_write2_b64 v156, v[36:37], v[38:39] offset0:46 offset1:47
	s_waitcnt vmcnt(18)
	ds_write2_b64 v156, v[32:33], v[34:35] offset0:48 offset1:49
	s_waitcnt vmcnt(17)
	ds_write2_b64 v156, v[28:29], v[30:31] offset0:50 offset1:51
	s_waitcnt vmcnt(16)
	ds_write2_b64 v156, v[24:25], v[26:27] offset0:52 offset1:53
	s_waitcnt vmcnt(15)
	ds_write2_b64 v156, v[20:21], v[22:23] offset0:54 offset1:55
	s_waitcnt vmcnt(14)
	ds_write2_b64 v156, v[16:17], v[18:19] offset0:56 offset1:57
	s_waitcnt vmcnt(13)
	ds_write2_b64 v156, v[12:13], v[14:15] offset0:58 offset1:59
	s_waitcnt vmcnt(12)
	ds_write2_b64 v156, v[8:9], v[10:11] offset0:60 offset1:61
	s_waitcnt vmcnt(11)
	ds_write2_b64 v156, v[4:5], v[6:7] offset0:62 offset1:63
	s_waitcnt vmcnt(10)
	ds_write2_b64 v156, v[0:1], v[2:3] offset0:64 offset1:65
	s_waitcnt vmcnt(9)
	ds_write2_b64 v156, v[132:133], v[134:135] offset0:66 offset1:67
	ds_read2_b64 v[136:139], v155 offset1:1
	s_waitcnt lgkmcnt(0)
	v_cmp_neq_f64_e32 vcc, 0, v[136:137]
	v_cmp_neq_f64_e64 s[2:3], 0, v[138:139]
	s_or_b64 s[2:3], vcc, s[2:3]
	s_and_b64 exec, exec, s[2:3]
	s_cbranch_execz .LBB67_143
; %bb.138:
	v_cmp_ngt_f64_e64 s[2:3], |v[136:137]|, |v[138:139]|
                                        ; implicit-def: $vgpr140_vgpr141
	s_and_saveexec_b64 s[10:11], s[2:3]
	s_xor_b64 s[2:3], exec, s[10:11]
                                        ; implicit-def: $vgpr142_vgpr143
	s_cbranch_execz .LBB67_140
; %bb.139:
	v_div_scale_f64 v[140:141], s[10:11], v[138:139], v[138:139], v[136:137]
	v_rcp_f64_e32 v[142:143], v[140:141]
	v_div_scale_f64 v[144:145], vcc, v[136:137], v[138:139], v[136:137]
	v_fma_f64 v[146:147], -v[140:141], v[142:143], 1.0
	v_fmac_f64_e32 v[142:143], v[142:143], v[146:147]
	v_fma_f64 v[146:147], -v[140:141], v[142:143], 1.0
	v_fmac_f64_e32 v[142:143], v[142:143], v[146:147]
	v_mul_f64 v[146:147], v[144:145], v[142:143]
	v_fma_f64 v[140:141], -v[140:141], v[146:147], v[144:145]
	v_div_fmas_f64 v[140:141], v[140:141], v[142:143], v[146:147]
	v_div_fixup_f64 v[140:141], v[140:141], v[138:139], v[136:137]
	v_fmac_f64_e32 v[138:139], v[136:137], v[140:141]
	v_div_scale_f64 v[136:137], s[10:11], v[138:139], v[138:139], 1.0
	v_rcp_f64_e32 v[142:143], v[136:137]
	s_nop 0
	v_fma_f64 v[144:145], -v[136:137], v[142:143], 1.0
	v_fmac_f64_e32 v[142:143], v[142:143], v[144:145]
	v_fma_f64 v[144:145], -v[136:137], v[142:143], 1.0
	v_fmac_f64_e32 v[142:143], v[142:143], v[144:145]
	v_div_scale_f64 v[144:145], vcc, 1.0, v[138:139], 1.0
	v_mul_f64 v[146:147], v[144:145], v[142:143]
	v_fma_f64 v[136:137], -v[136:137], v[146:147], v[144:145]
	s_nop 1
	v_div_fmas_f64 v[136:137], v[136:137], v[142:143], v[146:147]
	v_div_fixup_f64 v[142:143], v[136:137], v[138:139], 1.0
	v_mul_f64 v[140:141], v[140:141], v[142:143]
	v_xor_b32_e32 v143, 0x80000000, v143
                                        ; implicit-def: $vgpr136_vgpr137
.LBB67_140:
	s_andn2_saveexec_b64 s[2:3], s[2:3]
	s_cbranch_execz .LBB67_142
; %bb.141:
	v_div_scale_f64 v[140:141], s[10:11], v[136:137], v[136:137], v[138:139]
	v_rcp_f64_e32 v[142:143], v[140:141]
	v_div_scale_f64 v[144:145], vcc, v[138:139], v[136:137], v[138:139]
	v_fma_f64 v[146:147], -v[140:141], v[142:143], 1.0
	v_fmac_f64_e32 v[142:143], v[142:143], v[146:147]
	v_fma_f64 v[146:147], -v[140:141], v[142:143], 1.0
	v_fmac_f64_e32 v[142:143], v[142:143], v[146:147]
	v_mul_f64 v[146:147], v[144:145], v[142:143]
	v_fma_f64 v[140:141], -v[140:141], v[146:147], v[144:145]
	v_div_fmas_f64 v[140:141], v[140:141], v[142:143], v[146:147]
	v_div_fixup_f64 v[142:143], v[140:141], v[136:137], v[138:139]
	v_fmac_f64_e32 v[136:137], v[138:139], v[142:143]
	v_div_scale_f64 v[138:139], s[10:11], v[136:137], v[136:137], 1.0
	v_rcp_f64_e32 v[140:141], v[138:139]
	s_nop 0
	v_fma_f64 v[144:145], -v[138:139], v[140:141], 1.0
	v_fmac_f64_e32 v[140:141], v[140:141], v[144:145]
	v_fma_f64 v[144:145], -v[138:139], v[140:141], 1.0
	v_fmac_f64_e32 v[140:141], v[140:141], v[144:145]
	v_div_scale_f64 v[144:145], vcc, 1.0, v[136:137], 1.0
	v_mul_f64 v[146:147], v[144:145], v[140:141]
	v_fma_f64 v[138:139], -v[138:139], v[146:147], v[144:145]
	s_nop 1
	v_div_fmas_f64 v[138:139], v[138:139], v[140:141], v[146:147]
	v_div_fixup_f64 v[140:141], v[138:139], v[136:137], 1.0
	v_mul_f64 v[142:143], v[142:143], -v[140:141]
.LBB67_142:
	s_or_b64 exec, exec, s[2:3]
	ds_write2_b64 v155, v[140:141], v[142:143] offset1:1
.LBB67_143:
	s_or_b64 exec, exec, s[4:5]
	s_waitcnt lgkmcnt(0)
	s_barrier
	ds_read2_b64 v[136:139], v155 offset1:1
	v_cmp_lt_u32_e32 vcc, 15, v154
	s_waitcnt lgkmcnt(0)
	scratch_store_dwordx4 off, v[136:139], off offset:152 ; 16-byte Folded Spill
	s_and_saveexec_b64 s[2:3], vcc
	s_cbranch_execz .LBB67_145
; %bb.144:
	scratch_load_dwordx4 v[138:141], off, off offset:152 ; 16-byte Folded Reload
	s_waitcnt vmcnt(0)
	v_mul_f64 v[136:137], v[140:141], v[70:71]
	v_mul_f64 v[70:71], v[138:139], v[70:71]
	v_fma_f64 v[136:137], v[138:139], v[68:69], -v[136:137]
	v_fmac_f64_e32 v[70:71], v[140:141], v[68:69]
	ds_read2_b64 v[138:141], v156 offset0:32 offset1:33
	s_waitcnt lgkmcnt(0)
	v_mul_f64 v[68:69], v[140:141], v[70:71]
	v_fma_f64 v[68:69], v[138:139], v[136:137], -v[68:69]
	v_mul_f64 v[138:139], v[138:139], v[70:71]
	v_fmac_f64_e32 v[138:139], v[140:141], v[136:137]
	v_add_f64 v[66:67], v[66:67], -v[138:139]
	ds_read2_b64 v[138:141], v156 offset0:34 offset1:35
	v_add_f64 v[64:65], v[64:65], -v[68:69]
	s_waitcnt lgkmcnt(0)
	v_mul_f64 v[68:69], v[140:141], v[70:71]
	v_fma_f64 v[68:69], v[138:139], v[136:137], -v[68:69]
	v_mul_f64 v[138:139], v[138:139], v[70:71]
	v_fmac_f64_e32 v[138:139], v[140:141], v[136:137]
	v_add_f64 v[62:63], v[62:63], -v[138:139]
	ds_read2_b64 v[138:141], v156 offset0:36 offset1:37
	v_add_f64 v[60:61], v[60:61], -v[68:69]
	;; [unrolled: 8-line block ×17, first 2 shown]
	s_waitcnt lgkmcnt(0)
	v_mul_f64 v[68:69], v[140:141], v[70:71]
	v_fma_f64 v[68:69], v[138:139], v[136:137], -v[68:69]
	v_mul_f64 v[138:139], v[138:139], v[70:71]
	v_fmac_f64_e32 v[138:139], v[140:141], v[136:137]
	v_add_f64 v[132:133], v[132:133], -v[68:69]
	v_add_f64 v[134:135], v[134:135], -v[138:139]
	v_mov_b64_e32 v[68:69], v[136:137]
.LBB67_145:
	s_or_b64 exec, exec, s[2:3]
	v_cmp_eq_u32_e32 vcc, 16, v154
	s_barrier
	s_and_saveexec_b64 s[4:5], vcc
	s_cbranch_execz .LBB67_152
; %bb.146:
	s_waitcnt vmcnt(27)
	ds_write2_b64 v155, v[64:65], v[66:67] offset1:1
	s_waitcnt vmcnt(26)
	ds_write2_b64 v156, v[60:61], v[62:63] offset0:34 offset1:35
	s_waitcnt vmcnt(25)
	ds_write2_b64 v156, v[56:57], v[58:59] offset0:36 offset1:37
	;; [unrolled: 2-line block ×17, first 2 shown]
	ds_read2_b64 v[136:139], v155 offset1:1
	s_waitcnt lgkmcnt(0)
	v_cmp_neq_f64_e32 vcc, 0, v[136:137]
	v_cmp_neq_f64_e64 s[2:3], 0, v[138:139]
	s_or_b64 s[2:3], vcc, s[2:3]
	s_and_b64 exec, exec, s[2:3]
	s_cbranch_execz .LBB67_152
; %bb.147:
	v_cmp_ngt_f64_e64 s[2:3], |v[136:137]|, |v[138:139]|
                                        ; implicit-def: $vgpr140_vgpr141
	s_and_saveexec_b64 s[10:11], s[2:3]
	s_xor_b64 s[2:3], exec, s[10:11]
                                        ; implicit-def: $vgpr142_vgpr143
	s_cbranch_execz .LBB67_149
; %bb.148:
	v_div_scale_f64 v[140:141], s[10:11], v[138:139], v[138:139], v[136:137]
	v_rcp_f64_e32 v[142:143], v[140:141]
	v_div_scale_f64 v[144:145], vcc, v[136:137], v[138:139], v[136:137]
	v_fma_f64 v[146:147], -v[140:141], v[142:143], 1.0
	v_fmac_f64_e32 v[142:143], v[142:143], v[146:147]
	v_fma_f64 v[146:147], -v[140:141], v[142:143], 1.0
	v_fmac_f64_e32 v[142:143], v[142:143], v[146:147]
	v_mul_f64 v[146:147], v[144:145], v[142:143]
	v_fma_f64 v[140:141], -v[140:141], v[146:147], v[144:145]
	v_div_fmas_f64 v[140:141], v[140:141], v[142:143], v[146:147]
	v_div_fixup_f64 v[140:141], v[140:141], v[138:139], v[136:137]
	v_fmac_f64_e32 v[138:139], v[136:137], v[140:141]
	v_div_scale_f64 v[136:137], s[10:11], v[138:139], v[138:139], 1.0
	v_rcp_f64_e32 v[142:143], v[136:137]
	s_nop 0
	v_fma_f64 v[144:145], -v[136:137], v[142:143], 1.0
	v_fmac_f64_e32 v[142:143], v[142:143], v[144:145]
	v_fma_f64 v[144:145], -v[136:137], v[142:143], 1.0
	v_fmac_f64_e32 v[142:143], v[142:143], v[144:145]
	v_div_scale_f64 v[144:145], vcc, 1.0, v[138:139], 1.0
	v_mul_f64 v[146:147], v[144:145], v[142:143]
	v_fma_f64 v[136:137], -v[136:137], v[146:147], v[144:145]
	s_nop 1
	v_div_fmas_f64 v[136:137], v[136:137], v[142:143], v[146:147]
	v_div_fixup_f64 v[142:143], v[136:137], v[138:139], 1.0
	v_mul_f64 v[140:141], v[140:141], v[142:143]
	v_xor_b32_e32 v143, 0x80000000, v143
                                        ; implicit-def: $vgpr136_vgpr137
.LBB67_149:
	s_andn2_saveexec_b64 s[2:3], s[2:3]
	s_cbranch_execz .LBB67_151
; %bb.150:
	v_div_scale_f64 v[140:141], s[10:11], v[136:137], v[136:137], v[138:139]
	v_rcp_f64_e32 v[142:143], v[140:141]
	v_div_scale_f64 v[144:145], vcc, v[138:139], v[136:137], v[138:139]
	v_fma_f64 v[146:147], -v[140:141], v[142:143], 1.0
	v_fmac_f64_e32 v[142:143], v[142:143], v[146:147]
	v_fma_f64 v[146:147], -v[140:141], v[142:143], 1.0
	v_fmac_f64_e32 v[142:143], v[142:143], v[146:147]
	v_mul_f64 v[146:147], v[144:145], v[142:143]
	v_fma_f64 v[140:141], -v[140:141], v[146:147], v[144:145]
	v_div_fmas_f64 v[140:141], v[140:141], v[142:143], v[146:147]
	v_div_fixup_f64 v[142:143], v[140:141], v[136:137], v[138:139]
	v_fmac_f64_e32 v[136:137], v[138:139], v[142:143]
	v_div_scale_f64 v[138:139], s[10:11], v[136:137], v[136:137], 1.0
	v_rcp_f64_e32 v[140:141], v[138:139]
	s_nop 0
	v_fma_f64 v[144:145], -v[138:139], v[140:141], 1.0
	v_fmac_f64_e32 v[140:141], v[140:141], v[144:145]
	v_fma_f64 v[144:145], -v[138:139], v[140:141], 1.0
	v_fmac_f64_e32 v[140:141], v[140:141], v[144:145]
	v_div_scale_f64 v[144:145], vcc, 1.0, v[136:137], 1.0
	v_mul_f64 v[146:147], v[144:145], v[140:141]
	v_fma_f64 v[138:139], -v[138:139], v[146:147], v[144:145]
	s_nop 1
	v_div_fmas_f64 v[138:139], v[138:139], v[140:141], v[146:147]
	v_div_fixup_f64 v[140:141], v[138:139], v[136:137], 1.0
	v_mul_f64 v[142:143], v[142:143], -v[140:141]
.LBB67_151:
	s_or_b64 exec, exec, s[2:3]
	ds_write2_b64 v155, v[140:141], v[142:143] offset1:1
.LBB67_152:
	s_or_b64 exec, exec, s[4:5]
	s_waitcnt lgkmcnt(0)
	s_barrier
	ds_read2_b64 v[136:139], v155 offset1:1
	v_cmp_lt_u32_e32 vcc, 16, v154
	s_waitcnt lgkmcnt(0)
	scratch_store_dwordx4 off, v[136:139], off offset:168 ; 16-byte Folded Spill
	s_and_saveexec_b64 s[2:3], vcc
	s_cbranch_execz .LBB67_154
; %bb.153:
	scratch_load_dwordx4 v[138:141], off, off offset:168 ; 16-byte Folded Reload
	s_waitcnt vmcnt(0)
	v_mul_f64 v[136:137], v[140:141], v[66:67]
	v_mul_f64 v[66:67], v[138:139], v[66:67]
	v_fma_f64 v[136:137], v[138:139], v[64:65], -v[136:137]
	v_fmac_f64_e32 v[66:67], v[140:141], v[64:65]
	ds_read2_b64 v[138:141], v156 offset0:34 offset1:35
	s_waitcnt lgkmcnt(0)
	v_mul_f64 v[64:65], v[140:141], v[66:67]
	v_fma_f64 v[64:65], v[138:139], v[136:137], -v[64:65]
	v_mul_f64 v[138:139], v[138:139], v[66:67]
	v_fmac_f64_e32 v[138:139], v[140:141], v[136:137]
	v_add_f64 v[62:63], v[62:63], -v[138:139]
	ds_read2_b64 v[138:141], v156 offset0:36 offset1:37
	v_add_f64 v[60:61], v[60:61], -v[64:65]
	s_waitcnt lgkmcnt(0)
	v_mul_f64 v[64:65], v[140:141], v[66:67]
	v_fma_f64 v[64:65], v[138:139], v[136:137], -v[64:65]
	v_mul_f64 v[138:139], v[138:139], v[66:67]
	v_fmac_f64_e32 v[138:139], v[140:141], v[136:137]
	v_add_f64 v[58:59], v[58:59], -v[138:139]
	ds_read2_b64 v[138:141], v156 offset0:38 offset1:39
	v_add_f64 v[56:57], v[56:57], -v[64:65]
	;; [unrolled: 8-line block ×16, first 2 shown]
	s_waitcnt lgkmcnt(0)
	v_mul_f64 v[64:65], v[140:141], v[66:67]
	v_fma_f64 v[64:65], v[138:139], v[136:137], -v[64:65]
	v_mul_f64 v[138:139], v[138:139], v[66:67]
	v_fmac_f64_e32 v[138:139], v[140:141], v[136:137]
	v_add_f64 v[132:133], v[132:133], -v[64:65]
	v_add_f64 v[134:135], v[134:135], -v[138:139]
	v_mov_b64_e32 v[64:65], v[136:137]
.LBB67_154:
	s_or_b64 exec, exec, s[2:3]
	v_cmp_eq_u32_e32 vcc, 17, v154
	s_barrier
	s_and_saveexec_b64 s[4:5], vcc
	s_cbranch_execz .LBB67_161
; %bb.155:
	s_waitcnt vmcnt(27)
	ds_write2_b64 v155, v[60:61], v[62:63] offset1:1
	s_waitcnt vmcnt(26)
	ds_write2_b64 v156, v[56:57], v[58:59] offset0:36 offset1:37
	s_waitcnt vmcnt(25)
	ds_write2_b64 v156, v[52:53], v[54:55] offset0:38 offset1:39
	;; [unrolled: 2-line block ×16, first 2 shown]
	ds_read2_b64 v[136:139], v155 offset1:1
	s_waitcnt lgkmcnt(0)
	v_cmp_neq_f64_e32 vcc, 0, v[136:137]
	v_cmp_neq_f64_e64 s[2:3], 0, v[138:139]
	s_or_b64 s[2:3], vcc, s[2:3]
	s_and_b64 exec, exec, s[2:3]
	s_cbranch_execz .LBB67_161
; %bb.156:
	v_cmp_ngt_f64_e64 s[2:3], |v[136:137]|, |v[138:139]|
                                        ; implicit-def: $vgpr140_vgpr141
	s_and_saveexec_b64 s[10:11], s[2:3]
	s_xor_b64 s[2:3], exec, s[10:11]
                                        ; implicit-def: $vgpr142_vgpr143
	s_cbranch_execz .LBB67_158
; %bb.157:
	v_div_scale_f64 v[140:141], s[10:11], v[138:139], v[138:139], v[136:137]
	v_rcp_f64_e32 v[142:143], v[140:141]
	v_div_scale_f64 v[144:145], vcc, v[136:137], v[138:139], v[136:137]
	v_fma_f64 v[146:147], -v[140:141], v[142:143], 1.0
	v_fmac_f64_e32 v[142:143], v[142:143], v[146:147]
	v_fma_f64 v[146:147], -v[140:141], v[142:143], 1.0
	v_fmac_f64_e32 v[142:143], v[142:143], v[146:147]
	v_mul_f64 v[146:147], v[144:145], v[142:143]
	v_fma_f64 v[140:141], -v[140:141], v[146:147], v[144:145]
	v_div_fmas_f64 v[140:141], v[140:141], v[142:143], v[146:147]
	v_div_fixup_f64 v[140:141], v[140:141], v[138:139], v[136:137]
	v_fmac_f64_e32 v[138:139], v[136:137], v[140:141]
	v_div_scale_f64 v[136:137], s[10:11], v[138:139], v[138:139], 1.0
	v_rcp_f64_e32 v[142:143], v[136:137]
	s_nop 0
	v_fma_f64 v[144:145], -v[136:137], v[142:143], 1.0
	v_fmac_f64_e32 v[142:143], v[142:143], v[144:145]
	v_fma_f64 v[144:145], -v[136:137], v[142:143], 1.0
	v_fmac_f64_e32 v[142:143], v[142:143], v[144:145]
	v_div_scale_f64 v[144:145], vcc, 1.0, v[138:139], 1.0
	v_mul_f64 v[146:147], v[144:145], v[142:143]
	v_fma_f64 v[136:137], -v[136:137], v[146:147], v[144:145]
	s_nop 1
	v_div_fmas_f64 v[136:137], v[136:137], v[142:143], v[146:147]
	v_div_fixup_f64 v[142:143], v[136:137], v[138:139], 1.0
	v_mul_f64 v[140:141], v[140:141], v[142:143]
	v_xor_b32_e32 v143, 0x80000000, v143
                                        ; implicit-def: $vgpr136_vgpr137
.LBB67_158:
	s_andn2_saveexec_b64 s[2:3], s[2:3]
	s_cbranch_execz .LBB67_160
; %bb.159:
	v_div_scale_f64 v[140:141], s[10:11], v[136:137], v[136:137], v[138:139]
	v_rcp_f64_e32 v[142:143], v[140:141]
	v_div_scale_f64 v[144:145], vcc, v[138:139], v[136:137], v[138:139]
	v_fma_f64 v[146:147], -v[140:141], v[142:143], 1.0
	v_fmac_f64_e32 v[142:143], v[142:143], v[146:147]
	v_fma_f64 v[146:147], -v[140:141], v[142:143], 1.0
	v_fmac_f64_e32 v[142:143], v[142:143], v[146:147]
	v_mul_f64 v[146:147], v[144:145], v[142:143]
	v_fma_f64 v[140:141], -v[140:141], v[146:147], v[144:145]
	v_div_fmas_f64 v[140:141], v[140:141], v[142:143], v[146:147]
	v_div_fixup_f64 v[142:143], v[140:141], v[136:137], v[138:139]
	v_fmac_f64_e32 v[136:137], v[138:139], v[142:143]
	v_div_scale_f64 v[138:139], s[10:11], v[136:137], v[136:137], 1.0
	v_rcp_f64_e32 v[140:141], v[138:139]
	s_nop 0
	v_fma_f64 v[144:145], -v[138:139], v[140:141], 1.0
	v_fmac_f64_e32 v[140:141], v[140:141], v[144:145]
	v_fma_f64 v[144:145], -v[138:139], v[140:141], 1.0
	v_fmac_f64_e32 v[140:141], v[140:141], v[144:145]
	v_div_scale_f64 v[144:145], vcc, 1.0, v[136:137], 1.0
	v_mul_f64 v[146:147], v[144:145], v[140:141]
	v_fma_f64 v[138:139], -v[138:139], v[146:147], v[144:145]
	s_nop 1
	v_div_fmas_f64 v[138:139], v[138:139], v[140:141], v[146:147]
	v_div_fixup_f64 v[140:141], v[138:139], v[136:137], 1.0
	v_mul_f64 v[142:143], v[142:143], -v[140:141]
.LBB67_160:
	s_or_b64 exec, exec, s[2:3]
	ds_write2_b64 v155, v[140:141], v[142:143] offset1:1
.LBB67_161:
	s_or_b64 exec, exec, s[4:5]
	s_waitcnt lgkmcnt(0)
	s_barrier
	ds_read2_b64 v[136:139], v155 offset1:1
	v_cmp_lt_u32_e32 vcc, 17, v154
	s_waitcnt lgkmcnt(0)
	scratch_store_dwordx4 off, v[136:139], off offset:184 ; 16-byte Folded Spill
	s_and_saveexec_b64 s[2:3], vcc
	s_cbranch_execz .LBB67_163
; %bb.162:
	scratch_load_dwordx4 v[138:141], off, off offset:184 ; 16-byte Folded Reload
	s_waitcnt vmcnt(0)
	v_mul_f64 v[136:137], v[138:139], v[62:63]
	v_mul_f64 v[62:63], v[140:141], v[62:63]
	v_fmac_f64_e32 v[136:137], v[140:141], v[60:61]
	v_fma_f64 v[60:61], v[138:139], v[60:61], -v[62:63]
	ds_read2_b64 v[138:141], v156 offset0:36 offset1:37
	s_waitcnt lgkmcnt(0)
	v_mul_f64 v[62:63], v[140:141], v[136:137]
	v_fma_f64 v[62:63], v[138:139], v[60:61], -v[62:63]
	v_mul_f64 v[138:139], v[138:139], v[136:137]
	v_fmac_f64_e32 v[138:139], v[140:141], v[60:61]
	v_add_f64 v[58:59], v[58:59], -v[138:139]
	ds_read2_b64 v[138:141], v156 offset0:38 offset1:39
	v_add_f64 v[56:57], v[56:57], -v[62:63]
	s_waitcnt lgkmcnt(0)
	v_mul_f64 v[62:63], v[140:141], v[136:137]
	v_fma_f64 v[62:63], v[138:139], v[60:61], -v[62:63]
	v_mul_f64 v[138:139], v[138:139], v[136:137]
	v_fmac_f64_e32 v[138:139], v[140:141], v[60:61]
	v_add_f64 v[54:55], v[54:55], -v[138:139]
	ds_read2_b64 v[138:141], v156 offset0:40 offset1:41
	v_add_f64 v[52:53], v[52:53], -v[62:63]
	;; [unrolled: 8-line block ×15, first 2 shown]
	s_waitcnt lgkmcnt(0)
	v_mul_f64 v[62:63], v[140:141], v[136:137]
	v_fma_f64 v[62:63], v[138:139], v[60:61], -v[62:63]
	v_mul_f64 v[138:139], v[138:139], v[136:137]
	v_fmac_f64_e32 v[138:139], v[140:141], v[60:61]
	v_add_f64 v[132:133], v[132:133], -v[62:63]
	v_add_f64 v[134:135], v[134:135], -v[138:139]
	v_mov_b64_e32 v[62:63], v[136:137]
.LBB67_163:
	s_or_b64 exec, exec, s[2:3]
	v_cmp_eq_u32_e32 vcc, 18, v154
	s_barrier
	s_and_saveexec_b64 s[4:5], vcc
	s_cbranch_execz .LBB67_170
; %bb.164:
	s_waitcnt vmcnt(27)
	ds_write2_b64 v155, v[56:57], v[58:59] offset1:1
	s_waitcnt vmcnt(26)
	ds_write2_b64 v156, v[52:53], v[54:55] offset0:38 offset1:39
	s_waitcnt vmcnt(25)
	ds_write2_b64 v156, v[48:49], v[50:51] offset0:40 offset1:41
	;; [unrolled: 2-line block ×15, first 2 shown]
	ds_read2_b64 v[136:139], v155 offset1:1
	s_waitcnt lgkmcnt(0)
	v_cmp_neq_f64_e32 vcc, 0, v[136:137]
	v_cmp_neq_f64_e64 s[2:3], 0, v[138:139]
	s_or_b64 s[2:3], vcc, s[2:3]
	s_and_b64 exec, exec, s[2:3]
	s_cbranch_execz .LBB67_170
; %bb.165:
	v_cmp_ngt_f64_e64 s[2:3], |v[136:137]|, |v[138:139]|
                                        ; implicit-def: $vgpr140_vgpr141
	s_and_saveexec_b64 s[10:11], s[2:3]
	s_xor_b64 s[2:3], exec, s[10:11]
                                        ; implicit-def: $vgpr142_vgpr143
	s_cbranch_execz .LBB67_167
; %bb.166:
	v_div_scale_f64 v[140:141], s[10:11], v[138:139], v[138:139], v[136:137]
	v_rcp_f64_e32 v[142:143], v[140:141]
	v_div_scale_f64 v[144:145], vcc, v[136:137], v[138:139], v[136:137]
	v_fma_f64 v[146:147], -v[140:141], v[142:143], 1.0
	v_fmac_f64_e32 v[142:143], v[142:143], v[146:147]
	v_fma_f64 v[146:147], -v[140:141], v[142:143], 1.0
	v_fmac_f64_e32 v[142:143], v[142:143], v[146:147]
	v_mul_f64 v[146:147], v[144:145], v[142:143]
	v_fma_f64 v[140:141], -v[140:141], v[146:147], v[144:145]
	v_div_fmas_f64 v[140:141], v[140:141], v[142:143], v[146:147]
	v_div_fixup_f64 v[140:141], v[140:141], v[138:139], v[136:137]
	v_fmac_f64_e32 v[138:139], v[136:137], v[140:141]
	v_div_scale_f64 v[136:137], s[10:11], v[138:139], v[138:139], 1.0
	v_rcp_f64_e32 v[142:143], v[136:137]
	s_nop 0
	v_fma_f64 v[144:145], -v[136:137], v[142:143], 1.0
	v_fmac_f64_e32 v[142:143], v[142:143], v[144:145]
	v_fma_f64 v[144:145], -v[136:137], v[142:143], 1.0
	v_fmac_f64_e32 v[142:143], v[142:143], v[144:145]
	v_div_scale_f64 v[144:145], vcc, 1.0, v[138:139], 1.0
	v_mul_f64 v[146:147], v[144:145], v[142:143]
	v_fma_f64 v[136:137], -v[136:137], v[146:147], v[144:145]
	s_nop 1
	v_div_fmas_f64 v[136:137], v[136:137], v[142:143], v[146:147]
	v_div_fixup_f64 v[142:143], v[136:137], v[138:139], 1.0
	v_mul_f64 v[140:141], v[140:141], v[142:143]
	v_xor_b32_e32 v143, 0x80000000, v143
                                        ; implicit-def: $vgpr136_vgpr137
.LBB67_167:
	s_andn2_saveexec_b64 s[2:3], s[2:3]
	s_cbranch_execz .LBB67_169
; %bb.168:
	v_div_scale_f64 v[140:141], s[10:11], v[136:137], v[136:137], v[138:139]
	v_rcp_f64_e32 v[142:143], v[140:141]
	v_div_scale_f64 v[144:145], vcc, v[138:139], v[136:137], v[138:139]
	v_fma_f64 v[146:147], -v[140:141], v[142:143], 1.0
	v_fmac_f64_e32 v[142:143], v[142:143], v[146:147]
	v_fma_f64 v[146:147], -v[140:141], v[142:143], 1.0
	v_fmac_f64_e32 v[142:143], v[142:143], v[146:147]
	v_mul_f64 v[146:147], v[144:145], v[142:143]
	v_fma_f64 v[140:141], -v[140:141], v[146:147], v[144:145]
	v_div_fmas_f64 v[140:141], v[140:141], v[142:143], v[146:147]
	v_div_fixup_f64 v[142:143], v[140:141], v[136:137], v[138:139]
	v_fmac_f64_e32 v[136:137], v[138:139], v[142:143]
	v_div_scale_f64 v[138:139], s[10:11], v[136:137], v[136:137], 1.0
	v_rcp_f64_e32 v[140:141], v[138:139]
	s_nop 0
	v_fma_f64 v[144:145], -v[138:139], v[140:141], 1.0
	v_fmac_f64_e32 v[140:141], v[140:141], v[144:145]
	v_fma_f64 v[144:145], -v[138:139], v[140:141], 1.0
	v_fmac_f64_e32 v[140:141], v[140:141], v[144:145]
	v_div_scale_f64 v[144:145], vcc, 1.0, v[136:137], 1.0
	v_mul_f64 v[146:147], v[144:145], v[140:141]
	v_fma_f64 v[138:139], -v[138:139], v[146:147], v[144:145]
	s_nop 1
	v_div_fmas_f64 v[138:139], v[138:139], v[140:141], v[146:147]
	v_div_fixup_f64 v[140:141], v[138:139], v[136:137], 1.0
	v_mul_f64 v[142:143], v[142:143], -v[140:141]
.LBB67_169:
	s_or_b64 exec, exec, s[2:3]
	ds_write2_b64 v155, v[140:141], v[142:143] offset1:1
.LBB67_170:
	s_or_b64 exec, exec, s[4:5]
	s_waitcnt lgkmcnt(0)
	s_barrier
	ds_read2_b64 v[136:139], v155 offset1:1
	v_cmp_lt_u32_e32 vcc, 18, v154
	s_waitcnt lgkmcnt(0)
	scratch_store_dwordx4 off, v[136:139], off offset:200 ; 16-byte Folded Spill
	s_and_saveexec_b64 s[2:3], vcc
	s_cbranch_execz .LBB67_172
; %bb.171:
	scratch_load_dwordx4 v[138:141], off, off offset:200 ; 16-byte Folded Reload
	s_waitcnt vmcnt(0)
	v_mul_f64 v[136:137], v[138:139], v[58:59]
	v_mul_f64 v[58:59], v[140:141], v[58:59]
	v_fmac_f64_e32 v[136:137], v[140:141], v[56:57]
	v_fma_f64 v[56:57], v[138:139], v[56:57], -v[58:59]
	ds_read2_b64 v[138:141], v156 offset0:38 offset1:39
	s_waitcnt lgkmcnt(0)
	v_mul_f64 v[58:59], v[140:141], v[136:137]
	v_fma_f64 v[58:59], v[138:139], v[56:57], -v[58:59]
	v_mul_f64 v[138:139], v[138:139], v[136:137]
	v_fmac_f64_e32 v[138:139], v[140:141], v[56:57]
	v_add_f64 v[54:55], v[54:55], -v[138:139]
	ds_read2_b64 v[138:141], v156 offset0:40 offset1:41
	v_add_f64 v[52:53], v[52:53], -v[58:59]
	s_waitcnt lgkmcnt(0)
	v_mul_f64 v[58:59], v[140:141], v[136:137]
	v_fma_f64 v[58:59], v[138:139], v[56:57], -v[58:59]
	v_mul_f64 v[138:139], v[138:139], v[136:137]
	v_fmac_f64_e32 v[138:139], v[140:141], v[56:57]
	v_add_f64 v[50:51], v[50:51], -v[138:139]
	ds_read2_b64 v[138:141], v156 offset0:42 offset1:43
	v_add_f64 v[48:49], v[48:49], -v[58:59]
	s_waitcnt lgkmcnt(0)
	v_mul_f64 v[58:59], v[140:141], v[136:137]
	v_fma_f64 v[58:59], v[138:139], v[56:57], -v[58:59]
	v_mul_f64 v[138:139], v[138:139], v[136:137]
	v_fmac_f64_e32 v[138:139], v[140:141], v[56:57]
	v_add_f64 v[46:47], v[46:47], -v[138:139]
	ds_read2_b64 v[138:141], v156 offset0:44 offset1:45
	v_add_f64 v[44:45], v[44:45], -v[58:59]
	s_waitcnt lgkmcnt(0)
	v_mul_f64 v[58:59], v[140:141], v[136:137]
	v_fma_f64 v[58:59], v[138:139], v[56:57], -v[58:59]
	v_mul_f64 v[138:139], v[138:139], v[136:137]
	v_fmac_f64_e32 v[138:139], v[140:141], v[56:57]
	v_add_f64 v[42:43], v[42:43], -v[138:139]
	ds_read2_b64 v[138:141], v156 offset0:46 offset1:47
	v_add_f64 v[40:41], v[40:41], -v[58:59]
	s_waitcnt lgkmcnt(0)
	v_mul_f64 v[58:59], v[140:141], v[136:137]
	v_fma_f64 v[58:59], v[138:139], v[56:57], -v[58:59]
	v_mul_f64 v[138:139], v[138:139], v[136:137]
	v_fmac_f64_e32 v[138:139], v[140:141], v[56:57]
	v_add_f64 v[38:39], v[38:39], -v[138:139]
	ds_read2_b64 v[138:141], v156 offset0:48 offset1:49
	v_add_f64 v[36:37], v[36:37], -v[58:59]
	s_waitcnt lgkmcnt(0)
	v_mul_f64 v[58:59], v[140:141], v[136:137]
	v_fma_f64 v[58:59], v[138:139], v[56:57], -v[58:59]
	v_mul_f64 v[138:139], v[138:139], v[136:137]
	v_fmac_f64_e32 v[138:139], v[140:141], v[56:57]
	v_add_f64 v[34:35], v[34:35], -v[138:139]
	ds_read2_b64 v[138:141], v156 offset0:50 offset1:51
	v_add_f64 v[32:33], v[32:33], -v[58:59]
	s_waitcnt lgkmcnt(0)
	v_mul_f64 v[58:59], v[140:141], v[136:137]
	v_fma_f64 v[58:59], v[138:139], v[56:57], -v[58:59]
	v_mul_f64 v[138:139], v[138:139], v[136:137]
	v_fmac_f64_e32 v[138:139], v[140:141], v[56:57]
	v_add_f64 v[30:31], v[30:31], -v[138:139]
	ds_read2_b64 v[138:141], v156 offset0:52 offset1:53
	v_add_f64 v[28:29], v[28:29], -v[58:59]
	s_waitcnt lgkmcnt(0)
	v_mul_f64 v[58:59], v[140:141], v[136:137]
	v_fma_f64 v[58:59], v[138:139], v[56:57], -v[58:59]
	v_mul_f64 v[138:139], v[138:139], v[136:137]
	v_fmac_f64_e32 v[138:139], v[140:141], v[56:57]
	v_add_f64 v[26:27], v[26:27], -v[138:139]
	ds_read2_b64 v[138:141], v156 offset0:54 offset1:55
	v_add_f64 v[24:25], v[24:25], -v[58:59]
	s_waitcnt lgkmcnt(0)
	v_mul_f64 v[58:59], v[140:141], v[136:137]
	v_fma_f64 v[58:59], v[138:139], v[56:57], -v[58:59]
	v_mul_f64 v[138:139], v[138:139], v[136:137]
	v_fmac_f64_e32 v[138:139], v[140:141], v[56:57]
	v_add_f64 v[22:23], v[22:23], -v[138:139]
	ds_read2_b64 v[138:141], v156 offset0:56 offset1:57
	v_add_f64 v[20:21], v[20:21], -v[58:59]
	s_waitcnt lgkmcnt(0)
	v_mul_f64 v[58:59], v[140:141], v[136:137]
	v_fma_f64 v[58:59], v[138:139], v[56:57], -v[58:59]
	v_mul_f64 v[138:139], v[138:139], v[136:137]
	v_fmac_f64_e32 v[138:139], v[140:141], v[56:57]
	v_add_f64 v[18:19], v[18:19], -v[138:139]
	ds_read2_b64 v[138:141], v156 offset0:58 offset1:59
	v_add_f64 v[16:17], v[16:17], -v[58:59]
	s_waitcnt lgkmcnt(0)
	v_mul_f64 v[58:59], v[140:141], v[136:137]
	v_fma_f64 v[58:59], v[138:139], v[56:57], -v[58:59]
	v_mul_f64 v[138:139], v[138:139], v[136:137]
	v_fmac_f64_e32 v[138:139], v[140:141], v[56:57]
	v_add_f64 v[14:15], v[14:15], -v[138:139]
	ds_read2_b64 v[138:141], v156 offset0:60 offset1:61
	v_add_f64 v[12:13], v[12:13], -v[58:59]
	s_waitcnt lgkmcnt(0)
	v_mul_f64 v[58:59], v[140:141], v[136:137]
	v_fma_f64 v[58:59], v[138:139], v[56:57], -v[58:59]
	v_mul_f64 v[138:139], v[138:139], v[136:137]
	v_fmac_f64_e32 v[138:139], v[140:141], v[56:57]
	v_add_f64 v[10:11], v[10:11], -v[138:139]
	ds_read2_b64 v[138:141], v156 offset0:62 offset1:63
	v_add_f64 v[8:9], v[8:9], -v[58:59]
	s_waitcnt lgkmcnt(0)
	v_mul_f64 v[58:59], v[140:141], v[136:137]
	v_fma_f64 v[58:59], v[138:139], v[56:57], -v[58:59]
	v_mul_f64 v[138:139], v[138:139], v[136:137]
	v_fmac_f64_e32 v[138:139], v[140:141], v[56:57]
	v_add_f64 v[6:7], v[6:7], -v[138:139]
	ds_read2_b64 v[138:141], v156 offset0:64 offset1:65
	v_add_f64 v[4:5], v[4:5], -v[58:59]
	s_waitcnt lgkmcnt(0)
	v_mul_f64 v[58:59], v[140:141], v[136:137]
	v_fma_f64 v[58:59], v[138:139], v[56:57], -v[58:59]
	v_mul_f64 v[138:139], v[138:139], v[136:137]
	v_fmac_f64_e32 v[138:139], v[140:141], v[56:57]
	v_add_f64 v[2:3], v[2:3], -v[138:139]
	ds_read2_b64 v[138:141], v156 offset0:66 offset1:67
	v_add_f64 v[0:1], v[0:1], -v[58:59]
	s_waitcnt lgkmcnt(0)
	v_mul_f64 v[58:59], v[140:141], v[136:137]
	v_fma_f64 v[58:59], v[138:139], v[56:57], -v[58:59]
	v_mul_f64 v[138:139], v[138:139], v[136:137]
	v_fmac_f64_e32 v[138:139], v[140:141], v[56:57]
	v_add_f64 v[132:133], v[132:133], -v[58:59]
	v_add_f64 v[134:135], v[134:135], -v[138:139]
	v_mov_b64_e32 v[58:59], v[136:137]
.LBB67_172:
	s_or_b64 exec, exec, s[2:3]
	v_cmp_eq_u32_e32 vcc, 19, v154
	s_barrier
	s_and_saveexec_b64 s[4:5], vcc
	s_cbranch_execz .LBB67_179
; %bb.173:
	s_waitcnt vmcnt(27)
	ds_write2_b64 v155, v[52:53], v[54:55] offset1:1
	s_waitcnt vmcnt(26)
	ds_write2_b64 v156, v[48:49], v[50:51] offset0:40 offset1:41
	s_waitcnt vmcnt(25)
	ds_write2_b64 v156, v[44:45], v[46:47] offset0:42 offset1:43
	;; [unrolled: 2-line block ×14, first 2 shown]
	ds_read2_b64 v[136:139], v155 offset1:1
	s_waitcnt lgkmcnt(0)
	v_cmp_neq_f64_e32 vcc, 0, v[136:137]
	v_cmp_neq_f64_e64 s[2:3], 0, v[138:139]
	s_or_b64 s[2:3], vcc, s[2:3]
	s_and_b64 exec, exec, s[2:3]
	s_cbranch_execz .LBB67_179
; %bb.174:
	v_cmp_ngt_f64_e64 s[2:3], |v[136:137]|, |v[138:139]|
                                        ; implicit-def: $vgpr140_vgpr141
	s_and_saveexec_b64 s[10:11], s[2:3]
	s_xor_b64 s[2:3], exec, s[10:11]
                                        ; implicit-def: $vgpr142_vgpr143
	s_cbranch_execz .LBB67_176
; %bb.175:
	v_div_scale_f64 v[140:141], s[10:11], v[138:139], v[138:139], v[136:137]
	v_rcp_f64_e32 v[142:143], v[140:141]
	v_div_scale_f64 v[144:145], vcc, v[136:137], v[138:139], v[136:137]
	v_fma_f64 v[146:147], -v[140:141], v[142:143], 1.0
	v_fmac_f64_e32 v[142:143], v[142:143], v[146:147]
	v_fma_f64 v[146:147], -v[140:141], v[142:143], 1.0
	v_fmac_f64_e32 v[142:143], v[142:143], v[146:147]
	v_mul_f64 v[146:147], v[144:145], v[142:143]
	v_fma_f64 v[140:141], -v[140:141], v[146:147], v[144:145]
	v_div_fmas_f64 v[140:141], v[140:141], v[142:143], v[146:147]
	v_div_fixup_f64 v[140:141], v[140:141], v[138:139], v[136:137]
	v_fmac_f64_e32 v[138:139], v[136:137], v[140:141]
	v_div_scale_f64 v[136:137], s[10:11], v[138:139], v[138:139], 1.0
	v_rcp_f64_e32 v[142:143], v[136:137]
	s_nop 0
	v_fma_f64 v[144:145], -v[136:137], v[142:143], 1.0
	v_fmac_f64_e32 v[142:143], v[142:143], v[144:145]
	v_fma_f64 v[144:145], -v[136:137], v[142:143], 1.0
	v_fmac_f64_e32 v[142:143], v[142:143], v[144:145]
	v_div_scale_f64 v[144:145], vcc, 1.0, v[138:139], 1.0
	v_mul_f64 v[146:147], v[144:145], v[142:143]
	v_fma_f64 v[136:137], -v[136:137], v[146:147], v[144:145]
	s_nop 1
	v_div_fmas_f64 v[136:137], v[136:137], v[142:143], v[146:147]
	v_div_fixup_f64 v[142:143], v[136:137], v[138:139], 1.0
	v_mul_f64 v[140:141], v[140:141], v[142:143]
	v_xor_b32_e32 v143, 0x80000000, v143
                                        ; implicit-def: $vgpr136_vgpr137
.LBB67_176:
	s_andn2_saveexec_b64 s[2:3], s[2:3]
	s_cbranch_execz .LBB67_178
; %bb.177:
	v_div_scale_f64 v[140:141], s[10:11], v[136:137], v[136:137], v[138:139]
	v_rcp_f64_e32 v[142:143], v[140:141]
	v_div_scale_f64 v[144:145], vcc, v[138:139], v[136:137], v[138:139]
	v_fma_f64 v[146:147], -v[140:141], v[142:143], 1.0
	v_fmac_f64_e32 v[142:143], v[142:143], v[146:147]
	v_fma_f64 v[146:147], -v[140:141], v[142:143], 1.0
	v_fmac_f64_e32 v[142:143], v[142:143], v[146:147]
	v_mul_f64 v[146:147], v[144:145], v[142:143]
	v_fma_f64 v[140:141], -v[140:141], v[146:147], v[144:145]
	v_div_fmas_f64 v[140:141], v[140:141], v[142:143], v[146:147]
	v_div_fixup_f64 v[142:143], v[140:141], v[136:137], v[138:139]
	v_fmac_f64_e32 v[136:137], v[138:139], v[142:143]
	v_div_scale_f64 v[138:139], s[10:11], v[136:137], v[136:137], 1.0
	v_rcp_f64_e32 v[140:141], v[138:139]
	s_nop 0
	v_fma_f64 v[144:145], -v[138:139], v[140:141], 1.0
	v_fmac_f64_e32 v[140:141], v[140:141], v[144:145]
	v_fma_f64 v[144:145], -v[138:139], v[140:141], 1.0
	v_fmac_f64_e32 v[140:141], v[140:141], v[144:145]
	v_div_scale_f64 v[144:145], vcc, 1.0, v[136:137], 1.0
	v_mul_f64 v[146:147], v[144:145], v[140:141]
	v_fma_f64 v[138:139], -v[138:139], v[146:147], v[144:145]
	s_nop 1
	v_div_fmas_f64 v[138:139], v[138:139], v[140:141], v[146:147]
	v_div_fixup_f64 v[140:141], v[138:139], v[136:137], 1.0
	v_mul_f64 v[142:143], v[142:143], -v[140:141]
.LBB67_178:
	s_or_b64 exec, exec, s[2:3]
	ds_write2_b64 v155, v[140:141], v[142:143] offset1:1
.LBB67_179:
	s_or_b64 exec, exec, s[4:5]
	s_waitcnt lgkmcnt(0)
	s_barrier
	ds_read2_b64 v[136:139], v155 offset1:1
	v_cmp_lt_u32_e32 vcc, 19, v154
	s_waitcnt lgkmcnt(0)
	scratch_store_dwordx4 off, v[136:139], off offset:216 ; 16-byte Folded Spill
	s_and_saveexec_b64 s[2:3], vcc
	s_cbranch_execz .LBB67_181
; %bb.180:
	scratch_load_dwordx4 v[138:141], off, off offset:216 ; 16-byte Folded Reload
	s_waitcnt vmcnt(0)
	v_mul_f64 v[136:137], v[138:139], v[54:55]
	v_mul_f64 v[54:55], v[140:141], v[54:55]
	v_fmac_f64_e32 v[136:137], v[140:141], v[52:53]
	v_fma_f64 v[52:53], v[138:139], v[52:53], -v[54:55]
	ds_read2_b64 v[138:141], v156 offset0:40 offset1:41
	s_waitcnt lgkmcnt(0)
	v_mul_f64 v[54:55], v[140:141], v[136:137]
	v_fma_f64 v[54:55], v[138:139], v[52:53], -v[54:55]
	v_mul_f64 v[138:139], v[138:139], v[136:137]
	v_fmac_f64_e32 v[138:139], v[140:141], v[52:53]
	v_add_f64 v[50:51], v[50:51], -v[138:139]
	ds_read2_b64 v[138:141], v156 offset0:42 offset1:43
	v_add_f64 v[48:49], v[48:49], -v[54:55]
	s_waitcnt lgkmcnt(0)
	v_mul_f64 v[54:55], v[140:141], v[136:137]
	v_fma_f64 v[54:55], v[138:139], v[52:53], -v[54:55]
	v_mul_f64 v[138:139], v[138:139], v[136:137]
	v_fmac_f64_e32 v[138:139], v[140:141], v[52:53]
	v_add_f64 v[46:47], v[46:47], -v[138:139]
	ds_read2_b64 v[138:141], v156 offset0:44 offset1:45
	v_add_f64 v[44:45], v[44:45], -v[54:55]
	;; [unrolled: 8-line block ×13, first 2 shown]
	s_waitcnt lgkmcnt(0)
	v_mul_f64 v[54:55], v[140:141], v[136:137]
	v_fma_f64 v[54:55], v[138:139], v[52:53], -v[54:55]
	v_mul_f64 v[138:139], v[138:139], v[136:137]
	v_fmac_f64_e32 v[138:139], v[140:141], v[52:53]
	v_add_f64 v[132:133], v[132:133], -v[54:55]
	v_add_f64 v[134:135], v[134:135], -v[138:139]
	v_mov_b64_e32 v[54:55], v[136:137]
.LBB67_181:
	s_or_b64 exec, exec, s[2:3]
	v_cmp_eq_u32_e32 vcc, 20, v154
	s_barrier
	s_and_saveexec_b64 s[4:5], vcc
	s_cbranch_execz .LBB67_188
; %bb.182:
	s_waitcnt vmcnt(27)
	ds_write2_b64 v155, v[48:49], v[50:51] offset1:1
	s_waitcnt vmcnt(26)
	ds_write2_b64 v156, v[44:45], v[46:47] offset0:42 offset1:43
	s_waitcnt vmcnt(25)
	ds_write2_b64 v156, v[40:41], v[42:43] offset0:44 offset1:45
	;; [unrolled: 2-line block ×13, first 2 shown]
	ds_read2_b64 v[136:139], v155 offset1:1
	s_waitcnt lgkmcnt(0)
	v_cmp_neq_f64_e32 vcc, 0, v[136:137]
	v_cmp_neq_f64_e64 s[2:3], 0, v[138:139]
	s_or_b64 s[2:3], vcc, s[2:3]
	s_and_b64 exec, exec, s[2:3]
	s_cbranch_execz .LBB67_188
; %bb.183:
	v_cmp_ngt_f64_e64 s[2:3], |v[136:137]|, |v[138:139]|
                                        ; implicit-def: $vgpr140_vgpr141
	s_and_saveexec_b64 s[10:11], s[2:3]
	s_xor_b64 s[2:3], exec, s[10:11]
                                        ; implicit-def: $vgpr142_vgpr143
	s_cbranch_execz .LBB67_185
; %bb.184:
	v_div_scale_f64 v[140:141], s[10:11], v[138:139], v[138:139], v[136:137]
	v_rcp_f64_e32 v[142:143], v[140:141]
	v_div_scale_f64 v[144:145], vcc, v[136:137], v[138:139], v[136:137]
	v_fma_f64 v[146:147], -v[140:141], v[142:143], 1.0
	v_fmac_f64_e32 v[142:143], v[142:143], v[146:147]
	v_fma_f64 v[146:147], -v[140:141], v[142:143], 1.0
	v_fmac_f64_e32 v[142:143], v[142:143], v[146:147]
	v_mul_f64 v[146:147], v[144:145], v[142:143]
	v_fma_f64 v[140:141], -v[140:141], v[146:147], v[144:145]
	v_div_fmas_f64 v[140:141], v[140:141], v[142:143], v[146:147]
	v_div_fixup_f64 v[140:141], v[140:141], v[138:139], v[136:137]
	v_fmac_f64_e32 v[138:139], v[136:137], v[140:141]
	v_div_scale_f64 v[136:137], s[10:11], v[138:139], v[138:139], 1.0
	v_rcp_f64_e32 v[142:143], v[136:137]
	s_nop 0
	v_fma_f64 v[144:145], -v[136:137], v[142:143], 1.0
	v_fmac_f64_e32 v[142:143], v[142:143], v[144:145]
	v_fma_f64 v[144:145], -v[136:137], v[142:143], 1.0
	v_fmac_f64_e32 v[142:143], v[142:143], v[144:145]
	v_div_scale_f64 v[144:145], vcc, 1.0, v[138:139], 1.0
	v_mul_f64 v[146:147], v[144:145], v[142:143]
	v_fma_f64 v[136:137], -v[136:137], v[146:147], v[144:145]
	s_nop 1
	v_div_fmas_f64 v[136:137], v[136:137], v[142:143], v[146:147]
	v_div_fixup_f64 v[142:143], v[136:137], v[138:139], 1.0
	v_mul_f64 v[140:141], v[140:141], v[142:143]
	v_xor_b32_e32 v143, 0x80000000, v143
                                        ; implicit-def: $vgpr136_vgpr137
.LBB67_185:
	s_andn2_saveexec_b64 s[2:3], s[2:3]
	s_cbranch_execz .LBB67_187
; %bb.186:
	v_div_scale_f64 v[140:141], s[10:11], v[136:137], v[136:137], v[138:139]
	v_rcp_f64_e32 v[142:143], v[140:141]
	v_div_scale_f64 v[144:145], vcc, v[138:139], v[136:137], v[138:139]
	v_fma_f64 v[146:147], -v[140:141], v[142:143], 1.0
	v_fmac_f64_e32 v[142:143], v[142:143], v[146:147]
	v_fma_f64 v[146:147], -v[140:141], v[142:143], 1.0
	v_fmac_f64_e32 v[142:143], v[142:143], v[146:147]
	v_mul_f64 v[146:147], v[144:145], v[142:143]
	v_fma_f64 v[140:141], -v[140:141], v[146:147], v[144:145]
	v_div_fmas_f64 v[140:141], v[140:141], v[142:143], v[146:147]
	v_div_fixup_f64 v[142:143], v[140:141], v[136:137], v[138:139]
	v_fmac_f64_e32 v[136:137], v[138:139], v[142:143]
	v_div_scale_f64 v[138:139], s[10:11], v[136:137], v[136:137], 1.0
	v_rcp_f64_e32 v[140:141], v[138:139]
	s_nop 0
	v_fma_f64 v[144:145], -v[138:139], v[140:141], 1.0
	v_fmac_f64_e32 v[140:141], v[140:141], v[144:145]
	v_fma_f64 v[144:145], -v[138:139], v[140:141], 1.0
	v_fmac_f64_e32 v[140:141], v[140:141], v[144:145]
	v_div_scale_f64 v[144:145], vcc, 1.0, v[136:137], 1.0
	v_mul_f64 v[146:147], v[144:145], v[140:141]
	v_fma_f64 v[138:139], -v[138:139], v[146:147], v[144:145]
	s_nop 1
	v_div_fmas_f64 v[138:139], v[138:139], v[140:141], v[146:147]
	v_div_fixup_f64 v[140:141], v[138:139], v[136:137], 1.0
	v_mul_f64 v[142:143], v[142:143], -v[140:141]
.LBB67_187:
	s_or_b64 exec, exec, s[2:3]
	ds_write2_b64 v155, v[140:141], v[142:143] offset1:1
.LBB67_188:
	s_or_b64 exec, exec, s[4:5]
	s_waitcnt lgkmcnt(0)
	s_barrier
	ds_read2_b64 v[136:139], v155 offset1:1
	v_cmp_lt_u32_e32 vcc, 20, v154
	s_waitcnt lgkmcnt(0)
	scratch_store_dwordx4 off, v[136:139], off offset:232 ; 16-byte Folded Spill
	s_and_saveexec_b64 s[2:3], vcc
	s_cbranch_execz .LBB67_190
; %bb.189:
	scratch_load_dwordx4 v[138:141], off, off offset:232 ; 16-byte Folded Reload
	s_waitcnt vmcnt(0)
	v_mul_f64 v[136:137], v[138:139], v[50:51]
	v_mul_f64 v[50:51], v[140:141], v[50:51]
	v_fmac_f64_e32 v[136:137], v[140:141], v[48:49]
	v_fma_f64 v[48:49], v[138:139], v[48:49], -v[50:51]
	ds_read2_b64 v[138:141], v156 offset0:42 offset1:43
	s_waitcnt lgkmcnt(0)
	v_mul_f64 v[50:51], v[140:141], v[136:137]
	v_fma_f64 v[50:51], v[138:139], v[48:49], -v[50:51]
	v_mul_f64 v[138:139], v[138:139], v[136:137]
	v_fmac_f64_e32 v[138:139], v[140:141], v[48:49]
	v_add_f64 v[46:47], v[46:47], -v[138:139]
	ds_read2_b64 v[138:141], v156 offset0:44 offset1:45
	v_add_f64 v[44:45], v[44:45], -v[50:51]
	s_waitcnt lgkmcnt(0)
	v_mul_f64 v[50:51], v[140:141], v[136:137]
	v_fma_f64 v[50:51], v[138:139], v[48:49], -v[50:51]
	v_mul_f64 v[138:139], v[138:139], v[136:137]
	v_fmac_f64_e32 v[138:139], v[140:141], v[48:49]
	v_add_f64 v[42:43], v[42:43], -v[138:139]
	ds_read2_b64 v[138:141], v156 offset0:46 offset1:47
	v_add_f64 v[40:41], v[40:41], -v[50:51]
	;; [unrolled: 8-line block ×12, first 2 shown]
	s_waitcnt lgkmcnt(0)
	v_mul_f64 v[50:51], v[140:141], v[136:137]
	v_fma_f64 v[50:51], v[138:139], v[48:49], -v[50:51]
	v_mul_f64 v[138:139], v[138:139], v[136:137]
	v_fmac_f64_e32 v[138:139], v[140:141], v[48:49]
	v_add_f64 v[132:133], v[132:133], -v[50:51]
	v_add_f64 v[134:135], v[134:135], -v[138:139]
	v_mov_b64_e32 v[50:51], v[136:137]
.LBB67_190:
	s_or_b64 exec, exec, s[2:3]
	v_cmp_eq_u32_e32 vcc, 21, v154
	s_barrier
	s_and_saveexec_b64 s[4:5], vcc
	s_cbranch_execz .LBB67_197
; %bb.191:
	s_waitcnt vmcnt(27)
	ds_write2_b64 v155, v[44:45], v[46:47] offset1:1
	s_waitcnt vmcnt(26)
	ds_write2_b64 v156, v[40:41], v[42:43] offset0:44 offset1:45
	s_waitcnt vmcnt(25)
	ds_write2_b64 v156, v[36:37], v[38:39] offset0:46 offset1:47
	;; [unrolled: 2-line block ×12, first 2 shown]
	ds_read2_b64 v[136:139], v155 offset1:1
	s_waitcnt lgkmcnt(0)
	v_cmp_neq_f64_e32 vcc, 0, v[136:137]
	v_cmp_neq_f64_e64 s[2:3], 0, v[138:139]
	s_or_b64 s[2:3], vcc, s[2:3]
	s_and_b64 exec, exec, s[2:3]
	s_cbranch_execz .LBB67_197
; %bb.192:
	v_cmp_ngt_f64_e64 s[2:3], |v[136:137]|, |v[138:139]|
                                        ; implicit-def: $vgpr140_vgpr141
	s_and_saveexec_b64 s[10:11], s[2:3]
	s_xor_b64 s[2:3], exec, s[10:11]
                                        ; implicit-def: $vgpr142_vgpr143
	s_cbranch_execz .LBB67_194
; %bb.193:
	v_div_scale_f64 v[140:141], s[10:11], v[138:139], v[138:139], v[136:137]
	v_rcp_f64_e32 v[142:143], v[140:141]
	v_div_scale_f64 v[144:145], vcc, v[136:137], v[138:139], v[136:137]
	v_fma_f64 v[146:147], -v[140:141], v[142:143], 1.0
	v_fmac_f64_e32 v[142:143], v[142:143], v[146:147]
	v_fma_f64 v[146:147], -v[140:141], v[142:143], 1.0
	v_fmac_f64_e32 v[142:143], v[142:143], v[146:147]
	v_mul_f64 v[146:147], v[144:145], v[142:143]
	v_fma_f64 v[140:141], -v[140:141], v[146:147], v[144:145]
	v_div_fmas_f64 v[140:141], v[140:141], v[142:143], v[146:147]
	v_div_fixup_f64 v[140:141], v[140:141], v[138:139], v[136:137]
	v_fmac_f64_e32 v[138:139], v[136:137], v[140:141]
	v_div_scale_f64 v[136:137], s[10:11], v[138:139], v[138:139], 1.0
	v_rcp_f64_e32 v[142:143], v[136:137]
	s_nop 0
	v_fma_f64 v[144:145], -v[136:137], v[142:143], 1.0
	v_fmac_f64_e32 v[142:143], v[142:143], v[144:145]
	v_fma_f64 v[144:145], -v[136:137], v[142:143], 1.0
	v_fmac_f64_e32 v[142:143], v[142:143], v[144:145]
	v_div_scale_f64 v[144:145], vcc, 1.0, v[138:139], 1.0
	v_mul_f64 v[146:147], v[144:145], v[142:143]
	v_fma_f64 v[136:137], -v[136:137], v[146:147], v[144:145]
	s_nop 1
	v_div_fmas_f64 v[136:137], v[136:137], v[142:143], v[146:147]
	v_div_fixup_f64 v[142:143], v[136:137], v[138:139], 1.0
	v_mul_f64 v[140:141], v[140:141], v[142:143]
	v_xor_b32_e32 v143, 0x80000000, v143
                                        ; implicit-def: $vgpr136_vgpr137
.LBB67_194:
	s_andn2_saveexec_b64 s[2:3], s[2:3]
	s_cbranch_execz .LBB67_196
; %bb.195:
	v_div_scale_f64 v[140:141], s[10:11], v[136:137], v[136:137], v[138:139]
	v_rcp_f64_e32 v[142:143], v[140:141]
	v_div_scale_f64 v[144:145], vcc, v[138:139], v[136:137], v[138:139]
	v_fma_f64 v[146:147], -v[140:141], v[142:143], 1.0
	v_fmac_f64_e32 v[142:143], v[142:143], v[146:147]
	v_fma_f64 v[146:147], -v[140:141], v[142:143], 1.0
	v_fmac_f64_e32 v[142:143], v[142:143], v[146:147]
	v_mul_f64 v[146:147], v[144:145], v[142:143]
	v_fma_f64 v[140:141], -v[140:141], v[146:147], v[144:145]
	v_div_fmas_f64 v[140:141], v[140:141], v[142:143], v[146:147]
	v_div_fixup_f64 v[142:143], v[140:141], v[136:137], v[138:139]
	v_fmac_f64_e32 v[136:137], v[138:139], v[142:143]
	v_div_scale_f64 v[138:139], s[10:11], v[136:137], v[136:137], 1.0
	v_rcp_f64_e32 v[140:141], v[138:139]
	s_nop 0
	v_fma_f64 v[144:145], -v[138:139], v[140:141], 1.0
	v_fmac_f64_e32 v[140:141], v[140:141], v[144:145]
	v_fma_f64 v[144:145], -v[138:139], v[140:141], 1.0
	v_fmac_f64_e32 v[140:141], v[140:141], v[144:145]
	v_div_scale_f64 v[144:145], vcc, 1.0, v[136:137], 1.0
	v_mul_f64 v[146:147], v[144:145], v[140:141]
	v_fma_f64 v[138:139], -v[138:139], v[146:147], v[144:145]
	s_nop 1
	v_div_fmas_f64 v[138:139], v[138:139], v[140:141], v[146:147]
	v_div_fixup_f64 v[140:141], v[138:139], v[136:137], 1.0
	v_mul_f64 v[142:143], v[142:143], -v[140:141]
.LBB67_196:
	s_or_b64 exec, exec, s[2:3]
	ds_write2_b64 v155, v[140:141], v[142:143] offset1:1
.LBB67_197:
	s_or_b64 exec, exec, s[4:5]
	s_waitcnt lgkmcnt(0)
	s_barrier
	ds_read2_b64 v[136:139], v155 offset1:1
	v_cmp_lt_u32_e32 vcc, 21, v154
	s_waitcnt lgkmcnt(0)
	scratch_store_dwordx4 off, v[136:139], off offset:248 ; 16-byte Folded Spill
	s_and_saveexec_b64 s[2:3], vcc
	s_cbranch_execz .LBB67_199
; %bb.198:
	scratch_load_dwordx4 v[138:141], off, off offset:248 ; 16-byte Folded Reload
	s_waitcnt vmcnt(0)
	v_mul_f64 v[136:137], v[138:139], v[46:47]
	v_mul_f64 v[46:47], v[140:141], v[46:47]
	v_fmac_f64_e32 v[136:137], v[140:141], v[44:45]
	v_fma_f64 v[44:45], v[138:139], v[44:45], -v[46:47]
	ds_read2_b64 v[138:141], v156 offset0:44 offset1:45
	s_waitcnt lgkmcnt(0)
	v_mul_f64 v[46:47], v[140:141], v[136:137]
	v_fma_f64 v[46:47], v[138:139], v[44:45], -v[46:47]
	v_mul_f64 v[138:139], v[138:139], v[136:137]
	v_fmac_f64_e32 v[138:139], v[140:141], v[44:45]
	v_add_f64 v[42:43], v[42:43], -v[138:139]
	ds_read2_b64 v[138:141], v156 offset0:46 offset1:47
	v_add_f64 v[40:41], v[40:41], -v[46:47]
	s_waitcnt lgkmcnt(0)
	v_mul_f64 v[46:47], v[140:141], v[136:137]
	v_fma_f64 v[46:47], v[138:139], v[44:45], -v[46:47]
	v_mul_f64 v[138:139], v[138:139], v[136:137]
	v_fmac_f64_e32 v[138:139], v[140:141], v[44:45]
	v_add_f64 v[38:39], v[38:39], -v[138:139]
	ds_read2_b64 v[138:141], v156 offset0:48 offset1:49
	v_add_f64 v[36:37], v[36:37], -v[46:47]
	;; [unrolled: 8-line block ×11, first 2 shown]
	s_waitcnt lgkmcnt(0)
	v_mul_f64 v[46:47], v[140:141], v[136:137]
	v_fma_f64 v[46:47], v[138:139], v[44:45], -v[46:47]
	v_mul_f64 v[138:139], v[138:139], v[136:137]
	v_fmac_f64_e32 v[138:139], v[140:141], v[44:45]
	v_add_f64 v[132:133], v[132:133], -v[46:47]
	v_add_f64 v[134:135], v[134:135], -v[138:139]
	v_mov_b64_e32 v[46:47], v[136:137]
.LBB67_199:
	s_or_b64 exec, exec, s[2:3]
	v_cmp_eq_u32_e32 vcc, 22, v154
	s_barrier
	s_and_saveexec_b64 s[4:5], vcc
	s_cbranch_execz .LBB67_206
; %bb.200:
	s_waitcnt vmcnt(27)
	ds_write2_b64 v155, v[40:41], v[42:43] offset1:1
	s_waitcnt vmcnt(26)
	ds_write2_b64 v156, v[36:37], v[38:39] offset0:46 offset1:47
	s_waitcnt vmcnt(25)
	ds_write2_b64 v156, v[32:33], v[34:35] offset0:48 offset1:49
	s_waitcnt vmcnt(24)
	ds_write2_b64 v156, v[28:29], v[30:31] offset0:50 offset1:51
	s_waitcnt vmcnt(23)
	ds_write2_b64 v156, v[24:25], v[26:27] offset0:52 offset1:53
	s_waitcnt vmcnt(22)
	ds_write2_b64 v156, v[20:21], v[22:23] offset0:54 offset1:55
	s_waitcnt vmcnt(21)
	ds_write2_b64 v156, v[16:17], v[18:19] offset0:56 offset1:57
	s_waitcnt vmcnt(20)
	ds_write2_b64 v156, v[12:13], v[14:15] offset0:58 offset1:59
	s_waitcnt vmcnt(19)
	ds_write2_b64 v156, v[8:9], v[10:11] offset0:60 offset1:61
	s_waitcnt vmcnt(18)
	ds_write2_b64 v156, v[4:5], v[6:7] offset0:62 offset1:63
	s_waitcnt vmcnt(17)
	ds_write2_b64 v156, v[0:1], v[2:3] offset0:64 offset1:65
	s_waitcnt vmcnt(16)
	ds_write2_b64 v156, v[132:133], v[134:135] offset0:66 offset1:67
	ds_read2_b64 v[136:139], v155 offset1:1
	s_waitcnt lgkmcnt(0)
	v_cmp_neq_f64_e32 vcc, 0, v[136:137]
	v_cmp_neq_f64_e64 s[2:3], 0, v[138:139]
	s_or_b64 s[2:3], vcc, s[2:3]
	s_and_b64 exec, exec, s[2:3]
	s_cbranch_execz .LBB67_206
; %bb.201:
	v_cmp_ngt_f64_e64 s[2:3], |v[136:137]|, |v[138:139]|
                                        ; implicit-def: $vgpr140_vgpr141
	s_and_saveexec_b64 s[10:11], s[2:3]
	s_xor_b64 s[2:3], exec, s[10:11]
                                        ; implicit-def: $vgpr142_vgpr143
	s_cbranch_execz .LBB67_203
; %bb.202:
	v_div_scale_f64 v[140:141], s[10:11], v[138:139], v[138:139], v[136:137]
	v_rcp_f64_e32 v[142:143], v[140:141]
	v_div_scale_f64 v[144:145], vcc, v[136:137], v[138:139], v[136:137]
	v_fma_f64 v[146:147], -v[140:141], v[142:143], 1.0
	v_fmac_f64_e32 v[142:143], v[142:143], v[146:147]
	v_fma_f64 v[146:147], -v[140:141], v[142:143], 1.0
	v_fmac_f64_e32 v[142:143], v[142:143], v[146:147]
	v_mul_f64 v[146:147], v[144:145], v[142:143]
	v_fma_f64 v[140:141], -v[140:141], v[146:147], v[144:145]
	v_div_fmas_f64 v[140:141], v[140:141], v[142:143], v[146:147]
	v_div_fixup_f64 v[140:141], v[140:141], v[138:139], v[136:137]
	v_fmac_f64_e32 v[138:139], v[136:137], v[140:141]
	v_div_scale_f64 v[136:137], s[10:11], v[138:139], v[138:139], 1.0
	v_rcp_f64_e32 v[142:143], v[136:137]
	s_nop 0
	v_fma_f64 v[144:145], -v[136:137], v[142:143], 1.0
	v_fmac_f64_e32 v[142:143], v[142:143], v[144:145]
	v_fma_f64 v[144:145], -v[136:137], v[142:143], 1.0
	v_fmac_f64_e32 v[142:143], v[142:143], v[144:145]
	v_div_scale_f64 v[144:145], vcc, 1.0, v[138:139], 1.0
	v_mul_f64 v[146:147], v[144:145], v[142:143]
	v_fma_f64 v[136:137], -v[136:137], v[146:147], v[144:145]
	s_nop 1
	v_div_fmas_f64 v[136:137], v[136:137], v[142:143], v[146:147]
	v_div_fixup_f64 v[142:143], v[136:137], v[138:139], 1.0
	v_mul_f64 v[140:141], v[140:141], v[142:143]
	v_xor_b32_e32 v143, 0x80000000, v143
                                        ; implicit-def: $vgpr136_vgpr137
.LBB67_203:
	s_andn2_saveexec_b64 s[2:3], s[2:3]
	s_cbranch_execz .LBB67_205
; %bb.204:
	v_div_scale_f64 v[140:141], s[10:11], v[136:137], v[136:137], v[138:139]
	v_rcp_f64_e32 v[142:143], v[140:141]
	v_div_scale_f64 v[144:145], vcc, v[138:139], v[136:137], v[138:139]
	v_fma_f64 v[146:147], -v[140:141], v[142:143], 1.0
	v_fmac_f64_e32 v[142:143], v[142:143], v[146:147]
	v_fma_f64 v[146:147], -v[140:141], v[142:143], 1.0
	v_fmac_f64_e32 v[142:143], v[142:143], v[146:147]
	v_mul_f64 v[146:147], v[144:145], v[142:143]
	v_fma_f64 v[140:141], -v[140:141], v[146:147], v[144:145]
	v_div_fmas_f64 v[140:141], v[140:141], v[142:143], v[146:147]
	v_div_fixup_f64 v[142:143], v[140:141], v[136:137], v[138:139]
	v_fmac_f64_e32 v[136:137], v[138:139], v[142:143]
	v_div_scale_f64 v[138:139], s[10:11], v[136:137], v[136:137], 1.0
	v_rcp_f64_e32 v[140:141], v[138:139]
	s_nop 0
	v_fma_f64 v[144:145], -v[138:139], v[140:141], 1.0
	v_fmac_f64_e32 v[140:141], v[140:141], v[144:145]
	v_fma_f64 v[144:145], -v[138:139], v[140:141], 1.0
	v_fmac_f64_e32 v[140:141], v[140:141], v[144:145]
	v_div_scale_f64 v[144:145], vcc, 1.0, v[136:137], 1.0
	v_mul_f64 v[146:147], v[144:145], v[140:141]
	v_fma_f64 v[138:139], -v[138:139], v[146:147], v[144:145]
	s_nop 1
	v_div_fmas_f64 v[138:139], v[138:139], v[140:141], v[146:147]
	v_div_fixup_f64 v[140:141], v[138:139], v[136:137], 1.0
	v_mul_f64 v[142:143], v[142:143], -v[140:141]
.LBB67_205:
	s_or_b64 exec, exec, s[2:3]
	ds_write2_b64 v155, v[140:141], v[142:143] offset1:1
.LBB67_206:
	s_or_b64 exec, exec, s[4:5]
	s_waitcnt lgkmcnt(0)
	s_barrier
	ds_read2_b64 v[136:139], v155 offset1:1
	v_cmp_lt_u32_e32 vcc, 22, v154
	s_waitcnt lgkmcnt(0)
	scratch_store_dwordx4 off, v[136:139], off offset:264 ; 16-byte Folded Spill
	s_and_saveexec_b64 s[2:3], vcc
	s_cbranch_execz .LBB67_208
; %bb.207:
	scratch_load_dwordx4 v[138:141], off, off offset:264 ; 16-byte Folded Reload
	s_waitcnt vmcnt(0)
	v_mul_f64 v[136:137], v[138:139], v[42:43]
	v_mul_f64 v[42:43], v[140:141], v[42:43]
	v_fmac_f64_e32 v[136:137], v[140:141], v[40:41]
	v_fma_f64 v[40:41], v[138:139], v[40:41], -v[42:43]
	ds_read2_b64 v[138:141], v156 offset0:46 offset1:47
	s_waitcnt lgkmcnt(0)
	v_mul_f64 v[42:43], v[140:141], v[136:137]
	v_fma_f64 v[42:43], v[138:139], v[40:41], -v[42:43]
	v_mul_f64 v[138:139], v[138:139], v[136:137]
	v_fmac_f64_e32 v[138:139], v[140:141], v[40:41]
	v_add_f64 v[38:39], v[38:39], -v[138:139]
	ds_read2_b64 v[138:141], v156 offset0:48 offset1:49
	v_add_f64 v[36:37], v[36:37], -v[42:43]
	s_waitcnt lgkmcnt(0)
	v_mul_f64 v[42:43], v[140:141], v[136:137]
	v_fma_f64 v[42:43], v[138:139], v[40:41], -v[42:43]
	v_mul_f64 v[138:139], v[138:139], v[136:137]
	v_fmac_f64_e32 v[138:139], v[140:141], v[40:41]
	v_add_f64 v[34:35], v[34:35], -v[138:139]
	ds_read2_b64 v[138:141], v156 offset0:50 offset1:51
	v_add_f64 v[32:33], v[32:33], -v[42:43]
	;; [unrolled: 8-line block ×10, first 2 shown]
	s_waitcnt lgkmcnt(0)
	v_mul_f64 v[42:43], v[140:141], v[136:137]
	v_fma_f64 v[42:43], v[138:139], v[40:41], -v[42:43]
	v_mul_f64 v[138:139], v[138:139], v[136:137]
	v_fmac_f64_e32 v[138:139], v[140:141], v[40:41]
	v_add_f64 v[132:133], v[132:133], -v[42:43]
	v_add_f64 v[134:135], v[134:135], -v[138:139]
	v_mov_b64_e32 v[42:43], v[136:137]
.LBB67_208:
	s_or_b64 exec, exec, s[2:3]
	v_cmp_eq_u32_e32 vcc, 23, v154
	s_barrier
	s_and_saveexec_b64 s[4:5], vcc
	s_cbranch_execz .LBB67_215
; %bb.209:
	s_waitcnt vmcnt(27)
	ds_write2_b64 v155, v[36:37], v[38:39] offset1:1
	s_waitcnt vmcnt(26)
	ds_write2_b64 v156, v[32:33], v[34:35] offset0:48 offset1:49
	s_waitcnt vmcnt(25)
	ds_write2_b64 v156, v[28:29], v[30:31] offset0:50 offset1:51
	;; [unrolled: 2-line block ×10, first 2 shown]
	ds_read2_b64 v[136:139], v155 offset1:1
	s_waitcnt lgkmcnt(0)
	v_cmp_neq_f64_e32 vcc, 0, v[136:137]
	v_cmp_neq_f64_e64 s[2:3], 0, v[138:139]
	s_or_b64 s[2:3], vcc, s[2:3]
	s_and_b64 exec, exec, s[2:3]
	s_cbranch_execz .LBB67_215
; %bb.210:
	v_cmp_ngt_f64_e64 s[2:3], |v[136:137]|, |v[138:139]|
                                        ; implicit-def: $vgpr140_vgpr141
	s_and_saveexec_b64 s[10:11], s[2:3]
	s_xor_b64 s[2:3], exec, s[10:11]
                                        ; implicit-def: $vgpr142_vgpr143
	s_cbranch_execz .LBB67_212
; %bb.211:
	v_div_scale_f64 v[140:141], s[10:11], v[138:139], v[138:139], v[136:137]
	v_rcp_f64_e32 v[142:143], v[140:141]
	v_div_scale_f64 v[144:145], vcc, v[136:137], v[138:139], v[136:137]
	v_fma_f64 v[146:147], -v[140:141], v[142:143], 1.0
	v_fmac_f64_e32 v[142:143], v[142:143], v[146:147]
	v_fma_f64 v[146:147], -v[140:141], v[142:143], 1.0
	v_fmac_f64_e32 v[142:143], v[142:143], v[146:147]
	v_mul_f64 v[146:147], v[144:145], v[142:143]
	v_fma_f64 v[140:141], -v[140:141], v[146:147], v[144:145]
	v_div_fmas_f64 v[140:141], v[140:141], v[142:143], v[146:147]
	v_div_fixup_f64 v[140:141], v[140:141], v[138:139], v[136:137]
	v_fmac_f64_e32 v[138:139], v[136:137], v[140:141]
	v_div_scale_f64 v[136:137], s[10:11], v[138:139], v[138:139], 1.0
	v_rcp_f64_e32 v[142:143], v[136:137]
	s_nop 0
	v_fma_f64 v[144:145], -v[136:137], v[142:143], 1.0
	v_fmac_f64_e32 v[142:143], v[142:143], v[144:145]
	v_fma_f64 v[144:145], -v[136:137], v[142:143], 1.0
	v_fmac_f64_e32 v[142:143], v[142:143], v[144:145]
	v_div_scale_f64 v[144:145], vcc, 1.0, v[138:139], 1.0
	v_mul_f64 v[146:147], v[144:145], v[142:143]
	v_fma_f64 v[136:137], -v[136:137], v[146:147], v[144:145]
	s_nop 1
	v_div_fmas_f64 v[136:137], v[136:137], v[142:143], v[146:147]
	v_div_fixup_f64 v[142:143], v[136:137], v[138:139], 1.0
	v_mul_f64 v[140:141], v[140:141], v[142:143]
	v_xor_b32_e32 v143, 0x80000000, v143
                                        ; implicit-def: $vgpr136_vgpr137
.LBB67_212:
	s_andn2_saveexec_b64 s[2:3], s[2:3]
	s_cbranch_execz .LBB67_214
; %bb.213:
	v_div_scale_f64 v[140:141], s[10:11], v[136:137], v[136:137], v[138:139]
	v_rcp_f64_e32 v[142:143], v[140:141]
	v_div_scale_f64 v[144:145], vcc, v[138:139], v[136:137], v[138:139]
	v_fma_f64 v[146:147], -v[140:141], v[142:143], 1.0
	v_fmac_f64_e32 v[142:143], v[142:143], v[146:147]
	v_fma_f64 v[146:147], -v[140:141], v[142:143], 1.0
	v_fmac_f64_e32 v[142:143], v[142:143], v[146:147]
	v_mul_f64 v[146:147], v[144:145], v[142:143]
	v_fma_f64 v[140:141], -v[140:141], v[146:147], v[144:145]
	v_div_fmas_f64 v[140:141], v[140:141], v[142:143], v[146:147]
	v_div_fixup_f64 v[142:143], v[140:141], v[136:137], v[138:139]
	v_fmac_f64_e32 v[136:137], v[138:139], v[142:143]
	v_div_scale_f64 v[138:139], s[10:11], v[136:137], v[136:137], 1.0
	v_rcp_f64_e32 v[140:141], v[138:139]
	s_nop 0
	v_fma_f64 v[144:145], -v[138:139], v[140:141], 1.0
	v_fmac_f64_e32 v[140:141], v[140:141], v[144:145]
	v_fma_f64 v[144:145], -v[138:139], v[140:141], 1.0
	v_fmac_f64_e32 v[140:141], v[140:141], v[144:145]
	v_div_scale_f64 v[144:145], vcc, 1.0, v[136:137], 1.0
	v_mul_f64 v[146:147], v[144:145], v[140:141]
	v_fma_f64 v[138:139], -v[138:139], v[146:147], v[144:145]
	s_nop 1
	v_div_fmas_f64 v[138:139], v[138:139], v[140:141], v[146:147]
	v_div_fixup_f64 v[140:141], v[138:139], v[136:137], 1.0
	v_mul_f64 v[142:143], v[142:143], -v[140:141]
.LBB67_214:
	s_or_b64 exec, exec, s[2:3]
	ds_write2_b64 v155, v[140:141], v[142:143] offset1:1
.LBB67_215:
	s_or_b64 exec, exec, s[4:5]
	s_waitcnt lgkmcnt(0)
	s_barrier
	ds_read2_b64 v[136:139], v155 offset1:1
	v_cmp_lt_u32_e32 vcc, 23, v154
	s_waitcnt lgkmcnt(0)
	scratch_store_dwordx4 off, v[136:139], off offset:280 ; 16-byte Folded Spill
	s_and_saveexec_b64 s[2:3], vcc
	s_cbranch_execz .LBB67_217
; %bb.216:
	scratch_load_dwordx4 v[138:141], off, off offset:280 ; 16-byte Folded Reload
	s_waitcnt vmcnt(0)
	v_mul_f64 v[136:137], v[138:139], v[38:39]
	v_mul_f64 v[38:39], v[140:141], v[38:39]
	v_fmac_f64_e32 v[136:137], v[140:141], v[36:37]
	v_fma_f64 v[36:37], v[138:139], v[36:37], -v[38:39]
	ds_read2_b64 v[138:141], v156 offset0:48 offset1:49
	s_waitcnt lgkmcnt(0)
	v_mul_f64 v[38:39], v[140:141], v[136:137]
	v_fma_f64 v[38:39], v[138:139], v[36:37], -v[38:39]
	v_mul_f64 v[138:139], v[138:139], v[136:137]
	v_fmac_f64_e32 v[138:139], v[140:141], v[36:37]
	v_add_f64 v[34:35], v[34:35], -v[138:139]
	ds_read2_b64 v[138:141], v156 offset0:50 offset1:51
	v_add_f64 v[32:33], v[32:33], -v[38:39]
	s_waitcnt lgkmcnt(0)
	v_mul_f64 v[38:39], v[140:141], v[136:137]
	v_fma_f64 v[38:39], v[138:139], v[36:37], -v[38:39]
	v_mul_f64 v[138:139], v[138:139], v[136:137]
	v_fmac_f64_e32 v[138:139], v[140:141], v[36:37]
	v_add_f64 v[30:31], v[30:31], -v[138:139]
	ds_read2_b64 v[138:141], v156 offset0:52 offset1:53
	v_add_f64 v[28:29], v[28:29], -v[38:39]
	;; [unrolled: 8-line block ×9, first 2 shown]
	s_waitcnt lgkmcnt(0)
	v_mul_f64 v[38:39], v[140:141], v[136:137]
	v_fma_f64 v[38:39], v[138:139], v[36:37], -v[38:39]
	v_mul_f64 v[138:139], v[138:139], v[136:137]
	v_fmac_f64_e32 v[138:139], v[140:141], v[36:37]
	v_add_f64 v[132:133], v[132:133], -v[38:39]
	v_add_f64 v[134:135], v[134:135], -v[138:139]
	v_mov_b64_e32 v[38:39], v[136:137]
.LBB67_217:
	s_or_b64 exec, exec, s[2:3]
	v_cmp_eq_u32_e32 vcc, 24, v154
	s_barrier
	s_and_saveexec_b64 s[4:5], vcc
	s_cbranch_execz .LBB67_224
; %bb.218:
	s_waitcnt vmcnt(27)
	ds_write2_b64 v155, v[32:33], v[34:35] offset1:1
	s_waitcnt vmcnt(26)
	ds_write2_b64 v156, v[28:29], v[30:31] offset0:50 offset1:51
	s_waitcnt vmcnt(25)
	ds_write2_b64 v156, v[24:25], v[26:27] offset0:52 offset1:53
	s_waitcnt vmcnt(24)
	ds_write2_b64 v156, v[20:21], v[22:23] offset0:54 offset1:55
	s_waitcnt vmcnt(23)
	ds_write2_b64 v156, v[16:17], v[18:19] offset0:56 offset1:57
	s_waitcnt vmcnt(22)
	ds_write2_b64 v156, v[12:13], v[14:15] offset0:58 offset1:59
	s_waitcnt vmcnt(21)
	ds_write2_b64 v156, v[8:9], v[10:11] offset0:60 offset1:61
	s_waitcnt vmcnt(20)
	ds_write2_b64 v156, v[4:5], v[6:7] offset0:62 offset1:63
	s_waitcnt vmcnt(19)
	ds_write2_b64 v156, v[0:1], v[2:3] offset0:64 offset1:65
	s_waitcnt vmcnt(18)
	ds_write2_b64 v156, v[132:133], v[134:135] offset0:66 offset1:67
	ds_read2_b64 v[136:139], v155 offset1:1
	s_waitcnt lgkmcnt(0)
	v_cmp_neq_f64_e32 vcc, 0, v[136:137]
	v_cmp_neq_f64_e64 s[2:3], 0, v[138:139]
	s_or_b64 s[2:3], vcc, s[2:3]
	s_and_b64 exec, exec, s[2:3]
	s_cbranch_execz .LBB67_224
; %bb.219:
	v_cmp_ngt_f64_e64 s[2:3], |v[136:137]|, |v[138:139]|
                                        ; implicit-def: $vgpr140_vgpr141
	s_and_saveexec_b64 s[10:11], s[2:3]
	s_xor_b64 s[2:3], exec, s[10:11]
                                        ; implicit-def: $vgpr142_vgpr143
	s_cbranch_execz .LBB67_221
; %bb.220:
	v_div_scale_f64 v[140:141], s[10:11], v[138:139], v[138:139], v[136:137]
	v_rcp_f64_e32 v[142:143], v[140:141]
	v_div_scale_f64 v[144:145], vcc, v[136:137], v[138:139], v[136:137]
	v_fma_f64 v[146:147], -v[140:141], v[142:143], 1.0
	v_fmac_f64_e32 v[142:143], v[142:143], v[146:147]
	v_fma_f64 v[146:147], -v[140:141], v[142:143], 1.0
	v_fmac_f64_e32 v[142:143], v[142:143], v[146:147]
	v_mul_f64 v[146:147], v[144:145], v[142:143]
	v_fma_f64 v[140:141], -v[140:141], v[146:147], v[144:145]
	v_div_fmas_f64 v[140:141], v[140:141], v[142:143], v[146:147]
	v_div_fixup_f64 v[140:141], v[140:141], v[138:139], v[136:137]
	v_fmac_f64_e32 v[138:139], v[136:137], v[140:141]
	v_div_scale_f64 v[136:137], s[10:11], v[138:139], v[138:139], 1.0
	v_rcp_f64_e32 v[142:143], v[136:137]
	s_nop 0
	v_fma_f64 v[144:145], -v[136:137], v[142:143], 1.0
	v_fmac_f64_e32 v[142:143], v[142:143], v[144:145]
	v_fma_f64 v[144:145], -v[136:137], v[142:143], 1.0
	v_fmac_f64_e32 v[142:143], v[142:143], v[144:145]
	v_div_scale_f64 v[144:145], vcc, 1.0, v[138:139], 1.0
	v_mul_f64 v[146:147], v[144:145], v[142:143]
	v_fma_f64 v[136:137], -v[136:137], v[146:147], v[144:145]
	s_nop 1
	v_div_fmas_f64 v[136:137], v[136:137], v[142:143], v[146:147]
	v_div_fixup_f64 v[142:143], v[136:137], v[138:139], 1.0
	v_mul_f64 v[140:141], v[140:141], v[142:143]
	v_xor_b32_e32 v143, 0x80000000, v143
                                        ; implicit-def: $vgpr136_vgpr137
.LBB67_221:
	s_andn2_saveexec_b64 s[2:3], s[2:3]
	s_cbranch_execz .LBB67_223
; %bb.222:
	v_div_scale_f64 v[140:141], s[10:11], v[136:137], v[136:137], v[138:139]
	v_rcp_f64_e32 v[142:143], v[140:141]
	v_div_scale_f64 v[144:145], vcc, v[138:139], v[136:137], v[138:139]
	v_fma_f64 v[146:147], -v[140:141], v[142:143], 1.0
	v_fmac_f64_e32 v[142:143], v[142:143], v[146:147]
	v_fma_f64 v[146:147], -v[140:141], v[142:143], 1.0
	v_fmac_f64_e32 v[142:143], v[142:143], v[146:147]
	v_mul_f64 v[146:147], v[144:145], v[142:143]
	v_fma_f64 v[140:141], -v[140:141], v[146:147], v[144:145]
	v_div_fmas_f64 v[140:141], v[140:141], v[142:143], v[146:147]
	v_div_fixup_f64 v[142:143], v[140:141], v[136:137], v[138:139]
	v_fmac_f64_e32 v[136:137], v[138:139], v[142:143]
	v_div_scale_f64 v[138:139], s[10:11], v[136:137], v[136:137], 1.0
	v_rcp_f64_e32 v[140:141], v[138:139]
	s_nop 0
	v_fma_f64 v[144:145], -v[138:139], v[140:141], 1.0
	v_fmac_f64_e32 v[140:141], v[140:141], v[144:145]
	v_fma_f64 v[144:145], -v[138:139], v[140:141], 1.0
	v_fmac_f64_e32 v[140:141], v[140:141], v[144:145]
	v_div_scale_f64 v[144:145], vcc, 1.0, v[136:137], 1.0
	v_mul_f64 v[146:147], v[144:145], v[140:141]
	v_fma_f64 v[138:139], -v[138:139], v[146:147], v[144:145]
	s_nop 1
	v_div_fmas_f64 v[138:139], v[138:139], v[140:141], v[146:147]
	v_div_fixup_f64 v[140:141], v[138:139], v[136:137], 1.0
	v_mul_f64 v[142:143], v[142:143], -v[140:141]
.LBB67_223:
	s_or_b64 exec, exec, s[2:3]
	ds_write2_b64 v155, v[140:141], v[142:143] offset1:1
.LBB67_224:
	s_or_b64 exec, exec, s[4:5]
	s_waitcnt lgkmcnt(0)
	s_barrier
	ds_read2_b64 v[136:139], v155 offset1:1
	v_cmp_lt_u32_e32 vcc, 24, v154
	s_waitcnt lgkmcnt(0)
	scratch_store_dwordx4 off, v[136:139], off offset:296 ; 16-byte Folded Spill
	s_and_saveexec_b64 s[2:3], vcc
	s_cbranch_execz .LBB67_226
; %bb.225:
	scratch_load_dwordx4 v[138:141], off, off offset:296 ; 16-byte Folded Reload
	s_waitcnt vmcnt(0)
	v_mul_f64 v[136:137], v[138:139], v[34:35]
	v_mul_f64 v[34:35], v[140:141], v[34:35]
	v_fmac_f64_e32 v[136:137], v[140:141], v[32:33]
	v_fma_f64 v[32:33], v[138:139], v[32:33], -v[34:35]
	ds_read2_b64 v[138:141], v156 offset0:50 offset1:51
	s_waitcnt lgkmcnt(0)
	v_mul_f64 v[34:35], v[140:141], v[136:137]
	v_fma_f64 v[34:35], v[138:139], v[32:33], -v[34:35]
	v_mul_f64 v[138:139], v[138:139], v[136:137]
	v_fmac_f64_e32 v[138:139], v[140:141], v[32:33]
	v_add_f64 v[30:31], v[30:31], -v[138:139]
	ds_read2_b64 v[138:141], v156 offset0:52 offset1:53
	v_add_f64 v[28:29], v[28:29], -v[34:35]
	s_waitcnt lgkmcnt(0)
	v_mul_f64 v[34:35], v[140:141], v[136:137]
	v_fma_f64 v[34:35], v[138:139], v[32:33], -v[34:35]
	v_mul_f64 v[138:139], v[138:139], v[136:137]
	v_fmac_f64_e32 v[138:139], v[140:141], v[32:33]
	v_add_f64 v[26:27], v[26:27], -v[138:139]
	ds_read2_b64 v[138:141], v156 offset0:54 offset1:55
	v_add_f64 v[24:25], v[24:25], -v[34:35]
	;; [unrolled: 8-line block ×8, first 2 shown]
	s_waitcnt lgkmcnt(0)
	v_mul_f64 v[34:35], v[140:141], v[136:137]
	v_fma_f64 v[34:35], v[138:139], v[32:33], -v[34:35]
	v_mul_f64 v[138:139], v[138:139], v[136:137]
	v_fmac_f64_e32 v[138:139], v[140:141], v[32:33]
	v_add_f64 v[132:133], v[132:133], -v[34:35]
	v_add_f64 v[134:135], v[134:135], -v[138:139]
	v_mov_b64_e32 v[34:35], v[136:137]
.LBB67_226:
	s_or_b64 exec, exec, s[2:3]
	v_cmp_eq_u32_e32 vcc, 25, v154
	s_barrier
	s_and_saveexec_b64 s[4:5], vcc
	s_cbranch_execz .LBB67_233
; %bb.227:
	s_waitcnt vmcnt(27)
	ds_write2_b64 v155, v[28:29], v[30:31] offset1:1
	s_waitcnt vmcnt(26)
	ds_write2_b64 v156, v[24:25], v[26:27] offset0:52 offset1:53
	s_waitcnt vmcnt(25)
	ds_write2_b64 v156, v[20:21], v[22:23] offset0:54 offset1:55
	;; [unrolled: 2-line block ×8, first 2 shown]
	ds_read2_b64 v[136:139], v155 offset1:1
	s_waitcnt lgkmcnt(0)
	v_cmp_neq_f64_e32 vcc, 0, v[136:137]
	v_cmp_neq_f64_e64 s[2:3], 0, v[138:139]
	s_or_b64 s[2:3], vcc, s[2:3]
	s_and_b64 exec, exec, s[2:3]
	s_cbranch_execz .LBB67_233
; %bb.228:
	v_cmp_ngt_f64_e64 s[2:3], |v[136:137]|, |v[138:139]|
                                        ; implicit-def: $vgpr140_vgpr141
	s_and_saveexec_b64 s[10:11], s[2:3]
	s_xor_b64 s[2:3], exec, s[10:11]
                                        ; implicit-def: $vgpr142_vgpr143
	s_cbranch_execz .LBB67_230
; %bb.229:
	v_div_scale_f64 v[140:141], s[10:11], v[138:139], v[138:139], v[136:137]
	v_rcp_f64_e32 v[142:143], v[140:141]
	v_div_scale_f64 v[144:145], vcc, v[136:137], v[138:139], v[136:137]
	v_fma_f64 v[146:147], -v[140:141], v[142:143], 1.0
	v_fmac_f64_e32 v[142:143], v[142:143], v[146:147]
	v_fma_f64 v[146:147], -v[140:141], v[142:143], 1.0
	v_fmac_f64_e32 v[142:143], v[142:143], v[146:147]
	v_mul_f64 v[146:147], v[144:145], v[142:143]
	v_fma_f64 v[140:141], -v[140:141], v[146:147], v[144:145]
	v_div_fmas_f64 v[140:141], v[140:141], v[142:143], v[146:147]
	v_div_fixup_f64 v[140:141], v[140:141], v[138:139], v[136:137]
	v_fmac_f64_e32 v[138:139], v[136:137], v[140:141]
	v_div_scale_f64 v[136:137], s[10:11], v[138:139], v[138:139], 1.0
	v_rcp_f64_e32 v[142:143], v[136:137]
	s_nop 0
	v_fma_f64 v[144:145], -v[136:137], v[142:143], 1.0
	v_fmac_f64_e32 v[142:143], v[142:143], v[144:145]
	v_fma_f64 v[144:145], -v[136:137], v[142:143], 1.0
	v_fmac_f64_e32 v[142:143], v[142:143], v[144:145]
	v_div_scale_f64 v[144:145], vcc, 1.0, v[138:139], 1.0
	v_mul_f64 v[146:147], v[144:145], v[142:143]
	v_fma_f64 v[136:137], -v[136:137], v[146:147], v[144:145]
	s_nop 1
	v_div_fmas_f64 v[136:137], v[136:137], v[142:143], v[146:147]
	v_div_fixup_f64 v[142:143], v[136:137], v[138:139], 1.0
	v_mul_f64 v[140:141], v[140:141], v[142:143]
	v_xor_b32_e32 v143, 0x80000000, v143
                                        ; implicit-def: $vgpr136_vgpr137
.LBB67_230:
	s_andn2_saveexec_b64 s[2:3], s[2:3]
	s_cbranch_execz .LBB67_232
; %bb.231:
	v_div_scale_f64 v[140:141], s[10:11], v[136:137], v[136:137], v[138:139]
	v_rcp_f64_e32 v[142:143], v[140:141]
	v_div_scale_f64 v[144:145], vcc, v[138:139], v[136:137], v[138:139]
	v_fma_f64 v[146:147], -v[140:141], v[142:143], 1.0
	v_fmac_f64_e32 v[142:143], v[142:143], v[146:147]
	v_fma_f64 v[146:147], -v[140:141], v[142:143], 1.0
	v_fmac_f64_e32 v[142:143], v[142:143], v[146:147]
	v_mul_f64 v[146:147], v[144:145], v[142:143]
	v_fma_f64 v[140:141], -v[140:141], v[146:147], v[144:145]
	v_div_fmas_f64 v[140:141], v[140:141], v[142:143], v[146:147]
	v_div_fixup_f64 v[142:143], v[140:141], v[136:137], v[138:139]
	v_fmac_f64_e32 v[136:137], v[138:139], v[142:143]
	v_div_scale_f64 v[138:139], s[10:11], v[136:137], v[136:137], 1.0
	v_rcp_f64_e32 v[140:141], v[138:139]
	s_nop 0
	v_fma_f64 v[144:145], -v[138:139], v[140:141], 1.0
	v_fmac_f64_e32 v[140:141], v[140:141], v[144:145]
	v_fma_f64 v[144:145], -v[138:139], v[140:141], 1.0
	v_fmac_f64_e32 v[140:141], v[140:141], v[144:145]
	v_div_scale_f64 v[144:145], vcc, 1.0, v[136:137], 1.0
	v_mul_f64 v[146:147], v[144:145], v[140:141]
	v_fma_f64 v[138:139], -v[138:139], v[146:147], v[144:145]
	s_nop 1
	v_div_fmas_f64 v[138:139], v[138:139], v[140:141], v[146:147]
	v_div_fixup_f64 v[140:141], v[138:139], v[136:137], 1.0
	v_mul_f64 v[142:143], v[142:143], -v[140:141]
.LBB67_232:
	s_or_b64 exec, exec, s[2:3]
	ds_write2_b64 v155, v[140:141], v[142:143] offset1:1
.LBB67_233:
	s_or_b64 exec, exec, s[4:5]
	s_waitcnt lgkmcnt(0)
	s_barrier
	ds_read2_b64 v[136:139], v155 offset1:1
	v_cmp_lt_u32_e32 vcc, 25, v154
	s_waitcnt lgkmcnt(0)
	scratch_store_dwordx4 off, v[136:139], off offset:312 ; 16-byte Folded Spill
	s_and_saveexec_b64 s[2:3], vcc
	s_cbranch_execz .LBB67_235
; %bb.234:
	scratch_load_dwordx4 v[138:141], off, off offset:312 ; 16-byte Folded Reload
	s_waitcnt vmcnt(0)
	v_mul_f64 v[136:137], v[138:139], v[30:31]
	v_mul_f64 v[30:31], v[140:141], v[30:31]
	v_fmac_f64_e32 v[136:137], v[140:141], v[28:29]
	v_fma_f64 v[28:29], v[138:139], v[28:29], -v[30:31]
	ds_read2_b64 v[138:141], v156 offset0:52 offset1:53
	s_waitcnt lgkmcnt(0)
	v_mul_f64 v[30:31], v[140:141], v[136:137]
	v_fma_f64 v[30:31], v[138:139], v[28:29], -v[30:31]
	v_mul_f64 v[138:139], v[138:139], v[136:137]
	v_fmac_f64_e32 v[138:139], v[140:141], v[28:29]
	v_add_f64 v[26:27], v[26:27], -v[138:139]
	ds_read2_b64 v[138:141], v156 offset0:54 offset1:55
	v_add_f64 v[24:25], v[24:25], -v[30:31]
	s_waitcnt lgkmcnt(0)
	v_mul_f64 v[30:31], v[140:141], v[136:137]
	v_fma_f64 v[30:31], v[138:139], v[28:29], -v[30:31]
	v_mul_f64 v[138:139], v[138:139], v[136:137]
	v_fmac_f64_e32 v[138:139], v[140:141], v[28:29]
	v_add_f64 v[22:23], v[22:23], -v[138:139]
	ds_read2_b64 v[138:141], v156 offset0:56 offset1:57
	v_add_f64 v[20:21], v[20:21], -v[30:31]
	;; [unrolled: 8-line block ×7, first 2 shown]
	s_waitcnt lgkmcnt(0)
	v_mul_f64 v[30:31], v[140:141], v[136:137]
	v_fma_f64 v[30:31], v[138:139], v[28:29], -v[30:31]
	v_mul_f64 v[138:139], v[138:139], v[136:137]
	v_fmac_f64_e32 v[138:139], v[140:141], v[28:29]
	v_add_f64 v[132:133], v[132:133], -v[30:31]
	v_add_f64 v[134:135], v[134:135], -v[138:139]
	v_mov_b64_e32 v[30:31], v[136:137]
.LBB67_235:
	s_or_b64 exec, exec, s[2:3]
	v_cmp_eq_u32_e32 vcc, 26, v154
	s_barrier
	s_and_saveexec_b64 s[4:5], vcc
	s_cbranch_execz .LBB67_242
; %bb.236:
	s_waitcnt vmcnt(27)
	ds_write2_b64 v155, v[24:25], v[26:27] offset1:1
	s_waitcnt vmcnt(26)
	ds_write2_b64 v156, v[20:21], v[22:23] offset0:54 offset1:55
	s_waitcnt vmcnt(25)
	ds_write2_b64 v156, v[16:17], v[18:19] offset0:56 offset1:57
	;; [unrolled: 2-line block ×7, first 2 shown]
	ds_read2_b64 v[136:139], v155 offset1:1
	s_waitcnt lgkmcnt(0)
	v_cmp_neq_f64_e32 vcc, 0, v[136:137]
	v_cmp_neq_f64_e64 s[2:3], 0, v[138:139]
	s_or_b64 s[2:3], vcc, s[2:3]
	s_and_b64 exec, exec, s[2:3]
	s_cbranch_execz .LBB67_242
; %bb.237:
	v_cmp_ngt_f64_e64 s[2:3], |v[136:137]|, |v[138:139]|
                                        ; implicit-def: $vgpr140_vgpr141
	s_and_saveexec_b64 s[10:11], s[2:3]
	s_xor_b64 s[2:3], exec, s[10:11]
                                        ; implicit-def: $vgpr142_vgpr143
	s_cbranch_execz .LBB67_239
; %bb.238:
	v_div_scale_f64 v[140:141], s[10:11], v[138:139], v[138:139], v[136:137]
	v_rcp_f64_e32 v[142:143], v[140:141]
	v_div_scale_f64 v[144:145], vcc, v[136:137], v[138:139], v[136:137]
	v_fma_f64 v[146:147], -v[140:141], v[142:143], 1.0
	v_fmac_f64_e32 v[142:143], v[142:143], v[146:147]
	v_fma_f64 v[146:147], -v[140:141], v[142:143], 1.0
	v_fmac_f64_e32 v[142:143], v[142:143], v[146:147]
	v_mul_f64 v[146:147], v[144:145], v[142:143]
	v_fma_f64 v[140:141], -v[140:141], v[146:147], v[144:145]
	v_div_fmas_f64 v[140:141], v[140:141], v[142:143], v[146:147]
	v_div_fixup_f64 v[140:141], v[140:141], v[138:139], v[136:137]
	v_fmac_f64_e32 v[138:139], v[136:137], v[140:141]
	v_div_scale_f64 v[136:137], s[10:11], v[138:139], v[138:139], 1.0
	v_rcp_f64_e32 v[142:143], v[136:137]
	s_nop 0
	v_fma_f64 v[144:145], -v[136:137], v[142:143], 1.0
	v_fmac_f64_e32 v[142:143], v[142:143], v[144:145]
	v_fma_f64 v[144:145], -v[136:137], v[142:143], 1.0
	v_fmac_f64_e32 v[142:143], v[142:143], v[144:145]
	v_div_scale_f64 v[144:145], vcc, 1.0, v[138:139], 1.0
	v_mul_f64 v[146:147], v[144:145], v[142:143]
	v_fma_f64 v[136:137], -v[136:137], v[146:147], v[144:145]
	s_nop 1
	v_div_fmas_f64 v[136:137], v[136:137], v[142:143], v[146:147]
	v_div_fixup_f64 v[142:143], v[136:137], v[138:139], 1.0
	v_mul_f64 v[140:141], v[140:141], v[142:143]
	v_xor_b32_e32 v143, 0x80000000, v143
                                        ; implicit-def: $vgpr136_vgpr137
.LBB67_239:
	s_andn2_saveexec_b64 s[2:3], s[2:3]
	s_cbranch_execz .LBB67_241
; %bb.240:
	v_div_scale_f64 v[140:141], s[10:11], v[136:137], v[136:137], v[138:139]
	v_rcp_f64_e32 v[142:143], v[140:141]
	v_div_scale_f64 v[144:145], vcc, v[138:139], v[136:137], v[138:139]
	v_fma_f64 v[146:147], -v[140:141], v[142:143], 1.0
	v_fmac_f64_e32 v[142:143], v[142:143], v[146:147]
	v_fma_f64 v[146:147], -v[140:141], v[142:143], 1.0
	v_fmac_f64_e32 v[142:143], v[142:143], v[146:147]
	v_mul_f64 v[146:147], v[144:145], v[142:143]
	v_fma_f64 v[140:141], -v[140:141], v[146:147], v[144:145]
	v_div_fmas_f64 v[140:141], v[140:141], v[142:143], v[146:147]
	v_div_fixup_f64 v[142:143], v[140:141], v[136:137], v[138:139]
	v_fmac_f64_e32 v[136:137], v[138:139], v[142:143]
	v_div_scale_f64 v[138:139], s[10:11], v[136:137], v[136:137], 1.0
	v_rcp_f64_e32 v[140:141], v[138:139]
	s_nop 0
	v_fma_f64 v[144:145], -v[138:139], v[140:141], 1.0
	v_fmac_f64_e32 v[140:141], v[140:141], v[144:145]
	v_fma_f64 v[144:145], -v[138:139], v[140:141], 1.0
	v_fmac_f64_e32 v[140:141], v[140:141], v[144:145]
	v_div_scale_f64 v[144:145], vcc, 1.0, v[136:137], 1.0
	v_mul_f64 v[146:147], v[144:145], v[140:141]
	v_fma_f64 v[138:139], -v[138:139], v[146:147], v[144:145]
	s_nop 1
	v_div_fmas_f64 v[138:139], v[138:139], v[140:141], v[146:147]
	v_div_fixup_f64 v[140:141], v[138:139], v[136:137], 1.0
	v_mul_f64 v[142:143], v[142:143], -v[140:141]
.LBB67_241:
	s_or_b64 exec, exec, s[2:3]
	ds_write2_b64 v155, v[140:141], v[142:143] offset1:1
.LBB67_242:
	s_or_b64 exec, exec, s[4:5]
	s_waitcnt lgkmcnt(0)
	s_barrier
	ds_read2_b64 v[136:139], v155 offset1:1
	v_cmp_lt_u32_e32 vcc, 26, v154
	s_waitcnt lgkmcnt(0)
	scratch_store_dwordx4 off, v[136:139], off offset:328 ; 16-byte Folded Spill
	s_and_saveexec_b64 s[2:3], vcc
	s_cbranch_execz .LBB67_244
; %bb.243:
	scratch_load_dwordx4 v[138:141], off, off offset:328 ; 16-byte Folded Reload
	s_waitcnt vmcnt(0)
	v_mul_f64 v[136:137], v[138:139], v[26:27]
	v_mul_f64 v[26:27], v[140:141], v[26:27]
	v_fmac_f64_e32 v[136:137], v[140:141], v[24:25]
	v_fma_f64 v[24:25], v[138:139], v[24:25], -v[26:27]
	ds_read2_b64 v[138:141], v156 offset0:54 offset1:55
	s_waitcnt lgkmcnt(0)
	v_mul_f64 v[26:27], v[140:141], v[136:137]
	v_fma_f64 v[26:27], v[138:139], v[24:25], -v[26:27]
	v_mul_f64 v[138:139], v[138:139], v[136:137]
	v_fmac_f64_e32 v[138:139], v[140:141], v[24:25]
	v_add_f64 v[22:23], v[22:23], -v[138:139]
	ds_read2_b64 v[138:141], v156 offset0:56 offset1:57
	v_add_f64 v[20:21], v[20:21], -v[26:27]
	s_waitcnt lgkmcnt(0)
	v_mul_f64 v[26:27], v[140:141], v[136:137]
	v_fma_f64 v[26:27], v[138:139], v[24:25], -v[26:27]
	v_mul_f64 v[138:139], v[138:139], v[136:137]
	v_fmac_f64_e32 v[138:139], v[140:141], v[24:25]
	v_add_f64 v[18:19], v[18:19], -v[138:139]
	ds_read2_b64 v[138:141], v156 offset0:58 offset1:59
	v_add_f64 v[16:17], v[16:17], -v[26:27]
	;; [unrolled: 8-line block ×6, first 2 shown]
	s_waitcnt lgkmcnt(0)
	v_mul_f64 v[26:27], v[140:141], v[136:137]
	v_fma_f64 v[26:27], v[138:139], v[24:25], -v[26:27]
	v_mul_f64 v[138:139], v[138:139], v[136:137]
	v_fmac_f64_e32 v[138:139], v[140:141], v[24:25]
	v_add_f64 v[132:133], v[132:133], -v[26:27]
	v_add_f64 v[134:135], v[134:135], -v[138:139]
	v_mov_b64_e32 v[26:27], v[136:137]
.LBB67_244:
	s_or_b64 exec, exec, s[2:3]
	v_cmp_eq_u32_e32 vcc, 27, v154
	s_barrier
	s_and_saveexec_b64 s[4:5], vcc
	s_cbranch_execz .LBB67_251
; %bb.245:
	s_waitcnt vmcnt(27)
	ds_write2_b64 v155, v[20:21], v[22:23] offset1:1
	s_waitcnt vmcnt(26)
	ds_write2_b64 v156, v[16:17], v[18:19] offset0:56 offset1:57
	s_waitcnt vmcnt(25)
	ds_write2_b64 v156, v[12:13], v[14:15] offset0:58 offset1:59
	s_waitcnt vmcnt(24)
	ds_write2_b64 v156, v[8:9], v[10:11] offset0:60 offset1:61
	s_waitcnt vmcnt(23)
	ds_write2_b64 v156, v[4:5], v[6:7] offset0:62 offset1:63
	s_waitcnt vmcnt(22)
	ds_write2_b64 v156, v[0:1], v[2:3] offset0:64 offset1:65
	s_waitcnt vmcnt(21)
	ds_write2_b64 v156, v[132:133], v[134:135] offset0:66 offset1:67
	ds_read2_b64 v[136:139], v155 offset1:1
	s_waitcnt lgkmcnt(0)
	v_cmp_neq_f64_e32 vcc, 0, v[136:137]
	v_cmp_neq_f64_e64 s[2:3], 0, v[138:139]
	s_or_b64 s[2:3], vcc, s[2:3]
	s_and_b64 exec, exec, s[2:3]
	s_cbranch_execz .LBB67_251
; %bb.246:
	v_cmp_ngt_f64_e64 s[2:3], |v[136:137]|, |v[138:139]|
                                        ; implicit-def: $vgpr140_vgpr141
	s_and_saveexec_b64 s[10:11], s[2:3]
	s_xor_b64 s[2:3], exec, s[10:11]
                                        ; implicit-def: $vgpr142_vgpr143
	s_cbranch_execz .LBB67_248
; %bb.247:
	v_div_scale_f64 v[140:141], s[10:11], v[138:139], v[138:139], v[136:137]
	v_rcp_f64_e32 v[142:143], v[140:141]
	v_div_scale_f64 v[144:145], vcc, v[136:137], v[138:139], v[136:137]
	v_fma_f64 v[146:147], -v[140:141], v[142:143], 1.0
	v_fmac_f64_e32 v[142:143], v[142:143], v[146:147]
	v_fma_f64 v[146:147], -v[140:141], v[142:143], 1.0
	v_fmac_f64_e32 v[142:143], v[142:143], v[146:147]
	v_mul_f64 v[146:147], v[144:145], v[142:143]
	v_fma_f64 v[140:141], -v[140:141], v[146:147], v[144:145]
	v_div_fmas_f64 v[140:141], v[140:141], v[142:143], v[146:147]
	v_div_fixup_f64 v[140:141], v[140:141], v[138:139], v[136:137]
	v_fmac_f64_e32 v[138:139], v[136:137], v[140:141]
	v_div_scale_f64 v[136:137], s[10:11], v[138:139], v[138:139], 1.0
	v_rcp_f64_e32 v[142:143], v[136:137]
	s_nop 0
	v_fma_f64 v[144:145], -v[136:137], v[142:143], 1.0
	v_fmac_f64_e32 v[142:143], v[142:143], v[144:145]
	v_fma_f64 v[144:145], -v[136:137], v[142:143], 1.0
	v_fmac_f64_e32 v[142:143], v[142:143], v[144:145]
	v_div_scale_f64 v[144:145], vcc, 1.0, v[138:139], 1.0
	v_mul_f64 v[146:147], v[144:145], v[142:143]
	v_fma_f64 v[136:137], -v[136:137], v[146:147], v[144:145]
	s_nop 1
	v_div_fmas_f64 v[136:137], v[136:137], v[142:143], v[146:147]
	v_div_fixup_f64 v[142:143], v[136:137], v[138:139], 1.0
	v_mul_f64 v[140:141], v[140:141], v[142:143]
	v_xor_b32_e32 v143, 0x80000000, v143
                                        ; implicit-def: $vgpr136_vgpr137
.LBB67_248:
	s_andn2_saveexec_b64 s[2:3], s[2:3]
	s_cbranch_execz .LBB67_250
; %bb.249:
	v_div_scale_f64 v[140:141], s[10:11], v[136:137], v[136:137], v[138:139]
	v_rcp_f64_e32 v[142:143], v[140:141]
	v_div_scale_f64 v[144:145], vcc, v[138:139], v[136:137], v[138:139]
	v_fma_f64 v[146:147], -v[140:141], v[142:143], 1.0
	v_fmac_f64_e32 v[142:143], v[142:143], v[146:147]
	v_fma_f64 v[146:147], -v[140:141], v[142:143], 1.0
	v_fmac_f64_e32 v[142:143], v[142:143], v[146:147]
	v_mul_f64 v[146:147], v[144:145], v[142:143]
	v_fma_f64 v[140:141], -v[140:141], v[146:147], v[144:145]
	v_div_fmas_f64 v[140:141], v[140:141], v[142:143], v[146:147]
	v_div_fixup_f64 v[142:143], v[140:141], v[136:137], v[138:139]
	v_fmac_f64_e32 v[136:137], v[138:139], v[142:143]
	v_div_scale_f64 v[138:139], s[10:11], v[136:137], v[136:137], 1.0
	v_rcp_f64_e32 v[140:141], v[138:139]
	s_nop 0
	v_fma_f64 v[144:145], -v[138:139], v[140:141], 1.0
	v_fmac_f64_e32 v[140:141], v[140:141], v[144:145]
	v_fma_f64 v[144:145], -v[138:139], v[140:141], 1.0
	v_fmac_f64_e32 v[140:141], v[140:141], v[144:145]
	v_div_scale_f64 v[144:145], vcc, 1.0, v[136:137], 1.0
	v_mul_f64 v[146:147], v[144:145], v[140:141]
	v_fma_f64 v[138:139], -v[138:139], v[146:147], v[144:145]
	s_nop 1
	v_div_fmas_f64 v[138:139], v[138:139], v[140:141], v[146:147]
	v_div_fixup_f64 v[140:141], v[138:139], v[136:137], 1.0
	v_mul_f64 v[142:143], v[142:143], -v[140:141]
.LBB67_250:
	s_or_b64 exec, exec, s[2:3]
	ds_write2_b64 v155, v[140:141], v[142:143] offset1:1
.LBB67_251:
	s_or_b64 exec, exec, s[4:5]
	s_waitcnt lgkmcnt(0)
	s_barrier
	ds_read2_b64 v[136:139], v155 offset1:1
	v_cmp_lt_u32_e32 vcc, 27, v154
	s_waitcnt lgkmcnt(0)
	scratch_store_dwordx4 off, v[136:139], off offset:344 ; 16-byte Folded Spill
	s_and_saveexec_b64 s[2:3], vcc
	s_cbranch_execz .LBB67_253
; %bb.252:
	scratch_load_dwordx4 v[136:139], off, off offset:344 ; 16-byte Folded Reload
	s_waitcnt vmcnt(0)
	v_mul_f64 v[140:141], v[136:137], v[22:23]
	v_mul_f64 v[22:23], v[138:139], v[22:23]
	v_fmac_f64_e32 v[140:141], v[138:139], v[20:21]
	v_fma_f64 v[20:21], v[136:137], v[20:21], -v[22:23]
	ds_read2_b64 v[136:139], v156 offset0:56 offset1:57
	s_waitcnt lgkmcnt(0)
	v_mul_f64 v[22:23], v[138:139], v[140:141]
	v_fma_f64 v[22:23], v[136:137], v[20:21], -v[22:23]
	v_mul_f64 v[136:137], v[136:137], v[140:141]
	v_fmac_f64_e32 v[136:137], v[138:139], v[20:21]
	v_add_f64 v[18:19], v[18:19], -v[136:137]
	ds_read2_b64 v[136:139], v156 offset0:58 offset1:59
	v_add_f64 v[16:17], v[16:17], -v[22:23]
	s_waitcnt lgkmcnt(0)
	v_mul_f64 v[22:23], v[138:139], v[140:141]
	v_fma_f64 v[22:23], v[136:137], v[20:21], -v[22:23]
	v_mul_f64 v[136:137], v[136:137], v[140:141]
	v_fmac_f64_e32 v[136:137], v[138:139], v[20:21]
	v_add_f64 v[14:15], v[14:15], -v[136:137]
	ds_read2_b64 v[136:139], v156 offset0:60 offset1:61
	v_add_f64 v[12:13], v[12:13], -v[22:23]
	;; [unrolled: 8-line block ×5, first 2 shown]
	s_waitcnt lgkmcnt(0)
	v_mul_f64 v[22:23], v[138:139], v[140:141]
	v_fma_f64 v[22:23], v[136:137], v[20:21], -v[22:23]
	v_mul_f64 v[136:137], v[136:137], v[140:141]
	v_fmac_f64_e32 v[136:137], v[138:139], v[20:21]
	v_add_f64 v[132:133], v[132:133], -v[22:23]
	v_add_f64 v[134:135], v[134:135], -v[136:137]
	v_mov_b64_e32 v[22:23], v[140:141]
.LBB67_253:
	s_or_b64 exec, exec, s[2:3]
	v_cmp_eq_u32_e32 vcc, 28, v154
	s_barrier
	s_and_saveexec_b64 s[4:5], vcc
	s_cbranch_execz .LBB67_260
; %bb.254:
	s_waitcnt vmcnt(27)
	ds_write2_b64 v155, v[16:17], v[18:19] offset1:1
	s_waitcnt vmcnt(26)
	ds_write2_b64 v156, v[12:13], v[14:15] offset0:58 offset1:59
	s_waitcnt vmcnt(25)
	ds_write2_b64 v156, v[8:9], v[10:11] offset0:60 offset1:61
	;; [unrolled: 2-line block ×5, first 2 shown]
	ds_read2_b64 v[136:139], v155 offset1:1
	s_waitcnt lgkmcnt(0)
	v_cmp_neq_f64_e32 vcc, 0, v[136:137]
	v_cmp_neq_f64_e64 s[2:3], 0, v[138:139]
	s_or_b64 s[2:3], vcc, s[2:3]
	s_and_b64 exec, exec, s[2:3]
	s_cbranch_execz .LBB67_260
; %bb.255:
	v_cmp_ngt_f64_e64 s[2:3], |v[136:137]|, |v[138:139]|
                                        ; implicit-def: $vgpr140_vgpr141
	s_and_saveexec_b64 s[10:11], s[2:3]
	s_xor_b64 s[2:3], exec, s[10:11]
                                        ; implicit-def: $vgpr142_vgpr143
	s_cbranch_execz .LBB67_257
; %bb.256:
	v_div_scale_f64 v[140:141], s[10:11], v[138:139], v[138:139], v[136:137]
	v_rcp_f64_e32 v[142:143], v[140:141]
	v_div_scale_f64 v[144:145], vcc, v[136:137], v[138:139], v[136:137]
	v_fma_f64 v[146:147], -v[140:141], v[142:143], 1.0
	v_fmac_f64_e32 v[142:143], v[142:143], v[146:147]
	v_fma_f64 v[146:147], -v[140:141], v[142:143], 1.0
	v_fmac_f64_e32 v[142:143], v[142:143], v[146:147]
	v_mul_f64 v[146:147], v[144:145], v[142:143]
	v_fma_f64 v[140:141], -v[140:141], v[146:147], v[144:145]
	v_div_fmas_f64 v[140:141], v[140:141], v[142:143], v[146:147]
	v_div_fixup_f64 v[140:141], v[140:141], v[138:139], v[136:137]
	v_fmac_f64_e32 v[138:139], v[136:137], v[140:141]
	v_div_scale_f64 v[136:137], s[10:11], v[138:139], v[138:139], 1.0
	v_rcp_f64_e32 v[142:143], v[136:137]
	s_nop 0
	v_fma_f64 v[144:145], -v[136:137], v[142:143], 1.0
	v_fmac_f64_e32 v[142:143], v[142:143], v[144:145]
	v_fma_f64 v[144:145], -v[136:137], v[142:143], 1.0
	v_fmac_f64_e32 v[142:143], v[142:143], v[144:145]
	v_div_scale_f64 v[144:145], vcc, 1.0, v[138:139], 1.0
	v_mul_f64 v[146:147], v[144:145], v[142:143]
	v_fma_f64 v[136:137], -v[136:137], v[146:147], v[144:145]
	s_nop 1
	v_div_fmas_f64 v[136:137], v[136:137], v[142:143], v[146:147]
	v_div_fixup_f64 v[142:143], v[136:137], v[138:139], 1.0
	v_mul_f64 v[140:141], v[140:141], v[142:143]
	v_xor_b32_e32 v143, 0x80000000, v143
                                        ; implicit-def: $vgpr136_vgpr137
.LBB67_257:
	s_andn2_saveexec_b64 s[2:3], s[2:3]
	s_cbranch_execz .LBB67_259
; %bb.258:
	v_div_scale_f64 v[140:141], s[10:11], v[136:137], v[136:137], v[138:139]
	v_rcp_f64_e32 v[142:143], v[140:141]
	v_div_scale_f64 v[144:145], vcc, v[138:139], v[136:137], v[138:139]
	v_fma_f64 v[146:147], -v[140:141], v[142:143], 1.0
	v_fmac_f64_e32 v[142:143], v[142:143], v[146:147]
	v_fma_f64 v[146:147], -v[140:141], v[142:143], 1.0
	v_fmac_f64_e32 v[142:143], v[142:143], v[146:147]
	v_mul_f64 v[146:147], v[144:145], v[142:143]
	v_fma_f64 v[140:141], -v[140:141], v[146:147], v[144:145]
	v_div_fmas_f64 v[140:141], v[140:141], v[142:143], v[146:147]
	v_div_fixup_f64 v[142:143], v[140:141], v[136:137], v[138:139]
	v_fmac_f64_e32 v[136:137], v[138:139], v[142:143]
	v_div_scale_f64 v[138:139], s[10:11], v[136:137], v[136:137], 1.0
	v_rcp_f64_e32 v[140:141], v[138:139]
	s_nop 0
	v_fma_f64 v[144:145], -v[138:139], v[140:141], 1.0
	v_fmac_f64_e32 v[140:141], v[140:141], v[144:145]
	v_fma_f64 v[144:145], -v[138:139], v[140:141], 1.0
	v_fmac_f64_e32 v[140:141], v[140:141], v[144:145]
	v_div_scale_f64 v[144:145], vcc, 1.0, v[136:137], 1.0
	v_mul_f64 v[146:147], v[144:145], v[140:141]
	v_fma_f64 v[138:139], -v[138:139], v[146:147], v[144:145]
	s_nop 1
	v_div_fmas_f64 v[138:139], v[138:139], v[140:141], v[146:147]
	v_div_fixup_f64 v[140:141], v[138:139], v[136:137], 1.0
	v_mul_f64 v[142:143], v[142:143], -v[140:141]
.LBB67_259:
	s_or_b64 exec, exec, s[2:3]
	ds_write2_b64 v155, v[140:141], v[142:143] offset1:1
.LBB67_260:
	s_or_b64 exec, exec, s[4:5]
	s_waitcnt lgkmcnt(0)
	s_barrier
	ds_read2_b64 v[136:139], v155 offset1:1
	v_cmp_lt_u32_e32 vcc, 28, v154
	s_waitcnt lgkmcnt(0)
	scratch_store_dwordx4 off, v[136:139], off offset:360 ; 16-byte Folded Spill
	s_and_saveexec_b64 s[2:3], vcc
	s_cbranch_execz .LBB67_262
; %bb.261:
	scratch_load_dwordx4 v[136:139], off, off offset:360 ; 16-byte Folded Reload
	s_waitcnt vmcnt(0)
	v_mul_f64 v[140:141], v[136:137], v[18:19]
	v_mul_f64 v[18:19], v[138:139], v[18:19]
	v_fmac_f64_e32 v[140:141], v[138:139], v[16:17]
	v_fma_f64 v[16:17], v[136:137], v[16:17], -v[18:19]
	ds_read2_b64 v[136:139], v156 offset0:58 offset1:59
	s_waitcnt lgkmcnt(0)
	v_mul_f64 v[18:19], v[138:139], v[140:141]
	v_fma_f64 v[18:19], v[136:137], v[16:17], -v[18:19]
	v_mul_f64 v[136:137], v[136:137], v[140:141]
	v_fmac_f64_e32 v[136:137], v[138:139], v[16:17]
	v_add_f64 v[14:15], v[14:15], -v[136:137]
	ds_read2_b64 v[136:139], v156 offset0:60 offset1:61
	v_add_f64 v[12:13], v[12:13], -v[18:19]
	s_waitcnt lgkmcnt(0)
	v_mul_f64 v[18:19], v[138:139], v[140:141]
	v_fma_f64 v[18:19], v[136:137], v[16:17], -v[18:19]
	v_mul_f64 v[136:137], v[136:137], v[140:141]
	v_fmac_f64_e32 v[136:137], v[138:139], v[16:17]
	v_add_f64 v[10:11], v[10:11], -v[136:137]
	ds_read2_b64 v[136:139], v156 offset0:62 offset1:63
	v_add_f64 v[8:9], v[8:9], -v[18:19]
	;; [unrolled: 8-line block ×4, first 2 shown]
	s_waitcnt lgkmcnt(0)
	v_mul_f64 v[18:19], v[138:139], v[140:141]
	v_fma_f64 v[18:19], v[136:137], v[16:17], -v[18:19]
	v_mul_f64 v[136:137], v[136:137], v[140:141]
	v_fmac_f64_e32 v[136:137], v[138:139], v[16:17]
	v_add_f64 v[132:133], v[132:133], -v[18:19]
	v_add_f64 v[134:135], v[134:135], -v[136:137]
	v_mov_b64_e32 v[18:19], v[140:141]
.LBB67_262:
	s_or_b64 exec, exec, s[2:3]
	v_cmp_eq_u32_e32 vcc, 29, v154
	s_barrier
	s_and_saveexec_b64 s[4:5], vcc
	s_cbranch_execz .LBB67_269
; %bb.263:
	s_waitcnt vmcnt(27)
	ds_write2_b64 v155, v[12:13], v[14:15] offset1:1
	s_waitcnt vmcnt(26)
	ds_write2_b64 v156, v[8:9], v[10:11] offset0:60 offset1:61
	s_waitcnt vmcnt(25)
	ds_write2_b64 v156, v[4:5], v[6:7] offset0:62 offset1:63
	;; [unrolled: 2-line block ×4, first 2 shown]
	ds_read2_b64 v[136:139], v155 offset1:1
	s_waitcnt lgkmcnt(0)
	v_cmp_neq_f64_e32 vcc, 0, v[136:137]
	v_cmp_neq_f64_e64 s[2:3], 0, v[138:139]
	s_or_b64 s[2:3], vcc, s[2:3]
	s_and_b64 exec, exec, s[2:3]
	s_cbranch_execz .LBB67_269
; %bb.264:
	v_cmp_ngt_f64_e64 s[2:3], |v[136:137]|, |v[138:139]|
                                        ; implicit-def: $vgpr140_vgpr141
	s_and_saveexec_b64 s[10:11], s[2:3]
	s_xor_b64 s[2:3], exec, s[10:11]
                                        ; implicit-def: $vgpr142_vgpr143
	s_cbranch_execz .LBB67_266
; %bb.265:
	v_div_scale_f64 v[140:141], s[10:11], v[138:139], v[138:139], v[136:137]
	v_rcp_f64_e32 v[142:143], v[140:141]
	v_div_scale_f64 v[144:145], vcc, v[136:137], v[138:139], v[136:137]
	v_fma_f64 v[146:147], -v[140:141], v[142:143], 1.0
	v_fmac_f64_e32 v[142:143], v[142:143], v[146:147]
	v_fma_f64 v[146:147], -v[140:141], v[142:143], 1.0
	v_fmac_f64_e32 v[142:143], v[142:143], v[146:147]
	v_mul_f64 v[146:147], v[144:145], v[142:143]
	v_fma_f64 v[140:141], -v[140:141], v[146:147], v[144:145]
	v_div_fmas_f64 v[140:141], v[140:141], v[142:143], v[146:147]
	v_div_fixup_f64 v[140:141], v[140:141], v[138:139], v[136:137]
	v_fmac_f64_e32 v[138:139], v[136:137], v[140:141]
	v_div_scale_f64 v[136:137], s[10:11], v[138:139], v[138:139], 1.0
	v_rcp_f64_e32 v[142:143], v[136:137]
	s_nop 0
	v_fma_f64 v[144:145], -v[136:137], v[142:143], 1.0
	v_fmac_f64_e32 v[142:143], v[142:143], v[144:145]
	v_fma_f64 v[144:145], -v[136:137], v[142:143], 1.0
	v_fmac_f64_e32 v[142:143], v[142:143], v[144:145]
	v_div_scale_f64 v[144:145], vcc, 1.0, v[138:139], 1.0
	v_mul_f64 v[146:147], v[144:145], v[142:143]
	v_fma_f64 v[136:137], -v[136:137], v[146:147], v[144:145]
	s_nop 1
	v_div_fmas_f64 v[136:137], v[136:137], v[142:143], v[146:147]
	v_div_fixup_f64 v[142:143], v[136:137], v[138:139], 1.0
	v_mul_f64 v[140:141], v[140:141], v[142:143]
	v_xor_b32_e32 v143, 0x80000000, v143
                                        ; implicit-def: $vgpr136_vgpr137
.LBB67_266:
	s_andn2_saveexec_b64 s[2:3], s[2:3]
	s_cbranch_execz .LBB67_268
; %bb.267:
	v_div_scale_f64 v[140:141], s[10:11], v[136:137], v[136:137], v[138:139]
	v_rcp_f64_e32 v[142:143], v[140:141]
	v_div_scale_f64 v[144:145], vcc, v[138:139], v[136:137], v[138:139]
	v_fma_f64 v[146:147], -v[140:141], v[142:143], 1.0
	v_fmac_f64_e32 v[142:143], v[142:143], v[146:147]
	v_fma_f64 v[146:147], -v[140:141], v[142:143], 1.0
	v_fmac_f64_e32 v[142:143], v[142:143], v[146:147]
	v_mul_f64 v[146:147], v[144:145], v[142:143]
	v_fma_f64 v[140:141], -v[140:141], v[146:147], v[144:145]
	v_div_fmas_f64 v[140:141], v[140:141], v[142:143], v[146:147]
	v_div_fixup_f64 v[142:143], v[140:141], v[136:137], v[138:139]
	v_fmac_f64_e32 v[136:137], v[138:139], v[142:143]
	v_div_scale_f64 v[138:139], s[10:11], v[136:137], v[136:137], 1.0
	v_rcp_f64_e32 v[140:141], v[138:139]
	s_nop 0
	v_fma_f64 v[144:145], -v[138:139], v[140:141], 1.0
	v_fmac_f64_e32 v[140:141], v[140:141], v[144:145]
	v_fma_f64 v[144:145], -v[138:139], v[140:141], 1.0
	v_fmac_f64_e32 v[140:141], v[140:141], v[144:145]
	v_div_scale_f64 v[144:145], vcc, 1.0, v[136:137], 1.0
	v_mul_f64 v[146:147], v[144:145], v[140:141]
	v_fma_f64 v[138:139], -v[138:139], v[146:147], v[144:145]
	s_nop 1
	v_div_fmas_f64 v[138:139], v[138:139], v[140:141], v[146:147]
	v_div_fixup_f64 v[140:141], v[138:139], v[136:137], 1.0
	v_mul_f64 v[142:143], v[142:143], -v[140:141]
.LBB67_268:
	s_or_b64 exec, exec, s[2:3]
	ds_write2_b64 v155, v[140:141], v[142:143] offset1:1
.LBB67_269:
	s_or_b64 exec, exec, s[4:5]
	s_waitcnt lgkmcnt(0)
	s_barrier
	ds_read2_b64 v[252:255], v155 offset1:1
	v_cmp_lt_u32_e32 vcc, 29, v154
	s_and_saveexec_b64 s[2:3], vcc
	s_cbranch_execz .LBB67_271
; %bb.270:
	ds_read2_b64 v[136:139], v156 offset0:60 offset1:61
	s_waitcnt vmcnt(27) lgkmcnt(1)
	v_mul_f64 v[140:141], v[252:253], v[14:15]
	v_fmac_f64_e32 v[140:141], v[254:255], v[12:13]
	v_mul_f64 v[14:15], v[254:255], v[14:15]
	v_fma_f64 v[12:13], v[252:253], v[12:13], -v[14:15]
	s_waitcnt lgkmcnt(0)
	v_mul_f64 v[14:15], v[138:139], v[140:141]
	v_fma_f64 v[14:15], v[136:137], v[12:13], -v[14:15]
	v_mul_f64 v[136:137], v[136:137], v[140:141]
	v_fmac_f64_e32 v[136:137], v[138:139], v[12:13]
	s_waitcnt vmcnt(26)
	v_add_f64 v[10:11], v[10:11], -v[136:137]
	ds_read2_b64 v[136:139], v156 offset0:62 offset1:63
	v_add_f64 v[8:9], v[8:9], -v[14:15]
	s_waitcnt lgkmcnt(0)
	v_mul_f64 v[14:15], v[138:139], v[140:141]
	v_fma_f64 v[14:15], v[136:137], v[12:13], -v[14:15]
	v_mul_f64 v[136:137], v[136:137], v[140:141]
	v_fmac_f64_e32 v[136:137], v[138:139], v[12:13]
	s_waitcnt vmcnt(25)
	v_add_f64 v[6:7], v[6:7], -v[136:137]
	ds_read2_b64 v[136:139], v156 offset0:64 offset1:65
	v_add_f64 v[4:5], v[4:5], -v[14:15]
	;; [unrolled: 9-line block ×3, first 2 shown]
	s_waitcnt lgkmcnt(0)
	v_mul_f64 v[14:15], v[138:139], v[140:141]
	v_fma_f64 v[14:15], v[136:137], v[12:13], -v[14:15]
	v_mul_f64 v[136:137], v[136:137], v[140:141]
	v_fmac_f64_e32 v[136:137], v[138:139], v[12:13]
	s_waitcnt vmcnt(23)
	v_add_f64 v[132:133], v[132:133], -v[14:15]
	v_add_f64 v[134:135], v[134:135], -v[136:137]
	v_mov_b64_e32 v[14:15], v[140:141]
.LBB67_271:
	s_or_b64 exec, exec, s[2:3]
	v_cmp_eq_u32_e32 vcc, 30, v154
	s_waitcnt lgkmcnt(0)
	s_barrier
	s_and_saveexec_b64 s[4:5], vcc
	s_cbranch_execz .LBB67_278
; %bb.272:
	s_waitcnt vmcnt(26)
	ds_write2_b64 v155, v[8:9], v[10:11] offset1:1
	s_waitcnt vmcnt(25)
	ds_write2_b64 v156, v[4:5], v[6:7] offset0:62 offset1:63
	s_waitcnt vmcnt(24)
	ds_write2_b64 v156, v[0:1], v[2:3] offset0:64 offset1:65
	;; [unrolled: 2-line block ×3, first 2 shown]
	ds_read2_b64 v[136:139], v155 offset1:1
	s_waitcnt lgkmcnt(0)
	v_cmp_neq_f64_e32 vcc, 0, v[136:137]
	v_cmp_neq_f64_e64 s[2:3], 0, v[138:139]
	s_or_b64 s[2:3], vcc, s[2:3]
	s_and_b64 exec, exec, s[2:3]
	s_cbranch_execz .LBB67_278
; %bb.273:
	v_cmp_ngt_f64_e64 s[2:3], |v[136:137]|, |v[138:139]|
                                        ; implicit-def: $vgpr140_vgpr141
	s_and_saveexec_b64 s[10:11], s[2:3]
	s_xor_b64 s[2:3], exec, s[10:11]
                                        ; implicit-def: $vgpr142_vgpr143
	s_cbranch_execz .LBB67_275
; %bb.274:
	v_div_scale_f64 v[140:141], s[10:11], v[138:139], v[138:139], v[136:137]
	v_rcp_f64_e32 v[142:143], v[140:141]
	v_div_scale_f64 v[144:145], vcc, v[136:137], v[138:139], v[136:137]
	v_fma_f64 v[146:147], -v[140:141], v[142:143], 1.0
	v_fmac_f64_e32 v[142:143], v[142:143], v[146:147]
	v_fma_f64 v[146:147], -v[140:141], v[142:143], 1.0
	v_fmac_f64_e32 v[142:143], v[142:143], v[146:147]
	v_mul_f64 v[146:147], v[144:145], v[142:143]
	v_fma_f64 v[140:141], -v[140:141], v[146:147], v[144:145]
	v_div_fmas_f64 v[140:141], v[140:141], v[142:143], v[146:147]
	v_div_fixup_f64 v[140:141], v[140:141], v[138:139], v[136:137]
	v_fmac_f64_e32 v[138:139], v[136:137], v[140:141]
	v_div_scale_f64 v[136:137], s[10:11], v[138:139], v[138:139], 1.0
	v_rcp_f64_e32 v[142:143], v[136:137]
	s_nop 0
	v_fma_f64 v[144:145], -v[136:137], v[142:143], 1.0
	v_fmac_f64_e32 v[142:143], v[142:143], v[144:145]
	v_fma_f64 v[144:145], -v[136:137], v[142:143], 1.0
	v_fmac_f64_e32 v[142:143], v[142:143], v[144:145]
	v_div_scale_f64 v[144:145], vcc, 1.0, v[138:139], 1.0
	v_mul_f64 v[146:147], v[144:145], v[142:143]
	v_fma_f64 v[136:137], -v[136:137], v[146:147], v[144:145]
	s_nop 1
	v_div_fmas_f64 v[136:137], v[136:137], v[142:143], v[146:147]
	v_div_fixup_f64 v[142:143], v[136:137], v[138:139], 1.0
	v_mul_f64 v[140:141], v[140:141], v[142:143]
	v_xor_b32_e32 v143, 0x80000000, v143
                                        ; implicit-def: $vgpr136_vgpr137
.LBB67_275:
	s_andn2_saveexec_b64 s[2:3], s[2:3]
	s_cbranch_execz .LBB67_277
; %bb.276:
	v_div_scale_f64 v[140:141], s[10:11], v[136:137], v[136:137], v[138:139]
	v_rcp_f64_e32 v[142:143], v[140:141]
	v_div_scale_f64 v[144:145], vcc, v[138:139], v[136:137], v[138:139]
	v_fma_f64 v[146:147], -v[140:141], v[142:143], 1.0
	v_fmac_f64_e32 v[142:143], v[142:143], v[146:147]
	v_fma_f64 v[146:147], -v[140:141], v[142:143], 1.0
	v_fmac_f64_e32 v[142:143], v[142:143], v[146:147]
	v_mul_f64 v[146:147], v[144:145], v[142:143]
	v_fma_f64 v[140:141], -v[140:141], v[146:147], v[144:145]
	v_div_fmas_f64 v[140:141], v[140:141], v[142:143], v[146:147]
	v_div_fixup_f64 v[142:143], v[140:141], v[136:137], v[138:139]
	v_fmac_f64_e32 v[136:137], v[138:139], v[142:143]
	v_div_scale_f64 v[138:139], s[10:11], v[136:137], v[136:137], 1.0
	v_rcp_f64_e32 v[140:141], v[138:139]
	s_nop 0
	v_fma_f64 v[144:145], -v[138:139], v[140:141], 1.0
	v_fmac_f64_e32 v[140:141], v[140:141], v[144:145]
	v_fma_f64 v[144:145], -v[138:139], v[140:141], 1.0
	v_fmac_f64_e32 v[140:141], v[140:141], v[144:145]
	v_div_scale_f64 v[144:145], vcc, 1.0, v[136:137], 1.0
	v_mul_f64 v[146:147], v[144:145], v[140:141]
	v_fma_f64 v[138:139], -v[138:139], v[146:147], v[144:145]
	s_nop 1
	v_div_fmas_f64 v[138:139], v[138:139], v[140:141], v[146:147]
	v_div_fixup_f64 v[140:141], v[138:139], v[136:137], 1.0
	v_mul_f64 v[142:143], v[142:143], -v[140:141]
.LBB67_277:
	s_or_b64 exec, exec, s[2:3]
	ds_write2_b64 v155, v[140:141], v[142:143] offset1:1
.LBB67_278:
	s_or_b64 exec, exec, s[4:5]
	s_waitcnt lgkmcnt(0)
	s_barrier
	ds_read2_b64 v[136:139], v155 offset1:1
	v_cmp_lt_u32_e32 vcc, 30, v154
	s_and_saveexec_b64 s[2:3], vcc
	s_cbranch_execz .LBB67_280
; %bb.279:
	ds_read2_b64 v[140:143], v156 offset0:62 offset1:63
	s_waitcnt vmcnt(26) lgkmcnt(1)
	v_mul_f64 v[144:145], v[136:137], v[10:11]
	v_fmac_f64_e32 v[144:145], v[138:139], v[8:9]
	v_mul_f64 v[10:11], v[138:139], v[10:11]
	v_fma_f64 v[8:9], v[136:137], v[8:9], -v[10:11]
	s_waitcnt lgkmcnt(0)
	v_mul_f64 v[10:11], v[142:143], v[144:145]
	v_fma_f64 v[10:11], v[140:141], v[8:9], -v[10:11]
	v_mul_f64 v[140:141], v[140:141], v[144:145]
	v_fmac_f64_e32 v[140:141], v[142:143], v[8:9]
	s_waitcnt vmcnt(25)
	v_add_f64 v[6:7], v[6:7], -v[140:141]
	ds_read2_b64 v[140:143], v156 offset0:64 offset1:65
	v_add_f64 v[4:5], v[4:5], -v[10:11]
	s_waitcnt lgkmcnt(0)
	v_mul_f64 v[10:11], v[142:143], v[144:145]
	v_fma_f64 v[10:11], v[140:141], v[8:9], -v[10:11]
	v_mul_f64 v[140:141], v[140:141], v[144:145]
	v_fmac_f64_e32 v[140:141], v[142:143], v[8:9]
	s_waitcnt vmcnt(24)
	v_add_f64 v[2:3], v[2:3], -v[140:141]
	ds_read2_b64 v[140:143], v156 offset0:66 offset1:67
	v_add_f64 v[0:1], v[0:1], -v[10:11]
	s_waitcnt lgkmcnt(0)
	v_mul_f64 v[10:11], v[142:143], v[144:145]
	v_fma_f64 v[10:11], v[140:141], v[8:9], -v[10:11]
	v_mul_f64 v[140:141], v[140:141], v[144:145]
	v_fmac_f64_e32 v[140:141], v[142:143], v[8:9]
	s_waitcnt vmcnt(23)
	v_add_f64 v[132:133], v[132:133], -v[10:11]
	v_add_f64 v[134:135], v[134:135], -v[140:141]
	v_mov_b64_e32 v[10:11], v[144:145]
.LBB67_280:
	s_or_b64 exec, exec, s[2:3]
	v_cmp_eq_u32_e32 vcc, 31, v154
	s_waitcnt lgkmcnt(0)
	s_barrier
	s_and_saveexec_b64 s[4:5], vcc
	s_cbranch_execz .LBB67_287
; %bb.281:
	s_waitcnt vmcnt(25)
	ds_write2_b64 v155, v[4:5], v[6:7] offset1:1
	s_waitcnt vmcnt(24)
	ds_write2_b64 v156, v[0:1], v[2:3] offset0:64 offset1:65
	s_waitcnt vmcnt(23)
	ds_write2_b64 v156, v[132:133], v[134:135] offset0:66 offset1:67
	ds_read2_b64 v[140:143], v155 offset1:1
	s_waitcnt lgkmcnt(0)
	v_cmp_neq_f64_e32 vcc, 0, v[140:141]
	v_cmp_neq_f64_e64 s[2:3], 0, v[142:143]
	s_or_b64 s[2:3], vcc, s[2:3]
	s_and_b64 exec, exec, s[2:3]
	s_cbranch_execz .LBB67_287
; %bb.282:
	v_cmp_ngt_f64_e64 s[2:3], |v[140:141]|, |v[142:143]|
                                        ; implicit-def: $vgpr144_vgpr145
	s_and_saveexec_b64 s[10:11], s[2:3]
	s_xor_b64 s[2:3], exec, s[10:11]
                                        ; implicit-def: $vgpr146_vgpr147
	s_cbranch_execz .LBB67_284
; %bb.283:
	v_div_scale_f64 v[144:145], s[10:11], v[142:143], v[142:143], v[140:141]
	v_rcp_f64_e32 v[146:147], v[144:145]
	v_div_scale_f64 v[148:149], vcc, v[140:141], v[142:143], v[140:141]
	v_fma_f64 v[150:151], -v[144:145], v[146:147], 1.0
	v_fmac_f64_e32 v[146:147], v[146:147], v[150:151]
	v_fma_f64 v[150:151], -v[144:145], v[146:147], 1.0
	v_fmac_f64_e32 v[146:147], v[146:147], v[150:151]
	v_mul_f64 v[150:151], v[148:149], v[146:147]
	v_fma_f64 v[144:145], -v[144:145], v[150:151], v[148:149]
	v_div_fmas_f64 v[144:145], v[144:145], v[146:147], v[150:151]
	v_div_fixup_f64 v[144:145], v[144:145], v[142:143], v[140:141]
	v_fmac_f64_e32 v[142:143], v[140:141], v[144:145]
	v_div_scale_f64 v[140:141], s[10:11], v[142:143], v[142:143], 1.0
	v_rcp_f64_e32 v[146:147], v[140:141]
	s_nop 0
	v_fma_f64 v[148:149], -v[140:141], v[146:147], 1.0
	v_fmac_f64_e32 v[146:147], v[146:147], v[148:149]
	v_fma_f64 v[148:149], -v[140:141], v[146:147], 1.0
	v_fmac_f64_e32 v[146:147], v[146:147], v[148:149]
	v_div_scale_f64 v[148:149], vcc, 1.0, v[142:143], 1.0
	v_mul_f64 v[150:151], v[148:149], v[146:147]
	v_fma_f64 v[140:141], -v[140:141], v[150:151], v[148:149]
	s_nop 1
	v_div_fmas_f64 v[140:141], v[140:141], v[146:147], v[150:151]
	v_div_fixup_f64 v[146:147], v[140:141], v[142:143], 1.0
	v_mul_f64 v[144:145], v[144:145], v[146:147]
	v_xor_b32_e32 v147, 0x80000000, v147
                                        ; implicit-def: $vgpr140_vgpr141
.LBB67_284:
	s_andn2_saveexec_b64 s[2:3], s[2:3]
	s_cbranch_execz .LBB67_286
; %bb.285:
	v_div_scale_f64 v[144:145], s[10:11], v[140:141], v[140:141], v[142:143]
	v_rcp_f64_e32 v[146:147], v[144:145]
	v_div_scale_f64 v[148:149], vcc, v[142:143], v[140:141], v[142:143]
	v_fma_f64 v[150:151], -v[144:145], v[146:147], 1.0
	v_fmac_f64_e32 v[146:147], v[146:147], v[150:151]
	v_fma_f64 v[150:151], -v[144:145], v[146:147], 1.0
	v_fmac_f64_e32 v[146:147], v[146:147], v[150:151]
	v_mul_f64 v[150:151], v[148:149], v[146:147]
	v_fma_f64 v[144:145], -v[144:145], v[150:151], v[148:149]
	v_div_fmas_f64 v[144:145], v[144:145], v[146:147], v[150:151]
	v_div_fixup_f64 v[146:147], v[144:145], v[140:141], v[142:143]
	v_fmac_f64_e32 v[140:141], v[142:143], v[146:147]
	v_div_scale_f64 v[142:143], s[10:11], v[140:141], v[140:141], 1.0
	v_rcp_f64_e32 v[144:145], v[142:143]
	s_nop 0
	v_fma_f64 v[148:149], -v[142:143], v[144:145], 1.0
	v_fmac_f64_e32 v[144:145], v[144:145], v[148:149]
	v_fma_f64 v[148:149], -v[142:143], v[144:145], 1.0
	v_fmac_f64_e32 v[144:145], v[144:145], v[148:149]
	v_div_scale_f64 v[148:149], vcc, 1.0, v[140:141], 1.0
	v_mul_f64 v[150:151], v[148:149], v[144:145]
	v_fma_f64 v[142:143], -v[142:143], v[150:151], v[148:149]
	s_nop 1
	v_div_fmas_f64 v[142:143], v[142:143], v[144:145], v[150:151]
	v_div_fixup_f64 v[144:145], v[142:143], v[140:141], 1.0
	v_mul_f64 v[146:147], v[146:147], -v[144:145]
.LBB67_286:
	s_or_b64 exec, exec, s[2:3]
	ds_write2_b64 v155, v[144:145], v[146:147] offset1:1
.LBB67_287:
	s_or_b64 exec, exec, s[4:5]
	s_waitcnt lgkmcnt(0)
	s_barrier
	ds_read2_b64 v[140:143], v155 offset1:1
	v_cmp_lt_u32_e32 vcc, 31, v154
	s_and_saveexec_b64 s[2:3], vcc
	s_cbranch_execz .LBB67_289
; %bb.288:
	ds_read2_b64 v[144:147], v156 offset0:64 offset1:65
	s_waitcnt vmcnt(25) lgkmcnt(1)
	v_mul_f64 v[148:149], v[140:141], v[6:7]
	v_fmac_f64_e32 v[148:149], v[142:143], v[4:5]
	v_mul_f64 v[6:7], v[142:143], v[6:7]
	v_fma_f64 v[4:5], v[140:141], v[4:5], -v[6:7]
	s_waitcnt lgkmcnt(0)
	v_mul_f64 v[6:7], v[146:147], v[148:149]
	v_fma_f64 v[6:7], v[144:145], v[4:5], -v[6:7]
	v_mul_f64 v[144:145], v[144:145], v[148:149]
	v_fmac_f64_e32 v[144:145], v[146:147], v[4:5]
	s_waitcnt vmcnt(24)
	v_add_f64 v[2:3], v[2:3], -v[144:145]
	ds_read2_b64 v[144:147], v156 offset0:66 offset1:67
	v_add_f64 v[0:1], v[0:1], -v[6:7]
	s_waitcnt lgkmcnt(0)
	v_mul_f64 v[6:7], v[146:147], v[148:149]
	v_fma_f64 v[6:7], v[144:145], v[4:5], -v[6:7]
	v_mul_f64 v[144:145], v[144:145], v[148:149]
	v_fmac_f64_e32 v[144:145], v[146:147], v[4:5]
	s_waitcnt vmcnt(23)
	v_add_f64 v[132:133], v[132:133], -v[6:7]
	v_add_f64 v[134:135], v[134:135], -v[144:145]
	v_mov_b64_e32 v[6:7], v[148:149]
.LBB67_289:
	s_or_b64 exec, exec, s[2:3]
	v_cmp_eq_u32_e32 vcc, 32, v154
	s_waitcnt lgkmcnt(0)
	s_barrier
	s_and_saveexec_b64 s[4:5], vcc
	s_cbranch_execz .LBB67_296
; %bb.290:
	s_waitcnt vmcnt(24)
	ds_write2_b64 v155, v[0:1], v[2:3] offset1:1
	s_waitcnt vmcnt(23)
	ds_write2_b64 v156, v[132:133], v[134:135] offset0:66 offset1:67
	ds_read2_b64 v[144:147], v155 offset1:1
	s_waitcnt lgkmcnt(0)
	v_cmp_neq_f64_e32 vcc, 0, v[144:145]
	v_cmp_neq_f64_e64 s[2:3], 0, v[146:147]
	s_or_b64 s[2:3], vcc, s[2:3]
	s_and_b64 exec, exec, s[2:3]
	s_cbranch_execz .LBB67_296
; %bb.291:
	v_cmp_ngt_f64_e64 s[2:3], |v[144:145]|, |v[146:147]|
                                        ; implicit-def: $vgpr148_vgpr149
	s_and_saveexec_b64 s[10:11], s[2:3]
	s_xor_b64 s[2:3], exec, s[10:11]
                                        ; implicit-def: $vgpr150_vgpr151
	s_cbranch_execz .LBB67_293
; %bb.292:
	v_mov_b64_e32 v[166:167], v[250:251]
	v_mov_b64_e32 v[250:251], v[42:43]
	v_mov_b64_e32 v[248:249], v[40:41]
	v_mov_b64_e32 v[40:41], v[44:45]
	v_mov_b64_e32 v[42:43], v[46:47]
	v_mov_b64_e32 v[44:45], v[48:49]
	v_mov_b64_e32 v[46:47], v[50:51]
	v_mov_b64_e32 v[48:49], v[52:53]
	v_mov_b64_e32 v[50:51], v[54:55]
	v_mov_b64_e32 v[52:53], v[56:57]
	v_mov_b64_e32 v[54:55], v[58:59]
	v_mov_b64_e32 v[56:57], v[60:61]
	v_mov_b64_e32 v[58:59], v[62:63]
	v_mov_b64_e32 v[60:61], v[64:65]
	v_mov_b64_e32 v[62:63], v[66:67]
	v_mov_b64_e32 v[64:65], v[244:245]
	v_mov_b64_e32 v[66:67], v[246:247]
	v_mov_b64_e32 v[246:247], v[70:71]
	v_mov_b64_e32 v[244:245], v[68:69]
	v_mov_b64_e32 v[68:69], v[72:73]
	v_mov_b64_e32 v[70:71], v[74:75]
	v_mov_b64_e32 v[72:73], v[76:77]
	v_mov_b64_e32 v[74:75], v[78:79]
	v_mov_b64_e32 v[76:77], v[80:81]
	v_mov_b64_e32 v[78:79], v[82:83]
	v_mov_b64_e32 v[80:81], v[84:85]
	v_mov_b64_e32 v[82:83], v[86:87]
	v_mov_b64_e32 v[84:85], v[88:89]
	v_mov_b64_e32 v[86:87], v[90:91]
	v_mov_b64_e32 v[88:89], v[92:93]
	v_mov_b64_e32 v[90:91], v[94:95]
	v_mov_b64_e32 v[92:93], v[96:97]
	v_mov_b64_e32 v[94:95], v[98:99]
	v_mov_b64_e32 v[96:97], v[100:101]
	v_mov_b64_e32 v[98:99], v[102:103]
	v_mov_b64_e32 v[100:101], v[240:241]
	v_mov_b64_e32 v[102:103], v[242:243]
	v_mov_b64_e32 v[242:243], v[106:107]
	v_mov_b64_e32 v[240:241], v[104:105]
	v_mov_b64_e32 v[104:105], v[108:109]
	v_mov_b64_e32 v[106:107], v[110:111]
	v_mov_b64_e32 v[108:109], v[112:113]
	v_mov_b64_e32 v[110:111], v[114:115]
	v_mov_b64_e32 v[112:113], v[116:117]
	v_mov_b64_e32 v[114:115], v[118:119]
	v_mov_b64_e32 v[116:117], v[120:121]
	v_mov_b64_e32 v[118:119], v[122:123]
	v_mov_b64_e32 v[120:121], v[124:125]
	v_div_scale_f64 v[148:149], s[10:11], v[146:147], v[146:147], v[144:145]
	v_mov_b64_e32 v[122:123], v[126:127]
	v_mov_b64_e32 v[124:125], v[236:237]
	v_rcp_f64_e32 v[150:151], v[148:149]
	v_mov_b64_e32 v[126:127], v[238:239]
	v_mov_b64_e32 v[238:239], v[130:131]
	;; [unrolled: 1-line block ×9, first 2 shown]
	v_fma_f64 v[160:161], -v[148:149], v[150:151], 1.0
	v_fmac_f64_e32 v[150:151], v[150:151], v[160:161]
	v_fma_f64 v[160:161], -v[148:149], v[150:151], 1.0
	v_div_scale_f64 v[158:159], vcc, v[144:145], v[146:147], v[144:145]
	v_fmac_f64_e32 v[150:151], v[150:151], v[160:161]
	v_mul_f64 v[160:161], v[158:159], v[150:151]
	v_fma_f64 v[148:149], -v[148:149], v[160:161], v[158:159]
	s_nop 0
	v_div_fmas_f64 v[148:149], v[148:149], v[150:151], v[160:161]
	v_div_fixup_f64 v[148:149], v[148:149], v[146:147], v[144:145]
	v_fmac_f64_e32 v[146:147], v[144:145], v[148:149]
	v_div_scale_f64 v[144:145], s[10:11], v[146:147], v[146:147], 1.0
	v_rcp_f64_e32 v[150:151], v[144:145]
	s_nop 0
	v_fma_f64 v[158:159], -v[144:145], v[150:151], 1.0
	v_fmac_f64_e32 v[150:151], v[150:151], v[158:159]
	v_fma_f64 v[158:159], -v[144:145], v[150:151], 1.0
	v_fmac_f64_e32 v[150:151], v[150:151], v[158:159]
	v_div_scale_f64 v[158:159], vcc, 1.0, v[146:147], 1.0
	v_mul_f64 v[160:161], v[158:159], v[150:151]
	v_fma_f64 v[144:145], -v[144:145], v[160:161], v[158:159]
	s_nop 1
	v_div_fmas_f64 v[144:145], v[144:145], v[150:151], v[160:161]
	v_mov_b64_e32 v[158:159], v[228:229]
	v_mov_b64_e32 v[160:161], v[230:231]
	;; [unrolled: 1-line block ×57, first 2 shown]
	v_div_fixup_f64 v[150:151], v[144:145], v[146:147], 1.0
	v_mov_b64_e32 v[42:43], v[250:251]
	v_mov_b64_e32 v[250:251], v[166:167]
	v_mul_f64 v[148:149], v[148:149], v[150:151]
	v_xor_b32_e32 v151, 0x80000000, v151
                                        ; implicit-def: $vgpr144_vgpr145
.LBB67_293:
	s_andn2_saveexec_b64 s[2:3], s[2:3]
	s_cbranch_execz .LBB67_295
; %bb.294:
	v_mov_b64_e32 v[166:167], v[250:251]
	v_mov_b64_e32 v[250:251], v[42:43]
	;; [unrolled: 1-line block ×48, first 2 shown]
	v_div_scale_f64 v[148:149], s[10:11], v[144:145], v[144:145], v[146:147]
	v_mov_b64_e32 v[122:123], v[126:127]
	v_mov_b64_e32 v[124:125], v[236:237]
	v_rcp_f64_e32 v[150:151], v[148:149]
	v_mov_b64_e32 v[126:127], v[238:239]
	v_mov_b64_e32 v[238:239], v[130:131]
	;; [unrolled: 1-line block ×9, first 2 shown]
	v_fma_f64 v[160:161], -v[148:149], v[150:151], 1.0
	v_fmac_f64_e32 v[150:151], v[150:151], v[160:161]
	v_fma_f64 v[160:161], -v[148:149], v[150:151], 1.0
	v_div_scale_f64 v[158:159], vcc, v[146:147], v[144:145], v[146:147]
	v_fmac_f64_e32 v[150:151], v[150:151], v[160:161]
	v_mul_f64 v[160:161], v[158:159], v[150:151]
	v_fma_f64 v[148:149], -v[148:149], v[160:161], v[158:159]
	s_nop 0
	v_div_fmas_f64 v[148:149], v[148:149], v[150:151], v[160:161]
	v_div_fixup_f64 v[150:151], v[148:149], v[144:145], v[146:147]
	v_fmac_f64_e32 v[144:145], v[146:147], v[150:151]
	v_div_scale_f64 v[146:147], s[10:11], v[144:145], v[144:145], 1.0
	v_rcp_f64_e32 v[148:149], v[146:147]
	s_nop 0
	v_fma_f64 v[158:159], -v[146:147], v[148:149], 1.0
	v_fmac_f64_e32 v[148:149], v[148:149], v[158:159]
	v_fma_f64 v[158:159], -v[146:147], v[148:149], 1.0
	v_fmac_f64_e32 v[148:149], v[148:149], v[158:159]
	v_div_scale_f64 v[158:159], vcc, 1.0, v[144:145], 1.0
	v_mul_f64 v[160:161], v[158:159], v[148:149]
	v_fma_f64 v[146:147], -v[146:147], v[160:161], v[158:159]
	s_nop 1
	v_div_fmas_f64 v[146:147], v[146:147], v[148:149], v[160:161]
	v_mov_b64_e32 v[158:159], v[228:229]
	v_mov_b64_e32 v[160:161], v[230:231]
	;; [unrolled: 1-line block ×57, first 2 shown]
	v_div_fixup_f64 v[148:149], v[146:147], v[144:145], 1.0
	v_mov_b64_e32 v[42:43], v[250:251]
	v_mov_b64_e32 v[250:251], v[166:167]
	v_mul_f64 v[150:151], v[150:151], -v[148:149]
.LBB67_295:
	s_or_b64 exec, exec, s[2:3]
	ds_write2_b64 v155, v[148:149], v[150:151] offset1:1
.LBB67_296:
	s_or_b64 exec, exec, s[4:5]
	s_waitcnt lgkmcnt(0)
	s_barrier
	ds_read2_b64 v[144:147], v155 offset1:1
	v_cmp_lt_u32_e32 vcc, 32, v154
	s_and_saveexec_b64 s[2:3], vcc
	s_cbranch_execz .LBB67_298
; %bb.297:
	ds_read2_b64 v[148:151], v156 offset0:66 offset1:67
	s_waitcnt vmcnt(24) lgkmcnt(1)
	v_mul_f64 v[156:157], v[144:145], v[2:3]
	v_mul_f64 v[2:3], v[146:147], v[2:3]
	v_fmac_f64_e32 v[156:157], v[146:147], v[0:1]
	v_fma_f64 v[0:1], v[144:145], v[0:1], -v[2:3]
	s_waitcnt lgkmcnt(0)
	v_mul_f64 v[2:3], v[150:151], v[156:157]
	v_fma_f64 v[2:3], v[148:149], v[0:1], -v[2:3]
	v_mul_f64 v[148:149], v[148:149], v[156:157]
	v_fmac_f64_e32 v[148:149], v[150:151], v[0:1]
	s_waitcnt vmcnt(23)
	v_add_f64 v[132:133], v[132:133], -v[2:3]
	v_add_f64 v[134:135], v[134:135], -v[148:149]
	v_mov_b64_e32 v[2:3], v[156:157]
.LBB67_298:
	s_or_b64 exec, exec, s[2:3]
	v_cmp_eq_u32_e32 vcc, 33, v154
	s_waitcnt lgkmcnt(0)
	s_barrier
	s_and_saveexec_b64 s[4:5], vcc
	s_cbranch_execz .LBB67_305
; %bb.299:
	s_waitcnt vmcnt(23)
	v_cmp_neq_f64_e32 vcc, 0, v[132:133]
	v_cmp_neq_f64_e64 s[2:3], 0, v[134:135]
	s_or_b64 s[2:3], vcc, s[2:3]
	ds_write2_b64 v155, v[132:133], v[134:135] offset1:1
	s_and_b64 exec, exec, s[2:3]
	s_cbranch_execz .LBB67_305
; %bb.300:
	v_cmp_ngt_f64_e64 s[2:3], |v[132:133]|, |v[134:135]|
                                        ; implicit-def: $vgpr148_vgpr149
	s_mov_b64 s[10:11], exec
	s_and_b64 s[12:13], s[10:11], s[2:3]
	s_xor_b64 s[2:3], s[12:13], s[10:11]
                                        ; implicit-def: $vgpr150_vgpr151
	scratch_store_dwordx4 off, v[40:43], off offset:376 ; 16-byte Folded Spill
	s_mov_b64 exec, s[12:13]
	s_cbranch_execz .LBB67_302
; %bb.301:
	v_mov_b64_e32 v[40:41], v[44:45]
	v_mov_b64_e32 v[42:43], v[46:47]
	;; [unrolled: 1-line block ×45, first 2 shown]
	v_div_scale_f64 v[148:149], s[10:11], v[134:135], v[134:135], v[132:133]
	v_mov_b64_e32 v[122:123], v[126:127]
	v_mov_b64_e32 v[124:125], v[236:237]
	v_rcp_f64_e32 v[150:151], v[148:149]
	v_mov_b64_e32 v[126:127], v[238:239]
	v_mov_b64_e32 v[240:241], v[130:131]
	;; [unrolled: 1-line block ×9, first 2 shown]
	v_fma_f64 v[158:159], -v[148:149], v[150:151], 1.0
	v_fmac_f64_e32 v[150:151], v[150:151], v[158:159]
	v_fma_f64 v[158:159], -v[148:149], v[150:151], 1.0
	v_div_scale_f64 v[156:157], vcc, v[132:133], v[134:135], v[132:133]
	v_fmac_f64_e32 v[150:151], v[150:151], v[158:159]
	v_mul_f64 v[158:159], v[156:157], v[150:151]
	v_fma_f64 v[148:149], -v[148:149], v[158:159], v[156:157]
	s_nop 0
	v_div_fmas_f64 v[148:149], v[148:149], v[150:151], v[158:159]
	v_div_fixup_f64 v[148:149], v[148:149], v[134:135], v[132:133]
	v_fma_f64 v[150:151], v[132:133], v[148:149], v[134:135]
	v_div_scale_f64 v[156:157], s[10:11], v[150:151], v[150:151], 1.0
	v_rcp_f64_e32 v[158:159], v[156:157]
	v_mov_b64_e32 v[166:167], v[164:165]
	v_mov_b64_e32 v[164:165], v[162:163]
	;; [unrolled: 1-line block ×3, first 2 shown]
	v_fma_f64 v[160:161], -v[156:157], v[158:159], 1.0
	v_fmac_f64_e32 v[158:159], v[158:159], v[160:161]
	v_fma_f64 v[160:161], -v[156:157], v[158:159], 1.0
	v_fmac_f64_e32 v[158:159], v[158:159], v[160:161]
	v_div_scale_f64 v[160:161], vcc, 1.0, v[150:151], 1.0
	v_mul_f64 v[162:163], v[160:161], v[158:159]
	v_fma_f64 v[156:157], -v[156:157], v[162:163], v[160:161]
	v_mov_b64_e32 v[226:227], v[224:225]
	v_mov_b64_e32 v[224:225], v[222:223]
	;; [unrolled: 1-line block ×28, first 2 shown]
	v_div_fmas_f64 v[156:157], v[156:157], v[158:159], v[162:163]
	v_mov_b64_e32 v[158:159], v[230:231]
	v_mov_b64_e32 v[160:161], v[232:233]
	;; [unrolled: 1-line block ×85, first 2 shown]
	scratch_load_dwordx4 v[40:43], off, off offset:376 ; 16-byte Folded Reload
	v_div_fixup_f64 v[150:151], v[156:157], v[150:151], 1.0
	v_mov_b64_e32 v[162:163], v[164:165]
	v_mov_b64_e32 v[164:165], v[166:167]
	v_mul_f64 v[148:149], v[148:149], v[150:151]
	v_xor_b32_e32 v151, 0x80000000, v151
.LBB67_302:
	s_andn2_saveexec_b64 s[2:3], s[2:3]
	s_cbranch_execz .LBB67_304
; %bb.303:
	s_waitcnt vmcnt(0)
	v_mov_b64_e32 v[40:41], v[44:45]
	v_mov_b64_e32 v[42:43], v[46:47]
	;; [unrolled: 1-line block ×45, first 2 shown]
	v_div_scale_f64 v[148:149], s[10:11], v[132:133], v[132:133], v[134:135]
	v_mov_b64_e32 v[122:123], v[126:127]
	v_mov_b64_e32 v[124:125], v[236:237]
	v_rcp_f64_e32 v[150:151], v[148:149]
	v_mov_b64_e32 v[126:127], v[238:239]
	v_mov_b64_e32 v[240:241], v[130:131]
	;; [unrolled: 1-line block ×9, first 2 shown]
	v_fma_f64 v[158:159], -v[148:149], v[150:151], 1.0
	v_fmac_f64_e32 v[150:151], v[150:151], v[158:159]
	v_fma_f64 v[158:159], -v[148:149], v[150:151], 1.0
	v_div_scale_f64 v[156:157], vcc, v[134:135], v[132:133], v[134:135]
	v_fmac_f64_e32 v[150:151], v[150:151], v[158:159]
	v_mul_f64 v[158:159], v[156:157], v[150:151]
	v_fma_f64 v[148:149], -v[148:149], v[158:159], v[156:157]
	s_nop 0
	v_div_fmas_f64 v[148:149], v[148:149], v[150:151], v[158:159]
	v_div_fixup_f64 v[150:151], v[148:149], v[132:133], v[134:135]
	v_fma_f64 v[148:149], v[134:135], v[150:151], v[132:133]
	v_div_scale_f64 v[156:157], s[10:11], v[148:149], v[148:149], 1.0
	v_rcp_f64_e32 v[158:159], v[156:157]
	v_mov_b64_e32 v[166:167], v[164:165]
	v_mov_b64_e32 v[164:165], v[162:163]
	;; [unrolled: 1-line block ×3, first 2 shown]
	v_fma_f64 v[160:161], -v[156:157], v[158:159], 1.0
	v_fmac_f64_e32 v[158:159], v[158:159], v[160:161]
	v_fma_f64 v[160:161], -v[156:157], v[158:159], 1.0
	v_fmac_f64_e32 v[158:159], v[158:159], v[160:161]
	v_div_scale_f64 v[160:161], vcc, 1.0, v[148:149], 1.0
	v_mul_f64 v[162:163], v[160:161], v[158:159]
	v_fma_f64 v[156:157], -v[156:157], v[162:163], v[160:161]
	v_mov_b64_e32 v[226:227], v[224:225]
	v_mov_b64_e32 v[224:225], v[222:223]
	;; [unrolled: 1-line block ×28, first 2 shown]
	v_div_fmas_f64 v[156:157], v[156:157], v[158:159], v[162:163]
	v_mov_b64_e32 v[158:159], v[230:231]
	v_mov_b64_e32 v[160:161], v[232:233]
	;; [unrolled: 1-line block ×85, first 2 shown]
	scratch_load_dwordx4 v[40:43], off, off offset:376 ; 16-byte Folded Reload
	v_div_fixup_f64 v[148:149], v[156:157], v[148:149], 1.0
	v_mov_b64_e32 v[162:163], v[164:165]
	v_mov_b64_e32 v[164:165], v[166:167]
	v_mul_f64 v[150:151], v[150:151], -v[148:149]
.LBB67_304:
	s_or_b64 exec, exec, s[2:3]
	ds_write2_b64 v155, v[148:149], v[150:151] offset1:1
.LBB67_305:
	s_or_b64 exec, exec, s[4:5]
	s_waitcnt lgkmcnt(0)
	s_barrier
	ds_read2_b64 v[148:151], v155 offset1:1
	s_waitcnt lgkmcnt(0)
	s_barrier
	s_and_saveexec_b64 s[2:3], s[0:1]
	s_cbranch_execz .LBB67_308
; %bb.306:
	v_cmp_eq_f64_e32 vcc, 0, v[158:159]
	scratch_load_dwordx4 v[156:159], off, off offset:8 ; 16-byte Folded Reload
	v_cmp_eq_f64_e64 s[0:1], 0, v[160:161]
	s_and_b64 s[4:5], vcc, s[0:1]
	v_cmp_neq_f64_e32 vcc, 0, v[228:229]
	v_cmp_neq_f64_e64 s[0:1], 0, v[230:231]
	s_or_b64 s[0:1], vcc, s[0:1]
	v_cndmask_b32_e64 v155, 0, 1, s[4:5]
	s_or_b64 vcc, s[0:1], s[4:5]
	v_cndmask_b32_e32 v155, 2, v155, vcc
	v_cmp_eq_f64_e32 vcc, 0, v[232:233]
	v_cmp_eq_f64_e64 s[0:1], 0, v[234:235]
	s_and_b64 s[0:1], vcc, s[0:1]
	v_cmp_eq_u32_e32 vcc, 0, v155
	s_and_b64 s[0:1], s[0:1], vcc
	v_cndmask_b32_e64 v155, v155, 3, s[0:1]
	v_cmp_eq_f64_e32 vcc, 0, v[236:237]
	v_cmp_eq_f64_e64 s[0:1], 0, v[238:239]
	s_and_b64 s[0:1], vcc, s[0:1]
	v_cmp_eq_u32_e32 vcc, 0, v155
	s_and_b64 s[0:1], s[0:1], vcc
	v_cndmask_b32_e64 v155, v155, 4, s[0:1]
	;; [unrolled: 6-line block ×4, first 2 shown]
	s_waitcnt vmcnt(0)
	v_cmp_eq_f64_e32 vcc, 0, v[156:157]
	v_cmp_eq_f64_e64 s[0:1], 0, v[158:159]
	scratch_load_dwordx4 v[156:159], off, off offset:24 ; 16-byte Folded Reload
	s_and_b64 s[0:1], vcc, s[0:1]
	v_cmp_eq_u32_e32 vcc, 0, v155
	s_and_b64 s[0:1], s[0:1], vcc
	v_cndmask_b32_e64 v155, v155, 7, s[0:1]
	s_waitcnt vmcnt(0)
	v_cmp_eq_f64_e32 vcc, 0, v[156:157]
	v_cmp_eq_f64_e64 s[0:1], 0, v[158:159]
	scratch_load_dwordx4 v[156:159], off, off offset:40 ; 16-byte Folded Reload
	s_and_b64 s[0:1], vcc, s[0:1]
	v_cmp_eq_u32_e32 vcc, 0, v155
	s_and_b64 s[0:1], s[0:1], vcc
	v_cndmask_b32_e64 v155, v155, 8, s[0:1]
	;; [unrolled: 8-line block ×14, first 2 shown]
	s_waitcnt vmcnt(0)
	v_cmp_eq_f64_e64 s[0:1], 0, v[158:159]
	scratch_load_dwordx4 v[158:161], off, off offset:248 ; 16-byte Folded Reload
	v_cmp_eq_f64_e32 vcc, 0, v[156:157]
	s_and_b64 s[0:1], vcc, s[0:1]
	v_cmp_eq_u32_e32 vcc, 0, v155
	s_and_b64 s[0:1], s[0:1], vcc
	v_cndmask_b32_e64 v155, v155, 21, s[0:1]
	v_mov_b32_e32 v156, s6
	v_mov_b32_e32 v157, s7
	v_lshl_add_u64 v[152:153], v[152:153], 2, v[156:157]
	global_load_dword v156, v[152:153], off
	s_waitcnt vmcnt(1)
	v_cmp_eq_f64_e32 vcc, 0, v[158:159]
	v_cmp_eq_f64_e64 s[0:1], 0, v[160:161]
	scratch_load_dwordx4 v[158:161], off, off offset:264 ; 16-byte Folded Reload
	s_and_b64 s[0:1], vcc, s[0:1]
	v_cmp_eq_u32_e32 vcc, 0, v155
	s_and_b64 s[0:1], s[0:1], vcc
	v_cndmask_b32_e64 v155, v155, 22, s[0:1]
	s_waitcnt vmcnt(0)
	v_cmp_eq_f64_e32 vcc, 0, v[158:159]
	v_cmp_eq_f64_e64 s[0:1], 0, v[160:161]
	scratch_load_dwordx4 v[158:161], off, off offset:280 ; 16-byte Folded Reload
	s_and_b64 s[0:1], vcc, s[0:1]
	v_cmp_eq_u32_e32 vcc, 0, v155
	s_and_b64 s[0:1], s[0:1], vcc
	v_cndmask_b32_e64 v155, v155, 23, s[0:1]
	;; [unrolled: 8-line block ×7, first 2 shown]
	s_waitcnt vmcnt(0)
	v_cmp_eq_f64_e32 vcc, 0, v[158:159]
	v_cmp_eq_f64_e64 s[0:1], 0, v[160:161]
	s_and_b64 s[0:1], vcc, s[0:1]
	v_cmp_eq_u32_e32 vcc, 0, v155
	s_and_b64 s[0:1], s[0:1], vcc
	v_cndmask_b32_e64 v155, v155, 29, s[0:1]
	v_cmp_eq_f64_e32 vcc, 0, v[252:253]
	v_cmp_eq_f64_e64 s[0:1], 0, v[254:255]
	s_and_b64 s[0:1], vcc, s[0:1]
	v_cmp_eq_u32_e32 vcc, 0, v155
	s_and_b64 s[0:1], s[0:1], vcc
	v_cndmask_b32_e64 v155, v155, 30, s[0:1]
	;; [unrolled: 6-line block ×6, first 2 shown]
	v_cmp_eq_u32_e32 vcc, 0, v156
	v_cmp_ne_u32_e64 s[0:1], 0, v136
	s_and_b64 s[0:1], vcc, s[0:1]
	s_and_b64 exec, exec, s[0:1]
	s_cbranch_execz .LBB67_308
; %bb.307:
	v_add_u32_e32 v136, s9, v136
	global_store_dword v[152:153], v136, off
.LBB67_308:
	s_or_b64 exec, exec, s[2:3]
	s_waitcnt vmcnt(57)
	global_store_dwordx4 v[162:163], v[128:131], off
	s_waitcnt vmcnt(57)
	global_store_dwordx4 v[250:251], v[124:127], off
	scratch_load_dwordx2 v[124:125], off, off ; 8-byte Folded Reload
	s_waitcnt vmcnt(26)
	v_mul_f64 v[136:137], v[150:151], v[134:135]
	v_mul_f64 v[138:139], v[148:149], v[134:135]
	v_fma_f64 v[136:137], v[148:149], v[132:133], -v[136:137]
	v_fmac_f64_e32 v[138:139], v[150:151], v[132:133]
	v_cmp_lt_u32_e32 vcc, 33, v154
	s_nop 1
	v_cndmask_b32_e32 v135, v135, v139, vcc
	v_cndmask_b32_e32 v134, v134, v138, vcc
	;; [unrolled: 1-line block ×4, first 2 shown]
	s_waitcnt vmcnt(0)
	global_store_dwordx4 v[124:125], v[120:123], off
	global_store_dwordx4 v[164:165], v[116:119], off
	;; [unrolled: 1-line block ×32, first 2 shown]
.LBB67_309:
	s_endpgm
	.section	.rodata,"a",@progbits
	.p2align	6, 0x0
	.amdhsa_kernel _ZN9rocsolver6v33100L23getf2_npvt_small_kernelILi34E19rocblas_complex_numIdEiiPS3_EEvT1_T3_lS5_lPT2_S5_S5_
		.amdhsa_group_segment_fixed_size 0
		.amdhsa_private_segment_fixed_size 396
		.amdhsa_kernarg_size 312
		.amdhsa_user_sgpr_count 2
		.amdhsa_user_sgpr_dispatch_ptr 0
		.amdhsa_user_sgpr_queue_ptr 0
		.amdhsa_user_sgpr_kernarg_segment_ptr 1
		.amdhsa_user_sgpr_dispatch_id 0
		.amdhsa_user_sgpr_kernarg_preload_length 0
		.amdhsa_user_sgpr_kernarg_preload_offset 0
		.amdhsa_user_sgpr_private_segment_size 0
		.amdhsa_uses_dynamic_stack 0
		.amdhsa_enable_private_segment 1
		.amdhsa_system_sgpr_workgroup_id_x 1
		.amdhsa_system_sgpr_workgroup_id_y 1
		.amdhsa_system_sgpr_workgroup_id_z 0
		.amdhsa_system_sgpr_workgroup_info 0
		.amdhsa_system_vgpr_workitem_id 1
		.amdhsa_next_free_vgpr 256
		.amdhsa_next_free_sgpr 16
		.amdhsa_accum_offset 256
		.amdhsa_reserve_vcc 1
		.amdhsa_float_round_mode_32 0
		.amdhsa_float_round_mode_16_64 0
		.amdhsa_float_denorm_mode_32 3
		.amdhsa_float_denorm_mode_16_64 3
		.amdhsa_dx10_clamp 1
		.amdhsa_ieee_mode 1
		.amdhsa_fp16_overflow 0
		.amdhsa_tg_split 0
		.amdhsa_exception_fp_ieee_invalid_op 0
		.amdhsa_exception_fp_denorm_src 0
		.amdhsa_exception_fp_ieee_div_zero 0
		.amdhsa_exception_fp_ieee_overflow 0
		.amdhsa_exception_fp_ieee_underflow 0
		.amdhsa_exception_fp_ieee_inexact 0
		.amdhsa_exception_int_div_zero 0
	.end_amdhsa_kernel
	.section	.text._ZN9rocsolver6v33100L23getf2_npvt_small_kernelILi34E19rocblas_complex_numIdEiiPS3_EEvT1_T3_lS5_lPT2_S5_S5_,"axG",@progbits,_ZN9rocsolver6v33100L23getf2_npvt_small_kernelILi34E19rocblas_complex_numIdEiiPS3_EEvT1_T3_lS5_lPT2_S5_S5_,comdat
.Lfunc_end67:
	.size	_ZN9rocsolver6v33100L23getf2_npvt_small_kernelILi34E19rocblas_complex_numIdEiiPS3_EEvT1_T3_lS5_lPT2_S5_S5_, .Lfunc_end67-_ZN9rocsolver6v33100L23getf2_npvt_small_kernelILi34E19rocblas_complex_numIdEiiPS3_EEvT1_T3_lS5_lPT2_S5_S5_
                                        ; -- End function
	.set _ZN9rocsolver6v33100L23getf2_npvt_small_kernelILi34E19rocblas_complex_numIdEiiPS3_EEvT1_T3_lS5_lPT2_S5_S5_.num_vgpr, 256
	.set _ZN9rocsolver6v33100L23getf2_npvt_small_kernelILi34E19rocblas_complex_numIdEiiPS3_EEvT1_T3_lS5_lPT2_S5_S5_.num_agpr, 0
	.set _ZN9rocsolver6v33100L23getf2_npvt_small_kernelILi34E19rocblas_complex_numIdEiiPS3_EEvT1_T3_lS5_lPT2_S5_S5_.numbered_sgpr, 16
	.set _ZN9rocsolver6v33100L23getf2_npvt_small_kernelILi34E19rocblas_complex_numIdEiiPS3_EEvT1_T3_lS5_lPT2_S5_S5_.num_named_barrier, 0
	.set _ZN9rocsolver6v33100L23getf2_npvt_small_kernelILi34E19rocblas_complex_numIdEiiPS3_EEvT1_T3_lS5_lPT2_S5_S5_.private_seg_size, 396
	.set _ZN9rocsolver6v33100L23getf2_npvt_small_kernelILi34E19rocblas_complex_numIdEiiPS3_EEvT1_T3_lS5_lPT2_S5_S5_.uses_vcc, 1
	.set _ZN9rocsolver6v33100L23getf2_npvt_small_kernelILi34E19rocblas_complex_numIdEiiPS3_EEvT1_T3_lS5_lPT2_S5_S5_.uses_flat_scratch, 0
	.set _ZN9rocsolver6v33100L23getf2_npvt_small_kernelILi34E19rocblas_complex_numIdEiiPS3_EEvT1_T3_lS5_lPT2_S5_S5_.has_dyn_sized_stack, 0
	.set _ZN9rocsolver6v33100L23getf2_npvt_small_kernelILi34E19rocblas_complex_numIdEiiPS3_EEvT1_T3_lS5_lPT2_S5_S5_.has_recursion, 0
	.set _ZN9rocsolver6v33100L23getf2_npvt_small_kernelILi34E19rocblas_complex_numIdEiiPS3_EEvT1_T3_lS5_lPT2_S5_S5_.has_indirect_call, 0
	.section	.AMDGPU.csdata,"",@progbits
; Kernel info:
; codeLenInByte = 62472
; TotalNumSgprs: 22
; NumVgprs: 256
; NumAgprs: 0
; TotalNumVgprs: 256
; ScratchSize: 396
; MemoryBound: 1
; FloatMode: 240
; IeeeMode: 1
; LDSByteSize: 0 bytes/workgroup (compile time only)
; SGPRBlocks: 2
; VGPRBlocks: 31
; NumSGPRsForWavesPerEU: 22
; NumVGPRsForWavesPerEU: 256
; AccumOffset: 256
; Occupancy: 2
; WaveLimiterHint : 0
; COMPUTE_PGM_RSRC2:SCRATCH_EN: 1
; COMPUTE_PGM_RSRC2:USER_SGPR: 2
; COMPUTE_PGM_RSRC2:TRAP_HANDLER: 0
; COMPUTE_PGM_RSRC2:TGID_X_EN: 1
; COMPUTE_PGM_RSRC2:TGID_Y_EN: 1
; COMPUTE_PGM_RSRC2:TGID_Z_EN: 0
; COMPUTE_PGM_RSRC2:TIDIG_COMP_CNT: 1
; COMPUTE_PGM_RSRC3_GFX90A:ACCUM_OFFSET: 63
; COMPUTE_PGM_RSRC3_GFX90A:TG_SPLIT: 0
	.section	.text._ZN9rocsolver6v33100L18getf2_small_kernelILi35E19rocblas_complex_numIdEiiPS3_EEvT1_T3_lS5_lPS5_llPT2_S5_S5_S7_l,"axG",@progbits,_ZN9rocsolver6v33100L18getf2_small_kernelILi35E19rocblas_complex_numIdEiiPS3_EEvT1_T3_lS5_lPS5_llPT2_S5_S5_S7_l,comdat
	.globl	_ZN9rocsolver6v33100L18getf2_small_kernelILi35E19rocblas_complex_numIdEiiPS3_EEvT1_T3_lS5_lPS5_llPT2_S5_S5_S7_l ; -- Begin function _ZN9rocsolver6v33100L18getf2_small_kernelILi35E19rocblas_complex_numIdEiiPS3_EEvT1_T3_lS5_lPS5_llPT2_S5_S5_S7_l
	.p2align	8
	.type	_ZN9rocsolver6v33100L18getf2_small_kernelILi35E19rocblas_complex_numIdEiiPS3_EEvT1_T3_lS5_lPS5_llPT2_S5_S5_S7_l,@function
_ZN9rocsolver6v33100L18getf2_small_kernelILi35E19rocblas_complex_numIdEiiPS3_EEvT1_T3_lS5_lPS5_llPT2_S5_S5_S7_l: ; @_ZN9rocsolver6v33100L18getf2_small_kernelILi35E19rocblas_complex_numIdEiiPS3_EEvT1_T3_lS5_lPS5_llPT2_S5_S5_S7_l
; %bb.0:
	s_load_dword s2, s[0:1], 0x6c
	s_load_dwordx2 s[12:13], s[0:1], 0x48
	v_bfe_u32 v140, v0, 10, 10
	s_waitcnt lgkmcnt(0)
	s_lshr_b32 s2, s2, 16
	s_mul_i32 s3, s3, s2
	v_add_u32_e32 v146, s3, v140
	v_cmp_gt_i32_e32 vcc, s12, v146
	s_and_saveexec_b64 s[2:3], vcc
	s_cbranch_execz .LBB68_736
; %bb.1:
	s_load_dwordx4 s[4:7], s[0:1], 0x50
	v_ashrrev_i32_e32 v147, 31, v146
	v_mov_b64_e32 v[148:149], 0
	s_waitcnt lgkmcnt(0)
	s_cmp_eq_u64 s[4:5], 0
	s_cselect_b64 s[14:15], -1, 0
	s_and_b64 vcc, exec, s[14:15]
	s_cbranch_vccnz .LBB68_3
; %bb.2:
	v_mul_lo_u32 v1, s7, v146
	v_mul_lo_u32 v4, s6, v147
	v_mad_u64_u32 v[2:3], s[2:3], s6, v146, 0
	v_add3_u32 v3, v3, v4, v1
	v_lshl_add_u64 v[148:149], v[2:3], 2, s[4:5]
.LBB68_3:
	s_load_dwordx4 s[16:19], s[0:1], 0x8
	s_load_dwordx8 s[4:11], s[0:1], 0x20
	s_load_dword s2, s[0:1], 0x18
	s_load_dword s20, s[0:1], 0x0
	v_and_b32_e32 v155, 0x3ff, v0
	s_waitcnt lgkmcnt(0)
	v_mov_b32_e32 v2, s16
	v_mul_lo_u32 v1, s5, v146
	v_mul_lo_u32 v6, s4, v147
	v_mad_u64_u32 v[4:5], s[4:5], s4, v146, 0
	v_mov_b32_e32 v3, s17
	v_add3_u32 v5, v5, v6, v1
	v_lshl_add_u64 v[2:3], v[4:5], 4, v[2:3]
	s_add_i32 s12, s2, s2
	v_lshl_add_u64 v[144:145], s[18:19], 4, v[2:3]
	v_add_u32_e32 v2, s12, v155
	v_add_u32_e32 v4, s2, v2
	;; [unrolled: 1-line block ×3, first 2 shown]
	v_lshlrev_b32_e32 v150, 4, v155
	v_mov_b32_e32 v151, 0
	v_add_u32_e32 v8, s2, v6
	v_lshl_add_u64 v[0:1], v[144:145], 0, v[150:151]
	s_ashr_i32 s3, s2, 31
	v_ashrrev_i32_e32 v9, 31, v8
	v_add_u32_e32 v12, s2, v8
	v_lshl_add_u64 v[10:11], s[2:3], 4, v[0:1]
	global_load_dwordx4 v[96:99], v[0:1], off
	global_load_dwordx4 v[92:95], v[10:11], off
	v_lshl_add_u64 v[0:1], v[8:9], 4, v[144:145]
	v_ashrrev_i32_e32 v13, 31, v12
	v_add_u32_e32 v8, s2, v12
	v_lshl_add_u64 v[10:11], v[12:13], 4, v[144:145]
	v_add_u32_e32 v12, s2, v8
	v_add_u32_e32 v14, s2, v12
	;; [unrolled: 1-line block ×15, first 2 shown]
	v_ashrrev_i32_e32 v41, 31, v40
	v_lshl_add_u64 v[42:43], v[40:41], 4, v[144:145]
	v_add_u32_e32 v40, s2, v40
	v_ashrrev_i32_e32 v41, 31, v40
	v_lshl_add_u64 v[136:137], v[40:41], 4, v[144:145]
	v_add_u32_e32 v40, s2, v40
	;; [unrolled: 3-line block ×11, first 2 shown]
	v_ashrrev_i32_e32 v41, 31, v40
	v_ashrrev_i32_e32 v3, 31, v2
	;; [unrolled: 1-line block ×19, first 2 shown]
	v_lshl_add_u64 v[168:169], v[40:41], 4, v[144:145]
	v_add_u32_e32 v40, s2, v40
	v_lshl_add_u64 v[2:3], v[2:3], 4, v[144:145]
	v_lshl_add_u64 v[4:5], v[4:5], 4, v[144:145]
	v_lshl_add_u64 v[6:7], v[6:7], 4, v[144:145]
	v_lshl_add_u64 v[8:9], v[8:9], 4, v[144:145]
	v_lshl_add_u64 v[12:13], v[12:13], 4, v[144:145]
	v_lshl_add_u64 v[14:15], v[14:15], 4, v[144:145]
	v_lshl_add_u64 v[16:17], v[16:17], 4, v[144:145]
	v_lshl_add_u64 v[18:19], v[18:19], 4, v[144:145]
	v_lshl_add_u64 v[20:21], v[20:21], 4, v[144:145]
	v_lshl_add_u64 v[22:23], v[22:23], 4, v[144:145]
	v_lshl_add_u64 v[24:25], v[24:25], 4, v[144:145]
	v_lshl_add_u64 v[26:27], v[26:27], 4, v[144:145]
	v_lshl_add_u64 v[28:29], v[28:29], 4, v[144:145]
	v_lshl_add_u64 v[30:31], v[30:31], 4, v[144:145]
	v_lshl_add_u64 v[32:33], v[32:33], 4, v[144:145]
	v_lshl_add_u64 v[34:35], v[34:35], 4, v[144:145]
	v_lshl_add_u64 v[36:37], v[36:37], 4, v[144:145]
	v_lshl_add_u64 v[38:39], v[38:39], 4, v[144:145]
	v_ashrrev_i32_e32 v41, 31, v40
	v_lshl_add_u64 v[170:171], v[40:41], 4, v[144:145]
	global_load_dwordx4 v[132:135], v[2:3], off
	global_load_dwordx4 v[128:131], v[4:5], off
	global_load_dwordx4 v[124:127], v[6:7], off
	global_load_dwordx4 v[120:123], v[0:1], off
	global_load_dwordx4 v[116:119], v[10:11], off
	global_load_dwordx4 v[112:115], v[8:9], off
	global_load_dwordx4 v[108:111], v[12:13], off
	global_load_dwordx4 v[104:107], v[14:15], off
	global_load_dwordx4 v[100:103], v[16:17], off
	global_load_dwordx4 v[88:91], v[18:19], off
	global_load_dwordx4 v[80:83], v[20:21], off
                                        ; kill: killed $vgpr18_vgpr19
                                        ; kill: killed $vgpr2_vgpr3
                                        ; kill: killed $vgpr20_vgpr21
                                        ; kill: killed $vgpr4_vgpr5
                                        ; kill: killed $vgpr6_vgpr7
                                        ; kill: killed $vgpr0_vgpr1
                                        ; kill: killed $vgpr10_vgpr11
                                        ; kill: killed $vgpr8_vgpr9
                                        ; kill: killed $vgpr12_vgpr13
                                        ; kill: killed $vgpr14_vgpr15
                                        ; kill: killed $vgpr16_vgpr17
	global_load_dwordx4 v[84:87], v[22:23], off
	global_load_dwordx4 v[76:79], v[24:25], off
	;; [unrolled: 1-line block ×5, first 2 shown]
                                        ; kill: killed $vgpr22_vgpr23
                                        ; kill: killed $vgpr24_vgpr25
                                        ; kill: killed $vgpr26_vgpr27
                                        ; kill: killed $vgpr28_vgpr29
                                        ; kill: killed $vgpr30_vgpr31
	global_load_dwordx4 v[60:63], v[32:33], off
	global_load_dwordx4 v[56:59], v[34:35], off
	;; [unrolled: 1-line block ×3, first 2 shown]
                                        ; kill: killed $vgpr32_vgpr33
                                        ; kill: killed $vgpr34_vgpr35
                                        ; kill: killed $vgpr36_vgpr37
	global_load_dwordx4 v[48:51], v[38:39], off
	global_load_dwordx4 v[44:47], v[42:43], off
	s_nop 0
	global_load_dwordx4 v[40:43], v[136:137], off
	global_load_dwordx4 v[36:39], v[138:139], off
	global_load_dwordx4 v[32:35], v[142:143], off
	global_load_dwordx4 v[28:31], v[152:153], off
	global_load_dwordx4 v[24:27], v[156:157], off
	global_load_dwordx4 v[20:23], v[158:159], off
	global_load_dwordx4 v[16:19], v[160:161], off
	global_load_dwordx4 v[12:15], v[162:163], off
	global_load_dwordx4 v[8:11], v[164:165], off
	global_load_dwordx4 v[4:7], v[166:167], off
	global_load_dwordx4 v[0:3], v[168:169], off
	global_load_dwordx4 v[136:139], v[170:171], off
	s_load_dwordx2 s[4:5], s[0:1], 0x40
	s_max_i32 s0, s20, 35
	v_mul_lo_u32 v153, s0, v140
	v_lshl_add_u32 v152, v153, 4, 0
	v_add_u32_e32 v140, v152, v150
	s_waitcnt vmcnt(34)
	ds_write2_b64 v140, v[96:97], v[98:99] offset1:1
	s_waitcnt lgkmcnt(0)
	s_barrier
	ds_read2_b64 v[140:143], v152 offset1:1
	s_cmp_lt_i32 s20, 2
	v_lshlrev_b32_e32 v156, 4, v153
	s_cbranch_scc1 .LBB68_6
; %bb.4:
	v_add3_u32 v150, v156, 0, 16
	s_mov_b32 s16, 1
	v_mov_b32_e32 v151, 0
.LBB68_5:                               ; =>This Inner Loop Header: Depth=1
	ds_read2_b64 v[158:161], v150 offset1:1
	s_waitcnt lgkmcnt(1)
	v_xor_b32_e32 v153, 0x80000000, v141
	v_xor_b32_e32 v154, 0x80000000, v143
	v_cmp_gt_f64_e32 vcc, 0, v[142:143]
	v_cmp_gt_f64_e64 s[0:1], 0, v[140:141]
	v_mov_b32_e32 v162, v140
	v_mov_b32_e32 v164, v142
	v_cndmask_b32_e64 v163, v141, v153, s[0:1]
	v_cndmask_b32_e32 v165, v143, v154, vcc
	s_waitcnt lgkmcnt(0)
	v_xor_b32_e32 v153, 0x80000000, v159
	v_xor_b32_e32 v154, 0x80000000, v161
	v_cmp_gt_f64_e32 vcc, 0, v[160:161]
	v_cmp_gt_f64_e64 s[0:1], 0, v[158:159]
	v_add_f64 v[162:163], v[162:163], v[164:165]
	v_mov_b32_e32 v164, v158
	v_mov_b32_e32 v166, v160
	v_cndmask_b32_e64 v165, v159, v153, s[0:1]
	v_cndmask_b32_e32 v167, v161, v154, vcc
	v_add_f64 v[164:165], v[164:165], v[166:167]
	v_mov_b32_e32 v157, s16
	s_add_i32 s16, s16, 1
	v_cmp_lt_f64_e32 vcc, v[162:163], v[164:165]
	v_add_u32_e32 v150, 16, v150
	s_cmp_eq_u32 s20, s16
	v_cndmask_b32_e32 v141, v141, v159, vcc
	v_cndmask_b32_e32 v140, v140, v158, vcc
	;; [unrolled: 1-line block ×5, first 2 shown]
	s_cbranch_scc0 .LBB68_5
.LBB68_6:
	s_waitcnt lgkmcnt(0)
	v_cmp_neq_f64_e32 vcc, 0, v[140:141]
	v_cmp_neq_f64_e64 s[0:1], 0, v[142:143]
	s_or_b64 s[16:17], vcc, s[0:1]
	v_mov_b32_e32 v154, 1
	v_mov_b32_e32 v157, 1
	s_and_saveexec_b64 s[0:1], s[16:17]
	s_cbranch_execz .LBB68_12
; %bb.7:
	v_cmp_ngt_f64_e64 s[16:17], |v[140:141]|, |v[142:143]|
	s_and_saveexec_b64 s[18:19], s[16:17]
	s_xor_b64 s[16:17], exec, s[18:19]
	s_cbranch_execz .LBB68_9
; %bb.8:
	v_div_scale_f64 v[158:159], s[18:19], v[142:143], v[142:143], v[140:141]
	v_rcp_f64_e32 v[160:161], v[158:159]
	v_div_scale_f64 v[162:163], vcc, v[140:141], v[142:143], v[140:141]
	v_fma_f64 v[164:165], -v[158:159], v[160:161], 1.0
	v_fmac_f64_e32 v[160:161], v[160:161], v[164:165]
	v_fma_f64 v[164:165], -v[158:159], v[160:161], 1.0
	v_fmac_f64_e32 v[160:161], v[160:161], v[164:165]
	v_mul_f64 v[164:165], v[162:163], v[160:161]
	v_fma_f64 v[158:159], -v[158:159], v[164:165], v[162:163]
	v_div_fmas_f64 v[158:159], v[158:159], v[160:161], v[164:165]
	v_div_fixup_f64 v[158:159], v[158:159], v[142:143], v[140:141]
	v_fmac_f64_e32 v[142:143], v[140:141], v[158:159]
	v_div_scale_f64 v[140:141], s[18:19], v[142:143], v[142:143], 1.0
	v_rcp_f64_e32 v[160:161], v[140:141]
	s_nop 0
	v_fma_f64 v[162:163], -v[140:141], v[160:161], 1.0
	v_fmac_f64_e32 v[160:161], v[160:161], v[162:163]
	v_fma_f64 v[162:163], -v[140:141], v[160:161], 1.0
	v_fmac_f64_e32 v[160:161], v[160:161], v[162:163]
	v_div_scale_f64 v[162:163], vcc, 1.0, v[142:143], 1.0
	v_mul_f64 v[164:165], v[162:163], v[160:161]
	v_fma_f64 v[140:141], -v[140:141], v[164:165], v[162:163]
	s_nop 1
	v_div_fmas_f64 v[140:141], v[140:141], v[160:161], v[164:165]
	v_div_fixup_f64 v[142:143], v[140:141], v[142:143], 1.0
	v_mul_f64 v[140:141], v[158:159], v[142:143]
	v_xor_b32_e32 v143, 0x80000000, v143
.LBB68_9:
	s_andn2_saveexec_b64 s[16:17], s[16:17]
	s_cbranch_execz .LBB68_11
; %bb.10:
	v_div_scale_f64 v[158:159], s[18:19], v[140:141], v[140:141], v[142:143]
	v_rcp_f64_e32 v[160:161], v[158:159]
	v_div_scale_f64 v[162:163], vcc, v[142:143], v[140:141], v[142:143]
	v_fma_f64 v[164:165], -v[158:159], v[160:161], 1.0
	v_fmac_f64_e32 v[160:161], v[160:161], v[164:165]
	v_fma_f64 v[164:165], -v[158:159], v[160:161], 1.0
	v_fmac_f64_e32 v[160:161], v[160:161], v[164:165]
	v_mul_f64 v[164:165], v[162:163], v[160:161]
	v_fma_f64 v[158:159], -v[158:159], v[164:165], v[162:163]
	v_div_fmas_f64 v[158:159], v[158:159], v[160:161], v[164:165]
	v_div_fixup_f64 v[158:159], v[158:159], v[140:141], v[142:143]
	v_fmac_f64_e32 v[140:141], v[142:143], v[158:159]
	v_div_scale_f64 v[142:143], s[18:19], v[140:141], v[140:141], 1.0
	v_rcp_f64_e32 v[160:161], v[142:143]
	s_nop 0
	v_fma_f64 v[162:163], -v[142:143], v[160:161], 1.0
	v_fmac_f64_e32 v[160:161], v[160:161], v[162:163]
	v_fma_f64 v[162:163], -v[142:143], v[160:161], 1.0
	v_fmac_f64_e32 v[160:161], v[160:161], v[162:163]
	v_div_scale_f64 v[162:163], vcc, 1.0, v[140:141], 1.0
	v_mul_f64 v[164:165], v[162:163], v[160:161]
	v_fma_f64 v[142:143], -v[142:143], v[164:165], v[162:163]
	s_nop 1
	v_div_fmas_f64 v[142:143], v[142:143], v[160:161], v[164:165]
	v_div_fixup_f64 v[140:141], v[142:143], v[140:141], 1.0
	v_mul_f64 v[142:143], v[158:159], -v[140:141]
.LBB68_11:
	s_or_b64 exec, exec, s[16:17]
	v_mov_b32_e32 v157, 0
	v_mov_b32_e32 v154, 2
.LBB68_12:
	s_or_b64 exec, exec, s[0:1]
	v_cmp_ne_u32_e32 vcc, v155, v151
	s_and_saveexec_b64 s[0:1], vcc
	s_xor_b64 s[0:1], exec, s[0:1]
	s_cbranch_execz .LBB68_18
; %bb.13:
	v_cmp_eq_u32_e32 vcc, 0, v155
	s_and_saveexec_b64 s[16:17], vcc
	s_cbranch_execz .LBB68_17
; %bb.14:
	v_cmp_ne_u32_e32 vcc, 0, v151
	s_xor_b64 s[18:19], s[14:15], -1
	s_and_b64 s[22:23], s[18:19], vcc
	s_and_saveexec_b64 s[18:19], s[22:23]
	s_cbranch_execz .LBB68_16
; %bb.15:
	v_ashrrev_i32_e32 v159, 31, v151
	v_mov_b32_e32 v158, v151
	v_lshl_add_u64 v[158:159], v[158:159], 2, v[148:149]
	global_load_dword v150, v[158:159], off
	global_load_dword v153, v[148:149], off
	s_waitcnt vmcnt(1)
	global_store_dword v[148:149], v150, off
	s_waitcnt vmcnt(1)
	global_store_dword v[158:159], v153, off
.LBB68_16:
	s_or_b64 exec, exec, s[18:19]
	v_mov_b32_e32 v155, v151
.LBB68_17:
	s_or_b64 exec, exec, s[16:17]
.LBB68_18:
	s_or_saveexec_b64 s[0:1], s[0:1]
	v_mov_b32_e32 v153, v155
	s_xor_b64 exec, exec, s[0:1]
	s_cbranch_execz .LBB68_20
; %bb.19:
	v_mov_b32_e32 v153, 0
	s_waitcnt vmcnt(33)
	ds_write2_b64 v152, v[92:93], v[94:95] offset0:2 offset1:3
	s_waitcnt vmcnt(32)
	ds_write2_b64 v152, v[132:133], v[134:135] offset0:4 offset1:5
	;; [unrolled: 2-line block ×34, first 2 shown]
.LBB68_20:
	s_or_b64 exec, exec, s[0:1]
	v_cmp_lt_i32_e32 vcc, 0, v153
	s_waitcnt lgkmcnt(0)
	s_barrier
	s_and_saveexec_b64 s[0:1], vcc
	s_cbranch_execz .LBB68_22
; %bb.21:
	ds_read2_b64 v[158:161], v152 offset0:2 offset1:3
	v_mul_f64 v[150:151], v[142:143], v[98:99]
	v_mul_f64 v[98:99], v[140:141], v[98:99]
	v_fma_f64 v[150:151], v[140:141], v[96:97], -v[150:151]
	v_fmac_f64_e32 v[98:99], v[142:143], v[96:97]
	ds_read2_b64 v[140:143], v152 offset0:4 offset1:5
	s_waitcnt lgkmcnt(1)
	v_mul_f64 v[96:97], v[160:161], v[98:99]
	v_fma_f64 v[96:97], v[158:159], v[150:151], -v[96:97]
	v_mul_f64 v[158:159], v[158:159], v[98:99]
	v_fmac_f64_e32 v[158:159], v[160:161], v[150:151]
	s_waitcnt vmcnt(33)
	v_add_f64 v[92:93], v[92:93], -v[96:97]
	s_waitcnt lgkmcnt(0)
	v_mul_f64 v[96:97], v[142:143], v[98:99]
	v_add_f64 v[94:95], v[94:95], -v[158:159]
	v_fma_f64 v[96:97], v[140:141], v[150:151], -v[96:97]
	v_mul_f64 v[140:141], v[140:141], v[98:99]
	ds_read2_b64 v[158:161], v152 offset0:6 offset1:7
	v_fmac_f64_e32 v[140:141], v[142:143], v[150:151]
	s_waitcnt vmcnt(32)
	v_add_f64 v[134:135], v[134:135], -v[140:141]
	ds_read2_b64 v[140:143], v152 offset0:8 offset1:9
	v_add_f64 v[132:133], v[132:133], -v[96:97]
	s_waitcnt lgkmcnt(1)
	v_mul_f64 v[96:97], v[160:161], v[98:99]
	v_fma_f64 v[96:97], v[158:159], v[150:151], -v[96:97]
	v_mul_f64 v[158:159], v[158:159], v[98:99]
	v_fmac_f64_e32 v[158:159], v[160:161], v[150:151]
	s_waitcnt vmcnt(31)
	v_add_f64 v[128:129], v[128:129], -v[96:97]
	s_waitcnt lgkmcnt(0)
	v_mul_f64 v[96:97], v[142:143], v[98:99]
	v_add_f64 v[130:131], v[130:131], -v[158:159]
	v_fma_f64 v[96:97], v[140:141], v[150:151], -v[96:97]
	v_mul_f64 v[140:141], v[140:141], v[98:99]
	ds_read2_b64 v[158:161], v152 offset0:10 offset1:11
	v_fmac_f64_e32 v[140:141], v[142:143], v[150:151]
	s_waitcnt vmcnt(30)
	v_add_f64 v[126:127], v[126:127], -v[140:141]
	ds_read2_b64 v[140:143], v152 offset0:12 offset1:13
	v_add_f64 v[124:125], v[124:125], -v[96:97]
	;; [unrolled: 18-line block ×16, first 2 shown]
	s_waitcnt lgkmcnt(1)
	v_mul_f64 v[96:97], v[160:161], v[98:99]
	v_fma_f64 v[96:97], v[158:159], v[150:151], -v[96:97]
	s_waitcnt vmcnt(1)
	v_add_f64 v[0:1], v[0:1], -v[96:97]
	s_waitcnt lgkmcnt(0)
	v_mul_f64 v[96:97], v[142:143], v[98:99]
	v_mul_f64 v[158:159], v[158:159], v[98:99]
	v_fma_f64 v[96:97], v[140:141], v[150:151], -v[96:97]
	v_mul_f64 v[140:141], v[140:141], v[98:99]
	v_fmac_f64_e32 v[158:159], v[160:161], v[150:151]
	v_fmac_f64_e32 v[140:141], v[142:143], v[150:151]
	v_add_f64 v[2:3], v[2:3], -v[158:159]
	s_waitcnt vmcnt(0)
	v_add_f64 v[136:137], v[136:137], -v[96:97]
	v_add_f64 v[138:139], v[138:139], -v[140:141]
	v_mov_b64_e32 v[96:97], v[150:151]
.LBB68_22:
	s_or_b64 exec, exec, s[0:1]
	v_lshl_add_u32 v140, v153, 4, v152
	s_barrier
	s_waitcnt vmcnt(33)
	ds_write2_b64 v140, v[92:93], v[94:95] offset1:1
	s_waitcnt lgkmcnt(0)
	s_barrier
	ds_read2_b64 v[140:143], v152 offset0:2 offset1:3
	s_cmp_lt_i32 s20, 3
	v_mov_b32_e32 v150, 1
	s_cbranch_scc1 .LBB68_25
; %bb.23:
	v_add3_u32 v151, v156, 0, 32
	s_mov_b32 s16, 2
	v_mov_b32_e32 v150, 1
.LBB68_24:                              ; =>This Inner Loop Header: Depth=1
	ds_read2_b64 v[158:161], v151 offset1:1
	s_waitcnt lgkmcnt(1)
	v_xor_b32_e32 v163, 0x80000000, v141
	v_xor_b32_e32 v165, 0x80000000, v143
	v_cmp_gt_f64_e32 vcc, 0, v[142:143]
	v_cmp_gt_f64_e64 s[0:1], 0, v[140:141]
	v_mov_b32_e32 v162, v140
	v_mov_b32_e32 v164, v142
	v_cndmask_b32_e64 v163, v141, v163, s[0:1]
	v_cndmask_b32_e32 v165, v143, v165, vcc
	v_add_f64 v[162:163], v[162:163], v[164:165]
	s_waitcnt lgkmcnt(0)
	v_xor_b32_e32 v165, 0x80000000, v159
	v_xor_b32_e32 v167, 0x80000000, v161
	v_cmp_gt_f64_e32 vcc, 0, v[160:161]
	v_cmp_gt_f64_e64 s[0:1], 0, v[158:159]
	v_mov_b32_e32 v164, v158
	v_mov_b32_e32 v166, v160
	v_cndmask_b32_e64 v165, v159, v165, s[0:1]
	v_cndmask_b32_e32 v167, v161, v167, vcc
	v_add_f64 v[164:165], v[164:165], v[166:167]
	v_mov_b32_e32 v168, s16
	s_add_i32 s16, s16, 1
	v_cmp_lt_f64_e32 vcc, v[162:163], v[164:165]
	v_add_u32_e32 v151, 16, v151
	s_cmp_lg_u32 s20, s16
	v_cndmask_b32_e32 v141, v141, v159, vcc
	v_cndmask_b32_e32 v140, v140, v158, vcc
	;; [unrolled: 1-line block ×5, first 2 shown]
	s_cbranch_scc1 .LBB68_24
.LBB68_25:
	s_waitcnt lgkmcnt(0)
	v_cmp_neq_f64_e32 vcc, 0, v[140:141]
	v_cmp_neq_f64_e64 s[0:1], 0, v[142:143]
	s_or_b64 s[16:17], vcc, s[0:1]
	s_and_saveexec_b64 s[0:1], s[16:17]
	s_cbranch_execz .LBB68_31
; %bb.26:
	v_cmp_ngt_f64_e64 s[16:17], |v[140:141]|, |v[142:143]|
	s_and_saveexec_b64 s[18:19], s[16:17]
	s_xor_b64 s[16:17], exec, s[18:19]
	s_cbranch_execz .LBB68_28
; %bb.27:
	v_div_scale_f64 v[158:159], s[18:19], v[142:143], v[142:143], v[140:141]
	v_rcp_f64_e32 v[160:161], v[158:159]
	v_div_scale_f64 v[162:163], vcc, v[140:141], v[142:143], v[140:141]
	v_fma_f64 v[164:165], -v[158:159], v[160:161], 1.0
	v_fmac_f64_e32 v[160:161], v[160:161], v[164:165]
	v_fma_f64 v[164:165], -v[158:159], v[160:161], 1.0
	v_fmac_f64_e32 v[160:161], v[160:161], v[164:165]
	v_mul_f64 v[164:165], v[162:163], v[160:161]
	v_fma_f64 v[158:159], -v[158:159], v[164:165], v[162:163]
	v_div_fmas_f64 v[158:159], v[158:159], v[160:161], v[164:165]
	v_div_fixup_f64 v[158:159], v[158:159], v[142:143], v[140:141]
	v_fmac_f64_e32 v[142:143], v[140:141], v[158:159]
	v_div_scale_f64 v[140:141], s[18:19], v[142:143], v[142:143], 1.0
	v_rcp_f64_e32 v[160:161], v[140:141]
	s_nop 0
	v_fma_f64 v[162:163], -v[140:141], v[160:161], 1.0
	v_fmac_f64_e32 v[160:161], v[160:161], v[162:163]
	v_fma_f64 v[162:163], -v[140:141], v[160:161], 1.0
	v_fmac_f64_e32 v[160:161], v[160:161], v[162:163]
	v_div_scale_f64 v[162:163], vcc, 1.0, v[142:143], 1.0
	v_mul_f64 v[164:165], v[162:163], v[160:161]
	v_fma_f64 v[140:141], -v[140:141], v[164:165], v[162:163]
	s_nop 1
	v_div_fmas_f64 v[140:141], v[140:141], v[160:161], v[164:165]
	v_div_fixup_f64 v[142:143], v[140:141], v[142:143], 1.0
	v_mul_f64 v[140:141], v[158:159], v[142:143]
	v_xor_b32_e32 v143, 0x80000000, v143
.LBB68_28:
	s_andn2_saveexec_b64 s[16:17], s[16:17]
	s_cbranch_execz .LBB68_30
; %bb.29:
	v_div_scale_f64 v[158:159], s[18:19], v[140:141], v[140:141], v[142:143]
	v_rcp_f64_e32 v[160:161], v[158:159]
	v_div_scale_f64 v[162:163], vcc, v[142:143], v[140:141], v[142:143]
	v_fma_f64 v[164:165], -v[158:159], v[160:161], 1.0
	v_fmac_f64_e32 v[160:161], v[160:161], v[164:165]
	v_fma_f64 v[164:165], -v[158:159], v[160:161], 1.0
	v_fmac_f64_e32 v[160:161], v[160:161], v[164:165]
	v_mul_f64 v[164:165], v[162:163], v[160:161]
	v_fma_f64 v[158:159], -v[158:159], v[164:165], v[162:163]
	v_div_fmas_f64 v[158:159], v[158:159], v[160:161], v[164:165]
	v_div_fixup_f64 v[158:159], v[158:159], v[140:141], v[142:143]
	v_fmac_f64_e32 v[140:141], v[142:143], v[158:159]
	v_div_scale_f64 v[142:143], s[18:19], v[140:141], v[140:141], 1.0
	v_rcp_f64_e32 v[160:161], v[142:143]
	s_nop 0
	v_fma_f64 v[162:163], -v[142:143], v[160:161], 1.0
	v_fmac_f64_e32 v[160:161], v[160:161], v[162:163]
	v_fma_f64 v[162:163], -v[142:143], v[160:161], 1.0
	v_fmac_f64_e32 v[160:161], v[160:161], v[162:163]
	v_div_scale_f64 v[162:163], vcc, 1.0, v[140:141], 1.0
	v_mul_f64 v[164:165], v[162:163], v[160:161]
	v_fma_f64 v[142:143], -v[142:143], v[164:165], v[162:163]
	s_nop 1
	v_div_fmas_f64 v[142:143], v[142:143], v[160:161], v[164:165]
	v_div_fixup_f64 v[140:141], v[142:143], v[140:141], 1.0
	v_mul_f64 v[142:143], v[158:159], -v[140:141]
.LBB68_30:
	s_or_b64 exec, exec, s[16:17]
	v_mov_b32_e32 v154, v157
.LBB68_31:
	s_or_b64 exec, exec, s[0:1]
	v_cmp_ne_u32_e32 vcc, v153, v150
	s_and_saveexec_b64 s[0:1], vcc
	s_xor_b64 s[0:1], exec, s[0:1]
	s_cbranch_execz .LBB68_37
; %bb.32:
	v_cmp_eq_u32_e32 vcc, 1, v153
	s_and_saveexec_b64 s[16:17], vcc
	s_cbranch_execz .LBB68_36
; %bb.33:
	v_cmp_ne_u32_e32 vcc, 1, v150
	s_xor_b64 s[18:19], s[14:15], -1
	s_and_b64 s[22:23], s[18:19], vcc
	s_and_saveexec_b64 s[18:19], s[22:23]
	s_cbranch_execz .LBB68_35
; %bb.34:
	v_ashrrev_i32_e32 v151, 31, v150
	v_lshl_add_u64 v[158:159], v[150:151], 2, v[148:149]
	global_load_dword v151, v[158:159], off
	global_load_dword v153, v[148:149], off offset:4
	s_waitcnt vmcnt(1)
	global_store_dword v[148:149], v151, off offset:4
	s_waitcnt vmcnt(1)
	global_store_dword v[158:159], v153, off
.LBB68_35:
	s_or_b64 exec, exec, s[18:19]
	v_mov_b32_e32 v153, v150
	v_mov_b32_e32 v155, v150
.LBB68_36:
	s_or_b64 exec, exec, s[16:17]
.LBB68_37:
	s_andn2_saveexec_b64 s[0:1], s[0:1]
	s_cbranch_execz .LBB68_39
; %bb.38:
	v_mov_b32_e32 v153, 1
	s_waitcnt vmcnt(32)
	ds_write2_b64 v152, v[132:133], v[134:135] offset0:4 offset1:5
	s_waitcnt vmcnt(31)
	ds_write2_b64 v152, v[128:129], v[130:131] offset0:6 offset1:7
	s_waitcnt vmcnt(30)
	ds_write2_b64 v152, v[124:125], v[126:127] offset0:8 offset1:9
	s_waitcnt vmcnt(29)
	ds_write2_b64 v152, v[120:121], v[122:123] offset0:10 offset1:11
	s_waitcnt vmcnt(28)
	ds_write2_b64 v152, v[116:117], v[118:119] offset0:12 offset1:13
	s_waitcnt vmcnt(27)
	ds_write2_b64 v152, v[112:113], v[114:115] offset0:14 offset1:15
	s_waitcnt vmcnt(26)
	ds_write2_b64 v152, v[108:109], v[110:111] offset0:16 offset1:17
	s_waitcnt vmcnt(25)
	ds_write2_b64 v152, v[104:105], v[106:107] offset0:18 offset1:19
	s_waitcnt vmcnt(24)
	ds_write2_b64 v152, v[100:101], v[102:103] offset0:20 offset1:21
	s_waitcnt vmcnt(23)
	ds_write2_b64 v152, v[88:89], v[90:91] offset0:22 offset1:23
	s_waitcnt vmcnt(22)
	ds_write2_b64 v152, v[80:81], v[82:83] offset0:24 offset1:25
	s_waitcnt vmcnt(21)
	ds_write2_b64 v152, v[84:85], v[86:87] offset0:26 offset1:27
	s_waitcnt vmcnt(20)
	ds_write2_b64 v152, v[76:77], v[78:79] offset0:28 offset1:29
	s_waitcnt vmcnt(19)
	ds_write2_b64 v152, v[72:73], v[74:75] offset0:30 offset1:31
	s_waitcnt vmcnt(18)
	ds_write2_b64 v152, v[68:69], v[70:71] offset0:32 offset1:33
	s_waitcnt vmcnt(17)
	ds_write2_b64 v152, v[64:65], v[66:67] offset0:34 offset1:35
	s_waitcnt vmcnt(16)
	ds_write2_b64 v152, v[60:61], v[62:63] offset0:36 offset1:37
	s_waitcnt vmcnt(15)
	ds_write2_b64 v152, v[56:57], v[58:59] offset0:38 offset1:39
	s_waitcnt vmcnt(14)
	ds_write2_b64 v152, v[52:53], v[54:55] offset0:40 offset1:41
	s_waitcnt vmcnt(13)
	ds_write2_b64 v152, v[48:49], v[50:51] offset0:42 offset1:43
	s_waitcnt vmcnt(12)
	ds_write2_b64 v152, v[44:45], v[46:47] offset0:44 offset1:45
	s_waitcnt vmcnt(11)
	ds_write2_b64 v152, v[40:41], v[42:43] offset0:46 offset1:47
	s_waitcnt vmcnt(10)
	ds_write2_b64 v152, v[36:37], v[38:39] offset0:48 offset1:49
	s_waitcnt vmcnt(9)
	ds_write2_b64 v152, v[32:33], v[34:35] offset0:50 offset1:51
	s_waitcnt vmcnt(8)
	ds_write2_b64 v152, v[28:29], v[30:31] offset0:52 offset1:53
	s_waitcnt vmcnt(7)
	ds_write2_b64 v152, v[24:25], v[26:27] offset0:54 offset1:55
	s_waitcnt vmcnt(6)
	ds_write2_b64 v152, v[20:21], v[22:23] offset0:56 offset1:57
	s_waitcnt vmcnt(5)
	ds_write2_b64 v152, v[16:17], v[18:19] offset0:58 offset1:59
	s_waitcnt vmcnt(4)
	ds_write2_b64 v152, v[12:13], v[14:15] offset0:60 offset1:61
	s_waitcnt vmcnt(3)
	ds_write2_b64 v152, v[8:9], v[10:11] offset0:62 offset1:63
	s_waitcnt vmcnt(2)
	ds_write2_b64 v152, v[4:5], v[6:7] offset0:64 offset1:65
	s_waitcnt vmcnt(1)
	ds_write2_b64 v152, v[0:1], v[2:3] offset0:66 offset1:67
	s_waitcnt vmcnt(0)
	ds_write2_b64 v152, v[136:137], v[138:139] offset0:68 offset1:69
.LBB68_39:
	s_or_b64 exec, exec, s[0:1]
	v_cmp_lt_i32_e32 vcc, 1, v153
	s_waitcnt lgkmcnt(0)
	s_barrier
	s_and_saveexec_b64 s[0:1], vcc
	s_cbranch_execz .LBB68_41
; %bb.40:
	ds_read2_b64 v[158:161], v152 offset0:4 offset1:5
	v_mul_f64 v[150:151], v[142:143], v[94:95]
	v_mul_f64 v[94:95], v[140:141], v[94:95]
	v_fmac_f64_e32 v[94:95], v[142:143], v[92:93]
	v_fma_f64 v[150:151], v[140:141], v[92:93], -v[150:151]
	ds_read2_b64 v[140:143], v152 offset0:6 offset1:7
	s_waitcnt lgkmcnt(1)
	v_mul_f64 v[92:93], v[160:161], v[94:95]
	v_fma_f64 v[92:93], v[158:159], v[150:151], -v[92:93]
	v_mul_f64 v[158:159], v[158:159], v[94:95]
	v_fmac_f64_e32 v[158:159], v[160:161], v[150:151]
	s_waitcnt vmcnt(32)
	v_add_f64 v[134:135], v[134:135], -v[158:159]
	ds_read2_b64 v[158:161], v152 offset0:8 offset1:9
	v_add_f64 v[132:133], v[132:133], -v[92:93]
	s_waitcnt lgkmcnt(1)
	v_mul_f64 v[92:93], v[142:143], v[94:95]
	v_fma_f64 v[92:93], v[140:141], v[150:151], -v[92:93]
	v_mul_f64 v[140:141], v[140:141], v[94:95]
	v_fmac_f64_e32 v[140:141], v[142:143], v[150:151]
	s_waitcnt vmcnt(31)
	v_add_f64 v[128:129], v[128:129], -v[92:93]
	v_add_f64 v[130:131], v[130:131], -v[140:141]
	ds_read2_b64 v[140:143], v152 offset0:10 offset1:11
	s_waitcnt lgkmcnt(1)
	v_mul_f64 v[92:93], v[160:161], v[94:95]
	v_fma_f64 v[92:93], v[158:159], v[150:151], -v[92:93]
	v_mul_f64 v[158:159], v[158:159], v[94:95]
	v_fmac_f64_e32 v[158:159], v[160:161], v[150:151]
	s_waitcnt vmcnt(30)
	v_add_f64 v[126:127], v[126:127], -v[158:159]
	ds_read2_b64 v[158:161], v152 offset0:12 offset1:13
	v_add_f64 v[124:125], v[124:125], -v[92:93]
	s_waitcnt lgkmcnt(1)
	v_mul_f64 v[92:93], v[142:143], v[94:95]
	v_fma_f64 v[92:93], v[140:141], v[150:151], -v[92:93]
	v_mul_f64 v[140:141], v[140:141], v[94:95]
	v_fmac_f64_e32 v[140:141], v[142:143], v[150:151]
	s_waitcnt vmcnt(29)
	v_add_f64 v[120:121], v[120:121], -v[92:93]
	v_add_f64 v[122:123], v[122:123], -v[140:141]
	;; [unrolled: 18-line block ×16, first 2 shown]
	s_waitcnt lgkmcnt(0)
	v_mul_f64 v[92:93], v[160:161], v[94:95]
	v_mul_f64 v[140:141], v[158:159], v[94:95]
	v_fma_f64 v[92:93], v[158:159], v[150:151], -v[92:93]
	v_fmac_f64_e32 v[140:141], v[160:161], v[150:151]
	s_waitcnt vmcnt(0)
	v_add_f64 v[136:137], v[136:137], -v[92:93]
	v_add_f64 v[138:139], v[138:139], -v[140:141]
	v_mov_b64_e32 v[92:93], v[150:151]
.LBB68_41:
	s_or_b64 exec, exec, s[0:1]
	v_lshl_add_u32 v140, v153, 4, v152
	s_barrier
	s_waitcnt vmcnt(32)
	ds_write2_b64 v140, v[132:133], v[134:135] offset1:1
	s_waitcnt lgkmcnt(0)
	s_barrier
	ds_read2_b64 v[140:143], v152 offset0:4 offset1:5
	s_cmp_lt_i32 s20, 4
	v_mov_b32_e32 v150, 2
	s_cbranch_scc1 .LBB68_44
; %bb.42:
	v_add3_u32 v151, v156, 0, 48
	s_mov_b32 s16, 3
	v_mov_b32_e32 v150, 2
.LBB68_43:                              ; =>This Inner Loop Header: Depth=1
	ds_read2_b64 v[158:161], v151 offset1:1
	s_waitcnt lgkmcnt(1)
	v_xor_b32_e32 v157, 0x80000000, v141
	v_xor_b32_e32 v165, 0x80000000, v143
	v_cmp_gt_f64_e32 vcc, 0, v[142:143]
	v_cmp_gt_f64_e64 s[0:1], 0, v[140:141]
	v_mov_b32_e32 v162, v140
	v_mov_b32_e32 v164, v142
	v_cndmask_b32_e64 v163, v141, v157, s[0:1]
	v_cndmask_b32_e32 v165, v143, v165, vcc
	s_waitcnt lgkmcnt(0)
	v_xor_b32_e32 v157, 0x80000000, v159
	v_xor_b32_e32 v167, 0x80000000, v161
	v_cmp_gt_f64_e32 vcc, 0, v[160:161]
	v_cmp_gt_f64_e64 s[0:1], 0, v[158:159]
	v_add_f64 v[162:163], v[162:163], v[164:165]
	v_mov_b32_e32 v164, v158
	v_mov_b32_e32 v166, v160
	v_cndmask_b32_e64 v165, v159, v157, s[0:1]
	v_cndmask_b32_e32 v167, v161, v167, vcc
	v_add_f64 v[164:165], v[164:165], v[166:167]
	v_mov_b32_e32 v168, s16
	s_add_i32 s16, s16, 1
	v_cmp_lt_f64_e32 vcc, v[162:163], v[164:165]
	v_add_u32_e32 v151, 16, v151
	s_cmp_lg_u32 s20, s16
	v_cndmask_b32_e32 v141, v141, v159, vcc
	v_cndmask_b32_e32 v140, v140, v158, vcc
	;; [unrolled: 1-line block ×5, first 2 shown]
	s_cbranch_scc1 .LBB68_43
.LBB68_44:
	s_waitcnt lgkmcnt(0)
	v_cmp_eq_f64_e32 vcc, 0, v[140:141]
	v_cmp_eq_f64_e64 s[0:1], 0, v[142:143]
	s_and_b64 s[0:1], vcc, s[0:1]
	s_and_saveexec_b64 s[16:17], s[0:1]
	s_xor_b64 s[0:1], exec, s[16:17]
; %bb.45:
	v_cmp_ne_u32_e32 vcc, 0, v154
	s_nop 1
	v_cndmask_b32_e32 v154, 3, v154, vcc
; %bb.46:
	s_andn2_saveexec_b64 s[0:1], s[0:1]
	s_cbranch_execz .LBB68_52
; %bb.47:
	v_cmp_ngt_f64_e64 s[16:17], |v[140:141]|, |v[142:143]|
	s_and_saveexec_b64 s[18:19], s[16:17]
	s_xor_b64 s[16:17], exec, s[18:19]
	s_cbranch_execz .LBB68_49
; %bb.48:
	v_div_scale_f64 v[158:159], s[18:19], v[142:143], v[142:143], v[140:141]
	v_rcp_f64_e32 v[160:161], v[158:159]
	v_div_scale_f64 v[162:163], vcc, v[140:141], v[142:143], v[140:141]
	v_fma_f64 v[164:165], -v[158:159], v[160:161], 1.0
	v_fmac_f64_e32 v[160:161], v[160:161], v[164:165]
	v_fma_f64 v[164:165], -v[158:159], v[160:161], 1.0
	v_fmac_f64_e32 v[160:161], v[160:161], v[164:165]
	v_mul_f64 v[164:165], v[162:163], v[160:161]
	v_fma_f64 v[158:159], -v[158:159], v[164:165], v[162:163]
	v_div_fmas_f64 v[158:159], v[158:159], v[160:161], v[164:165]
	v_div_fixup_f64 v[158:159], v[158:159], v[142:143], v[140:141]
	v_fmac_f64_e32 v[142:143], v[140:141], v[158:159]
	v_div_scale_f64 v[140:141], s[18:19], v[142:143], v[142:143], 1.0
	v_rcp_f64_e32 v[160:161], v[140:141]
	s_nop 0
	v_fma_f64 v[162:163], -v[140:141], v[160:161], 1.0
	v_fmac_f64_e32 v[160:161], v[160:161], v[162:163]
	v_fma_f64 v[162:163], -v[140:141], v[160:161], 1.0
	v_fmac_f64_e32 v[160:161], v[160:161], v[162:163]
	v_div_scale_f64 v[162:163], vcc, 1.0, v[142:143], 1.0
	v_mul_f64 v[164:165], v[162:163], v[160:161]
	v_fma_f64 v[140:141], -v[140:141], v[164:165], v[162:163]
	s_nop 1
	v_div_fmas_f64 v[140:141], v[140:141], v[160:161], v[164:165]
	v_div_fixup_f64 v[142:143], v[140:141], v[142:143], 1.0
	v_mul_f64 v[140:141], v[158:159], v[142:143]
	v_xor_b32_e32 v143, 0x80000000, v143
.LBB68_49:
	s_andn2_saveexec_b64 s[16:17], s[16:17]
	s_cbranch_execz .LBB68_51
; %bb.50:
	v_div_scale_f64 v[158:159], s[18:19], v[140:141], v[140:141], v[142:143]
	v_rcp_f64_e32 v[160:161], v[158:159]
	v_div_scale_f64 v[162:163], vcc, v[142:143], v[140:141], v[142:143]
	v_fma_f64 v[164:165], -v[158:159], v[160:161], 1.0
	v_fmac_f64_e32 v[160:161], v[160:161], v[164:165]
	v_fma_f64 v[164:165], -v[158:159], v[160:161], 1.0
	v_fmac_f64_e32 v[160:161], v[160:161], v[164:165]
	v_mul_f64 v[164:165], v[162:163], v[160:161]
	v_fma_f64 v[158:159], -v[158:159], v[164:165], v[162:163]
	v_div_fmas_f64 v[158:159], v[158:159], v[160:161], v[164:165]
	v_div_fixup_f64 v[158:159], v[158:159], v[140:141], v[142:143]
	v_fmac_f64_e32 v[140:141], v[142:143], v[158:159]
	v_div_scale_f64 v[142:143], s[18:19], v[140:141], v[140:141], 1.0
	v_rcp_f64_e32 v[160:161], v[142:143]
	s_nop 0
	v_fma_f64 v[162:163], -v[142:143], v[160:161], 1.0
	v_fmac_f64_e32 v[160:161], v[160:161], v[162:163]
	v_fma_f64 v[162:163], -v[142:143], v[160:161], 1.0
	v_fmac_f64_e32 v[160:161], v[160:161], v[162:163]
	v_div_scale_f64 v[162:163], vcc, 1.0, v[140:141], 1.0
	v_mul_f64 v[164:165], v[162:163], v[160:161]
	v_fma_f64 v[142:143], -v[142:143], v[164:165], v[162:163]
	s_nop 1
	v_div_fmas_f64 v[142:143], v[142:143], v[160:161], v[164:165]
	v_div_fixup_f64 v[140:141], v[142:143], v[140:141], 1.0
	v_mul_f64 v[142:143], v[158:159], -v[140:141]
.LBB68_51:
	s_or_b64 exec, exec, s[16:17]
.LBB68_52:
	s_or_b64 exec, exec, s[0:1]
	v_cmp_ne_u32_e32 vcc, v153, v150
	s_and_saveexec_b64 s[0:1], vcc
	s_xor_b64 s[0:1], exec, s[0:1]
	s_cbranch_execz .LBB68_58
; %bb.53:
	v_cmp_eq_u32_e32 vcc, 2, v153
	s_and_saveexec_b64 s[16:17], vcc
	s_cbranch_execz .LBB68_57
; %bb.54:
	v_cmp_ne_u32_e32 vcc, 2, v150
	s_xor_b64 s[18:19], s[14:15], -1
	s_and_b64 s[22:23], s[18:19], vcc
	s_and_saveexec_b64 s[18:19], s[22:23]
	s_cbranch_execz .LBB68_56
; %bb.55:
	v_ashrrev_i32_e32 v151, 31, v150
	v_lshl_add_u64 v[158:159], v[150:151], 2, v[148:149]
	global_load_dword v151, v[158:159], off
	global_load_dword v153, v[148:149], off offset:8
	s_waitcnt vmcnt(1)
	global_store_dword v[148:149], v151, off offset:8
	s_waitcnt vmcnt(1)
	global_store_dword v[158:159], v153, off
.LBB68_56:
	s_or_b64 exec, exec, s[18:19]
	v_mov_b32_e32 v153, v150
	v_mov_b32_e32 v155, v150
.LBB68_57:
	s_or_b64 exec, exec, s[16:17]
.LBB68_58:
	s_andn2_saveexec_b64 s[0:1], s[0:1]
	s_cbranch_execz .LBB68_60
; %bb.59:
	v_mov_b32_e32 v153, 2
	s_waitcnt vmcnt(31)
	ds_write2_b64 v152, v[128:129], v[130:131] offset0:6 offset1:7
	s_waitcnt vmcnt(30)
	ds_write2_b64 v152, v[124:125], v[126:127] offset0:8 offset1:9
	;; [unrolled: 2-line block ×32, first 2 shown]
.LBB68_60:
	s_or_b64 exec, exec, s[0:1]
	v_cmp_lt_i32_e32 vcc, 2, v153
	s_waitcnt lgkmcnt(0)
	s_barrier
	s_and_saveexec_b64 s[0:1], vcc
	s_cbranch_execz .LBB68_62
; %bb.61:
	ds_read2_b64 v[158:161], v152 offset0:6 offset1:7
	v_mul_f64 v[150:151], v[142:143], v[134:135]
	v_mul_f64 v[134:135], v[140:141], v[134:135]
	v_fma_f64 v[150:151], v[140:141], v[132:133], -v[150:151]
	v_fmac_f64_e32 v[134:135], v[142:143], v[132:133]
	ds_read2_b64 v[140:143], v152 offset0:8 offset1:9
	s_waitcnt lgkmcnt(1)
	v_mul_f64 v[132:133], v[160:161], v[134:135]
	v_fma_f64 v[132:133], v[158:159], v[150:151], -v[132:133]
	v_mul_f64 v[158:159], v[158:159], v[134:135]
	v_fmac_f64_e32 v[158:159], v[160:161], v[150:151]
	s_waitcnt vmcnt(31)
	v_add_f64 v[128:129], v[128:129], -v[132:133]
	s_waitcnt lgkmcnt(0)
	v_mul_f64 v[132:133], v[142:143], v[134:135]
	v_add_f64 v[130:131], v[130:131], -v[158:159]
	v_fma_f64 v[132:133], v[140:141], v[150:151], -v[132:133]
	v_mul_f64 v[140:141], v[140:141], v[134:135]
	ds_read2_b64 v[158:161], v152 offset0:10 offset1:11
	v_fmac_f64_e32 v[140:141], v[142:143], v[150:151]
	s_waitcnt vmcnt(30)
	v_add_f64 v[126:127], v[126:127], -v[140:141]
	ds_read2_b64 v[140:143], v152 offset0:12 offset1:13
	v_add_f64 v[124:125], v[124:125], -v[132:133]
	s_waitcnt lgkmcnt(1)
	v_mul_f64 v[132:133], v[160:161], v[134:135]
	v_fma_f64 v[132:133], v[158:159], v[150:151], -v[132:133]
	v_mul_f64 v[158:159], v[158:159], v[134:135]
	v_fmac_f64_e32 v[158:159], v[160:161], v[150:151]
	s_waitcnt vmcnt(29)
	v_add_f64 v[120:121], v[120:121], -v[132:133]
	s_waitcnt lgkmcnt(0)
	v_mul_f64 v[132:133], v[142:143], v[134:135]
	v_add_f64 v[122:123], v[122:123], -v[158:159]
	v_fma_f64 v[132:133], v[140:141], v[150:151], -v[132:133]
	v_mul_f64 v[140:141], v[140:141], v[134:135]
	ds_read2_b64 v[158:161], v152 offset0:14 offset1:15
	v_fmac_f64_e32 v[140:141], v[142:143], v[150:151]
	s_waitcnt vmcnt(28)
	v_add_f64 v[118:119], v[118:119], -v[140:141]
	ds_read2_b64 v[140:143], v152 offset0:16 offset1:17
	v_add_f64 v[116:117], v[116:117], -v[132:133]
	;; [unrolled: 18-line block ×15, first 2 shown]
	s_waitcnt lgkmcnt(1)
	v_mul_f64 v[132:133], v[160:161], v[134:135]
	v_fma_f64 v[132:133], v[158:159], v[150:151], -v[132:133]
	s_waitcnt vmcnt(1)
	v_add_f64 v[0:1], v[0:1], -v[132:133]
	s_waitcnt lgkmcnt(0)
	v_mul_f64 v[132:133], v[142:143], v[134:135]
	v_mul_f64 v[158:159], v[158:159], v[134:135]
	v_fma_f64 v[132:133], v[140:141], v[150:151], -v[132:133]
	v_mul_f64 v[140:141], v[140:141], v[134:135]
	v_fmac_f64_e32 v[158:159], v[160:161], v[150:151]
	v_fmac_f64_e32 v[140:141], v[142:143], v[150:151]
	v_add_f64 v[2:3], v[2:3], -v[158:159]
	s_waitcnt vmcnt(0)
	v_add_f64 v[136:137], v[136:137], -v[132:133]
	v_add_f64 v[138:139], v[138:139], -v[140:141]
	v_mov_b64_e32 v[132:133], v[150:151]
.LBB68_62:
	s_or_b64 exec, exec, s[0:1]
	v_lshl_add_u32 v140, v153, 4, v152
	s_barrier
	s_waitcnt vmcnt(31)
	ds_write2_b64 v140, v[128:129], v[130:131] offset1:1
	s_waitcnt lgkmcnt(0)
	s_barrier
	ds_read2_b64 v[140:143], v152 offset0:6 offset1:7
	s_mov_b32 s16, 4
	s_cmp_lt_i32 s20, 5
	v_mov_b32_e32 v150, 3
	s_cbranch_scc1 .LBB68_65
; %bb.63:
	v_add3_u32 v151, v156, 0, 64
	v_mov_b32_e32 v150, 3
.LBB68_64:                              ; =>This Inner Loop Header: Depth=1
	ds_read2_b64 v[156:159], v151 offset1:1
	s_waitcnt lgkmcnt(1)
	v_xor_b32_e32 v161, 0x80000000, v141
	v_xor_b32_e32 v163, 0x80000000, v143
	v_cmp_gt_f64_e32 vcc, 0, v[142:143]
	v_cmp_gt_f64_e64 s[0:1], 0, v[140:141]
	v_mov_b32_e32 v160, v140
	v_mov_b32_e32 v162, v142
	v_cndmask_b32_e64 v161, v141, v161, s[0:1]
	v_cndmask_b32_e32 v163, v143, v163, vcc
	v_add_f64 v[160:161], v[160:161], v[162:163]
	s_waitcnt lgkmcnt(0)
	v_xor_b32_e32 v163, 0x80000000, v157
	v_xor_b32_e32 v165, 0x80000000, v159
	v_cmp_gt_f64_e32 vcc, 0, v[158:159]
	v_cmp_gt_f64_e64 s[0:1], 0, v[156:157]
	v_mov_b32_e32 v162, v156
	v_mov_b32_e32 v164, v158
	v_cndmask_b32_e64 v163, v157, v163, s[0:1]
	v_cndmask_b32_e32 v165, v159, v165, vcc
	v_add_f64 v[162:163], v[162:163], v[164:165]
	v_mov_b32_e32 v166, s16
	s_add_i32 s16, s16, 1
	v_cmp_lt_f64_e32 vcc, v[160:161], v[162:163]
	v_add_u32_e32 v151, 16, v151
	s_cmp_lg_u32 s20, s16
	v_cndmask_b32_e32 v141, v141, v157, vcc
	v_cndmask_b32_e32 v140, v140, v156, vcc
	;; [unrolled: 1-line block ×5, first 2 shown]
	s_cbranch_scc1 .LBB68_64
.LBB68_65:
	s_waitcnt lgkmcnt(0)
	v_cmp_eq_f64_e32 vcc, 0, v[140:141]
	v_cmp_eq_f64_e64 s[0:1], 0, v[142:143]
	s_and_b64 s[0:1], vcc, s[0:1]
	s_and_saveexec_b64 s[16:17], s[0:1]
	s_xor_b64 s[0:1], exec, s[16:17]
; %bb.66:
	v_cmp_ne_u32_e32 vcc, 0, v154
	s_nop 1
	v_cndmask_b32_e32 v154, 4, v154, vcc
; %bb.67:
	s_andn2_saveexec_b64 s[0:1], s[0:1]
	s_cbranch_execz .LBB68_73
; %bb.68:
	v_cmp_ngt_f64_e64 s[16:17], |v[140:141]|, |v[142:143]|
	s_and_saveexec_b64 s[18:19], s[16:17]
	s_xor_b64 s[16:17], exec, s[18:19]
	s_cbranch_execz .LBB68_70
; %bb.69:
	v_div_scale_f64 v[156:157], s[18:19], v[142:143], v[142:143], v[140:141]
	v_rcp_f64_e32 v[158:159], v[156:157]
	v_div_scale_f64 v[160:161], vcc, v[140:141], v[142:143], v[140:141]
	v_fma_f64 v[162:163], -v[156:157], v[158:159], 1.0
	v_fmac_f64_e32 v[158:159], v[158:159], v[162:163]
	v_fma_f64 v[162:163], -v[156:157], v[158:159], 1.0
	v_fmac_f64_e32 v[158:159], v[158:159], v[162:163]
	v_mul_f64 v[162:163], v[160:161], v[158:159]
	v_fma_f64 v[156:157], -v[156:157], v[162:163], v[160:161]
	v_div_fmas_f64 v[156:157], v[156:157], v[158:159], v[162:163]
	v_div_fixup_f64 v[156:157], v[156:157], v[142:143], v[140:141]
	v_fmac_f64_e32 v[142:143], v[140:141], v[156:157]
	v_div_scale_f64 v[140:141], s[18:19], v[142:143], v[142:143], 1.0
	v_rcp_f64_e32 v[158:159], v[140:141]
	s_nop 0
	v_fma_f64 v[160:161], -v[140:141], v[158:159], 1.0
	v_fmac_f64_e32 v[158:159], v[158:159], v[160:161]
	v_fma_f64 v[160:161], -v[140:141], v[158:159], 1.0
	v_fmac_f64_e32 v[158:159], v[158:159], v[160:161]
	v_div_scale_f64 v[160:161], vcc, 1.0, v[142:143], 1.0
	v_mul_f64 v[162:163], v[160:161], v[158:159]
	v_fma_f64 v[140:141], -v[140:141], v[162:163], v[160:161]
	s_nop 1
	v_div_fmas_f64 v[140:141], v[140:141], v[158:159], v[162:163]
	v_div_fixup_f64 v[142:143], v[140:141], v[142:143], 1.0
	v_mul_f64 v[140:141], v[156:157], v[142:143]
	v_xor_b32_e32 v143, 0x80000000, v143
.LBB68_70:
	s_andn2_saveexec_b64 s[16:17], s[16:17]
	s_cbranch_execz .LBB68_72
; %bb.71:
	v_div_scale_f64 v[156:157], s[18:19], v[140:141], v[140:141], v[142:143]
	v_rcp_f64_e32 v[158:159], v[156:157]
	v_div_scale_f64 v[160:161], vcc, v[142:143], v[140:141], v[142:143]
	v_fma_f64 v[162:163], -v[156:157], v[158:159], 1.0
	v_fmac_f64_e32 v[158:159], v[158:159], v[162:163]
	v_fma_f64 v[162:163], -v[156:157], v[158:159], 1.0
	v_fmac_f64_e32 v[158:159], v[158:159], v[162:163]
	v_mul_f64 v[162:163], v[160:161], v[158:159]
	v_fma_f64 v[156:157], -v[156:157], v[162:163], v[160:161]
	v_div_fmas_f64 v[156:157], v[156:157], v[158:159], v[162:163]
	v_div_fixup_f64 v[156:157], v[156:157], v[140:141], v[142:143]
	v_fmac_f64_e32 v[140:141], v[142:143], v[156:157]
	v_div_scale_f64 v[142:143], s[18:19], v[140:141], v[140:141], 1.0
	v_rcp_f64_e32 v[158:159], v[142:143]
	s_nop 0
	v_fma_f64 v[160:161], -v[142:143], v[158:159], 1.0
	v_fmac_f64_e32 v[158:159], v[158:159], v[160:161]
	v_fma_f64 v[160:161], -v[142:143], v[158:159], 1.0
	v_fmac_f64_e32 v[158:159], v[158:159], v[160:161]
	v_div_scale_f64 v[160:161], vcc, 1.0, v[140:141], 1.0
	v_mul_f64 v[162:163], v[160:161], v[158:159]
	v_fma_f64 v[142:143], -v[142:143], v[162:163], v[160:161]
	s_nop 1
	v_div_fmas_f64 v[142:143], v[142:143], v[158:159], v[162:163]
	v_div_fixup_f64 v[140:141], v[142:143], v[140:141], 1.0
	v_mul_f64 v[142:143], v[156:157], -v[140:141]
.LBB68_72:
	s_or_b64 exec, exec, s[16:17]
.LBB68_73:
	s_or_b64 exec, exec, s[0:1]
	v_cmp_ne_u32_e32 vcc, v153, v150
	s_and_saveexec_b64 s[0:1], vcc
	s_xor_b64 s[0:1], exec, s[0:1]
	s_cbranch_execz .LBB68_79
; %bb.74:
	v_cmp_eq_u32_e32 vcc, 3, v153
	s_and_saveexec_b64 s[16:17], vcc
	s_cbranch_execz .LBB68_78
; %bb.75:
	v_cmp_ne_u32_e32 vcc, 3, v150
	s_xor_b64 s[18:19], s[14:15], -1
	s_and_b64 s[22:23], s[18:19], vcc
	s_and_saveexec_b64 s[18:19], s[22:23]
	s_cbranch_execz .LBB68_77
; %bb.76:
	v_ashrrev_i32_e32 v151, 31, v150
	v_lshl_add_u64 v[156:157], v[150:151], 2, v[148:149]
	global_load_dword v151, v[156:157], off
	global_load_dword v153, v[148:149], off offset:12
	s_waitcnt vmcnt(1)
	global_store_dword v[148:149], v151, off offset:12
	s_waitcnt vmcnt(1)
	global_store_dword v[156:157], v153, off
.LBB68_77:
	s_or_b64 exec, exec, s[18:19]
	v_mov_b32_e32 v153, v150
	v_mov_b32_e32 v155, v150
.LBB68_78:
	s_or_b64 exec, exec, s[16:17]
.LBB68_79:
	s_andn2_saveexec_b64 s[0:1], s[0:1]
	s_cbranch_execz .LBB68_81
; %bb.80:
	v_mov_b32_e32 v153, 3
	s_waitcnt vmcnt(30)
	ds_write2_b64 v152, v[124:125], v[126:127] offset0:8 offset1:9
	s_waitcnt vmcnt(29)
	ds_write2_b64 v152, v[120:121], v[122:123] offset0:10 offset1:11
	;; [unrolled: 2-line block ×31, first 2 shown]
.LBB68_81:
	s_or_b64 exec, exec, s[0:1]
	v_cmp_lt_i32_e32 vcc, 3, v153
	s_waitcnt lgkmcnt(0)
	s_barrier
	s_and_saveexec_b64 s[0:1], vcc
	s_cbranch_execz .LBB68_83
; %bb.82:
	ds_read2_b64 v[156:159], v152 offset0:8 offset1:9
	v_mul_f64 v[150:151], v[142:143], v[130:131]
	v_mul_f64 v[130:131], v[140:141], v[130:131]
	v_fmac_f64_e32 v[130:131], v[142:143], v[128:129]
	v_fma_f64 v[150:151], v[140:141], v[128:129], -v[150:151]
	ds_read2_b64 v[140:143], v152 offset0:10 offset1:11
	s_waitcnt lgkmcnt(1)
	v_mul_f64 v[128:129], v[158:159], v[130:131]
	v_fma_f64 v[128:129], v[156:157], v[150:151], -v[128:129]
	v_mul_f64 v[156:157], v[156:157], v[130:131]
	v_fmac_f64_e32 v[156:157], v[158:159], v[150:151]
	s_waitcnt vmcnt(30)
	v_add_f64 v[126:127], v[126:127], -v[156:157]
	ds_read2_b64 v[156:159], v152 offset0:12 offset1:13
	v_add_f64 v[124:125], v[124:125], -v[128:129]
	s_waitcnt lgkmcnt(1)
	v_mul_f64 v[128:129], v[142:143], v[130:131]
	v_fma_f64 v[128:129], v[140:141], v[150:151], -v[128:129]
	v_mul_f64 v[140:141], v[140:141], v[130:131]
	v_fmac_f64_e32 v[140:141], v[142:143], v[150:151]
	s_waitcnt vmcnt(29)
	v_add_f64 v[120:121], v[120:121], -v[128:129]
	v_add_f64 v[122:123], v[122:123], -v[140:141]
	ds_read2_b64 v[140:143], v152 offset0:14 offset1:15
	s_waitcnt lgkmcnt(1)
	v_mul_f64 v[128:129], v[158:159], v[130:131]
	v_fma_f64 v[128:129], v[156:157], v[150:151], -v[128:129]
	v_mul_f64 v[156:157], v[156:157], v[130:131]
	v_fmac_f64_e32 v[156:157], v[158:159], v[150:151]
	s_waitcnt vmcnt(28)
	v_add_f64 v[118:119], v[118:119], -v[156:157]
	ds_read2_b64 v[156:159], v152 offset0:16 offset1:17
	v_add_f64 v[116:117], v[116:117], -v[128:129]
	s_waitcnt lgkmcnt(1)
	v_mul_f64 v[128:129], v[142:143], v[130:131]
	v_fma_f64 v[128:129], v[140:141], v[150:151], -v[128:129]
	v_mul_f64 v[140:141], v[140:141], v[130:131]
	v_fmac_f64_e32 v[140:141], v[142:143], v[150:151]
	s_waitcnt vmcnt(27)
	v_add_f64 v[112:113], v[112:113], -v[128:129]
	v_add_f64 v[114:115], v[114:115], -v[140:141]
	;; [unrolled: 18-line block ×15, first 2 shown]
	s_waitcnt lgkmcnt(0)
	v_mul_f64 v[128:129], v[158:159], v[130:131]
	v_mul_f64 v[140:141], v[156:157], v[130:131]
	v_fma_f64 v[128:129], v[156:157], v[150:151], -v[128:129]
	v_fmac_f64_e32 v[140:141], v[158:159], v[150:151]
	s_waitcnt vmcnt(0)
	v_add_f64 v[136:137], v[136:137], -v[128:129]
	v_add_f64 v[138:139], v[138:139], -v[140:141]
	v_mov_b64_e32 v[128:129], v[150:151]
.LBB68_83:
	s_or_b64 exec, exec, s[0:1]
	v_lshl_add_u32 v140, v153, 4, v152
	s_barrier
	s_waitcnt vmcnt(30)
	ds_write2_b64 v140, v[124:125], v[126:127] offset1:1
	s_waitcnt lgkmcnt(0)
	s_barrier
	ds_read2_b64 v[140:143], v152 offset0:8 offset1:9
	s_cmp_lt_i32 s20, 6
	v_mov_b32_e32 v150, 4
	s_cbranch_scc1 .LBB68_86
; %bb.84:
	v_mov_b32_e32 v150, 4
	v_add_u32_e32 v151, 0x50, v152
	s_mov_b32 s16, 5
.LBB68_85:                              ; =>This Inner Loop Header: Depth=1
	ds_read2_b64 v[156:159], v151 offset1:1
	s_waitcnt lgkmcnt(1)
	v_xor_b32_e32 v161, 0x80000000, v141
	v_xor_b32_e32 v163, 0x80000000, v143
	v_cmp_gt_f64_e32 vcc, 0, v[142:143]
	v_cmp_gt_f64_e64 s[0:1], 0, v[140:141]
	v_mov_b32_e32 v160, v140
	v_mov_b32_e32 v162, v142
	v_cndmask_b32_e64 v161, v141, v161, s[0:1]
	v_cndmask_b32_e32 v163, v143, v163, vcc
	v_add_f64 v[160:161], v[160:161], v[162:163]
	s_waitcnt lgkmcnt(0)
	v_xor_b32_e32 v163, 0x80000000, v157
	v_xor_b32_e32 v165, 0x80000000, v159
	v_cmp_gt_f64_e32 vcc, 0, v[158:159]
	v_cmp_gt_f64_e64 s[0:1], 0, v[156:157]
	v_mov_b32_e32 v162, v156
	v_mov_b32_e32 v164, v158
	v_cndmask_b32_e64 v163, v157, v163, s[0:1]
	v_cndmask_b32_e32 v165, v159, v165, vcc
	v_add_f64 v[162:163], v[162:163], v[164:165]
	v_mov_b32_e32 v166, s16
	s_add_i32 s16, s16, 1
	v_cmp_lt_f64_e32 vcc, v[160:161], v[162:163]
	v_add_u32_e32 v151, 16, v151
	s_cmp_lg_u32 s20, s16
	v_cndmask_b32_e32 v141, v141, v157, vcc
	v_cndmask_b32_e32 v140, v140, v156, vcc
	;; [unrolled: 1-line block ×5, first 2 shown]
	s_cbranch_scc1 .LBB68_85
.LBB68_86:
	s_waitcnt lgkmcnt(0)
	v_cmp_eq_f64_e32 vcc, 0, v[140:141]
	v_cmp_eq_f64_e64 s[0:1], 0, v[142:143]
	s_and_b64 s[0:1], vcc, s[0:1]
	s_and_saveexec_b64 s[16:17], s[0:1]
	s_xor_b64 s[0:1], exec, s[16:17]
; %bb.87:
	v_cmp_ne_u32_e32 vcc, 0, v154
	s_nop 1
	v_cndmask_b32_e32 v154, 5, v154, vcc
; %bb.88:
	s_andn2_saveexec_b64 s[0:1], s[0:1]
	s_cbranch_execz .LBB68_94
; %bb.89:
	v_cmp_ngt_f64_e64 s[16:17], |v[140:141]|, |v[142:143]|
	s_and_saveexec_b64 s[18:19], s[16:17]
	s_xor_b64 s[16:17], exec, s[18:19]
	s_cbranch_execz .LBB68_91
; %bb.90:
	v_div_scale_f64 v[156:157], s[18:19], v[142:143], v[142:143], v[140:141]
	v_rcp_f64_e32 v[158:159], v[156:157]
	v_div_scale_f64 v[160:161], vcc, v[140:141], v[142:143], v[140:141]
	v_fma_f64 v[162:163], -v[156:157], v[158:159], 1.0
	v_fmac_f64_e32 v[158:159], v[158:159], v[162:163]
	v_fma_f64 v[162:163], -v[156:157], v[158:159], 1.0
	v_fmac_f64_e32 v[158:159], v[158:159], v[162:163]
	v_mul_f64 v[162:163], v[160:161], v[158:159]
	v_fma_f64 v[156:157], -v[156:157], v[162:163], v[160:161]
	v_div_fmas_f64 v[156:157], v[156:157], v[158:159], v[162:163]
	v_div_fixup_f64 v[156:157], v[156:157], v[142:143], v[140:141]
	v_fmac_f64_e32 v[142:143], v[140:141], v[156:157]
	v_div_scale_f64 v[140:141], s[18:19], v[142:143], v[142:143], 1.0
	v_rcp_f64_e32 v[158:159], v[140:141]
	s_nop 0
	v_fma_f64 v[160:161], -v[140:141], v[158:159], 1.0
	v_fmac_f64_e32 v[158:159], v[158:159], v[160:161]
	v_fma_f64 v[160:161], -v[140:141], v[158:159], 1.0
	v_fmac_f64_e32 v[158:159], v[158:159], v[160:161]
	v_div_scale_f64 v[160:161], vcc, 1.0, v[142:143], 1.0
	v_mul_f64 v[162:163], v[160:161], v[158:159]
	v_fma_f64 v[140:141], -v[140:141], v[162:163], v[160:161]
	s_nop 1
	v_div_fmas_f64 v[140:141], v[140:141], v[158:159], v[162:163]
	v_div_fixup_f64 v[142:143], v[140:141], v[142:143], 1.0
	v_mul_f64 v[140:141], v[156:157], v[142:143]
	v_xor_b32_e32 v143, 0x80000000, v143
.LBB68_91:
	s_andn2_saveexec_b64 s[16:17], s[16:17]
	s_cbranch_execz .LBB68_93
; %bb.92:
	v_div_scale_f64 v[156:157], s[18:19], v[140:141], v[140:141], v[142:143]
	v_rcp_f64_e32 v[158:159], v[156:157]
	v_div_scale_f64 v[160:161], vcc, v[142:143], v[140:141], v[142:143]
	v_fma_f64 v[162:163], -v[156:157], v[158:159], 1.0
	v_fmac_f64_e32 v[158:159], v[158:159], v[162:163]
	v_fma_f64 v[162:163], -v[156:157], v[158:159], 1.0
	v_fmac_f64_e32 v[158:159], v[158:159], v[162:163]
	v_mul_f64 v[162:163], v[160:161], v[158:159]
	v_fma_f64 v[156:157], -v[156:157], v[162:163], v[160:161]
	v_div_fmas_f64 v[156:157], v[156:157], v[158:159], v[162:163]
	v_div_fixup_f64 v[156:157], v[156:157], v[140:141], v[142:143]
	v_fmac_f64_e32 v[140:141], v[142:143], v[156:157]
	v_div_scale_f64 v[142:143], s[18:19], v[140:141], v[140:141], 1.0
	v_rcp_f64_e32 v[158:159], v[142:143]
	s_nop 0
	v_fma_f64 v[160:161], -v[142:143], v[158:159], 1.0
	v_fmac_f64_e32 v[158:159], v[158:159], v[160:161]
	v_fma_f64 v[160:161], -v[142:143], v[158:159], 1.0
	v_fmac_f64_e32 v[158:159], v[158:159], v[160:161]
	v_div_scale_f64 v[160:161], vcc, 1.0, v[140:141], 1.0
	v_mul_f64 v[162:163], v[160:161], v[158:159]
	v_fma_f64 v[142:143], -v[142:143], v[162:163], v[160:161]
	s_nop 1
	v_div_fmas_f64 v[142:143], v[142:143], v[158:159], v[162:163]
	v_div_fixup_f64 v[140:141], v[142:143], v[140:141], 1.0
	v_mul_f64 v[142:143], v[156:157], -v[140:141]
.LBB68_93:
	s_or_b64 exec, exec, s[16:17]
.LBB68_94:
	s_or_b64 exec, exec, s[0:1]
	v_cmp_ne_u32_e32 vcc, v153, v150
	s_and_saveexec_b64 s[0:1], vcc
	s_xor_b64 s[0:1], exec, s[0:1]
	s_cbranch_execz .LBB68_100
; %bb.95:
	v_cmp_eq_u32_e32 vcc, 4, v153
	s_and_saveexec_b64 s[16:17], vcc
	s_cbranch_execz .LBB68_99
; %bb.96:
	v_cmp_ne_u32_e32 vcc, 4, v150
	s_xor_b64 s[18:19], s[14:15], -1
	s_and_b64 s[22:23], s[18:19], vcc
	s_and_saveexec_b64 s[18:19], s[22:23]
	s_cbranch_execz .LBB68_98
; %bb.97:
	v_ashrrev_i32_e32 v151, 31, v150
	v_lshl_add_u64 v[156:157], v[150:151], 2, v[148:149]
	global_load_dword v151, v[156:157], off
	global_load_dword v153, v[148:149], off offset:16
	s_waitcnt vmcnt(1)
	global_store_dword v[148:149], v151, off offset:16
	s_waitcnt vmcnt(1)
	global_store_dword v[156:157], v153, off
.LBB68_98:
	s_or_b64 exec, exec, s[18:19]
	v_mov_b32_e32 v153, v150
	v_mov_b32_e32 v155, v150
.LBB68_99:
	s_or_b64 exec, exec, s[16:17]
.LBB68_100:
	s_andn2_saveexec_b64 s[0:1], s[0:1]
	s_cbranch_execz .LBB68_102
; %bb.101:
	v_mov_b32_e32 v153, 4
	s_waitcnt vmcnt(29)
	ds_write2_b64 v152, v[120:121], v[122:123] offset0:10 offset1:11
	s_waitcnt vmcnt(28)
	ds_write2_b64 v152, v[116:117], v[118:119] offset0:12 offset1:13
	;; [unrolled: 2-line block ×30, first 2 shown]
.LBB68_102:
	s_or_b64 exec, exec, s[0:1]
	v_cmp_lt_i32_e32 vcc, 4, v153
	s_waitcnt lgkmcnt(0)
	s_barrier
	s_and_saveexec_b64 s[0:1], vcc
	s_cbranch_execz .LBB68_104
; %bb.103:
	ds_read2_b64 v[156:159], v152 offset0:10 offset1:11
	v_mul_f64 v[150:151], v[142:143], v[126:127]
	v_mul_f64 v[126:127], v[140:141], v[126:127]
	v_fma_f64 v[150:151], v[140:141], v[124:125], -v[150:151]
	v_fmac_f64_e32 v[126:127], v[142:143], v[124:125]
	ds_read2_b64 v[140:143], v152 offset0:12 offset1:13
	s_waitcnt lgkmcnt(1)
	v_mul_f64 v[124:125], v[158:159], v[126:127]
	v_fma_f64 v[124:125], v[156:157], v[150:151], -v[124:125]
	v_mul_f64 v[156:157], v[156:157], v[126:127]
	v_fmac_f64_e32 v[156:157], v[158:159], v[150:151]
	s_waitcnt vmcnt(29)
	v_add_f64 v[120:121], v[120:121], -v[124:125]
	s_waitcnt lgkmcnt(0)
	v_mul_f64 v[124:125], v[142:143], v[126:127]
	v_add_f64 v[122:123], v[122:123], -v[156:157]
	v_fma_f64 v[124:125], v[140:141], v[150:151], -v[124:125]
	v_mul_f64 v[140:141], v[140:141], v[126:127]
	ds_read2_b64 v[156:159], v152 offset0:14 offset1:15
	v_fmac_f64_e32 v[140:141], v[142:143], v[150:151]
	s_waitcnt vmcnt(28)
	v_add_f64 v[118:119], v[118:119], -v[140:141]
	ds_read2_b64 v[140:143], v152 offset0:16 offset1:17
	v_add_f64 v[116:117], v[116:117], -v[124:125]
	s_waitcnt lgkmcnt(1)
	v_mul_f64 v[124:125], v[158:159], v[126:127]
	v_fma_f64 v[124:125], v[156:157], v[150:151], -v[124:125]
	v_mul_f64 v[156:157], v[156:157], v[126:127]
	v_fmac_f64_e32 v[156:157], v[158:159], v[150:151]
	s_waitcnt vmcnt(27)
	v_add_f64 v[112:113], v[112:113], -v[124:125]
	s_waitcnt lgkmcnt(0)
	v_mul_f64 v[124:125], v[142:143], v[126:127]
	v_add_f64 v[114:115], v[114:115], -v[156:157]
	v_fma_f64 v[124:125], v[140:141], v[150:151], -v[124:125]
	v_mul_f64 v[140:141], v[140:141], v[126:127]
	ds_read2_b64 v[156:159], v152 offset0:18 offset1:19
	v_fmac_f64_e32 v[140:141], v[142:143], v[150:151]
	s_waitcnt vmcnt(26)
	v_add_f64 v[110:111], v[110:111], -v[140:141]
	ds_read2_b64 v[140:143], v152 offset0:20 offset1:21
	v_add_f64 v[108:109], v[108:109], -v[124:125]
	s_waitcnt lgkmcnt(1)
	v_mul_f64 v[124:125], v[158:159], v[126:127]
	v_fma_f64 v[124:125], v[156:157], v[150:151], -v[124:125]
	v_mul_f64 v[156:157], v[156:157], v[126:127]
	v_fmac_f64_e32 v[156:157], v[158:159], v[150:151]
	s_waitcnt vmcnt(25)
	v_add_f64 v[104:105], v[104:105], -v[124:125]
	s_waitcnt lgkmcnt(0)
	v_mul_f64 v[124:125], v[142:143], v[126:127]
	v_add_f64 v[106:107], v[106:107], -v[156:157]
	v_fma_f64 v[124:125], v[140:141], v[150:151], -v[124:125]
	v_mul_f64 v[140:141], v[140:141], v[126:127]
	ds_read2_b64 v[156:159], v152 offset0:22 offset1:23
	v_fmac_f64_e32 v[140:141], v[142:143], v[150:151]
	s_waitcnt vmcnt(24)
	v_add_f64 v[102:103], v[102:103], -v[140:141]
	ds_read2_b64 v[140:143], v152 offset0:24 offset1:25
	v_add_f64 v[100:101], v[100:101], -v[124:125]
	s_waitcnt lgkmcnt(1)
	v_mul_f64 v[124:125], v[158:159], v[126:127]
	v_fma_f64 v[124:125], v[156:157], v[150:151], -v[124:125]
	v_mul_f64 v[156:157], v[156:157], v[126:127]
	v_fmac_f64_e32 v[156:157], v[158:159], v[150:151]
	s_waitcnt vmcnt(23)
	v_add_f64 v[88:89], v[88:89], -v[124:125]
	s_waitcnt lgkmcnt(0)
	v_mul_f64 v[124:125], v[142:143], v[126:127]
	v_add_f64 v[90:91], v[90:91], -v[156:157]
	v_fma_f64 v[124:125], v[140:141], v[150:151], -v[124:125]
	v_mul_f64 v[140:141], v[140:141], v[126:127]
	ds_read2_b64 v[156:159], v152 offset0:26 offset1:27
	v_fmac_f64_e32 v[140:141], v[142:143], v[150:151]
	s_waitcnt vmcnt(22)
	v_add_f64 v[82:83], v[82:83], -v[140:141]
	ds_read2_b64 v[140:143], v152 offset0:28 offset1:29
	v_add_f64 v[80:81], v[80:81], -v[124:125]
	s_waitcnt lgkmcnt(1)
	v_mul_f64 v[124:125], v[158:159], v[126:127]
	v_fma_f64 v[124:125], v[156:157], v[150:151], -v[124:125]
	v_mul_f64 v[156:157], v[156:157], v[126:127]
	v_fmac_f64_e32 v[156:157], v[158:159], v[150:151]
	s_waitcnt vmcnt(21)
	v_add_f64 v[84:85], v[84:85], -v[124:125]
	s_waitcnt lgkmcnt(0)
	v_mul_f64 v[124:125], v[142:143], v[126:127]
	v_add_f64 v[86:87], v[86:87], -v[156:157]
	v_fma_f64 v[124:125], v[140:141], v[150:151], -v[124:125]
	v_mul_f64 v[140:141], v[140:141], v[126:127]
	ds_read2_b64 v[156:159], v152 offset0:30 offset1:31
	v_fmac_f64_e32 v[140:141], v[142:143], v[150:151]
	s_waitcnt vmcnt(20)
	v_add_f64 v[78:79], v[78:79], -v[140:141]
	ds_read2_b64 v[140:143], v152 offset0:32 offset1:33
	v_add_f64 v[76:77], v[76:77], -v[124:125]
	s_waitcnt lgkmcnt(1)
	v_mul_f64 v[124:125], v[158:159], v[126:127]
	v_fma_f64 v[124:125], v[156:157], v[150:151], -v[124:125]
	v_mul_f64 v[156:157], v[156:157], v[126:127]
	v_fmac_f64_e32 v[156:157], v[158:159], v[150:151]
	s_waitcnt vmcnt(19)
	v_add_f64 v[72:73], v[72:73], -v[124:125]
	s_waitcnt lgkmcnt(0)
	v_mul_f64 v[124:125], v[142:143], v[126:127]
	v_add_f64 v[74:75], v[74:75], -v[156:157]
	v_fma_f64 v[124:125], v[140:141], v[150:151], -v[124:125]
	v_mul_f64 v[140:141], v[140:141], v[126:127]
	ds_read2_b64 v[156:159], v152 offset0:34 offset1:35
	v_fmac_f64_e32 v[140:141], v[142:143], v[150:151]
	s_waitcnt vmcnt(18)
	v_add_f64 v[70:71], v[70:71], -v[140:141]
	ds_read2_b64 v[140:143], v152 offset0:36 offset1:37
	v_add_f64 v[68:69], v[68:69], -v[124:125]
	s_waitcnt lgkmcnt(1)
	v_mul_f64 v[124:125], v[158:159], v[126:127]
	v_fma_f64 v[124:125], v[156:157], v[150:151], -v[124:125]
	v_mul_f64 v[156:157], v[156:157], v[126:127]
	v_fmac_f64_e32 v[156:157], v[158:159], v[150:151]
	s_waitcnt vmcnt(17)
	v_add_f64 v[64:65], v[64:65], -v[124:125]
	s_waitcnt lgkmcnt(0)
	v_mul_f64 v[124:125], v[142:143], v[126:127]
	v_add_f64 v[66:67], v[66:67], -v[156:157]
	v_fma_f64 v[124:125], v[140:141], v[150:151], -v[124:125]
	v_mul_f64 v[140:141], v[140:141], v[126:127]
	ds_read2_b64 v[156:159], v152 offset0:38 offset1:39
	v_fmac_f64_e32 v[140:141], v[142:143], v[150:151]
	s_waitcnt vmcnt(16)
	v_add_f64 v[62:63], v[62:63], -v[140:141]
	ds_read2_b64 v[140:143], v152 offset0:40 offset1:41
	v_add_f64 v[60:61], v[60:61], -v[124:125]
	s_waitcnt lgkmcnt(1)
	v_mul_f64 v[124:125], v[158:159], v[126:127]
	v_fma_f64 v[124:125], v[156:157], v[150:151], -v[124:125]
	v_mul_f64 v[156:157], v[156:157], v[126:127]
	v_fmac_f64_e32 v[156:157], v[158:159], v[150:151]
	s_waitcnt vmcnt(15)
	v_add_f64 v[56:57], v[56:57], -v[124:125]
	s_waitcnt lgkmcnt(0)
	v_mul_f64 v[124:125], v[142:143], v[126:127]
	v_add_f64 v[58:59], v[58:59], -v[156:157]
	v_fma_f64 v[124:125], v[140:141], v[150:151], -v[124:125]
	v_mul_f64 v[140:141], v[140:141], v[126:127]
	ds_read2_b64 v[156:159], v152 offset0:42 offset1:43
	v_fmac_f64_e32 v[140:141], v[142:143], v[150:151]
	s_waitcnt vmcnt(14)
	v_add_f64 v[54:55], v[54:55], -v[140:141]
	ds_read2_b64 v[140:143], v152 offset0:44 offset1:45
	v_add_f64 v[52:53], v[52:53], -v[124:125]
	s_waitcnt lgkmcnt(1)
	v_mul_f64 v[124:125], v[158:159], v[126:127]
	v_fma_f64 v[124:125], v[156:157], v[150:151], -v[124:125]
	v_mul_f64 v[156:157], v[156:157], v[126:127]
	v_fmac_f64_e32 v[156:157], v[158:159], v[150:151]
	s_waitcnt vmcnt(13)
	v_add_f64 v[48:49], v[48:49], -v[124:125]
	s_waitcnt lgkmcnt(0)
	v_mul_f64 v[124:125], v[142:143], v[126:127]
	v_add_f64 v[50:51], v[50:51], -v[156:157]
	v_fma_f64 v[124:125], v[140:141], v[150:151], -v[124:125]
	v_mul_f64 v[140:141], v[140:141], v[126:127]
	ds_read2_b64 v[156:159], v152 offset0:46 offset1:47
	v_fmac_f64_e32 v[140:141], v[142:143], v[150:151]
	s_waitcnt vmcnt(12)
	v_add_f64 v[46:47], v[46:47], -v[140:141]
	ds_read2_b64 v[140:143], v152 offset0:48 offset1:49
	v_add_f64 v[44:45], v[44:45], -v[124:125]
	s_waitcnt lgkmcnt(1)
	v_mul_f64 v[124:125], v[158:159], v[126:127]
	v_fma_f64 v[124:125], v[156:157], v[150:151], -v[124:125]
	v_mul_f64 v[156:157], v[156:157], v[126:127]
	v_fmac_f64_e32 v[156:157], v[158:159], v[150:151]
	s_waitcnt vmcnt(11)
	v_add_f64 v[40:41], v[40:41], -v[124:125]
	s_waitcnt lgkmcnt(0)
	v_mul_f64 v[124:125], v[142:143], v[126:127]
	v_add_f64 v[42:43], v[42:43], -v[156:157]
	v_fma_f64 v[124:125], v[140:141], v[150:151], -v[124:125]
	v_mul_f64 v[140:141], v[140:141], v[126:127]
	ds_read2_b64 v[156:159], v152 offset0:50 offset1:51
	v_fmac_f64_e32 v[140:141], v[142:143], v[150:151]
	s_waitcnt vmcnt(10)
	v_add_f64 v[38:39], v[38:39], -v[140:141]
	ds_read2_b64 v[140:143], v152 offset0:52 offset1:53
	v_add_f64 v[36:37], v[36:37], -v[124:125]
	s_waitcnt lgkmcnt(1)
	v_mul_f64 v[124:125], v[158:159], v[126:127]
	v_fma_f64 v[124:125], v[156:157], v[150:151], -v[124:125]
	v_mul_f64 v[156:157], v[156:157], v[126:127]
	v_fmac_f64_e32 v[156:157], v[158:159], v[150:151]
	s_waitcnt vmcnt(9)
	v_add_f64 v[32:33], v[32:33], -v[124:125]
	s_waitcnt lgkmcnt(0)
	v_mul_f64 v[124:125], v[142:143], v[126:127]
	v_add_f64 v[34:35], v[34:35], -v[156:157]
	v_fma_f64 v[124:125], v[140:141], v[150:151], -v[124:125]
	v_mul_f64 v[140:141], v[140:141], v[126:127]
	ds_read2_b64 v[156:159], v152 offset0:54 offset1:55
	v_fmac_f64_e32 v[140:141], v[142:143], v[150:151]
	s_waitcnt vmcnt(8)
	v_add_f64 v[30:31], v[30:31], -v[140:141]
	ds_read2_b64 v[140:143], v152 offset0:56 offset1:57
	v_add_f64 v[28:29], v[28:29], -v[124:125]
	s_waitcnt lgkmcnt(1)
	v_mul_f64 v[124:125], v[158:159], v[126:127]
	v_fma_f64 v[124:125], v[156:157], v[150:151], -v[124:125]
	v_mul_f64 v[156:157], v[156:157], v[126:127]
	v_fmac_f64_e32 v[156:157], v[158:159], v[150:151]
	s_waitcnt vmcnt(7)
	v_add_f64 v[24:25], v[24:25], -v[124:125]
	s_waitcnt lgkmcnt(0)
	v_mul_f64 v[124:125], v[142:143], v[126:127]
	v_add_f64 v[26:27], v[26:27], -v[156:157]
	v_fma_f64 v[124:125], v[140:141], v[150:151], -v[124:125]
	v_mul_f64 v[140:141], v[140:141], v[126:127]
	ds_read2_b64 v[156:159], v152 offset0:58 offset1:59
	v_fmac_f64_e32 v[140:141], v[142:143], v[150:151]
	s_waitcnt vmcnt(6)
	v_add_f64 v[22:23], v[22:23], -v[140:141]
	ds_read2_b64 v[140:143], v152 offset0:60 offset1:61
	v_add_f64 v[20:21], v[20:21], -v[124:125]
	s_waitcnt lgkmcnt(1)
	v_mul_f64 v[124:125], v[158:159], v[126:127]
	v_fma_f64 v[124:125], v[156:157], v[150:151], -v[124:125]
	v_mul_f64 v[156:157], v[156:157], v[126:127]
	v_fmac_f64_e32 v[156:157], v[158:159], v[150:151]
	s_waitcnt vmcnt(5)
	v_add_f64 v[16:17], v[16:17], -v[124:125]
	s_waitcnt lgkmcnt(0)
	v_mul_f64 v[124:125], v[142:143], v[126:127]
	v_add_f64 v[18:19], v[18:19], -v[156:157]
	v_fma_f64 v[124:125], v[140:141], v[150:151], -v[124:125]
	v_mul_f64 v[140:141], v[140:141], v[126:127]
	ds_read2_b64 v[156:159], v152 offset0:62 offset1:63
	v_fmac_f64_e32 v[140:141], v[142:143], v[150:151]
	s_waitcnt vmcnt(4)
	v_add_f64 v[14:15], v[14:15], -v[140:141]
	ds_read2_b64 v[140:143], v152 offset0:64 offset1:65
	v_add_f64 v[12:13], v[12:13], -v[124:125]
	s_waitcnt lgkmcnt(1)
	v_mul_f64 v[124:125], v[158:159], v[126:127]
	v_fma_f64 v[124:125], v[156:157], v[150:151], -v[124:125]
	v_mul_f64 v[156:157], v[156:157], v[126:127]
	v_fmac_f64_e32 v[156:157], v[158:159], v[150:151]
	s_waitcnt vmcnt(3)
	v_add_f64 v[8:9], v[8:9], -v[124:125]
	s_waitcnt lgkmcnt(0)
	v_mul_f64 v[124:125], v[142:143], v[126:127]
	v_add_f64 v[10:11], v[10:11], -v[156:157]
	v_fma_f64 v[124:125], v[140:141], v[150:151], -v[124:125]
	v_mul_f64 v[140:141], v[140:141], v[126:127]
	ds_read2_b64 v[156:159], v152 offset0:66 offset1:67
	v_fmac_f64_e32 v[140:141], v[142:143], v[150:151]
	s_waitcnt vmcnt(2)
	v_add_f64 v[6:7], v[6:7], -v[140:141]
	ds_read2_b64 v[140:143], v152 offset0:68 offset1:69
	v_add_f64 v[4:5], v[4:5], -v[124:125]
	s_waitcnt lgkmcnt(1)
	v_mul_f64 v[124:125], v[158:159], v[126:127]
	v_fma_f64 v[124:125], v[156:157], v[150:151], -v[124:125]
	s_waitcnt vmcnt(1)
	v_add_f64 v[0:1], v[0:1], -v[124:125]
	s_waitcnt lgkmcnt(0)
	v_mul_f64 v[124:125], v[142:143], v[126:127]
	v_mul_f64 v[156:157], v[156:157], v[126:127]
	v_fma_f64 v[124:125], v[140:141], v[150:151], -v[124:125]
	v_mul_f64 v[140:141], v[140:141], v[126:127]
	v_fmac_f64_e32 v[156:157], v[158:159], v[150:151]
	v_fmac_f64_e32 v[140:141], v[142:143], v[150:151]
	v_add_f64 v[2:3], v[2:3], -v[156:157]
	s_waitcnt vmcnt(0)
	v_add_f64 v[136:137], v[136:137], -v[124:125]
	v_add_f64 v[138:139], v[138:139], -v[140:141]
	v_mov_b64_e32 v[124:125], v[150:151]
.LBB68_104:
	s_or_b64 exec, exec, s[0:1]
	v_lshl_add_u32 v140, v153, 4, v152
	s_barrier
	s_waitcnt vmcnt(29)
	ds_write2_b64 v140, v[120:121], v[122:123] offset1:1
	s_waitcnt lgkmcnt(0)
	s_barrier
	ds_read2_b64 v[140:143], v152 offset0:10 offset1:11
	s_cmp_lt_i32 s20, 7
	v_mov_b32_e32 v150, 5
	s_cbranch_scc1 .LBB68_107
; %bb.105:
	v_add_u32_e32 v151, 0x60, v152
	s_mov_b32 s16, 6
	v_mov_b32_e32 v150, 5
.LBB68_106:                             ; =>This Inner Loop Header: Depth=1
	ds_read2_b64 v[156:159], v151 offset1:1
	s_waitcnt lgkmcnt(1)
	v_xor_b32_e32 v161, 0x80000000, v141
	v_xor_b32_e32 v163, 0x80000000, v143
	v_cmp_gt_f64_e32 vcc, 0, v[142:143]
	v_cmp_gt_f64_e64 s[0:1], 0, v[140:141]
	v_mov_b32_e32 v160, v140
	v_mov_b32_e32 v162, v142
	v_cndmask_b32_e64 v161, v141, v161, s[0:1]
	v_cndmask_b32_e32 v163, v143, v163, vcc
	v_add_f64 v[160:161], v[160:161], v[162:163]
	s_waitcnt lgkmcnt(0)
	v_xor_b32_e32 v163, 0x80000000, v157
	v_xor_b32_e32 v165, 0x80000000, v159
	v_cmp_gt_f64_e32 vcc, 0, v[158:159]
	v_cmp_gt_f64_e64 s[0:1], 0, v[156:157]
	v_mov_b32_e32 v162, v156
	v_mov_b32_e32 v164, v158
	v_cndmask_b32_e64 v163, v157, v163, s[0:1]
	v_cndmask_b32_e32 v165, v159, v165, vcc
	v_add_f64 v[162:163], v[162:163], v[164:165]
	v_mov_b32_e32 v166, s16
	s_add_i32 s16, s16, 1
	v_cmp_lt_f64_e32 vcc, v[160:161], v[162:163]
	v_add_u32_e32 v151, 16, v151
	s_cmp_lg_u32 s20, s16
	v_cndmask_b32_e32 v141, v141, v157, vcc
	v_cndmask_b32_e32 v140, v140, v156, vcc
	;; [unrolled: 1-line block ×5, first 2 shown]
	s_cbranch_scc1 .LBB68_106
.LBB68_107:
	s_waitcnt lgkmcnt(0)
	v_cmp_eq_f64_e32 vcc, 0, v[140:141]
	v_cmp_eq_f64_e64 s[0:1], 0, v[142:143]
	s_and_b64 s[0:1], vcc, s[0:1]
	s_and_saveexec_b64 s[16:17], s[0:1]
	s_xor_b64 s[0:1], exec, s[16:17]
; %bb.108:
	v_cmp_ne_u32_e32 vcc, 0, v154
	s_nop 1
	v_cndmask_b32_e32 v154, 6, v154, vcc
; %bb.109:
	s_andn2_saveexec_b64 s[0:1], s[0:1]
	s_cbranch_execz .LBB68_115
; %bb.110:
	v_cmp_ngt_f64_e64 s[16:17], |v[140:141]|, |v[142:143]|
	s_and_saveexec_b64 s[18:19], s[16:17]
	s_xor_b64 s[16:17], exec, s[18:19]
	s_cbranch_execz .LBB68_112
; %bb.111:
	v_div_scale_f64 v[156:157], s[18:19], v[142:143], v[142:143], v[140:141]
	v_rcp_f64_e32 v[158:159], v[156:157]
	v_div_scale_f64 v[160:161], vcc, v[140:141], v[142:143], v[140:141]
	v_fma_f64 v[162:163], -v[156:157], v[158:159], 1.0
	v_fmac_f64_e32 v[158:159], v[158:159], v[162:163]
	v_fma_f64 v[162:163], -v[156:157], v[158:159], 1.0
	v_fmac_f64_e32 v[158:159], v[158:159], v[162:163]
	v_mul_f64 v[162:163], v[160:161], v[158:159]
	v_fma_f64 v[156:157], -v[156:157], v[162:163], v[160:161]
	v_div_fmas_f64 v[156:157], v[156:157], v[158:159], v[162:163]
	v_div_fixup_f64 v[156:157], v[156:157], v[142:143], v[140:141]
	v_fmac_f64_e32 v[142:143], v[140:141], v[156:157]
	v_div_scale_f64 v[140:141], s[18:19], v[142:143], v[142:143], 1.0
	v_rcp_f64_e32 v[158:159], v[140:141]
	s_nop 0
	v_fma_f64 v[160:161], -v[140:141], v[158:159], 1.0
	v_fmac_f64_e32 v[158:159], v[158:159], v[160:161]
	v_fma_f64 v[160:161], -v[140:141], v[158:159], 1.0
	v_fmac_f64_e32 v[158:159], v[158:159], v[160:161]
	v_div_scale_f64 v[160:161], vcc, 1.0, v[142:143], 1.0
	v_mul_f64 v[162:163], v[160:161], v[158:159]
	v_fma_f64 v[140:141], -v[140:141], v[162:163], v[160:161]
	s_nop 1
	v_div_fmas_f64 v[140:141], v[140:141], v[158:159], v[162:163]
	v_div_fixup_f64 v[142:143], v[140:141], v[142:143], 1.0
	v_mul_f64 v[140:141], v[156:157], v[142:143]
	v_xor_b32_e32 v143, 0x80000000, v143
.LBB68_112:
	s_andn2_saveexec_b64 s[16:17], s[16:17]
	s_cbranch_execz .LBB68_114
; %bb.113:
	v_div_scale_f64 v[156:157], s[18:19], v[140:141], v[140:141], v[142:143]
	v_rcp_f64_e32 v[158:159], v[156:157]
	v_div_scale_f64 v[160:161], vcc, v[142:143], v[140:141], v[142:143]
	v_fma_f64 v[162:163], -v[156:157], v[158:159], 1.0
	v_fmac_f64_e32 v[158:159], v[158:159], v[162:163]
	v_fma_f64 v[162:163], -v[156:157], v[158:159], 1.0
	v_fmac_f64_e32 v[158:159], v[158:159], v[162:163]
	v_mul_f64 v[162:163], v[160:161], v[158:159]
	v_fma_f64 v[156:157], -v[156:157], v[162:163], v[160:161]
	v_div_fmas_f64 v[156:157], v[156:157], v[158:159], v[162:163]
	v_div_fixup_f64 v[156:157], v[156:157], v[140:141], v[142:143]
	v_fmac_f64_e32 v[140:141], v[142:143], v[156:157]
	v_div_scale_f64 v[142:143], s[18:19], v[140:141], v[140:141], 1.0
	v_rcp_f64_e32 v[158:159], v[142:143]
	s_nop 0
	v_fma_f64 v[160:161], -v[142:143], v[158:159], 1.0
	v_fmac_f64_e32 v[158:159], v[158:159], v[160:161]
	v_fma_f64 v[160:161], -v[142:143], v[158:159], 1.0
	v_fmac_f64_e32 v[158:159], v[158:159], v[160:161]
	v_div_scale_f64 v[160:161], vcc, 1.0, v[140:141], 1.0
	v_mul_f64 v[162:163], v[160:161], v[158:159]
	v_fma_f64 v[142:143], -v[142:143], v[162:163], v[160:161]
	s_nop 1
	v_div_fmas_f64 v[142:143], v[142:143], v[158:159], v[162:163]
	v_div_fixup_f64 v[140:141], v[142:143], v[140:141], 1.0
	v_mul_f64 v[142:143], v[156:157], -v[140:141]
.LBB68_114:
	s_or_b64 exec, exec, s[16:17]
.LBB68_115:
	s_or_b64 exec, exec, s[0:1]
	v_cmp_ne_u32_e32 vcc, v153, v150
	s_and_saveexec_b64 s[0:1], vcc
	s_xor_b64 s[0:1], exec, s[0:1]
	s_cbranch_execz .LBB68_121
; %bb.116:
	v_cmp_eq_u32_e32 vcc, 5, v153
	s_and_saveexec_b64 s[16:17], vcc
	s_cbranch_execz .LBB68_120
; %bb.117:
	v_cmp_ne_u32_e32 vcc, 5, v150
	s_xor_b64 s[18:19], s[14:15], -1
	s_and_b64 s[22:23], s[18:19], vcc
	s_and_saveexec_b64 s[18:19], s[22:23]
	s_cbranch_execz .LBB68_119
; %bb.118:
	v_ashrrev_i32_e32 v151, 31, v150
	v_lshl_add_u64 v[156:157], v[150:151], 2, v[148:149]
	global_load_dword v151, v[156:157], off
	global_load_dword v153, v[148:149], off offset:20
	s_waitcnt vmcnt(1)
	global_store_dword v[148:149], v151, off offset:20
	s_waitcnt vmcnt(1)
	global_store_dword v[156:157], v153, off
.LBB68_119:
	s_or_b64 exec, exec, s[18:19]
	v_mov_b32_e32 v153, v150
	v_mov_b32_e32 v155, v150
.LBB68_120:
	s_or_b64 exec, exec, s[16:17]
.LBB68_121:
	s_andn2_saveexec_b64 s[0:1], s[0:1]
	s_cbranch_execz .LBB68_123
; %bb.122:
	v_mov_b32_e32 v153, 5
	s_waitcnt vmcnt(28)
	ds_write2_b64 v152, v[116:117], v[118:119] offset0:12 offset1:13
	s_waitcnt vmcnt(27)
	ds_write2_b64 v152, v[112:113], v[114:115] offset0:14 offset1:15
	;; [unrolled: 2-line block ×29, first 2 shown]
.LBB68_123:
	s_or_b64 exec, exec, s[0:1]
	v_cmp_lt_i32_e32 vcc, 5, v153
	s_waitcnt lgkmcnt(0)
	s_barrier
	s_and_saveexec_b64 s[0:1], vcc
	s_cbranch_execz .LBB68_125
; %bb.124:
	ds_read2_b64 v[156:159], v152 offset0:12 offset1:13
	v_mul_f64 v[150:151], v[142:143], v[122:123]
	v_mul_f64 v[122:123], v[140:141], v[122:123]
	v_fmac_f64_e32 v[122:123], v[142:143], v[120:121]
	v_fma_f64 v[150:151], v[140:141], v[120:121], -v[150:151]
	ds_read2_b64 v[140:143], v152 offset0:14 offset1:15
	s_waitcnt lgkmcnt(1)
	v_mul_f64 v[120:121], v[158:159], v[122:123]
	v_fma_f64 v[120:121], v[156:157], v[150:151], -v[120:121]
	v_mul_f64 v[156:157], v[156:157], v[122:123]
	v_fmac_f64_e32 v[156:157], v[158:159], v[150:151]
	s_waitcnt vmcnt(28)
	v_add_f64 v[118:119], v[118:119], -v[156:157]
	ds_read2_b64 v[156:159], v152 offset0:16 offset1:17
	v_add_f64 v[116:117], v[116:117], -v[120:121]
	s_waitcnt lgkmcnt(1)
	v_mul_f64 v[120:121], v[142:143], v[122:123]
	v_fma_f64 v[120:121], v[140:141], v[150:151], -v[120:121]
	v_mul_f64 v[140:141], v[140:141], v[122:123]
	v_fmac_f64_e32 v[140:141], v[142:143], v[150:151]
	s_waitcnt vmcnt(27)
	v_add_f64 v[112:113], v[112:113], -v[120:121]
	v_add_f64 v[114:115], v[114:115], -v[140:141]
	ds_read2_b64 v[140:143], v152 offset0:18 offset1:19
	s_waitcnt lgkmcnt(1)
	v_mul_f64 v[120:121], v[158:159], v[122:123]
	v_fma_f64 v[120:121], v[156:157], v[150:151], -v[120:121]
	v_mul_f64 v[156:157], v[156:157], v[122:123]
	v_fmac_f64_e32 v[156:157], v[158:159], v[150:151]
	s_waitcnt vmcnt(26)
	v_add_f64 v[110:111], v[110:111], -v[156:157]
	ds_read2_b64 v[156:159], v152 offset0:20 offset1:21
	v_add_f64 v[108:109], v[108:109], -v[120:121]
	s_waitcnt lgkmcnt(1)
	v_mul_f64 v[120:121], v[142:143], v[122:123]
	v_fma_f64 v[120:121], v[140:141], v[150:151], -v[120:121]
	v_mul_f64 v[140:141], v[140:141], v[122:123]
	v_fmac_f64_e32 v[140:141], v[142:143], v[150:151]
	s_waitcnt vmcnt(25)
	v_add_f64 v[104:105], v[104:105], -v[120:121]
	v_add_f64 v[106:107], v[106:107], -v[140:141]
	;; [unrolled: 18-line block ×14, first 2 shown]
	s_waitcnt lgkmcnt(0)
	v_mul_f64 v[120:121], v[158:159], v[122:123]
	v_mul_f64 v[140:141], v[156:157], v[122:123]
	v_fma_f64 v[120:121], v[156:157], v[150:151], -v[120:121]
	v_fmac_f64_e32 v[140:141], v[158:159], v[150:151]
	s_waitcnt vmcnt(0)
	v_add_f64 v[136:137], v[136:137], -v[120:121]
	v_add_f64 v[138:139], v[138:139], -v[140:141]
	v_mov_b64_e32 v[120:121], v[150:151]
.LBB68_125:
	s_or_b64 exec, exec, s[0:1]
	v_lshl_add_u32 v140, v153, 4, v152
	s_barrier
	s_waitcnt vmcnt(28)
	ds_write2_b64 v140, v[116:117], v[118:119] offset1:1
	s_waitcnt lgkmcnt(0)
	s_barrier
	ds_read2_b64 v[140:143], v152 offset0:12 offset1:13
	s_cmp_lt_i32 s20, 8
	v_mov_b32_e32 v150, 6
	s_cbranch_scc1 .LBB68_128
; %bb.126:
	v_add_u32_e32 v151, 0x70, v152
	s_mov_b32 s16, 7
	v_mov_b32_e32 v150, 6
.LBB68_127:                             ; =>This Inner Loop Header: Depth=1
	ds_read2_b64 v[156:159], v151 offset1:1
	s_waitcnt lgkmcnt(1)
	v_xor_b32_e32 v161, 0x80000000, v141
	v_xor_b32_e32 v163, 0x80000000, v143
	v_cmp_gt_f64_e32 vcc, 0, v[142:143]
	v_cmp_gt_f64_e64 s[0:1], 0, v[140:141]
	v_mov_b32_e32 v160, v140
	v_mov_b32_e32 v162, v142
	v_cndmask_b32_e64 v161, v141, v161, s[0:1]
	v_cndmask_b32_e32 v163, v143, v163, vcc
	v_add_f64 v[160:161], v[160:161], v[162:163]
	s_waitcnt lgkmcnt(0)
	v_xor_b32_e32 v163, 0x80000000, v157
	v_xor_b32_e32 v165, 0x80000000, v159
	v_cmp_gt_f64_e32 vcc, 0, v[158:159]
	v_cmp_gt_f64_e64 s[0:1], 0, v[156:157]
	v_mov_b32_e32 v162, v156
	v_mov_b32_e32 v164, v158
	v_cndmask_b32_e64 v163, v157, v163, s[0:1]
	v_cndmask_b32_e32 v165, v159, v165, vcc
	v_add_f64 v[162:163], v[162:163], v[164:165]
	v_mov_b32_e32 v166, s16
	s_add_i32 s16, s16, 1
	v_cmp_lt_f64_e32 vcc, v[160:161], v[162:163]
	v_add_u32_e32 v151, 16, v151
	s_cmp_lg_u32 s20, s16
	v_cndmask_b32_e32 v141, v141, v157, vcc
	v_cndmask_b32_e32 v140, v140, v156, vcc
	;; [unrolled: 1-line block ×5, first 2 shown]
	s_cbranch_scc1 .LBB68_127
.LBB68_128:
	s_waitcnt lgkmcnt(0)
	v_cmp_eq_f64_e32 vcc, 0, v[140:141]
	v_cmp_eq_f64_e64 s[0:1], 0, v[142:143]
	s_and_b64 s[0:1], vcc, s[0:1]
	s_and_saveexec_b64 s[16:17], s[0:1]
	s_xor_b64 s[0:1], exec, s[16:17]
; %bb.129:
	v_cmp_ne_u32_e32 vcc, 0, v154
	s_nop 1
	v_cndmask_b32_e32 v154, 7, v154, vcc
; %bb.130:
	s_andn2_saveexec_b64 s[0:1], s[0:1]
	s_cbranch_execz .LBB68_136
; %bb.131:
	v_cmp_ngt_f64_e64 s[16:17], |v[140:141]|, |v[142:143]|
	s_and_saveexec_b64 s[18:19], s[16:17]
	s_xor_b64 s[16:17], exec, s[18:19]
	s_cbranch_execz .LBB68_133
; %bb.132:
	v_div_scale_f64 v[156:157], s[18:19], v[142:143], v[142:143], v[140:141]
	v_rcp_f64_e32 v[158:159], v[156:157]
	v_div_scale_f64 v[160:161], vcc, v[140:141], v[142:143], v[140:141]
	v_fma_f64 v[162:163], -v[156:157], v[158:159], 1.0
	v_fmac_f64_e32 v[158:159], v[158:159], v[162:163]
	v_fma_f64 v[162:163], -v[156:157], v[158:159], 1.0
	v_fmac_f64_e32 v[158:159], v[158:159], v[162:163]
	v_mul_f64 v[162:163], v[160:161], v[158:159]
	v_fma_f64 v[156:157], -v[156:157], v[162:163], v[160:161]
	v_div_fmas_f64 v[156:157], v[156:157], v[158:159], v[162:163]
	v_div_fixup_f64 v[156:157], v[156:157], v[142:143], v[140:141]
	v_fmac_f64_e32 v[142:143], v[140:141], v[156:157]
	v_div_scale_f64 v[140:141], s[18:19], v[142:143], v[142:143], 1.0
	v_rcp_f64_e32 v[158:159], v[140:141]
	s_nop 0
	v_fma_f64 v[160:161], -v[140:141], v[158:159], 1.0
	v_fmac_f64_e32 v[158:159], v[158:159], v[160:161]
	v_fma_f64 v[160:161], -v[140:141], v[158:159], 1.0
	v_fmac_f64_e32 v[158:159], v[158:159], v[160:161]
	v_div_scale_f64 v[160:161], vcc, 1.0, v[142:143], 1.0
	v_mul_f64 v[162:163], v[160:161], v[158:159]
	v_fma_f64 v[140:141], -v[140:141], v[162:163], v[160:161]
	s_nop 1
	v_div_fmas_f64 v[140:141], v[140:141], v[158:159], v[162:163]
	v_div_fixup_f64 v[142:143], v[140:141], v[142:143], 1.0
	v_mul_f64 v[140:141], v[156:157], v[142:143]
	v_xor_b32_e32 v143, 0x80000000, v143
.LBB68_133:
	s_andn2_saveexec_b64 s[16:17], s[16:17]
	s_cbranch_execz .LBB68_135
; %bb.134:
	v_div_scale_f64 v[156:157], s[18:19], v[140:141], v[140:141], v[142:143]
	v_rcp_f64_e32 v[158:159], v[156:157]
	v_div_scale_f64 v[160:161], vcc, v[142:143], v[140:141], v[142:143]
	v_fma_f64 v[162:163], -v[156:157], v[158:159], 1.0
	v_fmac_f64_e32 v[158:159], v[158:159], v[162:163]
	v_fma_f64 v[162:163], -v[156:157], v[158:159], 1.0
	v_fmac_f64_e32 v[158:159], v[158:159], v[162:163]
	v_mul_f64 v[162:163], v[160:161], v[158:159]
	v_fma_f64 v[156:157], -v[156:157], v[162:163], v[160:161]
	v_div_fmas_f64 v[156:157], v[156:157], v[158:159], v[162:163]
	v_div_fixup_f64 v[156:157], v[156:157], v[140:141], v[142:143]
	v_fmac_f64_e32 v[140:141], v[142:143], v[156:157]
	v_div_scale_f64 v[142:143], s[18:19], v[140:141], v[140:141], 1.0
	v_rcp_f64_e32 v[158:159], v[142:143]
	s_nop 0
	v_fma_f64 v[160:161], -v[142:143], v[158:159], 1.0
	v_fmac_f64_e32 v[158:159], v[158:159], v[160:161]
	v_fma_f64 v[160:161], -v[142:143], v[158:159], 1.0
	v_fmac_f64_e32 v[158:159], v[158:159], v[160:161]
	v_div_scale_f64 v[160:161], vcc, 1.0, v[140:141], 1.0
	v_mul_f64 v[162:163], v[160:161], v[158:159]
	v_fma_f64 v[142:143], -v[142:143], v[162:163], v[160:161]
	s_nop 1
	v_div_fmas_f64 v[142:143], v[142:143], v[158:159], v[162:163]
	v_div_fixup_f64 v[140:141], v[142:143], v[140:141], 1.0
	v_mul_f64 v[142:143], v[156:157], -v[140:141]
.LBB68_135:
	s_or_b64 exec, exec, s[16:17]
.LBB68_136:
	s_or_b64 exec, exec, s[0:1]
	v_cmp_ne_u32_e32 vcc, v153, v150
	s_and_saveexec_b64 s[0:1], vcc
	s_xor_b64 s[0:1], exec, s[0:1]
	s_cbranch_execz .LBB68_142
; %bb.137:
	v_cmp_eq_u32_e32 vcc, 6, v153
	s_and_saveexec_b64 s[16:17], vcc
	s_cbranch_execz .LBB68_141
; %bb.138:
	v_cmp_ne_u32_e32 vcc, 6, v150
	s_xor_b64 s[18:19], s[14:15], -1
	s_and_b64 s[22:23], s[18:19], vcc
	s_and_saveexec_b64 s[18:19], s[22:23]
	s_cbranch_execz .LBB68_140
; %bb.139:
	v_ashrrev_i32_e32 v151, 31, v150
	v_lshl_add_u64 v[156:157], v[150:151], 2, v[148:149]
	global_load_dword v151, v[156:157], off
	global_load_dword v153, v[148:149], off offset:24
	s_waitcnt vmcnt(1)
	global_store_dword v[148:149], v151, off offset:24
	s_waitcnt vmcnt(1)
	global_store_dword v[156:157], v153, off
.LBB68_140:
	s_or_b64 exec, exec, s[18:19]
	v_mov_b32_e32 v153, v150
	v_mov_b32_e32 v155, v150
.LBB68_141:
	s_or_b64 exec, exec, s[16:17]
.LBB68_142:
	s_andn2_saveexec_b64 s[0:1], s[0:1]
	s_cbranch_execz .LBB68_144
; %bb.143:
	v_mov_b32_e32 v153, 6
	s_waitcnt vmcnt(27)
	ds_write2_b64 v152, v[112:113], v[114:115] offset0:14 offset1:15
	s_waitcnt vmcnt(26)
	ds_write2_b64 v152, v[108:109], v[110:111] offset0:16 offset1:17
	;; [unrolled: 2-line block ×28, first 2 shown]
.LBB68_144:
	s_or_b64 exec, exec, s[0:1]
	v_cmp_lt_i32_e32 vcc, 6, v153
	s_waitcnt lgkmcnt(0)
	s_barrier
	s_and_saveexec_b64 s[0:1], vcc
	s_cbranch_execz .LBB68_146
; %bb.145:
	ds_read2_b64 v[156:159], v152 offset0:14 offset1:15
	v_mul_f64 v[150:151], v[142:143], v[118:119]
	v_mul_f64 v[118:119], v[140:141], v[118:119]
	v_fma_f64 v[150:151], v[140:141], v[116:117], -v[150:151]
	v_fmac_f64_e32 v[118:119], v[142:143], v[116:117]
	ds_read2_b64 v[140:143], v152 offset0:16 offset1:17
	s_waitcnt lgkmcnt(1)
	v_mul_f64 v[116:117], v[158:159], v[118:119]
	v_fma_f64 v[116:117], v[156:157], v[150:151], -v[116:117]
	v_mul_f64 v[156:157], v[156:157], v[118:119]
	v_fmac_f64_e32 v[156:157], v[158:159], v[150:151]
	s_waitcnt vmcnt(27)
	v_add_f64 v[112:113], v[112:113], -v[116:117]
	s_waitcnt lgkmcnt(0)
	v_mul_f64 v[116:117], v[142:143], v[118:119]
	v_add_f64 v[114:115], v[114:115], -v[156:157]
	v_fma_f64 v[116:117], v[140:141], v[150:151], -v[116:117]
	v_mul_f64 v[140:141], v[140:141], v[118:119]
	ds_read2_b64 v[156:159], v152 offset0:18 offset1:19
	v_fmac_f64_e32 v[140:141], v[142:143], v[150:151]
	s_waitcnt vmcnt(26)
	v_add_f64 v[110:111], v[110:111], -v[140:141]
	ds_read2_b64 v[140:143], v152 offset0:20 offset1:21
	v_add_f64 v[108:109], v[108:109], -v[116:117]
	s_waitcnt lgkmcnt(1)
	v_mul_f64 v[116:117], v[158:159], v[118:119]
	v_fma_f64 v[116:117], v[156:157], v[150:151], -v[116:117]
	v_mul_f64 v[156:157], v[156:157], v[118:119]
	v_fmac_f64_e32 v[156:157], v[158:159], v[150:151]
	s_waitcnt vmcnt(25)
	v_add_f64 v[104:105], v[104:105], -v[116:117]
	s_waitcnt lgkmcnt(0)
	v_mul_f64 v[116:117], v[142:143], v[118:119]
	v_add_f64 v[106:107], v[106:107], -v[156:157]
	v_fma_f64 v[116:117], v[140:141], v[150:151], -v[116:117]
	v_mul_f64 v[140:141], v[140:141], v[118:119]
	ds_read2_b64 v[156:159], v152 offset0:22 offset1:23
	v_fmac_f64_e32 v[140:141], v[142:143], v[150:151]
	s_waitcnt vmcnt(24)
	v_add_f64 v[102:103], v[102:103], -v[140:141]
	ds_read2_b64 v[140:143], v152 offset0:24 offset1:25
	v_add_f64 v[100:101], v[100:101], -v[116:117]
	s_waitcnt lgkmcnt(1)
	v_mul_f64 v[116:117], v[158:159], v[118:119]
	v_fma_f64 v[116:117], v[156:157], v[150:151], -v[116:117]
	v_mul_f64 v[156:157], v[156:157], v[118:119]
	v_fmac_f64_e32 v[156:157], v[158:159], v[150:151]
	s_waitcnt vmcnt(23)
	v_add_f64 v[88:89], v[88:89], -v[116:117]
	s_waitcnt lgkmcnt(0)
	v_mul_f64 v[116:117], v[142:143], v[118:119]
	v_add_f64 v[90:91], v[90:91], -v[156:157]
	v_fma_f64 v[116:117], v[140:141], v[150:151], -v[116:117]
	v_mul_f64 v[140:141], v[140:141], v[118:119]
	ds_read2_b64 v[156:159], v152 offset0:26 offset1:27
	v_fmac_f64_e32 v[140:141], v[142:143], v[150:151]
	s_waitcnt vmcnt(22)
	v_add_f64 v[82:83], v[82:83], -v[140:141]
	ds_read2_b64 v[140:143], v152 offset0:28 offset1:29
	v_add_f64 v[80:81], v[80:81], -v[116:117]
	s_waitcnt lgkmcnt(1)
	v_mul_f64 v[116:117], v[158:159], v[118:119]
	v_fma_f64 v[116:117], v[156:157], v[150:151], -v[116:117]
	v_mul_f64 v[156:157], v[156:157], v[118:119]
	v_fmac_f64_e32 v[156:157], v[158:159], v[150:151]
	s_waitcnt vmcnt(21)
	v_add_f64 v[84:85], v[84:85], -v[116:117]
	s_waitcnt lgkmcnt(0)
	v_mul_f64 v[116:117], v[142:143], v[118:119]
	v_add_f64 v[86:87], v[86:87], -v[156:157]
	v_fma_f64 v[116:117], v[140:141], v[150:151], -v[116:117]
	v_mul_f64 v[140:141], v[140:141], v[118:119]
	ds_read2_b64 v[156:159], v152 offset0:30 offset1:31
	v_fmac_f64_e32 v[140:141], v[142:143], v[150:151]
	s_waitcnt vmcnt(20)
	v_add_f64 v[78:79], v[78:79], -v[140:141]
	ds_read2_b64 v[140:143], v152 offset0:32 offset1:33
	v_add_f64 v[76:77], v[76:77], -v[116:117]
	s_waitcnt lgkmcnt(1)
	v_mul_f64 v[116:117], v[158:159], v[118:119]
	v_fma_f64 v[116:117], v[156:157], v[150:151], -v[116:117]
	v_mul_f64 v[156:157], v[156:157], v[118:119]
	v_fmac_f64_e32 v[156:157], v[158:159], v[150:151]
	s_waitcnt vmcnt(19)
	v_add_f64 v[72:73], v[72:73], -v[116:117]
	s_waitcnt lgkmcnt(0)
	v_mul_f64 v[116:117], v[142:143], v[118:119]
	v_add_f64 v[74:75], v[74:75], -v[156:157]
	v_fma_f64 v[116:117], v[140:141], v[150:151], -v[116:117]
	v_mul_f64 v[140:141], v[140:141], v[118:119]
	ds_read2_b64 v[156:159], v152 offset0:34 offset1:35
	v_fmac_f64_e32 v[140:141], v[142:143], v[150:151]
	s_waitcnt vmcnt(18)
	v_add_f64 v[70:71], v[70:71], -v[140:141]
	ds_read2_b64 v[140:143], v152 offset0:36 offset1:37
	v_add_f64 v[68:69], v[68:69], -v[116:117]
	s_waitcnt lgkmcnt(1)
	v_mul_f64 v[116:117], v[158:159], v[118:119]
	v_fma_f64 v[116:117], v[156:157], v[150:151], -v[116:117]
	v_mul_f64 v[156:157], v[156:157], v[118:119]
	v_fmac_f64_e32 v[156:157], v[158:159], v[150:151]
	s_waitcnt vmcnt(17)
	v_add_f64 v[64:65], v[64:65], -v[116:117]
	s_waitcnt lgkmcnt(0)
	v_mul_f64 v[116:117], v[142:143], v[118:119]
	v_add_f64 v[66:67], v[66:67], -v[156:157]
	v_fma_f64 v[116:117], v[140:141], v[150:151], -v[116:117]
	v_mul_f64 v[140:141], v[140:141], v[118:119]
	ds_read2_b64 v[156:159], v152 offset0:38 offset1:39
	v_fmac_f64_e32 v[140:141], v[142:143], v[150:151]
	s_waitcnt vmcnt(16)
	v_add_f64 v[62:63], v[62:63], -v[140:141]
	ds_read2_b64 v[140:143], v152 offset0:40 offset1:41
	v_add_f64 v[60:61], v[60:61], -v[116:117]
	s_waitcnt lgkmcnt(1)
	v_mul_f64 v[116:117], v[158:159], v[118:119]
	v_fma_f64 v[116:117], v[156:157], v[150:151], -v[116:117]
	v_mul_f64 v[156:157], v[156:157], v[118:119]
	v_fmac_f64_e32 v[156:157], v[158:159], v[150:151]
	s_waitcnt vmcnt(15)
	v_add_f64 v[56:57], v[56:57], -v[116:117]
	s_waitcnt lgkmcnt(0)
	v_mul_f64 v[116:117], v[142:143], v[118:119]
	v_add_f64 v[58:59], v[58:59], -v[156:157]
	v_fma_f64 v[116:117], v[140:141], v[150:151], -v[116:117]
	v_mul_f64 v[140:141], v[140:141], v[118:119]
	ds_read2_b64 v[156:159], v152 offset0:42 offset1:43
	v_fmac_f64_e32 v[140:141], v[142:143], v[150:151]
	s_waitcnt vmcnt(14)
	v_add_f64 v[54:55], v[54:55], -v[140:141]
	ds_read2_b64 v[140:143], v152 offset0:44 offset1:45
	v_add_f64 v[52:53], v[52:53], -v[116:117]
	s_waitcnt lgkmcnt(1)
	v_mul_f64 v[116:117], v[158:159], v[118:119]
	v_fma_f64 v[116:117], v[156:157], v[150:151], -v[116:117]
	v_mul_f64 v[156:157], v[156:157], v[118:119]
	v_fmac_f64_e32 v[156:157], v[158:159], v[150:151]
	s_waitcnt vmcnt(13)
	v_add_f64 v[48:49], v[48:49], -v[116:117]
	s_waitcnt lgkmcnt(0)
	v_mul_f64 v[116:117], v[142:143], v[118:119]
	v_add_f64 v[50:51], v[50:51], -v[156:157]
	v_fma_f64 v[116:117], v[140:141], v[150:151], -v[116:117]
	v_mul_f64 v[140:141], v[140:141], v[118:119]
	ds_read2_b64 v[156:159], v152 offset0:46 offset1:47
	v_fmac_f64_e32 v[140:141], v[142:143], v[150:151]
	s_waitcnt vmcnt(12)
	v_add_f64 v[46:47], v[46:47], -v[140:141]
	ds_read2_b64 v[140:143], v152 offset0:48 offset1:49
	v_add_f64 v[44:45], v[44:45], -v[116:117]
	s_waitcnt lgkmcnt(1)
	v_mul_f64 v[116:117], v[158:159], v[118:119]
	v_fma_f64 v[116:117], v[156:157], v[150:151], -v[116:117]
	v_mul_f64 v[156:157], v[156:157], v[118:119]
	v_fmac_f64_e32 v[156:157], v[158:159], v[150:151]
	s_waitcnt vmcnt(11)
	v_add_f64 v[40:41], v[40:41], -v[116:117]
	s_waitcnt lgkmcnt(0)
	v_mul_f64 v[116:117], v[142:143], v[118:119]
	v_add_f64 v[42:43], v[42:43], -v[156:157]
	v_fma_f64 v[116:117], v[140:141], v[150:151], -v[116:117]
	v_mul_f64 v[140:141], v[140:141], v[118:119]
	ds_read2_b64 v[156:159], v152 offset0:50 offset1:51
	v_fmac_f64_e32 v[140:141], v[142:143], v[150:151]
	s_waitcnt vmcnt(10)
	v_add_f64 v[38:39], v[38:39], -v[140:141]
	ds_read2_b64 v[140:143], v152 offset0:52 offset1:53
	v_add_f64 v[36:37], v[36:37], -v[116:117]
	s_waitcnt lgkmcnt(1)
	v_mul_f64 v[116:117], v[158:159], v[118:119]
	v_fma_f64 v[116:117], v[156:157], v[150:151], -v[116:117]
	v_mul_f64 v[156:157], v[156:157], v[118:119]
	v_fmac_f64_e32 v[156:157], v[158:159], v[150:151]
	s_waitcnt vmcnt(9)
	v_add_f64 v[32:33], v[32:33], -v[116:117]
	s_waitcnt lgkmcnt(0)
	v_mul_f64 v[116:117], v[142:143], v[118:119]
	v_add_f64 v[34:35], v[34:35], -v[156:157]
	v_fma_f64 v[116:117], v[140:141], v[150:151], -v[116:117]
	v_mul_f64 v[140:141], v[140:141], v[118:119]
	ds_read2_b64 v[156:159], v152 offset0:54 offset1:55
	v_fmac_f64_e32 v[140:141], v[142:143], v[150:151]
	s_waitcnt vmcnt(8)
	v_add_f64 v[30:31], v[30:31], -v[140:141]
	ds_read2_b64 v[140:143], v152 offset0:56 offset1:57
	v_add_f64 v[28:29], v[28:29], -v[116:117]
	s_waitcnt lgkmcnt(1)
	v_mul_f64 v[116:117], v[158:159], v[118:119]
	v_fma_f64 v[116:117], v[156:157], v[150:151], -v[116:117]
	v_mul_f64 v[156:157], v[156:157], v[118:119]
	v_fmac_f64_e32 v[156:157], v[158:159], v[150:151]
	s_waitcnt vmcnt(7)
	v_add_f64 v[24:25], v[24:25], -v[116:117]
	s_waitcnt lgkmcnt(0)
	v_mul_f64 v[116:117], v[142:143], v[118:119]
	v_add_f64 v[26:27], v[26:27], -v[156:157]
	v_fma_f64 v[116:117], v[140:141], v[150:151], -v[116:117]
	v_mul_f64 v[140:141], v[140:141], v[118:119]
	ds_read2_b64 v[156:159], v152 offset0:58 offset1:59
	v_fmac_f64_e32 v[140:141], v[142:143], v[150:151]
	s_waitcnt vmcnt(6)
	v_add_f64 v[22:23], v[22:23], -v[140:141]
	ds_read2_b64 v[140:143], v152 offset0:60 offset1:61
	v_add_f64 v[20:21], v[20:21], -v[116:117]
	s_waitcnt lgkmcnt(1)
	v_mul_f64 v[116:117], v[158:159], v[118:119]
	v_fma_f64 v[116:117], v[156:157], v[150:151], -v[116:117]
	v_mul_f64 v[156:157], v[156:157], v[118:119]
	v_fmac_f64_e32 v[156:157], v[158:159], v[150:151]
	s_waitcnt vmcnt(5)
	v_add_f64 v[16:17], v[16:17], -v[116:117]
	s_waitcnt lgkmcnt(0)
	v_mul_f64 v[116:117], v[142:143], v[118:119]
	v_add_f64 v[18:19], v[18:19], -v[156:157]
	v_fma_f64 v[116:117], v[140:141], v[150:151], -v[116:117]
	v_mul_f64 v[140:141], v[140:141], v[118:119]
	ds_read2_b64 v[156:159], v152 offset0:62 offset1:63
	v_fmac_f64_e32 v[140:141], v[142:143], v[150:151]
	s_waitcnt vmcnt(4)
	v_add_f64 v[14:15], v[14:15], -v[140:141]
	ds_read2_b64 v[140:143], v152 offset0:64 offset1:65
	v_add_f64 v[12:13], v[12:13], -v[116:117]
	s_waitcnt lgkmcnt(1)
	v_mul_f64 v[116:117], v[158:159], v[118:119]
	v_fma_f64 v[116:117], v[156:157], v[150:151], -v[116:117]
	v_mul_f64 v[156:157], v[156:157], v[118:119]
	v_fmac_f64_e32 v[156:157], v[158:159], v[150:151]
	s_waitcnt vmcnt(3)
	v_add_f64 v[8:9], v[8:9], -v[116:117]
	s_waitcnt lgkmcnt(0)
	v_mul_f64 v[116:117], v[142:143], v[118:119]
	v_add_f64 v[10:11], v[10:11], -v[156:157]
	v_fma_f64 v[116:117], v[140:141], v[150:151], -v[116:117]
	v_mul_f64 v[140:141], v[140:141], v[118:119]
	ds_read2_b64 v[156:159], v152 offset0:66 offset1:67
	v_fmac_f64_e32 v[140:141], v[142:143], v[150:151]
	s_waitcnt vmcnt(2)
	v_add_f64 v[6:7], v[6:7], -v[140:141]
	ds_read2_b64 v[140:143], v152 offset0:68 offset1:69
	v_add_f64 v[4:5], v[4:5], -v[116:117]
	s_waitcnt lgkmcnt(1)
	v_mul_f64 v[116:117], v[158:159], v[118:119]
	v_fma_f64 v[116:117], v[156:157], v[150:151], -v[116:117]
	s_waitcnt vmcnt(1)
	v_add_f64 v[0:1], v[0:1], -v[116:117]
	s_waitcnt lgkmcnt(0)
	v_mul_f64 v[116:117], v[142:143], v[118:119]
	v_mul_f64 v[156:157], v[156:157], v[118:119]
	v_fma_f64 v[116:117], v[140:141], v[150:151], -v[116:117]
	v_mul_f64 v[140:141], v[140:141], v[118:119]
	v_fmac_f64_e32 v[156:157], v[158:159], v[150:151]
	v_fmac_f64_e32 v[140:141], v[142:143], v[150:151]
	v_add_f64 v[2:3], v[2:3], -v[156:157]
	s_waitcnt vmcnt(0)
	v_add_f64 v[136:137], v[136:137], -v[116:117]
	v_add_f64 v[138:139], v[138:139], -v[140:141]
	v_mov_b64_e32 v[116:117], v[150:151]
.LBB68_146:
	s_or_b64 exec, exec, s[0:1]
	v_lshl_add_u32 v140, v153, 4, v152
	s_barrier
	s_waitcnt vmcnt(27)
	ds_write2_b64 v140, v[112:113], v[114:115] offset1:1
	s_waitcnt lgkmcnt(0)
	s_barrier
	ds_read2_b64 v[140:143], v152 offset0:14 offset1:15
	s_cmp_lt_i32 s20, 9
	v_mov_b32_e32 v150, 7
	s_cbranch_scc1 .LBB68_149
; %bb.147:
	v_add_u32_e32 v151, 0x80, v152
	s_mov_b32 s16, 8
	v_mov_b32_e32 v150, 7
.LBB68_148:                             ; =>This Inner Loop Header: Depth=1
	ds_read2_b64 v[156:159], v151 offset1:1
	s_waitcnt lgkmcnt(1)
	v_xor_b32_e32 v161, 0x80000000, v141
	v_xor_b32_e32 v163, 0x80000000, v143
	v_cmp_gt_f64_e32 vcc, 0, v[142:143]
	v_cmp_gt_f64_e64 s[0:1], 0, v[140:141]
	v_mov_b32_e32 v160, v140
	v_mov_b32_e32 v162, v142
	v_cndmask_b32_e64 v161, v141, v161, s[0:1]
	v_cndmask_b32_e32 v163, v143, v163, vcc
	v_add_f64 v[160:161], v[160:161], v[162:163]
	s_waitcnt lgkmcnt(0)
	v_xor_b32_e32 v163, 0x80000000, v157
	v_xor_b32_e32 v165, 0x80000000, v159
	v_cmp_gt_f64_e32 vcc, 0, v[158:159]
	v_cmp_gt_f64_e64 s[0:1], 0, v[156:157]
	v_mov_b32_e32 v162, v156
	v_mov_b32_e32 v164, v158
	v_cndmask_b32_e64 v163, v157, v163, s[0:1]
	v_cndmask_b32_e32 v165, v159, v165, vcc
	v_add_f64 v[162:163], v[162:163], v[164:165]
	v_mov_b32_e32 v166, s16
	s_add_i32 s16, s16, 1
	v_cmp_lt_f64_e32 vcc, v[160:161], v[162:163]
	v_add_u32_e32 v151, 16, v151
	s_cmp_lg_u32 s20, s16
	v_cndmask_b32_e32 v141, v141, v157, vcc
	v_cndmask_b32_e32 v140, v140, v156, vcc
	;; [unrolled: 1-line block ×5, first 2 shown]
	s_cbranch_scc1 .LBB68_148
.LBB68_149:
	s_waitcnt lgkmcnt(0)
	v_cmp_eq_f64_e32 vcc, 0, v[140:141]
	v_cmp_eq_f64_e64 s[0:1], 0, v[142:143]
	s_and_b64 s[0:1], vcc, s[0:1]
	s_and_saveexec_b64 s[16:17], s[0:1]
	s_xor_b64 s[0:1], exec, s[16:17]
; %bb.150:
	v_cmp_ne_u32_e32 vcc, 0, v154
	s_nop 1
	v_cndmask_b32_e32 v154, 8, v154, vcc
; %bb.151:
	s_andn2_saveexec_b64 s[0:1], s[0:1]
	s_cbranch_execz .LBB68_157
; %bb.152:
	v_cmp_ngt_f64_e64 s[16:17], |v[140:141]|, |v[142:143]|
	s_and_saveexec_b64 s[18:19], s[16:17]
	s_xor_b64 s[16:17], exec, s[18:19]
	s_cbranch_execz .LBB68_154
; %bb.153:
	v_div_scale_f64 v[156:157], s[18:19], v[142:143], v[142:143], v[140:141]
	v_rcp_f64_e32 v[158:159], v[156:157]
	v_div_scale_f64 v[160:161], vcc, v[140:141], v[142:143], v[140:141]
	v_fma_f64 v[162:163], -v[156:157], v[158:159], 1.0
	v_fmac_f64_e32 v[158:159], v[158:159], v[162:163]
	v_fma_f64 v[162:163], -v[156:157], v[158:159], 1.0
	v_fmac_f64_e32 v[158:159], v[158:159], v[162:163]
	v_mul_f64 v[162:163], v[160:161], v[158:159]
	v_fma_f64 v[156:157], -v[156:157], v[162:163], v[160:161]
	v_div_fmas_f64 v[156:157], v[156:157], v[158:159], v[162:163]
	v_div_fixup_f64 v[156:157], v[156:157], v[142:143], v[140:141]
	v_fmac_f64_e32 v[142:143], v[140:141], v[156:157]
	v_div_scale_f64 v[140:141], s[18:19], v[142:143], v[142:143], 1.0
	v_rcp_f64_e32 v[158:159], v[140:141]
	s_nop 0
	v_fma_f64 v[160:161], -v[140:141], v[158:159], 1.0
	v_fmac_f64_e32 v[158:159], v[158:159], v[160:161]
	v_fma_f64 v[160:161], -v[140:141], v[158:159], 1.0
	v_fmac_f64_e32 v[158:159], v[158:159], v[160:161]
	v_div_scale_f64 v[160:161], vcc, 1.0, v[142:143], 1.0
	v_mul_f64 v[162:163], v[160:161], v[158:159]
	v_fma_f64 v[140:141], -v[140:141], v[162:163], v[160:161]
	s_nop 1
	v_div_fmas_f64 v[140:141], v[140:141], v[158:159], v[162:163]
	v_div_fixup_f64 v[142:143], v[140:141], v[142:143], 1.0
	v_mul_f64 v[140:141], v[156:157], v[142:143]
	v_xor_b32_e32 v143, 0x80000000, v143
.LBB68_154:
	s_andn2_saveexec_b64 s[16:17], s[16:17]
	s_cbranch_execz .LBB68_156
; %bb.155:
	v_div_scale_f64 v[156:157], s[18:19], v[140:141], v[140:141], v[142:143]
	v_rcp_f64_e32 v[158:159], v[156:157]
	v_div_scale_f64 v[160:161], vcc, v[142:143], v[140:141], v[142:143]
	v_fma_f64 v[162:163], -v[156:157], v[158:159], 1.0
	v_fmac_f64_e32 v[158:159], v[158:159], v[162:163]
	v_fma_f64 v[162:163], -v[156:157], v[158:159], 1.0
	v_fmac_f64_e32 v[158:159], v[158:159], v[162:163]
	v_mul_f64 v[162:163], v[160:161], v[158:159]
	v_fma_f64 v[156:157], -v[156:157], v[162:163], v[160:161]
	v_div_fmas_f64 v[156:157], v[156:157], v[158:159], v[162:163]
	v_div_fixup_f64 v[156:157], v[156:157], v[140:141], v[142:143]
	v_fmac_f64_e32 v[140:141], v[142:143], v[156:157]
	v_div_scale_f64 v[142:143], s[18:19], v[140:141], v[140:141], 1.0
	v_rcp_f64_e32 v[158:159], v[142:143]
	s_nop 0
	v_fma_f64 v[160:161], -v[142:143], v[158:159], 1.0
	v_fmac_f64_e32 v[158:159], v[158:159], v[160:161]
	v_fma_f64 v[160:161], -v[142:143], v[158:159], 1.0
	v_fmac_f64_e32 v[158:159], v[158:159], v[160:161]
	v_div_scale_f64 v[160:161], vcc, 1.0, v[140:141], 1.0
	v_mul_f64 v[162:163], v[160:161], v[158:159]
	v_fma_f64 v[142:143], -v[142:143], v[162:163], v[160:161]
	s_nop 1
	v_div_fmas_f64 v[142:143], v[142:143], v[158:159], v[162:163]
	v_div_fixup_f64 v[140:141], v[142:143], v[140:141], 1.0
	v_mul_f64 v[142:143], v[156:157], -v[140:141]
.LBB68_156:
	s_or_b64 exec, exec, s[16:17]
.LBB68_157:
	s_or_b64 exec, exec, s[0:1]
	v_cmp_ne_u32_e32 vcc, v153, v150
	s_and_saveexec_b64 s[0:1], vcc
	s_xor_b64 s[0:1], exec, s[0:1]
	s_cbranch_execz .LBB68_163
; %bb.158:
	v_cmp_eq_u32_e32 vcc, 7, v153
	s_and_saveexec_b64 s[16:17], vcc
	s_cbranch_execz .LBB68_162
; %bb.159:
	v_cmp_ne_u32_e32 vcc, 7, v150
	s_xor_b64 s[18:19], s[14:15], -1
	s_and_b64 s[22:23], s[18:19], vcc
	s_and_saveexec_b64 s[18:19], s[22:23]
	s_cbranch_execz .LBB68_161
; %bb.160:
	v_ashrrev_i32_e32 v151, 31, v150
	v_lshl_add_u64 v[156:157], v[150:151], 2, v[148:149]
	global_load_dword v151, v[156:157], off
	global_load_dword v153, v[148:149], off offset:28
	s_waitcnt vmcnt(1)
	global_store_dword v[148:149], v151, off offset:28
	s_waitcnt vmcnt(1)
	global_store_dword v[156:157], v153, off
.LBB68_161:
	s_or_b64 exec, exec, s[18:19]
	v_mov_b32_e32 v153, v150
	v_mov_b32_e32 v155, v150
.LBB68_162:
	s_or_b64 exec, exec, s[16:17]
.LBB68_163:
	s_andn2_saveexec_b64 s[0:1], s[0:1]
	s_cbranch_execz .LBB68_165
; %bb.164:
	v_mov_b32_e32 v153, 7
	s_waitcnt vmcnt(26)
	ds_write2_b64 v152, v[108:109], v[110:111] offset0:16 offset1:17
	s_waitcnt vmcnt(25)
	ds_write2_b64 v152, v[104:105], v[106:107] offset0:18 offset1:19
	;; [unrolled: 2-line block ×27, first 2 shown]
.LBB68_165:
	s_or_b64 exec, exec, s[0:1]
	v_cmp_lt_i32_e32 vcc, 7, v153
	s_waitcnt lgkmcnt(0)
	s_barrier
	s_and_saveexec_b64 s[0:1], vcc
	s_cbranch_execz .LBB68_167
; %bb.166:
	ds_read2_b64 v[156:159], v152 offset0:16 offset1:17
	v_mul_f64 v[150:151], v[142:143], v[114:115]
	v_mul_f64 v[114:115], v[140:141], v[114:115]
	v_fmac_f64_e32 v[114:115], v[142:143], v[112:113]
	v_fma_f64 v[150:151], v[140:141], v[112:113], -v[150:151]
	ds_read2_b64 v[140:143], v152 offset0:18 offset1:19
	s_waitcnt lgkmcnt(1)
	v_mul_f64 v[112:113], v[158:159], v[114:115]
	v_fma_f64 v[112:113], v[156:157], v[150:151], -v[112:113]
	v_mul_f64 v[156:157], v[156:157], v[114:115]
	v_fmac_f64_e32 v[156:157], v[158:159], v[150:151]
	s_waitcnt vmcnt(26)
	v_add_f64 v[110:111], v[110:111], -v[156:157]
	ds_read2_b64 v[156:159], v152 offset0:20 offset1:21
	v_add_f64 v[108:109], v[108:109], -v[112:113]
	s_waitcnt lgkmcnt(1)
	v_mul_f64 v[112:113], v[142:143], v[114:115]
	v_fma_f64 v[112:113], v[140:141], v[150:151], -v[112:113]
	v_mul_f64 v[140:141], v[140:141], v[114:115]
	v_fmac_f64_e32 v[140:141], v[142:143], v[150:151]
	s_waitcnt vmcnt(25)
	v_add_f64 v[104:105], v[104:105], -v[112:113]
	v_add_f64 v[106:107], v[106:107], -v[140:141]
	ds_read2_b64 v[140:143], v152 offset0:22 offset1:23
	s_waitcnt lgkmcnt(1)
	v_mul_f64 v[112:113], v[158:159], v[114:115]
	v_fma_f64 v[112:113], v[156:157], v[150:151], -v[112:113]
	v_mul_f64 v[156:157], v[156:157], v[114:115]
	v_fmac_f64_e32 v[156:157], v[158:159], v[150:151]
	s_waitcnt vmcnt(24)
	v_add_f64 v[102:103], v[102:103], -v[156:157]
	ds_read2_b64 v[156:159], v152 offset0:24 offset1:25
	v_add_f64 v[100:101], v[100:101], -v[112:113]
	s_waitcnt lgkmcnt(1)
	v_mul_f64 v[112:113], v[142:143], v[114:115]
	v_fma_f64 v[112:113], v[140:141], v[150:151], -v[112:113]
	v_mul_f64 v[140:141], v[140:141], v[114:115]
	v_fmac_f64_e32 v[140:141], v[142:143], v[150:151]
	s_waitcnt vmcnt(23)
	v_add_f64 v[88:89], v[88:89], -v[112:113]
	v_add_f64 v[90:91], v[90:91], -v[140:141]
	;; [unrolled: 18-line block ×13, first 2 shown]
	s_waitcnt lgkmcnt(0)
	v_mul_f64 v[112:113], v[158:159], v[114:115]
	v_mul_f64 v[140:141], v[156:157], v[114:115]
	v_fma_f64 v[112:113], v[156:157], v[150:151], -v[112:113]
	v_fmac_f64_e32 v[140:141], v[158:159], v[150:151]
	s_waitcnt vmcnt(0)
	v_add_f64 v[136:137], v[136:137], -v[112:113]
	v_add_f64 v[138:139], v[138:139], -v[140:141]
	v_mov_b64_e32 v[112:113], v[150:151]
.LBB68_167:
	s_or_b64 exec, exec, s[0:1]
	v_lshl_add_u32 v140, v153, 4, v152
	s_barrier
	s_waitcnt vmcnt(26)
	ds_write2_b64 v140, v[108:109], v[110:111] offset1:1
	s_waitcnt lgkmcnt(0)
	s_barrier
	ds_read2_b64 v[140:143], v152 offset0:16 offset1:17
	s_cmp_lt_i32 s20, 10
	v_mov_b32_e32 v150, 8
	s_cbranch_scc1 .LBB68_170
; %bb.168:
	v_add_u32_e32 v151, 0x90, v152
	s_mov_b32 s16, 9
	v_mov_b32_e32 v150, 8
.LBB68_169:                             ; =>This Inner Loop Header: Depth=1
	ds_read2_b64 v[156:159], v151 offset1:1
	s_waitcnt lgkmcnt(1)
	v_xor_b32_e32 v161, 0x80000000, v141
	v_xor_b32_e32 v163, 0x80000000, v143
	v_cmp_gt_f64_e32 vcc, 0, v[142:143]
	v_cmp_gt_f64_e64 s[0:1], 0, v[140:141]
	v_mov_b32_e32 v160, v140
	v_mov_b32_e32 v162, v142
	v_cndmask_b32_e64 v161, v141, v161, s[0:1]
	v_cndmask_b32_e32 v163, v143, v163, vcc
	v_add_f64 v[160:161], v[160:161], v[162:163]
	s_waitcnt lgkmcnt(0)
	v_xor_b32_e32 v163, 0x80000000, v157
	v_xor_b32_e32 v165, 0x80000000, v159
	v_cmp_gt_f64_e32 vcc, 0, v[158:159]
	v_cmp_gt_f64_e64 s[0:1], 0, v[156:157]
	v_mov_b32_e32 v162, v156
	v_mov_b32_e32 v164, v158
	v_cndmask_b32_e64 v163, v157, v163, s[0:1]
	v_cndmask_b32_e32 v165, v159, v165, vcc
	v_add_f64 v[162:163], v[162:163], v[164:165]
	v_mov_b32_e32 v166, s16
	s_add_i32 s16, s16, 1
	v_cmp_lt_f64_e32 vcc, v[160:161], v[162:163]
	v_add_u32_e32 v151, 16, v151
	s_cmp_lg_u32 s20, s16
	v_cndmask_b32_e32 v141, v141, v157, vcc
	v_cndmask_b32_e32 v140, v140, v156, vcc
	;; [unrolled: 1-line block ×5, first 2 shown]
	s_cbranch_scc1 .LBB68_169
.LBB68_170:
	s_waitcnt lgkmcnt(0)
	v_cmp_eq_f64_e32 vcc, 0, v[140:141]
	v_cmp_eq_f64_e64 s[0:1], 0, v[142:143]
	s_and_b64 s[0:1], vcc, s[0:1]
	s_and_saveexec_b64 s[16:17], s[0:1]
	s_xor_b64 s[0:1], exec, s[16:17]
; %bb.171:
	v_cmp_ne_u32_e32 vcc, 0, v154
	s_nop 1
	v_cndmask_b32_e32 v154, 9, v154, vcc
; %bb.172:
	s_andn2_saveexec_b64 s[0:1], s[0:1]
	s_cbranch_execz .LBB68_178
; %bb.173:
	v_cmp_ngt_f64_e64 s[16:17], |v[140:141]|, |v[142:143]|
	s_and_saveexec_b64 s[18:19], s[16:17]
	s_xor_b64 s[16:17], exec, s[18:19]
	s_cbranch_execz .LBB68_175
; %bb.174:
	v_div_scale_f64 v[156:157], s[18:19], v[142:143], v[142:143], v[140:141]
	v_rcp_f64_e32 v[158:159], v[156:157]
	v_div_scale_f64 v[160:161], vcc, v[140:141], v[142:143], v[140:141]
	v_fma_f64 v[162:163], -v[156:157], v[158:159], 1.0
	v_fmac_f64_e32 v[158:159], v[158:159], v[162:163]
	v_fma_f64 v[162:163], -v[156:157], v[158:159], 1.0
	v_fmac_f64_e32 v[158:159], v[158:159], v[162:163]
	v_mul_f64 v[162:163], v[160:161], v[158:159]
	v_fma_f64 v[156:157], -v[156:157], v[162:163], v[160:161]
	v_div_fmas_f64 v[156:157], v[156:157], v[158:159], v[162:163]
	v_div_fixup_f64 v[156:157], v[156:157], v[142:143], v[140:141]
	v_fmac_f64_e32 v[142:143], v[140:141], v[156:157]
	v_div_scale_f64 v[140:141], s[18:19], v[142:143], v[142:143], 1.0
	v_rcp_f64_e32 v[158:159], v[140:141]
	s_nop 0
	v_fma_f64 v[160:161], -v[140:141], v[158:159], 1.0
	v_fmac_f64_e32 v[158:159], v[158:159], v[160:161]
	v_fma_f64 v[160:161], -v[140:141], v[158:159], 1.0
	v_fmac_f64_e32 v[158:159], v[158:159], v[160:161]
	v_div_scale_f64 v[160:161], vcc, 1.0, v[142:143], 1.0
	v_mul_f64 v[162:163], v[160:161], v[158:159]
	v_fma_f64 v[140:141], -v[140:141], v[162:163], v[160:161]
	s_nop 1
	v_div_fmas_f64 v[140:141], v[140:141], v[158:159], v[162:163]
	v_div_fixup_f64 v[142:143], v[140:141], v[142:143], 1.0
	v_mul_f64 v[140:141], v[156:157], v[142:143]
	v_xor_b32_e32 v143, 0x80000000, v143
.LBB68_175:
	s_andn2_saveexec_b64 s[16:17], s[16:17]
	s_cbranch_execz .LBB68_177
; %bb.176:
	v_div_scale_f64 v[156:157], s[18:19], v[140:141], v[140:141], v[142:143]
	v_rcp_f64_e32 v[158:159], v[156:157]
	v_div_scale_f64 v[160:161], vcc, v[142:143], v[140:141], v[142:143]
	v_fma_f64 v[162:163], -v[156:157], v[158:159], 1.0
	v_fmac_f64_e32 v[158:159], v[158:159], v[162:163]
	v_fma_f64 v[162:163], -v[156:157], v[158:159], 1.0
	v_fmac_f64_e32 v[158:159], v[158:159], v[162:163]
	v_mul_f64 v[162:163], v[160:161], v[158:159]
	v_fma_f64 v[156:157], -v[156:157], v[162:163], v[160:161]
	v_div_fmas_f64 v[156:157], v[156:157], v[158:159], v[162:163]
	v_div_fixup_f64 v[156:157], v[156:157], v[140:141], v[142:143]
	v_fmac_f64_e32 v[140:141], v[142:143], v[156:157]
	v_div_scale_f64 v[142:143], s[18:19], v[140:141], v[140:141], 1.0
	v_rcp_f64_e32 v[158:159], v[142:143]
	s_nop 0
	v_fma_f64 v[160:161], -v[142:143], v[158:159], 1.0
	v_fmac_f64_e32 v[158:159], v[158:159], v[160:161]
	v_fma_f64 v[160:161], -v[142:143], v[158:159], 1.0
	v_fmac_f64_e32 v[158:159], v[158:159], v[160:161]
	v_div_scale_f64 v[160:161], vcc, 1.0, v[140:141], 1.0
	v_mul_f64 v[162:163], v[160:161], v[158:159]
	v_fma_f64 v[142:143], -v[142:143], v[162:163], v[160:161]
	s_nop 1
	v_div_fmas_f64 v[142:143], v[142:143], v[158:159], v[162:163]
	v_div_fixup_f64 v[140:141], v[142:143], v[140:141], 1.0
	v_mul_f64 v[142:143], v[156:157], -v[140:141]
.LBB68_177:
	s_or_b64 exec, exec, s[16:17]
.LBB68_178:
	s_or_b64 exec, exec, s[0:1]
	v_cmp_ne_u32_e32 vcc, v153, v150
	s_and_saveexec_b64 s[0:1], vcc
	s_xor_b64 s[0:1], exec, s[0:1]
	s_cbranch_execz .LBB68_184
; %bb.179:
	v_cmp_eq_u32_e32 vcc, 8, v153
	s_and_saveexec_b64 s[16:17], vcc
	s_cbranch_execz .LBB68_183
; %bb.180:
	v_cmp_ne_u32_e32 vcc, 8, v150
	s_xor_b64 s[18:19], s[14:15], -1
	s_and_b64 s[22:23], s[18:19], vcc
	s_and_saveexec_b64 s[18:19], s[22:23]
	s_cbranch_execz .LBB68_182
; %bb.181:
	v_ashrrev_i32_e32 v151, 31, v150
	v_lshl_add_u64 v[156:157], v[150:151], 2, v[148:149]
	global_load_dword v151, v[156:157], off
	global_load_dword v153, v[148:149], off offset:32
	s_waitcnt vmcnt(1)
	global_store_dword v[148:149], v151, off offset:32
	s_waitcnt vmcnt(1)
	global_store_dword v[156:157], v153, off
.LBB68_182:
	s_or_b64 exec, exec, s[18:19]
	v_mov_b32_e32 v153, v150
	v_mov_b32_e32 v155, v150
.LBB68_183:
	s_or_b64 exec, exec, s[16:17]
.LBB68_184:
	s_andn2_saveexec_b64 s[0:1], s[0:1]
	s_cbranch_execz .LBB68_186
; %bb.185:
	v_mov_b32_e32 v153, 8
	s_waitcnt vmcnt(25)
	ds_write2_b64 v152, v[104:105], v[106:107] offset0:18 offset1:19
	s_waitcnt vmcnt(24)
	ds_write2_b64 v152, v[100:101], v[102:103] offset0:20 offset1:21
	;; [unrolled: 2-line block ×26, first 2 shown]
.LBB68_186:
	s_or_b64 exec, exec, s[0:1]
	v_cmp_lt_i32_e32 vcc, 8, v153
	s_waitcnt lgkmcnt(0)
	s_barrier
	s_and_saveexec_b64 s[0:1], vcc
	s_cbranch_execz .LBB68_188
; %bb.187:
	ds_read2_b64 v[156:159], v152 offset0:18 offset1:19
	v_mul_f64 v[150:151], v[142:143], v[110:111]
	v_mul_f64 v[110:111], v[140:141], v[110:111]
	v_fma_f64 v[150:151], v[140:141], v[108:109], -v[150:151]
	v_fmac_f64_e32 v[110:111], v[142:143], v[108:109]
	ds_read2_b64 v[140:143], v152 offset0:20 offset1:21
	s_waitcnt lgkmcnt(1)
	v_mul_f64 v[108:109], v[158:159], v[110:111]
	v_fma_f64 v[108:109], v[156:157], v[150:151], -v[108:109]
	v_mul_f64 v[156:157], v[156:157], v[110:111]
	v_fmac_f64_e32 v[156:157], v[158:159], v[150:151]
	s_waitcnt vmcnt(25)
	v_add_f64 v[104:105], v[104:105], -v[108:109]
	s_waitcnt lgkmcnt(0)
	v_mul_f64 v[108:109], v[142:143], v[110:111]
	v_add_f64 v[106:107], v[106:107], -v[156:157]
	v_fma_f64 v[108:109], v[140:141], v[150:151], -v[108:109]
	v_mul_f64 v[140:141], v[140:141], v[110:111]
	ds_read2_b64 v[156:159], v152 offset0:22 offset1:23
	v_fmac_f64_e32 v[140:141], v[142:143], v[150:151]
	s_waitcnt vmcnt(24)
	v_add_f64 v[102:103], v[102:103], -v[140:141]
	ds_read2_b64 v[140:143], v152 offset0:24 offset1:25
	v_add_f64 v[100:101], v[100:101], -v[108:109]
	s_waitcnt lgkmcnt(1)
	v_mul_f64 v[108:109], v[158:159], v[110:111]
	v_fma_f64 v[108:109], v[156:157], v[150:151], -v[108:109]
	v_mul_f64 v[156:157], v[156:157], v[110:111]
	v_fmac_f64_e32 v[156:157], v[158:159], v[150:151]
	s_waitcnt vmcnt(23)
	v_add_f64 v[88:89], v[88:89], -v[108:109]
	s_waitcnt lgkmcnt(0)
	v_mul_f64 v[108:109], v[142:143], v[110:111]
	v_add_f64 v[90:91], v[90:91], -v[156:157]
	v_fma_f64 v[108:109], v[140:141], v[150:151], -v[108:109]
	v_mul_f64 v[140:141], v[140:141], v[110:111]
	ds_read2_b64 v[156:159], v152 offset0:26 offset1:27
	v_fmac_f64_e32 v[140:141], v[142:143], v[150:151]
	s_waitcnt vmcnt(22)
	v_add_f64 v[82:83], v[82:83], -v[140:141]
	ds_read2_b64 v[140:143], v152 offset0:28 offset1:29
	v_add_f64 v[80:81], v[80:81], -v[108:109]
	;; [unrolled: 18-line block ×12, first 2 shown]
	s_waitcnt lgkmcnt(1)
	v_mul_f64 v[108:109], v[158:159], v[110:111]
	v_fma_f64 v[108:109], v[156:157], v[150:151], -v[108:109]
	s_waitcnt vmcnt(1)
	v_add_f64 v[0:1], v[0:1], -v[108:109]
	s_waitcnt lgkmcnt(0)
	v_mul_f64 v[108:109], v[142:143], v[110:111]
	v_mul_f64 v[156:157], v[156:157], v[110:111]
	v_fma_f64 v[108:109], v[140:141], v[150:151], -v[108:109]
	v_mul_f64 v[140:141], v[140:141], v[110:111]
	v_fmac_f64_e32 v[156:157], v[158:159], v[150:151]
	v_fmac_f64_e32 v[140:141], v[142:143], v[150:151]
	v_add_f64 v[2:3], v[2:3], -v[156:157]
	s_waitcnt vmcnt(0)
	v_add_f64 v[136:137], v[136:137], -v[108:109]
	v_add_f64 v[138:139], v[138:139], -v[140:141]
	v_mov_b64_e32 v[108:109], v[150:151]
.LBB68_188:
	s_or_b64 exec, exec, s[0:1]
	v_lshl_add_u32 v140, v153, 4, v152
	s_barrier
	s_waitcnt vmcnt(25)
	ds_write2_b64 v140, v[104:105], v[106:107] offset1:1
	s_waitcnt lgkmcnt(0)
	s_barrier
	ds_read2_b64 v[140:143], v152 offset0:18 offset1:19
	s_cmp_lt_i32 s20, 11
	v_mov_b32_e32 v150, 9
	s_cbranch_scc1 .LBB68_191
; %bb.189:
	v_add_u32_e32 v151, 0xa0, v152
	s_mov_b32 s16, 10
	v_mov_b32_e32 v150, 9
.LBB68_190:                             ; =>This Inner Loop Header: Depth=1
	ds_read2_b64 v[156:159], v151 offset1:1
	s_waitcnt lgkmcnt(1)
	v_xor_b32_e32 v161, 0x80000000, v141
	v_xor_b32_e32 v163, 0x80000000, v143
	v_cmp_gt_f64_e32 vcc, 0, v[142:143]
	v_cmp_gt_f64_e64 s[0:1], 0, v[140:141]
	v_mov_b32_e32 v160, v140
	v_mov_b32_e32 v162, v142
	v_cndmask_b32_e64 v161, v141, v161, s[0:1]
	v_cndmask_b32_e32 v163, v143, v163, vcc
	v_add_f64 v[160:161], v[160:161], v[162:163]
	s_waitcnt lgkmcnt(0)
	v_xor_b32_e32 v163, 0x80000000, v157
	v_xor_b32_e32 v165, 0x80000000, v159
	v_cmp_gt_f64_e32 vcc, 0, v[158:159]
	v_cmp_gt_f64_e64 s[0:1], 0, v[156:157]
	v_mov_b32_e32 v162, v156
	v_mov_b32_e32 v164, v158
	v_cndmask_b32_e64 v163, v157, v163, s[0:1]
	v_cndmask_b32_e32 v165, v159, v165, vcc
	v_add_f64 v[162:163], v[162:163], v[164:165]
	v_mov_b32_e32 v166, s16
	s_add_i32 s16, s16, 1
	v_cmp_lt_f64_e32 vcc, v[160:161], v[162:163]
	v_add_u32_e32 v151, 16, v151
	s_cmp_lg_u32 s20, s16
	v_cndmask_b32_e32 v141, v141, v157, vcc
	v_cndmask_b32_e32 v140, v140, v156, vcc
	;; [unrolled: 1-line block ×5, first 2 shown]
	s_cbranch_scc1 .LBB68_190
.LBB68_191:
	s_waitcnt lgkmcnt(0)
	v_cmp_eq_f64_e32 vcc, 0, v[140:141]
	v_cmp_eq_f64_e64 s[0:1], 0, v[142:143]
	s_and_b64 s[0:1], vcc, s[0:1]
	s_and_saveexec_b64 s[16:17], s[0:1]
	s_xor_b64 s[0:1], exec, s[16:17]
; %bb.192:
	v_cmp_ne_u32_e32 vcc, 0, v154
	s_nop 1
	v_cndmask_b32_e32 v154, 10, v154, vcc
; %bb.193:
	s_andn2_saveexec_b64 s[0:1], s[0:1]
	s_cbranch_execz .LBB68_199
; %bb.194:
	v_cmp_ngt_f64_e64 s[16:17], |v[140:141]|, |v[142:143]|
	s_and_saveexec_b64 s[18:19], s[16:17]
	s_xor_b64 s[16:17], exec, s[18:19]
	s_cbranch_execz .LBB68_196
; %bb.195:
	v_div_scale_f64 v[156:157], s[18:19], v[142:143], v[142:143], v[140:141]
	v_rcp_f64_e32 v[158:159], v[156:157]
	v_div_scale_f64 v[160:161], vcc, v[140:141], v[142:143], v[140:141]
	v_fma_f64 v[162:163], -v[156:157], v[158:159], 1.0
	v_fmac_f64_e32 v[158:159], v[158:159], v[162:163]
	v_fma_f64 v[162:163], -v[156:157], v[158:159], 1.0
	v_fmac_f64_e32 v[158:159], v[158:159], v[162:163]
	v_mul_f64 v[162:163], v[160:161], v[158:159]
	v_fma_f64 v[156:157], -v[156:157], v[162:163], v[160:161]
	v_div_fmas_f64 v[156:157], v[156:157], v[158:159], v[162:163]
	v_div_fixup_f64 v[156:157], v[156:157], v[142:143], v[140:141]
	v_fmac_f64_e32 v[142:143], v[140:141], v[156:157]
	v_div_scale_f64 v[140:141], s[18:19], v[142:143], v[142:143], 1.0
	v_rcp_f64_e32 v[158:159], v[140:141]
	s_nop 0
	v_fma_f64 v[160:161], -v[140:141], v[158:159], 1.0
	v_fmac_f64_e32 v[158:159], v[158:159], v[160:161]
	v_fma_f64 v[160:161], -v[140:141], v[158:159], 1.0
	v_fmac_f64_e32 v[158:159], v[158:159], v[160:161]
	v_div_scale_f64 v[160:161], vcc, 1.0, v[142:143], 1.0
	v_mul_f64 v[162:163], v[160:161], v[158:159]
	v_fma_f64 v[140:141], -v[140:141], v[162:163], v[160:161]
	s_nop 1
	v_div_fmas_f64 v[140:141], v[140:141], v[158:159], v[162:163]
	v_div_fixup_f64 v[142:143], v[140:141], v[142:143], 1.0
	v_mul_f64 v[140:141], v[156:157], v[142:143]
	v_xor_b32_e32 v143, 0x80000000, v143
.LBB68_196:
	s_andn2_saveexec_b64 s[16:17], s[16:17]
	s_cbranch_execz .LBB68_198
; %bb.197:
	v_div_scale_f64 v[156:157], s[18:19], v[140:141], v[140:141], v[142:143]
	v_rcp_f64_e32 v[158:159], v[156:157]
	v_div_scale_f64 v[160:161], vcc, v[142:143], v[140:141], v[142:143]
	v_fma_f64 v[162:163], -v[156:157], v[158:159], 1.0
	v_fmac_f64_e32 v[158:159], v[158:159], v[162:163]
	v_fma_f64 v[162:163], -v[156:157], v[158:159], 1.0
	v_fmac_f64_e32 v[158:159], v[158:159], v[162:163]
	v_mul_f64 v[162:163], v[160:161], v[158:159]
	v_fma_f64 v[156:157], -v[156:157], v[162:163], v[160:161]
	v_div_fmas_f64 v[156:157], v[156:157], v[158:159], v[162:163]
	v_div_fixup_f64 v[156:157], v[156:157], v[140:141], v[142:143]
	v_fmac_f64_e32 v[140:141], v[142:143], v[156:157]
	v_div_scale_f64 v[142:143], s[18:19], v[140:141], v[140:141], 1.0
	v_rcp_f64_e32 v[158:159], v[142:143]
	s_nop 0
	v_fma_f64 v[160:161], -v[142:143], v[158:159], 1.0
	v_fmac_f64_e32 v[158:159], v[158:159], v[160:161]
	v_fma_f64 v[160:161], -v[142:143], v[158:159], 1.0
	v_fmac_f64_e32 v[158:159], v[158:159], v[160:161]
	v_div_scale_f64 v[160:161], vcc, 1.0, v[140:141], 1.0
	v_mul_f64 v[162:163], v[160:161], v[158:159]
	v_fma_f64 v[142:143], -v[142:143], v[162:163], v[160:161]
	s_nop 1
	v_div_fmas_f64 v[142:143], v[142:143], v[158:159], v[162:163]
	v_div_fixup_f64 v[140:141], v[142:143], v[140:141], 1.0
	v_mul_f64 v[142:143], v[156:157], -v[140:141]
.LBB68_198:
	s_or_b64 exec, exec, s[16:17]
.LBB68_199:
	s_or_b64 exec, exec, s[0:1]
	v_cmp_ne_u32_e32 vcc, v153, v150
	s_and_saveexec_b64 s[0:1], vcc
	s_xor_b64 s[0:1], exec, s[0:1]
	s_cbranch_execz .LBB68_205
; %bb.200:
	v_cmp_eq_u32_e32 vcc, 9, v153
	s_and_saveexec_b64 s[16:17], vcc
	s_cbranch_execz .LBB68_204
; %bb.201:
	v_cmp_ne_u32_e32 vcc, 9, v150
	s_xor_b64 s[18:19], s[14:15], -1
	s_and_b64 s[22:23], s[18:19], vcc
	s_and_saveexec_b64 s[18:19], s[22:23]
	s_cbranch_execz .LBB68_203
; %bb.202:
	v_ashrrev_i32_e32 v151, 31, v150
	v_lshl_add_u64 v[156:157], v[150:151], 2, v[148:149]
	global_load_dword v151, v[156:157], off
	global_load_dword v153, v[148:149], off offset:36
	s_waitcnt vmcnt(1)
	global_store_dword v[148:149], v151, off offset:36
	s_waitcnt vmcnt(1)
	global_store_dword v[156:157], v153, off
.LBB68_203:
	s_or_b64 exec, exec, s[18:19]
	v_mov_b32_e32 v153, v150
	v_mov_b32_e32 v155, v150
.LBB68_204:
	s_or_b64 exec, exec, s[16:17]
.LBB68_205:
	s_andn2_saveexec_b64 s[0:1], s[0:1]
	s_cbranch_execz .LBB68_207
; %bb.206:
	v_mov_b32_e32 v153, 9
	s_waitcnt vmcnt(24)
	ds_write2_b64 v152, v[100:101], v[102:103] offset0:20 offset1:21
	s_waitcnt vmcnt(23)
	ds_write2_b64 v152, v[88:89], v[90:91] offset0:22 offset1:23
	;; [unrolled: 2-line block ×25, first 2 shown]
.LBB68_207:
	s_or_b64 exec, exec, s[0:1]
	v_cmp_lt_i32_e32 vcc, 9, v153
	s_waitcnt lgkmcnt(0)
	s_barrier
	s_and_saveexec_b64 s[0:1], vcc
	s_cbranch_execz .LBB68_209
; %bb.208:
	ds_read2_b64 v[156:159], v152 offset0:20 offset1:21
	v_mul_f64 v[150:151], v[142:143], v[106:107]
	v_mul_f64 v[106:107], v[140:141], v[106:107]
	v_fmac_f64_e32 v[106:107], v[142:143], v[104:105]
	v_fma_f64 v[150:151], v[140:141], v[104:105], -v[150:151]
	ds_read2_b64 v[140:143], v152 offset0:22 offset1:23
	s_waitcnt lgkmcnt(1)
	v_mul_f64 v[104:105], v[158:159], v[106:107]
	v_fma_f64 v[104:105], v[156:157], v[150:151], -v[104:105]
	v_mul_f64 v[156:157], v[156:157], v[106:107]
	v_fmac_f64_e32 v[156:157], v[158:159], v[150:151]
	s_waitcnt vmcnt(24)
	v_add_f64 v[102:103], v[102:103], -v[156:157]
	ds_read2_b64 v[156:159], v152 offset0:24 offset1:25
	v_add_f64 v[100:101], v[100:101], -v[104:105]
	s_waitcnt lgkmcnt(1)
	v_mul_f64 v[104:105], v[142:143], v[106:107]
	v_fma_f64 v[104:105], v[140:141], v[150:151], -v[104:105]
	v_mul_f64 v[140:141], v[140:141], v[106:107]
	v_fmac_f64_e32 v[140:141], v[142:143], v[150:151]
	s_waitcnt vmcnt(23)
	v_add_f64 v[88:89], v[88:89], -v[104:105]
	v_add_f64 v[90:91], v[90:91], -v[140:141]
	ds_read2_b64 v[140:143], v152 offset0:26 offset1:27
	s_waitcnt lgkmcnt(1)
	v_mul_f64 v[104:105], v[158:159], v[106:107]
	v_fma_f64 v[104:105], v[156:157], v[150:151], -v[104:105]
	v_mul_f64 v[156:157], v[156:157], v[106:107]
	v_fmac_f64_e32 v[156:157], v[158:159], v[150:151]
	s_waitcnt vmcnt(22)
	v_add_f64 v[82:83], v[82:83], -v[156:157]
	ds_read2_b64 v[156:159], v152 offset0:28 offset1:29
	v_add_f64 v[80:81], v[80:81], -v[104:105]
	s_waitcnt lgkmcnt(1)
	v_mul_f64 v[104:105], v[142:143], v[106:107]
	v_fma_f64 v[104:105], v[140:141], v[150:151], -v[104:105]
	v_mul_f64 v[140:141], v[140:141], v[106:107]
	v_fmac_f64_e32 v[140:141], v[142:143], v[150:151]
	s_waitcnt vmcnt(21)
	v_add_f64 v[84:85], v[84:85], -v[104:105]
	v_add_f64 v[86:87], v[86:87], -v[140:141]
	;; [unrolled: 18-line block ×12, first 2 shown]
	s_waitcnt lgkmcnt(0)
	v_mul_f64 v[104:105], v[158:159], v[106:107]
	v_mul_f64 v[140:141], v[156:157], v[106:107]
	v_fma_f64 v[104:105], v[156:157], v[150:151], -v[104:105]
	v_fmac_f64_e32 v[140:141], v[158:159], v[150:151]
	s_waitcnt vmcnt(0)
	v_add_f64 v[136:137], v[136:137], -v[104:105]
	v_add_f64 v[138:139], v[138:139], -v[140:141]
	v_mov_b64_e32 v[104:105], v[150:151]
.LBB68_209:
	s_or_b64 exec, exec, s[0:1]
	v_lshl_add_u32 v140, v153, 4, v152
	s_barrier
	s_waitcnt vmcnt(24)
	ds_write2_b64 v140, v[100:101], v[102:103] offset1:1
	s_waitcnt lgkmcnt(0)
	s_barrier
	ds_read2_b64 v[140:143], v152 offset0:20 offset1:21
	s_cmp_lt_i32 s20, 12
	v_mov_b32_e32 v150, 10
	s_cbranch_scc1 .LBB68_212
; %bb.210:
	v_add_u32_e32 v151, 0xb0, v152
	s_mov_b32 s16, 11
	v_mov_b32_e32 v150, 10
.LBB68_211:                             ; =>This Inner Loop Header: Depth=1
	ds_read2_b64 v[156:159], v151 offset1:1
	s_waitcnt lgkmcnt(1)
	v_xor_b32_e32 v161, 0x80000000, v141
	v_xor_b32_e32 v163, 0x80000000, v143
	v_cmp_gt_f64_e32 vcc, 0, v[142:143]
	v_cmp_gt_f64_e64 s[0:1], 0, v[140:141]
	v_mov_b32_e32 v160, v140
	v_mov_b32_e32 v162, v142
	v_cndmask_b32_e64 v161, v141, v161, s[0:1]
	v_cndmask_b32_e32 v163, v143, v163, vcc
	v_add_f64 v[160:161], v[160:161], v[162:163]
	s_waitcnt lgkmcnt(0)
	v_xor_b32_e32 v163, 0x80000000, v157
	v_xor_b32_e32 v165, 0x80000000, v159
	v_cmp_gt_f64_e32 vcc, 0, v[158:159]
	v_cmp_gt_f64_e64 s[0:1], 0, v[156:157]
	v_mov_b32_e32 v162, v156
	v_mov_b32_e32 v164, v158
	v_cndmask_b32_e64 v163, v157, v163, s[0:1]
	v_cndmask_b32_e32 v165, v159, v165, vcc
	v_add_f64 v[162:163], v[162:163], v[164:165]
	v_mov_b32_e32 v166, s16
	s_add_i32 s16, s16, 1
	v_cmp_lt_f64_e32 vcc, v[160:161], v[162:163]
	v_add_u32_e32 v151, 16, v151
	s_cmp_lg_u32 s20, s16
	v_cndmask_b32_e32 v141, v141, v157, vcc
	v_cndmask_b32_e32 v140, v140, v156, vcc
	v_cndmask_b32_e32 v143, v143, v159, vcc
	v_cndmask_b32_e32 v142, v142, v158, vcc
	v_cndmask_b32_e32 v150, v150, v166, vcc
	s_cbranch_scc1 .LBB68_211
.LBB68_212:
	s_waitcnt lgkmcnt(0)
	v_cmp_eq_f64_e32 vcc, 0, v[140:141]
	v_cmp_eq_f64_e64 s[0:1], 0, v[142:143]
	s_and_b64 s[0:1], vcc, s[0:1]
	s_and_saveexec_b64 s[16:17], s[0:1]
	s_xor_b64 s[0:1], exec, s[16:17]
; %bb.213:
	v_cmp_ne_u32_e32 vcc, 0, v154
	s_nop 1
	v_cndmask_b32_e32 v154, 11, v154, vcc
; %bb.214:
	s_andn2_saveexec_b64 s[0:1], s[0:1]
	s_cbranch_execz .LBB68_220
; %bb.215:
	v_cmp_ngt_f64_e64 s[16:17], |v[140:141]|, |v[142:143]|
	s_and_saveexec_b64 s[18:19], s[16:17]
	s_xor_b64 s[16:17], exec, s[18:19]
	s_cbranch_execz .LBB68_217
; %bb.216:
	v_div_scale_f64 v[156:157], s[18:19], v[142:143], v[142:143], v[140:141]
	v_rcp_f64_e32 v[158:159], v[156:157]
	v_div_scale_f64 v[160:161], vcc, v[140:141], v[142:143], v[140:141]
	v_fma_f64 v[162:163], -v[156:157], v[158:159], 1.0
	v_fmac_f64_e32 v[158:159], v[158:159], v[162:163]
	v_fma_f64 v[162:163], -v[156:157], v[158:159], 1.0
	v_fmac_f64_e32 v[158:159], v[158:159], v[162:163]
	v_mul_f64 v[162:163], v[160:161], v[158:159]
	v_fma_f64 v[156:157], -v[156:157], v[162:163], v[160:161]
	v_div_fmas_f64 v[156:157], v[156:157], v[158:159], v[162:163]
	v_div_fixup_f64 v[156:157], v[156:157], v[142:143], v[140:141]
	v_fmac_f64_e32 v[142:143], v[140:141], v[156:157]
	v_div_scale_f64 v[140:141], s[18:19], v[142:143], v[142:143], 1.0
	v_rcp_f64_e32 v[158:159], v[140:141]
	s_nop 0
	v_fma_f64 v[160:161], -v[140:141], v[158:159], 1.0
	v_fmac_f64_e32 v[158:159], v[158:159], v[160:161]
	v_fma_f64 v[160:161], -v[140:141], v[158:159], 1.0
	v_fmac_f64_e32 v[158:159], v[158:159], v[160:161]
	v_div_scale_f64 v[160:161], vcc, 1.0, v[142:143], 1.0
	v_mul_f64 v[162:163], v[160:161], v[158:159]
	v_fma_f64 v[140:141], -v[140:141], v[162:163], v[160:161]
	s_nop 1
	v_div_fmas_f64 v[140:141], v[140:141], v[158:159], v[162:163]
	v_div_fixup_f64 v[142:143], v[140:141], v[142:143], 1.0
	v_mul_f64 v[140:141], v[156:157], v[142:143]
	v_xor_b32_e32 v143, 0x80000000, v143
.LBB68_217:
	s_andn2_saveexec_b64 s[16:17], s[16:17]
	s_cbranch_execz .LBB68_219
; %bb.218:
	v_div_scale_f64 v[156:157], s[18:19], v[140:141], v[140:141], v[142:143]
	v_rcp_f64_e32 v[158:159], v[156:157]
	v_div_scale_f64 v[160:161], vcc, v[142:143], v[140:141], v[142:143]
	v_fma_f64 v[162:163], -v[156:157], v[158:159], 1.0
	v_fmac_f64_e32 v[158:159], v[158:159], v[162:163]
	v_fma_f64 v[162:163], -v[156:157], v[158:159], 1.0
	v_fmac_f64_e32 v[158:159], v[158:159], v[162:163]
	v_mul_f64 v[162:163], v[160:161], v[158:159]
	v_fma_f64 v[156:157], -v[156:157], v[162:163], v[160:161]
	v_div_fmas_f64 v[156:157], v[156:157], v[158:159], v[162:163]
	v_div_fixup_f64 v[156:157], v[156:157], v[140:141], v[142:143]
	v_fmac_f64_e32 v[140:141], v[142:143], v[156:157]
	v_div_scale_f64 v[142:143], s[18:19], v[140:141], v[140:141], 1.0
	v_rcp_f64_e32 v[158:159], v[142:143]
	s_nop 0
	v_fma_f64 v[160:161], -v[142:143], v[158:159], 1.0
	v_fmac_f64_e32 v[158:159], v[158:159], v[160:161]
	v_fma_f64 v[160:161], -v[142:143], v[158:159], 1.0
	v_fmac_f64_e32 v[158:159], v[158:159], v[160:161]
	v_div_scale_f64 v[160:161], vcc, 1.0, v[140:141], 1.0
	v_mul_f64 v[162:163], v[160:161], v[158:159]
	v_fma_f64 v[142:143], -v[142:143], v[162:163], v[160:161]
	s_nop 1
	v_div_fmas_f64 v[142:143], v[142:143], v[158:159], v[162:163]
	v_div_fixup_f64 v[140:141], v[142:143], v[140:141], 1.0
	v_mul_f64 v[142:143], v[156:157], -v[140:141]
.LBB68_219:
	s_or_b64 exec, exec, s[16:17]
.LBB68_220:
	s_or_b64 exec, exec, s[0:1]
	v_cmp_ne_u32_e32 vcc, v153, v150
	s_and_saveexec_b64 s[0:1], vcc
	s_xor_b64 s[0:1], exec, s[0:1]
	s_cbranch_execz .LBB68_226
; %bb.221:
	v_cmp_eq_u32_e32 vcc, 10, v153
	s_and_saveexec_b64 s[16:17], vcc
	s_cbranch_execz .LBB68_225
; %bb.222:
	v_cmp_ne_u32_e32 vcc, 10, v150
	s_xor_b64 s[18:19], s[14:15], -1
	s_and_b64 s[22:23], s[18:19], vcc
	s_and_saveexec_b64 s[18:19], s[22:23]
	s_cbranch_execz .LBB68_224
; %bb.223:
	v_ashrrev_i32_e32 v151, 31, v150
	v_lshl_add_u64 v[156:157], v[150:151], 2, v[148:149]
	global_load_dword v151, v[156:157], off
	global_load_dword v153, v[148:149], off offset:40
	s_waitcnt vmcnt(1)
	global_store_dword v[148:149], v151, off offset:40
	s_waitcnt vmcnt(1)
	global_store_dword v[156:157], v153, off
.LBB68_224:
	s_or_b64 exec, exec, s[18:19]
	v_mov_b32_e32 v153, v150
	v_mov_b32_e32 v155, v150
.LBB68_225:
	s_or_b64 exec, exec, s[16:17]
.LBB68_226:
	s_andn2_saveexec_b64 s[0:1], s[0:1]
	s_cbranch_execz .LBB68_228
; %bb.227:
	v_mov_b32_e32 v153, 10
	s_waitcnt vmcnt(23)
	ds_write2_b64 v152, v[88:89], v[90:91] offset0:22 offset1:23
	s_waitcnt vmcnt(22)
	ds_write2_b64 v152, v[80:81], v[82:83] offset0:24 offset1:25
	;; [unrolled: 2-line block ×24, first 2 shown]
.LBB68_228:
	s_or_b64 exec, exec, s[0:1]
	v_cmp_lt_i32_e32 vcc, 10, v153
	s_waitcnt lgkmcnt(0)
	s_barrier
	s_and_saveexec_b64 s[0:1], vcc
	s_cbranch_execz .LBB68_230
; %bb.229:
	ds_read2_b64 v[156:159], v152 offset0:22 offset1:23
	v_mul_f64 v[150:151], v[142:143], v[102:103]
	v_mul_f64 v[102:103], v[140:141], v[102:103]
	v_fma_f64 v[150:151], v[140:141], v[100:101], -v[150:151]
	v_fmac_f64_e32 v[102:103], v[142:143], v[100:101]
	ds_read2_b64 v[140:143], v152 offset0:24 offset1:25
	s_waitcnt lgkmcnt(1)
	v_mul_f64 v[100:101], v[158:159], v[102:103]
	v_fma_f64 v[100:101], v[156:157], v[150:151], -v[100:101]
	v_mul_f64 v[156:157], v[156:157], v[102:103]
	v_fmac_f64_e32 v[156:157], v[158:159], v[150:151]
	s_waitcnt vmcnt(23)
	v_add_f64 v[88:89], v[88:89], -v[100:101]
	s_waitcnt lgkmcnt(0)
	v_mul_f64 v[100:101], v[142:143], v[102:103]
	v_add_f64 v[90:91], v[90:91], -v[156:157]
	v_fma_f64 v[100:101], v[140:141], v[150:151], -v[100:101]
	v_mul_f64 v[140:141], v[140:141], v[102:103]
	ds_read2_b64 v[156:159], v152 offset0:26 offset1:27
	v_fmac_f64_e32 v[140:141], v[142:143], v[150:151]
	s_waitcnt vmcnt(22)
	v_add_f64 v[82:83], v[82:83], -v[140:141]
	ds_read2_b64 v[140:143], v152 offset0:28 offset1:29
	v_add_f64 v[80:81], v[80:81], -v[100:101]
	s_waitcnt lgkmcnt(1)
	v_mul_f64 v[100:101], v[158:159], v[102:103]
	v_fma_f64 v[100:101], v[156:157], v[150:151], -v[100:101]
	v_mul_f64 v[156:157], v[156:157], v[102:103]
	v_fmac_f64_e32 v[156:157], v[158:159], v[150:151]
	s_waitcnt vmcnt(21)
	v_add_f64 v[84:85], v[84:85], -v[100:101]
	s_waitcnt lgkmcnt(0)
	v_mul_f64 v[100:101], v[142:143], v[102:103]
	v_add_f64 v[86:87], v[86:87], -v[156:157]
	v_fma_f64 v[100:101], v[140:141], v[150:151], -v[100:101]
	v_mul_f64 v[140:141], v[140:141], v[102:103]
	ds_read2_b64 v[156:159], v152 offset0:30 offset1:31
	v_fmac_f64_e32 v[140:141], v[142:143], v[150:151]
	s_waitcnt vmcnt(20)
	v_add_f64 v[78:79], v[78:79], -v[140:141]
	ds_read2_b64 v[140:143], v152 offset0:32 offset1:33
	v_add_f64 v[76:77], v[76:77], -v[100:101]
	;; [unrolled: 18-line block ×11, first 2 shown]
	s_waitcnt lgkmcnt(1)
	v_mul_f64 v[100:101], v[158:159], v[102:103]
	v_fma_f64 v[100:101], v[156:157], v[150:151], -v[100:101]
	s_waitcnt vmcnt(1)
	v_add_f64 v[0:1], v[0:1], -v[100:101]
	s_waitcnt lgkmcnt(0)
	v_mul_f64 v[100:101], v[142:143], v[102:103]
	v_mul_f64 v[156:157], v[156:157], v[102:103]
	v_fma_f64 v[100:101], v[140:141], v[150:151], -v[100:101]
	v_mul_f64 v[140:141], v[140:141], v[102:103]
	v_fmac_f64_e32 v[156:157], v[158:159], v[150:151]
	v_fmac_f64_e32 v[140:141], v[142:143], v[150:151]
	v_add_f64 v[2:3], v[2:3], -v[156:157]
	s_waitcnt vmcnt(0)
	v_add_f64 v[136:137], v[136:137], -v[100:101]
	v_add_f64 v[138:139], v[138:139], -v[140:141]
	v_mov_b64_e32 v[100:101], v[150:151]
.LBB68_230:
	s_or_b64 exec, exec, s[0:1]
	v_lshl_add_u32 v140, v153, 4, v152
	s_barrier
	s_waitcnt vmcnt(23)
	ds_write2_b64 v140, v[88:89], v[90:91] offset1:1
	s_waitcnt lgkmcnt(0)
	s_barrier
	ds_read2_b64 v[140:143], v152 offset0:22 offset1:23
	s_cmp_lt_i32 s20, 13
	v_mov_b32_e32 v150, 11
	s_cbranch_scc1 .LBB68_233
; %bb.231:
	v_add_u32_e32 v151, 0xc0, v152
	s_mov_b32 s16, 12
	v_mov_b32_e32 v150, 11
.LBB68_232:                             ; =>This Inner Loop Header: Depth=1
	ds_read2_b64 v[156:159], v151 offset1:1
	s_waitcnt lgkmcnt(1)
	v_xor_b32_e32 v161, 0x80000000, v141
	v_xor_b32_e32 v163, 0x80000000, v143
	v_cmp_gt_f64_e32 vcc, 0, v[142:143]
	v_cmp_gt_f64_e64 s[0:1], 0, v[140:141]
	v_mov_b32_e32 v160, v140
	v_mov_b32_e32 v162, v142
	v_cndmask_b32_e64 v161, v141, v161, s[0:1]
	v_cndmask_b32_e32 v163, v143, v163, vcc
	v_add_f64 v[160:161], v[160:161], v[162:163]
	s_waitcnt lgkmcnt(0)
	v_xor_b32_e32 v163, 0x80000000, v157
	v_xor_b32_e32 v165, 0x80000000, v159
	v_cmp_gt_f64_e32 vcc, 0, v[158:159]
	v_cmp_gt_f64_e64 s[0:1], 0, v[156:157]
	v_mov_b32_e32 v162, v156
	v_mov_b32_e32 v164, v158
	v_cndmask_b32_e64 v163, v157, v163, s[0:1]
	v_cndmask_b32_e32 v165, v159, v165, vcc
	v_add_f64 v[162:163], v[162:163], v[164:165]
	v_mov_b32_e32 v166, s16
	s_add_i32 s16, s16, 1
	v_cmp_lt_f64_e32 vcc, v[160:161], v[162:163]
	v_add_u32_e32 v151, 16, v151
	s_cmp_lg_u32 s20, s16
	v_cndmask_b32_e32 v141, v141, v157, vcc
	v_cndmask_b32_e32 v140, v140, v156, vcc
	;; [unrolled: 1-line block ×5, first 2 shown]
	s_cbranch_scc1 .LBB68_232
.LBB68_233:
	s_waitcnt lgkmcnt(0)
	v_cmp_eq_f64_e32 vcc, 0, v[140:141]
	v_cmp_eq_f64_e64 s[0:1], 0, v[142:143]
	s_and_b64 s[0:1], vcc, s[0:1]
	s_and_saveexec_b64 s[16:17], s[0:1]
	s_xor_b64 s[0:1], exec, s[16:17]
; %bb.234:
	v_cmp_ne_u32_e32 vcc, 0, v154
	s_nop 1
	v_cndmask_b32_e32 v154, 12, v154, vcc
; %bb.235:
	s_andn2_saveexec_b64 s[0:1], s[0:1]
	s_cbranch_execz .LBB68_241
; %bb.236:
	v_cmp_ngt_f64_e64 s[16:17], |v[140:141]|, |v[142:143]|
	s_and_saveexec_b64 s[18:19], s[16:17]
	s_xor_b64 s[16:17], exec, s[18:19]
	s_cbranch_execz .LBB68_238
; %bb.237:
	v_div_scale_f64 v[156:157], s[18:19], v[142:143], v[142:143], v[140:141]
	v_rcp_f64_e32 v[158:159], v[156:157]
	v_div_scale_f64 v[160:161], vcc, v[140:141], v[142:143], v[140:141]
	v_fma_f64 v[162:163], -v[156:157], v[158:159], 1.0
	v_fmac_f64_e32 v[158:159], v[158:159], v[162:163]
	v_fma_f64 v[162:163], -v[156:157], v[158:159], 1.0
	v_fmac_f64_e32 v[158:159], v[158:159], v[162:163]
	v_mul_f64 v[162:163], v[160:161], v[158:159]
	v_fma_f64 v[156:157], -v[156:157], v[162:163], v[160:161]
	v_div_fmas_f64 v[156:157], v[156:157], v[158:159], v[162:163]
	v_div_fixup_f64 v[156:157], v[156:157], v[142:143], v[140:141]
	v_fmac_f64_e32 v[142:143], v[140:141], v[156:157]
	v_div_scale_f64 v[140:141], s[18:19], v[142:143], v[142:143], 1.0
	v_rcp_f64_e32 v[158:159], v[140:141]
	s_nop 0
	v_fma_f64 v[160:161], -v[140:141], v[158:159], 1.0
	v_fmac_f64_e32 v[158:159], v[158:159], v[160:161]
	v_fma_f64 v[160:161], -v[140:141], v[158:159], 1.0
	v_fmac_f64_e32 v[158:159], v[158:159], v[160:161]
	v_div_scale_f64 v[160:161], vcc, 1.0, v[142:143], 1.0
	v_mul_f64 v[162:163], v[160:161], v[158:159]
	v_fma_f64 v[140:141], -v[140:141], v[162:163], v[160:161]
	s_nop 1
	v_div_fmas_f64 v[140:141], v[140:141], v[158:159], v[162:163]
	v_div_fixup_f64 v[142:143], v[140:141], v[142:143], 1.0
	v_mul_f64 v[140:141], v[156:157], v[142:143]
	v_xor_b32_e32 v143, 0x80000000, v143
.LBB68_238:
	s_andn2_saveexec_b64 s[16:17], s[16:17]
	s_cbranch_execz .LBB68_240
; %bb.239:
	v_div_scale_f64 v[156:157], s[18:19], v[140:141], v[140:141], v[142:143]
	v_rcp_f64_e32 v[158:159], v[156:157]
	v_div_scale_f64 v[160:161], vcc, v[142:143], v[140:141], v[142:143]
	v_fma_f64 v[162:163], -v[156:157], v[158:159], 1.0
	v_fmac_f64_e32 v[158:159], v[158:159], v[162:163]
	v_fma_f64 v[162:163], -v[156:157], v[158:159], 1.0
	v_fmac_f64_e32 v[158:159], v[158:159], v[162:163]
	v_mul_f64 v[162:163], v[160:161], v[158:159]
	v_fma_f64 v[156:157], -v[156:157], v[162:163], v[160:161]
	v_div_fmas_f64 v[156:157], v[156:157], v[158:159], v[162:163]
	v_div_fixup_f64 v[156:157], v[156:157], v[140:141], v[142:143]
	v_fmac_f64_e32 v[140:141], v[142:143], v[156:157]
	v_div_scale_f64 v[142:143], s[18:19], v[140:141], v[140:141], 1.0
	v_rcp_f64_e32 v[158:159], v[142:143]
	s_nop 0
	v_fma_f64 v[160:161], -v[142:143], v[158:159], 1.0
	v_fmac_f64_e32 v[158:159], v[158:159], v[160:161]
	v_fma_f64 v[160:161], -v[142:143], v[158:159], 1.0
	v_fmac_f64_e32 v[158:159], v[158:159], v[160:161]
	v_div_scale_f64 v[160:161], vcc, 1.0, v[140:141], 1.0
	v_mul_f64 v[162:163], v[160:161], v[158:159]
	v_fma_f64 v[142:143], -v[142:143], v[162:163], v[160:161]
	s_nop 1
	v_div_fmas_f64 v[142:143], v[142:143], v[158:159], v[162:163]
	v_div_fixup_f64 v[140:141], v[142:143], v[140:141], 1.0
	v_mul_f64 v[142:143], v[156:157], -v[140:141]
.LBB68_240:
	s_or_b64 exec, exec, s[16:17]
.LBB68_241:
	s_or_b64 exec, exec, s[0:1]
	v_cmp_ne_u32_e32 vcc, v153, v150
	s_and_saveexec_b64 s[0:1], vcc
	s_xor_b64 s[0:1], exec, s[0:1]
	s_cbranch_execz .LBB68_247
; %bb.242:
	v_cmp_eq_u32_e32 vcc, 11, v153
	s_and_saveexec_b64 s[16:17], vcc
	s_cbranch_execz .LBB68_246
; %bb.243:
	v_cmp_ne_u32_e32 vcc, 11, v150
	s_xor_b64 s[18:19], s[14:15], -1
	s_and_b64 s[22:23], s[18:19], vcc
	s_and_saveexec_b64 s[18:19], s[22:23]
	s_cbranch_execz .LBB68_245
; %bb.244:
	v_ashrrev_i32_e32 v151, 31, v150
	v_lshl_add_u64 v[156:157], v[150:151], 2, v[148:149]
	global_load_dword v151, v[156:157], off
	global_load_dword v153, v[148:149], off offset:44
	s_waitcnt vmcnt(1)
	global_store_dword v[148:149], v151, off offset:44
	s_waitcnt vmcnt(1)
	global_store_dword v[156:157], v153, off
.LBB68_245:
	s_or_b64 exec, exec, s[18:19]
	v_mov_b32_e32 v153, v150
	v_mov_b32_e32 v155, v150
.LBB68_246:
	s_or_b64 exec, exec, s[16:17]
.LBB68_247:
	s_andn2_saveexec_b64 s[0:1], s[0:1]
	s_cbranch_execz .LBB68_249
; %bb.248:
	v_mov_b32_e32 v153, 11
	s_waitcnt vmcnt(22)
	ds_write2_b64 v152, v[80:81], v[82:83] offset0:24 offset1:25
	s_waitcnt vmcnt(21)
	ds_write2_b64 v152, v[84:85], v[86:87] offset0:26 offset1:27
	;; [unrolled: 2-line block ×23, first 2 shown]
.LBB68_249:
	s_or_b64 exec, exec, s[0:1]
	v_cmp_lt_i32_e32 vcc, 11, v153
	s_waitcnt lgkmcnt(0)
	s_barrier
	s_and_saveexec_b64 s[0:1], vcc
	s_cbranch_execz .LBB68_251
; %bb.250:
	ds_read2_b64 v[156:159], v152 offset0:24 offset1:25
	v_mul_f64 v[150:151], v[142:143], v[90:91]
	v_mul_f64 v[90:91], v[140:141], v[90:91]
	v_fmac_f64_e32 v[90:91], v[142:143], v[88:89]
	v_fma_f64 v[150:151], v[140:141], v[88:89], -v[150:151]
	ds_read2_b64 v[140:143], v152 offset0:26 offset1:27
	s_waitcnt lgkmcnt(1)
	v_mul_f64 v[88:89], v[158:159], v[90:91]
	v_fma_f64 v[88:89], v[156:157], v[150:151], -v[88:89]
	v_mul_f64 v[156:157], v[156:157], v[90:91]
	v_fmac_f64_e32 v[156:157], v[158:159], v[150:151]
	s_waitcnt vmcnt(22)
	v_add_f64 v[82:83], v[82:83], -v[156:157]
	ds_read2_b64 v[156:159], v152 offset0:28 offset1:29
	v_add_f64 v[80:81], v[80:81], -v[88:89]
	s_waitcnt lgkmcnt(1)
	v_mul_f64 v[88:89], v[142:143], v[90:91]
	v_fma_f64 v[88:89], v[140:141], v[150:151], -v[88:89]
	v_mul_f64 v[140:141], v[140:141], v[90:91]
	v_fmac_f64_e32 v[140:141], v[142:143], v[150:151]
	s_waitcnt vmcnt(21)
	v_add_f64 v[84:85], v[84:85], -v[88:89]
	v_add_f64 v[86:87], v[86:87], -v[140:141]
	ds_read2_b64 v[140:143], v152 offset0:30 offset1:31
	s_waitcnt lgkmcnt(1)
	v_mul_f64 v[88:89], v[158:159], v[90:91]
	v_fma_f64 v[88:89], v[156:157], v[150:151], -v[88:89]
	v_mul_f64 v[156:157], v[156:157], v[90:91]
	v_fmac_f64_e32 v[156:157], v[158:159], v[150:151]
	s_waitcnt vmcnt(20)
	v_add_f64 v[78:79], v[78:79], -v[156:157]
	ds_read2_b64 v[156:159], v152 offset0:32 offset1:33
	v_add_f64 v[76:77], v[76:77], -v[88:89]
	s_waitcnt lgkmcnt(1)
	v_mul_f64 v[88:89], v[142:143], v[90:91]
	v_fma_f64 v[88:89], v[140:141], v[150:151], -v[88:89]
	v_mul_f64 v[140:141], v[140:141], v[90:91]
	v_fmac_f64_e32 v[140:141], v[142:143], v[150:151]
	s_waitcnt vmcnt(19)
	v_add_f64 v[72:73], v[72:73], -v[88:89]
	v_add_f64 v[74:75], v[74:75], -v[140:141]
	;; [unrolled: 18-line block ×11, first 2 shown]
	s_waitcnt lgkmcnt(0)
	v_mul_f64 v[88:89], v[158:159], v[90:91]
	v_mul_f64 v[140:141], v[156:157], v[90:91]
	v_fma_f64 v[88:89], v[156:157], v[150:151], -v[88:89]
	v_fmac_f64_e32 v[140:141], v[158:159], v[150:151]
	s_waitcnt vmcnt(0)
	v_add_f64 v[136:137], v[136:137], -v[88:89]
	v_add_f64 v[138:139], v[138:139], -v[140:141]
	v_mov_b64_e32 v[88:89], v[150:151]
.LBB68_251:
	s_or_b64 exec, exec, s[0:1]
	v_lshl_add_u32 v140, v153, 4, v152
	s_barrier
	s_waitcnt vmcnt(22)
	ds_write2_b64 v140, v[80:81], v[82:83] offset1:1
	s_waitcnt lgkmcnt(0)
	s_barrier
	ds_read2_b64 v[140:143], v152 offset0:24 offset1:25
	s_cmp_lt_i32 s20, 14
	v_mov_b32_e32 v150, 12
	s_cbranch_scc1 .LBB68_254
; %bb.252:
	v_add_u32_e32 v151, 0xd0, v152
	s_mov_b32 s16, 13
	v_mov_b32_e32 v150, 12
.LBB68_253:                             ; =>This Inner Loop Header: Depth=1
	ds_read2_b64 v[156:159], v151 offset1:1
	s_waitcnt lgkmcnt(1)
	v_xor_b32_e32 v161, 0x80000000, v141
	v_xor_b32_e32 v163, 0x80000000, v143
	v_cmp_gt_f64_e32 vcc, 0, v[142:143]
	v_cmp_gt_f64_e64 s[0:1], 0, v[140:141]
	v_mov_b32_e32 v160, v140
	v_mov_b32_e32 v162, v142
	v_cndmask_b32_e64 v161, v141, v161, s[0:1]
	v_cndmask_b32_e32 v163, v143, v163, vcc
	v_add_f64 v[160:161], v[160:161], v[162:163]
	s_waitcnt lgkmcnt(0)
	v_xor_b32_e32 v163, 0x80000000, v157
	v_xor_b32_e32 v165, 0x80000000, v159
	v_cmp_gt_f64_e32 vcc, 0, v[158:159]
	v_cmp_gt_f64_e64 s[0:1], 0, v[156:157]
	v_mov_b32_e32 v162, v156
	v_mov_b32_e32 v164, v158
	v_cndmask_b32_e64 v163, v157, v163, s[0:1]
	v_cndmask_b32_e32 v165, v159, v165, vcc
	v_add_f64 v[162:163], v[162:163], v[164:165]
	v_mov_b32_e32 v166, s16
	s_add_i32 s16, s16, 1
	v_cmp_lt_f64_e32 vcc, v[160:161], v[162:163]
	v_add_u32_e32 v151, 16, v151
	s_cmp_lg_u32 s20, s16
	v_cndmask_b32_e32 v141, v141, v157, vcc
	v_cndmask_b32_e32 v140, v140, v156, vcc
	v_cndmask_b32_e32 v143, v143, v159, vcc
	v_cndmask_b32_e32 v142, v142, v158, vcc
	v_cndmask_b32_e32 v150, v150, v166, vcc
	s_cbranch_scc1 .LBB68_253
.LBB68_254:
	s_waitcnt lgkmcnt(0)
	v_cmp_eq_f64_e32 vcc, 0, v[140:141]
	v_cmp_eq_f64_e64 s[0:1], 0, v[142:143]
	s_and_b64 s[0:1], vcc, s[0:1]
	s_and_saveexec_b64 s[16:17], s[0:1]
	s_xor_b64 s[0:1], exec, s[16:17]
; %bb.255:
	v_cmp_ne_u32_e32 vcc, 0, v154
	s_nop 1
	v_cndmask_b32_e32 v154, 13, v154, vcc
; %bb.256:
	s_andn2_saveexec_b64 s[0:1], s[0:1]
	s_cbranch_execz .LBB68_262
; %bb.257:
	v_cmp_ngt_f64_e64 s[16:17], |v[140:141]|, |v[142:143]|
	s_and_saveexec_b64 s[18:19], s[16:17]
	s_xor_b64 s[16:17], exec, s[18:19]
	s_cbranch_execz .LBB68_259
; %bb.258:
	v_div_scale_f64 v[156:157], s[18:19], v[142:143], v[142:143], v[140:141]
	v_rcp_f64_e32 v[158:159], v[156:157]
	v_div_scale_f64 v[160:161], vcc, v[140:141], v[142:143], v[140:141]
	v_fma_f64 v[162:163], -v[156:157], v[158:159], 1.0
	v_fmac_f64_e32 v[158:159], v[158:159], v[162:163]
	v_fma_f64 v[162:163], -v[156:157], v[158:159], 1.0
	v_fmac_f64_e32 v[158:159], v[158:159], v[162:163]
	v_mul_f64 v[162:163], v[160:161], v[158:159]
	v_fma_f64 v[156:157], -v[156:157], v[162:163], v[160:161]
	v_div_fmas_f64 v[156:157], v[156:157], v[158:159], v[162:163]
	v_div_fixup_f64 v[156:157], v[156:157], v[142:143], v[140:141]
	v_fmac_f64_e32 v[142:143], v[140:141], v[156:157]
	v_div_scale_f64 v[140:141], s[18:19], v[142:143], v[142:143], 1.0
	v_rcp_f64_e32 v[158:159], v[140:141]
	s_nop 0
	v_fma_f64 v[160:161], -v[140:141], v[158:159], 1.0
	v_fmac_f64_e32 v[158:159], v[158:159], v[160:161]
	v_fma_f64 v[160:161], -v[140:141], v[158:159], 1.0
	v_fmac_f64_e32 v[158:159], v[158:159], v[160:161]
	v_div_scale_f64 v[160:161], vcc, 1.0, v[142:143], 1.0
	v_mul_f64 v[162:163], v[160:161], v[158:159]
	v_fma_f64 v[140:141], -v[140:141], v[162:163], v[160:161]
	s_nop 1
	v_div_fmas_f64 v[140:141], v[140:141], v[158:159], v[162:163]
	v_div_fixup_f64 v[142:143], v[140:141], v[142:143], 1.0
	v_mul_f64 v[140:141], v[156:157], v[142:143]
	v_xor_b32_e32 v143, 0x80000000, v143
.LBB68_259:
	s_andn2_saveexec_b64 s[16:17], s[16:17]
	s_cbranch_execz .LBB68_261
; %bb.260:
	v_div_scale_f64 v[156:157], s[18:19], v[140:141], v[140:141], v[142:143]
	v_rcp_f64_e32 v[158:159], v[156:157]
	v_div_scale_f64 v[160:161], vcc, v[142:143], v[140:141], v[142:143]
	v_fma_f64 v[162:163], -v[156:157], v[158:159], 1.0
	v_fmac_f64_e32 v[158:159], v[158:159], v[162:163]
	v_fma_f64 v[162:163], -v[156:157], v[158:159], 1.0
	v_fmac_f64_e32 v[158:159], v[158:159], v[162:163]
	v_mul_f64 v[162:163], v[160:161], v[158:159]
	v_fma_f64 v[156:157], -v[156:157], v[162:163], v[160:161]
	v_div_fmas_f64 v[156:157], v[156:157], v[158:159], v[162:163]
	v_div_fixup_f64 v[156:157], v[156:157], v[140:141], v[142:143]
	v_fmac_f64_e32 v[140:141], v[142:143], v[156:157]
	v_div_scale_f64 v[142:143], s[18:19], v[140:141], v[140:141], 1.0
	v_rcp_f64_e32 v[158:159], v[142:143]
	s_nop 0
	v_fma_f64 v[160:161], -v[142:143], v[158:159], 1.0
	v_fmac_f64_e32 v[158:159], v[158:159], v[160:161]
	v_fma_f64 v[160:161], -v[142:143], v[158:159], 1.0
	v_fmac_f64_e32 v[158:159], v[158:159], v[160:161]
	v_div_scale_f64 v[160:161], vcc, 1.0, v[140:141], 1.0
	v_mul_f64 v[162:163], v[160:161], v[158:159]
	v_fma_f64 v[142:143], -v[142:143], v[162:163], v[160:161]
	s_nop 1
	v_div_fmas_f64 v[142:143], v[142:143], v[158:159], v[162:163]
	v_div_fixup_f64 v[140:141], v[142:143], v[140:141], 1.0
	v_mul_f64 v[142:143], v[156:157], -v[140:141]
.LBB68_261:
	s_or_b64 exec, exec, s[16:17]
.LBB68_262:
	s_or_b64 exec, exec, s[0:1]
	v_cmp_ne_u32_e32 vcc, v153, v150
	s_and_saveexec_b64 s[0:1], vcc
	s_xor_b64 s[0:1], exec, s[0:1]
	s_cbranch_execz .LBB68_268
; %bb.263:
	v_cmp_eq_u32_e32 vcc, 12, v153
	s_and_saveexec_b64 s[16:17], vcc
	s_cbranch_execz .LBB68_267
; %bb.264:
	v_cmp_ne_u32_e32 vcc, 12, v150
	s_xor_b64 s[18:19], s[14:15], -1
	s_and_b64 s[22:23], s[18:19], vcc
	s_and_saveexec_b64 s[18:19], s[22:23]
	s_cbranch_execz .LBB68_266
; %bb.265:
	v_ashrrev_i32_e32 v151, 31, v150
	v_lshl_add_u64 v[156:157], v[150:151], 2, v[148:149]
	global_load_dword v151, v[156:157], off
	global_load_dword v153, v[148:149], off offset:48
	s_waitcnt vmcnt(1)
	global_store_dword v[148:149], v151, off offset:48
	s_waitcnt vmcnt(1)
	global_store_dword v[156:157], v153, off
.LBB68_266:
	s_or_b64 exec, exec, s[18:19]
	v_mov_b32_e32 v153, v150
	v_mov_b32_e32 v155, v150
.LBB68_267:
	s_or_b64 exec, exec, s[16:17]
.LBB68_268:
	s_andn2_saveexec_b64 s[0:1], s[0:1]
	s_cbranch_execz .LBB68_270
; %bb.269:
	v_mov_b32_e32 v153, 12
	s_waitcnt vmcnt(21)
	ds_write2_b64 v152, v[84:85], v[86:87] offset0:26 offset1:27
	s_waitcnt vmcnt(20)
	ds_write2_b64 v152, v[76:77], v[78:79] offset0:28 offset1:29
	;; [unrolled: 2-line block ×22, first 2 shown]
.LBB68_270:
	s_or_b64 exec, exec, s[0:1]
	v_cmp_lt_i32_e32 vcc, 12, v153
	s_waitcnt lgkmcnt(0)
	s_barrier
	s_and_saveexec_b64 s[0:1], vcc
	s_cbranch_execz .LBB68_272
; %bb.271:
	ds_read2_b64 v[156:159], v152 offset0:26 offset1:27
	v_mul_f64 v[150:151], v[142:143], v[82:83]
	v_mul_f64 v[82:83], v[140:141], v[82:83]
	v_fma_f64 v[150:151], v[140:141], v[80:81], -v[150:151]
	v_fmac_f64_e32 v[82:83], v[142:143], v[80:81]
	ds_read2_b64 v[140:143], v152 offset0:28 offset1:29
	s_waitcnt lgkmcnt(1)
	v_mul_f64 v[80:81], v[158:159], v[82:83]
	v_fma_f64 v[80:81], v[156:157], v[150:151], -v[80:81]
	v_mul_f64 v[156:157], v[156:157], v[82:83]
	v_fmac_f64_e32 v[156:157], v[158:159], v[150:151]
	s_waitcnt vmcnt(21)
	v_add_f64 v[84:85], v[84:85], -v[80:81]
	s_waitcnt lgkmcnt(0)
	v_mul_f64 v[80:81], v[142:143], v[82:83]
	v_add_f64 v[86:87], v[86:87], -v[156:157]
	v_fma_f64 v[80:81], v[140:141], v[150:151], -v[80:81]
	v_mul_f64 v[140:141], v[140:141], v[82:83]
	ds_read2_b64 v[156:159], v152 offset0:30 offset1:31
	v_fmac_f64_e32 v[140:141], v[142:143], v[150:151]
	s_waitcnt vmcnt(20)
	v_add_f64 v[78:79], v[78:79], -v[140:141]
	ds_read2_b64 v[140:143], v152 offset0:32 offset1:33
	v_add_f64 v[76:77], v[76:77], -v[80:81]
	s_waitcnt lgkmcnt(1)
	v_mul_f64 v[80:81], v[158:159], v[82:83]
	v_fma_f64 v[80:81], v[156:157], v[150:151], -v[80:81]
	v_mul_f64 v[156:157], v[156:157], v[82:83]
	v_fmac_f64_e32 v[156:157], v[158:159], v[150:151]
	s_waitcnt vmcnt(19)
	v_add_f64 v[72:73], v[72:73], -v[80:81]
	s_waitcnt lgkmcnt(0)
	v_mul_f64 v[80:81], v[142:143], v[82:83]
	v_add_f64 v[74:75], v[74:75], -v[156:157]
	v_fma_f64 v[80:81], v[140:141], v[150:151], -v[80:81]
	v_mul_f64 v[140:141], v[140:141], v[82:83]
	ds_read2_b64 v[156:159], v152 offset0:34 offset1:35
	v_fmac_f64_e32 v[140:141], v[142:143], v[150:151]
	s_waitcnt vmcnt(18)
	v_add_f64 v[70:71], v[70:71], -v[140:141]
	ds_read2_b64 v[140:143], v152 offset0:36 offset1:37
	v_add_f64 v[68:69], v[68:69], -v[80:81]
	;; [unrolled: 18-line block ×10, first 2 shown]
	s_waitcnt lgkmcnt(1)
	v_mul_f64 v[80:81], v[158:159], v[82:83]
	v_fma_f64 v[80:81], v[156:157], v[150:151], -v[80:81]
	s_waitcnt vmcnt(1)
	v_add_f64 v[0:1], v[0:1], -v[80:81]
	s_waitcnt lgkmcnt(0)
	v_mul_f64 v[80:81], v[142:143], v[82:83]
	v_mul_f64 v[156:157], v[156:157], v[82:83]
	v_fma_f64 v[80:81], v[140:141], v[150:151], -v[80:81]
	v_mul_f64 v[140:141], v[140:141], v[82:83]
	v_fmac_f64_e32 v[156:157], v[158:159], v[150:151]
	v_fmac_f64_e32 v[140:141], v[142:143], v[150:151]
	v_add_f64 v[2:3], v[2:3], -v[156:157]
	s_waitcnt vmcnt(0)
	v_add_f64 v[136:137], v[136:137], -v[80:81]
	v_add_f64 v[138:139], v[138:139], -v[140:141]
	v_mov_b64_e32 v[80:81], v[150:151]
.LBB68_272:
	s_or_b64 exec, exec, s[0:1]
	v_lshl_add_u32 v140, v153, 4, v152
	s_barrier
	s_waitcnt vmcnt(21)
	ds_write2_b64 v140, v[84:85], v[86:87] offset1:1
	s_waitcnt lgkmcnt(0)
	s_barrier
	ds_read2_b64 v[140:143], v152 offset0:26 offset1:27
	s_cmp_lt_i32 s20, 15
	v_mov_b32_e32 v150, 13
	s_cbranch_scc1 .LBB68_275
; %bb.273:
	v_add_u32_e32 v151, 0xe0, v152
	s_mov_b32 s16, 14
	v_mov_b32_e32 v150, 13
.LBB68_274:                             ; =>This Inner Loop Header: Depth=1
	ds_read2_b64 v[156:159], v151 offset1:1
	s_waitcnt lgkmcnt(1)
	v_xor_b32_e32 v161, 0x80000000, v141
	v_xor_b32_e32 v163, 0x80000000, v143
	v_cmp_gt_f64_e32 vcc, 0, v[142:143]
	v_cmp_gt_f64_e64 s[0:1], 0, v[140:141]
	v_mov_b32_e32 v160, v140
	v_mov_b32_e32 v162, v142
	v_cndmask_b32_e64 v161, v141, v161, s[0:1]
	v_cndmask_b32_e32 v163, v143, v163, vcc
	v_add_f64 v[160:161], v[160:161], v[162:163]
	s_waitcnt lgkmcnt(0)
	v_xor_b32_e32 v163, 0x80000000, v157
	v_xor_b32_e32 v165, 0x80000000, v159
	v_cmp_gt_f64_e32 vcc, 0, v[158:159]
	v_cmp_gt_f64_e64 s[0:1], 0, v[156:157]
	v_mov_b32_e32 v162, v156
	v_mov_b32_e32 v164, v158
	v_cndmask_b32_e64 v163, v157, v163, s[0:1]
	v_cndmask_b32_e32 v165, v159, v165, vcc
	v_add_f64 v[162:163], v[162:163], v[164:165]
	v_mov_b32_e32 v166, s16
	s_add_i32 s16, s16, 1
	v_cmp_lt_f64_e32 vcc, v[160:161], v[162:163]
	v_add_u32_e32 v151, 16, v151
	s_cmp_lg_u32 s20, s16
	v_cndmask_b32_e32 v141, v141, v157, vcc
	v_cndmask_b32_e32 v140, v140, v156, vcc
	;; [unrolled: 1-line block ×5, first 2 shown]
	s_cbranch_scc1 .LBB68_274
.LBB68_275:
	s_waitcnt lgkmcnt(0)
	v_cmp_eq_f64_e32 vcc, 0, v[140:141]
	v_cmp_eq_f64_e64 s[0:1], 0, v[142:143]
	s_and_b64 s[0:1], vcc, s[0:1]
	s_and_saveexec_b64 s[16:17], s[0:1]
	s_xor_b64 s[0:1], exec, s[16:17]
; %bb.276:
	v_cmp_ne_u32_e32 vcc, 0, v154
	s_nop 1
	v_cndmask_b32_e32 v154, 14, v154, vcc
; %bb.277:
	s_andn2_saveexec_b64 s[0:1], s[0:1]
	s_cbranch_execz .LBB68_283
; %bb.278:
	v_cmp_ngt_f64_e64 s[16:17], |v[140:141]|, |v[142:143]|
	s_and_saveexec_b64 s[18:19], s[16:17]
	s_xor_b64 s[16:17], exec, s[18:19]
	s_cbranch_execz .LBB68_280
; %bb.279:
	v_div_scale_f64 v[156:157], s[18:19], v[142:143], v[142:143], v[140:141]
	v_rcp_f64_e32 v[158:159], v[156:157]
	v_div_scale_f64 v[160:161], vcc, v[140:141], v[142:143], v[140:141]
	v_fma_f64 v[162:163], -v[156:157], v[158:159], 1.0
	v_fmac_f64_e32 v[158:159], v[158:159], v[162:163]
	v_fma_f64 v[162:163], -v[156:157], v[158:159], 1.0
	v_fmac_f64_e32 v[158:159], v[158:159], v[162:163]
	v_mul_f64 v[162:163], v[160:161], v[158:159]
	v_fma_f64 v[156:157], -v[156:157], v[162:163], v[160:161]
	v_div_fmas_f64 v[156:157], v[156:157], v[158:159], v[162:163]
	v_div_fixup_f64 v[156:157], v[156:157], v[142:143], v[140:141]
	v_fmac_f64_e32 v[142:143], v[140:141], v[156:157]
	v_div_scale_f64 v[140:141], s[18:19], v[142:143], v[142:143], 1.0
	v_rcp_f64_e32 v[158:159], v[140:141]
	s_nop 0
	v_fma_f64 v[160:161], -v[140:141], v[158:159], 1.0
	v_fmac_f64_e32 v[158:159], v[158:159], v[160:161]
	v_fma_f64 v[160:161], -v[140:141], v[158:159], 1.0
	v_fmac_f64_e32 v[158:159], v[158:159], v[160:161]
	v_div_scale_f64 v[160:161], vcc, 1.0, v[142:143], 1.0
	v_mul_f64 v[162:163], v[160:161], v[158:159]
	v_fma_f64 v[140:141], -v[140:141], v[162:163], v[160:161]
	s_nop 1
	v_div_fmas_f64 v[140:141], v[140:141], v[158:159], v[162:163]
	v_div_fixup_f64 v[142:143], v[140:141], v[142:143], 1.0
	v_mul_f64 v[140:141], v[156:157], v[142:143]
	v_xor_b32_e32 v143, 0x80000000, v143
.LBB68_280:
	s_andn2_saveexec_b64 s[16:17], s[16:17]
	s_cbranch_execz .LBB68_282
; %bb.281:
	v_div_scale_f64 v[156:157], s[18:19], v[140:141], v[140:141], v[142:143]
	v_rcp_f64_e32 v[158:159], v[156:157]
	v_div_scale_f64 v[160:161], vcc, v[142:143], v[140:141], v[142:143]
	v_fma_f64 v[162:163], -v[156:157], v[158:159], 1.0
	v_fmac_f64_e32 v[158:159], v[158:159], v[162:163]
	v_fma_f64 v[162:163], -v[156:157], v[158:159], 1.0
	v_fmac_f64_e32 v[158:159], v[158:159], v[162:163]
	v_mul_f64 v[162:163], v[160:161], v[158:159]
	v_fma_f64 v[156:157], -v[156:157], v[162:163], v[160:161]
	v_div_fmas_f64 v[156:157], v[156:157], v[158:159], v[162:163]
	v_div_fixup_f64 v[156:157], v[156:157], v[140:141], v[142:143]
	v_fmac_f64_e32 v[140:141], v[142:143], v[156:157]
	v_div_scale_f64 v[142:143], s[18:19], v[140:141], v[140:141], 1.0
	v_rcp_f64_e32 v[158:159], v[142:143]
	s_nop 0
	v_fma_f64 v[160:161], -v[142:143], v[158:159], 1.0
	v_fmac_f64_e32 v[158:159], v[158:159], v[160:161]
	v_fma_f64 v[160:161], -v[142:143], v[158:159], 1.0
	v_fmac_f64_e32 v[158:159], v[158:159], v[160:161]
	v_div_scale_f64 v[160:161], vcc, 1.0, v[140:141], 1.0
	v_mul_f64 v[162:163], v[160:161], v[158:159]
	v_fma_f64 v[142:143], -v[142:143], v[162:163], v[160:161]
	s_nop 1
	v_div_fmas_f64 v[142:143], v[142:143], v[158:159], v[162:163]
	v_div_fixup_f64 v[140:141], v[142:143], v[140:141], 1.0
	v_mul_f64 v[142:143], v[156:157], -v[140:141]
.LBB68_282:
	s_or_b64 exec, exec, s[16:17]
.LBB68_283:
	s_or_b64 exec, exec, s[0:1]
	v_cmp_ne_u32_e32 vcc, v153, v150
	s_and_saveexec_b64 s[0:1], vcc
	s_xor_b64 s[0:1], exec, s[0:1]
	s_cbranch_execz .LBB68_289
; %bb.284:
	v_cmp_eq_u32_e32 vcc, 13, v153
	s_and_saveexec_b64 s[16:17], vcc
	s_cbranch_execz .LBB68_288
; %bb.285:
	v_cmp_ne_u32_e32 vcc, 13, v150
	s_xor_b64 s[18:19], s[14:15], -1
	s_and_b64 s[22:23], s[18:19], vcc
	s_and_saveexec_b64 s[18:19], s[22:23]
	s_cbranch_execz .LBB68_287
; %bb.286:
	v_ashrrev_i32_e32 v151, 31, v150
	v_lshl_add_u64 v[156:157], v[150:151], 2, v[148:149]
	global_load_dword v151, v[156:157], off
	global_load_dword v153, v[148:149], off offset:52
	s_waitcnt vmcnt(1)
	global_store_dword v[148:149], v151, off offset:52
	s_waitcnt vmcnt(1)
	global_store_dword v[156:157], v153, off
.LBB68_287:
	s_or_b64 exec, exec, s[18:19]
	v_mov_b32_e32 v153, v150
	v_mov_b32_e32 v155, v150
.LBB68_288:
	s_or_b64 exec, exec, s[16:17]
.LBB68_289:
	s_andn2_saveexec_b64 s[0:1], s[0:1]
	s_cbranch_execz .LBB68_291
; %bb.290:
	v_mov_b32_e32 v153, 13
	s_waitcnt vmcnt(20)
	ds_write2_b64 v152, v[76:77], v[78:79] offset0:28 offset1:29
	s_waitcnt vmcnt(19)
	ds_write2_b64 v152, v[72:73], v[74:75] offset0:30 offset1:31
	;; [unrolled: 2-line block ×21, first 2 shown]
.LBB68_291:
	s_or_b64 exec, exec, s[0:1]
	v_cmp_lt_i32_e32 vcc, 13, v153
	s_waitcnt lgkmcnt(0)
	s_barrier
	s_and_saveexec_b64 s[0:1], vcc
	s_cbranch_execz .LBB68_293
; %bb.292:
	ds_read2_b64 v[156:159], v152 offset0:28 offset1:29
	v_mul_f64 v[150:151], v[142:143], v[86:87]
	v_mul_f64 v[86:87], v[140:141], v[86:87]
	v_fmac_f64_e32 v[86:87], v[142:143], v[84:85]
	v_fma_f64 v[150:151], v[140:141], v[84:85], -v[150:151]
	ds_read2_b64 v[140:143], v152 offset0:30 offset1:31
	s_waitcnt lgkmcnt(1)
	v_mul_f64 v[84:85], v[158:159], v[86:87]
	v_fma_f64 v[84:85], v[156:157], v[150:151], -v[84:85]
	v_mul_f64 v[156:157], v[156:157], v[86:87]
	v_fmac_f64_e32 v[156:157], v[158:159], v[150:151]
	s_waitcnt vmcnt(20)
	v_add_f64 v[78:79], v[78:79], -v[156:157]
	ds_read2_b64 v[156:159], v152 offset0:32 offset1:33
	v_add_f64 v[76:77], v[76:77], -v[84:85]
	s_waitcnt lgkmcnt(1)
	v_mul_f64 v[84:85], v[142:143], v[86:87]
	v_fma_f64 v[84:85], v[140:141], v[150:151], -v[84:85]
	v_mul_f64 v[140:141], v[140:141], v[86:87]
	v_fmac_f64_e32 v[140:141], v[142:143], v[150:151]
	s_waitcnt vmcnt(19)
	v_add_f64 v[72:73], v[72:73], -v[84:85]
	v_add_f64 v[74:75], v[74:75], -v[140:141]
	ds_read2_b64 v[140:143], v152 offset0:34 offset1:35
	s_waitcnt lgkmcnt(1)
	v_mul_f64 v[84:85], v[158:159], v[86:87]
	v_fma_f64 v[84:85], v[156:157], v[150:151], -v[84:85]
	v_mul_f64 v[156:157], v[156:157], v[86:87]
	v_fmac_f64_e32 v[156:157], v[158:159], v[150:151]
	s_waitcnt vmcnt(18)
	v_add_f64 v[70:71], v[70:71], -v[156:157]
	ds_read2_b64 v[156:159], v152 offset0:36 offset1:37
	v_add_f64 v[68:69], v[68:69], -v[84:85]
	s_waitcnt lgkmcnt(1)
	v_mul_f64 v[84:85], v[142:143], v[86:87]
	v_fma_f64 v[84:85], v[140:141], v[150:151], -v[84:85]
	v_mul_f64 v[140:141], v[140:141], v[86:87]
	v_fmac_f64_e32 v[140:141], v[142:143], v[150:151]
	s_waitcnt vmcnt(17)
	v_add_f64 v[64:65], v[64:65], -v[84:85]
	v_add_f64 v[66:67], v[66:67], -v[140:141]
	;; [unrolled: 18-line block ×10, first 2 shown]
	s_waitcnt lgkmcnt(0)
	v_mul_f64 v[84:85], v[158:159], v[86:87]
	v_mul_f64 v[140:141], v[156:157], v[86:87]
	v_fma_f64 v[84:85], v[156:157], v[150:151], -v[84:85]
	v_fmac_f64_e32 v[140:141], v[158:159], v[150:151]
	s_waitcnt vmcnt(0)
	v_add_f64 v[136:137], v[136:137], -v[84:85]
	v_add_f64 v[138:139], v[138:139], -v[140:141]
	v_mov_b64_e32 v[84:85], v[150:151]
.LBB68_293:
	s_or_b64 exec, exec, s[0:1]
	v_lshl_add_u32 v140, v153, 4, v152
	s_barrier
	s_waitcnt vmcnt(20)
	ds_write2_b64 v140, v[76:77], v[78:79] offset1:1
	s_waitcnt lgkmcnt(0)
	s_barrier
	ds_read2_b64 v[140:143], v152 offset0:28 offset1:29
	s_cmp_lt_i32 s20, 16
	v_mov_b32_e32 v150, 14
	s_cbranch_scc1 .LBB68_296
; %bb.294:
	v_add_u32_e32 v151, 0xf0, v152
	s_mov_b32 s16, 15
	v_mov_b32_e32 v150, 14
.LBB68_295:                             ; =>This Inner Loop Header: Depth=1
	ds_read2_b64 v[156:159], v151 offset1:1
	s_waitcnt lgkmcnt(1)
	v_xor_b32_e32 v161, 0x80000000, v141
	v_xor_b32_e32 v163, 0x80000000, v143
	v_cmp_gt_f64_e32 vcc, 0, v[142:143]
	v_cmp_gt_f64_e64 s[0:1], 0, v[140:141]
	v_mov_b32_e32 v160, v140
	v_mov_b32_e32 v162, v142
	v_cndmask_b32_e64 v161, v141, v161, s[0:1]
	v_cndmask_b32_e32 v163, v143, v163, vcc
	v_add_f64 v[160:161], v[160:161], v[162:163]
	s_waitcnt lgkmcnt(0)
	v_xor_b32_e32 v163, 0x80000000, v157
	v_xor_b32_e32 v165, 0x80000000, v159
	v_cmp_gt_f64_e32 vcc, 0, v[158:159]
	v_cmp_gt_f64_e64 s[0:1], 0, v[156:157]
	v_mov_b32_e32 v162, v156
	v_mov_b32_e32 v164, v158
	v_cndmask_b32_e64 v163, v157, v163, s[0:1]
	v_cndmask_b32_e32 v165, v159, v165, vcc
	v_add_f64 v[162:163], v[162:163], v[164:165]
	v_mov_b32_e32 v166, s16
	s_add_i32 s16, s16, 1
	v_cmp_lt_f64_e32 vcc, v[160:161], v[162:163]
	v_add_u32_e32 v151, 16, v151
	s_cmp_lg_u32 s20, s16
	v_cndmask_b32_e32 v141, v141, v157, vcc
	v_cndmask_b32_e32 v140, v140, v156, vcc
	;; [unrolled: 1-line block ×5, first 2 shown]
	s_cbranch_scc1 .LBB68_295
.LBB68_296:
	s_waitcnt lgkmcnt(0)
	v_cmp_eq_f64_e32 vcc, 0, v[140:141]
	v_cmp_eq_f64_e64 s[0:1], 0, v[142:143]
	s_and_b64 s[0:1], vcc, s[0:1]
	s_and_saveexec_b64 s[16:17], s[0:1]
	s_xor_b64 s[0:1], exec, s[16:17]
; %bb.297:
	v_cmp_ne_u32_e32 vcc, 0, v154
	s_nop 1
	v_cndmask_b32_e32 v154, 15, v154, vcc
; %bb.298:
	s_andn2_saveexec_b64 s[0:1], s[0:1]
	s_cbranch_execz .LBB68_304
; %bb.299:
	v_cmp_ngt_f64_e64 s[16:17], |v[140:141]|, |v[142:143]|
	s_and_saveexec_b64 s[18:19], s[16:17]
	s_xor_b64 s[16:17], exec, s[18:19]
	s_cbranch_execz .LBB68_301
; %bb.300:
	v_div_scale_f64 v[156:157], s[18:19], v[142:143], v[142:143], v[140:141]
	v_rcp_f64_e32 v[158:159], v[156:157]
	v_div_scale_f64 v[160:161], vcc, v[140:141], v[142:143], v[140:141]
	v_fma_f64 v[162:163], -v[156:157], v[158:159], 1.0
	v_fmac_f64_e32 v[158:159], v[158:159], v[162:163]
	v_fma_f64 v[162:163], -v[156:157], v[158:159], 1.0
	v_fmac_f64_e32 v[158:159], v[158:159], v[162:163]
	v_mul_f64 v[162:163], v[160:161], v[158:159]
	v_fma_f64 v[156:157], -v[156:157], v[162:163], v[160:161]
	v_div_fmas_f64 v[156:157], v[156:157], v[158:159], v[162:163]
	v_div_fixup_f64 v[156:157], v[156:157], v[142:143], v[140:141]
	v_fmac_f64_e32 v[142:143], v[140:141], v[156:157]
	v_div_scale_f64 v[140:141], s[18:19], v[142:143], v[142:143], 1.0
	v_rcp_f64_e32 v[158:159], v[140:141]
	s_nop 0
	v_fma_f64 v[160:161], -v[140:141], v[158:159], 1.0
	v_fmac_f64_e32 v[158:159], v[158:159], v[160:161]
	v_fma_f64 v[160:161], -v[140:141], v[158:159], 1.0
	v_fmac_f64_e32 v[158:159], v[158:159], v[160:161]
	v_div_scale_f64 v[160:161], vcc, 1.0, v[142:143], 1.0
	v_mul_f64 v[162:163], v[160:161], v[158:159]
	v_fma_f64 v[140:141], -v[140:141], v[162:163], v[160:161]
	s_nop 1
	v_div_fmas_f64 v[140:141], v[140:141], v[158:159], v[162:163]
	v_div_fixup_f64 v[142:143], v[140:141], v[142:143], 1.0
	v_mul_f64 v[140:141], v[156:157], v[142:143]
	v_xor_b32_e32 v143, 0x80000000, v143
.LBB68_301:
	s_andn2_saveexec_b64 s[16:17], s[16:17]
	s_cbranch_execz .LBB68_303
; %bb.302:
	v_div_scale_f64 v[156:157], s[18:19], v[140:141], v[140:141], v[142:143]
	v_rcp_f64_e32 v[158:159], v[156:157]
	v_div_scale_f64 v[160:161], vcc, v[142:143], v[140:141], v[142:143]
	v_fma_f64 v[162:163], -v[156:157], v[158:159], 1.0
	v_fmac_f64_e32 v[158:159], v[158:159], v[162:163]
	v_fma_f64 v[162:163], -v[156:157], v[158:159], 1.0
	v_fmac_f64_e32 v[158:159], v[158:159], v[162:163]
	v_mul_f64 v[162:163], v[160:161], v[158:159]
	v_fma_f64 v[156:157], -v[156:157], v[162:163], v[160:161]
	v_div_fmas_f64 v[156:157], v[156:157], v[158:159], v[162:163]
	v_div_fixup_f64 v[156:157], v[156:157], v[140:141], v[142:143]
	v_fmac_f64_e32 v[140:141], v[142:143], v[156:157]
	v_div_scale_f64 v[142:143], s[18:19], v[140:141], v[140:141], 1.0
	v_rcp_f64_e32 v[158:159], v[142:143]
	s_nop 0
	v_fma_f64 v[160:161], -v[142:143], v[158:159], 1.0
	v_fmac_f64_e32 v[158:159], v[158:159], v[160:161]
	v_fma_f64 v[160:161], -v[142:143], v[158:159], 1.0
	v_fmac_f64_e32 v[158:159], v[158:159], v[160:161]
	v_div_scale_f64 v[160:161], vcc, 1.0, v[140:141], 1.0
	v_mul_f64 v[162:163], v[160:161], v[158:159]
	v_fma_f64 v[142:143], -v[142:143], v[162:163], v[160:161]
	s_nop 1
	v_div_fmas_f64 v[142:143], v[142:143], v[158:159], v[162:163]
	v_div_fixup_f64 v[140:141], v[142:143], v[140:141], 1.0
	v_mul_f64 v[142:143], v[156:157], -v[140:141]
.LBB68_303:
	s_or_b64 exec, exec, s[16:17]
.LBB68_304:
	s_or_b64 exec, exec, s[0:1]
	v_cmp_ne_u32_e32 vcc, v153, v150
	s_and_saveexec_b64 s[0:1], vcc
	s_xor_b64 s[0:1], exec, s[0:1]
	s_cbranch_execz .LBB68_310
; %bb.305:
	v_cmp_eq_u32_e32 vcc, 14, v153
	s_and_saveexec_b64 s[16:17], vcc
	s_cbranch_execz .LBB68_309
; %bb.306:
	v_cmp_ne_u32_e32 vcc, 14, v150
	s_xor_b64 s[18:19], s[14:15], -1
	s_and_b64 s[22:23], s[18:19], vcc
	s_and_saveexec_b64 s[18:19], s[22:23]
	s_cbranch_execz .LBB68_308
; %bb.307:
	v_ashrrev_i32_e32 v151, 31, v150
	v_lshl_add_u64 v[156:157], v[150:151], 2, v[148:149]
	global_load_dword v151, v[156:157], off
	global_load_dword v153, v[148:149], off offset:56
	s_waitcnt vmcnt(1)
	global_store_dword v[148:149], v151, off offset:56
	s_waitcnt vmcnt(1)
	global_store_dword v[156:157], v153, off
.LBB68_308:
	s_or_b64 exec, exec, s[18:19]
	v_mov_b32_e32 v153, v150
	v_mov_b32_e32 v155, v150
.LBB68_309:
	s_or_b64 exec, exec, s[16:17]
.LBB68_310:
	s_andn2_saveexec_b64 s[0:1], s[0:1]
	s_cbranch_execz .LBB68_312
; %bb.311:
	v_mov_b32_e32 v153, 14
	s_waitcnt vmcnt(19)
	ds_write2_b64 v152, v[72:73], v[74:75] offset0:30 offset1:31
	s_waitcnt vmcnt(18)
	ds_write2_b64 v152, v[68:69], v[70:71] offset0:32 offset1:33
	;; [unrolled: 2-line block ×20, first 2 shown]
.LBB68_312:
	s_or_b64 exec, exec, s[0:1]
	v_cmp_lt_i32_e32 vcc, 14, v153
	s_waitcnt lgkmcnt(0)
	s_barrier
	s_and_saveexec_b64 s[0:1], vcc
	s_cbranch_execz .LBB68_314
; %bb.313:
	ds_read2_b64 v[156:159], v152 offset0:30 offset1:31
	v_mul_f64 v[150:151], v[142:143], v[78:79]
	v_mul_f64 v[78:79], v[140:141], v[78:79]
	v_fma_f64 v[150:151], v[140:141], v[76:77], -v[150:151]
	v_fmac_f64_e32 v[78:79], v[142:143], v[76:77]
	ds_read2_b64 v[140:143], v152 offset0:32 offset1:33
	s_waitcnt lgkmcnt(1)
	v_mul_f64 v[76:77], v[158:159], v[78:79]
	v_fma_f64 v[76:77], v[156:157], v[150:151], -v[76:77]
	v_mul_f64 v[156:157], v[156:157], v[78:79]
	v_fmac_f64_e32 v[156:157], v[158:159], v[150:151]
	s_waitcnt vmcnt(19)
	v_add_f64 v[72:73], v[72:73], -v[76:77]
	s_waitcnt lgkmcnt(0)
	v_mul_f64 v[76:77], v[142:143], v[78:79]
	v_add_f64 v[74:75], v[74:75], -v[156:157]
	v_fma_f64 v[76:77], v[140:141], v[150:151], -v[76:77]
	v_mul_f64 v[140:141], v[140:141], v[78:79]
	ds_read2_b64 v[156:159], v152 offset0:34 offset1:35
	v_fmac_f64_e32 v[140:141], v[142:143], v[150:151]
	s_waitcnt vmcnt(18)
	v_add_f64 v[70:71], v[70:71], -v[140:141]
	ds_read2_b64 v[140:143], v152 offset0:36 offset1:37
	v_add_f64 v[68:69], v[68:69], -v[76:77]
	s_waitcnt lgkmcnt(1)
	v_mul_f64 v[76:77], v[158:159], v[78:79]
	v_fma_f64 v[76:77], v[156:157], v[150:151], -v[76:77]
	v_mul_f64 v[156:157], v[156:157], v[78:79]
	v_fmac_f64_e32 v[156:157], v[158:159], v[150:151]
	s_waitcnt vmcnt(17)
	v_add_f64 v[64:65], v[64:65], -v[76:77]
	s_waitcnt lgkmcnt(0)
	v_mul_f64 v[76:77], v[142:143], v[78:79]
	v_add_f64 v[66:67], v[66:67], -v[156:157]
	v_fma_f64 v[76:77], v[140:141], v[150:151], -v[76:77]
	v_mul_f64 v[140:141], v[140:141], v[78:79]
	ds_read2_b64 v[156:159], v152 offset0:38 offset1:39
	v_fmac_f64_e32 v[140:141], v[142:143], v[150:151]
	s_waitcnt vmcnt(16)
	v_add_f64 v[62:63], v[62:63], -v[140:141]
	ds_read2_b64 v[140:143], v152 offset0:40 offset1:41
	v_add_f64 v[60:61], v[60:61], -v[76:77]
	;; [unrolled: 18-line block ×9, first 2 shown]
	s_waitcnt lgkmcnt(1)
	v_mul_f64 v[76:77], v[158:159], v[78:79]
	v_fma_f64 v[76:77], v[156:157], v[150:151], -v[76:77]
	s_waitcnt vmcnt(1)
	v_add_f64 v[0:1], v[0:1], -v[76:77]
	s_waitcnt lgkmcnt(0)
	v_mul_f64 v[76:77], v[142:143], v[78:79]
	v_mul_f64 v[156:157], v[156:157], v[78:79]
	v_fma_f64 v[76:77], v[140:141], v[150:151], -v[76:77]
	v_mul_f64 v[140:141], v[140:141], v[78:79]
	v_fmac_f64_e32 v[156:157], v[158:159], v[150:151]
	v_fmac_f64_e32 v[140:141], v[142:143], v[150:151]
	v_add_f64 v[2:3], v[2:3], -v[156:157]
	s_waitcnt vmcnt(0)
	v_add_f64 v[136:137], v[136:137], -v[76:77]
	v_add_f64 v[138:139], v[138:139], -v[140:141]
	v_mov_b64_e32 v[76:77], v[150:151]
.LBB68_314:
	s_or_b64 exec, exec, s[0:1]
	v_lshl_add_u32 v140, v153, 4, v152
	s_barrier
	s_waitcnt vmcnt(19)
	ds_write2_b64 v140, v[72:73], v[74:75] offset1:1
	s_waitcnt lgkmcnt(0)
	s_barrier
	ds_read2_b64 v[140:143], v152 offset0:30 offset1:31
	s_cmp_lt_i32 s20, 17
	v_mov_b32_e32 v150, 15
	s_cbranch_scc1 .LBB68_317
; %bb.315:
	v_add_u32_e32 v151, 0x100, v152
	s_mov_b32 s16, 16
	v_mov_b32_e32 v150, 15
.LBB68_316:                             ; =>This Inner Loop Header: Depth=1
	ds_read2_b64 v[156:159], v151 offset1:1
	s_waitcnt lgkmcnt(1)
	v_xor_b32_e32 v161, 0x80000000, v141
	v_xor_b32_e32 v163, 0x80000000, v143
	v_cmp_gt_f64_e32 vcc, 0, v[142:143]
	v_cmp_gt_f64_e64 s[0:1], 0, v[140:141]
	v_mov_b32_e32 v160, v140
	v_mov_b32_e32 v162, v142
	v_cndmask_b32_e64 v161, v141, v161, s[0:1]
	v_cndmask_b32_e32 v163, v143, v163, vcc
	v_add_f64 v[160:161], v[160:161], v[162:163]
	s_waitcnt lgkmcnt(0)
	v_xor_b32_e32 v163, 0x80000000, v157
	v_xor_b32_e32 v165, 0x80000000, v159
	v_cmp_gt_f64_e32 vcc, 0, v[158:159]
	v_cmp_gt_f64_e64 s[0:1], 0, v[156:157]
	v_mov_b32_e32 v162, v156
	v_mov_b32_e32 v164, v158
	v_cndmask_b32_e64 v163, v157, v163, s[0:1]
	v_cndmask_b32_e32 v165, v159, v165, vcc
	v_add_f64 v[162:163], v[162:163], v[164:165]
	v_mov_b32_e32 v166, s16
	s_add_i32 s16, s16, 1
	v_cmp_lt_f64_e32 vcc, v[160:161], v[162:163]
	v_add_u32_e32 v151, 16, v151
	s_cmp_lg_u32 s20, s16
	v_cndmask_b32_e32 v141, v141, v157, vcc
	v_cndmask_b32_e32 v140, v140, v156, vcc
	;; [unrolled: 1-line block ×5, first 2 shown]
	s_cbranch_scc1 .LBB68_316
.LBB68_317:
	s_waitcnt lgkmcnt(0)
	v_cmp_eq_f64_e32 vcc, 0, v[140:141]
	v_cmp_eq_f64_e64 s[0:1], 0, v[142:143]
	s_and_b64 s[0:1], vcc, s[0:1]
	s_and_saveexec_b64 s[16:17], s[0:1]
	s_xor_b64 s[0:1], exec, s[16:17]
; %bb.318:
	v_cmp_ne_u32_e32 vcc, 0, v154
	s_nop 1
	v_cndmask_b32_e32 v154, 16, v154, vcc
; %bb.319:
	s_andn2_saveexec_b64 s[0:1], s[0:1]
	s_cbranch_execz .LBB68_325
; %bb.320:
	v_cmp_ngt_f64_e64 s[16:17], |v[140:141]|, |v[142:143]|
	s_and_saveexec_b64 s[18:19], s[16:17]
	s_xor_b64 s[16:17], exec, s[18:19]
	s_cbranch_execz .LBB68_322
; %bb.321:
	v_div_scale_f64 v[156:157], s[18:19], v[142:143], v[142:143], v[140:141]
	v_rcp_f64_e32 v[158:159], v[156:157]
	v_div_scale_f64 v[160:161], vcc, v[140:141], v[142:143], v[140:141]
	v_fma_f64 v[162:163], -v[156:157], v[158:159], 1.0
	v_fmac_f64_e32 v[158:159], v[158:159], v[162:163]
	v_fma_f64 v[162:163], -v[156:157], v[158:159], 1.0
	v_fmac_f64_e32 v[158:159], v[158:159], v[162:163]
	v_mul_f64 v[162:163], v[160:161], v[158:159]
	v_fma_f64 v[156:157], -v[156:157], v[162:163], v[160:161]
	v_div_fmas_f64 v[156:157], v[156:157], v[158:159], v[162:163]
	v_div_fixup_f64 v[156:157], v[156:157], v[142:143], v[140:141]
	v_fmac_f64_e32 v[142:143], v[140:141], v[156:157]
	v_div_scale_f64 v[140:141], s[18:19], v[142:143], v[142:143], 1.0
	v_rcp_f64_e32 v[158:159], v[140:141]
	s_nop 0
	v_fma_f64 v[160:161], -v[140:141], v[158:159], 1.0
	v_fmac_f64_e32 v[158:159], v[158:159], v[160:161]
	v_fma_f64 v[160:161], -v[140:141], v[158:159], 1.0
	v_fmac_f64_e32 v[158:159], v[158:159], v[160:161]
	v_div_scale_f64 v[160:161], vcc, 1.0, v[142:143], 1.0
	v_mul_f64 v[162:163], v[160:161], v[158:159]
	v_fma_f64 v[140:141], -v[140:141], v[162:163], v[160:161]
	s_nop 1
	v_div_fmas_f64 v[140:141], v[140:141], v[158:159], v[162:163]
	v_div_fixup_f64 v[142:143], v[140:141], v[142:143], 1.0
	v_mul_f64 v[140:141], v[156:157], v[142:143]
	v_xor_b32_e32 v143, 0x80000000, v143
.LBB68_322:
	s_andn2_saveexec_b64 s[16:17], s[16:17]
	s_cbranch_execz .LBB68_324
; %bb.323:
	v_div_scale_f64 v[156:157], s[18:19], v[140:141], v[140:141], v[142:143]
	v_rcp_f64_e32 v[158:159], v[156:157]
	v_div_scale_f64 v[160:161], vcc, v[142:143], v[140:141], v[142:143]
	v_fma_f64 v[162:163], -v[156:157], v[158:159], 1.0
	v_fmac_f64_e32 v[158:159], v[158:159], v[162:163]
	v_fma_f64 v[162:163], -v[156:157], v[158:159], 1.0
	v_fmac_f64_e32 v[158:159], v[158:159], v[162:163]
	v_mul_f64 v[162:163], v[160:161], v[158:159]
	v_fma_f64 v[156:157], -v[156:157], v[162:163], v[160:161]
	v_div_fmas_f64 v[156:157], v[156:157], v[158:159], v[162:163]
	v_div_fixup_f64 v[156:157], v[156:157], v[140:141], v[142:143]
	v_fmac_f64_e32 v[140:141], v[142:143], v[156:157]
	v_div_scale_f64 v[142:143], s[18:19], v[140:141], v[140:141], 1.0
	v_rcp_f64_e32 v[158:159], v[142:143]
	s_nop 0
	v_fma_f64 v[160:161], -v[142:143], v[158:159], 1.0
	v_fmac_f64_e32 v[158:159], v[158:159], v[160:161]
	v_fma_f64 v[160:161], -v[142:143], v[158:159], 1.0
	v_fmac_f64_e32 v[158:159], v[158:159], v[160:161]
	v_div_scale_f64 v[160:161], vcc, 1.0, v[140:141], 1.0
	v_mul_f64 v[162:163], v[160:161], v[158:159]
	v_fma_f64 v[142:143], -v[142:143], v[162:163], v[160:161]
	s_nop 1
	v_div_fmas_f64 v[142:143], v[142:143], v[158:159], v[162:163]
	v_div_fixup_f64 v[140:141], v[142:143], v[140:141], 1.0
	v_mul_f64 v[142:143], v[156:157], -v[140:141]
.LBB68_324:
	s_or_b64 exec, exec, s[16:17]
.LBB68_325:
	s_or_b64 exec, exec, s[0:1]
	v_cmp_ne_u32_e32 vcc, v153, v150
	s_and_saveexec_b64 s[0:1], vcc
	s_xor_b64 s[0:1], exec, s[0:1]
	s_cbranch_execz .LBB68_331
; %bb.326:
	v_cmp_eq_u32_e32 vcc, 15, v153
	s_and_saveexec_b64 s[16:17], vcc
	s_cbranch_execz .LBB68_330
; %bb.327:
	v_cmp_ne_u32_e32 vcc, 15, v150
	s_xor_b64 s[18:19], s[14:15], -1
	s_and_b64 s[22:23], s[18:19], vcc
	s_and_saveexec_b64 s[18:19], s[22:23]
	s_cbranch_execz .LBB68_329
; %bb.328:
	v_ashrrev_i32_e32 v151, 31, v150
	v_lshl_add_u64 v[156:157], v[150:151], 2, v[148:149]
	global_load_dword v151, v[156:157], off
	global_load_dword v153, v[148:149], off offset:60
	s_waitcnt vmcnt(1)
	global_store_dword v[148:149], v151, off offset:60
	s_waitcnt vmcnt(1)
	global_store_dword v[156:157], v153, off
.LBB68_329:
	s_or_b64 exec, exec, s[18:19]
	v_mov_b32_e32 v153, v150
	v_mov_b32_e32 v155, v150
.LBB68_330:
	s_or_b64 exec, exec, s[16:17]
.LBB68_331:
	s_andn2_saveexec_b64 s[0:1], s[0:1]
	s_cbranch_execz .LBB68_333
; %bb.332:
	v_mov_b32_e32 v153, 15
	s_waitcnt vmcnt(18)
	ds_write2_b64 v152, v[68:69], v[70:71] offset0:32 offset1:33
	s_waitcnt vmcnt(17)
	ds_write2_b64 v152, v[64:65], v[66:67] offset0:34 offset1:35
	;; [unrolled: 2-line block ×19, first 2 shown]
.LBB68_333:
	s_or_b64 exec, exec, s[0:1]
	v_cmp_lt_i32_e32 vcc, 15, v153
	s_waitcnt lgkmcnt(0)
	s_barrier
	s_and_saveexec_b64 s[0:1], vcc
	s_cbranch_execz .LBB68_335
; %bb.334:
	ds_read2_b64 v[156:159], v152 offset0:32 offset1:33
	v_mul_f64 v[150:151], v[142:143], v[74:75]
	v_mul_f64 v[74:75], v[140:141], v[74:75]
	v_fmac_f64_e32 v[74:75], v[142:143], v[72:73]
	v_fma_f64 v[150:151], v[140:141], v[72:73], -v[150:151]
	ds_read2_b64 v[140:143], v152 offset0:34 offset1:35
	s_waitcnt lgkmcnt(1)
	v_mul_f64 v[72:73], v[158:159], v[74:75]
	v_fma_f64 v[72:73], v[156:157], v[150:151], -v[72:73]
	v_mul_f64 v[156:157], v[156:157], v[74:75]
	v_fmac_f64_e32 v[156:157], v[158:159], v[150:151]
	s_waitcnt vmcnt(18)
	v_add_f64 v[70:71], v[70:71], -v[156:157]
	ds_read2_b64 v[156:159], v152 offset0:36 offset1:37
	v_add_f64 v[68:69], v[68:69], -v[72:73]
	s_waitcnt lgkmcnt(1)
	v_mul_f64 v[72:73], v[142:143], v[74:75]
	v_fma_f64 v[72:73], v[140:141], v[150:151], -v[72:73]
	v_mul_f64 v[140:141], v[140:141], v[74:75]
	v_fmac_f64_e32 v[140:141], v[142:143], v[150:151]
	s_waitcnt vmcnt(17)
	v_add_f64 v[64:65], v[64:65], -v[72:73]
	v_add_f64 v[66:67], v[66:67], -v[140:141]
	ds_read2_b64 v[140:143], v152 offset0:38 offset1:39
	s_waitcnt lgkmcnt(1)
	v_mul_f64 v[72:73], v[158:159], v[74:75]
	v_fma_f64 v[72:73], v[156:157], v[150:151], -v[72:73]
	v_mul_f64 v[156:157], v[156:157], v[74:75]
	v_fmac_f64_e32 v[156:157], v[158:159], v[150:151]
	s_waitcnt vmcnt(16)
	v_add_f64 v[62:63], v[62:63], -v[156:157]
	ds_read2_b64 v[156:159], v152 offset0:40 offset1:41
	v_add_f64 v[60:61], v[60:61], -v[72:73]
	s_waitcnt lgkmcnt(1)
	v_mul_f64 v[72:73], v[142:143], v[74:75]
	v_fma_f64 v[72:73], v[140:141], v[150:151], -v[72:73]
	v_mul_f64 v[140:141], v[140:141], v[74:75]
	v_fmac_f64_e32 v[140:141], v[142:143], v[150:151]
	s_waitcnt vmcnt(15)
	v_add_f64 v[56:57], v[56:57], -v[72:73]
	v_add_f64 v[58:59], v[58:59], -v[140:141]
	;; [unrolled: 18-line block ×9, first 2 shown]
	s_waitcnt lgkmcnt(0)
	v_mul_f64 v[72:73], v[158:159], v[74:75]
	v_mul_f64 v[140:141], v[156:157], v[74:75]
	v_fma_f64 v[72:73], v[156:157], v[150:151], -v[72:73]
	v_fmac_f64_e32 v[140:141], v[158:159], v[150:151]
	s_waitcnt vmcnt(0)
	v_add_f64 v[136:137], v[136:137], -v[72:73]
	v_add_f64 v[138:139], v[138:139], -v[140:141]
	v_mov_b64_e32 v[72:73], v[150:151]
.LBB68_335:
	s_or_b64 exec, exec, s[0:1]
	v_lshl_add_u32 v140, v153, 4, v152
	s_barrier
	s_waitcnt vmcnt(18)
	ds_write2_b64 v140, v[68:69], v[70:71] offset1:1
	s_waitcnt lgkmcnt(0)
	s_barrier
	ds_read2_b64 v[140:143], v152 offset0:32 offset1:33
	s_cmp_lt_i32 s20, 18
	v_mov_b32_e32 v150, 16
	s_cbranch_scc1 .LBB68_338
; %bb.336:
	v_add_u32_e32 v151, 0x110, v152
	s_mov_b32 s16, 17
	v_mov_b32_e32 v150, 16
.LBB68_337:                             ; =>This Inner Loop Header: Depth=1
	ds_read2_b64 v[156:159], v151 offset1:1
	s_waitcnt lgkmcnt(1)
	v_xor_b32_e32 v161, 0x80000000, v141
	v_xor_b32_e32 v163, 0x80000000, v143
	v_cmp_gt_f64_e32 vcc, 0, v[142:143]
	v_cmp_gt_f64_e64 s[0:1], 0, v[140:141]
	v_mov_b32_e32 v160, v140
	v_mov_b32_e32 v162, v142
	v_cndmask_b32_e64 v161, v141, v161, s[0:1]
	v_cndmask_b32_e32 v163, v143, v163, vcc
	v_add_f64 v[160:161], v[160:161], v[162:163]
	s_waitcnt lgkmcnt(0)
	v_xor_b32_e32 v163, 0x80000000, v157
	v_xor_b32_e32 v165, 0x80000000, v159
	v_cmp_gt_f64_e32 vcc, 0, v[158:159]
	v_cmp_gt_f64_e64 s[0:1], 0, v[156:157]
	v_mov_b32_e32 v162, v156
	v_mov_b32_e32 v164, v158
	v_cndmask_b32_e64 v163, v157, v163, s[0:1]
	v_cndmask_b32_e32 v165, v159, v165, vcc
	v_add_f64 v[162:163], v[162:163], v[164:165]
	v_mov_b32_e32 v166, s16
	s_add_i32 s16, s16, 1
	v_cmp_lt_f64_e32 vcc, v[160:161], v[162:163]
	v_add_u32_e32 v151, 16, v151
	s_cmp_lg_u32 s20, s16
	v_cndmask_b32_e32 v141, v141, v157, vcc
	v_cndmask_b32_e32 v140, v140, v156, vcc
	;; [unrolled: 1-line block ×5, first 2 shown]
	s_cbranch_scc1 .LBB68_337
.LBB68_338:
	s_waitcnt lgkmcnt(0)
	v_cmp_eq_f64_e32 vcc, 0, v[140:141]
	v_cmp_eq_f64_e64 s[0:1], 0, v[142:143]
	s_and_b64 s[0:1], vcc, s[0:1]
	s_and_saveexec_b64 s[16:17], s[0:1]
	s_xor_b64 s[0:1], exec, s[16:17]
; %bb.339:
	v_cmp_ne_u32_e32 vcc, 0, v154
	s_nop 1
	v_cndmask_b32_e32 v154, 17, v154, vcc
; %bb.340:
	s_andn2_saveexec_b64 s[0:1], s[0:1]
	s_cbranch_execz .LBB68_346
; %bb.341:
	v_cmp_ngt_f64_e64 s[16:17], |v[140:141]|, |v[142:143]|
	s_and_saveexec_b64 s[18:19], s[16:17]
	s_xor_b64 s[16:17], exec, s[18:19]
	s_cbranch_execz .LBB68_343
; %bb.342:
	v_div_scale_f64 v[156:157], s[18:19], v[142:143], v[142:143], v[140:141]
	v_rcp_f64_e32 v[158:159], v[156:157]
	v_div_scale_f64 v[160:161], vcc, v[140:141], v[142:143], v[140:141]
	v_fma_f64 v[162:163], -v[156:157], v[158:159], 1.0
	v_fmac_f64_e32 v[158:159], v[158:159], v[162:163]
	v_fma_f64 v[162:163], -v[156:157], v[158:159], 1.0
	v_fmac_f64_e32 v[158:159], v[158:159], v[162:163]
	v_mul_f64 v[162:163], v[160:161], v[158:159]
	v_fma_f64 v[156:157], -v[156:157], v[162:163], v[160:161]
	v_div_fmas_f64 v[156:157], v[156:157], v[158:159], v[162:163]
	v_div_fixup_f64 v[156:157], v[156:157], v[142:143], v[140:141]
	v_fmac_f64_e32 v[142:143], v[140:141], v[156:157]
	v_div_scale_f64 v[140:141], s[18:19], v[142:143], v[142:143], 1.0
	v_rcp_f64_e32 v[158:159], v[140:141]
	s_nop 0
	v_fma_f64 v[160:161], -v[140:141], v[158:159], 1.0
	v_fmac_f64_e32 v[158:159], v[158:159], v[160:161]
	v_fma_f64 v[160:161], -v[140:141], v[158:159], 1.0
	v_fmac_f64_e32 v[158:159], v[158:159], v[160:161]
	v_div_scale_f64 v[160:161], vcc, 1.0, v[142:143], 1.0
	v_mul_f64 v[162:163], v[160:161], v[158:159]
	v_fma_f64 v[140:141], -v[140:141], v[162:163], v[160:161]
	s_nop 1
	v_div_fmas_f64 v[140:141], v[140:141], v[158:159], v[162:163]
	v_div_fixup_f64 v[142:143], v[140:141], v[142:143], 1.0
	v_mul_f64 v[140:141], v[156:157], v[142:143]
	v_xor_b32_e32 v143, 0x80000000, v143
.LBB68_343:
	s_andn2_saveexec_b64 s[16:17], s[16:17]
	s_cbranch_execz .LBB68_345
; %bb.344:
	v_div_scale_f64 v[156:157], s[18:19], v[140:141], v[140:141], v[142:143]
	v_rcp_f64_e32 v[158:159], v[156:157]
	v_div_scale_f64 v[160:161], vcc, v[142:143], v[140:141], v[142:143]
	v_fma_f64 v[162:163], -v[156:157], v[158:159], 1.0
	v_fmac_f64_e32 v[158:159], v[158:159], v[162:163]
	v_fma_f64 v[162:163], -v[156:157], v[158:159], 1.0
	v_fmac_f64_e32 v[158:159], v[158:159], v[162:163]
	v_mul_f64 v[162:163], v[160:161], v[158:159]
	v_fma_f64 v[156:157], -v[156:157], v[162:163], v[160:161]
	v_div_fmas_f64 v[156:157], v[156:157], v[158:159], v[162:163]
	v_div_fixup_f64 v[156:157], v[156:157], v[140:141], v[142:143]
	v_fmac_f64_e32 v[140:141], v[142:143], v[156:157]
	v_div_scale_f64 v[142:143], s[18:19], v[140:141], v[140:141], 1.0
	v_rcp_f64_e32 v[158:159], v[142:143]
	s_nop 0
	v_fma_f64 v[160:161], -v[142:143], v[158:159], 1.0
	v_fmac_f64_e32 v[158:159], v[158:159], v[160:161]
	v_fma_f64 v[160:161], -v[142:143], v[158:159], 1.0
	v_fmac_f64_e32 v[158:159], v[158:159], v[160:161]
	v_div_scale_f64 v[160:161], vcc, 1.0, v[140:141], 1.0
	v_mul_f64 v[162:163], v[160:161], v[158:159]
	v_fma_f64 v[142:143], -v[142:143], v[162:163], v[160:161]
	s_nop 1
	v_div_fmas_f64 v[142:143], v[142:143], v[158:159], v[162:163]
	v_div_fixup_f64 v[140:141], v[142:143], v[140:141], 1.0
	v_mul_f64 v[142:143], v[156:157], -v[140:141]
.LBB68_345:
	s_or_b64 exec, exec, s[16:17]
.LBB68_346:
	s_or_b64 exec, exec, s[0:1]
	v_cmp_ne_u32_e32 vcc, v153, v150
	s_and_saveexec_b64 s[0:1], vcc
	s_xor_b64 s[0:1], exec, s[0:1]
	s_cbranch_execz .LBB68_352
; %bb.347:
	v_cmp_eq_u32_e32 vcc, 16, v153
	s_and_saveexec_b64 s[16:17], vcc
	s_cbranch_execz .LBB68_351
; %bb.348:
	v_cmp_ne_u32_e32 vcc, 16, v150
	s_xor_b64 s[18:19], s[14:15], -1
	s_and_b64 s[22:23], s[18:19], vcc
	s_and_saveexec_b64 s[18:19], s[22:23]
	s_cbranch_execz .LBB68_350
; %bb.349:
	v_ashrrev_i32_e32 v151, 31, v150
	v_lshl_add_u64 v[156:157], v[150:151], 2, v[148:149]
	global_load_dword v151, v[156:157], off
	global_load_dword v153, v[148:149], off offset:64
	s_waitcnt vmcnt(1)
	global_store_dword v[148:149], v151, off offset:64
	s_waitcnt vmcnt(1)
	global_store_dword v[156:157], v153, off
.LBB68_350:
	s_or_b64 exec, exec, s[18:19]
	v_mov_b32_e32 v153, v150
	v_mov_b32_e32 v155, v150
.LBB68_351:
	s_or_b64 exec, exec, s[16:17]
.LBB68_352:
	s_andn2_saveexec_b64 s[0:1], s[0:1]
	s_cbranch_execz .LBB68_354
; %bb.353:
	v_mov_b32_e32 v153, 16
	s_waitcnt vmcnt(17)
	ds_write2_b64 v152, v[64:65], v[66:67] offset0:34 offset1:35
	s_waitcnt vmcnt(16)
	ds_write2_b64 v152, v[60:61], v[62:63] offset0:36 offset1:37
	;; [unrolled: 2-line block ×18, first 2 shown]
.LBB68_354:
	s_or_b64 exec, exec, s[0:1]
	v_cmp_lt_i32_e32 vcc, 16, v153
	s_waitcnt lgkmcnt(0)
	s_barrier
	s_and_saveexec_b64 s[0:1], vcc
	s_cbranch_execz .LBB68_356
; %bb.355:
	ds_read2_b64 v[156:159], v152 offset0:34 offset1:35
	v_mul_f64 v[150:151], v[142:143], v[70:71]
	v_mul_f64 v[70:71], v[140:141], v[70:71]
	v_fma_f64 v[150:151], v[140:141], v[68:69], -v[150:151]
	v_fmac_f64_e32 v[70:71], v[142:143], v[68:69]
	ds_read2_b64 v[140:143], v152 offset0:36 offset1:37
	s_waitcnt lgkmcnt(1)
	v_mul_f64 v[68:69], v[158:159], v[70:71]
	v_fma_f64 v[68:69], v[156:157], v[150:151], -v[68:69]
	v_mul_f64 v[156:157], v[156:157], v[70:71]
	v_fmac_f64_e32 v[156:157], v[158:159], v[150:151]
	s_waitcnt vmcnt(17)
	v_add_f64 v[64:65], v[64:65], -v[68:69]
	s_waitcnt lgkmcnt(0)
	v_mul_f64 v[68:69], v[142:143], v[70:71]
	v_add_f64 v[66:67], v[66:67], -v[156:157]
	v_fma_f64 v[68:69], v[140:141], v[150:151], -v[68:69]
	v_mul_f64 v[140:141], v[140:141], v[70:71]
	ds_read2_b64 v[156:159], v152 offset0:38 offset1:39
	v_fmac_f64_e32 v[140:141], v[142:143], v[150:151]
	s_waitcnt vmcnt(16)
	v_add_f64 v[62:63], v[62:63], -v[140:141]
	ds_read2_b64 v[140:143], v152 offset0:40 offset1:41
	v_add_f64 v[60:61], v[60:61], -v[68:69]
	s_waitcnt lgkmcnt(1)
	v_mul_f64 v[68:69], v[158:159], v[70:71]
	v_fma_f64 v[68:69], v[156:157], v[150:151], -v[68:69]
	v_mul_f64 v[156:157], v[156:157], v[70:71]
	v_fmac_f64_e32 v[156:157], v[158:159], v[150:151]
	s_waitcnt vmcnt(15)
	v_add_f64 v[56:57], v[56:57], -v[68:69]
	s_waitcnt lgkmcnt(0)
	v_mul_f64 v[68:69], v[142:143], v[70:71]
	v_add_f64 v[58:59], v[58:59], -v[156:157]
	v_fma_f64 v[68:69], v[140:141], v[150:151], -v[68:69]
	v_mul_f64 v[140:141], v[140:141], v[70:71]
	ds_read2_b64 v[156:159], v152 offset0:42 offset1:43
	v_fmac_f64_e32 v[140:141], v[142:143], v[150:151]
	s_waitcnt vmcnt(14)
	v_add_f64 v[54:55], v[54:55], -v[140:141]
	ds_read2_b64 v[140:143], v152 offset0:44 offset1:45
	v_add_f64 v[52:53], v[52:53], -v[68:69]
	s_waitcnt lgkmcnt(1)
	v_mul_f64 v[68:69], v[158:159], v[70:71]
	v_fma_f64 v[68:69], v[156:157], v[150:151], -v[68:69]
	v_mul_f64 v[156:157], v[156:157], v[70:71]
	v_fmac_f64_e32 v[156:157], v[158:159], v[150:151]
	s_waitcnt vmcnt(13)
	v_add_f64 v[48:49], v[48:49], -v[68:69]
	s_waitcnt lgkmcnt(0)
	v_mul_f64 v[68:69], v[142:143], v[70:71]
	v_add_f64 v[50:51], v[50:51], -v[156:157]
	v_fma_f64 v[68:69], v[140:141], v[150:151], -v[68:69]
	v_mul_f64 v[140:141], v[140:141], v[70:71]
	ds_read2_b64 v[156:159], v152 offset0:46 offset1:47
	v_fmac_f64_e32 v[140:141], v[142:143], v[150:151]
	s_waitcnt vmcnt(12)
	v_add_f64 v[46:47], v[46:47], -v[140:141]
	ds_read2_b64 v[140:143], v152 offset0:48 offset1:49
	v_add_f64 v[44:45], v[44:45], -v[68:69]
	s_waitcnt lgkmcnt(1)
	v_mul_f64 v[68:69], v[158:159], v[70:71]
	v_fma_f64 v[68:69], v[156:157], v[150:151], -v[68:69]
	v_mul_f64 v[156:157], v[156:157], v[70:71]
	v_fmac_f64_e32 v[156:157], v[158:159], v[150:151]
	s_waitcnt vmcnt(11)
	v_add_f64 v[40:41], v[40:41], -v[68:69]
	s_waitcnt lgkmcnt(0)
	v_mul_f64 v[68:69], v[142:143], v[70:71]
	v_add_f64 v[42:43], v[42:43], -v[156:157]
	v_fma_f64 v[68:69], v[140:141], v[150:151], -v[68:69]
	v_mul_f64 v[140:141], v[140:141], v[70:71]
	ds_read2_b64 v[156:159], v152 offset0:50 offset1:51
	v_fmac_f64_e32 v[140:141], v[142:143], v[150:151]
	s_waitcnt vmcnt(10)
	v_add_f64 v[38:39], v[38:39], -v[140:141]
	ds_read2_b64 v[140:143], v152 offset0:52 offset1:53
	v_add_f64 v[36:37], v[36:37], -v[68:69]
	s_waitcnt lgkmcnt(1)
	v_mul_f64 v[68:69], v[158:159], v[70:71]
	v_fma_f64 v[68:69], v[156:157], v[150:151], -v[68:69]
	v_mul_f64 v[156:157], v[156:157], v[70:71]
	v_fmac_f64_e32 v[156:157], v[158:159], v[150:151]
	s_waitcnt vmcnt(9)
	v_add_f64 v[32:33], v[32:33], -v[68:69]
	s_waitcnt lgkmcnt(0)
	v_mul_f64 v[68:69], v[142:143], v[70:71]
	v_add_f64 v[34:35], v[34:35], -v[156:157]
	v_fma_f64 v[68:69], v[140:141], v[150:151], -v[68:69]
	v_mul_f64 v[140:141], v[140:141], v[70:71]
	ds_read2_b64 v[156:159], v152 offset0:54 offset1:55
	v_fmac_f64_e32 v[140:141], v[142:143], v[150:151]
	s_waitcnt vmcnt(8)
	v_add_f64 v[30:31], v[30:31], -v[140:141]
	ds_read2_b64 v[140:143], v152 offset0:56 offset1:57
	v_add_f64 v[28:29], v[28:29], -v[68:69]
	s_waitcnt lgkmcnt(1)
	v_mul_f64 v[68:69], v[158:159], v[70:71]
	v_fma_f64 v[68:69], v[156:157], v[150:151], -v[68:69]
	v_mul_f64 v[156:157], v[156:157], v[70:71]
	v_fmac_f64_e32 v[156:157], v[158:159], v[150:151]
	s_waitcnt vmcnt(7)
	v_add_f64 v[24:25], v[24:25], -v[68:69]
	s_waitcnt lgkmcnt(0)
	v_mul_f64 v[68:69], v[142:143], v[70:71]
	v_add_f64 v[26:27], v[26:27], -v[156:157]
	v_fma_f64 v[68:69], v[140:141], v[150:151], -v[68:69]
	v_mul_f64 v[140:141], v[140:141], v[70:71]
	ds_read2_b64 v[156:159], v152 offset0:58 offset1:59
	v_fmac_f64_e32 v[140:141], v[142:143], v[150:151]
	s_waitcnt vmcnt(6)
	v_add_f64 v[22:23], v[22:23], -v[140:141]
	ds_read2_b64 v[140:143], v152 offset0:60 offset1:61
	v_add_f64 v[20:21], v[20:21], -v[68:69]
	s_waitcnt lgkmcnt(1)
	v_mul_f64 v[68:69], v[158:159], v[70:71]
	v_fma_f64 v[68:69], v[156:157], v[150:151], -v[68:69]
	v_mul_f64 v[156:157], v[156:157], v[70:71]
	v_fmac_f64_e32 v[156:157], v[158:159], v[150:151]
	s_waitcnt vmcnt(5)
	v_add_f64 v[16:17], v[16:17], -v[68:69]
	s_waitcnt lgkmcnt(0)
	v_mul_f64 v[68:69], v[142:143], v[70:71]
	v_add_f64 v[18:19], v[18:19], -v[156:157]
	v_fma_f64 v[68:69], v[140:141], v[150:151], -v[68:69]
	v_mul_f64 v[140:141], v[140:141], v[70:71]
	ds_read2_b64 v[156:159], v152 offset0:62 offset1:63
	v_fmac_f64_e32 v[140:141], v[142:143], v[150:151]
	s_waitcnt vmcnt(4)
	v_add_f64 v[14:15], v[14:15], -v[140:141]
	ds_read2_b64 v[140:143], v152 offset0:64 offset1:65
	v_add_f64 v[12:13], v[12:13], -v[68:69]
	s_waitcnt lgkmcnt(1)
	v_mul_f64 v[68:69], v[158:159], v[70:71]
	v_fma_f64 v[68:69], v[156:157], v[150:151], -v[68:69]
	v_mul_f64 v[156:157], v[156:157], v[70:71]
	v_fmac_f64_e32 v[156:157], v[158:159], v[150:151]
	s_waitcnt vmcnt(3)
	v_add_f64 v[8:9], v[8:9], -v[68:69]
	s_waitcnt lgkmcnt(0)
	v_mul_f64 v[68:69], v[142:143], v[70:71]
	v_add_f64 v[10:11], v[10:11], -v[156:157]
	v_fma_f64 v[68:69], v[140:141], v[150:151], -v[68:69]
	v_mul_f64 v[140:141], v[140:141], v[70:71]
	ds_read2_b64 v[156:159], v152 offset0:66 offset1:67
	v_fmac_f64_e32 v[140:141], v[142:143], v[150:151]
	s_waitcnt vmcnt(2)
	v_add_f64 v[6:7], v[6:7], -v[140:141]
	ds_read2_b64 v[140:143], v152 offset0:68 offset1:69
	v_add_f64 v[4:5], v[4:5], -v[68:69]
	s_waitcnt lgkmcnt(1)
	v_mul_f64 v[68:69], v[158:159], v[70:71]
	v_fma_f64 v[68:69], v[156:157], v[150:151], -v[68:69]
	s_waitcnt vmcnt(1)
	v_add_f64 v[0:1], v[0:1], -v[68:69]
	s_waitcnt lgkmcnt(0)
	v_mul_f64 v[68:69], v[142:143], v[70:71]
	v_mul_f64 v[156:157], v[156:157], v[70:71]
	v_fma_f64 v[68:69], v[140:141], v[150:151], -v[68:69]
	v_mul_f64 v[140:141], v[140:141], v[70:71]
	v_fmac_f64_e32 v[156:157], v[158:159], v[150:151]
	v_fmac_f64_e32 v[140:141], v[142:143], v[150:151]
	v_add_f64 v[2:3], v[2:3], -v[156:157]
	s_waitcnt vmcnt(0)
	v_add_f64 v[136:137], v[136:137], -v[68:69]
	v_add_f64 v[138:139], v[138:139], -v[140:141]
	v_mov_b64_e32 v[68:69], v[150:151]
.LBB68_356:
	s_or_b64 exec, exec, s[0:1]
	v_lshl_add_u32 v140, v153, 4, v152
	s_barrier
	s_waitcnt vmcnt(17)
	ds_write2_b64 v140, v[64:65], v[66:67] offset1:1
	s_waitcnt lgkmcnt(0)
	s_barrier
	ds_read2_b64 v[140:143], v152 offset0:34 offset1:35
	s_cmp_lt_i32 s20, 19
	v_mov_b32_e32 v150, 17
	s_cbranch_scc1 .LBB68_359
; %bb.357:
	v_add_u32_e32 v151, 0x120, v152
	s_mov_b32 s16, 18
	v_mov_b32_e32 v150, 17
.LBB68_358:                             ; =>This Inner Loop Header: Depth=1
	ds_read2_b64 v[156:159], v151 offset1:1
	s_waitcnt lgkmcnt(1)
	v_xor_b32_e32 v161, 0x80000000, v141
	v_xor_b32_e32 v163, 0x80000000, v143
	v_cmp_gt_f64_e32 vcc, 0, v[142:143]
	v_cmp_gt_f64_e64 s[0:1], 0, v[140:141]
	v_mov_b32_e32 v160, v140
	v_mov_b32_e32 v162, v142
	v_cndmask_b32_e64 v161, v141, v161, s[0:1]
	v_cndmask_b32_e32 v163, v143, v163, vcc
	v_add_f64 v[160:161], v[160:161], v[162:163]
	s_waitcnt lgkmcnt(0)
	v_xor_b32_e32 v163, 0x80000000, v157
	v_xor_b32_e32 v165, 0x80000000, v159
	v_cmp_gt_f64_e32 vcc, 0, v[158:159]
	v_cmp_gt_f64_e64 s[0:1], 0, v[156:157]
	v_mov_b32_e32 v162, v156
	v_mov_b32_e32 v164, v158
	v_cndmask_b32_e64 v163, v157, v163, s[0:1]
	v_cndmask_b32_e32 v165, v159, v165, vcc
	v_add_f64 v[162:163], v[162:163], v[164:165]
	v_mov_b32_e32 v166, s16
	s_add_i32 s16, s16, 1
	v_cmp_lt_f64_e32 vcc, v[160:161], v[162:163]
	v_add_u32_e32 v151, 16, v151
	s_cmp_lg_u32 s20, s16
	v_cndmask_b32_e32 v141, v141, v157, vcc
	v_cndmask_b32_e32 v140, v140, v156, vcc
	;; [unrolled: 1-line block ×5, first 2 shown]
	s_cbranch_scc1 .LBB68_358
.LBB68_359:
	s_waitcnt lgkmcnt(0)
	v_cmp_eq_f64_e32 vcc, 0, v[140:141]
	v_cmp_eq_f64_e64 s[0:1], 0, v[142:143]
	s_and_b64 s[0:1], vcc, s[0:1]
	s_and_saveexec_b64 s[16:17], s[0:1]
	s_xor_b64 s[0:1], exec, s[16:17]
; %bb.360:
	v_cmp_ne_u32_e32 vcc, 0, v154
	s_nop 1
	v_cndmask_b32_e32 v154, 18, v154, vcc
; %bb.361:
	s_andn2_saveexec_b64 s[0:1], s[0:1]
	s_cbranch_execz .LBB68_367
; %bb.362:
	v_cmp_ngt_f64_e64 s[16:17], |v[140:141]|, |v[142:143]|
	s_and_saveexec_b64 s[18:19], s[16:17]
	s_xor_b64 s[16:17], exec, s[18:19]
	s_cbranch_execz .LBB68_364
; %bb.363:
	v_div_scale_f64 v[156:157], s[18:19], v[142:143], v[142:143], v[140:141]
	v_rcp_f64_e32 v[158:159], v[156:157]
	v_div_scale_f64 v[160:161], vcc, v[140:141], v[142:143], v[140:141]
	v_fma_f64 v[162:163], -v[156:157], v[158:159], 1.0
	v_fmac_f64_e32 v[158:159], v[158:159], v[162:163]
	v_fma_f64 v[162:163], -v[156:157], v[158:159], 1.0
	v_fmac_f64_e32 v[158:159], v[158:159], v[162:163]
	v_mul_f64 v[162:163], v[160:161], v[158:159]
	v_fma_f64 v[156:157], -v[156:157], v[162:163], v[160:161]
	v_div_fmas_f64 v[156:157], v[156:157], v[158:159], v[162:163]
	v_div_fixup_f64 v[156:157], v[156:157], v[142:143], v[140:141]
	v_fmac_f64_e32 v[142:143], v[140:141], v[156:157]
	v_div_scale_f64 v[140:141], s[18:19], v[142:143], v[142:143], 1.0
	v_rcp_f64_e32 v[158:159], v[140:141]
	s_nop 0
	v_fma_f64 v[160:161], -v[140:141], v[158:159], 1.0
	v_fmac_f64_e32 v[158:159], v[158:159], v[160:161]
	v_fma_f64 v[160:161], -v[140:141], v[158:159], 1.0
	v_fmac_f64_e32 v[158:159], v[158:159], v[160:161]
	v_div_scale_f64 v[160:161], vcc, 1.0, v[142:143], 1.0
	v_mul_f64 v[162:163], v[160:161], v[158:159]
	v_fma_f64 v[140:141], -v[140:141], v[162:163], v[160:161]
	s_nop 1
	v_div_fmas_f64 v[140:141], v[140:141], v[158:159], v[162:163]
	v_div_fixup_f64 v[142:143], v[140:141], v[142:143], 1.0
	v_mul_f64 v[140:141], v[156:157], v[142:143]
	v_xor_b32_e32 v143, 0x80000000, v143
.LBB68_364:
	s_andn2_saveexec_b64 s[16:17], s[16:17]
	s_cbranch_execz .LBB68_366
; %bb.365:
	v_div_scale_f64 v[156:157], s[18:19], v[140:141], v[140:141], v[142:143]
	v_rcp_f64_e32 v[158:159], v[156:157]
	v_div_scale_f64 v[160:161], vcc, v[142:143], v[140:141], v[142:143]
	v_fma_f64 v[162:163], -v[156:157], v[158:159], 1.0
	v_fmac_f64_e32 v[158:159], v[158:159], v[162:163]
	v_fma_f64 v[162:163], -v[156:157], v[158:159], 1.0
	v_fmac_f64_e32 v[158:159], v[158:159], v[162:163]
	v_mul_f64 v[162:163], v[160:161], v[158:159]
	v_fma_f64 v[156:157], -v[156:157], v[162:163], v[160:161]
	v_div_fmas_f64 v[156:157], v[156:157], v[158:159], v[162:163]
	v_div_fixup_f64 v[156:157], v[156:157], v[140:141], v[142:143]
	v_fmac_f64_e32 v[140:141], v[142:143], v[156:157]
	v_div_scale_f64 v[142:143], s[18:19], v[140:141], v[140:141], 1.0
	v_rcp_f64_e32 v[158:159], v[142:143]
	s_nop 0
	v_fma_f64 v[160:161], -v[142:143], v[158:159], 1.0
	v_fmac_f64_e32 v[158:159], v[158:159], v[160:161]
	v_fma_f64 v[160:161], -v[142:143], v[158:159], 1.0
	v_fmac_f64_e32 v[158:159], v[158:159], v[160:161]
	v_div_scale_f64 v[160:161], vcc, 1.0, v[140:141], 1.0
	v_mul_f64 v[162:163], v[160:161], v[158:159]
	v_fma_f64 v[142:143], -v[142:143], v[162:163], v[160:161]
	s_nop 1
	v_div_fmas_f64 v[142:143], v[142:143], v[158:159], v[162:163]
	v_div_fixup_f64 v[140:141], v[142:143], v[140:141], 1.0
	v_mul_f64 v[142:143], v[156:157], -v[140:141]
.LBB68_366:
	s_or_b64 exec, exec, s[16:17]
.LBB68_367:
	s_or_b64 exec, exec, s[0:1]
	v_cmp_ne_u32_e32 vcc, v153, v150
	s_and_saveexec_b64 s[0:1], vcc
	s_xor_b64 s[0:1], exec, s[0:1]
	s_cbranch_execz .LBB68_373
; %bb.368:
	v_cmp_eq_u32_e32 vcc, 17, v153
	s_and_saveexec_b64 s[16:17], vcc
	s_cbranch_execz .LBB68_372
; %bb.369:
	v_cmp_ne_u32_e32 vcc, 17, v150
	s_xor_b64 s[18:19], s[14:15], -1
	s_and_b64 s[22:23], s[18:19], vcc
	s_and_saveexec_b64 s[18:19], s[22:23]
	s_cbranch_execz .LBB68_371
; %bb.370:
	v_ashrrev_i32_e32 v151, 31, v150
	v_lshl_add_u64 v[156:157], v[150:151], 2, v[148:149]
	global_load_dword v151, v[156:157], off
	global_load_dword v153, v[148:149], off offset:68
	s_waitcnt vmcnt(1)
	global_store_dword v[148:149], v151, off offset:68
	s_waitcnt vmcnt(1)
	global_store_dword v[156:157], v153, off
.LBB68_371:
	s_or_b64 exec, exec, s[18:19]
	v_mov_b32_e32 v153, v150
	v_mov_b32_e32 v155, v150
.LBB68_372:
	s_or_b64 exec, exec, s[16:17]
.LBB68_373:
	s_andn2_saveexec_b64 s[0:1], s[0:1]
	s_cbranch_execz .LBB68_375
; %bb.374:
	v_mov_b32_e32 v153, 17
	s_waitcnt vmcnt(16)
	ds_write2_b64 v152, v[60:61], v[62:63] offset0:36 offset1:37
	s_waitcnt vmcnt(15)
	ds_write2_b64 v152, v[56:57], v[58:59] offset0:38 offset1:39
	;; [unrolled: 2-line block ×17, first 2 shown]
.LBB68_375:
	s_or_b64 exec, exec, s[0:1]
	v_cmp_lt_i32_e32 vcc, 17, v153
	s_waitcnt lgkmcnt(0)
	s_barrier
	s_and_saveexec_b64 s[0:1], vcc
	s_cbranch_execz .LBB68_377
; %bb.376:
	ds_read2_b64 v[156:159], v152 offset0:36 offset1:37
	v_mul_f64 v[150:151], v[142:143], v[66:67]
	v_mul_f64 v[66:67], v[140:141], v[66:67]
	v_fmac_f64_e32 v[66:67], v[142:143], v[64:65]
	v_fma_f64 v[150:151], v[140:141], v[64:65], -v[150:151]
	ds_read2_b64 v[140:143], v152 offset0:38 offset1:39
	s_waitcnt lgkmcnt(1)
	v_mul_f64 v[64:65], v[158:159], v[66:67]
	v_fma_f64 v[64:65], v[156:157], v[150:151], -v[64:65]
	v_mul_f64 v[156:157], v[156:157], v[66:67]
	v_fmac_f64_e32 v[156:157], v[158:159], v[150:151]
	s_waitcnt vmcnt(16)
	v_add_f64 v[62:63], v[62:63], -v[156:157]
	ds_read2_b64 v[156:159], v152 offset0:40 offset1:41
	v_add_f64 v[60:61], v[60:61], -v[64:65]
	s_waitcnt lgkmcnt(1)
	v_mul_f64 v[64:65], v[142:143], v[66:67]
	v_fma_f64 v[64:65], v[140:141], v[150:151], -v[64:65]
	v_mul_f64 v[140:141], v[140:141], v[66:67]
	v_fmac_f64_e32 v[140:141], v[142:143], v[150:151]
	s_waitcnt vmcnt(15)
	v_add_f64 v[56:57], v[56:57], -v[64:65]
	v_add_f64 v[58:59], v[58:59], -v[140:141]
	ds_read2_b64 v[140:143], v152 offset0:42 offset1:43
	s_waitcnt lgkmcnt(1)
	v_mul_f64 v[64:65], v[158:159], v[66:67]
	v_fma_f64 v[64:65], v[156:157], v[150:151], -v[64:65]
	v_mul_f64 v[156:157], v[156:157], v[66:67]
	v_fmac_f64_e32 v[156:157], v[158:159], v[150:151]
	s_waitcnt vmcnt(14)
	v_add_f64 v[54:55], v[54:55], -v[156:157]
	ds_read2_b64 v[156:159], v152 offset0:44 offset1:45
	v_add_f64 v[52:53], v[52:53], -v[64:65]
	s_waitcnt lgkmcnt(1)
	v_mul_f64 v[64:65], v[142:143], v[66:67]
	v_fma_f64 v[64:65], v[140:141], v[150:151], -v[64:65]
	v_mul_f64 v[140:141], v[140:141], v[66:67]
	v_fmac_f64_e32 v[140:141], v[142:143], v[150:151]
	s_waitcnt vmcnt(13)
	v_add_f64 v[48:49], v[48:49], -v[64:65]
	v_add_f64 v[50:51], v[50:51], -v[140:141]
	;; [unrolled: 18-line block ×8, first 2 shown]
	s_waitcnt lgkmcnt(0)
	v_mul_f64 v[64:65], v[158:159], v[66:67]
	v_mul_f64 v[140:141], v[156:157], v[66:67]
	v_fma_f64 v[64:65], v[156:157], v[150:151], -v[64:65]
	v_fmac_f64_e32 v[140:141], v[158:159], v[150:151]
	s_waitcnt vmcnt(0)
	v_add_f64 v[136:137], v[136:137], -v[64:65]
	v_add_f64 v[138:139], v[138:139], -v[140:141]
	v_mov_b64_e32 v[64:65], v[150:151]
.LBB68_377:
	s_or_b64 exec, exec, s[0:1]
	v_lshl_add_u32 v140, v153, 4, v152
	s_barrier
	s_waitcnt vmcnt(16)
	ds_write2_b64 v140, v[60:61], v[62:63] offset1:1
	s_waitcnt lgkmcnt(0)
	s_barrier
	ds_read2_b64 v[140:143], v152 offset0:36 offset1:37
	s_cmp_lt_i32 s20, 20
	v_mov_b32_e32 v150, 18
	s_cbranch_scc1 .LBB68_380
; %bb.378:
	v_add_u32_e32 v151, 0x130, v152
	s_mov_b32 s16, 19
	v_mov_b32_e32 v150, 18
.LBB68_379:                             ; =>This Inner Loop Header: Depth=1
	ds_read2_b64 v[156:159], v151 offset1:1
	s_waitcnt lgkmcnt(1)
	v_xor_b32_e32 v161, 0x80000000, v141
	v_xor_b32_e32 v163, 0x80000000, v143
	v_cmp_gt_f64_e32 vcc, 0, v[142:143]
	v_cmp_gt_f64_e64 s[0:1], 0, v[140:141]
	v_mov_b32_e32 v160, v140
	v_mov_b32_e32 v162, v142
	v_cndmask_b32_e64 v161, v141, v161, s[0:1]
	v_cndmask_b32_e32 v163, v143, v163, vcc
	v_add_f64 v[160:161], v[160:161], v[162:163]
	s_waitcnt lgkmcnt(0)
	v_xor_b32_e32 v163, 0x80000000, v157
	v_xor_b32_e32 v165, 0x80000000, v159
	v_cmp_gt_f64_e32 vcc, 0, v[158:159]
	v_cmp_gt_f64_e64 s[0:1], 0, v[156:157]
	v_mov_b32_e32 v162, v156
	v_mov_b32_e32 v164, v158
	v_cndmask_b32_e64 v163, v157, v163, s[0:1]
	v_cndmask_b32_e32 v165, v159, v165, vcc
	v_add_f64 v[162:163], v[162:163], v[164:165]
	v_mov_b32_e32 v166, s16
	s_add_i32 s16, s16, 1
	v_cmp_lt_f64_e32 vcc, v[160:161], v[162:163]
	v_add_u32_e32 v151, 16, v151
	s_cmp_lg_u32 s20, s16
	v_cndmask_b32_e32 v141, v141, v157, vcc
	v_cndmask_b32_e32 v140, v140, v156, vcc
	;; [unrolled: 1-line block ×5, first 2 shown]
	s_cbranch_scc1 .LBB68_379
.LBB68_380:
	s_waitcnt lgkmcnt(0)
	v_cmp_eq_f64_e32 vcc, 0, v[140:141]
	v_cmp_eq_f64_e64 s[0:1], 0, v[142:143]
	s_and_b64 s[0:1], vcc, s[0:1]
	s_and_saveexec_b64 s[16:17], s[0:1]
	s_xor_b64 s[0:1], exec, s[16:17]
; %bb.381:
	v_cmp_ne_u32_e32 vcc, 0, v154
	s_nop 1
	v_cndmask_b32_e32 v154, 19, v154, vcc
; %bb.382:
	s_andn2_saveexec_b64 s[0:1], s[0:1]
	s_cbranch_execz .LBB68_388
; %bb.383:
	v_cmp_ngt_f64_e64 s[16:17], |v[140:141]|, |v[142:143]|
	s_and_saveexec_b64 s[18:19], s[16:17]
	s_xor_b64 s[16:17], exec, s[18:19]
	s_cbranch_execz .LBB68_385
; %bb.384:
	v_div_scale_f64 v[156:157], s[18:19], v[142:143], v[142:143], v[140:141]
	v_rcp_f64_e32 v[158:159], v[156:157]
	v_div_scale_f64 v[160:161], vcc, v[140:141], v[142:143], v[140:141]
	v_fma_f64 v[162:163], -v[156:157], v[158:159], 1.0
	v_fmac_f64_e32 v[158:159], v[158:159], v[162:163]
	v_fma_f64 v[162:163], -v[156:157], v[158:159], 1.0
	v_fmac_f64_e32 v[158:159], v[158:159], v[162:163]
	v_mul_f64 v[162:163], v[160:161], v[158:159]
	v_fma_f64 v[156:157], -v[156:157], v[162:163], v[160:161]
	v_div_fmas_f64 v[156:157], v[156:157], v[158:159], v[162:163]
	v_div_fixup_f64 v[156:157], v[156:157], v[142:143], v[140:141]
	v_fmac_f64_e32 v[142:143], v[140:141], v[156:157]
	v_div_scale_f64 v[140:141], s[18:19], v[142:143], v[142:143], 1.0
	v_rcp_f64_e32 v[158:159], v[140:141]
	s_nop 0
	v_fma_f64 v[160:161], -v[140:141], v[158:159], 1.0
	v_fmac_f64_e32 v[158:159], v[158:159], v[160:161]
	v_fma_f64 v[160:161], -v[140:141], v[158:159], 1.0
	v_fmac_f64_e32 v[158:159], v[158:159], v[160:161]
	v_div_scale_f64 v[160:161], vcc, 1.0, v[142:143], 1.0
	v_mul_f64 v[162:163], v[160:161], v[158:159]
	v_fma_f64 v[140:141], -v[140:141], v[162:163], v[160:161]
	s_nop 1
	v_div_fmas_f64 v[140:141], v[140:141], v[158:159], v[162:163]
	v_div_fixup_f64 v[142:143], v[140:141], v[142:143], 1.0
	v_mul_f64 v[140:141], v[156:157], v[142:143]
	v_xor_b32_e32 v143, 0x80000000, v143
.LBB68_385:
	s_andn2_saveexec_b64 s[16:17], s[16:17]
	s_cbranch_execz .LBB68_387
; %bb.386:
	v_div_scale_f64 v[156:157], s[18:19], v[140:141], v[140:141], v[142:143]
	v_rcp_f64_e32 v[158:159], v[156:157]
	v_div_scale_f64 v[160:161], vcc, v[142:143], v[140:141], v[142:143]
	v_fma_f64 v[162:163], -v[156:157], v[158:159], 1.0
	v_fmac_f64_e32 v[158:159], v[158:159], v[162:163]
	v_fma_f64 v[162:163], -v[156:157], v[158:159], 1.0
	v_fmac_f64_e32 v[158:159], v[158:159], v[162:163]
	v_mul_f64 v[162:163], v[160:161], v[158:159]
	v_fma_f64 v[156:157], -v[156:157], v[162:163], v[160:161]
	v_div_fmas_f64 v[156:157], v[156:157], v[158:159], v[162:163]
	v_div_fixup_f64 v[156:157], v[156:157], v[140:141], v[142:143]
	v_fmac_f64_e32 v[140:141], v[142:143], v[156:157]
	v_div_scale_f64 v[142:143], s[18:19], v[140:141], v[140:141], 1.0
	v_rcp_f64_e32 v[158:159], v[142:143]
	s_nop 0
	v_fma_f64 v[160:161], -v[142:143], v[158:159], 1.0
	v_fmac_f64_e32 v[158:159], v[158:159], v[160:161]
	v_fma_f64 v[160:161], -v[142:143], v[158:159], 1.0
	v_fmac_f64_e32 v[158:159], v[158:159], v[160:161]
	v_div_scale_f64 v[160:161], vcc, 1.0, v[140:141], 1.0
	v_mul_f64 v[162:163], v[160:161], v[158:159]
	v_fma_f64 v[142:143], -v[142:143], v[162:163], v[160:161]
	s_nop 1
	v_div_fmas_f64 v[142:143], v[142:143], v[158:159], v[162:163]
	v_div_fixup_f64 v[140:141], v[142:143], v[140:141], 1.0
	v_mul_f64 v[142:143], v[156:157], -v[140:141]
.LBB68_387:
	s_or_b64 exec, exec, s[16:17]
.LBB68_388:
	s_or_b64 exec, exec, s[0:1]
	v_cmp_ne_u32_e32 vcc, v153, v150
	s_and_saveexec_b64 s[0:1], vcc
	s_xor_b64 s[0:1], exec, s[0:1]
	s_cbranch_execz .LBB68_394
; %bb.389:
	v_cmp_eq_u32_e32 vcc, 18, v153
	s_and_saveexec_b64 s[16:17], vcc
	s_cbranch_execz .LBB68_393
; %bb.390:
	v_cmp_ne_u32_e32 vcc, 18, v150
	s_xor_b64 s[18:19], s[14:15], -1
	s_and_b64 s[22:23], s[18:19], vcc
	s_and_saveexec_b64 s[18:19], s[22:23]
	s_cbranch_execz .LBB68_392
; %bb.391:
	v_ashrrev_i32_e32 v151, 31, v150
	v_lshl_add_u64 v[156:157], v[150:151], 2, v[148:149]
	global_load_dword v151, v[156:157], off
	global_load_dword v153, v[148:149], off offset:72
	s_waitcnt vmcnt(1)
	global_store_dword v[148:149], v151, off offset:72
	s_waitcnt vmcnt(1)
	global_store_dword v[156:157], v153, off
.LBB68_392:
	s_or_b64 exec, exec, s[18:19]
	v_mov_b32_e32 v153, v150
	v_mov_b32_e32 v155, v150
.LBB68_393:
	s_or_b64 exec, exec, s[16:17]
.LBB68_394:
	s_andn2_saveexec_b64 s[0:1], s[0:1]
	s_cbranch_execz .LBB68_396
; %bb.395:
	v_mov_b32_e32 v153, 18
	s_waitcnt vmcnt(15)
	ds_write2_b64 v152, v[56:57], v[58:59] offset0:38 offset1:39
	s_waitcnt vmcnt(14)
	ds_write2_b64 v152, v[52:53], v[54:55] offset0:40 offset1:41
	;; [unrolled: 2-line block ×16, first 2 shown]
.LBB68_396:
	s_or_b64 exec, exec, s[0:1]
	v_cmp_lt_i32_e32 vcc, 18, v153
	s_waitcnt lgkmcnt(0)
	s_barrier
	s_and_saveexec_b64 s[0:1], vcc
	s_cbranch_execz .LBB68_398
; %bb.397:
	ds_read2_b64 v[156:159], v152 offset0:38 offset1:39
	v_mul_f64 v[150:151], v[140:141], v[62:63]
	v_mul_f64 v[62:63], v[142:143], v[62:63]
	v_fmac_f64_e32 v[150:151], v[142:143], v[60:61]
	v_fma_f64 v[60:61], v[140:141], v[60:61], -v[62:63]
	ds_read2_b64 v[140:143], v152 offset0:40 offset1:41
	s_waitcnt lgkmcnt(1)
	v_mul_f64 v[62:63], v[158:159], v[150:151]
	v_fma_f64 v[62:63], v[156:157], v[60:61], -v[62:63]
	v_mul_f64 v[156:157], v[156:157], v[150:151]
	v_fmac_f64_e32 v[156:157], v[158:159], v[60:61]
	s_waitcnt vmcnt(15)
	v_add_f64 v[56:57], v[56:57], -v[62:63]
	s_waitcnt lgkmcnt(0)
	v_mul_f64 v[62:63], v[142:143], v[150:151]
	v_add_f64 v[58:59], v[58:59], -v[156:157]
	v_fma_f64 v[62:63], v[140:141], v[60:61], -v[62:63]
	v_mul_f64 v[140:141], v[140:141], v[150:151]
	ds_read2_b64 v[156:159], v152 offset0:42 offset1:43
	v_fmac_f64_e32 v[140:141], v[142:143], v[60:61]
	s_waitcnt vmcnt(14)
	v_add_f64 v[54:55], v[54:55], -v[140:141]
	ds_read2_b64 v[140:143], v152 offset0:44 offset1:45
	v_add_f64 v[52:53], v[52:53], -v[62:63]
	s_waitcnt lgkmcnt(1)
	v_mul_f64 v[62:63], v[158:159], v[150:151]
	v_fma_f64 v[62:63], v[156:157], v[60:61], -v[62:63]
	v_mul_f64 v[156:157], v[156:157], v[150:151]
	v_fmac_f64_e32 v[156:157], v[158:159], v[60:61]
	s_waitcnt vmcnt(13)
	v_add_f64 v[48:49], v[48:49], -v[62:63]
	s_waitcnt lgkmcnt(0)
	v_mul_f64 v[62:63], v[142:143], v[150:151]
	v_add_f64 v[50:51], v[50:51], -v[156:157]
	v_fma_f64 v[62:63], v[140:141], v[60:61], -v[62:63]
	v_mul_f64 v[140:141], v[140:141], v[150:151]
	ds_read2_b64 v[156:159], v152 offset0:46 offset1:47
	v_fmac_f64_e32 v[140:141], v[142:143], v[60:61]
	s_waitcnt vmcnt(12)
	v_add_f64 v[46:47], v[46:47], -v[140:141]
	ds_read2_b64 v[140:143], v152 offset0:48 offset1:49
	v_add_f64 v[44:45], v[44:45], -v[62:63]
	;; [unrolled: 18-line block ×7, first 2 shown]
	s_waitcnt lgkmcnt(1)
	v_mul_f64 v[62:63], v[158:159], v[150:151]
	v_fma_f64 v[62:63], v[156:157], v[60:61], -v[62:63]
	s_waitcnt vmcnt(1)
	v_add_f64 v[0:1], v[0:1], -v[62:63]
	s_waitcnt lgkmcnt(0)
	v_mul_f64 v[62:63], v[142:143], v[150:151]
	v_mul_f64 v[156:157], v[156:157], v[150:151]
	v_fma_f64 v[62:63], v[140:141], v[60:61], -v[62:63]
	v_mul_f64 v[140:141], v[140:141], v[150:151]
	v_fmac_f64_e32 v[156:157], v[158:159], v[60:61]
	v_fmac_f64_e32 v[140:141], v[142:143], v[60:61]
	v_add_f64 v[2:3], v[2:3], -v[156:157]
	s_waitcnt vmcnt(0)
	v_add_f64 v[136:137], v[136:137], -v[62:63]
	v_add_f64 v[138:139], v[138:139], -v[140:141]
	v_mov_b64_e32 v[62:63], v[150:151]
.LBB68_398:
	s_or_b64 exec, exec, s[0:1]
	v_lshl_add_u32 v140, v153, 4, v152
	s_barrier
	s_waitcnt vmcnt(15)
	ds_write2_b64 v140, v[56:57], v[58:59] offset1:1
	s_waitcnt lgkmcnt(0)
	s_barrier
	ds_read2_b64 v[140:143], v152 offset0:38 offset1:39
	s_cmp_lt_i32 s20, 21
	v_mov_b32_e32 v150, 19
	s_cbranch_scc1 .LBB68_401
; %bb.399:
	v_add_u32_e32 v151, 0x140, v152
	s_mov_b32 s16, 20
	v_mov_b32_e32 v150, 19
.LBB68_400:                             ; =>This Inner Loop Header: Depth=1
	ds_read2_b64 v[156:159], v151 offset1:1
	s_waitcnt lgkmcnt(1)
	v_xor_b32_e32 v161, 0x80000000, v141
	v_xor_b32_e32 v163, 0x80000000, v143
	v_cmp_gt_f64_e32 vcc, 0, v[142:143]
	v_cmp_gt_f64_e64 s[0:1], 0, v[140:141]
	v_mov_b32_e32 v160, v140
	v_mov_b32_e32 v162, v142
	v_cndmask_b32_e64 v161, v141, v161, s[0:1]
	v_cndmask_b32_e32 v163, v143, v163, vcc
	v_add_f64 v[160:161], v[160:161], v[162:163]
	s_waitcnt lgkmcnt(0)
	v_xor_b32_e32 v163, 0x80000000, v157
	v_xor_b32_e32 v165, 0x80000000, v159
	v_cmp_gt_f64_e32 vcc, 0, v[158:159]
	v_cmp_gt_f64_e64 s[0:1], 0, v[156:157]
	v_mov_b32_e32 v162, v156
	v_mov_b32_e32 v164, v158
	v_cndmask_b32_e64 v163, v157, v163, s[0:1]
	v_cndmask_b32_e32 v165, v159, v165, vcc
	v_add_f64 v[162:163], v[162:163], v[164:165]
	v_mov_b32_e32 v166, s16
	s_add_i32 s16, s16, 1
	v_cmp_lt_f64_e32 vcc, v[160:161], v[162:163]
	v_add_u32_e32 v151, 16, v151
	s_cmp_lg_u32 s20, s16
	v_cndmask_b32_e32 v141, v141, v157, vcc
	v_cndmask_b32_e32 v140, v140, v156, vcc
	;; [unrolled: 1-line block ×5, first 2 shown]
	s_cbranch_scc1 .LBB68_400
.LBB68_401:
	s_waitcnt lgkmcnt(0)
	v_cmp_eq_f64_e32 vcc, 0, v[140:141]
	v_cmp_eq_f64_e64 s[0:1], 0, v[142:143]
	s_and_b64 s[0:1], vcc, s[0:1]
	s_and_saveexec_b64 s[16:17], s[0:1]
	s_xor_b64 s[0:1], exec, s[16:17]
; %bb.402:
	v_cmp_ne_u32_e32 vcc, 0, v154
	s_nop 1
	v_cndmask_b32_e32 v154, 20, v154, vcc
; %bb.403:
	s_andn2_saveexec_b64 s[0:1], s[0:1]
	s_cbranch_execz .LBB68_409
; %bb.404:
	v_cmp_ngt_f64_e64 s[16:17], |v[140:141]|, |v[142:143]|
	s_and_saveexec_b64 s[18:19], s[16:17]
	s_xor_b64 s[16:17], exec, s[18:19]
	s_cbranch_execz .LBB68_406
; %bb.405:
	v_div_scale_f64 v[156:157], s[18:19], v[142:143], v[142:143], v[140:141]
	v_rcp_f64_e32 v[158:159], v[156:157]
	v_div_scale_f64 v[160:161], vcc, v[140:141], v[142:143], v[140:141]
	v_fma_f64 v[162:163], -v[156:157], v[158:159], 1.0
	v_fmac_f64_e32 v[158:159], v[158:159], v[162:163]
	v_fma_f64 v[162:163], -v[156:157], v[158:159], 1.0
	v_fmac_f64_e32 v[158:159], v[158:159], v[162:163]
	v_mul_f64 v[162:163], v[160:161], v[158:159]
	v_fma_f64 v[156:157], -v[156:157], v[162:163], v[160:161]
	v_div_fmas_f64 v[156:157], v[156:157], v[158:159], v[162:163]
	v_div_fixup_f64 v[156:157], v[156:157], v[142:143], v[140:141]
	v_fmac_f64_e32 v[142:143], v[140:141], v[156:157]
	v_div_scale_f64 v[140:141], s[18:19], v[142:143], v[142:143], 1.0
	v_rcp_f64_e32 v[158:159], v[140:141]
	s_nop 0
	v_fma_f64 v[160:161], -v[140:141], v[158:159], 1.0
	v_fmac_f64_e32 v[158:159], v[158:159], v[160:161]
	v_fma_f64 v[160:161], -v[140:141], v[158:159], 1.0
	v_fmac_f64_e32 v[158:159], v[158:159], v[160:161]
	v_div_scale_f64 v[160:161], vcc, 1.0, v[142:143], 1.0
	v_mul_f64 v[162:163], v[160:161], v[158:159]
	v_fma_f64 v[140:141], -v[140:141], v[162:163], v[160:161]
	s_nop 1
	v_div_fmas_f64 v[140:141], v[140:141], v[158:159], v[162:163]
	v_div_fixup_f64 v[142:143], v[140:141], v[142:143], 1.0
	v_mul_f64 v[140:141], v[156:157], v[142:143]
	v_xor_b32_e32 v143, 0x80000000, v143
.LBB68_406:
	s_andn2_saveexec_b64 s[16:17], s[16:17]
	s_cbranch_execz .LBB68_408
; %bb.407:
	v_div_scale_f64 v[156:157], s[18:19], v[140:141], v[140:141], v[142:143]
	v_rcp_f64_e32 v[158:159], v[156:157]
	v_div_scale_f64 v[160:161], vcc, v[142:143], v[140:141], v[142:143]
	v_fma_f64 v[162:163], -v[156:157], v[158:159], 1.0
	v_fmac_f64_e32 v[158:159], v[158:159], v[162:163]
	v_fma_f64 v[162:163], -v[156:157], v[158:159], 1.0
	v_fmac_f64_e32 v[158:159], v[158:159], v[162:163]
	v_mul_f64 v[162:163], v[160:161], v[158:159]
	v_fma_f64 v[156:157], -v[156:157], v[162:163], v[160:161]
	v_div_fmas_f64 v[156:157], v[156:157], v[158:159], v[162:163]
	v_div_fixup_f64 v[156:157], v[156:157], v[140:141], v[142:143]
	v_fmac_f64_e32 v[140:141], v[142:143], v[156:157]
	v_div_scale_f64 v[142:143], s[18:19], v[140:141], v[140:141], 1.0
	v_rcp_f64_e32 v[158:159], v[142:143]
	s_nop 0
	v_fma_f64 v[160:161], -v[142:143], v[158:159], 1.0
	v_fmac_f64_e32 v[158:159], v[158:159], v[160:161]
	v_fma_f64 v[160:161], -v[142:143], v[158:159], 1.0
	v_fmac_f64_e32 v[158:159], v[158:159], v[160:161]
	v_div_scale_f64 v[160:161], vcc, 1.0, v[140:141], 1.0
	v_mul_f64 v[162:163], v[160:161], v[158:159]
	v_fma_f64 v[142:143], -v[142:143], v[162:163], v[160:161]
	s_nop 1
	v_div_fmas_f64 v[142:143], v[142:143], v[158:159], v[162:163]
	v_div_fixup_f64 v[140:141], v[142:143], v[140:141], 1.0
	v_mul_f64 v[142:143], v[156:157], -v[140:141]
.LBB68_408:
	s_or_b64 exec, exec, s[16:17]
.LBB68_409:
	s_or_b64 exec, exec, s[0:1]
	v_cmp_ne_u32_e32 vcc, v153, v150
	s_and_saveexec_b64 s[0:1], vcc
	s_xor_b64 s[0:1], exec, s[0:1]
	s_cbranch_execz .LBB68_415
; %bb.410:
	v_cmp_eq_u32_e32 vcc, 19, v153
	s_and_saveexec_b64 s[16:17], vcc
	s_cbranch_execz .LBB68_414
; %bb.411:
	v_cmp_ne_u32_e32 vcc, 19, v150
	s_xor_b64 s[18:19], s[14:15], -1
	s_and_b64 s[22:23], s[18:19], vcc
	s_and_saveexec_b64 s[18:19], s[22:23]
	s_cbranch_execz .LBB68_413
; %bb.412:
	v_ashrrev_i32_e32 v151, 31, v150
	v_lshl_add_u64 v[156:157], v[150:151], 2, v[148:149]
	global_load_dword v151, v[156:157], off
	global_load_dword v153, v[148:149], off offset:76
	s_waitcnt vmcnt(1)
	global_store_dword v[148:149], v151, off offset:76
	s_waitcnt vmcnt(1)
	global_store_dword v[156:157], v153, off
.LBB68_413:
	s_or_b64 exec, exec, s[18:19]
	v_mov_b32_e32 v153, v150
	v_mov_b32_e32 v155, v150
.LBB68_414:
	s_or_b64 exec, exec, s[16:17]
.LBB68_415:
	s_andn2_saveexec_b64 s[0:1], s[0:1]
	s_cbranch_execz .LBB68_417
; %bb.416:
	v_mov_b32_e32 v153, 19
	s_waitcnt vmcnt(14)
	ds_write2_b64 v152, v[52:53], v[54:55] offset0:40 offset1:41
	s_waitcnt vmcnt(13)
	ds_write2_b64 v152, v[48:49], v[50:51] offset0:42 offset1:43
	;; [unrolled: 2-line block ×15, first 2 shown]
.LBB68_417:
	s_or_b64 exec, exec, s[0:1]
	v_cmp_lt_i32_e32 vcc, 19, v153
	s_waitcnt lgkmcnt(0)
	s_barrier
	s_and_saveexec_b64 s[0:1], vcc
	s_cbranch_execz .LBB68_419
; %bb.418:
	ds_read2_b64 v[156:159], v152 offset0:40 offset1:41
	v_mul_f64 v[150:151], v[140:141], v[58:59]
	v_fmac_f64_e32 v[150:151], v[142:143], v[56:57]
	v_mul_f64 v[58:59], v[142:143], v[58:59]
	v_fma_f64 v[56:57], v[140:141], v[56:57], -v[58:59]
	ds_read2_b64 v[140:143], v152 offset0:42 offset1:43
	s_waitcnt lgkmcnt(1)
	v_mul_f64 v[58:59], v[158:159], v[150:151]
	v_fma_f64 v[58:59], v[156:157], v[56:57], -v[58:59]
	v_mul_f64 v[156:157], v[156:157], v[150:151]
	v_fmac_f64_e32 v[156:157], v[158:159], v[56:57]
	s_waitcnt vmcnt(14)
	v_add_f64 v[54:55], v[54:55], -v[156:157]
	ds_read2_b64 v[156:159], v152 offset0:44 offset1:45
	v_add_f64 v[52:53], v[52:53], -v[58:59]
	s_waitcnt lgkmcnt(1)
	v_mul_f64 v[58:59], v[142:143], v[150:151]
	v_fma_f64 v[58:59], v[140:141], v[56:57], -v[58:59]
	v_mul_f64 v[140:141], v[140:141], v[150:151]
	v_fmac_f64_e32 v[140:141], v[142:143], v[56:57]
	s_waitcnt vmcnt(13)
	v_add_f64 v[48:49], v[48:49], -v[58:59]
	v_add_f64 v[50:51], v[50:51], -v[140:141]
	ds_read2_b64 v[140:143], v152 offset0:46 offset1:47
	s_waitcnt lgkmcnt(1)
	v_mul_f64 v[58:59], v[158:159], v[150:151]
	v_fma_f64 v[58:59], v[156:157], v[56:57], -v[58:59]
	v_mul_f64 v[156:157], v[156:157], v[150:151]
	v_fmac_f64_e32 v[156:157], v[158:159], v[56:57]
	s_waitcnt vmcnt(12)
	v_add_f64 v[46:47], v[46:47], -v[156:157]
	ds_read2_b64 v[156:159], v152 offset0:48 offset1:49
	v_add_f64 v[44:45], v[44:45], -v[58:59]
	s_waitcnt lgkmcnt(1)
	v_mul_f64 v[58:59], v[142:143], v[150:151]
	v_fma_f64 v[58:59], v[140:141], v[56:57], -v[58:59]
	v_mul_f64 v[140:141], v[140:141], v[150:151]
	v_fmac_f64_e32 v[140:141], v[142:143], v[56:57]
	s_waitcnt vmcnt(11)
	v_add_f64 v[40:41], v[40:41], -v[58:59]
	v_add_f64 v[42:43], v[42:43], -v[140:141]
	;; [unrolled: 18-line block ×7, first 2 shown]
	s_waitcnt lgkmcnt(0)
	v_mul_f64 v[58:59], v[158:159], v[150:151]
	v_mul_f64 v[140:141], v[156:157], v[150:151]
	v_fma_f64 v[58:59], v[156:157], v[56:57], -v[58:59]
	v_fmac_f64_e32 v[140:141], v[158:159], v[56:57]
	s_waitcnt vmcnt(0)
	v_add_f64 v[136:137], v[136:137], -v[58:59]
	v_add_f64 v[138:139], v[138:139], -v[140:141]
	v_mov_b64_e32 v[58:59], v[150:151]
.LBB68_419:
	s_or_b64 exec, exec, s[0:1]
	v_lshl_add_u32 v140, v153, 4, v152
	s_barrier
	s_waitcnt vmcnt(14)
	ds_write2_b64 v140, v[52:53], v[54:55] offset1:1
	s_waitcnt lgkmcnt(0)
	s_barrier
	ds_read2_b64 v[140:143], v152 offset0:40 offset1:41
	s_cmp_lt_i32 s20, 22
	v_mov_b32_e32 v150, 20
	s_cbranch_scc1 .LBB68_422
; %bb.420:
	v_add_u32_e32 v151, 0x150, v152
	s_mov_b32 s16, 21
	v_mov_b32_e32 v150, 20
.LBB68_421:                             ; =>This Inner Loop Header: Depth=1
	ds_read2_b64 v[156:159], v151 offset1:1
	s_waitcnt lgkmcnt(1)
	v_xor_b32_e32 v161, 0x80000000, v141
	v_xor_b32_e32 v163, 0x80000000, v143
	v_cmp_gt_f64_e32 vcc, 0, v[142:143]
	v_cmp_gt_f64_e64 s[0:1], 0, v[140:141]
	v_mov_b32_e32 v160, v140
	v_mov_b32_e32 v162, v142
	v_cndmask_b32_e64 v161, v141, v161, s[0:1]
	v_cndmask_b32_e32 v163, v143, v163, vcc
	v_add_f64 v[160:161], v[160:161], v[162:163]
	s_waitcnt lgkmcnt(0)
	v_xor_b32_e32 v163, 0x80000000, v157
	v_xor_b32_e32 v165, 0x80000000, v159
	v_cmp_gt_f64_e32 vcc, 0, v[158:159]
	v_cmp_gt_f64_e64 s[0:1], 0, v[156:157]
	v_mov_b32_e32 v162, v156
	v_mov_b32_e32 v164, v158
	v_cndmask_b32_e64 v163, v157, v163, s[0:1]
	v_cndmask_b32_e32 v165, v159, v165, vcc
	v_add_f64 v[162:163], v[162:163], v[164:165]
	v_mov_b32_e32 v166, s16
	s_add_i32 s16, s16, 1
	v_cmp_lt_f64_e32 vcc, v[160:161], v[162:163]
	v_add_u32_e32 v151, 16, v151
	s_cmp_lg_u32 s20, s16
	v_cndmask_b32_e32 v141, v141, v157, vcc
	v_cndmask_b32_e32 v140, v140, v156, vcc
	;; [unrolled: 1-line block ×5, first 2 shown]
	s_cbranch_scc1 .LBB68_421
.LBB68_422:
	s_waitcnt lgkmcnt(0)
	v_cmp_eq_f64_e32 vcc, 0, v[140:141]
	v_cmp_eq_f64_e64 s[0:1], 0, v[142:143]
	s_and_b64 s[0:1], vcc, s[0:1]
	s_and_saveexec_b64 s[16:17], s[0:1]
	s_xor_b64 s[0:1], exec, s[16:17]
; %bb.423:
	v_cmp_ne_u32_e32 vcc, 0, v154
	s_nop 1
	v_cndmask_b32_e32 v154, 21, v154, vcc
; %bb.424:
	s_andn2_saveexec_b64 s[0:1], s[0:1]
	s_cbranch_execz .LBB68_430
; %bb.425:
	v_cmp_ngt_f64_e64 s[16:17], |v[140:141]|, |v[142:143]|
	s_and_saveexec_b64 s[18:19], s[16:17]
	s_xor_b64 s[16:17], exec, s[18:19]
	s_cbranch_execz .LBB68_427
; %bb.426:
	v_div_scale_f64 v[156:157], s[18:19], v[142:143], v[142:143], v[140:141]
	v_rcp_f64_e32 v[158:159], v[156:157]
	v_div_scale_f64 v[160:161], vcc, v[140:141], v[142:143], v[140:141]
	v_fma_f64 v[162:163], -v[156:157], v[158:159], 1.0
	v_fmac_f64_e32 v[158:159], v[158:159], v[162:163]
	v_fma_f64 v[162:163], -v[156:157], v[158:159], 1.0
	v_fmac_f64_e32 v[158:159], v[158:159], v[162:163]
	v_mul_f64 v[162:163], v[160:161], v[158:159]
	v_fma_f64 v[156:157], -v[156:157], v[162:163], v[160:161]
	v_div_fmas_f64 v[156:157], v[156:157], v[158:159], v[162:163]
	v_div_fixup_f64 v[156:157], v[156:157], v[142:143], v[140:141]
	v_fmac_f64_e32 v[142:143], v[140:141], v[156:157]
	v_div_scale_f64 v[140:141], s[18:19], v[142:143], v[142:143], 1.0
	v_rcp_f64_e32 v[158:159], v[140:141]
	s_nop 0
	v_fma_f64 v[160:161], -v[140:141], v[158:159], 1.0
	v_fmac_f64_e32 v[158:159], v[158:159], v[160:161]
	v_fma_f64 v[160:161], -v[140:141], v[158:159], 1.0
	v_fmac_f64_e32 v[158:159], v[158:159], v[160:161]
	v_div_scale_f64 v[160:161], vcc, 1.0, v[142:143], 1.0
	v_mul_f64 v[162:163], v[160:161], v[158:159]
	v_fma_f64 v[140:141], -v[140:141], v[162:163], v[160:161]
	s_nop 1
	v_div_fmas_f64 v[140:141], v[140:141], v[158:159], v[162:163]
	v_div_fixup_f64 v[142:143], v[140:141], v[142:143], 1.0
	v_mul_f64 v[140:141], v[156:157], v[142:143]
	v_xor_b32_e32 v143, 0x80000000, v143
.LBB68_427:
	s_andn2_saveexec_b64 s[16:17], s[16:17]
	s_cbranch_execz .LBB68_429
; %bb.428:
	v_div_scale_f64 v[156:157], s[18:19], v[140:141], v[140:141], v[142:143]
	v_rcp_f64_e32 v[158:159], v[156:157]
	v_div_scale_f64 v[160:161], vcc, v[142:143], v[140:141], v[142:143]
	v_fma_f64 v[162:163], -v[156:157], v[158:159], 1.0
	v_fmac_f64_e32 v[158:159], v[158:159], v[162:163]
	v_fma_f64 v[162:163], -v[156:157], v[158:159], 1.0
	v_fmac_f64_e32 v[158:159], v[158:159], v[162:163]
	v_mul_f64 v[162:163], v[160:161], v[158:159]
	v_fma_f64 v[156:157], -v[156:157], v[162:163], v[160:161]
	v_div_fmas_f64 v[156:157], v[156:157], v[158:159], v[162:163]
	v_div_fixup_f64 v[156:157], v[156:157], v[140:141], v[142:143]
	v_fmac_f64_e32 v[140:141], v[142:143], v[156:157]
	v_div_scale_f64 v[142:143], s[18:19], v[140:141], v[140:141], 1.0
	v_rcp_f64_e32 v[158:159], v[142:143]
	s_nop 0
	v_fma_f64 v[160:161], -v[142:143], v[158:159], 1.0
	v_fmac_f64_e32 v[158:159], v[158:159], v[160:161]
	v_fma_f64 v[160:161], -v[142:143], v[158:159], 1.0
	v_fmac_f64_e32 v[158:159], v[158:159], v[160:161]
	v_div_scale_f64 v[160:161], vcc, 1.0, v[140:141], 1.0
	v_mul_f64 v[162:163], v[160:161], v[158:159]
	v_fma_f64 v[142:143], -v[142:143], v[162:163], v[160:161]
	s_nop 1
	v_div_fmas_f64 v[142:143], v[142:143], v[158:159], v[162:163]
	v_div_fixup_f64 v[140:141], v[142:143], v[140:141], 1.0
	v_mul_f64 v[142:143], v[156:157], -v[140:141]
.LBB68_429:
	s_or_b64 exec, exec, s[16:17]
.LBB68_430:
	s_or_b64 exec, exec, s[0:1]
	v_cmp_ne_u32_e32 vcc, v153, v150
	s_and_saveexec_b64 s[0:1], vcc
	s_xor_b64 s[0:1], exec, s[0:1]
	s_cbranch_execz .LBB68_436
; %bb.431:
	v_cmp_eq_u32_e32 vcc, 20, v153
	s_and_saveexec_b64 s[16:17], vcc
	s_cbranch_execz .LBB68_435
; %bb.432:
	v_cmp_ne_u32_e32 vcc, 20, v150
	s_xor_b64 s[18:19], s[14:15], -1
	s_and_b64 s[22:23], s[18:19], vcc
	s_and_saveexec_b64 s[18:19], s[22:23]
	s_cbranch_execz .LBB68_434
; %bb.433:
	v_ashrrev_i32_e32 v151, 31, v150
	v_lshl_add_u64 v[156:157], v[150:151], 2, v[148:149]
	global_load_dword v151, v[156:157], off
	global_load_dword v153, v[148:149], off offset:80
	s_waitcnt vmcnt(1)
	global_store_dword v[148:149], v151, off offset:80
	s_waitcnt vmcnt(1)
	global_store_dword v[156:157], v153, off
.LBB68_434:
	s_or_b64 exec, exec, s[18:19]
	v_mov_b32_e32 v153, v150
	v_mov_b32_e32 v155, v150
.LBB68_435:
	s_or_b64 exec, exec, s[16:17]
.LBB68_436:
	s_andn2_saveexec_b64 s[0:1], s[0:1]
	s_cbranch_execz .LBB68_438
; %bb.437:
	v_mov_b32_e32 v153, 20
	s_waitcnt vmcnt(13)
	ds_write2_b64 v152, v[48:49], v[50:51] offset0:42 offset1:43
	s_waitcnt vmcnt(12)
	ds_write2_b64 v152, v[44:45], v[46:47] offset0:44 offset1:45
	;; [unrolled: 2-line block ×14, first 2 shown]
.LBB68_438:
	s_or_b64 exec, exec, s[0:1]
	v_cmp_lt_i32_e32 vcc, 20, v153
	s_waitcnt lgkmcnt(0)
	s_barrier
	s_and_saveexec_b64 s[0:1], vcc
	s_cbranch_execz .LBB68_440
; %bb.439:
	ds_read2_b64 v[156:159], v152 offset0:42 offset1:43
	v_mul_f64 v[150:151], v[140:141], v[54:55]
	v_mul_f64 v[54:55], v[142:143], v[54:55]
	v_fmac_f64_e32 v[150:151], v[142:143], v[52:53]
	v_fma_f64 v[52:53], v[140:141], v[52:53], -v[54:55]
	ds_read2_b64 v[140:143], v152 offset0:44 offset1:45
	s_waitcnt lgkmcnt(1)
	v_mul_f64 v[54:55], v[158:159], v[150:151]
	v_fma_f64 v[54:55], v[156:157], v[52:53], -v[54:55]
	v_mul_f64 v[156:157], v[156:157], v[150:151]
	v_fmac_f64_e32 v[156:157], v[158:159], v[52:53]
	s_waitcnt vmcnt(13)
	v_add_f64 v[48:49], v[48:49], -v[54:55]
	s_waitcnt lgkmcnt(0)
	v_mul_f64 v[54:55], v[142:143], v[150:151]
	v_add_f64 v[50:51], v[50:51], -v[156:157]
	v_fma_f64 v[54:55], v[140:141], v[52:53], -v[54:55]
	v_mul_f64 v[140:141], v[140:141], v[150:151]
	ds_read2_b64 v[156:159], v152 offset0:46 offset1:47
	v_fmac_f64_e32 v[140:141], v[142:143], v[52:53]
	s_waitcnt vmcnt(12)
	v_add_f64 v[46:47], v[46:47], -v[140:141]
	ds_read2_b64 v[140:143], v152 offset0:48 offset1:49
	v_add_f64 v[44:45], v[44:45], -v[54:55]
	s_waitcnt lgkmcnt(1)
	v_mul_f64 v[54:55], v[158:159], v[150:151]
	v_fma_f64 v[54:55], v[156:157], v[52:53], -v[54:55]
	v_mul_f64 v[156:157], v[156:157], v[150:151]
	v_fmac_f64_e32 v[156:157], v[158:159], v[52:53]
	s_waitcnt vmcnt(11)
	v_add_f64 v[40:41], v[40:41], -v[54:55]
	s_waitcnt lgkmcnt(0)
	v_mul_f64 v[54:55], v[142:143], v[150:151]
	v_add_f64 v[42:43], v[42:43], -v[156:157]
	v_fma_f64 v[54:55], v[140:141], v[52:53], -v[54:55]
	v_mul_f64 v[140:141], v[140:141], v[150:151]
	ds_read2_b64 v[156:159], v152 offset0:50 offset1:51
	v_fmac_f64_e32 v[140:141], v[142:143], v[52:53]
	s_waitcnt vmcnt(10)
	v_add_f64 v[38:39], v[38:39], -v[140:141]
	ds_read2_b64 v[140:143], v152 offset0:52 offset1:53
	v_add_f64 v[36:37], v[36:37], -v[54:55]
	;; [unrolled: 18-line block ×6, first 2 shown]
	s_waitcnt lgkmcnt(1)
	v_mul_f64 v[54:55], v[158:159], v[150:151]
	v_fma_f64 v[54:55], v[156:157], v[52:53], -v[54:55]
	s_waitcnt vmcnt(1)
	v_add_f64 v[0:1], v[0:1], -v[54:55]
	s_waitcnt lgkmcnt(0)
	v_mul_f64 v[54:55], v[142:143], v[150:151]
	v_mul_f64 v[156:157], v[156:157], v[150:151]
	v_fma_f64 v[54:55], v[140:141], v[52:53], -v[54:55]
	v_mul_f64 v[140:141], v[140:141], v[150:151]
	v_fmac_f64_e32 v[156:157], v[158:159], v[52:53]
	v_fmac_f64_e32 v[140:141], v[142:143], v[52:53]
	v_add_f64 v[2:3], v[2:3], -v[156:157]
	s_waitcnt vmcnt(0)
	v_add_f64 v[136:137], v[136:137], -v[54:55]
	v_add_f64 v[138:139], v[138:139], -v[140:141]
	v_mov_b64_e32 v[54:55], v[150:151]
.LBB68_440:
	s_or_b64 exec, exec, s[0:1]
	v_lshl_add_u32 v140, v153, 4, v152
	s_barrier
	s_waitcnt vmcnt(13)
	ds_write2_b64 v140, v[48:49], v[50:51] offset1:1
	s_waitcnt lgkmcnt(0)
	s_barrier
	ds_read2_b64 v[140:143], v152 offset0:42 offset1:43
	s_cmp_lt_i32 s20, 23
	v_mov_b32_e32 v150, 21
	s_cbranch_scc1 .LBB68_443
; %bb.441:
	v_add_u32_e32 v151, 0x160, v152
	s_mov_b32 s16, 22
	v_mov_b32_e32 v150, 21
.LBB68_442:                             ; =>This Inner Loop Header: Depth=1
	ds_read2_b64 v[156:159], v151 offset1:1
	s_waitcnt lgkmcnt(1)
	v_xor_b32_e32 v161, 0x80000000, v141
	v_xor_b32_e32 v163, 0x80000000, v143
	v_cmp_gt_f64_e32 vcc, 0, v[142:143]
	v_cmp_gt_f64_e64 s[0:1], 0, v[140:141]
	v_mov_b32_e32 v160, v140
	v_mov_b32_e32 v162, v142
	v_cndmask_b32_e64 v161, v141, v161, s[0:1]
	v_cndmask_b32_e32 v163, v143, v163, vcc
	v_add_f64 v[160:161], v[160:161], v[162:163]
	s_waitcnt lgkmcnt(0)
	v_xor_b32_e32 v163, 0x80000000, v157
	v_xor_b32_e32 v165, 0x80000000, v159
	v_cmp_gt_f64_e32 vcc, 0, v[158:159]
	v_cmp_gt_f64_e64 s[0:1], 0, v[156:157]
	v_mov_b32_e32 v162, v156
	v_mov_b32_e32 v164, v158
	v_cndmask_b32_e64 v163, v157, v163, s[0:1]
	v_cndmask_b32_e32 v165, v159, v165, vcc
	v_add_f64 v[162:163], v[162:163], v[164:165]
	v_mov_b32_e32 v166, s16
	s_add_i32 s16, s16, 1
	v_cmp_lt_f64_e32 vcc, v[160:161], v[162:163]
	v_add_u32_e32 v151, 16, v151
	s_cmp_lg_u32 s20, s16
	v_cndmask_b32_e32 v141, v141, v157, vcc
	v_cndmask_b32_e32 v140, v140, v156, vcc
	;; [unrolled: 1-line block ×5, first 2 shown]
	s_cbranch_scc1 .LBB68_442
.LBB68_443:
	s_waitcnt lgkmcnt(0)
	v_cmp_eq_f64_e32 vcc, 0, v[140:141]
	v_cmp_eq_f64_e64 s[0:1], 0, v[142:143]
	s_and_b64 s[0:1], vcc, s[0:1]
	s_and_saveexec_b64 s[16:17], s[0:1]
	s_xor_b64 s[0:1], exec, s[16:17]
; %bb.444:
	v_cmp_ne_u32_e32 vcc, 0, v154
	s_nop 1
	v_cndmask_b32_e32 v154, 22, v154, vcc
; %bb.445:
	s_andn2_saveexec_b64 s[0:1], s[0:1]
	s_cbranch_execz .LBB68_451
; %bb.446:
	v_cmp_ngt_f64_e64 s[16:17], |v[140:141]|, |v[142:143]|
	s_and_saveexec_b64 s[18:19], s[16:17]
	s_xor_b64 s[16:17], exec, s[18:19]
	s_cbranch_execz .LBB68_448
; %bb.447:
	v_div_scale_f64 v[156:157], s[18:19], v[142:143], v[142:143], v[140:141]
	v_rcp_f64_e32 v[158:159], v[156:157]
	v_div_scale_f64 v[160:161], vcc, v[140:141], v[142:143], v[140:141]
	v_fma_f64 v[162:163], -v[156:157], v[158:159], 1.0
	v_fmac_f64_e32 v[158:159], v[158:159], v[162:163]
	v_fma_f64 v[162:163], -v[156:157], v[158:159], 1.0
	v_fmac_f64_e32 v[158:159], v[158:159], v[162:163]
	v_mul_f64 v[162:163], v[160:161], v[158:159]
	v_fma_f64 v[156:157], -v[156:157], v[162:163], v[160:161]
	v_div_fmas_f64 v[156:157], v[156:157], v[158:159], v[162:163]
	v_div_fixup_f64 v[156:157], v[156:157], v[142:143], v[140:141]
	v_fmac_f64_e32 v[142:143], v[140:141], v[156:157]
	v_div_scale_f64 v[140:141], s[18:19], v[142:143], v[142:143], 1.0
	v_rcp_f64_e32 v[158:159], v[140:141]
	s_nop 0
	v_fma_f64 v[160:161], -v[140:141], v[158:159], 1.0
	v_fmac_f64_e32 v[158:159], v[158:159], v[160:161]
	v_fma_f64 v[160:161], -v[140:141], v[158:159], 1.0
	v_fmac_f64_e32 v[158:159], v[158:159], v[160:161]
	v_div_scale_f64 v[160:161], vcc, 1.0, v[142:143], 1.0
	v_mul_f64 v[162:163], v[160:161], v[158:159]
	v_fma_f64 v[140:141], -v[140:141], v[162:163], v[160:161]
	s_nop 1
	v_div_fmas_f64 v[140:141], v[140:141], v[158:159], v[162:163]
	v_div_fixup_f64 v[142:143], v[140:141], v[142:143], 1.0
	v_mul_f64 v[140:141], v[156:157], v[142:143]
	v_xor_b32_e32 v143, 0x80000000, v143
.LBB68_448:
	s_andn2_saveexec_b64 s[16:17], s[16:17]
	s_cbranch_execz .LBB68_450
; %bb.449:
	v_div_scale_f64 v[156:157], s[18:19], v[140:141], v[140:141], v[142:143]
	v_rcp_f64_e32 v[158:159], v[156:157]
	v_div_scale_f64 v[160:161], vcc, v[142:143], v[140:141], v[142:143]
	v_fma_f64 v[162:163], -v[156:157], v[158:159], 1.0
	v_fmac_f64_e32 v[158:159], v[158:159], v[162:163]
	v_fma_f64 v[162:163], -v[156:157], v[158:159], 1.0
	v_fmac_f64_e32 v[158:159], v[158:159], v[162:163]
	v_mul_f64 v[162:163], v[160:161], v[158:159]
	v_fma_f64 v[156:157], -v[156:157], v[162:163], v[160:161]
	v_div_fmas_f64 v[156:157], v[156:157], v[158:159], v[162:163]
	v_div_fixup_f64 v[156:157], v[156:157], v[140:141], v[142:143]
	v_fmac_f64_e32 v[140:141], v[142:143], v[156:157]
	v_div_scale_f64 v[142:143], s[18:19], v[140:141], v[140:141], 1.0
	v_rcp_f64_e32 v[158:159], v[142:143]
	s_nop 0
	v_fma_f64 v[160:161], -v[142:143], v[158:159], 1.0
	v_fmac_f64_e32 v[158:159], v[158:159], v[160:161]
	v_fma_f64 v[160:161], -v[142:143], v[158:159], 1.0
	v_fmac_f64_e32 v[158:159], v[158:159], v[160:161]
	v_div_scale_f64 v[160:161], vcc, 1.0, v[140:141], 1.0
	v_mul_f64 v[162:163], v[160:161], v[158:159]
	v_fma_f64 v[142:143], -v[142:143], v[162:163], v[160:161]
	s_nop 1
	v_div_fmas_f64 v[142:143], v[142:143], v[158:159], v[162:163]
	v_div_fixup_f64 v[140:141], v[142:143], v[140:141], 1.0
	v_mul_f64 v[142:143], v[156:157], -v[140:141]
.LBB68_450:
	s_or_b64 exec, exec, s[16:17]
.LBB68_451:
	s_or_b64 exec, exec, s[0:1]
	v_cmp_ne_u32_e32 vcc, v153, v150
	s_and_saveexec_b64 s[0:1], vcc
	s_xor_b64 s[0:1], exec, s[0:1]
	s_cbranch_execz .LBB68_457
; %bb.452:
	v_cmp_eq_u32_e32 vcc, 21, v153
	s_and_saveexec_b64 s[16:17], vcc
	s_cbranch_execz .LBB68_456
; %bb.453:
	v_cmp_ne_u32_e32 vcc, 21, v150
	s_xor_b64 s[18:19], s[14:15], -1
	s_and_b64 s[22:23], s[18:19], vcc
	s_and_saveexec_b64 s[18:19], s[22:23]
	s_cbranch_execz .LBB68_455
; %bb.454:
	v_ashrrev_i32_e32 v151, 31, v150
	v_lshl_add_u64 v[156:157], v[150:151], 2, v[148:149]
	global_load_dword v151, v[156:157], off
	global_load_dword v153, v[148:149], off offset:84
	s_waitcnt vmcnt(1)
	global_store_dword v[148:149], v151, off offset:84
	s_waitcnt vmcnt(1)
	global_store_dword v[156:157], v153, off
.LBB68_455:
	s_or_b64 exec, exec, s[18:19]
	v_mov_b32_e32 v153, v150
	v_mov_b32_e32 v155, v150
.LBB68_456:
	s_or_b64 exec, exec, s[16:17]
.LBB68_457:
	s_andn2_saveexec_b64 s[0:1], s[0:1]
	s_cbranch_execz .LBB68_459
; %bb.458:
	v_mov_b32_e32 v153, 21
	s_waitcnt vmcnt(12)
	ds_write2_b64 v152, v[44:45], v[46:47] offset0:44 offset1:45
	s_waitcnt vmcnt(11)
	ds_write2_b64 v152, v[40:41], v[42:43] offset0:46 offset1:47
	;; [unrolled: 2-line block ×13, first 2 shown]
.LBB68_459:
	s_or_b64 exec, exec, s[0:1]
	v_cmp_lt_i32_e32 vcc, 21, v153
	s_waitcnt lgkmcnt(0)
	s_barrier
	s_and_saveexec_b64 s[0:1], vcc
	s_cbranch_execz .LBB68_461
; %bb.460:
	ds_read2_b64 v[156:159], v152 offset0:44 offset1:45
	v_mul_f64 v[150:151], v[140:141], v[50:51]
	v_fmac_f64_e32 v[150:151], v[142:143], v[48:49]
	v_mul_f64 v[50:51], v[142:143], v[50:51]
	v_fma_f64 v[48:49], v[140:141], v[48:49], -v[50:51]
	ds_read2_b64 v[140:143], v152 offset0:46 offset1:47
	s_waitcnt lgkmcnt(1)
	v_mul_f64 v[50:51], v[158:159], v[150:151]
	v_fma_f64 v[50:51], v[156:157], v[48:49], -v[50:51]
	v_mul_f64 v[156:157], v[156:157], v[150:151]
	v_fmac_f64_e32 v[156:157], v[158:159], v[48:49]
	s_waitcnt vmcnt(12)
	v_add_f64 v[46:47], v[46:47], -v[156:157]
	ds_read2_b64 v[156:159], v152 offset0:48 offset1:49
	v_add_f64 v[44:45], v[44:45], -v[50:51]
	s_waitcnt lgkmcnt(1)
	v_mul_f64 v[50:51], v[142:143], v[150:151]
	v_fma_f64 v[50:51], v[140:141], v[48:49], -v[50:51]
	v_mul_f64 v[140:141], v[140:141], v[150:151]
	v_fmac_f64_e32 v[140:141], v[142:143], v[48:49]
	s_waitcnt vmcnt(11)
	v_add_f64 v[40:41], v[40:41], -v[50:51]
	v_add_f64 v[42:43], v[42:43], -v[140:141]
	ds_read2_b64 v[140:143], v152 offset0:50 offset1:51
	s_waitcnt lgkmcnt(1)
	v_mul_f64 v[50:51], v[158:159], v[150:151]
	v_fma_f64 v[50:51], v[156:157], v[48:49], -v[50:51]
	v_mul_f64 v[156:157], v[156:157], v[150:151]
	v_fmac_f64_e32 v[156:157], v[158:159], v[48:49]
	s_waitcnt vmcnt(10)
	v_add_f64 v[38:39], v[38:39], -v[156:157]
	ds_read2_b64 v[156:159], v152 offset0:52 offset1:53
	v_add_f64 v[36:37], v[36:37], -v[50:51]
	s_waitcnt lgkmcnt(1)
	v_mul_f64 v[50:51], v[142:143], v[150:151]
	v_fma_f64 v[50:51], v[140:141], v[48:49], -v[50:51]
	v_mul_f64 v[140:141], v[140:141], v[150:151]
	v_fmac_f64_e32 v[140:141], v[142:143], v[48:49]
	s_waitcnt vmcnt(9)
	v_add_f64 v[32:33], v[32:33], -v[50:51]
	v_add_f64 v[34:35], v[34:35], -v[140:141]
	;; [unrolled: 18-line block ×6, first 2 shown]
	s_waitcnt lgkmcnt(0)
	v_mul_f64 v[50:51], v[158:159], v[150:151]
	v_mul_f64 v[140:141], v[156:157], v[150:151]
	v_fma_f64 v[50:51], v[156:157], v[48:49], -v[50:51]
	v_fmac_f64_e32 v[140:141], v[158:159], v[48:49]
	s_waitcnt vmcnt(0)
	v_add_f64 v[136:137], v[136:137], -v[50:51]
	v_add_f64 v[138:139], v[138:139], -v[140:141]
	v_mov_b64_e32 v[50:51], v[150:151]
.LBB68_461:
	s_or_b64 exec, exec, s[0:1]
	v_lshl_add_u32 v140, v153, 4, v152
	s_barrier
	s_waitcnt vmcnt(12)
	ds_write2_b64 v140, v[44:45], v[46:47] offset1:1
	s_waitcnt lgkmcnt(0)
	s_barrier
	ds_read2_b64 v[140:143], v152 offset0:44 offset1:45
	s_cmp_lt_i32 s20, 24
	v_mov_b32_e32 v150, 22
	s_cbranch_scc1 .LBB68_464
; %bb.462:
	v_add_u32_e32 v151, 0x170, v152
	s_mov_b32 s16, 23
	v_mov_b32_e32 v150, 22
.LBB68_463:                             ; =>This Inner Loop Header: Depth=1
	ds_read2_b64 v[156:159], v151 offset1:1
	s_waitcnt lgkmcnt(1)
	v_xor_b32_e32 v161, 0x80000000, v141
	v_xor_b32_e32 v163, 0x80000000, v143
	v_cmp_gt_f64_e32 vcc, 0, v[142:143]
	v_cmp_gt_f64_e64 s[0:1], 0, v[140:141]
	v_mov_b32_e32 v160, v140
	v_mov_b32_e32 v162, v142
	v_cndmask_b32_e64 v161, v141, v161, s[0:1]
	v_cndmask_b32_e32 v163, v143, v163, vcc
	v_add_f64 v[160:161], v[160:161], v[162:163]
	s_waitcnt lgkmcnt(0)
	v_xor_b32_e32 v163, 0x80000000, v157
	v_xor_b32_e32 v165, 0x80000000, v159
	v_cmp_gt_f64_e32 vcc, 0, v[158:159]
	v_cmp_gt_f64_e64 s[0:1], 0, v[156:157]
	v_mov_b32_e32 v162, v156
	v_mov_b32_e32 v164, v158
	v_cndmask_b32_e64 v163, v157, v163, s[0:1]
	v_cndmask_b32_e32 v165, v159, v165, vcc
	v_add_f64 v[162:163], v[162:163], v[164:165]
	v_mov_b32_e32 v166, s16
	s_add_i32 s16, s16, 1
	v_cmp_lt_f64_e32 vcc, v[160:161], v[162:163]
	v_add_u32_e32 v151, 16, v151
	s_cmp_lg_u32 s20, s16
	v_cndmask_b32_e32 v141, v141, v157, vcc
	v_cndmask_b32_e32 v140, v140, v156, vcc
	;; [unrolled: 1-line block ×5, first 2 shown]
	s_cbranch_scc1 .LBB68_463
.LBB68_464:
	s_waitcnt lgkmcnt(0)
	v_cmp_eq_f64_e32 vcc, 0, v[140:141]
	v_cmp_eq_f64_e64 s[0:1], 0, v[142:143]
	s_and_b64 s[0:1], vcc, s[0:1]
	s_and_saveexec_b64 s[16:17], s[0:1]
	s_xor_b64 s[0:1], exec, s[16:17]
; %bb.465:
	v_cmp_ne_u32_e32 vcc, 0, v154
	s_nop 1
	v_cndmask_b32_e32 v154, 23, v154, vcc
; %bb.466:
	s_andn2_saveexec_b64 s[0:1], s[0:1]
	s_cbranch_execz .LBB68_472
; %bb.467:
	v_cmp_ngt_f64_e64 s[16:17], |v[140:141]|, |v[142:143]|
	s_and_saveexec_b64 s[18:19], s[16:17]
	s_xor_b64 s[16:17], exec, s[18:19]
	s_cbranch_execz .LBB68_469
; %bb.468:
	v_div_scale_f64 v[156:157], s[18:19], v[142:143], v[142:143], v[140:141]
	v_rcp_f64_e32 v[158:159], v[156:157]
	v_div_scale_f64 v[160:161], vcc, v[140:141], v[142:143], v[140:141]
	v_fma_f64 v[162:163], -v[156:157], v[158:159], 1.0
	v_fmac_f64_e32 v[158:159], v[158:159], v[162:163]
	v_fma_f64 v[162:163], -v[156:157], v[158:159], 1.0
	v_fmac_f64_e32 v[158:159], v[158:159], v[162:163]
	v_mul_f64 v[162:163], v[160:161], v[158:159]
	v_fma_f64 v[156:157], -v[156:157], v[162:163], v[160:161]
	v_div_fmas_f64 v[156:157], v[156:157], v[158:159], v[162:163]
	v_div_fixup_f64 v[156:157], v[156:157], v[142:143], v[140:141]
	v_fmac_f64_e32 v[142:143], v[140:141], v[156:157]
	v_div_scale_f64 v[140:141], s[18:19], v[142:143], v[142:143], 1.0
	v_rcp_f64_e32 v[158:159], v[140:141]
	s_nop 0
	v_fma_f64 v[160:161], -v[140:141], v[158:159], 1.0
	v_fmac_f64_e32 v[158:159], v[158:159], v[160:161]
	v_fma_f64 v[160:161], -v[140:141], v[158:159], 1.0
	v_fmac_f64_e32 v[158:159], v[158:159], v[160:161]
	v_div_scale_f64 v[160:161], vcc, 1.0, v[142:143], 1.0
	v_mul_f64 v[162:163], v[160:161], v[158:159]
	v_fma_f64 v[140:141], -v[140:141], v[162:163], v[160:161]
	s_nop 1
	v_div_fmas_f64 v[140:141], v[140:141], v[158:159], v[162:163]
	v_div_fixup_f64 v[142:143], v[140:141], v[142:143], 1.0
	v_mul_f64 v[140:141], v[156:157], v[142:143]
	v_xor_b32_e32 v143, 0x80000000, v143
.LBB68_469:
	s_andn2_saveexec_b64 s[16:17], s[16:17]
	s_cbranch_execz .LBB68_471
; %bb.470:
	v_div_scale_f64 v[156:157], s[18:19], v[140:141], v[140:141], v[142:143]
	v_rcp_f64_e32 v[158:159], v[156:157]
	v_div_scale_f64 v[160:161], vcc, v[142:143], v[140:141], v[142:143]
	v_fma_f64 v[162:163], -v[156:157], v[158:159], 1.0
	v_fmac_f64_e32 v[158:159], v[158:159], v[162:163]
	v_fma_f64 v[162:163], -v[156:157], v[158:159], 1.0
	v_fmac_f64_e32 v[158:159], v[158:159], v[162:163]
	v_mul_f64 v[162:163], v[160:161], v[158:159]
	v_fma_f64 v[156:157], -v[156:157], v[162:163], v[160:161]
	v_div_fmas_f64 v[156:157], v[156:157], v[158:159], v[162:163]
	v_div_fixup_f64 v[156:157], v[156:157], v[140:141], v[142:143]
	v_fmac_f64_e32 v[140:141], v[142:143], v[156:157]
	v_div_scale_f64 v[142:143], s[18:19], v[140:141], v[140:141], 1.0
	v_rcp_f64_e32 v[158:159], v[142:143]
	s_nop 0
	v_fma_f64 v[160:161], -v[142:143], v[158:159], 1.0
	v_fmac_f64_e32 v[158:159], v[158:159], v[160:161]
	v_fma_f64 v[160:161], -v[142:143], v[158:159], 1.0
	v_fmac_f64_e32 v[158:159], v[158:159], v[160:161]
	v_div_scale_f64 v[160:161], vcc, 1.0, v[140:141], 1.0
	v_mul_f64 v[162:163], v[160:161], v[158:159]
	v_fma_f64 v[142:143], -v[142:143], v[162:163], v[160:161]
	s_nop 1
	v_div_fmas_f64 v[142:143], v[142:143], v[158:159], v[162:163]
	v_div_fixup_f64 v[140:141], v[142:143], v[140:141], 1.0
	v_mul_f64 v[142:143], v[156:157], -v[140:141]
.LBB68_471:
	s_or_b64 exec, exec, s[16:17]
.LBB68_472:
	s_or_b64 exec, exec, s[0:1]
	v_cmp_ne_u32_e32 vcc, v153, v150
	s_and_saveexec_b64 s[0:1], vcc
	s_xor_b64 s[0:1], exec, s[0:1]
	s_cbranch_execz .LBB68_478
; %bb.473:
	v_cmp_eq_u32_e32 vcc, 22, v153
	s_and_saveexec_b64 s[16:17], vcc
	s_cbranch_execz .LBB68_477
; %bb.474:
	v_cmp_ne_u32_e32 vcc, 22, v150
	s_xor_b64 s[18:19], s[14:15], -1
	s_and_b64 s[22:23], s[18:19], vcc
	s_and_saveexec_b64 s[18:19], s[22:23]
	s_cbranch_execz .LBB68_476
; %bb.475:
	v_ashrrev_i32_e32 v151, 31, v150
	v_lshl_add_u64 v[156:157], v[150:151], 2, v[148:149]
	global_load_dword v151, v[156:157], off
	global_load_dword v153, v[148:149], off offset:88
	s_waitcnt vmcnt(1)
	global_store_dword v[148:149], v151, off offset:88
	s_waitcnt vmcnt(1)
	global_store_dword v[156:157], v153, off
.LBB68_476:
	s_or_b64 exec, exec, s[18:19]
	v_mov_b32_e32 v153, v150
	v_mov_b32_e32 v155, v150
.LBB68_477:
	s_or_b64 exec, exec, s[16:17]
.LBB68_478:
	s_andn2_saveexec_b64 s[0:1], s[0:1]
	s_cbranch_execz .LBB68_480
; %bb.479:
	v_mov_b32_e32 v153, 22
	s_waitcnt vmcnt(11)
	ds_write2_b64 v152, v[40:41], v[42:43] offset0:46 offset1:47
	s_waitcnt vmcnt(10)
	ds_write2_b64 v152, v[36:37], v[38:39] offset0:48 offset1:49
	s_waitcnt vmcnt(9)
	ds_write2_b64 v152, v[32:33], v[34:35] offset0:50 offset1:51
	s_waitcnt vmcnt(8)
	ds_write2_b64 v152, v[28:29], v[30:31] offset0:52 offset1:53
	s_waitcnt vmcnt(7)
	ds_write2_b64 v152, v[24:25], v[26:27] offset0:54 offset1:55
	s_waitcnt vmcnt(6)
	ds_write2_b64 v152, v[20:21], v[22:23] offset0:56 offset1:57
	s_waitcnt vmcnt(5)
	ds_write2_b64 v152, v[16:17], v[18:19] offset0:58 offset1:59
	s_waitcnt vmcnt(4)
	ds_write2_b64 v152, v[12:13], v[14:15] offset0:60 offset1:61
	s_waitcnt vmcnt(3)
	ds_write2_b64 v152, v[8:9], v[10:11] offset0:62 offset1:63
	s_waitcnt vmcnt(2)
	ds_write2_b64 v152, v[4:5], v[6:7] offset0:64 offset1:65
	s_waitcnt vmcnt(1)
	ds_write2_b64 v152, v[0:1], v[2:3] offset0:66 offset1:67
	s_waitcnt vmcnt(0)
	ds_write2_b64 v152, v[136:137], v[138:139] offset0:68 offset1:69
.LBB68_480:
	s_or_b64 exec, exec, s[0:1]
	v_cmp_lt_i32_e32 vcc, 22, v153
	s_waitcnt lgkmcnt(0)
	s_barrier
	s_and_saveexec_b64 s[0:1], vcc
	s_cbranch_execz .LBB68_482
; %bb.481:
	ds_read2_b64 v[156:159], v152 offset0:46 offset1:47
	v_mul_f64 v[150:151], v[140:141], v[46:47]
	v_mul_f64 v[46:47], v[142:143], v[46:47]
	v_fmac_f64_e32 v[150:151], v[142:143], v[44:45]
	v_fma_f64 v[44:45], v[140:141], v[44:45], -v[46:47]
	ds_read2_b64 v[140:143], v152 offset0:48 offset1:49
	s_waitcnt lgkmcnt(1)
	v_mul_f64 v[46:47], v[158:159], v[150:151]
	v_fma_f64 v[46:47], v[156:157], v[44:45], -v[46:47]
	v_mul_f64 v[156:157], v[156:157], v[150:151]
	v_fmac_f64_e32 v[156:157], v[158:159], v[44:45]
	s_waitcnt vmcnt(11)
	v_add_f64 v[40:41], v[40:41], -v[46:47]
	s_waitcnt lgkmcnt(0)
	v_mul_f64 v[46:47], v[142:143], v[150:151]
	v_add_f64 v[42:43], v[42:43], -v[156:157]
	v_fma_f64 v[46:47], v[140:141], v[44:45], -v[46:47]
	v_mul_f64 v[140:141], v[140:141], v[150:151]
	ds_read2_b64 v[156:159], v152 offset0:50 offset1:51
	v_fmac_f64_e32 v[140:141], v[142:143], v[44:45]
	s_waitcnt vmcnt(10)
	v_add_f64 v[38:39], v[38:39], -v[140:141]
	ds_read2_b64 v[140:143], v152 offset0:52 offset1:53
	v_add_f64 v[36:37], v[36:37], -v[46:47]
	s_waitcnt lgkmcnt(1)
	v_mul_f64 v[46:47], v[158:159], v[150:151]
	v_fma_f64 v[46:47], v[156:157], v[44:45], -v[46:47]
	v_mul_f64 v[156:157], v[156:157], v[150:151]
	v_fmac_f64_e32 v[156:157], v[158:159], v[44:45]
	s_waitcnt vmcnt(9)
	v_add_f64 v[32:33], v[32:33], -v[46:47]
	s_waitcnt lgkmcnt(0)
	v_mul_f64 v[46:47], v[142:143], v[150:151]
	v_add_f64 v[34:35], v[34:35], -v[156:157]
	v_fma_f64 v[46:47], v[140:141], v[44:45], -v[46:47]
	v_mul_f64 v[140:141], v[140:141], v[150:151]
	ds_read2_b64 v[156:159], v152 offset0:54 offset1:55
	v_fmac_f64_e32 v[140:141], v[142:143], v[44:45]
	s_waitcnt vmcnt(8)
	v_add_f64 v[30:31], v[30:31], -v[140:141]
	ds_read2_b64 v[140:143], v152 offset0:56 offset1:57
	v_add_f64 v[28:29], v[28:29], -v[46:47]
	;; [unrolled: 18-line block ×5, first 2 shown]
	s_waitcnt lgkmcnt(1)
	v_mul_f64 v[46:47], v[158:159], v[150:151]
	v_fma_f64 v[46:47], v[156:157], v[44:45], -v[46:47]
	s_waitcnt vmcnt(1)
	v_add_f64 v[0:1], v[0:1], -v[46:47]
	s_waitcnt lgkmcnt(0)
	v_mul_f64 v[46:47], v[142:143], v[150:151]
	v_mul_f64 v[156:157], v[156:157], v[150:151]
	v_fma_f64 v[46:47], v[140:141], v[44:45], -v[46:47]
	v_mul_f64 v[140:141], v[140:141], v[150:151]
	v_fmac_f64_e32 v[156:157], v[158:159], v[44:45]
	v_fmac_f64_e32 v[140:141], v[142:143], v[44:45]
	v_add_f64 v[2:3], v[2:3], -v[156:157]
	s_waitcnt vmcnt(0)
	v_add_f64 v[136:137], v[136:137], -v[46:47]
	v_add_f64 v[138:139], v[138:139], -v[140:141]
	v_mov_b64_e32 v[46:47], v[150:151]
.LBB68_482:
	s_or_b64 exec, exec, s[0:1]
	v_lshl_add_u32 v140, v153, 4, v152
	s_barrier
	s_waitcnt vmcnt(11)
	ds_write2_b64 v140, v[40:41], v[42:43] offset1:1
	s_waitcnt lgkmcnt(0)
	s_barrier
	ds_read2_b64 v[140:143], v152 offset0:46 offset1:47
	s_cmp_lt_i32 s20, 25
	v_mov_b32_e32 v150, 23
	s_cbranch_scc1 .LBB68_485
; %bb.483:
	v_add_u32_e32 v151, 0x180, v152
	s_mov_b32 s16, 24
	v_mov_b32_e32 v150, 23
.LBB68_484:                             ; =>This Inner Loop Header: Depth=1
	ds_read2_b64 v[156:159], v151 offset1:1
	s_waitcnt lgkmcnt(1)
	v_xor_b32_e32 v161, 0x80000000, v141
	v_xor_b32_e32 v163, 0x80000000, v143
	v_cmp_gt_f64_e32 vcc, 0, v[142:143]
	v_cmp_gt_f64_e64 s[0:1], 0, v[140:141]
	v_mov_b32_e32 v160, v140
	v_mov_b32_e32 v162, v142
	v_cndmask_b32_e64 v161, v141, v161, s[0:1]
	v_cndmask_b32_e32 v163, v143, v163, vcc
	v_add_f64 v[160:161], v[160:161], v[162:163]
	s_waitcnt lgkmcnt(0)
	v_xor_b32_e32 v163, 0x80000000, v157
	v_xor_b32_e32 v165, 0x80000000, v159
	v_cmp_gt_f64_e32 vcc, 0, v[158:159]
	v_cmp_gt_f64_e64 s[0:1], 0, v[156:157]
	v_mov_b32_e32 v162, v156
	v_mov_b32_e32 v164, v158
	v_cndmask_b32_e64 v163, v157, v163, s[0:1]
	v_cndmask_b32_e32 v165, v159, v165, vcc
	v_add_f64 v[162:163], v[162:163], v[164:165]
	v_mov_b32_e32 v166, s16
	s_add_i32 s16, s16, 1
	v_cmp_lt_f64_e32 vcc, v[160:161], v[162:163]
	v_add_u32_e32 v151, 16, v151
	s_cmp_lg_u32 s20, s16
	v_cndmask_b32_e32 v141, v141, v157, vcc
	v_cndmask_b32_e32 v140, v140, v156, vcc
	;; [unrolled: 1-line block ×5, first 2 shown]
	s_cbranch_scc1 .LBB68_484
.LBB68_485:
	s_waitcnt lgkmcnt(0)
	v_cmp_eq_f64_e32 vcc, 0, v[140:141]
	v_cmp_eq_f64_e64 s[0:1], 0, v[142:143]
	s_and_b64 s[0:1], vcc, s[0:1]
	s_and_saveexec_b64 s[16:17], s[0:1]
	s_xor_b64 s[0:1], exec, s[16:17]
; %bb.486:
	v_cmp_ne_u32_e32 vcc, 0, v154
	s_nop 1
	v_cndmask_b32_e32 v154, 24, v154, vcc
; %bb.487:
	s_andn2_saveexec_b64 s[0:1], s[0:1]
	s_cbranch_execz .LBB68_493
; %bb.488:
	v_cmp_ngt_f64_e64 s[16:17], |v[140:141]|, |v[142:143]|
	s_and_saveexec_b64 s[18:19], s[16:17]
	s_xor_b64 s[16:17], exec, s[18:19]
	s_cbranch_execz .LBB68_490
; %bb.489:
	v_div_scale_f64 v[156:157], s[18:19], v[142:143], v[142:143], v[140:141]
	v_rcp_f64_e32 v[158:159], v[156:157]
	v_div_scale_f64 v[160:161], vcc, v[140:141], v[142:143], v[140:141]
	v_fma_f64 v[162:163], -v[156:157], v[158:159], 1.0
	v_fmac_f64_e32 v[158:159], v[158:159], v[162:163]
	v_fma_f64 v[162:163], -v[156:157], v[158:159], 1.0
	v_fmac_f64_e32 v[158:159], v[158:159], v[162:163]
	v_mul_f64 v[162:163], v[160:161], v[158:159]
	v_fma_f64 v[156:157], -v[156:157], v[162:163], v[160:161]
	v_div_fmas_f64 v[156:157], v[156:157], v[158:159], v[162:163]
	v_div_fixup_f64 v[156:157], v[156:157], v[142:143], v[140:141]
	v_fmac_f64_e32 v[142:143], v[140:141], v[156:157]
	v_div_scale_f64 v[140:141], s[18:19], v[142:143], v[142:143], 1.0
	v_rcp_f64_e32 v[158:159], v[140:141]
	s_nop 0
	v_fma_f64 v[160:161], -v[140:141], v[158:159], 1.0
	v_fmac_f64_e32 v[158:159], v[158:159], v[160:161]
	v_fma_f64 v[160:161], -v[140:141], v[158:159], 1.0
	v_fmac_f64_e32 v[158:159], v[158:159], v[160:161]
	v_div_scale_f64 v[160:161], vcc, 1.0, v[142:143], 1.0
	v_mul_f64 v[162:163], v[160:161], v[158:159]
	v_fma_f64 v[140:141], -v[140:141], v[162:163], v[160:161]
	s_nop 1
	v_div_fmas_f64 v[140:141], v[140:141], v[158:159], v[162:163]
	v_div_fixup_f64 v[142:143], v[140:141], v[142:143], 1.0
	v_mul_f64 v[140:141], v[156:157], v[142:143]
	v_xor_b32_e32 v143, 0x80000000, v143
.LBB68_490:
	s_andn2_saveexec_b64 s[16:17], s[16:17]
	s_cbranch_execz .LBB68_492
; %bb.491:
	v_div_scale_f64 v[156:157], s[18:19], v[140:141], v[140:141], v[142:143]
	v_rcp_f64_e32 v[158:159], v[156:157]
	v_div_scale_f64 v[160:161], vcc, v[142:143], v[140:141], v[142:143]
	v_fma_f64 v[162:163], -v[156:157], v[158:159], 1.0
	v_fmac_f64_e32 v[158:159], v[158:159], v[162:163]
	v_fma_f64 v[162:163], -v[156:157], v[158:159], 1.0
	v_fmac_f64_e32 v[158:159], v[158:159], v[162:163]
	v_mul_f64 v[162:163], v[160:161], v[158:159]
	v_fma_f64 v[156:157], -v[156:157], v[162:163], v[160:161]
	v_div_fmas_f64 v[156:157], v[156:157], v[158:159], v[162:163]
	v_div_fixup_f64 v[156:157], v[156:157], v[140:141], v[142:143]
	v_fmac_f64_e32 v[140:141], v[142:143], v[156:157]
	v_div_scale_f64 v[142:143], s[18:19], v[140:141], v[140:141], 1.0
	v_rcp_f64_e32 v[158:159], v[142:143]
	s_nop 0
	v_fma_f64 v[160:161], -v[142:143], v[158:159], 1.0
	v_fmac_f64_e32 v[158:159], v[158:159], v[160:161]
	v_fma_f64 v[160:161], -v[142:143], v[158:159], 1.0
	v_fmac_f64_e32 v[158:159], v[158:159], v[160:161]
	v_div_scale_f64 v[160:161], vcc, 1.0, v[140:141], 1.0
	v_mul_f64 v[162:163], v[160:161], v[158:159]
	v_fma_f64 v[142:143], -v[142:143], v[162:163], v[160:161]
	s_nop 1
	v_div_fmas_f64 v[142:143], v[142:143], v[158:159], v[162:163]
	v_div_fixup_f64 v[140:141], v[142:143], v[140:141], 1.0
	v_mul_f64 v[142:143], v[156:157], -v[140:141]
.LBB68_492:
	s_or_b64 exec, exec, s[16:17]
.LBB68_493:
	s_or_b64 exec, exec, s[0:1]
	v_cmp_ne_u32_e32 vcc, v153, v150
	s_and_saveexec_b64 s[0:1], vcc
	s_xor_b64 s[0:1], exec, s[0:1]
	s_cbranch_execz .LBB68_499
; %bb.494:
	v_cmp_eq_u32_e32 vcc, 23, v153
	s_and_saveexec_b64 s[16:17], vcc
	s_cbranch_execz .LBB68_498
; %bb.495:
	v_cmp_ne_u32_e32 vcc, 23, v150
	s_xor_b64 s[18:19], s[14:15], -1
	s_and_b64 s[22:23], s[18:19], vcc
	s_and_saveexec_b64 s[18:19], s[22:23]
	s_cbranch_execz .LBB68_497
; %bb.496:
	v_ashrrev_i32_e32 v151, 31, v150
	v_lshl_add_u64 v[156:157], v[150:151], 2, v[148:149]
	global_load_dword v151, v[156:157], off
	global_load_dword v153, v[148:149], off offset:92
	s_waitcnt vmcnt(1)
	global_store_dword v[148:149], v151, off offset:92
	s_waitcnt vmcnt(1)
	global_store_dword v[156:157], v153, off
.LBB68_497:
	s_or_b64 exec, exec, s[18:19]
	v_mov_b32_e32 v153, v150
	v_mov_b32_e32 v155, v150
.LBB68_498:
	s_or_b64 exec, exec, s[16:17]
.LBB68_499:
	s_andn2_saveexec_b64 s[0:1], s[0:1]
	s_cbranch_execz .LBB68_501
; %bb.500:
	v_mov_b32_e32 v153, 23
	s_waitcnt vmcnt(10)
	ds_write2_b64 v152, v[36:37], v[38:39] offset0:48 offset1:49
	s_waitcnt vmcnt(9)
	ds_write2_b64 v152, v[32:33], v[34:35] offset0:50 offset1:51
	;; [unrolled: 2-line block ×11, first 2 shown]
.LBB68_501:
	s_or_b64 exec, exec, s[0:1]
	v_cmp_lt_i32_e32 vcc, 23, v153
	s_waitcnt lgkmcnt(0)
	s_barrier
	s_and_saveexec_b64 s[0:1], vcc
	s_cbranch_execz .LBB68_503
; %bb.502:
	ds_read2_b64 v[156:159], v152 offset0:48 offset1:49
	v_mul_f64 v[150:151], v[140:141], v[42:43]
	v_fmac_f64_e32 v[150:151], v[142:143], v[40:41]
	v_mul_f64 v[42:43], v[142:143], v[42:43]
	v_fma_f64 v[40:41], v[140:141], v[40:41], -v[42:43]
	ds_read2_b64 v[140:143], v152 offset0:50 offset1:51
	s_waitcnt lgkmcnt(1)
	v_mul_f64 v[42:43], v[158:159], v[150:151]
	v_fma_f64 v[42:43], v[156:157], v[40:41], -v[42:43]
	v_mul_f64 v[156:157], v[156:157], v[150:151]
	v_fmac_f64_e32 v[156:157], v[158:159], v[40:41]
	s_waitcnt vmcnt(10)
	v_add_f64 v[38:39], v[38:39], -v[156:157]
	ds_read2_b64 v[156:159], v152 offset0:52 offset1:53
	v_add_f64 v[36:37], v[36:37], -v[42:43]
	s_waitcnt lgkmcnt(1)
	v_mul_f64 v[42:43], v[142:143], v[150:151]
	v_fma_f64 v[42:43], v[140:141], v[40:41], -v[42:43]
	v_mul_f64 v[140:141], v[140:141], v[150:151]
	v_fmac_f64_e32 v[140:141], v[142:143], v[40:41]
	s_waitcnt vmcnt(9)
	v_add_f64 v[32:33], v[32:33], -v[42:43]
	v_add_f64 v[34:35], v[34:35], -v[140:141]
	ds_read2_b64 v[140:143], v152 offset0:54 offset1:55
	s_waitcnt lgkmcnt(1)
	v_mul_f64 v[42:43], v[158:159], v[150:151]
	v_fma_f64 v[42:43], v[156:157], v[40:41], -v[42:43]
	v_mul_f64 v[156:157], v[156:157], v[150:151]
	v_fmac_f64_e32 v[156:157], v[158:159], v[40:41]
	s_waitcnt vmcnt(8)
	v_add_f64 v[30:31], v[30:31], -v[156:157]
	ds_read2_b64 v[156:159], v152 offset0:56 offset1:57
	v_add_f64 v[28:29], v[28:29], -v[42:43]
	s_waitcnt lgkmcnt(1)
	v_mul_f64 v[42:43], v[142:143], v[150:151]
	v_fma_f64 v[42:43], v[140:141], v[40:41], -v[42:43]
	v_mul_f64 v[140:141], v[140:141], v[150:151]
	v_fmac_f64_e32 v[140:141], v[142:143], v[40:41]
	s_waitcnt vmcnt(7)
	v_add_f64 v[24:25], v[24:25], -v[42:43]
	v_add_f64 v[26:27], v[26:27], -v[140:141]
	;; [unrolled: 18-line block ×5, first 2 shown]
	s_waitcnt lgkmcnt(0)
	v_mul_f64 v[42:43], v[158:159], v[150:151]
	v_mul_f64 v[140:141], v[156:157], v[150:151]
	v_fma_f64 v[42:43], v[156:157], v[40:41], -v[42:43]
	v_fmac_f64_e32 v[140:141], v[158:159], v[40:41]
	s_waitcnt vmcnt(0)
	v_add_f64 v[136:137], v[136:137], -v[42:43]
	v_add_f64 v[138:139], v[138:139], -v[140:141]
	v_mov_b64_e32 v[42:43], v[150:151]
.LBB68_503:
	s_or_b64 exec, exec, s[0:1]
	v_lshl_add_u32 v140, v153, 4, v152
	s_barrier
	s_waitcnt vmcnt(10)
	ds_write2_b64 v140, v[36:37], v[38:39] offset1:1
	s_waitcnt lgkmcnt(0)
	s_barrier
	ds_read2_b64 v[140:143], v152 offset0:48 offset1:49
	s_cmp_lt_i32 s20, 26
	v_mov_b32_e32 v150, 24
	s_cbranch_scc1 .LBB68_506
; %bb.504:
	v_add_u32_e32 v151, 0x190, v152
	s_mov_b32 s16, 25
	v_mov_b32_e32 v150, 24
.LBB68_505:                             ; =>This Inner Loop Header: Depth=1
	ds_read2_b64 v[156:159], v151 offset1:1
	s_waitcnt lgkmcnt(1)
	v_xor_b32_e32 v161, 0x80000000, v141
	v_xor_b32_e32 v163, 0x80000000, v143
	v_cmp_gt_f64_e32 vcc, 0, v[142:143]
	v_cmp_gt_f64_e64 s[0:1], 0, v[140:141]
	v_mov_b32_e32 v160, v140
	v_mov_b32_e32 v162, v142
	v_cndmask_b32_e64 v161, v141, v161, s[0:1]
	v_cndmask_b32_e32 v163, v143, v163, vcc
	v_add_f64 v[160:161], v[160:161], v[162:163]
	s_waitcnt lgkmcnt(0)
	v_xor_b32_e32 v163, 0x80000000, v157
	v_xor_b32_e32 v165, 0x80000000, v159
	v_cmp_gt_f64_e32 vcc, 0, v[158:159]
	v_cmp_gt_f64_e64 s[0:1], 0, v[156:157]
	v_mov_b32_e32 v162, v156
	v_mov_b32_e32 v164, v158
	v_cndmask_b32_e64 v163, v157, v163, s[0:1]
	v_cndmask_b32_e32 v165, v159, v165, vcc
	v_add_f64 v[162:163], v[162:163], v[164:165]
	v_mov_b32_e32 v166, s16
	s_add_i32 s16, s16, 1
	v_cmp_lt_f64_e32 vcc, v[160:161], v[162:163]
	v_add_u32_e32 v151, 16, v151
	s_cmp_lg_u32 s20, s16
	v_cndmask_b32_e32 v141, v141, v157, vcc
	v_cndmask_b32_e32 v140, v140, v156, vcc
	v_cndmask_b32_e32 v143, v143, v159, vcc
	v_cndmask_b32_e32 v142, v142, v158, vcc
	v_cndmask_b32_e32 v150, v150, v166, vcc
	s_cbranch_scc1 .LBB68_505
.LBB68_506:
	s_waitcnt lgkmcnt(0)
	v_cmp_eq_f64_e32 vcc, 0, v[140:141]
	v_cmp_eq_f64_e64 s[0:1], 0, v[142:143]
	s_and_b64 s[0:1], vcc, s[0:1]
	s_and_saveexec_b64 s[16:17], s[0:1]
	s_xor_b64 s[0:1], exec, s[16:17]
; %bb.507:
	v_cmp_ne_u32_e32 vcc, 0, v154
	s_nop 1
	v_cndmask_b32_e32 v154, 25, v154, vcc
; %bb.508:
	s_andn2_saveexec_b64 s[0:1], s[0:1]
	s_cbranch_execz .LBB68_514
; %bb.509:
	v_cmp_ngt_f64_e64 s[16:17], |v[140:141]|, |v[142:143]|
	s_and_saveexec_b64 s[18:19], s[16:17]
	s_xor_b64 s[16:17], exec, s[18:19]
	s_cbranch_execz .LBB68_511
; %bb.510:
	v_div_scale_f64 v[156:157], s[18:19], v[142:143], v[142:143], v[140:141]
	v_rcp_f64_e32 v[158:159], v[156:157]
	v_div_scale_f64 v[160:161], vcc, v[140:141], v[142:143], v[140:141]
	v_fma_f64 v[162:163], -v[156:157], v[158:159], 1.0
	v_fmac_f64_e32 v[158:159], v[158:159], v[162:163]
	v_fma_f64 v[162:163], -v[156:157], v[158:159], 1.0
	v_fmac_f64_e32 v[158:159], v[158:159], v[162:163]
	v_mul_f64 v[162:163], v[160:161], v[158:159]
	v_fma_f64 v[156:157], -v[156:157], v[162:163], v[160:161]
	v_div_fmas_f64 v[156:157], v[156:157], v[158:159], v[162:163]
	v_div_fixup_f64 v[156:157], v[156:157], v[142:143], v[140:141]
	v_fmac_f64_e32 v[142:143], v[140:141], v[156:157]
	v_div_scale_f64 v[140:141], s[18:19], v[142:143], v[142:143], 1.0
	v_rcp_f64_e32 v[158:159], v[140:141]
	s_nop 0
	v_fma_f64 v[160:161], -v[140:141], v[158:159], 1.0
	v_fmac_f64_e32 v[158:159], v[158:159], v[160:161]
	v_fma_f64 v[160:161], -v[140:141], v[158:159], 1.0
	v_fmac_f64_e32 v[158:159], v[158:159], v[160:161]
	v_div_scale_f64 v[160:161], vcc, 1.0, v[142:143], 1.0
	v_mul_f64 v[162:163], v[160:161], v[158:159]
	v_fma_f64 v[140:141], -v[140:141], v[162:163], v[160:161]
	s_nop 1
	v_div_fmas_f64 v[140:141], v[140:141], v[158:159], v[162:163]
	v_div_fixup_f64 v[142:143], v[140:141], v[142:143], 1.0
	v_mul_f64 v[140:141], v[156:157], v[142:143]
	v_xor_b32_e32 v143, 0x80000000, v143
.LBB68_511:
	s_andn2_saveexec_b64 s[16:17], s[16:17]
	s_cbranch_execz .LBB68_513
; %bb.512:
	v_div_scale_f64 v[156:157], s[18:19], v[140:141], v[140:141], v[142:143]
	v_rcp_f64_e32 v[158:159], v[156:157]
	v_div_scale_f64 v[160:161], vcc, v[142:143], v[140:141], v[142:143]
	v_fma_f64 v[162:163], -v[156:157], v[158:159], 1.0
	v_fmac_f64_e32 v[158:159], v[158:159], v[162:163]
	v_fma_f64 v[162:163], -v[156:157], v[158:159], 1.0
	v_fmac_f64_e32 v[158:159], v[158:159], v[162:163]
	v_mul_f64 v[162:163], v[160:161], v[158:159]
	v_fma_f64 v[156:157], -v[156:157], v[162:163], v[160:161]
	v_div_fmas_f64 v[156:157], v[156:157], v[158:159], v[162:163]
	v_div_fixup_f64 v[156:157], v[156:157], v[140:141], v[142:143]
	v_fmac_f64_e32 v[140:141], v[142:143], v[156:157]
	v_div_scale_f64 v[142:143], s[18:19], v[140:141], v[140:141], 1.0
	v_rcp_f64_e32 v[158:159], v[142:143]
	s_nop 0
	v_fma_f64 v[160:161], -v[142:143], v[158:159], 1.0
	v_fmac_f64_e32 v[158:159], v[158:159], v[160:161]
	v_fma_f64 v[160:161], -v[142:143], v[158:159], 1.0
	v_fmac_f64_e32 v[158:159], v[158:159], v[160:161]
	v_div_scale_f64 v[160:161], vcc, 1.0, v[140:141], 1.0
	v_mul_f64 v[162:163], v[160:161], v[158:159]
	v_fma_f64 v[142:143], -v[142:143], v[162:163], v[160:161]
	s_nop 1
	v_div_fmas_f64 v[142:143], v[142:143], v[158:159], v[162:163]
	v_div_fixup_f64 v[140:141], v[142:143], v[140:141], 1.0
	v_mul_f64 v[142:143], v[156:157], -v[140:141]
.LBB68_513:
	s_or_b64 exec, exec, s[16:17]
.LBB68_514:
	s_or_b64 exec, exec, s[0:1]
	v_cmp_ne_u32_e32 vcc, v153, v150
	s_and_saveexec_b64 s[0:1], vcc
	s_xor_b64 s[0:1], exec, s[0:1]
	s_cbranch_execz .LBB68_520
; %bb.515:
	v_cmp_eq_u32_e32 vcc, 24, v153
	s_and_saveexec_b64 s[16:17], vcc
	s_cbranch_execz .LBB68_519
; %bb.516:
	v_cmp_ne_u32_e32 vcc, 24, v150
	s_xor_b64 s[18:19], s[14:15], -1
	s_and_b64 s[22:23], s[18:19], vcc
	s_and_saveexec_b64 s[18:19], s[22:23]
	s_cbranch_execz .LBB68_518
; %bb.517:
	v_ashrrev_i32_e32 v151, 31, v150
	v_lshl_add_u64 v[156:157], v[150:151], 2, v[148:149]
	global_load_dword v151, v[156:157], off
	global_load_dword v153, v[148:149], off offset:96
	s_waitcnt vmcnt(1)
	global_store_dword v[148:149], v151, off offset:96
	s_waitcnt vmcnt(1)
	global_store_dword v[156:157], v153, off
.LBB68_518:
	s_or_b64 exec, exec, s[18:19]
	v_mov_b32_e32 v153, v150
	v_mov_b32_e32 v155, v150
.LBB68_519:
	s_or_b64 exec, exec, s[16:17]
.LBB68_520:
	s_andn2_saveexec_b64 s[0:1], s[0:1]
	s_cbranch_execz .LBB68_522
; %bb.521:
	v_mov_b32_e32 v153, 24
	s_waitcnt vmcnt(9)
	ds_write2_b64 v152, v[32:33], v[34:35] offset0:50 offset1:51
	s_waitcnt vmcnt(8)
	ds_write2_b64 v152, v[28:29], v[30:31] offset0:52 offset1:53
	;; [unrolled: 2-line block ×10, first 2 shown]
.LBB68_522:
	s_or_b64 exec, exec, s[0:1]
	v_cmp_lt_i32_e32 vcc, 24, v153
	s_waitcnt lgkmcnt(0)
	s_barrier
	s_and_saveexec_b64 s[0:1], vcc
	s_cbranch_execz .LBB68_524
; %bb.523:
	ds_read2_b64 v[156:159], v152 offset0:50 offset1:51
	v_mul_f64 v[150:151], v[140:141], v[38:39]
	v_mul_f64 v[38:39], v[142:143], v[38:39]
	v_fmac_f64_e32 v[150:151], v[142:143], v[36:37]
	v_fma_f64 v[36:37], v[140:141], v[36:37], -v[38:39]
	ds_read2_b64 v[140:143], v152 offset0:52 offset1:53
	s_waitcnt lgkmcnt(1)
	v_mul_f64 v[38:39], v[158:159], v[150:151]
	v_fma_f64 v[38:39], v[156:157], v[36:37], -v[38:39]
	v_mul_f64 v[156:157], v[156:157], v[150:151]
	v_fmac_f64_e32 v[156:157], v[158:159], v[36:37]
	s_waitcnt vmcnt(9)
	v_add_f64 v[32:33], v[32:33], -v[38:39]
	s_waitcnt lgkmcnt(0)
	v_mul_f64 v[38:39], v[142:143], v[150:151]
	v_add_f64 v[34:35], v[34:35], -v[156:157]
	v_fma_f64 v[38:39], v[140:141], v[36:37], -v[38:39]
	v_mul_f64 v[140:141], v[140:141], v[150:151]
	ds_read2_b64 v[156:159], v152 offset0:54 offset1:55
	v_fmac_f64_e32 v[140:141], v[142:143], v[36:37]
	s_waitcnt vmcnt(8)
	v_add_f64 v[30:31], v[30:31], -v[140:141]
	ds_read2_b64 v[140:143], v152 offset0:56 offset1:57
	v_add_f64 v[28:29], v[28:29], -v[38:39]
	s_waitcnt lgkmcnt(1)
	v_mul_f64 v[38:39], v[158:159], v[150:151]
	v_fma_f64 v[38:39], v[156:157], v[36:37], -v[38:39]
	v_mul_f64 v[156:157], v[156:157], v[150:151]
	v_fmac_f64_e32 v[156:157], v[158:159], v[36:37]
	s_waitcnt vmcnt(7)
	v_add_f64 v[24:25], v[24:25], -v[38:39]
	s_waitcnt lgkmcnt(0)
	v_mul_f64 v[38:39], v[142:143], v[150:151]
	v_add_f64 v[26:27], v[26:27], -v[156:157]
	v_fma_f64 v[38:39], v[140:141], v[36:37], -v[38:39]
	v_mul_f64 v[140:141], v[140:141], v[150:151]
	ds_read2_b64 v[156:159], v152 offset0:58 offset1:59
	v_fmac_f64_e32 v[140:141], v[142:143], v[36:37]
	s_waitcnt vmcnt(6)
	v_add_f64 v[22:23], v[22:23], -v[140:141]
	ds_read2_b64 v[140:143], v152 offset0:60 offset1:61
	v_add_f64 v[20:21], v[20:21], -v[38:39]
	;; [unrolled: 18-line block ×4, first 2 shown]
	s_waitcnt lgkmcnt(1)
	v_mul_f64 v[38:39], v[158:159], v[150:151]
	v_fma_f64 v[38:39], v[156:157], v[36:37], -v[38:39]
	s_waitcnt vmcnt(1)
	v_add_f64 v[0:1], v[0:1], -v[38:39]
	s_waitcnt lgkmcnt(0)
	v_mul_f64 v[38:39], v[142:143], v[150:151]
	v_mul_f64 v[156:157], v[156:157], v[150:151]
	v_fma_f64 v[38:39], v[140:141], v[36:37], -v[38:39]
	v_mul_f64 v[140:141], v[140:141], v[150:151]
	v_fmac_f64_e32 v[156:157], v[158:159], v[36:37]
	v_fmac_f64_e32 v[140:141], v[142:143], v[36:37]
	v_add_f64 v[2:3], v[2:3], -v[156:157]
	s_waitcnt vmcnt(0)
	v_add_f64 v[136:137], v[136:137], -v[38:39]
	v_add_f64 v[138:139], v[138:139], -v[140:141]
	v_mov_b64_e32 v[38:39], v[150:151]
.LBB68_524:
	s_or_b64 exec, exec, s[0:1]
	v_lshl_add_u32 v140, v153, 4, v152
	s_barrier
	s_waitcnt vmcnt(9)
	ds_write2_b64 v140, v[32:33], v[34:35] offset1:1
	s_waitcnt lgkmcnt(0)
	s_barrier
	ds_read2_b64 v[140:143], v152 offset0:50 offset1:51
	s_cmp_lt_i32 s20, 27
	v_mov_b32_e32 v150, 25
	s_cbranch_scc1 .LBB68_527
; %bb.525:
	v_add_u32_e32 v151, 0x1a0, v152
	s_mov_b32 s16, 26
	v_mov_b32_e32 v150, 25
.LBB68_526:                             ; =>This Inner Loop Header: Depth=1
	ds_read2_b64 v[156:159], v151 offset1:1
	s_waitcnt lgkmcnt(1)
	v_xor_b32_e32 v161, 0x80000000, v141
	v_xor_b32_e32 v163, 0x80000000, v143
	v_cmp_gt_f64_e32 vcc, 0, v[142:143]
	v_cmp_gt_f64_e64 s[0:1], 0, v[140:141]
	v_mov_b32_e32 v160, v140
	v_mov_b32_e32 v162, v142
	v_cndmask_b32_e64 v161, v141, v161, s[0:1]
	v_cndmask_b32_e32 v163, v143, v163, vcc
	v_add_f64 v[160:161], v[160:161], v[162:163]
	s_waitcnt lgkmcnt(0)
	v_xor_b32_e32 v163, 0x80000000, v157
	v_xor_b32_e32 v165, 0x80000000, v159
	v_cmp_gt_f64_e32 vcc, 0, v[158:159]
	v_cmp_gt_f64_e64 s[0:1], 0, v[156:157]
	v_mov_b32_e32 v162, v156
	v_mov_b32_e32 v164, v158
	v_cndmask_b32_e64 v163, v157, v163, s[0:1]
	v_cndmask_b32_e32 v165, v159, v165, vcc
	v_add_f64 v[162:163], v[162:163], v[164:165]
	v_mov_b32_e32 v166, s16
	s_add_i32 s16, s16, 1
	v_cmp_lt_f64_e32 vcc, v[160:161], v[162:163]
	v_add_u32_e32 v151, 16, v151
	s_cmp_lg_u32 s20, s16
	v_cndmask_b32_e32 v141, v141, v157, vcc
	v_cndmask_b32_e32 v140, v140, v156, vcc
	;; [unrolled: 1-line block ×5, first 2 shown]
	s_cbranch_scc1 .LBB68_526
.LBB68_527:
	s_waitcnt lgkmcnt(0)
	v_cmp_eq_f64_e32 vcc, 0, v[140:141]
	v_cmp_eq_f64_e64 s[0:1], 0, v[142:143]
	s_and_b64 s[0:1], vcc, s[0:1]
	s_and_saveexec_b64 s[16:17], s[0:1]
	s_xor_b64 s[0:1], exec, s[16:17]
; %bb.528:
	v_cmp_ne_u32_e32 vcc, 0, v154
	s_nop 1
	v_cndmask_b32_e32 v154, 26, v154, vcc
; %bb.529:
	s_andn2_saveexec_b64 s[0:1], s[0:1]
	s_cbranch_execz .LBB68_535
; %bb.530:
	v_cmp_ngt_f64_e64 s[16:17], |v[140:141]|, |v[142:143]|
	s_and_saveexec_b64 s[18:19], s[16:17]
	s_xor_b64 s[16:17], exec, s[18:19]
	s_cbranch_execz .LBB68_532
; %bb.531:
	v_div_scale_f64 v[156:157], s[18:19], v[142:143], v[142:143], v[140:141]
	v_rcp_f64_e32 v[158:159], v[156:157]
	v_div_scale_f64 v[160:161], vcc, v[140:141], v[142:143], v[140:141]
	v_fma_f64 v[162:163], -v[156:157], v[158:159], 1.0
	v_fmac_f64_e32 v[158:159], v[158:159], v[162:163]
	v_fma_f64 v[162:163], -v[156:157], v[158:159], 1.0
	v_fmac_f64_e32 v[158:159], v[158:159], v[162:163]
	v_mul_f64 v[162:163], v[160:161], v[158:159]
	v_fma_f64 v[156:157], -v[156:157], v[162:163], v[160:161]
	v_div_fmas_f64 v[156:157], v[156:157], v[158:159], v[162:163]
	v_div_fixup_f64 v[156:157], v[156:157], v[142:143], v[140:141]
	v_fmac_f64_e32 v[142:143], v[140:141], v[156:157]
	v_div_scale_f64 v[140:141], s[18:19], v[142:143], v[142:143], 1.0
	v_rcp_f64_e32 v[158:159], v[140:141]
	s_nop 0
	v_fma_f64 v[160:161], -v[140:141], v[158:159], 1.0
	v_fmac_f64_e32 v[158:159], v[158:159], v[160:161]
	v_fma_f64 v[160:161], -v[140:141], v[158:159], 1.0
	v_fmac_f64_e32 v[158:159], v[158:159], v[160:161]
	v_div_scale_f64 v[160:161], vcc, 1.0, v[142:143], 1.0
	v_mul_f64 v[162:163], v[160:161], v[158:159]
	v_fma_f64 v[140:141], -v[140:141], v[162:163], v[160:161]
	s_nop 1
	v_div_fmas_f64 v[140:141], v[140:141], v[158:159], v[162:163]
	v_div_fixup_f64 v[142:143], v[140:141], v[142:143], 1.0
	v_mul_f64 v[140:141], v[156:157], v[142:143]
	v_xor_b32_e32 v143, 0x80000000, v143
.LBB68_532:
	s_andn2_saveexec_b64 s[16:17], s[16:17]
	s_cbranch_execz .LBB68_534
; %bb.533:
	v_div_scale_f64 v[156:157], s[18:19], v[140:141], v[140:141], v[142:143]
	v_rcp_f64_e32 v[158:159], v[156:157]
	v_div_scale_f64 v[160:161], vcc, v[142:143], v[140:141], v[142:143]
	v_fma_f64 v[162:163], -v[156:157], v[158:159], 1.0
	v_fmac_f64_e32 v[158:159], v[158:159], v[162:163]
	v_fma_f64 v[162:163], -v[156:157], v[158:159], 1.0
	v_fmac_f64_e32 v[158:159], v[158:159], v[162:163]
	v_mul_f64 v[162:163], v[160:161], v[158:159]
	v_fma_f64 v[156:157], -v[156:157], v[162:163], v[160:161]
	v_div_fmas_f64 v[156:157], v[156:157], v[158:159], v[162:163]
	v_div_fixup_f64 v[156:157], v[156:157], v[140:141], v[142:143]
	v_fmac_f64_e32 v[140:141], v[142:143], v[156:157]
	v_div_scale_f64 v[142:143], s[18:19], v[140:141], v[140:141], 1.0
	v_rcp_f64_e32 v[158:159], v[142:143]
	s_nop 0
	v_fma_f64 v[160:161], -v[142:143], v[158:159], 1.0
	v_fmac_f64_e32 v[158:159], v[158:159], v[160:161]
	v_fma_f64 v[160:161], -v[142:143], v[158:159], 1.0
	v_fmac_f64_e32 v[158:159], v[158:159], v[160:161]
	v_div_scale_f64 v[160:161], vcc, 1.0, v[140:141], 1.0
	v_mul_f64 v[162:163], v[160:161], v[158:159]
	v_fma_f64 v[142:143], -v[142:143], v[162:163], v[160:161]
	s_nop 1
	v_div_fmas_f64 v[142:143], v[142:143], v[158:159], v[162:163]
	v_div_fixup_f64 v[140:141], v[142:143], v[140:141], 1.0
	v_mul_f64 v[142:143], v[156:157], -v[140:141]
.LBB68_534:
	s_or_b64 exec, exec, s[16:17]
.LBB68_535:
	s_or_b64 exec, exec, s[0:1]
	v_cmp_ne_u32_e32 vcc, v153, v150
	s_and_saveexec_b64 s[0:1], vcc
	s_xor_b64 s[0:1], exec, s[0:1]
	s_cbranch_execz .LBB68_541
; %bb.536:
	v_cmp_eq_u32_e32 vcc, 25, v153
	s_and_saveexec_b64 s[16:17], vcc
	s_cbranch_execz .LBB68_540
; %bb.537:
	v_cmp_ne_u32_e32 vcc, 25, v150
	s_xor_b64 s[18:19], s[14:15], -1
	s_and_b64 s[22:23], s[18:19], vcc
	s_and_saveexec_b64 s[18:19], s[22:23]
	s_cbranch_execz .LBB68_539
; %bb.538:
	v_ashrrev_i32_e32 v151, 31, v150
	v_lshl_add_u64 v[156:157], v[150:151], 2, v[148:149]
	global_load_dword v151, v[156:157], off
	global_load_dword v153, v[148:149], off offset:100
	s_waitcnt vmcnt(1)
	global_store_dword v[148:149], v151, off offset:100
	s_waitcnt vmcnt(1)
	global_store_dword v[156:157], v153, off
.LBB68_539:
	s_or_b64 exec, exec, s[18:19]
	v_mov_b32_e32 v153, v150
	v_mov_b32_e32 v155, v150
.LBB68_540:
	s_or_b64 exec, exec, s[16:17]
.LBB68_541:
	s_andn2_saveexec_b64 s[0:1], s[0:1]
	s_cbranch_execz .LBB68_543
; %bb.542:
	v_mov_b32_e32 v153, 25
	s_waitcnt vmcnt(8)
	ds_write2_b64 v152, v[28:29], v[30:31] offset0:52 offset1:53
	s_waitcnt vmcnt(7)
	ds_write2_b64 v152, v[24:25], v[26:27] offset0:54 offset1:55
	;; [unrolled: 2-line block ×9, first 2 shown]
.LBB68_543:
	s_or_b64 exec, exec, s[0:1]
	v_cmp_lt_i32_e32 vcc, 25, v153
	s_waitcnt lgkmcnt(0)
	s_barrier
	s_and_saveexec_b64 s[0:1], vcc
	s_cbranch_execz .LBB68_545
; %bb.544:
	ds_read2_b64 v[156:159], v152 offset0:52 offset1:53
	v_mul_f64 v[150:151], v[140:141], v[34:35]
	v_fmac_f64_e32 v[150:151], v[142:143], v[32:33]
	v_mul_f64 v[34:35], v[142:143], v[34:35]
	v_fma_f64 v[32:33], v[140:141], v[32:33], -v[34:35]
	ds_read2_b64 v[140:143], v152 offset0:54 offset1:55
	s_waitcnt lgkmcnt(1)
	v_mul_f64 v[34:35], v[158:159], v[150:151]
	v_fma_f64 v[34:35], v[156:157], v[32:33], -v[34:35]
	v_mul_f64 v[156:157], v[156:157], v[150:151]
	v_fmac_f64_e32 v[156:157], v[158:159], v[32:33]
	s_waitcnt vmcnt(8)
	v_add_f64 v[30:31], v[30:31], -v[156:157]
	ds_read2_b64 v[156:159], v152 offset0:56 offset1:57
	v_add_f64 v[28:29], v[28:29], -v[34:35]
	s_waitcnt lgkmcnt(1)
	v_mul_f64 v[34:35], v[142:143], v[150:151]
	v_fma_f64 v[34:35], v[140:141], v[32:33], -v[34:35]
	v_mul_f64 v[140:141], v[140:141], v[150:151]
	v_fmac_f64_e32 v[140:141], v[142:143], v[32:33]
	s_waitcnt vmcnt(7)
	v_add_f64 v[24:25], v[24:25], -v[34:35]
	v_add_f64 v[26:27], v[26:27], -v[140:141]
	ds_read2_b64 v[140:143], v152 offset0:58 offset1:59
	s_waitcnt lgkmcnt(1)
	v_mul_f64 v[34:35], v[158:159], v[150:151]
	v_fma_f64 v[34:35], v[156:157], v[32:33], -v[34:35]
	v_mul_f64 v[156:157], v[156:157], v[150:151]
	v_fmac_f64_e32 v[156:157], v[158:159], v[32:33]
	s_waitcnt vmcnt(6)
	v_add_f64 v[22:23], v[22:23], -v[156:157]
	ds_read2_b64 v[156:159], v152 offset0:60 offset1:61
	v_add_f64 v[20:21], v[20:21], -v[34:35]
	s_waitcnt lgkmcnt(1)
	v_mul_f64 v[34:35], v[142:143], v[150:151]
	v_fma_f64 v[34:35], v[140:141], v[32:33], -v[34:35]
	v_mul_f64 v[140:141], v[140:141], v[150:151]
	v_fmac_f64_e32 v[140:141], v[142:143], v[32:33]
	s_waitcnt vmcnt(5)
	v_add_f64 v[16:17], v[16:17], -v[34:35]
	v_add_f64 v[18:19], v[18:19], -v[140:141]
	;; [unrolled: 18-line block ×4, first 2 shown]
	s_waitcnt lgkmcnt(0)
	v_mul_f64 v[34:35], v[158:159], v[150:151]
	v_mul_f64 v[140:141], v[156:157], v[150:151]
	v_fma_f64 v[34:35], v[156:157], v[32:33], -v[34:35]
	v_fmac_f64_e32 v[140:141], v[158:159], v[32:33]
	s_waitcnt vmcnt(0)
	v_add_f64 v[136:137], v[136:137], -v[34:35]
	v_add_f64 v[138:139], v[138:139], -v[140:141]
	v_mov_b64_e32 v[34:35], v[150:151]
.LBB68_545:
	s_or_b64 exec, exec, s[0:1]
	v_lshl_add_u32 v140, v153, 4, v152
	s_barrier
	s_waitcnt vmcnt(8)
	ds_write2_b64 v140, v[28:29], v[30:31] offset1:1
	s_waitcnt lgkmcnt(0)
	s_barrier
	ds_read2_b64 v[140:143], v152 offset0:52 offset1:53
	s_cmp_lt_i32 s20, 28
	v_mov_b32_e32 v150, 26
	s_cbranch_scc1 .LBB68_548
; %bb.546:
	v_add_u32_e32 v151, 0x1b0, v152
	s_mov_b32 s16, 27
	v_mov_b32_e32 v150, 26
.LBB68_547:                             ; =>This Inner Loop Header: Depth=1
	ds_read2_b64 v[156:159], v151 offset1:1
	s_waitcnt lgkmcnt(1)
	v_xor_b32_e32 v161, 0x80000000, v141
	v_xor_b32_e32 v163, 0x80000000, v143
	v_cmp_gt_f64_e32 vcc, 0, v[142:143]
	v_cmp_gt_f64_e64 s[0:1], 0, v[140:141]
	v_mov_b32_e32 v160, v140
	v_mov_b32_e32 v162, v142
	v_cndmask_b32_e64 v161, v141, v161, s[0:1]
	v_cndmask_b32_e32 v163, v143, v163, vcc
	v_add_f64 v[160:161], v[160:161], v[162:163]
	s_waitcnt lgkmcnt(0)
	v_xor_b32_e32 v163, 0x80000000, v157
	v_xor_b32_e32 v165, 0x80000000, v159
	v_cmp_gt_f64_e32 vcc, 0, v[158:159]
	v_cmp_gt_f64_e64 s[0:1], 0, v[156:157]
	v_mov_b32_e32 v162, v156
	v_mov_b32_e32 v164, v158
	v_cndmask_b32_e64 v163, v157, v163, s[0:1]
	v_cndmask_b32_e32 v165, v159, v165, vcc
	v_add_f64 v[162:163], v[162:163], v[164:165]
	v_mov_b32_e32 v166, s16
	s_add_i32 s16, s16, 1
	v_cmp_lt_f64_e32 vcc, v[160:161], v[162:163]
	v_add_u32_e32 v151, 16, v151
	s_cmp_lg_u32 s20, s16
	v_cndmask_b32_e32 v141, v141, v157, vcc
	v_cndmask_b32_e32 v140, v140, v156, vcc
	;; [unrolled: 1-line block ×5, first 2 shown]
	s_cbranch_scc1 .LBB68_547
.LBB68_548:
	s_waitcnt lgkmcnt(0)
	v_cmp_eq_f64_e32 vcc, 0, v[140:141]
	v_cmp_eq_f64_e64 s[0:1], 0, v[142:143]
	s_and_b64 s[0:1], vcc, s[0:1]
	s_and_saveexec_b64 s[16:17], s[0:1]
	s_xor_b64 s[0:1], exec, s[16:17]
; %bb.549:
	v_cmp_ne_u32_e32 vcc, 0, v154
	s_nop 1
	v_cndmask_b32_e32 v154, 27, v154, vcc
; %bb.550:
	s_andn2_saveexec_b64 s[0:1], s[0:1]
	s_cbranch_execz .LBB68_556
; %bb.551:
	v_cmp_ngt_f64_e64 s[16:17], |v[140:141]|, |v[142:143]|
	s_and_saveexec_b64 s[18:19], s[16:17]
	s_xor_b64 s[16:17], exec, s[18:19]
	s_cbranch_execz .LBB68_553
; %bb.552:
	v_div_scale_f64 v[156:157], s[18:19], v[142:143], v[142:143], v[140:141]
	v_rcp_f64_e32 v[158:159], v[156:157]
	v_div_scale_f64 v[160:161], vcc, v[140:141], v[142:143], v[140:141]
	v_fma_f64 v[162:163], -v[156:157], v[158:159], 1.0
	v_fmac_f64_e32 v[158:159], v[158:159], v[162:163]
	v_fma_f64 v[162:163], -v[156:157], v[158:159], 1.0
	v_fmac_f64_e32 v[158:159], v[158:159], v[162:163]
	v_mul_f64 v[162:163], v[160:161], v[158:159]
	v_fma_f64 v[156:157], -v[156:157], v[162:163], v[160:161]
	v_div_fmas_f64 v[156:157], v[156:157], v[158:159], v[162:163]
	v_div_fixup_f64 v[156:157], v[156:157], v[142:143], v[140:141]
	v_fmac_f64_e32 v[142:143], v[140:141], v[156:157]
	v_div_scale_f64 v[140:141], s[18:19], v[142:143], v[142:143], 1.0
	v_rcp_f64_e32 v[158:159], v[140:141]
	s_nop 0
	v_fma_f64 v[160:161], -v[140:141], v[158:159], 1.0
	v_fmac_f64_e32 v[158:159], v[158:159], v[160:161]
	v_fma_f64 v[160:161], -v[140:141], v[158:159], 1.0
	v_fmac_f64_e32 v[158:159], v[158:159], v[160:161]
	v_div_scale_f64 v[160:161], vcc, 1.0, v[142:143], 1.0
	v_mul_f64 v[162:163], v[160:161], v[158:159]
	v_fma_f64 v[140:141], -v[140:141], v[162:163], v[160:161]
	s_nop 1
	v_div_fmas_f64 v[140:141], v[140:141], v[158:159], v[162:163]
	v_div_fixup_f64 v[142:143], v[140:141], v[142:143], 1.0
	v_mul_f64 v[140:141], v[156:157], v[142:143]
	v_xor_b32_e32 v143, 0x80000000, v143
.LBB68_553:
	s_andn2_saveexec_b64 s[16:17], s[16:17]
	s_cbranch_execz .LBB68_555
; %bb.554:
	v_div_scale_f64 v[156:157], s[18:19], v[140:141], v[140:141], v[142:143]
	v_rcp_f64_e32 v[158:159], v[156:157]
	v_div_scale_f64 v[160:161], vcc, v[142:143], v[140:141], v[142:143]
	v_fma_f64 v[162:163], -v[156:157], v[158:159], 1.0
	v_fmac_f64_e32 v[158:159], v[158:159], v[162:163]
	v_fma_f64 v[162:163], -v[156:157], v[158:159], 1.0
	v_fmac_f64_e32 v[158:159], v[158:159], v[162:163]
	v_mul_f64 v[162:163], v[160:161], v[158:159]
	v_fma_f64 v[156:157], -v[156:157], v[162:163], v[160:161]
	v_div_fmas_f64 v[156:157], v[156:157], v[158:159], v[162:163]
	v_div_fixup_f64 v[156:157], v[156:157], v[140:141], v[142:143]
	v_fmac_f64_e32 v[140:141], v[142:143], v[156:157]
	v_div_scale_f64 v[142:143], s[18:19], v[140:141], v[140:141], 1.0
	v_rcp_f64_e32 v[158:159], v[142:143]
	s_nop 0
	v_fma_f64 v[160:161], -v[142:143], v[158:159], 1.0
	v_fmac_f64_e32 v[158:159], v[158:159], v[160:161]
	v_fma_f64 v[160:161], -v[142:143], v[158:159], 1.0
	v_fmac_f64_e32 v[158:159], v[158:159], v[160:161]
	v_div_scale_f64 v[160:161], vcc, 1.0, v[140:141], 1.0
	v_mul_f64 v[162:163], v[160:161], v[158:159]
	v_fma_f64 v[142:143], -v[142:143], v[162:163], v[160:161]
	s_nop 1
	v_div_fmas_f64 v[142:143], v[142:143], v[158:159], v[162:163]
	v_div_fixup_f64 v[140:141], v[142:143], v[140:141], 1.0
	v_mul_f64 v[142:143], v[156:157], -v[140:141]
.LBB68_555:
	s_or_b64 exec, exec, s[16:17]
.LBB68_556:
	s_or_b64 exec, exec, s[0:1]
	v_cmp_ne_u32_e32 vcc, v153, v150
	s_and_saveexec_b64 s[0:1], vcc
	s_xor_b64 s[0:1], exec, s[0:1]
	s_cbranch_execz .LBB68_562
; %bb.557:
	v_cmp_eq_u32_e32 vcc, 26, v153
	s_and_saveexec_b64 s[16:17], vcc
	s_cbranch_execz .LBB68_561
; %bb.558:
	v_cmp_ne_u32_e32 vcc, 26, v150
	s_xor_b64 s[18:19], s[14:15], -1
	s_and_b64 s[22:23], s[18:19], vcc
	s_and_saveexec_b64 s[18:19], s[22:23]
	s_cbranch_execz .LBB68_560
; %bb.559:
	v_ashrrev_i32_e32 v151, 31, v150
	v_lshl_add_u64 v[156:157], v[150:151], 2, v[148:149]
	global_load_dword v151, v[156:157], off
	global_load_dword v153, v[148:149], off offset:104
	s_waitcnt vmcnt(1)
	global_store_dword v[148:149], v151, off offset:104
	s_waitcnt vmcnt(1)
	global_store_dword v[156:157], v153, off
.LBB68_560:
	s_or_b64 exec, exec, s[18:19]
	v_mov_b32_e32 v153, v150
	v_mov_b32_e32 v155, v150
.LBB68_561:
	s_or_b64 exec, exec, s[16:17]
.LBB68_562:
	s_andn2_saveexec_b64 s[0:1], s[0:1]
	s_cbranch_execz .LBB68_564
; %bb.563:
	v_mov_b32_e32 v153, 26
	s_waitcnt vmcnt(7)
	ds_write2_b64 v152, v[24:25], v[26:27] offset0:54 offset1:55
	s_waitcnt vmcnt(6)
	ds_write2_b64 v152, v[20:21], v[22:23] offset0:56 offset1:57
	;; [unrolled: 2-line block ×8, first 2 shown]
.LBB68_564:
	s_or_b64 exec, exec, s[0:1]
	v_cmp_lt_i32_e32 vcc, 26, v153
	s_waitcnt lgkmcnt(0)
	s_barrier
	s_and_saveexec_b64 s[0:1], vcc
	s_cbranch_execz .LBB68_566
; %bb.565:
	ds_read2_b64 v[156:159], v152 offset0:54 offset1:55
	v_mul_f64 v[150:151], v[140:141], v[30:31]
	v_mul_f64 v[30:31], v[142:143], v[30:31]
	v_fmac_f64_e32 v[150:151], v[142:143], v[28:29]
	v_fma_f64 v[28:29], v[140:141], v[28:29], -v[30:31]
	ds_read2_b64 v[140:143], v152 offset0:56 offset1:57
	s_waitcnt lgkmcnt(1)
	v_mul_f64 v[30:31], v[158:159], v[150:151]
	v_fma_f64 v[30:31], v[156:157], v[28:29], -v[30:31]
	v_mul_f64 v[156:157], v[156:157], v[150:151]
	v_fmac_f64_e32 v[156:157], v[158:159], v[28:29]
	s_waitcnt vmcnt(7)
	v_add_f64 v[24:25], v[24:25], -v[30:31]
	s_waitcnt lgkmcnt(0)
	v_mul_f64 v[30:31], v[142:143], v[150:151]
	v_add_f64 v[26:27], v[26:27], -v[156:157]
	v_fma_f64 v[30:31], v[140:141], v[28:29], -v[30:31]
	v_mul_f64 v[140:141], v[140:141], v[150:151]
	ds_read2_b64 v[156:159], v152 offset0:58 offset1:59
	v_fmac_f64_e32 v[140:141], v[142:143], v[28:29]
	s_waitcnt vmcnt(6)
	v_add_f64 v[22:23], v[22:23], -v[140:141]
	ds_read2_b64 v[140:143], v152 offset0:60 offset1:61
	v_add_f64 v[20:21], v[20:21], -v[30:31]
	s_waitcnt lgkmcnt(1)
	v_mul_f64 v[30:31], v[158:159], v[150:151]
	v_fma_f64 v[30:31], v[156:157], v[28:29], -v[30:31]
	v_mul_f64 v[156:157], v[156:157], v[150:151]
	v_fmac_f64_e32 v[156:157], v[158:159], v[28:29]
	s_waitcnt vmcnt(5)
	v_add_f64 v[16:17], v[16:17], -v[30:31]
	s_waitcnt lgkmcnt(0)
	v_mul_f64 v[30:31], v[142:143], v[150:151]
	v_add_f64 v[18:19], v[18:19], -v[156:157]
	v_fma_f64 v[30:31], v[140:141], v[28:29], -v[30:31]
	v_mul_f64 v[140:141], v[140:141], v[150:151]
	ds_read2_b64 v[156:159], v152 offset0:62 offset1:63
	v_fmac_f64_e32 v[140:141], v[142:143], v[28:29]
	s_waitcnt vmcnt(4)
	v_add_f64 v[14:15], v[14:15], -v[140:141]
	ds_read2_b64 v[140:143], v152 offset0:64 offset1:65
	v_add_f64 v[12:13], v[12:13], -v[30:31]
	;; [unrolled: 18-line block ×3, first 2 shown]
	s_waitcnt lgkmcnt(1)
	v_mul_f64 v[30:31], v[158:159], v[150:151]
	v_fma_f64 v[30:31], v[156:157], v[28:29], -v[30:31]
	s_waitcnt vmcnt(1)
	v_add_f64 v[0:1], v[0:1], -v[30:31]
	s_waitcnt lgkmcnt(0)
	v_mul_f64 v[30:31], v[142:143], v[150:151]
	v_mul_f64 v[156:157], v[156:157], v[150:151]
	v_fma_f64 v[30:31], v[140:141], v[28:29], -v[30:31]
	v_mul_f64 v[140:141], v[140:141], v[150:151]
	v_fmac_f64_e32 v[156:157], v[158:159], v[28:29]
	v_fmac_f64_e32 v[140:141], v[142:143], v[28:29]
	v_add_f64 v[2:3], v[2:3], -v[156:157]
	s_waitcnt vmcnt(0)
	v_add_f64 v[136:137], v[136:137], -v[30:31]
	v_add_f64 v[138:139], v[138:139], -v[140:141]
	v_mov_b64_e32 v[30:31], v[150:151]
.LBB68_566:
	s_or_b64 exec, exec, s[0:1]
	v_lshl_add_u32 v140, v153, 4, v152
	s_barrier
	s_waitcnt vmcnt(7)
	ds_write2_b64 v140, v[24:25], v[26:27] offset1:1
	s_waitcnt lgkmcnt(0)
	s_barrier
	ds_read2_b64 v[140:143], v152 offset0:54 offset1:55
	s_cmp_lt_i32 s20, 29
	v_mov_b32_e32 v150, 27
	s_cbranch_scc1 .LBB68_569
; %bb.567:
	v_add_u32_e32 v151, 0x1c0, v152
	s_mov_b32 s16, 28
	v_mov_b32_e32 v150, 27
.LBB68_568:                             ; =>This Inner Loop Header: Depth=1
	ds_read2_b64 v[156:159], v151 offset1:1
	s_waitcnt lgkmcnt(1)
	v_xor_b32_e32 v161, 0x80000000, v141
	v_xor_b32_e32 v163, 0x80000000, v143
	v_cmp_gt_f64_e32 vcc, 0, v[142:143]
	v_cmp_gt_f64_e64 s[0:1], 0, v[140:141]
	v_mov_b32_e32 v160, v140
	v_mov_b32_e32 v162, v142
	v_cndmask_b32_e64 v161, v141, v161, s[0:1]
	v_cndmask_b32_e32 v163, v143, v163, vcc
	v_add_f64 v[160:161], v[160:161], v[162:163]
	s_waitcnt lgkmcnt(0)
	v_xor_b32_e32 v163, 0x80000000, v157
	v_xor_b32_e32 v165, 0x80000000, v159
	v_cmp_gt_f64_e32 vcc, 0, v[158:159]
	v_cmp_gt_f64_e64 s[0:1], 0, v[156:157]
	v_mov_b32_e32 v162, v156
	v_mov_b32_e32 v164, v158
	v_cndmask_b32_e64 v163, v157, v163, s[0:1]
	v_cndmask_b32_e32 v165, v159, v165, vcc
	v_add_f64 v[162:163], v[162:163], v[164:165]
	v_mov_b32_e32 v166, s16
	s_add_i32 s16, s16, 1
	v_cmp_lt_f64_e32 vcc, v[160:161], v[162:163]
	v_add_u32_e32 v151, 16, v151
	s_cmp_lg_u32 s20, s16
	v_cndmask_b32_e32 v141, v141, v157, vcc
	v_cndmask_b32_e32 v140, v140, v156, vcc
	;; [unrolled: 1-line block ×5, first 2 shown]
	s_cbranch_scc1 .LBB68_568
.LBB68_569:
	s_waitcnt lgkmcnt(0)
	v_cmp_eq_f64_e32 vcc, 0, v[140:141]
	v_cmp_eq_f64_e64 s[0:1], 0, v[142:143]
	s_and_b64 s[0:1], vcc, s[0:1]
	s_and_saveexec_b64 s[16:17], s[0:1]
	s_xor_b64 s[0:1], exec, s[16:17]
; %bb.570:
	v_cmp_ne_u32_e32 vcc, 0, v154
	s_nop 1
	v_cndmask_b32_e32 v154, 28, v154, vcc
; %bb.571:
	s_andn2_saveexec_b64 s[0:1], s[0:1]
	s_cbranch_execz .LBB68_577
; %bb.572:
	v_cmp_ngt_f64_e64 s[16:17], |v[140:141]|, |v[142:143]|
	s_and_saveexec_b64 s[18:19], s[16:17]
	s_xor_b64 s[16:17], exec, s[18:19]
	s_cbranch_execz .LBB68_574
; %bb.573:
	v_div_scale_f64 v[156:157], s[18:19], v[142:143], v[142:143], v[140:141]
	v_rcp_f64_e32 v[158:159], v[156:157]
	v_div_scale_f64 v[160:161], vcc, v[140:141], v[142:143], v[140:141]
	v_fma_f64 v[162:163], -v[156:157], v[158:159], 1.0
	v_fmac_f64_e32 v[158:159], v[158:159], v[162:163]
	v_fma_f64 v[162:163], -v[156:157], v[158:159], 1.0
	v_fmac_f64_e32 v[158:159], v[158:159], v[162:163]
	v_mul_f64 v[162:163], v[160:161], v[158:159]
	v_fma_f64 v[156:157], -v[156:157], v[162:163], v[160:161]
	v_div_fmas_f64 v[156:157], v[156:157], v[158:159], v[162:163]
	v_div_fixup_f64 v[156:157], v[156:157], v[142:143], v[140:141]
	v_fmac_f64_e32 v[142:143], v[140:141], v[156:157]
	v_div_scale_f64 v[140:141], s[18:19], v[142:143], v[142:143], 1.0
	v_rcp_f64_e32 v[158:159], v[140:141]
	s_nop 0
	v_fma_f64 v[160:161], -v[140:141], v[158:159], 1.0
	v_fmac_f64_e32 v[158:159], v[158:159], v[160:161]
	v_fma_f64 v[160:161], -v[140:141], v[158:159], 1.0
	v_fmac_f64_e32 v[158:159], v[158:159], v[160:161]
	v_div_scale_f64 v[160:161], vcc, 1.0, v[142:143], 1.0
	v_mul_f64 v[162:163], v[160:161], v[158:159]
	v_fma_f64 v[140:141], -v[140:141], v[162:163], v[160:161]
	s_nop 1
	v_div_fmas_f64 v[140:141], v[140:141], v[158:159], v[162:163]
	v_div_fixup_f64 v[142:143], v[140:141], v[142:143], 1.0
	v_mul_f64 v[140:141], v[156:157], v[142:143]
	v_xor_b32_e32 v143, 0x80000000, v143
.LBB68_574:
	s_andn2_saveexec_b64 s[16:17], s[16:17]
	s_cbranch_execz .LBB68_576
; %bb.575:
	v_div_scale_f64 v[156:157], s[18:19], v[140:141], v[140:141], v[142:143]
	v_rcp_f64_e32 v[158:159], v[156:157]
	v_div_scale_f64 v[160:161], vcc, v[142:143], v[140:141], v[142:143]
	v_fma_f64 v[162:163], -v[156:157], v[158:159], 1.0
	v_fmac_f64_e32 v[158:159], v[158:159], v[162:163]
	v_fma_f64 v[162:163], -v[156:157], v[158:159], 1.0
	v_fmac_f64_e32 v[158:159], v[158:159], v[162:163]
	v_mul_f64 v[162:163], v[160:161], v[158:159]
	v_fma_f64 v[156:157], -v[156:157], v[162:163], v[160:161]
	v_div_fmas_f64 v[156:157], v[156:157], v[158:159], v[162:163]
	v_div_fixup_f64 v[156:157], v[156:157], v[140:141], v[142:143]
	v_fmac_f64_e32 v[140:141], v[142:143], v[156:157]
	v_div_scale_f64 v[142:143], s[18:19], v[140:141], v[140:141], 1.0
	v_rcp_f64_e32 v[158:159], v[142:143]
	s_nop 0
	v_fma_f64 v[160:161], -v[142:143], v[158:159], 1.0
	v_fmac_f64_e32 v[158:159], v[158:159], v[160:161]
	v_fma_f64 v[160:161], -v[142:143], v[158:159], 1.0
	v_fmac_f64_e32 v[158:159], v[158:159], v[160:161]
	v_div_scale_f64 v[160:161], vcc, 1.0, v[140:141], 1.0
	v_mul_f64 v[162:163], v[160:161], v[158:159]
	v_fma_f64 v[142:143], -v[142:143], v[162:163], v[160:161]
	s_nop 1
	v_div_fmas_f64 v[142:143], v[142:143], v[158:159], v[162:163]
	v_div_fixup_f64 v[140:141], v[142:143], v[140:141], 1.0
	v_mul_f64 v[142:143], v[156:157], -v[140:141]
.LBB68_576:
	s_or_b64 exec, exec, s[16:17]
.LBB68_577:
	s_or_b64 exec, exec, s[0:1]
	v_cmp_ne_u32_e32 vcc, v153, v150
	s_and_saveexec_b64 s[0:1], vcc
	s_xor_b64 s[0:1], exec, s[0:1]
	s_cbranch_execz .LBB68_583
; %bb.578:
	v_cmp_eq_u32_e32 vcc, 27, v153
	s_and_saveexec_b64 s[16:17], vcc
	s_cbranch_execz .LBB68_582
; %bb.579:
	v_cmp_ne_u32_e32 vcc, 27, v150
	s_xor_b64 s[18:19], s[14:15], -1
	s_and_b64 s[22:23], s[18:19], vcc
	s_and_saveexec_b64 s[18:19], s[22:23]
	s_cbranch_execz .LBB68_581
; %bb.580:
	v_ashrrev_i32_e32 v151, 31, v150
	v_lshl_add_u64 v[156:157], v[150:151], 2, v[148:149]
	global_load_dword v151, v[156:157], off
	global_load_dword v153, v[148:149], off offset:108
	s_waitcnt vmcnt(1)
	global_store_dword v[148:149], v151, off offset:108
	s_waitcnt vmcnt(1)
	global_store_dword v[156:157], v153, off
.LBB68_581:
	s_or_b64 exec, exec, s[18:19]
	v_mov_b32_e32 v153, v150
	v_mov_b32_e32 v155, v150
.LBB68_582:
	s_or_b64 exec, exec, s[16:17]
.LBB68_583:
	s_andn2_saveexec_b64 s[0:1], s[0:1]
	s_cbranch_execz .LBB68_585
; %bb.584:
	v_mov_b32_e32 v153, 27
	s_waitcnt vmcnt(6)
	ds_write2_b64 v152, v[20:21], v[22:23] offset0:56 offset1:57
	s_waitcnt vmcnt(5)
	ds_write2_b64 v152, v[16:17], v[18:19] offset0:58 offset1:59
	;; [unrolled: 2-line block ×7, first 2 shown]
.LBB68_585:
	s_or_b64 exec, exec, s[0:1]
	v_cmp_lt_i32_e32 vcc, 27, v153
	s_waitcnt lgkmcnt(0)
	s_barrier
	s_and_saveexec_b64 s[0:1], vcc
	s_cbranch_execz .LBB68_587
; %bb.586:
	ds_read2_b64 v[156:159], v152 offset0:56 offset1:57
	v_mul_f64 v[150:151], v[140:141], v[26:27]
	v_fmac_f64_e32 v[150:151], v[142:143], v[24:25]
	v_mul_f64 v[26:27], v[142:143], v[26:27]
	v_fma_f64 v[24:25], v[140:141], v[24:25], -v[26:27]
	ds_read2_b64 v[140:143], v152 offset0:58 offset1:59
	s_waitcnt lgkmcnt(1)
	v_mul_f64 v[26:27], v[158:159], v[150:151]
	v_fma_f64 v[26:27], v[156:157], v[24:25], -v[26:27]
	v_mul_f64 v[156:157], v[156:157], v[150:151]
	v_fmac_f64_e32 v[156:157], v[158:159], v[24:25]
	s_waitcnt vmcnt(6)
	v_add_f64 v[22:23], v[22:23], -v[156:157]
	ds_read2_b64 v[156:159], v152 offset0:60 offset1:61
	v_add_f64 v[20:21], v[20:21], -v[26:27]
	s_waitcnt lgkmcnt(1)
	v_mul_f64 v[26:27], v[142:143], v[150:151]
	v_fma_f64 v[26:27], v[140:141], v[24:25], -v[26:27]
	v_mul_f64 v[140:141], v[140:141], v[150:151]
	v_fmac_f64_e32 v[140:141], v[142:143], v[24:25]
	s_waitcnt vmcnt(5)
	v_add_f64 v[16:17], v[16:17], -v[26:27]
	v_add_f64 v[18:19], v[18:19], -v[140:141]
	ds_read2_b64 v[140:143], v152 offset0:62 offset1:63
	s_waitcnt lgkmcnt(1)
	v_mul_f64 v[26:27], v[158:159], v[150:151]
	v_fma_f64 v[26:27], v[156:157], v[24:25], -v[26:27]
	v_mul_f64 v[156:157], v[156:157], v[150:151]
	v_fmac_f64_e32 v[156:157], v[158:159], v[24:25]
	s_waitcnt vmcnt(4)
	v_add_f64 v[14:15], v[14:15], -v[156:157]
	ds_read2_b64 v[156:159], v152 offset0:64 offset1:65
	v_add_f64 v[12:13], v[12:13], -v[26:27]
	s_waitcnt lgkmcnt(1)
	v_mul_f64 v[26:27], v[142:143], v[150:151]
	v_fma_f64 v[26:27], v[140:141], v[24:25], -v[26:27]
	v_mul_f64 v[140:141], v[140:141], v[150:151]
	v_fmac_f64_e32 v[140:141], v[142:143], v[24:25]
	s_waitcnt vmcnt(3)
	v_add_f64 v[8:9], v[8:9], -v[26:27]
	v_add_f64 v[10:11], v[10:11], -v[140:141]
	;; [unrolled: 18-line block ×3, first 2 shown]
	s_waitcnt lgkmcnt(0)
	v_mul_f64 v[26:27], v[158:159], v[150:151]
	v_mul_f64 v[140:141], v[156:157], v[150:151]
	v_fma_f64 v[26:27], v[156:157], v[24:25], -v[26:27]
	v_fmac_f64_e32 v[140:141], v[158:159], v[24:25]
	s_waitcnt vmcnt(0)
	v_add_f64 v[136:137], v[136:137], -v[26:27]
	v_add_f64 v[138:139], v[138:139], -v[140:141]
	v_mov_b64_e32 v[26:27], v[150:151]
.LBB68_587:
	s_or_b64 exec, exec, s[0:1]
	v_lshl_add_u32 v140, v153, 4, v152
	s_barrier
	s_waitcnt vmcnt(6)
	ds_write2_b64 v140, v[20:21], v[22:23] offset1:1
	s_waitcnt lgkmcnt(0)
	s_barrier
	ds_read2_b64 v[140:143], v152 offset0:56 offset1:57
	s_cmp_lt_i32 s20, 30
	v_mov_b32_e32 v150, 28
	s_cbranch_scc1 .LBB68_590
; %bb.588:
	v_add_u32_e32 v151, 0x1d0, v152
	s_mov_b32 s16, 29
	v_mov_b32_e32 v150, 28
.LBB68_589:                             ; =>This Inner Loop Header: Depth=1
	ds_read2_b64 v[156:159], v151 offset1:1
	s_waitcnt lgkmcnt(1)
	v_xor_b32_e32 v161, 0x80000000, v141
	v_xor_b32_e32 v163, 0x80000000, v143
	v_cmp_gt_f64_e32 vcc, 0, v[142:143]
	v_cmp_gt_f64_e64 s[0:1], 0, v[140:141]
	v_mov_b32_e32 v160, v140
	v_mov_b32_e32 v162, v142
	v_cndmask_b32_e64 v161, v141, v161, s[0:1]
	v_cndmask_b32_e32 v163, v143, v163, vcc
	v_add_f64 v[160:161], v[160:161], v[162:163]
	s_waitcnt lgkmcnt(0)
	v_xor_b32_e32 v163, 0x80000000, v157
	v_xor_b32_e32 v165, 0x80000000, v159
	v_cmp_gt_f64_e32 vcc, 0, v[158:159]
	v_cmp_gt_f64_e64 s[0:1], 0, v[156:157]
	v_mov_b32_e32 v162, v156
	v_mov_b32_e32 v164, v158
	v_cndmask_b32_e64 v163, v157, v163, s[0:1]
	v_cndmask_b32_e32 v165, v159, v165, vcc
	v_add_f64 v[162:163], v[162:163], v[164:165]
	v_mov_b32_e32 v166, s16
	s_add_i32 s16, s16, 1
	v_cmp_lt_f64_e32 vcc, v[160:161], v[162:163]
	v_add_u32_e32 v151, 16, v151
	s_cmp_lg_u32 s20, s16
	v_cndmask_b32_e32 v141, v141, v157, vcc
	v_cndmask_b32_e32 v140, v140, v156, vcc
	;; [unrolled: 1-line block ×5, first 2 shown]
	s_cbranch_scc1 .LBB68_589
.LBB68_590:
	s_waitcnt lgkmcnt(0)
	v_cmp_eq_f64_e32 vcc, 0, v[140:141]
	v_cmp_eq_f64_e64 s[0:1], 0, v[142:143]
	s_and_b64 s[0:1], vcc, s[0:1]
	s_and_saveexec_b64 s[16:17], s[0:1]
	s_xor_b64 s[0:1], exec, s[16:17]
; %bb.591:
	v_cmp_ne_u32_e32 vcc, 0, v154
	s_nop 1
	v_cndmask_b32_e32 v154, 29, v154, vcc
; %bb.592:
	s_andn2_saveexec_b64 s[0:1], s[0:1]
	s_cbranch_execz .LBB68_598
; %bb.593:
	v_cmp_ngt_f64_e64 s[16:17], |v[140:141]|, |v[142:143]|
	s_and_saveexec_b64 s[18:19], s[16:17]
	s_xor_b64 s[16:17], exec, s[18:19]
	s_cbranch_execz .LBB68_595
; %bb.594:
	v_div_scale_f64 v[156:157], s[18:19], v[142:143], v[142:143], v[140:141]
	v_rcp_f64_e32 v[158:159], v[156:157]
	v_div_scale_f64 v[160:161], vcc, v[140:141], v[142:143], v[140:141]
	v_fma_f64 v[162:163], -v[156:157], v[158:159], 1.0
	v_fmac_f64_e32 v[158:159], v[158:159], v[162:163]
	v_fma_f64 v[162:163], -v[156:157], v[158:159], 1.0
	v_fmac_f64_e32 v[158:159], v[158:159], v[162:163]
	v_mul_f64 v[162:163], v[160:161], v[158:159]
	v_fma_f64 v[156:157], -v[156:157], v[162:163], v[160:161]
	v_div_fmas_f64 v[156:157], v[156:157], v[158:159], v[162:163]
	v_div_fixup_f64 v[156:157], v[156:157], v[142:143], v[140:141]
	v_fmac_f64_e32 v[142:143], v[140:141], v[156:157]
	v_div_scale_f64 v[140:141], s[18:19], v[142:143], v[142:143], 1.0
	v_rcp_f64_e32 v[158:159], v[140:141]
	s_nop 0
	v_fma_f64 v[160:161], -v[140:141], v[158:159], 1.0
	v_fmac_f64_e32 v[158:159], v[158:159], v[160:161]
	v_fma_f64 v[160:161], -v[140:141], v[158:159], 1.0
	v_fmac_f64_e32 v[158:159], v[158:159], v[160:161]
	v_div_scale_f64 v[160:161], vcc, 1.0, v[142:143], 1.0
	v_mul_f64 v[162:163], v[160:161], v[158:159]
	v_fma_f64 v[140:141], -v[140:141], v[162:163], v[160:161]
	s_nop 1
	v_div_fmas_f64 v[140:141], v[140:141], v[158:159], v[162:163]
	v_div_fixup_f64 v[142:143], v[140:141], v[142:143], 1.0
	v_mul_f64 v[140:141], v[156:157], v[142:143]
	v_xor_b32_e32 v143, 0x80000000, v143
.LBB68_595:
	s_andn2_saveexec_b64 s[16:17], s[16:17]
	s_cbranch_execz .LBB68_597
; %bb.596:
	v_div_scale_f64 v[156:157], s[18:19], v[140:141], v[140:141], v[142:143]
	v_rcp_f64_e32 v[158:159], v[156:157]
	v_div_scale_f64 v[160:161], vcc, v[142:143], v[140:141], v[142:143]
	v_fma_f64 v[162:163], -v[156:157], v[158:159], 1.0
	v_fmac_f64_e32 v[158:159], v[158:159], v[162:163]
	v_fma_f64 v[162:163], -v[156:157], v[158:159], 1.0
	v_fmac_f64_e32 v[158:159], v[158:159], v[162:163]
	v_mul_f64 v[162:163], v[160:161], v[158:159]
	v_fma_f64 v[156:157], -v[156:157], v[162:163], v[160:161]
	v_div_fmas_f64 v[156:157], v[156:157], v[158:159], v[162:163]
	v_div_fixup_f64 v[156:157], v[156:157], v[140:141], v[142:143]
	v_fmac_f64_e32 v[140:141], v[142:143], v[156:157]
	v_div_scale_f64 v[142:143], s[18:19], v[140:141], v[140:141], 1.0
	v_rcp_f64_e32 v[158:159], v[142:143]
	s_nop 0
	v_fma_f64 v[160:161], -v[142:143], v[158:159], 1.0
	v_fmac_f64_e32 v[158:159], v[158:159], v[160:161]
	v_fma_f64 v[160:161], -v[142:143], v[158:159], 1.0
	v_fmac_f64_e32 v[158:159], v[158:159], v[160:161]
	v_div_scale_f64 v[160:161], vcc, 1.0, v[140:141], 1.0
	v_mul_f64 v[162:163], v[160:161], v[158:159]
	v_fma_f64 v[142:143], -v[142:143], v[162:163], v[160:161]
	s_nop 1
	v_div_fmas_f64 v[142:143], v[142:143], v[158:159], v[162:163]
	v_div_fixup_f64 v[140:141], v[142:143], v[140:141], 1.0
	v_mul_f64 v[142:143], v[156:157], -v[140:141]
.LBB68_597:
	s_or_b64 exec, exec, s[16:17]
.LBB68_598:
	s_or_b64 exec, exec, s[0:1]
	v_cmp_ne_u32_e32 vcc, v153, v150
	s_and_saveexec_b64 s[0:1], vcc
	s_xor_b64 s[0:1], exec, s[0:1]
	s_cbranch_execz .LBB68_604
; %bb.599:
	v_cmp_eq_u32_e32 vcc, 28, v153
	s_and_saveexec_b64 s[16:17], vcc
	s_cbranch_execz .LBB68_603
; %bb.600:
	v_cmp_ne_u32_e32 vcc, 28, v150
	s_xor_b64 s[18:19], s[14:15], -1
	s_and_b64 s[22:23], s[18:19], vcc
	s_and_saveexec_b64 s[18:19], s[22:23]
	s_cbranch_execz .LBB68_602
; %bb.601:
	v_ashrrev_i32_e32 v151, 31, v150
	v_lshl_add_u64 v[156:157], v[150:151], 2, v[148:149]
	global_load_dword v151, v[156:157], off
	global_load_dword v153, v[148:149], off offset:112
	s_waitcnt vmcnt(1)
	global_store_dword v[148:149], v151, off offset:112
	s_waitcnt vmcnt(1)
	global_store_dword v[156:157], v153, off
.LBB68_602:
	s_or_b64 exec, exec, s[18:19]
	v_mov_b32_e32 v153, v150
	v_mov_b32_e32 v155, v150
.LBB68_603:
	s_or_b64 exec, exec, s[16:17]
.LBB68_604:
	s_andn2_saveexec_b64 s[0:1], s[0:1]
	s_cbranch_execz .LBB68_606
; %bb.605:
	v_mov_b32_e32 v153, 28
	s_waitcnt vmcnt(5)
	ds_write2_b64 v152, v[16:17], v[18:19] offset0:58 offset1:59
	s_waitcnt vmcnt(4)
	ds_write2_b64 v152, v[12:13], v[14:15] offset0:60 offset1:61
	;; [unrolled: 2-line block ×6, first 2 shown]
.LBB68_606:
	s_or_b64 exec, exec, s[0:1]
	v_cmp_lt_i32_e32 vcc, 28, v153
	s_waitcnt lgkmcnt(0)
	s_barrier
	s_and_saveexec_b64 s[0:1], vcc
	s_cbranch_execz .LBB68_608
; %bb.607:
	ds_read2_b64 v[156:159], v152 offset0:58 offset1:59
	v_mul_f64 v[150:151], v[140:141], v[22:23]
	v_mul_f64 v[22:23], v[142:143], v[22:23]
	v_fmac_f64_e32 v[150:151], v[142:143], v[20:21]
	v_fma_f64 v[20:21], v[140:141], v[20:21], -v[22:23]
	ds_read2_b64 v[140:143], v152 offset0:60 offset1:61
	s_waitcnt lgkmcnt(1)
	v_mul_f64 v[22:23], v[158:159], v[150:151]
	v_fma_f64 v[22:23], v[156:157], v[20:21], -v[22:23]
	v_mul_f64 v[156:157], v[156:157], v[150:151]
	v_fmac_f64_e32 v[156:157], v[158:159], v[20:21]
	s_waitcnt vmcnt(5)
	v_add_f64 v[16:17], v[16:17], -v[22:23]
	s_waitcnt lgkmcnt(0)
	v_mul_f64 v[22:23], v[142:143], v[150:151]
	v_add_f64 v[18:19], v[18:19], -v[156:157]
	v_fma_f64 v[22:23], v[140:141], v[20:21], -v[22:23]
	v_mul_f64 v[140:141], v[140:141], v[150:151]
	ds_read2_b64 v[156:159], v152 offset0:62 offset1:63
	v_fmac_f64_e32 v[140:141], v[142:143], v[20:21]
	s_waitcnt vmcnt(4)
	v_add_f64 v[14:15], v[14:15], -v[140:141]
	ds_read2_b64 v[140:143], v152 offset0:64 offset1:65
	v_add_f64 v[12:13], v[12:13], -v[22:23]
	s_waitcnt lgkmcnt(1)
	v_mul_f64 v[22:23], v[158:159], v[150:151]
	v_fma_f64 v[22:23], v[156:157], v[20:21], -v[22:23]
	v_mul_f64 v[156:157], v[156:157], v[150:151]
	v_fmac_f64_e32 v[156:157], v[158:159], v[20:21]
	s_waitcnt vmcnt(3)
	v_add_f64 v[8:9], v[8:9], -v[22:23]
	s_waitcnt lgkmcnt(0)
	v_mul_f64 v[22:23], v[142:143], v[150:151]
	v_add_f64 v[10:11], v[10:11], -v[156:157]
	v_fma_f64 v[22:23], v[140:141], v[20:21], -v[22:23]
	v_mul_f64 v[140:141], v[140:141], v[150:151]
	ds_read2_b64 v[156:159], v152 offset0:66 offset1:67
	v_fmac_f64_e32 v[140:141], v[142:143], v[20:21]
	s_waitcnt vmcnt(2)
	v_add_f64 v[6:7], v[6:7], -v[140:141]
	ds_read2_b64 v[140:143], v152 offset0:68 offset1:69
	v_add_f64 v[4:5], v[4:5], -v[22:23]
	s_waitcnt lgkmcnt(1)
	v_mul_f64 v[22:23], v[158:159], v[150:151]
	v_fma_f64 v[22:23], v[156:157], v[20:21], -v[22:23]
	s_waitcnt vmcnt(1)
	v_add_f64 v[0:1], v[0:1], -v[22:23]
	s_waitcnt lgkmcnt(0)
	v_mul_f64 v[22:23], v[142:143], v[150:151]
	v_mul_f64 v[156:157], v[156:157], v[150:151]
	v_fma_f64 v[22:23], v[140:141], v[20:21], -v[22:23]
	v_mul_f64 v[140:141], v[140:141], v[150:151]
	v_fmac_f64_e32 v[156:157], v[158:159], v[20:21]
	v_fmac_f64_e32 v[140:141], v[142:143], v[20:21]
	v_add_f64 v[2:3], v[2:3], -v[156:157]
	s_waitcnt vmcnt(0)
	v_add_f64 v[136:137], v[136:137], -v[22:23]
	v_add_f64 v[138:139], v[138:139], -v[140:141]
	v_mov_b64_e32 v[22:23], v[150:151]
.LBB68_608:
	s_or_b64 exec, exec, s[0:1]
	v_lshl_add_u32 v140, v153, 4, v152
	s_barrier
	s_waitcnt vmcnt(5)
	ds_write2_b64 v140, v[16:17], v[18:19] offset1:1
	s_waitcnt lgkmcnt(0)
	s_barrier
	ds_read2_b64 v[140:143], v152 offset0:58 offset1:59
	s_cmp_lt_i32 s20, 31
	v_mov_b32_e32 v150, 29
	s_cbranch_scc1 .LBB68_611
; %bb.609:
	v_add_u32_e32 v151, 0x1e0, v152
	s_mov_b32 s16, 30
	v_mov_b32_e32 v150, 29
.LBB68_610:                             ; =>This Inner Loop Header: Depth=1
	ds_read2_b64 v[156:159], v151 offset1:1
	s_waitcnt lgkmcnt(1)
	v_xor_b32_e32 v161, 0x80000000, v141
	v_xor_b32_e32 v163, 0x80000000, v143
	v_cmp_gt_f64_e32 vcc, 0, v[142:143]
	v_cmp_gt_f64_e64 s[0:1], 0, v[140:141]
	v_mov_b32_e32 v160, v140
	v_mov_b32_e32 v162, v142
	v_cndmask_b32_e64 v161, v141, v161, s[0:1]
	v_cndmask_b32_e32 v163, v143, v163, vcc
	v_add_f64 v[160:161], v[160:161], v[162:163]
	s_waitcnt lgkmcnt(0)
	v_xor_b32_e32 v163, 0x80000000, v157
	v_xor_b32_e32 v165, 0x80000000, v159
	v_cmp_gt_f64_e32 vcc, 0, v[158:159]
	v_cmp_gt_f64_e64 s[0:1], 0, v[156:157]
	v_mov_b32_e32 v162, v156
	v_mov_b32_e32 v164, v158
	v_cndmask_b32_e64 v163, v157, v163, s[0:1]
	v_cndmask_b32_e32 v165, v159, v165, vcc
	v_add_f64 v[162:163], v[162:163], v[164:165]
	v_mov_b32_e32 v166, s16
	s_add_i32 s16, s16, 1
	v_cmp_lt_f64_e32 vcc, v[160:161], v[162:163]
	v_add_u32_e32 v151, 16, v151
	s_cmp_lg_u32 s20, s16
	v_cndmask_b32_e32 v141, v141, v157, vcc
	v_cndmask_b32_e32 v140, v140, v156, vcc
	v_cndmask_b32_e32 v143, v143, v159, vcc
	v_cndmask_b32_e32 v142, v142, v158, vcc
	v_cndmask_b32_e32 v150, v150, v166, vcc
	s_cbranch_scc1 .LBB68_610
.LBB68_611:
	s_waitcnt lgkmcnt(0)
	v_cmp_eq_f64_e32 vcc, 0, v[140:141]
	v_cmp_eq_f64_e64 s[0:1], 0, v[142:143]
	s_and_b64 s[0:1], vcc, s[0:1]
	s_and_saveexec_b64 s[16:17], s[0:1]
	s_xor_b64 s[0:1], exec, s[16:17]
; %bb.612:
	v_cmp_ne_u32_e32 vcc, 0, v154
	s_nop 1
	v_cndmask_b32_e32 v154, 30, v154, vcc
; %bb.613:
	s_andn2_saveexec_b64 s[0:1], s[0:1]
	s_cbranch_execz .LBB68_619
; %bb.614:
	v_cmp_ngt_f64_e64 s[16:17], |v[140:141]|, |v[142:143]|
	s_and_saveexec_b64 s[18:19], s[16:17]
	s_xor_b64 s[16:17], exec, s[18:19]
	s_cbranch_execz .LBB68_616
; %bb.615:
	v_div_scale_f64 v[156:157], s[18:19], v[142:143], v[142:143], v[140:141]
	v_rcp_f64_e32 v[158:159], v[156:157]
	v_div_scale_f64 v[160:161], vcc, v[140:141], v[142:143], v[140:141]
	v_fma_f64 v[162:163], -v[156:157], v[158:159], 1.0
	v_fmac_f64_e32 v[158:159], v[158:159], v[162:163]
	v_fma_f64 v[162:163], -v[156:157], v[158:159], 1.0
	v_fmac_f64_e32 v[158:159], v[158:159], v[162:163]
	v_mul_f64 v[162:163], v[160:161], v[158:159]
	v_fma_f64 v[156:157], -v[156:157], v[162:163], v[160:161]
	v_div_fmas_f64 v[156:157], v[156:157], v[158:159], v[162:163]
	v_div_fixup_f64 v[156:157], v[156:157], v[142:143], v[140:141]
	v_fmac_f64_e32 v[142:143], v[140:141], v[156:157]
	v_div_scale_f64 v[140:141], s[18:19], v[142:143], v[142:143], 1.0
	v_rcp_f64_e32 v[158:159], v[140:141]
	s_nop 0
	v_fma_f64 v[160:161], -v[140:141], v[158:159], 1.0
	v_fmac_f64_e32 v[158:159], v[158:159], v[160:161]
	v_fma_f64 v[160:161], -v[140:141], v[158:159], 1.0
	v_fmac_f64_e32 v[158:159], v[158:159], v[160:161]
	v_div_scale_f64 v[160:161], vcc, 1.0, v[142:143], 1.0
	v_mul_f64 v[162:163], v[160:161], v[158:159]
	v_fma_f64 v[140:141], -v[140:141], v[162:163], v[160:161]
	s_nop 1
	v_div_fmas_f64 v[140:141], v[140:141], v[158:159], v[162:163]
	v_div_fixup_f64 v[142:143], v[140:141], v[142:143], 1.0
	v_mul_f64 v[140:141], v[156:157], v[142:143]
	v_xor_b32_e32 v143, 0x80000000, v143
.LBB68_616:
	s_andn2_saveexec_b64 s[16:17], s[16:17]
	s_cbranch_execz .LBB68_618
; %bb.617:
	v_div_scale_f64 v[156:157], s[18:19], v[140:141], v[140:141], v[142:143]
	v_rcp_f64_e32 v[158:159], v[156:157]
	v_div_scale_f64 v[160:161], vcc, v[142:143], v[140:141], v[142:143]
	v_fma_f64 v[162:163], -v[156:157], v[158:159], 1.0
	v_fmac_f64_e32 v[158:159], v[158:159], v[162:163]
	v_fma_f64 v[162:163], -v[156:157], v[158:159], 1.0
	v_fmac_f64_e32 v[158:159], v[158:159], v[162:163]
	v_mul_f64 v[162:163], v[160:161], v[158:159]
	v_fma_f64 v[156:157], -v[156:157], v[162:163], v[160:161]
	v_div_fmas_f64 v[156:157], v[156:157], v[158:159], v[162:163]
	v_div_fixup_f64 v[156:157], v[156:157], v[140:141], v[142:143]
	v_fmac_f64_e32 v[140:141], v[142:143], v[156:157]
	v_div_scale_f64 v[142:143], s[18:19], v[140:141], v[140:141], 1.0
	v_rcp_f64_e32 v[158:159], v[142:143]
	s_nop 0
	v_fma_f64 v[160:161], -v[142:143], v[158:159], 1.0
	v_fmac_f64_e32 v[158:159], v[158:159], v[160:161]
	v_fma_f64 v[160:161], -v[142:143], v[158:159], 1.0
	v_fmac_f64_e32 v[158:159], v[158:159], v[160:161]
	v_div_scale_f64 v[160:161], vcc, 1.0, v[140:141], 1.0
	v_mul_f64 v[162:163], v[160:161], v[158:159]
	v_fma_f64 v[142:143], -v[142:143], v[162:163], v[160:161]
	s_nop 1
	v_div_fmas_f64 v[142:143], v[142:143], v[158:159], v[162:163]
	v_div_fixup_f64 v[140:141], v[142:143], v[140:141], 1.0
	v_mul_f64 v[142:143], v[156:157], -v[140:141]
.LBB68_618:
	s_or_b64 exec, exec, s[16:17]
.LBB68_619:
	s_or_b64 exec, exec, s[0:1]
	v_cmp_ne_u32_e32 vcc, v153, v150
	s_and_saveexec_b64 s[0:1], vcc
	s_xor_b64 s[0:1], exec, s[0:1]
	s_cbranch_execz .LBB68_625
; %bb.620:
	v_cmp_eq_u32_e32 vcc, 29, v153
	s_and_saveexec_b64 s[16:17], vcc
	s_cbranch_execz .LBB68_624
; %bb.621:
	v_cmp_ne_u32_e32 vcc, 29, v150
	s_xor_b64 s[18:19], s[14:15], -1
	s_and_b64 s[22:23], s[18:19], vcc
	s_and_saveexec_b64 s[18:19], s[22:23]
	s_cbranch_execz .LBB68_623
; %bb.622:
	v_ashrrev_i32_e32 v151, 31, v150
	v_lshl_add_u64 v[156:157], v[150:151], 2, v[148:149]
	global_load_dword v151, v[156:157], off
	global_load_dword v153, v[148:149], off offset:116
	s_waitcnt vmcnt(1)
	global_store_dword v[148:149], v151, off offset:116
	s_waitcnt vmcnt(1)
	global_store_dword v[156:157], v153, off
.LBB68_623:
	s_or_b64 exec, exec, s[18:19]
	v_mov_b32_e32 v153, v150
	v_mov_b32_e32 v155, v150
.LBB68_624:
	s_or_b64 exec, exec, s[16:17]
.LBB68_625:
	s_andn2_saveexec_b64 s[0:1], s[0:1]
	s_cbranch_execz .LBB68_627
; %bb.626:
	v_mov_b32_e32 v153, 29
	s_waitcnt vmcnt(4)
	ds_write2_b64 v152, v[12:13], v[14:15] offset0:60 offset1:61
	s_waitcnt vmcnt(3)
	ds_write2_b64 v152, v[8:9], v[10:11] offset0:62 offset1:63
	s_waitcnt vmcnt(2)
	ds_write2_b64 v152, v[4:5], v[6:7] offset0:64 offset1:65
	s_waitcnt vmcnt(1)
	ds_write2_b64 v152, v[0:1], v[2:3] offset0:66 offset1:67
	s_waitcnt vmcnt(0)
	ds_write2_b64 v152, v[136:137], v[138:139] offset0:68 offset1:69
.LBB68_627:
	s_or_b64 exec, exec, s[0:1]
	v_cmp_lt_i32_e32 vcc, 29, v153
	s_waitcnt lgkmcnt(0)
	s_barrier
	s_and_saveexec_b64 s[0:1], vcc
	s_cbranch_execz .LBB68_629
; %bb.628:
	ds_read2_b64 v[156:159], v152 offset0:60 offset1:61
	v_mul_f64 v[150:151], v[140:141], v[18:19]
	v_fmac_f64_e32 v[150:151], v[142:143], v[16:17]
	v_mul_f64 v[18:19], v[142:143], v[18:19]
	v_fma_f64 v[16:17], v[140:141], v[16:17], -v[18:19]
	ds_read2_b64 v[140:143], v152 offset0:62 offset1:63
	s_waitcnt lgkmcnt(1)
	v_mul_f64 v[18:19], v[158:159], v[150:151]
	v_fma_f64 v[18:19], v[156:157], v[16:17], -v[18:19]
	v_mul_f64 v[156:157], v[156:157], v[150:151]
	v_fmac_f64_e32 v[156:157], v[158:159], v[16:17]
	s_waitcnt vmcnt(4)
	v_add_f64 v[14:15], v[14:15], -v[156:157]
	ds_read2_b64 v[156:159], v152 offset0:64 offset1:65
	v_add_f64 v[12:13], v[12:13], -v[18:19]
	s_waitcnt lgkmcnt(1)
	v_mul_f64 v[18:19], v[142:143], v[150:151]
	v_fma_f64 v[18:19], v[140:141], v[16:17], -v[18:19]
	v_mul_f64 v[140:141], v[140:141], v[150:151]
	v_fmac_f64_e32 v[140:141], v[142:143], v[16:17]
	s_waitcnt vmcnt(3)
	v_add_f64 v[8:9], v[8:9], -v[18:19]
	v_add_f64 v[10:11], v[10:11], -v[140:141]
	ds_read2_b64 v[140:143], v152 offset0:66 offset1:67
	s_waitcnt lgkmcnt(1)
	v_mul_f64 v[18:19], v[158:159], v[150:151]
	v_fma_f64 v[18:19], v[156:157], v[16:17], -v[18:19]
	v_mul_f64 v[156:157], v[156:157], v[150:151]
	v_fmac_f64_e32 v[156:157], v[158:159], v[16:17]
	s_waitcnt vmcnt(2)
	v_add_f64 v[6:7], v[6:7], -v[156:157]
	ds_read2_b64 v[156:159], v152 offset0:68 offset1:69
	v_add_f64 v[4:5], v[4:5], -v[18:19]
	s_waitcnt lgkmcnt(1)
	v_mul_f64 v[18:19], v[142:143], v[150:151]
	v_fma_f64 v[18:19], v[140:141], v[16:17], -v[18:19]
	v_mul_f64 v[140:141], v[140:141], v[150:151]
	v_fmac_f64_e32 v[140:141], v[142:143], v[16:17]
	s_waitcnt vmcnt(1)
	v_add_f64 v[0:1], v[0:1], -v[18:19]
	v_add_f64 v[2:3], v[2:3], -v[140:141]
	s_waitcnt lgkmcnt(0)
	v_mul_f64 v[18:19], v[158:159], v[150:151]
	v_mul_f64 v[140:141], v[156:157], v[150:151]
	v_fma_f64 v[18:19], v[156:157], v[16:17], -v[18:19]
	v_fmac_f64_e32 v[140:141], v[158:159], v[16:17]
	s_waitcnt vmcnt(0)
	v_add_f64 v[136:137], v[136:137], -v[18:19]
	v_add_f64 v[138:139], v[138:139], -v[140:141]
	v_mov_b64_e32 v[18:19], v[150:151]
.LBB68_629:
	s_or_b64 exec, exec, s[0:1]
	v_lshl_add_u32 v140, v153, 4, v152
	s_barrier
	s_waitcnt vmcnt(4)
	ds_write2_b64 v140, v[12:13], v[14:15] offset1:1
	s_waitcnt lgkmcnt(0)
	s_barrier
	ds_read2_b64 v[140:143], v152 offset0:60 offset1:61
	s_cmp_lt_i32 s20, 32
	v_mov_b32_e32 v150, 30
	s_cbranch_scc1 .LBB68_632
; %bb.630:
	v_add_u32_e32 v151, 0x1f0, v152
	s_mov_b32 s16, 31
	v_mov_b32_e32 v150, 30
.LBB68_631:                             ; =>This Inner Loop Header: Depth=1
	ds_read2_b64 v[156:159], v151 offset1:1
	s_waitcnt lgkmcnt(1)
	v_xor_b32_e32 v161, 0x80000000, v141
	v_xor_b32_e32 v163, 0x80000000, v143
	v_cmp_gt_f64_e32 vcc, 0, v[142:143]
	v_cmp_gt_f64_e64 s[0:1], 0, v[140:141]
	v_mov_b32_e32 v160, v140
	v_mov_b32_e32 v162, v142
	v_cndmask_b32_e64 v161, v141, v161, s[0:1]
	v_cndmask_b32_e32 v163, v143, v163, vcc
	v_add_f64 v[160:161], v[160:161], v[162:163]
	s_waitcnt lgkmcnt(0)
	v_xor_b32_e32 v163, 0x80000000, v157
	v_xor_b32_e32 v165, 0x80000000, v159
	v_cmp_gt_f64_e32 vcc, 0, v[158:159]
	v_cmp_gt_f64_e64 s[0:1], 0, v[156:157]
	v_mov_b32_e32 v162, v156
	v_mov_b32_e32 v164, v158
	v_cndmask_b32_e64 v163, v157, v163, s[0:1]
	v_cndmask_b32_e32 v165, v159, v165, vcc
	v_add_f64 v[162:163], v[162:163], v[164:165]
	v_mov_b32_e32 v166, s16
	s_add_i32 s16, s16, 1
	v_cmp_lt_f64_e32 vcc, v[160:161], v[162:163]
	v_add_u32_e32 v151, 16, v151
	s_cmp_lg_u32 s20, s16
	v_cndmask_b32_e32 v141, v141, v157, vcc
	v_cndmask_b32_e32 v140, v140, v156, vcc
	;; [unrolled: 1-line block ×5, first 2 shown]
	s_cbranch_scc1 .LBB68_631
.LBB68_632:
	s_waitcnt lgkmcnt(0)
	v_cmp_eq_f64_e32 vcc, 0, v[140:141]
	v_cmp_eq_f64_e64 s[0:1], 0, v[142:143]
	s_and_b64 s[0:1], vcc, s[0:1]
	s_and_saveexec_b64 s[16:17], s[0:1]
	s_xor_b64 s[0:1], exec, s[16:17]
; %bb.633:
	v_cmp_ne_u32_e32 vcc, 0, v154
	s_nop 1
	v_cndmask_b32_e32 v154, 31, v154, vcc
; %bb.634:
	s_andn2_saveexec_b64 s[0:1], s[0:1]
	s_cbranch_execz .LBB68_640
; %bb.635:
	v_cmp_ngt_f64_e64 s[16:17], |v[140:141]|, |v[142:143]|
	s_and_saveexec_b64 s[18:19], s[16:17]
	s_xor_b64 s[16:17], exec, s[18:19]
	s_cbranch_execz .LBB68_637
; %bb.636:
	v_div_scale_f64 v[156:157], s[18:19], v[142:143], v[142:143], v[140:141]
	v_rcp_f64_e32 v[158:159], v[156:157]
	v_div_scale_f64 v[160:161], vcc, v[140:141], v[142:143], v[140:141]
	v_fma_f64 v[162:163], -v[156:157], v[158:159], 1.0
	v_fmac_f64_e32 v[158:159], v[158:159], v[162:163]
	v_fma_f64 v[162:163], -v[156:157], v[158:159], 1.0
	v_fmac_f64_e32 v[158:159], v[158:159], v[162:163]
	v_mul_f64 v[162:163], v[160:161], v[158:159]
	v_fma_f64 v[156:157], -v[156:157], v[162:163], v[160:161]
	v_div_fmas_f64 v[156:157], v[156:157], v[158:159], v[162:163]
	v_div_fixup_f64 v[156:157], v[156:157], v[142:143], v[140:141]
	v_fmac_f64_e32 v[142:143], v[140:141], v[156:157]
	v_div_scale_f64 v[140:141], s[18:19], v[142:143], v[142:143], 1.0
	v_rcp_f64_e32 v[158:159], v[140:141]
	s_nop 0
	v_fma_f64 v[160:161], -v[140:141], v[158:159], 1.0
	v_fmac_f64_e32 v[158:159], v[158:159], v[160:161]
	v_fma_f64 v[160:161], -v[140:141], v[158:159], 1.0
	v_fmac_f64_e32 v[158:159], v[158:159], v[160:161]
	v_div_scale_f64 v[160:161], vcc, 1.0, v[142:143], 1.0
	v_mul_f64 v[162:163], v[160:161], v[158:159]
	v_fma_f64 v[140:141], -v[140:141], v[162:163], v[160:161]
	s_nop 1
	v_div_fmas_f64 v[140:141], v[140:141], v[158:159], v[162:163]
	v_div_fixup_f64 v[142:143], v[140:141], v[142:143], 1.0
	v_mul_f64 v[140:141], v[156:157], v[142:143]
	v_xor_b32_e32 v143, 0x80000000, v143
.LBB68_637:
	s_andn2_saveexec_b64 s[16:17], s[16:17]
	s_cbranch_execz .LBB68_639
; %bb.638:
	v_div_scale_f64 v[156:157], s[18:19], v[140:141], v[140:141], v[142:143]
	v_rcp_f64_e32 v[158:159], v[156:157]
	v_div_scale_f64 v[160:161], vcc, v[142:143], v[140:141], v[142:143]
	v_fma_f64 v[162:163], -v[156:157], v[158:159], 1.0
	v_fmac_f64_e32 v[158:159], v[158:159], v[162:163]
	v_fma_f64 v[162:163], -v[156:157], v[158:159], 1.0
	v_fmac_f64_e32 v[158:159], v[158:159], v[162:163]
	v_mul_f64 v[162:163], v[160:161], v[158:159]
	v_fma_f64 v[156:157], -v[156:157], v[162:163], v[160:161]
	v_div_fmas_f64 v[156:157], v[156:157], v[158:159], v[162:163]
	v_div_fixup_f64 v[156:157], v[156:157], v[140:141], v[142:143]
	v_fmac_f64_e32 v[140:141], v[142:143], v[156:157]
	v_div_scale_f64 v[142:143], s[18:19], v[140:141], v[140:141], 1.0
	v_rcp_f64_e32 v[158:159], v[142:143]
	s_nop 0
	v_fma_f64 v[160:161], -v[142:143], v[158:159], 1.0
	v_fmac_f64_e32 v[158:159], v[158:159], v[160:161]
	v_fma_f64 v[160:161], -v[142:143], v[158:159], 1.0
	v_fmac_f64_e32 v[158:159], v[158:159], v[160:161]
	v_div_scale_f64 v[160:161], vcc, 1.0, v[140:141], 1.0
	v_mul_f64 v[162:163], v[160:161], v[158:159]
	v_fma_f64 v[142:143], -v[142:143], v[162:163], v[160:161]
	s_nop 1
	v_div_fmas_f64 v[142:143], v[142:143], v[158:159], v[162:163]
	v_div_fixup_f64 v[140:141], v[142:143], v[140:141], 1.0
	v_mul_f64 v[142:143], v[156:157], -v[140:141]
.LBB68_639:
	s_or_b64 exec, exec, s[16:17]
.LBB68_640:
	s_or_b64 exec, exec, s[0:1]
	v_cmp_ne_u32_e32 vcc, v153, v150
	s_and_saveexec_b64 s[0:1], vcc
	s_xor_b64 s[0:1], exec, s[0:1]
	s_cbranch_execz .LBB68_646
; %bb.641:
	v_cmp_eq_u32_e32 vcc, 30, v153
	s_and_saveexec_b64 s[16:17], vcc
	s_cbranch_execz .LBB68_645
; %bb.642:
	v_cmp_ne_u32_e32 vcc, 30, v150
	s_xor_b64 s[18:19], s[14:15], -1
	s_and_b64 s[22:23], s[18:19], vcc
	s_and_saveexec_b64 s[18:19], s[22:23]
	s_cbranch_execz .LBB68_644
; %bb.643:
	v_ashrrev_i32_e32 v151, 31, v150
	v_lshl_add_u64 v[156:157], v[150:151], 2, v[148:149]
	global_load_dword v151, v[156:157], off
	global_load_dword v153, v[148:149], off offset:120
	s_waitcnt vmcnt(1)
	global_store_dword v[148:149], v151, off offset:120
	s_waitcnt vmcnt(1)
	global_store_dword v[156:157], v153, off
.LBB68_644:
	s_or_b64 exec, exec, s[18:19]
	v_mov_b32_e32 v153, v150
	v_mov_b32_e32 v155, v150
.LBB68_645:
	s_or_b64 exec, exec, s[16:17]
.LBB68_646:
	s_andn2_saveexec_b64 s[0:1], s[0:1]
	s_cbranch_execz .LBB68_648
; %bb.647:
	v_mov_b32_e32 v153, 30
	s_waitcnt vmcnt(3)
	ds_write2_b64 v152, v[8:9], v[10:11] offset0:62 offset1:63
	s_waitcnt vmcnt(2)
	ds_write2_b64 v152, v[4:5], v[6:7] offset0:64 offset1:65
	;; [unrolled: 2-line block ×4, first 2 shown]
.LBB68_648:
	s_or_b64 exec, exec, s[0:1]
	v_cmp_lt_i32_e32 vcc, 30, v153
	s_waitcnt lgkmcnt(0)
	s_barrier
	s_and_saveexec_b64 s[0:1], vcc
	s_cbranch_execz .LBB68_650
; %bb.649:
	ds_read2_b64 v[156:159], v152 offset0:62 offset1:63
	v_mul_f64 v[150:151], v[140:141], v[14:15]
	v_mul_f64 v[14:15], v[142:143], v[14:15]
	v_fmac_f64_e32 v[150:151], v[142:143], v[12:13]
	v_fma_f64 v[12:13], v[140:141], v[12:13], -v[14:15]
	ds_read2_b64 v[140:143], v152 offset0:64 offset1:65
	s_waitcnt lgkmcnt(1)
	v_mul_f64 v[14:15], v[158:159], v[150:151]
	v_fma_f64 v[14:15], v[156:157], v[12:13], -v[14:15]
	v_mul_f64 v[156:157], v[156:157], v[150:151]
	v_fmac_f64_e32 v[156:157], v[158:159], v[12:13]
	s_waitcnt vmcnt(3)
	v_add_f64 v[8:9], v[8:9], -v[14:15]
	s_waitcnt lgkmcnt(0)
	v_mul_f64 v[14:15], v[142:143], v[150:151]
	v_add_f64 v[10:11], v[10:11], -v[156:157]
	v_fma_f64 v[14:15], v[140:141], v[12:13], -v[14:15]
	v_mul_f64 v[140:141], v[140:141], v[150:151]
	ds_read2_b64 v[156:159], v152 offset0:66 offset1:67
	v_fmac_f64_e32 v[140:141], v[142:143], v[12:13]
	s_waitcnt vmcnt(2)
	v_add_f64 v[6:7], v[6:7], -v[140:141]
	ds_read2_b64 v[140:143], v152 offset0:68 offset1:69
	v_add_f64 v[4:5], v[4:5], -v[14:15]
	s_waitcnt lgkmcnt(1)
	v_mul_f64 v[14:15], v[158:159], v[150:151]
	v_fma_f64 v[14:15], v[156:157], v[12:13], -v[14:15]
	s_waitcnt vmcnt(1)
	v_add_f64 v[0:1], v[0:1], -v[14:15]
	s_waitcnt lgkmcnt(0)
	v_mul_f64 v[14:15], v[142:143], v[150:151]
	v_mul_f64 v[156:157], v[156:157], v[150:151]
	v_fma_f64 v[14:15], v[140:141], v[12:13], -v[14:15]
	v_mul_f64 v[140:141], v[140:141], v[150:151]
	v_fmac_f64_e32 v[156:157], v[158:159], v[12:13]
	v_fmac_f64_e32 v[140:141], v[142:143], v[12:13]
	v_add_f64 v[2:3], v[2:3], -v[156:157]
	s_waitcnt vmcnt(0)
	v_add_f64 v[136:137], v[136:137], -v[14:15]
	v_add_f64 v[138:139], v[138:139], -v[140:141]
	v_mov_b64_e32 v[14:15], v[150:151]
.LBB68_650:
	s_or_b64 exec, exec, s[0:1]
	v_lshl_add_u32 v140, v153, 4, v152
	s_barrier
	s_waitcnt vmcnt(3)
	ds_write2_b64 v140, v[8:9], v[10:11] offset1:1
	s_waitcnt lgkmcnt(0)
	s_barrier
	ds_read2_b64 v[140:143], v152 offset0:62 offset1:63
	s_cmp_lt_i32 s20, 33
	v_mov_b32_e32 v150, 31
	s_cbranch_scc1 .LBB68_653
; %bb.651:
	v_add_u32_e32 v151, 0x200, v152
	s_mov_b32 s16, 32
	v_mov_b32_e32 v150, 31
.LBB68_652:                             ; =>This Inner Loop Header: Depth=1
	ds_read2_b64 v[156:159], v151 offset1:1
	s_waitcnt lgkmcnt(1)
	v_xor_b32_e32 v161, 0x80000000, v141
	v_xor_b32_e32 v163, 0x80000000, v143
	v_cmp_gt_f64_e32 vcc, 0, v[142:143]
	v_cmp_gt_f64_e64 s[0:1], 0, v[140:141]
	v_mov_b32_e32 v160, v140
	v_mov_b32_e32 v162, v142
	v_cndmask_b32_e64 v161, v141, v161, s[0:1]
	v_cndmask_b32_e32 v163, v143, v163, vcc
	v_add_f64 v[160:161], v[160:161], v[162:163]
	s_waitcnt lgkmcnt(0)
	v_xor_b32_e32 v163, 0x80000000, v157
	v_xor_b32_e32 v165, 0x80000000, v159
	v_cmp_gt_f64_e32 vcc, 0, v[158:159]
	v_cmp_gt_f64_e64 s[0:1], 0, v[156:157]
	v_mov_b32_e32 v162, v156
	v_mov_b32_e32 v164, v158
	v_cndmask_b32_e64 v163, v157, v163, s[0:1]
	v_cndmask_b32_e32 v165, v159, v165, vcc
	v_add_f64 v[162:163], v[162:163], v[164:165]
	v_mov_b32_e32 v166, s16
	s_add_i32 s16, s16, 1
	v_cmp_lt_f64_e32 vcc, v[160:161], v[162:163]
	v_add_u32_e32 v151, 16, v151
	s_cmp_lg_u32 s20, s16
	v_cndmask_b32_e32 v141, v141, v157, vcc
	v_cndmask_b32_e32 v140, v140, v156, vcc
	;; [unrolled: 1-line block ×5, first 2 shown]
	s_cbranch_scc1 .LBB68_652
.LBB68_653:
	s_waitcnt lgkmcnt(0)
	v_cmp_eq_f64_e32 vcc, 0, v[140:141]
	v_cmp_eq_f64_e64 s[0:1], 0, v[142:143]
	s_and_b64 s[0:1], vcc, s[0:1]
	s_and_saveexec_b64 s[16:17], s[0:1]
	s_xor_b64 s[0:1], exec, s[16:17]
; %bb.654:
	v_cmp_ne_u32_e32 vcc, 0, v154
	s_nop 1
	v_cndmask_b32_e32 v154, 32, v154, vcc
; %bb.655:
	s_andn2_saveexec_b64 s[0:1], s[0:1]
	s_cbranch_execz .LBB68_661
; %bb.656:
	v_cmp_ngt_f64_e64 s[16:17], |v[140:141]|, |v[142:143]|
	s_and_saveexec_b64 s[18:19], s[16:17]
	s_xor_b64 s[16:17], exec, s[18:19]
	s_cbranch_execz .LBB68_658
; %bb.657:
	v_div_scale_f64 v[156:157], s[18:19], v[142:143], v[142:143], v[140:141]
	v_rcp_f64_e32 v[158:159], v[156:157]
	v_div_scale_f64 v[160:161], vcc, v[140:141], v[142:143], v[140:141]
	v_fma_f64 v[162:163], -v[156:157], v[158:159], 1.0
	v_fmac_f64_e32 v[158:159], v[158:159], v[162:163]
	v_fma_f64 v[162:163], -v[156:157], v[158:159], 1.0
	v_fmac_f64_e32 v[158:159], v[158:159], v[162:163]
	v_mul_f64 v[162:163], v[160:161], v[158:159]
	v_fma_f64 v[156:157], -v[156:157], v[162:163], v[160:161]
	v_div_fmas_f64 v[156:157], v[156:157], v[158:159], v[162:163]
	v_div_fixup_f64 v[156:157], v[156:157], v[142:143], v[140:141]
	v_fmac_f64_e32 v[142:143], v[140:141], v[156:157]
	v_div_scale_f64 v[140:141], s[18:19], v[142:143], v[142:143], 1.0
	v_rcp_f64_e32 v[158:159], v[140:141]
	s_nop 0
	v_fma_f64 v[160:161], -v[140:141], v[158:159], 1.0
	v_fmac_f64_e32 v[158:159], v[158:159], v[160:161]
	v_fma_f64 v[160:161], -v[140:141], v[158:159], 1.0
	v_fmac_f64_e32 v[158:159], v[158:159], v[160:161]
	v_div_scale_f64 v[160:161], vcc, 1.0, v[142:143], 1.0
	v_mul_f64 v[162:163], v[160:161], v[158:159]
	v_fma_f64 v[140:141], -v[140:141], v[162:163], v[160:161]
	s_nop 1
	v_div_fmas_f64 v[140:141], v[140:141], v[158:159], v[162:163]
	v_div_fixup_f64 v[142:143], v[140:141], v[142:143], 1.0
	v_mul_f64 v[140:141], v[156:157], v[142:143]
	v_xor_b32_e32 v143, 0x80000000, v143
.LBB68_658:
	s_andn2_saveexec_b64 s[16:17], s[16:17]
	s_cbranch_execz .LBB68_660
; %bb.659:
	v_div_scale_f64 v[156:157], s[18:19], v[140:141], v[140:141], v[142:143]
	v_rcp_f64_e32 v[158:159], v[156:157]
	v_div_scale_f64 v[160:161], vcc, v[142:143], v[140:141], v[142:143]
	v_fma_f64 v[162:163], -v[156:157], v[158:159], 1.0
	v_fmac_f64_e32 v[158:159], v[158:159], v[162:163]
	v_fma_f64 v[162:163], -v[156:157], v[158:159], 1.0
	v_fmac_f64_e32 v[158:159], v[158:159], v[162:163]
	v_mul_f64 v[162:163], v[160:161], v[158:159]
	v_fma_f64 v[156:157], -v[156:157], v[162:163], v[160:161]
	v_div_fmas_f64 v[156:157], v[156:157], v[158:159], v[162:163]
	v_div_fixup_f64 v[156:157], v[156:157], v[140:141], v[142:143]
	v_fmac_f64_e32 v[140:141], v[142:143], v[156:157]
	v_div_scale_f64 v[142:143], s[18:19], v[140:141], v[140:141], 1.0
	v_rcp_f64_e32 v[158:159], v[142:143]
	s_nop 0
	v_fma_f64 v[160:161], -v[142:143], v[158:159], 1.0
	v_fmac_f64_e32 v[158:159], v[158:159], v[160:161]
	v_fma_f64 v[160:161], -v[142:143], v[158:159], 1.0
	v_fmac_f64_e32 v[158:159], v[158:159], v[160:161]
	v_div_scale_f64 v[160:161], vcc, 1.0, v[140:141], 1.0
	v_mul_f64 v[162:163], v[160:161], v[158:159]
	v_fma_f64 v[142:143], -v[142:143], v[162:163], v[160:161]
	s_nop 1
	v_div_fmas_f64 v[142:143], v[142:143], v[158:159], v[162:163]
	v_div_fixup_f64 v[140:141], v[142:143], v[140:141], 1.0
	v_mul_f64 v[142:143], v[156:157], -v[140:141]
.LBB68_660:
	s_or_b64 exec, exec, s[16:17]
.LBB68_661:
	s_or_b64 exec, exec, s[0:1]
	v_cmp_ne_u32_e32 vcc, v153, v150
	s_and_saveexec_b64 s[0:1], vcc
	s_xor_b64 s[0:1], exec, s[0:1]
	s_cbranch_execz .LBB68_667
; %bb.662:
	v_cmp_eq_u32_e32 vcc, 31, v153
	s_and_saveexec_b64 s[16:17], vcc
	s_cbranch_execz .LBB68_666
; %bb.663:
	v_cmp_ne_u32_e32 vcc, 31, v150
	s_xor_b64 s[18:19], s[14:15], -1
	s_and_b64 s[22:23], s[18:19], vcc
	s_and_saveexec_b64 s[18:19], s[22:23]
	s_cbranch_execz .LBB68_665
; %bb.664:
	v_ashrrev_i32_e32 v151, 31, v150
	v_lshl_add_u64 v[156:157], v[150:151], 2, v[148:149]
	global_load_dword v151, v[156:157], off
	global_load_dword v153, v[148:149], off offset:124
	s_waitcnt vmcnt(1)
	global_store_dword v[148:149], v151, off offset:124
	s_waitcnt vmcnt(1)
	global_store_dword v[156:157], v153, off
.LBB68_665:
	s_or_b64 exec, exec, s[18:19]
	v_mov_b32_e32 v153, v150
	v_mov_b32_e32 v155, v150
.LBB68_666:
	s_or_b64 exec, exec, s[16:17]
.LBB68_667:
	s_andn2_saveexec_b64 s[0:1], s[0:1]
	s_cbranch_execz .LBB68_669
; %bb.668:
	v_mov_b32_e32 v153, 31
	s_waitcnt vmcnt(2)
	ds_write2_b64 v152, v[4:5], v[6:7] offset0:64 offset1:65
	s_waitcnt vmcnt(1)
	ds_write2_b64 v152, v[0:1], v[2:3] offset0:66 offset1:67
	;; [unrolled: 2-line block ×3, first 2 shown]
.LBB68_669:
	s_or_b64 exec, exec, s[0:1]
	v_cmp_lt_i32_e32 vcc, 31, v153
	s_waitcnt lgkmcnt(0)
	s_barrier
	s_and_saveexec_b64 s[0:1], vcc
	s_cbranch_execz .LBB68_671
; %bb.670:
	ds_read2_b64 v[156:159], v152 offset0:64 offset1:65
	v_mul_f64 v[150:151], v[140:141], v[10:11]
	v_fmac_f64_e32 v[150:151], v[142:143], v[8:9]
	v_mul_f64 v[10:11], v[142:143], v[10:11]
	v_fma_f64 v[8:9], v[140:141], v[8:9], -v[10:11]
	ds_read2_b64 v[140:143], v152 offset0:66 offset1:67
	s_waitcnt lgkmcnt(1)
	v_mul_f64 v[10:11], v[158:159], v[150:151]
	v_fma_f64 v[10:11], v[156:157], v[8:9], -v[10:11]
	v_mul_f64 v[156:157], v[156:157], v[150:151]
	v_fmac_f64_e32 v[156:157], v[158:159], v[8:9]
	s_waitcnt vmcnt(2)
	v_add_f64 v[6:7], v[6:7], -v[156:157]
	ds_read2_b64 v[156:159], v152 offset0:68 offset1:69
	v_add_f64 v[4:5], v[4:5], -v[10:11]
	s_waitcnt lgkmcnt(1)
	v_mul_f64 v[10:11], v[142:143], v[150:151]
	v_fma_f64 v[10:11], v[140:141], v[8:9], -v[10:11]
	v_mul_f64 v[140:141], v[140:141], v[150:151]
	v_fmac_f64_e32 v[140:141], v[142:143], v[8:9]
	s_waitcnt vmcnt(1)
	v_add_f64 v[0:1], v[0:1], -v[10:11]
	v_add_f64 v[2:3], v[2:3], -v[140:141]
	s_waitcnt lgkmcnt(0)
	v_mul_f64 v[10:11], v[158:159], v[150:151]
	v_mul_f64 v[140:141], v[156:157], v[150:151]
	v_fma_f64 v[10:11], v[156:157], v[8:9], -v[10:11]
	v_fmac_f64_e32 v[140:141], v[158:159], v[8:9]
	s_waitcnt vmcnt(0)
	v_add_f64 v[136:137], v[136:137], -v[10:11]
	v_add_f64 v[138:139], v[138:139], -v[140:141]
	v_mov_b64_e32 v[10:11], v[150:151]
.LBB68_671:
	s_or_b64 exec, exec, s[0:1]
	v_lshl_add_u32 v140, v153, 4, v152
	s_barrier
	s_waitcnt vmcnt(2)
	ds_write2_b64 v140, v[4:5], v[6:7] offset1:1
	s_waitcnt lgkmcnt(0)
	s_barrier
	ds_read2_b64 v[140:143], v152 offset0:64 offset1:65
	s_cmp_lt_i32 s20, 34
	v_mov_b32_e32 v150, 32
	s_cbranch_scc1 .LBB68_674
; %bb.672:
	v_add_u32_e32 v151, 0x210, v152
	s_mov_b32 s16, 33
	v_mov_b32_e32 v150, 32
.LBB68_673:                             ; =>This Inner Loop Header: Depth=1
	ds_read2_b64 v[156:159], v151 offset1:1
	s_waitcnt lgkmcnt(1)
	v_xor_b32_e32 v161, 0x80000000, v141
	v_xor_b32_e32 v163, 0x80000000, v143
	v_cmp_gt_f64_e32 vcc, 0, v[142:143]
	v_cmp_gt_f64_e64 s[0:1], 0, v[140:141]
	v_mov_b32_e32 v160, v140
	v_mov_b32_e32 v162, v142
	v_cndmask_b32_e64 v161, v141, v161, s[0:1]
	v_cndmask_b32_e32 v163, v143, v163, vcc
	v_add_f64 v[160:161], v[160:161], v[162:163]
	s_waitcnt lgkmcnt(0)
	v_xor_b32_e32 v163, 0x80000000, v157
	v_xor_b32_e32 v165, 0x80000000, v159
	v_cmp_gt_f64_e32 vcc, 0, v[158:159]
	v_cmp_gt_f64_e64 s[0:1], 0, v[156:157]
	v_mov_b32_e32 v162, v156
	v_mov_b32_e32 v164, v158
	v_cndmask_b32_e64 v163, v157, v163, s[0:1]
	v_cndmask_b32_e32 v165, v159, v165, vcc
	v_add_f64 v[162:163], v[162:163], v[164:165]
	v_mov_b32_e32 v166, s16
	s_add_i32 s16, s16, 1
	v_cmp_lt_f64_e32 vcc, v[160:161], v[162:163]
	v_add_u32_e32 v151, 16, v151
	s_cmp_lg_u32 s20, s16
	v_cndmask_b32_e32 v141, v141, v157, vcc
	v_cndmask_b32_e32 v140, v140, v156, vcc
	;; [unrolled: 1-line block ×5, first 2 shown]
	s_cbranch_scc1 .LBB68_673
.LBB68_674:
	s_waitcnt lgkmcnt(0)
	v_cmp_eq_f64_e32 vcc, 0, v[140:141]
	v_cmp_eq_f64_e64 s[0:1], 0, v[142:143]
	s_and_b64 s[0:1], vcc, s[0:1]
	s_and_saveexec_b64 s[16:17], s[0:1]
	s_xor_b64 s[0:1], exec, s[16:17]
; %bb.675:
	v_cmp_ne_u32_e32 vcc, 0, v154
	s_nop 1
	v_cndmask_b32_e32 v154, 33, v154, vcc
; %bb.676:
	s_andn2_saveexec_b64 s[0:1], s[0:1]
	s_cbranch_execz .LBB68_682
; %bb.677:
	v_cmp_ngt_f64_e64 s[16:17], |v[140:141]|, |v[142:143]|
	s_and_saveexec_b64 s[18:19], s[16:17]
	s_xor_b64 s[16:17], exec, s[18:19]
	s_cbranch_execz .LBB68_679
; %bb.678:
	v_div_scale_f64 v[156:157], s[18:19], v[142:143], v[142:143], v[140:141]
	v_rcp_f64_e32 v[158:159], v[156:157]
	v_div_scale_f64 v[160:161], vcc, v[140:141], v[142:143], v[140:141]
	v_fma_f64 v[162:163], -v[156:157], v[158:159], 1.0
	v_fmac_f64_e32 v[158:159], v[158:159], v[162:163]
	v_fma_f64 v[162:163], -v[156:157], v[158:159], 1.0
	v_fmac_f64_e32 v[158:159], v[158:159], v[162:163]
	v_mul_f64 v[162:163], v[160:161], v[158:159]
	v_fma_f64 v[156:157], -v[156:157], v[162:163], v[160:161]
	v_div_fmas_f64 v[156:157], v[156:157], v[158:159], v[162:163]
	v_div_fixup_f64 v[156:157], v[156:157], v[142:143], v[140:141]
	v_fmac_f64_e32 v[142:143], v[140:141], v[156:157]
	v_div_scale_f64 v[140:141], s[18:19], v[142:143], v[142:143], 1.0
	v_rcp_f64_e32 v[158:159], v[140:141]
	s_nop 0
	v_fma_f64 v[160:161], -v[140:141], v[158:159], 1.0
	v_fmac_f64_e32 v[158:159], v[158:159], v[160:161]
	v_fma_f64 v[160:161], -v[140:141], v[158:159], 1.0
	v_fmac_f64_e32 v[158:159], v[158:159], v[160:161]
	v_div_scale_f64 v[160:161], vcc, 1.0, v[142:143], 1.0
	v_mul_f64 v[162:163], v[160:161], v[158:159]
	v_fma_f64 v[140:141], -v[140:141], v[162:163], v[160:161]
	s_nop 1
	v_div_fmas_f64 v[140:141], v[140:141], v[158:159], v[162:163]
	v_div_fixup_f64 v[142:143], v[140:141], v[142:143], 1.0
	v_mul_f64 v[140:141], v[156:157], v[142:143]
	v_xor_b32_e32 v143, 0x80000000, v143
.LBB68_679:
	s_andn2_saveexec_b64 s[16:17], s[16:17]
	s_cbranch_execz .LBB68_681
; %bb.680:
	v_div_scale_f64 v[156:157], s[18:19], v[140:141], v[140:141], v[142:143]
	v_rcp_f64_e32 v[158:159], v[156:157]
	v_div_scale_f64 v[160:161], vcc, v[142:143], v[140:141], v[142:143]
	v_fma_f64 v[162:163], -v[156:157], v[158:159], 1.0
	v_fmac_f64_e32 v[158:159], v[158:159], v[162:163]
	v_fma_f64 v[162:163], -v[156:157], v[158:159], 1.0
	v_fmac_f64_e32 v[158:159], v[158:159], v[162:163]
	v_mul_f64 v[162:163], v[160:161], v[158:159]
	v_fma_f64 v[156:157], -v[156:157], v[162:163], v[160:161]
	v_div_fmas_f64 v[156:157], v[156:157], v[158:159], v[162:163]
	v_div_fixup_f64 v[156:157], v[156:157], v[140:141], v[142:143]
	v_fmac_f64_e32 v[140:141], v[142:143], v[156:157]
	v_div_scale_f64 v[142:143], s[18:19], v[140:141], v[140:141], 1.0
	v_rcp_f64_e32 v[158:159], v[142:143]
	s_nop 0
	v_fma_f64 v[160:161], -v[142:143], v[158:159], 1.0
	v_fmac_f64_e32 v[158:159], v[158:159], v[160:161]
	v_fma_f64 v[160:161], -v[142:143], v[158:159], 1.0
	v_fmac_f64_e32 v[158:159], v[158:159], v[160:161]
	v_div_scale_f64 v[160:161], vcc, 1.0, v[140:141], 1.0
	v_mul_f64 v[162:163], v[160:161], v[158:159]
	v_fma_f64 v[142:143], -v[142:143], v[162:163], v[160:161]
	s_nop 1
	v_div_fmas_f64 v[142:143], v[142:143], v[158:159], v[162:163]
	v_div_fixup_f64 v[140:141], v[142:143], v[140:141], 1.0
	v_mul_f64 v[142:143], v[156:157], -v[140:141]
.LBB68_681:
	s_or_b64 exec, exec, s[16:17]
.LBB68_682:
	s_or_b64 exec, exec, s[0:1]
	v_cmp_ne_u32_e32 vcc, v153, v150
	s_and_saveexec_b64 s[0:1], vcc
	s_xor_b64 s[0:1], exec, s[0:1]
	s_cbranch_execz .LBB68_688
; %bb.683:
	v_cmp_eq_u32_e32 vcc, 32, v153
	s_and_saveexec_b64 s[16:17], vcc
	s_cbranch_execz .LBB68_687
; %bb.684:
	v_cmp_ne_u32_e32 vcc, 32, v150
	s_xor_b64 s[18:19], s[14:15], -1
	s_and_b64 s[22:23], s[18:19], vcc
	s_and_saveexec_b64 s[18:19], s[22:23]
	s_cbranch_execz .LBB68_686
; %bb.685:
	v_ashrrev_i32_e32 v151, 31, v150
	v_lshl_add_u64 v[156:157], v[150:151], 2, v[148:149]
	global_load_dword v151, v[156:157], off
	global_load_dword v153, v[148:149], off offset:128
	s_waitcnt vmcnt(1)
	global_store_dword v[148:149], v151, off offset:128
	s_waitcnt vmcnt(1)
	global_store_dword v[156:157], v153, off
.LBB68_686:
	s_or_b64 exec, exec, s[18:19]
	v_mov_b32_e32 v153, v150
	v_mov_b32_e32 v155, v150
.LBB68_687:
	s_or_b64 exec, exec, s[16:17]
.LBB68_688:
	s_andn2_saveexec_b64 s[0:1], s[0:1]
	s_cbranch_execz .LBB68_690
; %bb.689:
	v_mov_b32_e32 v153, 32
	s_waitcnt vmcnt(1)
	ds_write2_b64 v152, v[0:1], v[2:3] offset0:66 offset1:67
	s_waitcnt vmcnt(0)
	ds_write2_b64 v152, v[136:137], v[138:139] offset0:68 offset1:69
.LBB68_690:
	s_or_b64 exec, exec, s[0:1]
	v_cmp_lt_i32_e32 vcc, 32, v153
	s_waitcnt lgkmcnt(0)
	s_barrier
	s_and_saveexec_b64 s[0:1], vcc
	s_cbranch_execz .LBB68_692
; %bb.691:
	ds_read2_b64 v[156:159], v152 offset0:66 offset1:67
	v_mul_f64 v[150:151], v[140:141], v[6:7]
	v_mul_f64 v[6:7], v[142:143], v[6:7]
	v_fmac_f64_e32 v[150:151], v[142:143], v[4:5]
	v_fma_f64 v[4:5], v[140:141], v[4:5], -v[6:7]
	ds_read2_b64 v[140:143], v152 offset0:68 offset1:69
	s_waitcnt lgkmcnt(1)
	v_mul_f64 v[6:7], v[158:159], v[150:151]
	v_fma_f64 v[6:7], v[156:157], v[4:5], -v[6:7]
	s_waitcnt vmcnt(1)
	v_add_f64 v[0:1], v[0:1], -v[6:7]
	v_mul_f64 v[156:157], v[156:157], v[150:151]
	s_waitcnt lgkmcnt(0)
	v_mul_f64 v[6:7], v[142:143], v[150:151]
	v_fma_f64 v[6:7], v[140:141], v[4:5], -v[6:7]
	v_mul_f64 v[140:141], v[140:141], v[150:151]
	v_fmac_f64_e32 v[156:157], v[158:159], v[4:5]
	v_fmac_f64_e32 v[140:141], v[142:143], v[4:5]
	v_add_f64 v[2:3], v[2:3], -v[156:157]
	s_waitcnt vmcnt(0)
	v_add_f64 v[136:137], v[136:137], -v[6:7]
	v_add_f64 v[138:139], v[138:139], -v[140:141]
	v_mov_b64_e32 v[6:7], v[150:151]
.LBB68_692:
	s_or_b64 exec, exec, s[0:1]
	v_lshl_add_u32 v140, v153, 4, v152
	s_barrier
	s_waitcnt vmcnt(1)
	ds_write2_b64 v140, v[0:1], v[2:3] offset1:1
	s_waitcnt lgkmcnt(0)
	s_barrier
	ds_read2_b64 v[140:143], v152 offset0:66 offset1:67
	s_cmp_lt_i32 s20, 35
	v_mov_b32_e32 v150, 33
	s_cbranch_scc1 .LBB68_695
; %bb.693:
	v_add_u32_e32 v151, 0x220, v152
	s_mov_b32 s16, 34
	v_mov_b32_e32 v150, 33
.LBB68_694:                             ; =>This Inner Loop Header: Depth=1
	ds_read2_b64 v[156:159], v151 offset1:1
	s_waitcnt lgkmcnt(1)
	v_xor_b32_e32 v161, 0x80000000, v141
	v_xor_b32_e32 v163, 0x80000000, v143
	v_cmp_gt_f64_e32 vcc, 0, v[142:143]
	v_cmp_gt_f64_e64 s[0:1], 0, v[140:141]
	v_mov_b32_e32 v160, v140
	v_mov_b32_e32 v162, v142
	v_cndmask_b32_e64 v161, v141, v161, s[0:1]
	v_cndmask_b32_e32 v163, v143, v163, vcc
	v_add_f64 v[160:161], v[160:161], v[162:163]
	s_waitcnt lgkmcnt(0)
	v_xor_b32_e32 v163, 0x80000000, v157
	v_xor_b32_e32 v165, 0x80000000, v159
	v_cmp_gt_f64_e32 vcc, 0, v[158:159]
	v_cmp_gt_f64_e64 s[0:1], 0, v[156:157]
	v_mov_b32_e32 v162, v156
	v_mov_b32_e32 v164, v158
	v_cndmask_b32_e64 v163, v157, v163, s[0:1]
	v_cndmask_b32_e32 v165, v159, v165, vcc
	v_add_f64 v[162:163], v[162:163], v[164:165]
	v_mov_b32_e32 v166, s16
	s_add_i32 s16, s16, 1
	v_cmp_lt_f64_e32 vcc, v[160:161], v[162:163]
	v_add_u32_e32 v151, 16, v151
	s_cmp_lg_u32 s20, s16
	v_cndmask_b32_e32 v141, v141, v157, vcc
	v_cndmask_b32_e32 v140, v140, v156, vcc
	;; [unrolled: 1-line block ×5, first 2 shown]
	s_cbranch_scc1 .LBB68_694
.LBB68_695:
	s_waitcnt lgkmcnt(0)
	v_cmp_eq_f64_e32 vcc, 0, v[140:141]
	v_cmp_eq_f64_e64 s[0:1], 0, v[142:143]
	s_and_b64 s[0:1], vcc, s[0:1]
	s_and_saveexec_b64 s[16:17], s[0:1]
	s_xor_b64 s[0:1], exec, s[16:17]
; %bb.696:
	v_cmp_ne_u32_e32 vcc, 0, v154
	s_nop 1
	v_cndmask_b32_e32 v154, 34, v154, vcc
; %bb.697:
	s_andn2_saveexec_b64 s[0:1], s[0:1]
	s_cbranch_execz .LBB68_703
; %bb.698:
	v_cmp_ngt_f64_e64 s[16:17], |v[140:141]|, |v[142:143]|
	s_and_saveexec_b64 s[18:19], s[16:17]
	s_xor_b64 s[16:17], exec, s[18:19]
	s_cbranch_execz .LBB68_700
; %bb.699:
	v_div_scale_f64 v[156:157], s[18:19], v[142:143], v[142:143], v[140:141]
	v_rcp_f64_e32 v[158:159], v[156:157]
	v_div_scale_f64 v[160:161], vcc, v[140:141], v[142:143], v[140:141]
	v_fma_f64 v[162:163], -v[156:157], v[158:159], 1.0
	v_fmac_f64_e32 v[158:159], v[158:159], v[162:163]
	v_fma_f64 v[162:163], -v[156:157], v[158:159], 1.0
	v_fmac_f64_e32 v[158:159], v[158:159], v[162:163]
	v_mul_f64 v[162:163], v[160:161], v[158:159]
	v_fma_f64 v[156:157], -v[156:157], v[162:163], v[160:161]
	v_div_fmas_f64 v[156:157], v[156:157], v[158:159], v[162:163]
	v_div_fixup_f64 v[156:157], v[156:157], v[142:143], v[140:141]
	v_fmac_f64_e32 v[142:143], v[140:141], v[156:157]
	v_div_scale_f64 v[140:141], s[18:19], v[142:143], v[142:143], 1.0
	v_rcp_f64_e32 v[158:159], v[140:141]
	s_nop 0
	v_fma_f64 v[160:161], -v[140:141], v[158:159], 1.0
	v_fmac_f64_e32 v[158:159], v[158:159], v[160:161]
	v_fma_f64 v[160:161], -v[140:141], v[158:159], 1.0
	v_fmac_f64_e32 v[158:159], v[158:159], v[160:161]
	v_div_scale_f64 v[160:161], vcc, 1.0, v[142:143], 1.0
	v_mul_f64 v[162:163], v[160:161], v[158:159]
	v_fma_f64 v[140:141], -v[140:141], v[162:163], v[160:161]
	s_nop 1
	v_div_fmas_f64 v[140:141], v[140:141], v[158:159], v[162:163]
	v_div_fixup_f64 v[142:143], v[140:141], v[142:143], 1.0
	v_mul_f64 v[140:141], v[156:157], v[142:143]
	v_xor_b32_e32 v143, 0x80000000, v143
.LBB68_700:
	s_andn2_saveexec_b64 s[16:17], s[16:17]
	s_cbranch_execz .LBB68_702
; %bb.701:
	v_div_scale_f64 v[156:157], s[18:19], v[140:141], v[140:141], v[142:143]
	v_rcp_f64_e32 v[158:159], v[156:157]
	v_div_scale_f64 v[160:161], vcc, v[142:143], v[140:141], v[142:143]
	v_fma_f64 v[162:163], -v[156:157], v[158:159], 1.0
	v_fmac_f64_e32 v[158:159], v[158:159], v[162:163]
	v_fma_f64 v[162:163], -v[156:157], v[158:159], 1.0
	v_fmac_f64_e32 v[158:159], v[158:159], v[162:163]
	v_mul_f64 v[162:163], v[160:161], v[158:159]
	v_fma_f64 v[156:157], -v[156:157], v[162:163], v[160:161]
	v_div_fmas_f64 v[156:157], v[156:157], v[158:159], v[162:163]
	v_div_fixup_f64 v[156:157], v[156:157], v[140:141], v[142:143]
	v_fmac_f64_e32 v[140:141], v[142:143], v[156:157]
	v_div_scale_f64 v[142:143], s[18:19], v[140:141], v[140:141], 1.0
	v_rcp_f64_e32 v[158:159], v[142:143]
	s_nop 0
	v_fma_f64 v[160:161], -v[142:143], v[158:159], 1.0
	v_fmac_f64_e32 v[158:159], v[158:159], v[160:161]
	v_fma_f64 v[160:161], -v[142:143], v[158:159], 1.0
	v_fmac_f64_e32 v[158:159], v[158:159], v[160:161]
	v_div_scale_f64 v[160:161], vcc, 1.0, v[140:141], 1.0
	v_mul_f64 v[162:163], v[160:161], v[158:159]
	v_fma_f64 v[142:143], -v[142:143], v[162:163], v[160:161]
	s_nop 1
	v_div_fmas_f64 v[142:143], v[142:143], v[158:159], v[162:163]
	v_div_fixup_f64 v[140:141], v[142:143], v[140:141], 1.0
	v_mul_f64 v[142:143], v[156:157], -v[140:141]
.LBB68_702:
	s_or_b64 exec, exec, s[16:17]
.LBB68_703:
	s_or_b64 exec, exec, s[0:1]
	v_cmp_ne_u32_e32 vcc, v153, v150
	s_and_saveexec_b64 s[0:1], vcc
	s_xor_b64 s[0:1], exec, s[0:1]
	s_cbranch_execz .LBB68_709
; %bb.704:
	v_cmp_eq_u32_e32 vcc, 33, v153
	s_and_saveexec_b64 s[16:17], vcc
	s_cbranch_execz .LBB68_708
; %bb.705:
	v_cmp_ne_u32_e32 vcc, 33, v150
	s_xor_b64 s[18:19], s[14:15], -1
	s_and_b64 s[22:23], s[18:19], vcc
	s_and_saveexec_b64 s[18:19], s[22:23]
	s_cbranch_execz .LBB68_707
; %bb.706:
	v_ashrrev_i32_e32 v151, 31, v150
	v_lshl_add_u64 v[156:157], v[150:151], 2, v[148:149]
	global_load_dword v151, v[156:157], off
	global_load_dword v153, v[148:149], off offset:132
	s_waitcnt vmcnt(1)
	global_store_dword v[148:149], v151, off offset:132
	s_waitcnt vmcnt(1)
	global_store_dword v[156:157], v153, off
.LBB68_707:
	s_or_b64 exec, exec, s[18:19]
	v_mov_b32_e32 v153, v150
	v_mov_b32_e32 v155, v150
.LBB68_708:
	s_or_b64 exec, exec, s[16:17]
.LBB68_709:
	s_andn2_saveexec_b64 s[0:1], s[0:1]
	s_cbranch_execz .LBB68_711
; %bb.710:
	v_mov_b32_e32 v153, 33
	s_waitcnt vmcnt(0)
	ds_write2_b64 v152, v[136:137], v[138:139] offset0:68 offset1:69
.LBB68_711:
	s_or_b64 exec, exec, s[0:1]
	v_cmp_lt_i32_e32 vcc, 33, v153
	s_waitcnt lgkmcnt(0)
	s_barrier
	s_and_saveexec_b64 s[0:1], vcc
	s_cbranch_execz .LBB68_713
; %bb.712:
	ds_read2_b64 v[156:159], v152 offset0:68 offset1:69
	v_mul_f64 v[150:151], v[140:141], v[2:3]
	v_mul_f64 v[2:3], v[142:143], v[2:3]
	v_fmac_f64_e32 v[150:151], v[142:143], v[0:1]
	v_fma_f64 v[0:1], v[140:141], v[0:1], -v[2:3]
	s_waitcnt lgkmcnt(0)
	v_mul_f64 v[2:3], v[158:159], v[150:151]
	v_mul_f64 v[140:141], v[156:157], v[150:151]
	v_fma_f64 v[2:3], v[156:157], v[0:1], -v[2:3]
	v_fmac_f64_e32 v[140:141], v[158:159], v[0:1]
	s_waitcnt vmcnt(0)
	v_add_f64 v[136:137], v[136:137], -v[2:3]
	v_add_f64 v[138:139], v[138:139], -v[140:141]
	v_mov_b64_e32 v[2:3], v[150:151]
.LBB68_713:
	s_or_b64 exec, exec, s[0:1]
	v_lshl_add_u32 v140, v153, 4, v152
	s_barrier
	s_waitcnt vmcnt(0)
	ds_write2_b64 v140, v[136:137], v[138:139] offset1:1
	s_waitcnt lgkmcnt(0)
	s_barrier
	ds_read2_b64 v[140:143], v152 offset0:68 offset1:69
	s_cmp_lt_i32 s20, 36
	v_mov_b32_e32 v150, 34
	s_cbranch_scc1 .LBB68_716
; %bb.714:
	v_add_u32_e32 v151, 0x230, v152
	s_mov_b32 s16, 35
	v_mov_b32_e32 v150, 34
.LBB68_715:                             ; =>This Inner Loop Header: Depth=1
	ds_read2_b64 v[156:159], v151 offset1:1
	s_waitcnt lgkmcnt(1)
	v_xor_b32_e32 v152, 0x80000000, v141
	v_xor_b32_e32 v163, 0x80000000, v143
	v_cmp_gt_f64_e32 vcc, 0, v[142:143]
	v_cmp_gt_f64_e64 s[0:1], 0, v[140:141]
	v_mov_b32_e32 v160, v140
	v_mov_b32_e32 v162, v142
	v_cndmask_b32_e64 v161, v141, v152, s[0:1]
	v_cndmask_b32_e32 v163, v143, v163, vcc
	s_waitcnt lgkmcnt(0)
	v_xor_b32_e32 v152, 0x80000000, v157
	v_xor_b32_e32 v165, 0x80000000, v159
	v_cmp_gt_f64_e32 vcc, 0, v[158:159]
	v_cmp_gt_f64_e64 s[0:1], 0, v[156:157]
	v_add_f64 v[160:161], v[160:161], v[162:163]
	v_mov_b32_e32 v162, v156
	v_mov_b32_e32 v164, v158
	v_cndmask_b32_e64 v163, v157, v152, s[0:1]
	v_cndmask_b32_e32 v165, v159, v165, vcc
	v_add_f64 v[162:163], v[162:163], v[164:165]
	v_mov_b32_e32 v166, s16
	s_add_i32 s16, s16, 1
	v_cmp_lt_f64_e32 vcc, v[160:161], v[162:163]
	v_add_u32_e32 v151, 16, v151
	s_cmp_lg_u32 s20, s16
	v_cndmask_b32_e32 v141, v141, v157, vcc
	v_cndmask_b32_e32 v140, v140, v156, vcc
	v_cndmask_b32_e32 v143, v143, v159, vcc
	v_cndmask_b32_e32 v142, v142, v158, vcc
	v_cndmask_b32_e32 v150, v150, v166, vcc
	s_cbranch_scc1 .LBB68_715
.LBB68_716:
	s_waitcnt lgkmcnt(0)
	v_cmp_eq_f64_e32 vcc, 0, v[140:141]
	v_cmp_eq_f64_e64 s[0:1], 0, v[142:143]
	s_and_b64 s[0:1], vcc, s[0:1]
	s_and_saveexec_b64 s[16:17], s[0:1]
	s_xor_b64 s[0:1], exec, s[16:17]
; %bb.717:
	v_cmp_ne_u32_e32 vcc, 0, v154
	s_nop 1
	v_cndmask_b32_e32 v154, 35, v154, vcc
; %bb.718:
	s_andn2_saveexec_b64 s[0:1], s[0:1]
	s_cbranch_execz .LBB68_724
; %bb.719:
	v_cmp_ngt_f64_e64 s[16:17], |v[140:141]|, |v[142:143]|
	s_and_saveexec_b64 s[18:19], s[16:17]
	s_xor_b64 s[16:17], exec, s[18:19]
	s_cbranch_execz .LBB68_721
; %bb.720:
	v_div_scale_f64 v[156:157], s[18:19], v[142:143], v[142:143], v[140:141]
	v_rcp_f64_e32 v[158:159], v[156:157]
	v_div_scale_f64 v[160:161], vcc, v[140:141], v[142:143], v[140:141]
	v_fma_f64 v[162:163], -v[156:157], v[158:159], 1.0
	v_fmac_f64_e32 v[158:159], v[158:159], v[162:163]
	v_fma_f64 v[162:163], -v[156:157], v[158:159], 1.0
	v_fmac_f64_e32 v[158:159], v[158:159], v[162:163]
	v_mul_f64 v[162:163], v[160:161], v[158:159]
	v_fma_f64 v[156:157], -v[156:157], v[162:163], v[160:161]
	v_div_fmas_f64 v[156:157], v[156:157], v[158:159], v[162:163]
	v_div_fixup_f64 v[156:157], v[156:157], v[142:143], v[140:141]
	v_fmac_f64_e32 v[142:143], v[140:141], v[156:157]
	v_div_scale_f64 v[140:141], s[18:19], v[142:143], v[142:143], 1.0
	v_rcp_f64_e32 v[158:159], v[140:141]
	s_nop 0
	v_fma_f64 v[160:161], -v[140:141], v[158:159], 1.0
	v_fmac_f64_e32 v[158:159], v[158:159], v[160:161]
	v_fma_f64 v[160:161], -v[140:141], v[158:159], 1.0
	v_fmac_f64_e32 v[158:159], v[158:159], v[160:161]
	v_div_scale_f64 v[160:161], vcc, 1.0, v[142:143], 1.0
	v_mul_f64 v[162:163], v[160:161], v[158:159]
	v_fma_f64 v[140:141], -v[140:141], v[162:163], v[160:161]
	s_nop 1
	v_div_fmas_f64 v[140:141], v[140:141], v[158:159], v[162:163]
	v_div_fixup_f64 v[142:143], v[140:141], v[142:143], 1.0
	v_mul_f64 v[140:141], v[156:157], v[142:143]
	v_xor_b32_e32 v143, 0x80000000, v143
.LBB68_721:
	s_andn2_saveexec_b64 s[16:17], s[16:17]
	s_cbranch_execz .LBB68_723
; %bb.722:
	v_div_scale_f64 v[156:157], s[18:19], v[140:141], v[140:141], v[142:143]
	v_rcp_f64_e32 v[158:159], v[156:157]
	v_div_scale_f64 v[160:161], vcc, v[142:143], v[140:141], v[142:143]
	v_fma_f64 v[162:163], -v[156:157], v[158:159], 1.0
	v_fmac_f64_e32 v[158:159], v[158:159], v[162:163]
	v_fma_f64 v[162:163], -v[156:157], v[158:159], 1.0
	v_fmac_f64_e32 v[158:159], v[158:159], v[162:163]
	v_mul_f64 v[162:163], v[160:161], v[158:159]
	v_fma_f64 v[156:157], -v[156:157], v[162:163], v[160:161]
	v_div_fmas_f64 v[156:157], v[156:157], v[158:159], v[162:163]
	v_div_fixup_f64 v[156:157], v[156:157], v[140:141], v[142:143]
	v_fmac_f64_e32 v[140:141], v[142:143], v[156:157]
	v_div_scale_f64 v[142:143], s[18:19], v[140:141], v[140:141], 1.0
	v_rcp_f64_e32 v[158:159], v[142:143]
	s_nop 0
	v_fma_f64 v[160:161], -v[142:143], v[158:159], 1.0
	v_fmac_f64_e32 v[158:159], v[158:159], v[160:161]
	v_fma_f64 v[160:161], -v[142:143], v[158:159], 1.0
	v_fmac_f64_e32 v[158:159], v[158:159], v[160:161]
	v_div_scale_f64 v[160:161], vcc, 1.0, v[140:141], 1.0
	v_mul_f64 v[162:163], v[160:161], v[158:159]
	v_fma_f64 v[142:143], -v[142:143], v[162:163], v[160:161]
	s_nop 1
	v_div_fmas_f64 v[142:143], v[142:143], v[158:159], v[162:163]
	v_div_fixup_f64 v[140:141], v[142:143], v[140:141], 1.0
	v_mul_f64 v[142:143], v[156:157], -v[140:141]
.LBB68_723:
	s_or_b64 exec, exec, s[16:17]
.LBB68_724:
	s_or_b64 exec, exec, s[0:1]
	v_cmp_ne_u32_e32 vcc, v153, v150
	v_mov_b32_e32 v152, 34
	s_and_saveexec_b64 s[0:1], vcc
	s_cbranch_execz .LBB68_730
; %bb.725:
	v_cmp_eq_u32_e32 vcc, 34, v153
	s_and_saveexec_b64 s[16:17], vcc
	s_cbranch_execz .LBB68_729
; %bb.726:
	v_cmp_ne_u32_e32 vcc, 34, v150
	s_xor_b64 s[14:15], s[14:15], -1
	s_and_b64 s[18:19], s[14:15], vcc
	s_and_saveexec_b64 s[14:15], s[18:19]
	s_cbranch_execz .LBB68_728
; %bb.727:
	v_ashrrev_i32_e32 v151, 31, v150
	v_lshl_add_u64 v[152:153], v[150:151], 2, v[148:149]
	global_load_dword v151, v[152:153], off
	global_load_dword v155, v[148:149], off offset:136
	s_waitcnt vmcnt(1)
	global_store_dword v[148:149], v151, off offset:136
	s_waitcnt vmcnt(1)
	global_store_dword v[152:153], v155, off
.LBB68_728:
	s_or_b64 exec, exec, s[14:15]
	v_mov_b32_e32 v153, v150
	v_mov_b32_e32 v155, v150
.LBB68_729:
	s_or_b64 exec, exec, s[16:17]
	v_mov_b32_e32 v152, v153
.LBB68_730:
	s_or_b64 exec, exec, s[0:1]
	v_cmp_gt_i32_e32 vcc, 35, v152
	v_ashrrev_i32_e32 v153, 31, v152
	s_barrier
	s_barrier
	s_and_saveexec_b64 s[0:1], vcc
	s_cbranch_execz .LBB68_732
; %bb.731:
	v_mov_b32_e32 v148, s6
	v_mov_b32_e32 v149, s7
	v_mul_lo_u32 v156, s11, v146
	v_mul_lo_u32 v157, s10, v147
	v_mad_u64_u32 v[150:151], s[6:7], s10, v146, 0
	v_add3_u32 v151, v151, v157, v156
	v_lshl_add_u64 v[148:149], v[150:151], 2, v[148:149]
	v_lshl_add_u64 v[148:149], s[8:9], 2, v[148:149]
	;; [unrolled: 1-line block ×3, first 2 shown]
	v_add3_u32 v150, v155, s13, 1
	global_store_dword v[148:149], v150, off
.LBB68_732:
	s_or_b64 exec, exec, s[0:1]
	v_cmp_eq_u32_e32 vcc, 0, v152
	s_and_saveexec_b64 s[6:7], vcc
	s_cbranch_execz .LBB68_735
; %bb.733:
	v_mov_b32_e32 v148, s4
	v_mov_b32_e32 v149, s5
	v_lshl_add_u64 v[146:147], v[146:147], 2, v[148:149]
	global_load_dword v148, v[146:147], off
	v_cmp_ne_u32_e64 s[0:1], 0, v154
	s_waitcnt vmcnt(0)
	v_cmp_eq_u32_e32 vcc, 0, v148
	s_and_b64 s[0:1], vcc, s[0:1]
	s_and_b64 exec, exec, s[0:1]
	s_cbranch_execz .LBB68_735
; %bb.734:
	v_add_u32_e32 v148, s13, v154
	global_store_dword v[146:147], v148, off
.LBB68_735:
	s_or_b64 exec, exec, s[6:7]
	v_mul_f64 v[146:147], v[142:143], v[138:139]
	v_fma_f64 v[146:147], v[140:141], v[136:137], -v[146:147]
	v_mul_f64 v[140:141], v[140:141], v[138:139]
	v_fmac_f64_e32 v[140:141], v[142:143], v[136:137]
	v_cmp_lt_i32_e32 vcc, 34, v152
	s_nop 1
	v_cndmask_b32_e32 v139, v139, v141, vcc
	v_cndmask_b32_e32 v138, v138, v140, vcc
	v_lshl_add_u64 v[140:141], v[152:153], 4, v[144:145]
	global_store_dwordx4 v[140:141], v[96:99], off
	v_cndmask_b32_e32 v137, v137, v147, vcc
	v_cndmask_b32_e32 v136, v136, v146, vcc
	v_lshl_add_u64 v[96:97], s[2:3], 4, v[140:141]
	global_store_dwordx4 v[96:97], v[92:95], off
	s_nop 1
	v_add_u32_e32 v92, s12, v152
	v_ashrrev_i32_e32 v93, 31, v92
	v_lshl_add_u64 v[94:95], v[92:93], 4, v[144:145]
	v_add_u32_e32 v92, s2, v92
	v_ashrrev_i32_e32 v93, 31, v92
	global_store_dwordx4 v[94:95], v[132:135], off
	v_lshl_add_u64 v[94:95], v[92:93], 4, v[144:145]
	v_add_u32_e32 v92, s2, v92
	v_ashrrev_i32_e32 v93, 31, v92
	global_store_dwordx4 v[94:95], v[128:131], off
	;; [unrolled: 4-line block ×9, first 2 shown]
	v_lshl_add_u64 v[94:95], v[92:93], 4, v[144:145]
	global_store_dwordx4 v[94:95], v[88:91], off
	s_nop 1
	v_add_u32_e32 v88, s2, v92
	v_ashrrev_i32_e32 v89, 31, v88
	v_lshl_add_u64 v[90:91], v[88:89], 4, v[144:145]
	global_store_dwordx4 v[90:91], v[80:83], off
	s_nop 1
	v_add_u32_e32 v80, s2, v88
	v_ashrrev_i32_e32 v81, 31, v80
	v_lshl_add_u64 v[82:83], v[80:81], 4, v[144:145]
	v_add_u32_e32 v80, s2, v80
	v_ashrrev_i32_e32 v81, 31, v80
	global_store_dwordx4 v[82:83], v[84:87], off
	v_lshl_add_u64 v[82:83], v[80:81], 4, v[144:145]
	global_store_dwordx4 v[82:83], v[76:79], off
	s_nop 1
	v_add_u32_e32 v76, s2, v80
	v_ashrrev_i32_e32 v77, 31, v76
	v_lshl_add_u64 v[78:79], v[76:77], 4, v[144:145]
	global_store_dwordx4 v[78:79], v[72:75], off
	s_nop 1
	v_add_u32_e32 v72, s2, v76
	v_ashrrev_i32_e32 v73, 31, v72
	;; [unrolled: 5-line block ×20, first 2 shown]
	v_lshl_add_u64 v[0:1], v[0:1], 4, v[144:145]
	global_store_dwordx4 v[0:1], v[136:139], off
.LBB68_736:
	s_endpgm
	.section	.rodata,"a",@progbits
	.p2align	6, 0x0
	.amdhsa_kernel _ZN9rocsolver6v33100L18getf2_small_kernelILi35E19rocblas_complex_numIdEiiPS3_EEvT1_T3_lS5_lPS5_llPT2_S5_S5_S7_l
		.amdhsa_group_segment_fixed_size 0
		.amdhsa_private_segment_fixed_size 0
		.amdhsa_kernarg_size 352
		.amdhsa_user_sgpr_count 2
		.amdhsa_user_sgpr_dispatch_ptr 0
		.amdhsa_user_sgpr_queue_ptr 0
		.amdhsa_user_sgpr_kernarg_segment_ptr 1
		.amdhsa_user_sgpr_dispatch_id 0
		.amdhsa_user_sgpr_kernarg_preload_length 0
		.amdhsa_user_sgpr_kernarg_preload_offset 0
		.amdhsa_user_sgpr_private_segment_size 0
		.amdhsa_uses_dynamic_stack 0
		.amdhsa_enable_private_segment 0
		.amdhsa_system_sgpr_workgroup_id_x 1
		.amdhsa_system_sgpr_workgroup_id_y 1
		.amdhsa_system_sgpr_workgroup_id_z 0
		.amdhsa_system_sgpr_workgroup_info 0
		.amdhsa_system_vgpr_workitem_id 1
		.amdhsa_next_free_vgpr 172
		.amdhsa_next_free_sgpr 24
		.amdhsa_accum_offset 172
		.amdhsa_reserve_vcc 1
		.amdhsa_float_round_mode_32 0
		.amdhsa_float_round_mode_16_64 0
		.amdhsa_float_denorm_mode_32 3
		.amdhsa_float_denorm_mode_16_64 3
		.amdhsa_dx10_clamp 1
		.amdhsa_ieee_mode 1
		.amdhsa_fp16_overflow 0
		.amdhsa_tg_split 0
		.amdhsa_exception_fp_ieee_invalid_op 0
		.amdhsa_exception_fp_denorm_src 0
		.amdhsa_exception_fp_ieee_div_zero 0
		.amdhsa_exception_fp_ieee_overflow 0
		.amdhsa_exception_fp_ieee_underflow 0
		.amdhsa_exception_fp_ieee_inexact 0
		.amdhsa_exception_int_div_zero 0
	.end_amdhsa_kernel
	.section	.text._ZN9rocsolver6v33100L18getf2_small_kernelILi35E19rocblas_complex_numIdEiiPS3_EEvT1_T3_lS5_lPS5_llPT2_S5_S5_S7_l,"axG",@progbits,_ZN9rocsolver6v33100L18getf2_small_kernelILi35E19rocblas_complex_numIdEiiPS3_EEvT1_T3_lS5_lPS5_llPT2_S5_S5_S7_l,comdat
.Lfunc_end68:
	.size	_ZN9rocsolver6v33100L18getf2_small_kernelILi35E19rocblas_complex_numIdEiiPS3_EEvT1_T3_lS5_lPS5_llPT2_S5_S5_S7_l, .Lfunc_end68-_ZN9rocsolver6v33100L18getf2_small_kernelILi35E19rocblas_complex_numIdEiiPS3_EEvT1_T3_lS5_lPS5_llPT2_S5_S5_S7_l
                                        ; -- End function
	.set _ZN9rocsolver6v33100L18getf2_small_kernelILi35E19rocblas_complex_numIdEiiPS3_EEvT1_T3_lS5_lPS5_llPT2_S5_S5_S7_l.num_vgpr, 172
	.set _ZN9rocsolver6v33100L18getf2_small_kernelILi35E19rocblas_complex_numIdEiiPS3_EEvT1_T3_lS5_lPS5_llPT2_S5_S5_S7_l.num_agpr, 0
	.set _ZN9rocsolver6v33100L18getf2_small_kernelILi35E19rocblas_complex_numIdEiiPS3_EEvT1_T3_lS5_lPS5_llPT2_S5_S5_S7_l.numbered_sgpr, 24
	.set _ZN9rocsolver6v33100L18getf2_small_kernelILi35E19rocblas_complex_numIdEiiPS3_EEvT1_T3_lS5_lPS5_llPT2_S5_S5_S7_l.num_named_barrier, 0
	.set _ZN9rocsolver6v33100L18getf2_small_kernelILi35E19rocblas_complex_numIdEiiPS3_EEvT1_T3_lS5_lPS5_llPT2_S5_S5_S7_l.private_seg_size, 0
	.set _ZN9rocsolver6v33100L18getf2_small_kernelILi35E19rocblas_complex_numIdEiiPS3_EEvT1_T3_lS5_lPS5_llPT2_S5_S5_S7_l.uses_vcc, 1
	.set _ZN9rocsolver6v33100L18getf2_small_kernelILi35E19rocblas_complex_numIdEiiPS3_EEvT1_T3_lS5_lPS5_llPT2_S5_S5_S7_l.uses_flat_scratch, 0
	.set _ZN9rocsolver6v33100L18getf2_small_kernelILi35E19rocblas_complex_numIdEiiPS3_EEvT1_T3_lS5_lPS5_llPT2_S5_S5_S7_l.has_dyn_sized_stack, 0
	.set _ZN9rocsolver6v33100L18getf2_small_kernelILi35E19rocblas_complex_numIdEiiPS3_EEvT1_T3_lS5_lPS5_llPT2_S5_S5_S7_l.has_recursion, 0
	.set _ZN9rocsolver6v33100L18getf2_small_kernelILi35E19rocblas_complex_numIdEiiPS3_EEvT1_T3_lS5_lPS5_llPT2_S5_S5_S7_l.has_indirect_call, 0
	.section	.AMDGPU.csdata,"",@progbits
; Kernel info:
; codeLenInByte = 75256
; TotalNumSgprs: 30
; NumVgprs: 172
; NumAgprs: 0
; TotalNumVgprs: 172
; ScratchSize: 0
; MemoryBound: 0
; FloatMode: 240
; IeeeMode: 1
; LDSByteSize: 0 bytes/workgroup (compile time only)
; SGPRBlocks: 3
; VGPRBlocks: 21
; NumSGPRsForWavesPerEU: 30
; NumVGPRsForWavesPerEU: 172
; AccumOffset: 172
; Occupancy: 2
; WaveLimiterHint : 0
; COMPUTE_PGM_RSRC2:SCRATCH_EN: 0
; COMPUTE_PGM_RSRC2:USER_SGPR: 2
; COMPUTE_PGM_RSRC2:TRAP_HANDLER: 0
; COMPUTE_PGM_RSRC2:TGID_X_EN: 1
; COMPUTE_PGM_RSRC2:TGID_Y_EN: 1
; COMPUTE_PGM_RSRC2:TGID_Z_EN: 0
; COMPUTE_PGM_RSRC2:TIDIG_COMP_CNT: 1
; COMPUTE_PGM_RSRC3_GFX90A:ACCUM_OFFSET: 42
; COMPUTE_PGM_RSRC3_GFX90A:TG_SPLIT: 0
	.section	.text._ZN9rocsolver6v33100L23getf2_npvt_small_kernelILi35E19rocblas_complex_numIdEiiPS3_EEvT1_T3_lS5_lPT2_S5_S5_,"axG",@progbits,_ZN9rocsolver6v33100L23getf2_npvt_small_kernelILi35E19rocblas_complex_numIdEiiPS3_EEvT1_T3_lS5_lPT2_S5_S5_,comdat
	.globl	_ZN9rocsolver6v33100L23getf2_npvt_small_kernelILi35E19rocblas_complex_numIdEiiPS3_EEvT1_T3_lS5_lPT2_S5_S5_ ; -- Begin function _ZN9rocsolver6v33100L23getf2_npvt_small_kernelILi35E19rocblas_complex_numIdEiiPS3_EEvT1_T3_lS5_lPT2_S5_S5_
	.p2align	8
	.type	_ZN9rocsolver6v33100L23getf2_npvt_small_kernelILi35E19rocblas_complex_numIdEiiPS3_EEvT1_T3_lS5_lPT2_S5_S5_,@function
_ZN9rocsolver6v33100L23getf2_npvt_small_kernelILi35E19rocblas_complex_numIdEiiPS3_EEvT1_T3_lS5_lPT2_S5_S5_: ; @_ZN9rocsolver6v33100L23getf2_npvt_small_kernelILi35E19rocblas_complex_numIdEiiPS3_EEvT1_T3_lS5_lPT2_S5_S5_
; %bb.0:
	s_load_dword s2, s[0:1], 0x44
	s_load_dwordx2 s[8:9], s[0:1], 0x30
	v_bfe_u32 v140, v0, 10, 10
	s_waitcnt lgkmcnt(0)
	s_lshr_b32 s10, s2, 16
	s_mul_i32 s3, s3, s10
	v_add_u32_e32 v164, s3, v140
	v_cmp_gt_i32_e32 vcc, s8, v164
	s_and_saveexec_b64 s[2:3], vcc
	s_cbranch_execz .LBB69_318
; %bb.1:
	s_load_dwordx4 s[12:15], s[0:1], 0x8
	s_load_dword s2, s[0:1], 0x18
	s_load_dwordx4 s[4:7], s[0:1], 0x20
	v_ashrrev_i32_e32 v165, 31, v164
	v_and_b32_e32 v166, 0x3ff, v0
	s_waitcnt lgkmcnt(0)
	v_mov_b32_e32 v0, s12
	v_mov_b32_e32 v1, s13
	v_mul_lo_u32 v4, s5, v164
	v_mul_lo_u32 v5, s4, v165
	v_mad_u64_u32 v[2:3], s[0:1], s4, v164, 0
	v_add3_u32 v3, v3, v5, v4
	v_lshl_add_u64 v[0:1], v[2:3], 4, v[0:1]
	v_lshl_add_u64 v[0:1], s[14:15], 4, v[0:1]
	v_lshlrev_b32_e32 v2, 4, v166
	v_mov_b32_e32 v3, 0
	s_add_i32 s0, s2, s2
	v_lshl_add_u64 v[174:175], v[0:1], 0, v[2:3]
	v_add_u32_e32 v2, s0, v166
	v_ashrrev_i32_e32 v3, 31, v2
	v_lshl_add_u64 v[6:7], v[2:3], 4, v[0:1]
	v_add_u32_e32 v2, s2, v2
	v_ashrrev_i32_e32 v3, 31, v2
	;; [unrolled: 3-line block ×32, first 2 shown]
	v_lshl_add_u64 v[236:237], v[2:3], 4, v[0:1]
	v_add_u32_e32 v2, s2, v2
	s_ashr_i32 s3, s2, 31
	v_ashrrev_i32_e32 v3, 31, v2
	v_lshl_add_u64 v[240:241], s[2:3], 4, v[174:175]
	global_load_dwordx4 v[170:173], v[174:175], off
	global_load_dwordx4 v[128:131], v[240:241], off
	v_lshl_add_u64 v[242:243], v[2:3], 4, v[0:1]
	scratch_store_dwordx2 off, v[6:7], off offset:408 ; 8-byte Folded Spill
	scratch_store_dwordx2 off, v[4:5], off  ; 8-byte Folded Spill
	global_load_dwordx4 v[124:127], v[6:7], off
	global_load_dwordx4 v[120:123], v[4:5], off
	;; [unrolled: 1-line block ×33, first 2 shown]
	s_mulk_i32 s10, 0x230
	s_movk_i32 s0, 0x230
	s_add_i32 s1, s10, 0
	v_mad_u32_u24 v168, v140, s0, 0
	v_lshl_add_u32 v167, v140, 4, s1
	v_cmp_ne_u32_e64 s[2:3], 0, v166
	v_cmp_eq_u32_e64 s[0:1], 0, v166
	s_and_saveexec_b64 s[10:11], s[0:1]
	s_cbranch_execz .LBB69_8
; %bb.2:
	s_waitcnt vmcnt(36)
	ds_write2_b64 v167, v[170:171], v[172:173] offset1:1
	s_waitcnt vmcnt(35)
	ds_write2_b64 v168, v[128:129], v[130:131] offset0:2 offset1:3
	s_waitcnt vmcnt(32)
	ds_write2_b64 v168, v[124:125], v[126:127] offset0:4 offset1:5
	;; [unrolled: 2-line block ×34, first 2 shown]
	ds_read2_b64 v[140:143], v167 offset1:1
	s_waitcnt lgkmcnt(0)
	v_cmp_neq_f64_e32 vcc, 0, v[140:141]
	v_cmp_neq_f64_e64 s[4:5], 0, v[142:143]
	s_or_b64 s[4:5], vcc, s[4:5]
	s_and_b64 exec, exec, s[4:5]
	s_cbranch_execz .LBB69_8
; %bb.3:
	v_cmp_ngt_f64_e64 s[4:5], |v[140:141]|, |v[142:143]|
                                        ; implicit-def: $vgpr144_vgpr145
	s_and_saveexec_b64 s[12:13], s[4:5]
	s_xor_b64 s[4:5], exec, s[12:13]
                                        ; implicit-def: $vgpr146_vgpr147
	s_cbranch_execz .LBB69_5
; %bb.4:
	v_div_scale_f64 v[144:145], s[12:13], v[142:143], v[142:143], v[140:141]
	v_rcp_f64_e32 v[146:147], v[144:145]
	v_div_scale_f64 v[148:149], vcc, v[140:141], v[142:143], v[140:141]
	v_fma_f64 v[150:151], -v[144:145], v[146:147], 1.0
	v_fmac_f64_e32 v[146:147], v[146:147], v[150:151]
	v_fma_f64 v[150:151], -v[144:145], v[146:147], 1.0
	v_fmac_f64_e32 v[146:147], v[146:147], v[150:151]
	v_mul_f64 v[150:151], v[148:149], v[146:147]
	v_fma_f64 v[144:145], -v[144:145], v[150:151], v[148:149]
	v_div_fmas_f64 v[144:145], v[144:145], v[146:147], v[150:151]
	v_div_fixup_f64 v[144:145], v[144:145], v[142:143], v[140:141]
	v_fmac_f64_e32 v[142:143], v[140:141], v[144:145]
	v_div_scale_f64 v[140:141], s[12:13], v[142:143], v[142:143], 1.0
	v_rcp_f64_e32 v[146:147], v[140:141]
	s_nop 0
	v_fma_f64 v[148:149], -v[140:141], v[146:147], 1.0
	v_fmac_f64_e32 v[146:147], v[146:147], v[148:149]
	v_fma_f64 v[148:149], -v[140:141], v[146:147], 1.0
	v_fmac_f64_e32 v[146:147], v[146:147], v[148:149]
	v_div_scale_f64 v[148:149], vcc, 1.0, v[142:143], 1.0
	v_mul_f64 v[150:151], v[148:149], v[146:147]
	v_fma_f64 v[140:141], -v[140:141], v[150:151], v[148:149]
	s_nop 1
	v_div_fmas_f64 v[140:141], v[140:141], v[146:147], v[150:151]
	v_div_fixup_f64 v[146:147], v[140:141], v[142:143], 1.0
	v_mul_f64 v[144:145], v[144:145], v[146:147]
	v_xor_b32_e32 v147, 0x80000000, v147
                                        ; implicit-def: $vgpr140_vgpr141
.LBB69_5:
	s_andn2_saveexec_b64 s[4:5], s[4:5]
	s_cbranch_execz .LBB69_7
; %bb.6:
	v_div_scale_f64 v[144:145], s[12:13], v[140:141], v[140:141], v[142:143]
	v_rcp_f64_e32 v[146:147], v[144:145]
	v_div_scale_f64 v[148:149], vcc, v[142:143], v[140:141], v[142:143]
	v_fma_f64 v[150:151], -v[144:145], v[146:147], 1.0
	v_fmac_f64_e32 v[146:147], v[146:147], v[150:151]
	v_fma_f64 v[150:151], -v[144:145], v[146:147], 1.0
	v_fmac_f64_e32 v[146:147], v[146:147], v[150:151]
	v_mul_f64 v[150:151], v[148:149], v[146:147]
	v_fma_f64 v[144:145], -v[144:145], v[150:151], v[148:149]
	v_div_fmas_f64 v[144:145], v[144:145], v[146:147], v[150:151]
	v_div_fixup_f64 v[146:147], v[144:145], v[140:141], v[142:143]
	v_fmac_f64_e32 v[140:141], v[142:143], v[146:147]
	v_div_scale_f64 v[142:143], s[12:13], v[140:141], v[140:141], 1.0
	v_rcp_f64_e32 v[144:145], v[142:143]
	s_nop 0
	v_fma_f64 v[148:149], -v[142:143], v[144:145], 1.0
	v_fmac_f64_e32 v[144:145], v[144:145], v[148:149]
	v_fma_f64 v[148:149], -v[142:143], v[144:145], 1.0
	v_fmac_f64_e32 v[144:145], v[144:145], v[148:149]
	v_div_scale_f64 v[148:149], vcc, 1.0, v[140:141], 1.0
	v_mul_f64 v[150:151], v[148:149], v[144:145]
	v_fma_f64 v[142:143], -v[142:143], v[150:151], v[148:149]
	s_nop 1
	v_div_fmas_f64 v[142:143], v[142:143], v[144:145], v[150:151]
	v_div_fixup_f64 v[144:145], v[142:143], v[140:141], 1.0
	v_mul_f64 v[146:147], v[146:147], -v[144:145]
.LBB69_7:
	s_or_b64 exec, exec, s[4:5]
	ds_write2_b64 v167, v[144:145], v[146:147] offset1:1
.LBB69_8:
	s_or_b64 exec, exec, s[10:11]
	s_waitcnt lgkmcnt(0)
	s_barrier
	ds_read2_b64 v[176:179], v167 offset1:1
	s_and_saveexec_b64 s[4:5], s[2:3]
	s_cbranch_execz .LBB69_10
; %bb.9:
	ds_read2_b64 v[142:145], v168 offset0:2 offset1:3
	ds_read2_b64 v[146:149], v168 offset0:4 offset1:5
	s_waitcnt vmcnt(36) lgkmcnt(2)
	v_mul_f64 v[140:141], v[178:179], v[172:173]
	v_mul_f64 v[172:173], v[176:177], v[172:173]
	v_fmac_f64_e32 v[172:173], v[178:179], v[170:171]
	v_fma_f64 v[140:141], v[176:177], v[170:171], -v[140:141]
	s_waitcnt lgkmcnt(1)
	v_mul_f64 v[132:133], v[144:145], v[172:173]
	v_fma_f64 v[132:133], v[142:143], v[140:141], -v[132:133]
	v_mul_f64 v[142:143], v[142:143], v[172:173]
	v_fmac_f64_e32 v[142:143], v[144:145], v[140:141]
	s_waitcnt vmcnt(35)
	v_add_f64 v[128:129], v[128:129], -v[132:133]
	v_add_f64 v[130:131], v[130:131], -v[142:143]
	s_waitcnt lgkmcnt(0)
	v_mul_f64 v[132:133], v[148:149], v[172:173]
	ds_read2_b64 v[142:145], v168 offset0:6 offset1:7
	v_fma_f64 v[132:133], v[146:147], v[140:141], -v[132:133]
	v_mul_f64 v[146:147], v[146:147], v[172:173]
	v_fmac_f64_e32 v[146:147], v[148:149], v[140:141]
	s_waitcnt vmcnt(32)
	v_add_f64 v[126:127], v[126:127], -v[146:147]
	ds_read2_b64 v[146:149], v168 offset0:8 offset1:9
	v_add_f64 v[124:125], v[124:125], -v[132:133]
	s_waitcnt lgkmcnt(1)
	v_mul_f64 v[132:133], v[144:145], v[172:173]
	v_fma_f64 v[132:133], v[142:143], v[140:141], -v[132:133]
	v_mul_f64 v[142:143], v[142:143], v[172:173]
	v_fmac_f64_e32 v[142:143], v[144:145], v[140:141]
	s_waitcnt vmcnt(31)
	v_add_f64 v[120:121], v[120:121], -v[132:133]
	v_add_f64 v[122:123], v[122:123], -v[142:143]
	s_waitcnt lgkmcnt(0)
	v_mul_f64 v[132:133], v[148:149], v[172:173]
	ds_read2_b64 v[142:145], v168 offset0:10 offset1:11
	v_fma_f64 v[132:133], v[146:147], v[140:141], -v[132:133]
	v_mul_f64 v[146:147], v[146:147], v[172:173]
	v_fmac_f64_e32 v[146:147], v[148:149], v[140:141]
	s_waitcnt vmcnt(30)
	v_add_f64 v[118:119], v[118:119], -v[146:147]
	ds_read2_b64 v[146:149], v168 offset0:12 offset1:13
	v_add_f64 v[116:117], v[116:117], -v[132:133]
	;; [unrolled: 18-line block ×16, first 2 shown]
	s_waitcnt lgkmcnt(1)
	v_mul_f64 v[132:133], v[144:145], v[172:173]
	v_fma_f64 v[132:133], v[142:143], v[140:141], -v[132:133]
	v_mul_f64 v[142:143], v[142:143], v[172:173]
	v_fmac_f64_e32 v[142:143], v[144:145], v[140:141]
	s_waitcnt vmcnt(1)
	v_add_f64 v[0:1], v[0:1], -v[132:133]
	v_add_f64 v[2:3], v[2:3], -v[142:143]
	s_waitcnt lgkmcnt(0)
	v_mul_f64 v[132:133], v[148:149], v[172:173]
	v_mul_f64 v[142:143], v[146:147], v[172:173]
	v_fma_f64 v[132:133], v[146:147], v[140:141], -v[132:133]
	v_fmac_f64_e32 v[142:143], v[148:149], v[140:141]
	s_waitcnt vmcnt(0)
	v_add_f64 v[136:137], v[136:137], -v[132:133]
	v_add_f64 v[138:139], v[138:139], -v[142:143]
	v_mov_b64_e32 v[170:171], v[140:141]
.LBB69_10:
	s_or_b64 exec, exec, s[4:5]
	v_cmp_eq_u32_e32 vcc, 1, v166
	s_waitcnt lgkmcnt(0)
	s_barrier
	s_and_saveexec_b64 s[4:5], vcc
	s_cbranch_execz .LBB69_17
; %bb.11:
	s_waitcnt vmcnt(35)
	ds_write2_b64 v167, v[128:129], v[130:131] offset1:1
	s_waitcnt vmcnt(32)
	ds_write2_b64 v168, v[124:125], v[126:127] offset0:4 offset1:5
	s_waitcnt vmcnt(31)
	ds_write2_b64 v168, v[120:121], v[122:123] offset0:6 offset1:7
	;; [unrolled: 2-line block ×33, first 2 shown]
	ds_read2_b64 v[140:143], v167 offset1:1
	s_waitcnt lgkmcnt(0)
	v_cmp_neq_f64_e32 vcc, 0, v[140:141]
	v_cmp_neq_f64_e64 s[2:3], 0, v[142:143]
	s_or_b64 s[2:3], vcc, s[2:3]
	s_and_b64 exec, exec, s[2:3]
	s_cbranch_execz .LBB69_17
; %bb.12:
	v_cmp_ngt_f64_e64 s[2:3], |v[140:141]|, |v[142:143]|
                                        ; implicit-def: $vgpr144_vgpr145
	s_and_saveexec_b64 s[10:11], s[2:3]
	s_xor_b64 s[2:3], exec, s[10:11]
                                        ; implicit-def: $vgpr146_vgpr147
	s_cbranch_execz .LBB69_14
; %bb.13:
	v_div_scale_f64 v[144:145], s[10:11], v[142:143], v[142:143], v[140:141]
	v_rcp_f64_e32 v[146:147], v[144:145]
	v_div_scale_f64 v[148:149], vcc, v[140:141], v[142:143], v[140:141]
	v_fma_f64 v[150:151], -v[144:145], v[146:147], 1.0
	v_fmac_f64_e32 v[146:147], v[146:147], v[150:151]
	v_fma_f64 v[150:151], -v[144:145], v[146:147], 1.0
	v_fmac_f64_e32 v[146:147], v[146:147], v[150:151]
	v_mul_f64 v[150:151], v[148:149], v[146:147]
	v_fma_f64 v[144:145], -v[144:145], v[150:151], v[148:149]
	v_div_fmas_f64 v[144:145], v[144:145], v[146:147], v[150:151]
	v_div_fixup_f64 v[144:145], v[144:145], v[142:143], v[140:141]
	v_fmac_f64_e32 v[142:143], v[140:141], v[144:145]
	v_div_scale_f64 v[140:141], s[10:11], v[142:143], v[142:143], 1.0
	v_rcp_f64_e32 v[146:147], v[140:141]
	s_nop 0
	v_fma_f64 v[148:149], -v[140:141], v[146:147], 1.0
	v_fmac_f64_e32 v[146:147], v[146:147], v[148:149]
	v_fma_f64 v[148:149], -v[140:141], v[146:147], 1.0
	v_fmac_f64_e32 v[146:147], v[146:147], v[148:149]
	v_div_scale_f64 v[148:149], vcc, 1.0, v[142:143], 1.0
	v_mul_f64 v[150:151], v[148:149], v[146:147]
	v_fma_f64 v[140:141], -v[140:141], v[150:151], v[148:149]
	s_nop 1
	v_div_fmas_f64 v[140:141], v[140:141], v[146:147], v[150:151]
	v_div_fixup_f64 v[146:147], v[140:141], v[142:143], 1.0
	v_mul_f64 v[144:145], v[144:145], v[146:147]
	v_xor_b32_e32 v147, 0x80000000, v147
                                        ; implicit-def: $vgpr140_vgpr141
.LBB69_14:
	s_andn2_saveexec_b64 s[2:3], s[2:3]
	s_cbranch_execz .LBB69_16
; %bb.15:
	v_div_scale_f64 v[144:145], s[10:11], v[140:141], v[140:141], v[142:143]
	v_rcp_f64_e32 v[146:147], v[144:145]
	v_div_scale_f64 v[148:149], vcc, v[142:143], v[140:141], v[142:143]
	v_fma_f64 v[150:151], -v[144:145], v[146:147], 1.0
	v_fmac_f64_e32 v[146:147], v[146:147], v[150:151]
	v_fma_f64 v[150:151], -v[144:145], v[146:147], 1.0
	v_fmac_f64_e32 v[146:147], v[146:147], v[150:151]
	v_mul_f64 v[150:151], v[148:149], v[146:147]
	v_fma_f64 v[144:145], -v[144:145], v[150:151], v[148:149]
	v_div_fmas_f64 v[144:145], v[144:145], v[146:147], v[150:151]
	v_div_fixup_f64 v[146:147], v[144:145], v[140:141], v[142:143]
	v_fmac_f64_e32 v[140:141], v[142:143], v[146:147]
	v_div_scale_f64 v[142:143], s[10:11], v[140:141], v[140:141], 1.0
	v_rcp_f64_e32 v[144:145], v[142:143]
	s_nop 0
	v_fma_f64 v[148:149], -v[142:143], v[144:145], 1.0
	v_fmac_f64_e32 v[144:145], v[144:145], v[148:149]
	v_fma_f64 v[148:149], -v[142:143], v[144:145], 1.0
	v_fmac_f64_e32 v[144:145], v[144:145], v[148:149]
	v_div_scale_f64 v[148:149], vcc, 1.0, v[140:141], 1.0
	v_mul_f64 v[150:151], v[148:149], v[144:145]
	v_fma_f64 v[142:143], -v[142:143], v[150:151], v[148:149]
	s_nop 1
	v_div_fmas_f64 v[142:143], v[142:143], v[144:145], v[150:151]
	v_div_fixup_f64 v[144:145], v[142:143], v[140:141], 1.0
	v_mul_f64 v[146:147], v[146:147], -v[144:145]
.LBB69_16:
	s_or_b64 exec, exec, s[2:3]
	ds_write2_b64 v167, v[144:145], v[146:147] offset1:1
.LBB69_17:
	s_or_b64 exec, exec, s[4:5]
	s_waitcnt lgkmcnt(0)
	s_barrier
	ds_read2_b64 v[244:247], v167 offset1:1
	v_cmp_lt_u32_e32 vcc, 1, v166
	s_and_saveexec_b64 s[2:3], vcc
	s_cbranch_execz .LBB69_19
; %bb.18:
	ds_read2_b64 v[142:145], v168 offset0:4 offset1:5
	ds_read2_b64 v[146:149], v168 offset0:6 offset1:7
	s_waitcnt vmcnt(35) lgkmcnt(2)
	v_mul_f64 v[140:141], v[246:247], v[130:131]
	v_mul_f64 v[130:131], v[244:245], v[130:131]
	v_fmac_f64_e32 v[130:131], v[246:247], v[128:129]
	v_fma_f64 v[140:141], v[244:245], v[128:129], -v[140:141]
	s_waitcnt lgkmcnt(1)
	v_mul_f64 v[128:129], v[144:145], v[130:131]
	v_fma_f64 v[128:129], v[142:143], v[140:141], -v[128:129]
	v_mul_f64 v[142:143], v[142:143], v[130:131]
	v_fmac_f64_e32 v[142:143], v[144:145], v[140:141]
	s_waitcnt vmcnt(32)
	v_add_f64 v[126:127], v[126:127], -v[142:143]
	ds_read2_b64 v[142:145], v168 offset0:8 offset1:9
	v_add_f64 v[124:125], v[124:125], -v[128:129]
	s_waitcnt lgkmcnt(1)
	v_mul_f64 v[128:129], v[148:149], v[130:131]
	v_fma_f64 v[128:129], v[146:147], v[140:141], -v[128:129]
	v_mul_f64 v[146:147], v[146:147], v[130:131]
	v_fmac_f64_e32 v[146:147], v[148:149], v[140:141]
	s_waitcnt vmcnt(31)
	v_add_f64 v[120:121], v[120:121], -v[128:129]
	v_add_f64 v[122:123], v[122:123], -v[146:147]
	ds_read2_b64 v[146:149], v168 offset0:10 offset1:11
	s_waitcnt lgkmcnt(1)
	v_mul_f64 v[128:129], v[144:145], v[130:131]
	v_fma_f64 v[128:129], v[142:143], v[140:141], -v[128:129]
	v_mul_f64 v[142:143], v[142:143], v[130:131]
	v_fmac_f64_e32 v[142:143], v[144:145], v[140:141]
	s_waitcnt vmcnt(30)
	v_add_f64 v[118:119], v[118:119], -v[142:143]
	ds_read2_b64 v[142:145], v168 offset0:12 offset1:13
	v_add_f64 v[116:117], v[116:117], -v[128:129]
	s_waitcnt lgkmcnt(1)
	v_mul_f64 v[128:129], v[148:149], v[130:131]
	v_fma_f64 v[128:129], v[146:147], v[140:141], -v[128:129]
	v_mul_f64 v[146:147], v[146:147], v[130:131]
	v_fmac_f64_e32 v[146:147], v[148:149], v[140:141]
	s_waitcnt vmcnt(29)
	v_add_f64 v[112:113], v[112:113], -v[128:129]
	v_add_f64 v[114:115], v[114:115], -v[146:147]
	ds_read2_b64 v[146:149], v168 offset0:14 offset1:15
	;; [unrolled: 18-line block ×15, first 2 shown]
	s_waitcnt lgkmcnt(1)
	v_mul_f64 v[128:129], v[144:145], v[130:131]
	v_fma_f64 v[128:129], v[142:143], v[140:141], -v[128:129]
	v_mul_f64 v[142:143], v[142:143], v[130:131]
	v_fmac_f64_e32 v[142:143], v[144:145], v[140:141]
	s_waitcnt vmcnt(2)
	v_add_f64 v[6:7], v[6:7], -v[142:143]
	ds_read2_b64 v[142:145], v168 offset0:68 offset1:69
	v_add_f64 v[4:5], v[4:5], -v[128:129]
	s_waitcnt lgkmcnt(1)
	v_mul_f64 v[128:129], v[148:149], v[130:131]
	v_fma_f64 v[128:129], v[146:147], v[140:141], -v[128:129]
	s_waitcnt vmcnt(1)
	v_add_f64 v[0:1], v[0:1], -v[128:129]
	s_waitcnt lgkmcnt(0)
	v_mul_f64 v[128:129], v[144:145], v[130:131]
	v_mul_f64 v[146:147], v[146:147], v[130:131]
	v_fma_f64 v[128:129], v[142:143], v[140:141], -v[128:129]
	v_mul_f64 v[142:143], v[142:143], v[130:131]
	v_fmac_f64_e32 v[146:147], v[148:149], v[140:141]
	v_fmac_f64_e32 v[142:143], v[144:145], v[140:141]
	v_add_f64 v[2:3], v[2:3], -v[146:147]
	s_waitcnt vmcnt(0)
	v_add_f64 v[136:137], v[136:137], -v[128:129]
	v_add_f64 v[138:139], v[138:139], -v[142:143]
	v_mov_b64_e32 v[128:129], v[140:141]
.LBB69_19:
	s_or_b64 exec, exec, s[2:3]
	v_cmp_eq_u32_e32 vcc, 2, v166
	s_waitcnt lgkmcnt(0)
	s_barrier
	s_and_saveexec_b64 s[4:5], vcc
	s_cbranch_execz .LBB69_26
; %bb.20:
	s_waitcnt vmcnt(32)
	ds_write2_b64 v167, v[124:125], v[126:127] offset1:1
	s_waitcnt vmcnt(31)
	ds_write2_b64 v168, v[120:121], v[122:123] offset0:6 offset1:7
	s_waitcnt vmcnt(30)
	ds_write2_b64 v168, v[116:117], v[118:119] offset0:8 offset1:9
	;; [unrolled: 2-line block ×32, first 2 shown]
	ds_read2_b64 v[140:143], v167 offset1:1
	s_waitcnt lgkmcnt(0)
	v_cmp_neq_f64_e32 vcc, 0, v[140:141]
	v_cmp_neq_f64_e64 s[2:3], 0, v[142:143]
	s_or_b64 s[2:3], vcc, s[2:3]
	s_and_b64 exec, exec, s[2:3]
	s_cbranch_execz .LBB69_26
; %bb.21:
	v_cmp_ngt_f64_e64 s[2:3], |v[140:141]|, |v[142:143]|
                                        ; implicit-def: $vgpr144_vgpr145
	s_and_saveexec_b64 s[10:11], s[2:3]
	s_xor_b64 s[2:3], exec, s[10:11]
                                        ; implicit-def: $vgpr146_vgpr147
	s_cbranch_execz .LBB69_23
; %bb.22:
	v_div_scale_f64 v[144:145], s[10:11], v[142:143], v[142:143], v[140:141]
	v_rcp_f64_e32 v[146:147], v[144:145]
	v_div_scale_f64 v[148:149], vcc, v[140:141], v[142:143], v[140:141]
	v_fma_f64 v[150:151], -v[144:145], v[146:147], 1.0
	v_fmac_f64_e32 v[146:147], v[146:147], v[150:151]
	v_fma_f64 v[150:151], -v[144:145], v[146:147], 1.0
	v_fmac_f64_e32 v[146:147], v[146:147], v[150:151]
	v_mul_f64 v[150:151], v[148:149], v[146:147]
	v_fma_f64 v[144:145], -v[144:145], v[150:151], v[148:149]
	v_div_fmas_f64 v[144:145], v[144:145], v[146:147], v[150:151]
	v_div_fixup_f64 v[144:145], v[144:145], v[142:143], v[140:141]
	v_fmac_f64_e32 v[142:143], v[140:141], v[144:145]
	v_div_scale_f64 v[140:141], s[10:11], v[142:143], v[142:143], 1.0
	v_rcp_f64_e32 v[146:147], v[140:141]
	s_nop 0
	v_fma_f64 v[148:149], -v[140:141], v[146:147], 1.0
	v_fmac_f64_e32 v[146:147], v[146:147], v[148:149]
	v_fma_f64 v[148:149], -v[140:141], v[146:147], 1.0
	v_fmac_f64_e32 v[146:147], v[146:147], v[148:149]
	v_div_scale_f64 v[148:149], vcc, 1.0, v[142:143], 1.0
	v_mul_f64 v[150:151], v[148:149], v[146:147]
	v_fma_f64 v[140:141], -v[140:141], v[150:151], v[148:149]
	s_nop 1
	v_div_fmas_f64 v[140:141], v[140:141], v[146:147], v[150:151]
	v_div_fixup_f64 v[146:147], v[140:141], v[142:143], 1.0
	v_mul_f64 v[144:145], v[144:145], v[146:147]
	v_xor_b32_e32 v147, 0x80000000, v147
                                        ; implicit-def: $vgpr140_vgpr141
.LBB69_23:
	s_andn2_saveexec_b64 s[2:3], s[2:3]
	s_cbranch_execz .LBB69_25
; %bb.24:
	v_div_scale_f64 v[144:145], s[10:11], v[140:141], v[140:141], v[142:143]
	v_rcp_f64_e32 v[146:147], v[144:145]
	v_div_scale_f64 v[148:149], vcc, v[142:143], v[140:141], v[142:143]
	v_fma_f64 v[150:151], -v[144:145], v[146:147], 1.0
	v_fmac_f64_e32 v[146:147], v[146:147], v[150:151]
	v_fma_f64 v[150:151], -v[144:145], v[146:147], 1.0
	v_fmac_f64_e32 v[146:147], v[146:147], v[150:151]
	v_mul_f64 v[150:151], v[148:149], v[146:147]
	v_fma_f64 v[144:145], -v[144:145], v[150:151], v[148:149]
	v_div_fmas_f64 v[144:145], v[144:145], v[146:147], v[150:151]
	v_div_fixup_f64 v[146:147], v[144:145], v[140:141], v[142:143]
	v_fmac_f64_e32 v[140:141], v[142:143], v[146:147]
	v_div_scale_f64 v[142:143], s[10:11], v[140:141], v[140:141], 1.0
	v_rcp_f64_e32 v[144:145], v[142:143]
	s_nop 0
	v_fma_f64 v[148:149], -v[142:143], v[144:145], 1.0
	v_fmac_f64_e32 v[144:145], v[144:145], v[148:149]
	v_fma_f64 v[148:149], -v[142:143], v[144:145], 1.0
	v_fmac_f64_e32 v[144:145], v[144:145], v[148:149]
	v_div_scale_f64 v[148:149], vcc, 1.0, v[140:141], 1.0
	v_mul_f64 v[150:151], v[148:149], v[144:145]
	v_fma_f64 v[142:143], -v[142:143], v[150:151], v[148:149]
	s_nop 1
	v_div_fmas_f64 v[142:143], v[142:143], v[144:145], v[150:151]
	v_div_fixup_f64 v[144:145], v[142:143], v[140:141], 1.0
	v_mul_f64 v[146:147], v[146:147], -v[144:145]
.LBB69_25:
	s_or_b64 exec, exec, s[2:3]
	ds_write2_b64 v167, v[144:145], v[146:147] offset1:1
.LBB69_26:
	s_or_b64 exec, exec, s[4:5]
	s_waitcnt lgkmcnt(0)
	s_barrier
	ds_read2_b64 v[248:251], v167 offset1:1
	v_cmp_lt_u32_e32 vcc, 2, v166
	s_and_saveexec_b64 s[2:3], vcc
	s_cbranch_execz .LBB69_28
; %bb.27:
	ds_read2_b64 v[142:145], v168 offset0:6 offset1:7
	ds_read2_b64 v[146:149], v168 offset0:8 offset1:9
	s_waitcnt vmcnt(32) lgkmcnt(2)
	v_mul_f64 v[140:141], v[250:251], v[126:127]
	v_mul_f64 v[126:127], v[248:249], v[126:127]
	v_fmac_f64_e32 v[126:127], v[250:251], v[124:125]
	v_fma_f64 v[140:141], v[248:249], v[124:125], -v[140:141]
	s_waitcnt lgkmcnt(1)
	v_mul_f64 v[124:125], v[144:145], v[126:127]
	v_fma_f64 v[124:125], v[142:143], v[140:141], -v[124:125]
	v_mul_f64 v[142:143], v[142:143], v[126:127]
	v_fmac_f64_e32 v[142:143], v[144:145], v[140:141]
	s_waitcnt vmcnt(31)
	v_add_f64 v[120:121], v[120:121], -v[124:125]
	v_add_f64 v[122:123], v[122:123], -v[142:143]
	s_waitcnt lgkmcnt(0)
	v_mul_f64 v[124:125], v[148:149], v[126:127]
	ds_read2_b64 v[142:145], v168 offset0:10 offset1:11
	v_fma_f64 v[124:125], v[146:147], v[140:141], -v[124:125]
	v_mul_f64 v[146:147], v[146:147], v[126:127]
	v_fmac_f64_e32 v[146:147], v[148:149], v[140:141]
	s_waitcnt vmcnt(30)
	v_add_f64 v[118:119], v[118:119], -v[146:147]
	ds_read2_b64 v[146:149], v168 offset0:12 offset1:13
	v_add_f64 v[116:117], v[116:117], -v[124:125]
	s_waitcnt lgkmcnt(1)
	v_mul_f64 v[124:125], v[144:145], v[126:127]
	v_fma_f64 v[124:125], v[142:143], v[140:141], -v[124:125]
	v_mul_f64 v[142:143], v[142:143], v[126:127]
	v_fmac_f64_e32 v[142:143], v[144:145], v[140:141]
	s_waitcnt vmcnt(29)
	v_add_f64 v[112:113], v[112:113], -v[124:125]
	v_add_f64 v[114:115], v[114:115], -v[142:143]
	s_waitcnt lgkmcnt(0)
	v_mul_f64 v[124:125], v[148:149], v[126:127]
	ds_read2_b64 v[142:145], v168 offset0:14 offset1:15
	v_fma_f64 v[124:125], v[146:147], v[140:141], -v[124:125]
	v_mul_f64 v[146:147], v[146:147], v[126:127]
	v_fmac_f64_e32 v[146:147], v[148:149], v[140:141]
	s_waitcnt vmcnt(28)
	v_add_f64 v[110:111], v[110:111], -v[146:147]
	ds_read2_b64 v[146:149], v168 offset0:16 offset1:17
	v_add_f64 v[108:109], v[108:109], -v[124:125]
	;; [unrolled: 18-line block ×15, first 2 shown]
	s_waitcnt lgkmcnt(1)
	v_mul_f64 v[124:125], v[144:145], v[126:127]
	v_fma_f64 v[124:125], v[142:143], v[140:141], -v[124:125]
	v_mul_f64 v[142:143], v[142:143], v[126:127]
	v_fmac_f64_e32 v[142:143], v[144:145], v[140:141]
	s_waitcnt vmcnt(1)
	v_add_f64 v[0:1], v[0:1], -v[124:125]
	v_add_f64 v[2:3], v[2:3], -v[142:143]
	s_waitcnt lgkmcnt(0)
	v_mul_f64 v[124:125], v[148:149], v[126:127]
	v_mul_f64 v[142:143], v[146:147], v[126:127]
	v_fma_f64 v[124:125], v[146:147], v[140:141], -v[124:125]
	v_fmac_f64_e32 v[142:143], v[148:149], v[140:141]
	s_waitcnt vmcnt(0)
	v_add_f64 v[136:137], v[136:137], -v[124:125]
	v_add_f64 v[138:139], v[138:139], -v[142:143]
	v_mov_b64_e32 v[124:125], v[140:141]
.LBB69_28:
	s_or_b64 exec, exec, s[2:3]
	v_cmp_eq_u32_e32 vcc, 3, v166
	s_waitcnt lgkmcnt(0)
	s_barrier
	s_and_saveexec_b64 s[4:5], vcc
	s_cbranch_execz .LBB69_35
; %bb.29:
	s_waitcnt vmcnt(31)
	ds_write2_b64 v167, v[120:121], v[122:123] offset1:1
	s_waitcnt vmcnt(30)
	ds_write2_b64 v168, v[116:117], v[118:119] offset0:8 offset1:9
	s_waitcnt vmcnt(29)
	ds_write2_b64 v168, v[112:113], v[114:115] offset0:10 offset1:11
	;; [unrolled: 2-line block ×31, first 2 shown]
	ds_read2_b64 v[140:143], v167 offset1:1
	s_waitcnt lgkmcnt(0)
	v_cmp_neq_f64_e32 vcc, 0, v[140:141]
	v_cmp_neq_f64_e64 s[2:3], 0, v[142:143]
	s_or_b64 s[2:3], vcc, s[2:3]
	s_and_b64 exec, exec, s[2:3]
	s_cbranch_execz .LBB69_35
; %bb.30:
	v_cmp_ngt_f64_e64 s[2:3], |v[140:141]|, |v[142:143]|
                                        ; implicit-def: $vgpr144_vgpr145
	s_and_saveexec_b64 s[10:11], s[2:3]
	s_xor_b64 s[2:3], exec, s[10:11]
                                        ; implicit-def: $vgpr146_vgpr147
	s_cbranch_execz .LBB69_32
; %bb.31:
	v_div_scale_f64 v[144:145], s[10:11], v[142:143], v[142:143], v[140:141]
	v_rcp_f64_e32 v[146:147], v[144:145]
	v_div_scale_f64 v[148:149], vcc, v[140:141], v[142:143], v[140:141]
	v_fma_f64 v[150:151], -v[144:145], v[146:147], 1.0
	v_fmac_f64_e32 v[146:147], v[146:147], v[150:151]
	v_fma_f64 v[150:151], -v[144:145], v[146:147], 1.0
	v_fmac_f64_e32 v[146:147], v[146:147], v[150:151]
	v_mul_f64 v[150:151], v[148:149], v[146:147]
	v_fma_f64 v[144:145], -v[144:145], v[150:151], v[148:149]
	v_div_fmas_f64 v[144:145], v[144:145], v[146:147], v[150:151]
	v_div_fixup_f64 v[144:145], v[144:145], v[142:143], v[140:141]
	v_fmac_f64_e32 v[142:143], v[140:141], v[144:145]
	v_div_scale_f64 v[140:141], s[10:11], v[142:143], v[142:143], 1.0
	v_rcp_f64_e32 v[146:147], v[140:141]
	s_nop 0
	v_fma_f64 v[148:149], -v[140:141], v[146:147], 1.0
	v_fmac_f64_e32 v[146:147], v[146:147], v[148:149]
	v_fma_f64 v[148:149], -v[140:141], v[146:147], 1.0
	v_fmac_f64_e32 v[146:147], v[146:147], v[148:149]
	v_div_scale_f64 v[148:149], vcc, 1.0, v[142:143], 1.0
	v_mul_f64 v[150:151], v[148:149], v[146:147]
	v_fma_f64 v[140:141], -v[140:141], v[150:151], v[148:149]
	s_nop 1
	v_div_fmas_f64 v[140:141], v[140:141], v[146:147], v[150:151]
	v_div_fixup_f64 v[146:147], v[140:141], v[142:143], 1.0
	v_mul_f64 v[144:145], v[144:145], v[146:147]
	v_xor_b32_e32 v147, 0x80000000, v147
                                        ; implicit-def: $vgpr140_vgpr141
.LBB69_32:
	s_andn2_saveexec_b64 s[2:3], s[2:3]
	s_cbranch_execz .LBB69_34
; %bb.33:
	v_div_scale_f64 v[144:145], s[10:11], v[140:141], v[140:141], v[142:143]
	v_rcp_f64_e32 v[146:147], v[144:145]
	v_div_scale_f64 v[148:149], vcc, v[142:143], v[140:141], v[142:143]
	v_fma_f64 v[150:151], -v[144:145], v[146:147], 1.0
	v_fmac_f64_e32 v[146:147], v[146:147], v[150:151]
	v_fma_f64 v[150:151], -v[144:145], v[146:147], 1.0
	v_fmac_f64_e32 v[146:147], v[146:147], v[150:151]
	v_mul_f64 v[150:151], v[148:149], v[146:147]
	v_fma_f64 v[144:145], -v[144:145], v[150:151], v[148:149]
	v_div_fmas_f64 v[144:145], v[144:145], v[146:147], v[150:151]
	v_div_fixup_f64 v[146:147], v[144:145], v[140:141], v[142:143]
	v_fmac_f64_e32 v[140:141], v[142:143], v[146:147]
	v_div_scale_f64 v[142:143], s[10:11], v[140:141], v[140:141], 1.0
	v_rcp_f64_e32 v[144:145], v[142:143]
	s_nop 0
	v_fma_f64 v[148:149], -v[142:143], v[144:145], 1.0
	v_fmac_f64_e32 v[144:145], v[144:145], v[148:149]
	v_fma_f64 v[148:149], -v[142:143], v[144:145], 1.0
	v_fmac_f64_e32 v[144:145], v[144:145], v[148:149]
	v_div_scale_f64 v[148:149], vcc, 1.0, v[140:141], 1.0
	v_mul_f64 v[150:151], v[148:149], v[144:145]
	v_fma_f64 v[142:143], -v[142:143], v[150:151], v[148:149]
	s_nop 1
	v_div_fmas_f64 v[142:143], v[142:143], v[144:145], v[150:151]
	v_div_fixup_f64 v[144:145], v[142:143], v[140:141], 1.0
	v_mul_f64 v[146:147], v[146:147], -v[144:145]
.LBB69_34:
	s_or_b64 exec, exec, s[2:3]
	ds_write2_b64 v167, v[144:145], v[146:147] offset1:1
.LBB69_35:
	s_or_b64 exec, exec, s[4:5]
	s_waitcnt lgkmcnt(0)
	s_barrier
	ds_read2_b64 v[132:135], v167 offset1:1
	v_cmp_lt_u32_e32 vcc, 3, v166
	s_and_saveexec_b64 s[2:3], vcc
	s_cbranch_execz .LBB69_37
; %bb.36:
	ds_read2_b64 v[142:145], v168 offset0:8 offset1:9
	ds_read2_b64 v[146:149], v168 offset0:10 offset1:11
	s_waitcnt vmcnt(31) lgkmcnt(2)
	v_mul_f64 v[140:141], v[134:135], v[122:123]
	v_mul_f64 v[122:123], v[132:133], v[122:123]
	v_fmac_f64_e32 v[122:123], v[134:135], v[120:121]
	v_fma_f64 v[140:141], v[132:133], v[120:121], -v[140:141]
	s_waitcnt lgkmcnt(1)
	v_mul_f64 v[120:121], v[144:145], v[122:123]
	v_fma_f64 v[120:121], v[142:143], v[140:141], -v[120:121]
	v_mul_f64 v[142:143], v[142:143], v[122:123]
	v_fmac_f64_e32 v[142:143], v[144:145], v[140:141]
	s_waitcnt vmcnt(30)
	v_add_f64 v[118:119], v[118:119], -v[142:143]
	ds_read2_b64 v[142:145], v168 offset0:12 offset1:13
	v_add_f64 v[116:117], v[116:117], -v[120:121]
	s_waitcnt lgkmcnt(1)
	v_mul_f64 v[120:121], v[148:149], v[122:123]
	v_fma_f64 v[120:121], v[146:147], v[140:141], -v[120:121]
	v_mul_f64 v[146:147], v[146:147], v[122:123]
	v_fmac_f64_e32 v[146:147], v[148:149], v[140:141]
	s_waitcnt vmcnt(29)
	v_add_f64 v[112:113], v[112:113], -v[120:121]
	v_add_f64 v[114:115], v[114:115], -v[146:147]
	ds_read2_b64 v[146:149], v168 offset0:14 offset1:15
	s_waitcnt lgkmcnt(1)
	v_mul_f64 v[120:121], v[144:145], v[122:123]
	v_fma_f64 v[120:121], v[142:143], v[140:141], -v[120:121]
	v_mul_f64 v[142:143], v[142:143], v[122:123]
	v_fmac_f64_e32 v[142:143], v[144:145], v[140:141]
	s_waitcnt vmcnt(28)
	v_add_f64 v[110:111], v[110:111], -v[142:143]
	ds_read2_b64 v[142:145], v168 offset0:16 offset1:17
	v_add_f64 v[108:109], v[108:109], -v[120:121]
	s_waitcnt lgkmcnt(1)
	v_mul_f64 v[120:121], v[148:149], v[122:123]
	v_fma_f64 v[120:121], v[146:147], v[140:141], -v[120:121]
	v_mul_f64 v[146:147], v[146:147], v[122:123]
	v_fmac_f64_e32 v[146:147], v[148:149], v[140:141]
	s_waitcnt vmcnt(27)
	v_add_f64 v[104:105], v[104:105], -v[120:121]
	v_add_f64 v[106:107], v[106:107], -v[146:147]
	ds_read2_b64 v[146:149], v168 offset0:18 offset1:19
	;; [unrolled: 18-line block ×14, first 2 shown]
	s_waitcnt lgkmcnt(1)
	v_mul_f64 v[120:121], v[144:145], v[122:123]
	v_fma_f64 v[120:121], v[142:143], v[140:141], -v[120:121]
	v_mul_f64 v[142:143], v[142:143], v[122:123]
	v_fmac_f64_e32 v[142:143], v[144:145], v[140:141]
	s_waitcnt vmcnt(2)
	v_add_f64 v[6:7], v[6:7], -v[142:143]
	ds_read2_b64 v[142:145], v168 offset0:68 offset1:69
	v_add_f64 v[4:5], v[4:5], -v[120:121]
	s_waitcnt lgkmcnt(1)
	v_mul_f64 v[120:121], v[148:149], v[122:123]
	v_fma_f64 v[120:121], v[146:147], v[140:141], -v[120:121]
	s_waitcnt vmcnt(1)
	v_add_f64 v[0:1], v[0:1], -v[120:121]
	s_waitcnt lgkmcnt(0)
	v_mul_f64 v[120:121], v[144:145], v[122:123]
	v_mul_f64 v[146:147], v[146:147], v[122:123]
	v_fma_f64 v[120:121], v[142:143], v[140:141], -v[120:121]
	v_mul_f64 v[142:143], v[142:143], v[122:123]
	v_fmac_f64_e32 v[146:147], v[148:149], v[140:141]
	v_fmac_f64_e32 v[142:143], v[144:145], v[140:141]
	v_add_f64 v[2:3], v[2:3], -v[146:147]
	s_waitcnt vmcnt(0)
	v_add_f64 v[136:137], v[136:137], -v[120:121]
	v_add_f64 v[138:139], v[138:139], -v[142:143]
	v_mov_b64_e32 v[120:121], v[140:141]
.LBB69_37:
	s_or_b64 exec, exec, s[2:3]
	v_cmp_eq_u32_e32 vcc, 4, v166
	s_waitcnt lgkmcnt(0)
	s_barrier
	s_and_saveexec_b64 s[4:5], vcc
	s_cbranch_execz .LBB69_44
; %bb.38:
	s_waitcnt vmcnt(30)
	ds_write2_b64 v167, v[116:117], v[118:119] offset1:1
	s_waitcnt vmcnt(29)
	ds_write2_b64 v168, v[112:113], v[114:115] offset0:10 offset1:11
	s_waitcnt vmcnt(28)
	ds_write2_b64 v168, v[108:109], v[110:111] offset0:12 offset1:13
	;; [unrolled: 2-line block ×30, first 2 shown]
	ds_read2_b64 v[140:143], v167 offset1:1
	s_waitcnt lgkmcnt(0)
	v_cmp_neq_f64_e32 vcc, 0, v[140:141]
	v_cmp_neq_f64_e64 s[2:3], 0, v[142:143]
	s_or_b64 s[2:3], vcc, s[2:3]
	s_and_b64 exec, exec, s[2:3]
	s_cbranch_execz .LBB69_44
; %bb.39:
	v_cmp_ngt_f64_e64 s[2:3], |v[140:141]|, |v[142:143]|
                                        ; implicit-def: $vgpr144_vgpr145
	s_and_saveexec_b64 s[10:11], s[2:3]
	s_xor_b64 s[2:3], exec, s[10:11]
                                        ; implicit-def: $vgpr146_vgpr147
	s_cbranch_execz .LBB69_41
; %bb.40:
	v_div_scale_f64 v[144:145], s[10:11], v[142:143], v[142:143], v[140:141]
	v_rcp_f64_e32 v[146:147], v[144:145]
	v_div_scale_f64 v[148:149], vcc, v[140:141], v[142:143], v[140:141]
	v_fma_f64 v[150:151], -v[144:145], v[146:147], 1.0
	v_fmac_f64_e32 v[146:147], v[146:147], v[150:151]
	v_fma_f64 v[150:151], -v[144:145], v[146:147], 1.0
	v_fmac_f64_e32 v[146:147], v[146:147], v[150:151]
	v_mul_f64 v[150:151], v[148:149], v[146:147]
	v_fma_f64 v[144:145], -v[144:145], v[150:151], v[148:149]
	v_div_fmas_f64 v[144:145], v[144:145], v[146:147], v[150:151]
	v_div_fixup_f64 v[144:145], v[144:145], v[142:143], v[140:141]
	v_fmac_f64_e32 v[142:143], v[140:141], v[144:145]
	v_div_scale_f64 v[140:141], s[10:11], v[142:143], v[142:143], 1.0
	v_rcp_f64_e32 v[146:147], v[140:141]
	s_nop 0
	v_fma_f64 v[148:149], -v[140:141], v[146:147], 1.0
	v_fmac_f64_e32 v[146:147], v[146:147], v[148:149]
	v_fma_f64 v[148:149], -v[140:141], v[146:147], 1.0
	v_fmac_f64_e32 v[146:147], v[146:147], v[148:149]
	v_div_scale_f64 v[148:149], vcc, 1.0, v[142:143], 1.0
	v_mul_f64 v[150:151], v[148:149], v[146:147]
	v_fma_f64 v[140:141], -v[140:141], v[150:151], v[148:149]
	s_nop 1
	v_div_fmas_f64 v[140:141], v[140:141], v[146:147], v[150:151]
	v_div_fixup_f64 v[146:147], v[140:141], v[142:143], 1.0
	v_mul_f64 v[144:145], v[144:145], v[146:147]
	v_xor_b32_e32 v147, 0x80000000, v147
                                        ; implicit-def: $vgpr140_vgpr141
.LBB69_41:
	s_andn2_saveexec_b64 s[2:3], s[2:3]
	s_cbranch_execz .LBB69_43
; %bb.42:
	v_div_scale_f64 v[144:145], s[10:11], v[140:141], v[140:141], v[142:143]
	v_rcp_f64_e32 v[146:147], v[144:145]
	v_div_scale_f64 v[148:149], vcc, v[142:143], v[140:141], v[142:143]
	v_fma_f64 v[150:151], -v[144:145], v[146:147], 1.0
	v_fmac_f64_e32 v[146:147], v[146:147], v[150:151]
	v_fma_f64 v[150:151], -v[144:145], v[146:147], 1.0
	v_fmac_f64_e32 v[146:147], v[146:147], v[150:151]
	v_mul_f64 v[150:151], v[148:149], v[146:147]
	v_fma_f64 v[144:145], -v[144:145], v[150:151], v[148:149]
	v_div_fmas_f64 v[144:145], v[144:145], v[146:147], v[150:151]
	v_div_fixup_f64 v[146:147], v[144:145], v[140:141], v[142:143]
	v_fmac_f64_e32 v[140:141], v[142:143], v[146:147]
	v_div_scale_f64 v[142:143], s[10:11], v[140:141], v[140:141], 1.0
	v_rcp_f64_e32 v[144:145], v[142:143]
	s_nop 0
	v_fma_f64 v[148:149], -v[142:143], v[144:145], 1.0
	v_fmac_f64_e32 v[144:145], v[144:145], v[148:149]
	v_fma_f64 v[148:149], -v[142:143], v[144:145], 1.0
	v_fmac_f64_e32 v[144:145], v[144:145], v[148:149]
	v_div_scale_f64 v[148:149], vcc, 1.0, v[140:141], 1.0
	v_mul_f64 v[150:151], v[148:149], v[144:145]
	v_fma_f64 v[142:143], -v[142:143], v[150:151], v[148:149]
	s_nop 1
	v_div_fmas_f64 v[142:143], v[142:143], v[144:145], v[150:151]
	v_div_fixup_f64 v[144:145], v[142:143], v[140:141], 1.0
	v_mul_f64 v[146:147], v[146:147], -v[144:145]
.LBB69_43:
	s_or_b64 exec, exec, s[2:3]
	ds_write2_b64 v167, v[144:145], v[146:147] offset1:1
.LBB69_44:
	s_or_b64 exec, exec, s[4:5]
	s_waitcnt lgkmcnt(0)
	s_barrier
	ds_read2_b64 v[140:143], v167 offset1:1
	v_cmp_lt_u32_e32 vcc, 4, v166
	s_waitcnt lgkmcnt(0)
	scratch_store_dwordx4 off, v[140:143], off offset:8 ; 16-byte Folded Spill
	s_and_saveexec_b64 s[2:3], vcc
	s_cbranch_execz .LBB69_46
; %bb.45:
	scratch_load_dwordx4 v[146:149], off, off offset:8 ; 16-byte Folded Reload
	ds_read2_b64 v[142:145], v168 offset0:10 offset1:11
	s_waitcnt vmcnt(0)
	v_mul_f64 v[140:141], v[148:149], v[118:119]
	v_mul_f64 v[118:119], v[146:147], v[118:119]
	v_fma_f64 v[140:141], v[146:147], v[116:117], -v[140:141]
	v_fmac_f64_e32 v[118:119], v[148:149], v[116:117]
	ds_read2_b64 v[146:149], v168 offset0:12 offset1:13
	s_waitcnt lgkmcnt(1)
	v_mul_f64 v[116:117], v[144:145], v[118:119]
	v_fma_f64 v[116:117], v[142:143], v[140:141], -v[116:117]
	v_mul_f64 v[142:143], v[142:143], v[118:119]
	v_fmac_f64_e32 v[142:143], v[144:145], v[140:141]
	v_add_f64 v[112:113], v[112:113], -v[116:117]
	v_add_f64 v[114:115], v[114:115], -v[142:143]
	s_waitcnt lgkmcnt(0)
	v_mul_f64 v[116:117], v[148:149], v[118:119]
	ds_read2_b64 v[142:145], v168 offset0:14 offset1:15
	v_fma_f64 v[116:117], v[146:147], v[140:141], -v[116:117]
	v_mul_f64 v[146:147], v[146:147], v[118:119]
	v_fmac_f64_e32 v[146:147], v[148:149], v[140:141]
	v_add_f64 v[110:111], v[110:111], -v[146:147]
	ds_read2_b64 v[146:149], v168 offset0:16 offset1:17
	v_add_f64 v[108:109], v[108:109], -v[116:117]
	s_waitcnt lgkmcnt(1)
	v_mul_f64 v[116:117], v[144:145], v[118:119]
	v_fma_f64 v[116:117], v[142:143], v[140:141], -v[116:117]
	v_mul_f64 v[142:143], v[142:143], v[118:119]
	v_fmac_f64_e32 v[142:143], v[144:145], v[140:141]
	v_add_f64 v[104:105], v[104:105], -v[116:117]
	v_add_f64 v[106:107], v[106:107], -v[142:143]
	s_waitcnt lgkmcnt(0)
	v_mul_f64 v[116:117], v[148:149], v[118:119]
	ds_read2_b64 v[142:145], v168 offset0:18 offset1:19
	v_fma_f64 v[116:117], v[146:147], v[140:141], -v[116:117]
	v_mul_f64 v[146:147], v[146:147], v[118:119]
	v_fmac_f64_e32 v[146:147], v[148:149], v[140:141]
	v_add_f64 v[102:103], v[102:103], -v[146:147]
	ds_read2_b64 v[146:149], v168 offset0:20 offset1:21
	v_add_f64 v[100:101], v[100:101], -v[116:117]
	;; [unrolled: 16-line block ×14, first 2 shown]
	s_waitcnt lgkmcnt(1)
	v_mul_f64 v[116:117], v[144:145], v[118:119]
	v_fma_f64 v[116:117], v[142:143], v[140:141], -v[116:117]
	v_mul_f64 v[142:143], v[142:143], v[118:119]
	v_fmac_f64_e32 v[142:143], v[144:145], v[140:141]
	v_add_f64 v[0:1], v[0:1], -v[116:117]
	v_add_f64 v[2:3], v[2:3], -v[142:143]
	s_waitcnt lgkmcnt(0)
	v_mul_f64 v[116:117], v[148:149], v[118:119]
	v_mul_f64 v[142:143], v[146:147], v[118:119]
	v_fma_f64 v[116:117], v[146:147], v[140:141], -v[116:117]
	v_fmac_f64_e32 v[142:143], v[148:149], v[140:141]
	v_add_f64 v[136:137], v[136:137], -v[116:117]
	v_add_f64 v[138:139], v[138:139], -v[142:143]
	v_mov_b64_e32 v[116:117], v[140:141]
.LBB69_46:
	s_or_b64 exec, exec, s[2:3]
	v_cmp_eq_u32_e32 vcc, 5, v166
	s_barrier
	s_and_saveexec_b64 s[4:5], vcc
	s_cbranch_execz .LBB69_53
; %bb.47:
	s_waitcnt vmcnt(30)
	ds_write2_b64 v167, v[112:113], v[114:115] offset1:1
	s_waitcnt vmcnt(29)
	ds_write2_b64 v168, v[108:109], v[110:111] offset0:12 offset1:13
	s_waitcnt vmcnt(28)
	ds_write2_b64 v168, v[104:105], v[106:107] offset0:14 offset1:15
	;; [unrolled: 2-line block ×29, first 2 shown]
	ds_read2_b64 v[140:143], v167 offset1:1
	s_waitcnt lgkmcnt(0)
	v_cmp_neq_f64_e32 vcc, 0, v[140:141]
	v_cmp_neq_f64_e64 s[2:3], 0, v[142:143]
	s_or_b64 s[2:3], vcc, s[2:3]
	s_and_b64 exec, exec, s[2:3]
	s_cbranch_execz .LBB69_53
; %bb.48:
	v_cmp_ngt_f64_e64 s[2:3], |v[140:141]|, |v[142:143]|
                                        ; implicit-def: $vgpr144_vgpr145
	s_and_saveexec_b64 s[10:11], s[2:3]
	s_xor_b64 s[2:3], exec, s[10:11]
                                        ; implicit-def: $vgpr146_vgpr147
	s_cbranch_execz .LBB69_50
; %bb.49:
	v_div_scale_f64 v[144:145], s[10:11], v[142:143], v[142:143], v[140:141]
	v_rcp_f64_e32 v[146:147], v[144:145]
	v_div_scale_f64 v[148:149], vcc, v[140:141], v[142:143], v[140:141]
	v_fma_f64 v[150:151], -v[144:145], v[146:147], 1.0
	v_fmac_f64_e32 v[146:147], v[146:147], v[150:151]
	v_fma_f64 v[150:151], -v[144:145], v[146:147], 1.0
	v_fmac_f64_e32 v[146:147], v[146:147], v[150:151]
	v_mul_f64 v[150:151], v[148:149], v[146:147]
	v_fma_f64 v[144:145], -v[144:145], v[150:151], v[148:149]
	v_div_fmas_f64 v[144:145], v[144:145], v[146:147], v[150:151]
	v_div_fixup_f64 v[144:145], v[144:145], v[142:143], v[140:141]
	v_fmac_f64_e32 v[142:143], v[140:141], v[144:145]
	v_div_scale_f64 v[140:141], s[10:11], v[142:143], v[142:143], 1.0
	v_rcp_f64_e32 v[146:147], v[140:141]
	s_nop 0
	v_fma_f64 v[148:149], -v[140:141], v[146:147], 1.0
	v_fmac_f64_e32 v[146:147], v[146:147], v[148:149]
	v_fma_f64 v[148:149], -v[140:141], v[146:147], 1.0
	v_fmac_f64_e32 v[146:147], v[146:147], v[148:149]
	v_div_scale_f64 v[148:149], vcc, 1.0, v[142:143], 1.0
	v_mul_f64 v[150:151], v[148:149], v[146:147]
	v_fma_f64 v[140:141], -v[140:141], v[150:151], v[148:149]
	s_nop 1
	v_div_fmas_f64 v[140:141], v[140:141], v[146:147], v[150:151]
	v_div_fixup_f64 v[146:147], v[140:141], v[142:143], 1.0
	v_mul_f64 v[144:145], v[144:145], v[146:147]
	v_xor_b32_e32 v147, 0x80000000, v147
                                        ; implicit-def: $vgpr140_vgpr141
.LBB69_50:
	s_andn2_saveexec_b64 s[2:3], s[2:3]
	s_cbranch_execz .LBB69_52
; %bb.51:
	v_div_scale_f64 v[144:145], s[10:11], v[140:141], v[140:141], v[142:143]
	v_rcp_f64_e32 v[146:147], v[144:145]
	v_div_scale_f64 v[148:149], vcc, v[142:143], v[140:141], v[142:143]
	v_fma_f64 v[150:151], -v[144:145], v[146:147], 1.0
	v_fmac_f64_e32 v[146:147], v[146:147], v[150:151]
	v_fma_f64 v[150:151], -v[144:145], v[146:147], 1.0
	v_fmac_f64_e32 v[146:147], v[146:147], v[150:151]
	v_mul_f64 v[150:151], v[148:149], v[146:147]
	v_fma_f64 v[144:145], -v[144:145], v[150:151], v[148:149]
	v_div_fmas_f64 v[144:145], v[144:145], v[146:147], v[150:151]
	v_div_fixup_f64 v[146:147], v[144:145], v[140:141], v[142:143]
	v_fmac_f64_e32 v[140:141], v[142:143], v[146:147]
	v_div_scale_f64 v[142:143], s[10:11], v[140:141], v[140:141], 1.0
	v_rcp_f64_e32 v[144:145], v[142:143]
	s_nop 0
	v_fma_f64 v[148:149], -v[142:143], v[144:145], 1.0
	v_fmac_f64_e32 v[144:145], v[144:145], v[148:149]
	v_fma_f64 v[148:149], -v[142:143], v[144:145], 1.0
	v_fmac_f64_e32 v[144:145], v[144:145], v[148:149]
	v_div_scale_f64 v[148:149], vcc, 1.0, v[140:141], 1.0
	v_mul_f64 v[150:151], v[148:149], v[144:145]
	v_fma_f64 v[142:143], -v[142:143], v[150:151], v[148:149]
	s_nop 1
	v_div_fmas_f64 v[142:143], v[142:143], v[144:145], v[150:151]
	v_div_fixup_f64 v[144:145], v[142:143], v[140:141], 1.0
	v_mul_f64 v[146:147], v[146:147], -v[144:145]
.LBB69_52:
	s_or_b64 exec, exec, s[2:3]
	ds_write2_b64 v167, v[144:145], v[146:147] offset1:1
.LBB69_53:
	s_or_b64 exec, exec, s[4:5]
	s_waitcnt lgkmcnt(0)
	s_barrier
	ds_read2_b64 v[140:143], v167 offset1:1
	v_cmp_lt_u32_e32 vcc, 5, v166
	s_waitcnt lgkmcnt(0)
	scratch_store_dwordx4 off, v[140:143], off offset:24 ; 16-byte Folded Spill
	s_and_saveexec_b64 s[2:3], vcc
	s_cbranch_execz .LBB69_55
; %bb.54:
	scratch_load_dwordx4 v[146:149], off, off offset:24 ; 16-byte Folded Reload
	ds_read2_b64 v[142:145], v168 offset0:12 offset1:13
	s_waitcnt vmcnt(0)
	v_mul_f64 v[140:141], v[148:149], v[114:115]
	v_mul_f64 v[114:115], v[146:147], v[114:115]
	v_fmac_f64_e32 v[114:115], v[148:149], v[112:113]
	v_fma_f64 v[140:141], v[146:147], v[112:113], -v[140:141]
	ds_read2_b64 v[146:149], v168 offset0:14 offset1:15
	s_waitcnt lgkmcnt(1)
	v_mul_f64 v[112:113], v[144:145], v[114:115]
	v_fma_f64 v[112:113], v[142:143], v[140:141], -v[112:113]
	v_mul_f64 v[142:143], v[142:143], v[114:115]
	v_fmac_f64_e32 v[142:143], v[144:145], v[140:141]
	v_add_f64 v[110:111], v[110:111], -v[142:143]
	ds_read2_b64 v[142:145], v168 offset0:16 offset1:17
	v_add_f64 v[108:109], v[108:109], -v[112:113]
	s_waitcnt lgkmcnt(1)
	v_mul_f64 v[112:113], v[148:149], v[114:115]
	v_fma_f64 v[112:113], v[146:147], v[140:141], -v[112:113]
	v_mul_f64 v[146:147], v[146:147], v[114:115]
	v_fmac_f64_e32 v[146:147], v[148:149], v[140:141]
	v_add_f64 v[104:105], v[104:105], -v[112:113]
	v_add_f64 v[106:107], v[106:107], -v[146:147]
	ds_read2_b64 v[146:149], v168 offset0:18 offset1:19
	s_waitcnt lgkmcnt(1)
	v_mul_f64 v[112:113], v[144:145], v[114:115]
	v_fma_f64 v[112:113], v[142:143], v[140:141], -v[112:113]
	v_mul_f64 v[142:143], v[142:143], v[114:115]
	v_fmac_f64_e32 v[142:143], v[144:145], v[140:141]
	v_add_f64 v[102:103], v[102:103], -v[142:143]
	ds_read2_b64 v[142:145], v168 offset0:20 offset1:21
	v_add_f64 v[100:101], v[100:101], -v[112:113]
	s_waitcnt lgkmcnt(1)
	v_mul_f64 v[112:113], v[148:149], v[114:115]
	v_fma_f64 v[112:113], v[146:147], v[140:141], -v[112:113]
	v_mul_f64 v[146:147], v[146:147], v[114:115]
	v_fmac_f64_e32 v[146:147], v[148:149], v[140:141]
	v_add_f64 v[96:97], v[96:97], -v[112:113]
	v_add_f64 v[98:99], v[98:99], -v[146:147]
	ds_read2_b64 v[146:149], v168 offset0:22 offset1:23
	s_waitcnt lgkmcnt(1)
	v_mul_f64 v[112:113], v[144:145], v[114:115]
	v_fma_f64 v[112:113], v[142:143], v[140:141], -v[112:113]
	v_mul_f64 v[142:143], v[142:143], v[114:115]
	v_fmac_f64_e32 v[142:143], v[144:145], v[140:141]
	v_add_f64 v[94:95], v[94:95], -v[142:143]
	ds_read2_b64 v[142:145], v168 offset0:24 offset1:25
	v_add_f64 v[92:93], v[92:93], -v[112:113]
	s_waitcnt lgkmcnt(1)
	v_mul_f64 v[112:113], v[148:149], v[114:115]
	v_fma_f64 v[112:113], v[146:147], v[140:141], -v[112:113]
	v_mul_f64 v[146:147], v[146:147], v[114:115]
	v_fmac_f64_e32 v[146:147], v[148:149], v[140:141]
	v_add_f64 v[88:89], v[88:89], -v[112:113]
	v_add_f64 v[90:91], v[90:91], -v[146:147]
	ds_read2_b64 v[146:149], v168 offset0:26 offset1:27
	s_waitcnt lgkmcnt(1)
	v_mul_f64 v[112:113], v[144:145], v[114:115]
	v_fma_f64 v[112:113], v[142:143], v[140:141], -v[112:113]
	v_mul_f64 v[142:143], v[142:143], v[114:115]
	v_fmac_f64_e32 v[142:143], v[144:145], v[140:141]
	v_add_f64 v[86:87], v[86:87], -v[142:143]
	ds_read2_b64 v[142:145], v168 offset0:28 offset1:29
	v_add_f64 v[84:85], v[84:85], -v[112:113]
	s_waitcnt lgkmcnt(1)
	v_mul_f64 v[112:113], v[148:149], v[114:115]
	v_fma_f64 v[112:113], v[146:147], v[140:141], -v[112:113]
	v_mul_f64 v[146:147], v[146:147], v[114:115]
	v_fmac_f64_e32 v[146:147], v[148:149], v[140:141]
	v_add_f64 v[80:81], v[80:81], -v[112:113]
	v_add_f64 v[82:83], v[82:83], -v[146:147]
	ds_read2_b64 v[146:149], v168 offset0:30 offset1:31
	s_waitcnt lgkmcnt(1)
	v_mul_f64 v[112:113], v[144:145], v[114:115]
	v_fma_f64 v[112:113], v[142:143], v[140:141], -v[112:113]
	v_mul_f64 v[142:143], v[142:143], v[114:115]
	v_fmac_f64_e32 v[142:143], v[144:145], v[140:141]
	v_add_f64 v[78:79], v[78:79], -v[142:143]
	ds_read2_b64 v[142:145], v168 offset0:32 offset1:33
	v_add_f64 v[76:77], v[76:77], -v[112:113]
	s_waitcnt lgkmcnt(1)
	v_mul_f64 v[112:113], v[148:149], v[114:115]
	v_fma_f64 v[112:113], v[146:147], v[140:141], -v[112:113]
	v_mul_f64 v[146:147], v[146:147], v[114:115]
	v_fmac_f64_e32 v[146:147], v[148:149], v[140:141]
	v_add_f64 v[72:73], v[72:73], -v[112:113]
	v_add_f64 v[74:75], v[74:75], -v[146:147]
	ds_read2_b64 v[146:149], v168 offset0:34 offset1:35
	s_waitcnt lgkmcnt(1)
	v_mul_f64 v[112:113], v[144:145], v[114:115]
	v_fma_f64 v[112:113], v[142:143], v[140:141], -v[112:113]
	v_mul_f64 v[142:143], v[142:143], v[114:115]
	v_fmac_f64_e32 v[142:143], v[144:145], v[140:141]
	v_add_f64 v[70:71], v[70:71], -v[142:143]
	ds_read2_b64 v[142:145], v168 offset0:36 offset1:37
	v_add_f64 v[68:69], v[68:69], -v[112:113]
	s_waitcnt lgkmcnt(1)
	v_mul_f64 v[112:113], v[148:149], v[114:115]
	v_fma_f64 v[112:113], v[146:147], v[140:141], -v[112:113]
	v_mul_f64 v[146:147], v[146:147], v[114:115]
	v_fmac_f64_e32 v[146:147], v[148:149], v[140:141]
	v_add_f64 v[64:65], v[64:65], -v[112:113]
	v_add_f64 v[66:67], v[66:67], -v[146:147]
	ds_read2_b64 v[146:149], v168 offset0:38 offset1:39
	s_waitcnt lgkmcnt(1)
	v_mul_f64 v[112:113], v[144:145], v[114:115]
	v_fma_f64 v[112:113], v[142:143], v[140:141], -v[112:113]
	v_mul_f64 v[142:143], v[142:143], v[114:115]
	v_fmac_f64_e32 v[142:143], v[144:145], v[140:141]
	v_add_f64 v[254:255], v[254:255], -v[142:143]
	ds_read2_b64 v[142:145], v168 offset0:40 offset1:41
	v_add_f64 v[252:253], v[252:253], -v[112:113]
	s_waitcnt lgkmcnt(1)
	v_mul_f64 v[112:113], v[148:149], v[114:115]
	v_fma_f64 v[112:113], v[146:147], v[140:141], -v[112:113]
	v_mul_f64 v[146:147], v[146:147], v[114:115]
	v_fmac_f64_e32 v[146:147], v[148:149], v[140:141]
	v_add_f64 v[56:57], v[56:57], -v[112:113]
	v_add_f64 v[58:59], v[58:59], -v[146:147]
	ds_read2_b64 v[146:149], v168 offset0:42 offset1:43
	s_waitcnt lgkmcnt(1)
	v_mul_f64 v[112:113], v[144:145], v[114:115]
	v_fma_f64 v[112:113], v[142:143], v[140:141], -v[112:113]
	v_mul_f64 v[142:143], v[142:143], v[114:115]
	v_fmac_f64_e32 v[142:143], v[144:145], v[140:141]
	v_add_f64 v[54:55], v[54:55], -v[142:143]
	ds_read2_b64 v[142:145], v168 offset0:44 offset1:45
	v_add_f64 v[52:53], v[52:53], -v[112:113]
	s_waitcnt lgkmcnt(1)
	v_mul_f64 v[112:113], v[148:149], v[114:115]
	v_fma_f64 v[112:113], v[146:147], v[140:141], -v[112:113]
	v_mul_f64 v[146:147], v[146:147], v[114:115]
	v_fmac_f64_e32 v[146:147], v[148:149], v[140:141]
	v_add_f64 v[48:49], v[48:49], -v[112:113]
	v_add_f64 v[50:51], v[50:51], -v[146:147]
	ds_read2_b64 v[146:149], v168 offset0:46 offset1:47
	s_waitcnt lgkmcnt(1)
	v_mul_f64 v[112:113], v[144:145], v[114:115]
	v_fma_f64 v[112:113], v[142:143], v[140:141], -v[112:113]
	v_mul_f64 v[142:143], v[142:143], v[114:115]
	v_fmac_f64_e32 v[142:143], v[144:145], v[140:141]
	v_add_f64 v[46:47], v[46:47], -v[142:143]
	ds_read2_b64 v[142:145], v168 offset0:48 offset1:49
	v_add_f64 v[44:45], v[44:45], -v[112:113]
	s_waitcnt lgkmcnt(1)
	v_mul_f64 v[112:113], v[148:149], v[114:115]
	v_fma_f64 v[112:113], v[146:147], v[140:141], -v[112:113]
	v_mul_f64 v[146:147], v[146:147], v[114:115]
	v_fmac_f64_e32 v[146:147], v[148:149], v[140:141]
	v_add_f64 v[40:41], v[40:41], -v[112:113]
	v_add_f64 v[42:43], v[42:43], -v[146:147]
	ds_read2_b64 v[146:149], v168 offset0:50 offset1:51
	s_waitcnt lgkmcnt(1)
	v_mul_f64 v[112:113], v[144:145], v[114:115]
	v_fma_f64 v[112:113], v[142:143], v[140:141], -v[112:113]
	v_mul_f64 v[142:143], v[142:143], v[114:115]
	v_fmac_f64_e32 v[142:143], v[144:145], v[140:141]
	v_add_f64 v[38:39], v[38:39], -v[142:143]
	ds_read2_b64 v[142:145], v168 offset0:52 offset1:53
	v_add_f64 v[36:37], v[36:37], -v[112:113]
	s_waitcnt lgkmcnt(1)
	v_mul_f64 v[112:113], v[148:149], v[114:115]
	v_fma_f64 v[112:113], v[146:147], v[140:141], -v[112:113]
	v_mul_f64 v[146:147], v[146:147], v[114:115]
	v_fmac_f64_e32 v[146:147], v[148:149], v[140:141]
	v_add_f64 v[32:33], v[32:33], -v[112:113]
	v_add_f64 v[34:35], v[34:35], -v[146:147]
	ds_read2_b64 v[146:149], v168 offset0:54 offset1:55
	s_waitcnt lgkmcnt(1)
	v_mul_f64 v[112:113], v[144:145], v[114:115]
	v_fma_f64 v[112:113], v[142:143], v[140:141], -v[112:113]
	v_mul_f64 v[142:143], v[142:143], v[114:115]
	v_fmac_f64_e32 v[142:143], v[144:145], v[140:141]
	v_add_f64 v[30:31], v[30:31], -v[142:143]
	ds_read2_b64 v[142:145], v168 offset0:56 offset1:57
	v_add_f64 v[28:29], v[28:29], -v[112:113]
	s_waitcnt lgkmcnt(1)
	v_mul_f64 v[112:113], v[148:149], v[114:115]
	v_fma_f64 v[112:113], v[146:147], v[140:141], -v[112:113]
	v_mul_f64 v[146:147], v[146:147], v[114:115]
	v_fmac_f64_e32 v[146:147], v[148:149], v[140:141]
	v_add_f64 v[24:25], v[24:25], -v[112:113]
	v_add_f64 v[26:27], v[26:27], -v[146:147]
	ds_read2_b64 v[146:149], v168 offset0:58 offset1:59
	s_waitcnt lgkmcnt(1)
	v_mul_f64 v[112:113], v[144:145], v[114:115]
	v_fma_f64 v[112:113], v[142:143], v[140:141], -v[112:113]
	v_mul_f64 v[142:143], v[142:143], v[114:115]
	v_fmac_f64_e32 v[142:143], v[144:145], v[140:141]
	v_add_f64 v[22:23], v[22:23], -v[142:143]
	ds_read2_b64 v[142:145], v168 offset0:60 offset1:61
	v_add_f64 v[20:21], v[20:21], -v[112:113]
	s_waitcnt lgkmcnt(1)
	v_mul_f64 v[112:113], v[148:149], v[114:115]
	v_fma_f64 v[112:113], v[146:147], v[140:141], -v[112:113]
	v_mul_f64 v[146:147], v[146:147], v[114:115]
	v_fmac_f64_e32 v[146:147], v[148:149], v[140:141]
	v_add_f64 v[16:17], v[16:17], -v[112:113]
	v_add_f64 v[18:19], v[18:19], -v[146:147]
	ds_read2_b64 v[146:149], v168 offset0:62 offset1:63
	s_waitcnt lgkmcnt(1)
	v_mul_f64 v[112:113], v[144:145], v[114:115]
	v_fma_f64 v[112:113], v[142:143], v[140:141], -v[112:113]
	v_mul_f64 v[142:143], v[142:143], v[114:115]
	v_fmac_f64_e32 v[142:143], v[144:145], v[140:141]
	v_add_f64 v[14:15], v[14:15], -v[142:143]
	ds_read2_b64 v[142:145], v168 offset0:64 offset1:65
	v_add_f64 v[12:13], v[12:13], -v[112:113]
	s_waitcnt lgkmcnt(1)
	v_mul_f64 v[112:113], v[148:149], v[114:115]
	v_fma_f64 v[112:113], v[146:147], v[140:141], -v[112:113]
	v_mul_f64 v[146:147], v[146:147], v[114:115]
	v_fmac_f64_e32 v[146:147], v[148:149], v[140:141]
	v_add_f64 v[8:9], v[8:9], -v[112:113]
	v_add_f64 v[10:11], v[10:11], -v[146:147]
	ds_read2_b64 v[146:149], v168 offset0:66 offset1:67
	s_waitcnt lgkmcnt(1)
	v_mul_f64 v[112:113], v[144:145], v[114:115]
	v_fma_f64 v[112:113], v[142:143], v[140:141], -v[112:113]
	v_mul_f64 v[142:143], v[142:143], v[114:115]
	v_fmac_f64_e32 v[142:143], v[144:145], v[140:141]
	v_add_f64 v[6:7], v[6:7], -v[142:143]
	ds_read2_b64 v[142:145], v168 offset0:68 offset1:69
	v_add_f64 v[4:5], v[4:5], -v[112:113]
	s_waitcnt lgkmcnt(1)
	v_mul_f64 v[112:113], v[148:149], v[114:115]
	v_fma_f64 v[112:113], v[146:147], v[140:141], -v[112:113]
	v_add_f64 v[0:1], v[0:1], -v[112:113]
	s_waitcnt lgkmcnt(0)
	v_mul_f64 v[112:113], v[144:145], v[114:115]
	v_mul_f64 v[146:147], v[146:147], v[114:115]
	v_fma_f64 v[112:113], v[142:143], v[140:141], -v[112:113]
	v_mul_f64 v[142:143], v[142:143], v[114:115]
	v_fmac_f64_e32 v[146:147], v[148:149], v[140:141]
	v_fmac_f64_e32 v[142:143], v[144:145], v[140:141]
	v_add_f64 v[2:3], v[2:3], -v[146:147]
	v_add_f64 v[136:137], v[136:137], -v[112:113]
	;; [unrolled: 1-line block ×3, first 2 shown]
	v_mov_b64_e32 v[112:113], v[140:141]
.LBB69_55:
	s_or_b64 exec, exec, s[2:3]
	v_cmp_eq_u32_e32 vcc, 6, v166
	s_barrier
	s_and_saveexec_b64 s[4:5], vcc
	s_cbranch_execz .LBB69_62
; %bb.56:
	s_waitcnt vmcnt(30)
	ds_write2_b64 v167, v[108:109], v[110:111] offset1:1
	s_waitcnt vmcnt(29)
	ds_write2_b64 v168, v[104:105], v[106:107] offset0:14 offset1:15
	s_waitcnt vmcnt(28)
	ds_write2_b64 v168, v[100:101], v[102:103] offset0:16 offset1:17
	;; [unrolled: 2-line block ×28, first 2 shown]
	ds_read2_b64 v[140:143], v167 offset1:1
	s_waitcnt lgkmcnt(0)
	v_cmp_neq_f64_e32 vcc, 0, v[140:141]
	v_cmp_neq_f64_e64 s[2:3], 0, v[142:143]
	s_or_b64 s[2:3], vcc, s[2:3]
	s_and_b64 exec, exec, s[2:3]
	s_cbranch_execz .LBB69_62
; %bb.57:
	v_cmp_ngt_f64_e64 s[2:3], |v[140:141]|, |v[142:143]|
                                        ; implicit-def: $vgpr144_vgpr145
	s_and_saveexec_b64 s[10:11], s[2:3]
	s_xor_b64 s[2:3], exec, s[10:11]
                                        ; implicit-def: $vgpr146_vgpr147
	s_cbranch_execz .LBB69_59
; %bb.58:
	v_div_scale_f64 v[144:145], s[10:11], v[142:143], v[142:143], v[140:141]
	v_rcp_f64_e32 v[146:147], v[144:145]
	v_div_scale_f64 v[148:149], vcc, v[140:141], v[142:143], v[140:141]
	v_fma_f64 v[150:151], -v[144:145], v[146:147], 1.0
	v_fmac_f64_e32 v[146:147], v[146:147], v[150:151]
	v_fma_f64 v[150:151], -v[144:145], v[146:147], 1.0
	v_fmac_f64_e32 v[146:147], v[146:147], v[150:151]
	v_mul_f64 v[150:151], v[148:149], v[146:147]
	v_fma_f64 v[144:145], -v[144:145], v[150:151], v[148:149]
	v_div_fmas_f64 v[144:145], v[144:145], v[146:147], v[150:151]
	v_div_fixup_f64 v[144:145], v[144:145], v[142:143], v[140:141]
	v_fmac_f64_e32 v[142:143], v[140:141], v[144:145]
	v_div_scale_f64 v[140:141], s[10:11], v[142:143], v[142:143], 1.0
	v_rcp_f64_e32 v[146:147], v[140:141]
	s_nop 0
	v_fma_f64 v[148:149], -v[140:141], v[146:147], 1.0
	v_fmac_f64_e32 v[146:147], v[146:147], v[148:149]
	v_fma_f64 v[148:149], -v[140:141], v[146:147], 1.0
	v_fmac_f64_e32 v[146:147], v[146:147], v[148:149]
	v_div_scale_f64 v[148:149], vcc, 1.0, v[142:143], 1.0
	v_mul_f64 v[150:151], v[148:149], v[146:147]
	v_fma_f64 v[140:141], -v[140:141], v[150:151], v[148:149]
	s_nop 1
	v_div_fmas_f64 v[140:141], v[140:141], v[146:147], v[150:151]
	v_div_fixup_f64 v[146:147], v[140:141], v[142:143], 1.0
	v_mul_f64 v[144:145], v[144:145], v[146:147]
	v_xor_b32_e32 v147, 0x80000000, v147
                                        ; implicit-def: $vgpr140_vgpr141
.LBB69_59:
	s_andn2_saveexec_b64 s[2:3], s[2:3]
	s_cbranch_execz .LBB69_61
; %bb.60:
	v_div_scale_f64 v[144:145], s[10:11], v[140:141], v[140:141], v[142:143]
	v_rcp_f64_e32 v[146:147], v[144:145]
	v_div_scale_f64 v[148:149], vcc, v[142:143], v[140:141], v[142:143]
	v_fma_f64 v[150:151], -v[144:145], v[146:147], 1.0
	v_fmac_f64_e32 v[146:147], v[146:147], v[150:151]
	v_fma_f64 v[150:151], -v[144:145], v[146:147], 1.0
	v_fmac_f64_e32 v[146:147], v[146:147], v[150:151]
	v_mul_f64 v[150:151], v[148:149], v[146:147]
	v_fma_f64 v[144:145], -v[144:145], v[150:151], v[148:149]
	v_div_fmas_f64 v[144:145], v[144:145], v[146:147], v[150:151]
	v_div_fixup_f64 v[146:147], v[144:145], v[140:141], v[142:143]
	v_fmac_f64_e32 v[140:141], v[142:143], v[146:147]
	v_div_scale_f64 v[142:143], s[10:11], v[140:141], v[140:141], 1.0
	v_rcp_f64_e32 v[144:145], v[142:143]
	s_nop 0
	v_fma_f64 v[148:149], -v[142:143], v[144:145], 1.0
	v_fmac_f64_e32 v[144:145], v[144:145], v[148:149]
	v_fma_f64 v[148:149], -v[142:143], v[144:145], 1.0
	v_fmac_f64_e32 v[144:145], v[144:145], v[148:149]
	v_div_scale_f64 v[148:149], vcc, 1.0, v[140:141], 1.0
	v_mul_f64 v[150:151], v[148:149], v[144:145]
	v_fma_f64 v[142:143], -v[142:143], v[150:151], v[148:149]
	s_nop 1
	v_div_fmas_f64 v[142:143], v[142:143], v[144:145], v[150:151]
	v_div_fixup_f64 v[144:145], v[142:143], v[140:141], 1.0
	v_mul_f64 v[146:147], v[146:147], -v[144:145]
.LBB69_61:
	s_or_b64 exec, exec, s[2:3]
	ds_write2_b64 v167, v[144:145], v[146:147] offset1:1
.LBB69_62:
	s_or_b64 exec, exec, s[4:5]
	s_waitcnt lgkmcnt(0)
	s_barrier
	ds_read2_b64 v[140:143], v167 offset1:1
	v_cmp_lt_u32_e32 vcc, 6, v166
	s_waitcnt lgkmcnt(0)
	scratch_store_dwordx4 off, v[140:143], off offset:40 ; 16-byte Folded Spill
	s_and_saveexec_b64 s[2:3], vcc
	s_cbranch_execz .LBB69_64
; %bb.63:
	scratch_load_dwordx4 v[146:149], off, off offset:40 ; 16-byte Folded Reload
	ds_read2_b64 v[142:145], v168 offset0:14 offset1:15
	s_waitcnt vmcnt(0)
	v_mul_f64 v[140:141], v[148:149], v[110:111]
	v_mul_f64 v[110:111], v[146:147], v[110:111]
	v_fma_f64 v[140:141], v[146:147], v[108:109], -v[140:141]
	v_fmac_f64_e32 v[110:111], v[148:149], v[108:109]
	ds_read2_b64 v[146:149], v168 offset0:16 offset1:17
	s_waitcnt lgkmcnt(1)
	v_mul_f64 v[108:109], v[144:145], v[110:111]
	v_fma_f64 v[108:109], v[142:143], v[140:141], -v[108:109]
	v_mul_f64 v[142:143], v[142:143], v[110:111]
	v_fmac_f64_e32 v[142:143], v[144:145], v[140:141]
	v_add_f64 v[104:105], v[104:105], -v[108:109]
	v_add_f64 v[106:107], v[106:107], -v[142:143]
	s_waitcnt lgkmcnt(0)
	v_mul_f64 v[108:109], v[148:149], v[110:111]
	ds_read2_b64 v[142:145], v168 offset0:18 offset1:19
	v_fma_f64 v[108:109], v[146:147], v[140:141], -v[108:109]
	v_mul_f64 v[146:147], v[146:147], v[110:111]
	v_fmac_f64_e32 v[146:147], v[148:149], v[140:141]
	v_add_f64 v[102:103], v[102:103], -v[146:147]
	ds_read2_b64 v[146:149], v168 offset0:20 offset1:21
	v_add_f64 v[100:101], v[100:101], -v[108:109]
	s_waitcnt lgkmcnt(1)
	v_mul_f64 v[108:109], v[144:145], v[110:111]
	v_fma_f64 v[108:109], v[142:143], v[140:141], -v[108:109]
	v_mul_f64 v[142:143], v[142:143], v[110:111]
	v_fmac_f64_e32 v[142:143], v[144:145], v[140:141]
	v_add_f64 v[96:97], v[96:97], -v[108:109]
	v_add_f64 v[98:99], v[98:99], -v[142:143]
	s_waitcnt lgkmcnt(0)
	v_mul_f64 v[108:109], v[148:149], v[110:111]
	ds_read2_b64 v[142:145], v168 offset0:22 offset1:23
	v_fma_f64 v[108:109], v[146:147], v[140:141], -v[108:109]
	v_mul_f64 v[146:147], v[146:147], v[110:111]
	v_fmac_f64_e32 v[146:147], v[148:149], v[140:141]
	v_add_f64 v[94:95], v[94:95], -v[146:147]
	ds_read2_b64 v[146:149], v168 offset0:24 offset1:25
	v_add_f64 v[92:93], v[92:93], -v[108:109]
	;; [unrolled: 16-line block ×13, first 2 shown]
	s_waitcnt lgkmcnt(1)
	v_mul_f64 v[108:109], v[144:145], v[110:111]
	v_fma_f64 v[108:109], v[142:143], v[140:141], -v[108:109]
	v_mul_f64 v[142:143], v[142:143], v[110:111]
	v_fmac_f64_e32 v[142:143], v[144:145], v[140:141]
	v_add_f64 v[0:1], v[0:1], -v[108:109]
	v_add_f64 v[2:3], v[2:3], -v[142:143]
	s_waitcnt lgkmcnt(0)
	v_mul_f64 v[108:109], v[148:149], v[110:111]
	v_mul_f64 v[142:143], v[146:147], v[110:111]
	v_fma_f64 v[108:109], v[146:147], v[140:141], -v[108:109]
	v_fmac_f64_e32 v[142:143], v[148:149], v[140:141]
	v_add_f64 v[136:137], v[136:137], -v[108:109]
	v_add_f64 v[138:139], v[138:139], -v[142:143]
	v_mov_b64_e32 v[108:109], v[140:141]
.LBB69_64:
	s_or_b64 exec, exec, s[2:3]
	v_cmp_eq_u32_e32 vcc, 7, v166
	s_barrier
	s_and_saveexec_b64 s[4:5], vcc
	s_cbranch_execz .LBB69_71
; %bb.65:
	s_waitcnt vmcnt(30)
	ds_write2_b64 v167, v[104:105], v[106:107] offset1:1
	s_waitcnt vmcnt(29)
	ds_write2_b64 v168, v[100:101], v[102:103] offset0:16 offset1:17
	s_waitcnt vmcnt(28)
	ds_write2_b64 v168, v[96:97], v[98:99] offset0:18 offset1:19
	;; [unrolled: 2-line block ×27, first 2 shown]
	ds_read2_b64 v[140:143], v167 offset1:1
	s_waitcnt lgkmcnt(0)
	v_cmp_neq_f64_e32 vcc, 0, v[140:141]
	v_cmp_neq_f64_e64 s[2:3], 0, v[142:143]
	s_or_b64 s[2:3], vcc, s[2:3]
	s_and_b64 exec, exec, s[2:3]
	s_cbranch_execz .LBB69_71
; %bb.66:
	v_cmp_ngt_f64_e64 s[2:3], |v[140:141]|, |v[142:143]|
                                        ; implicit-def: $vgpr144_vgpr145
	s_and_saveexec_b64 s[10:11], s[2:3]
	s_xor_b64 s[2:3], exec, s[10:11]
                                        ; implicit-def: $vgpr146_vgpr147
	s_cbranch_execz .LBB69_68
; %bb.67:
	v_div_scale_f64 v[144:145], s[10:11], v[142:143], v[142:143], v[140:141]
	v_rcp_f64_e32 v[146:147], v[144:145]
	v_div_scale_f64 v[148:149], vcc, v[140:141], v[142:143], v[140:141]
	v_fma_f64 v[150:151], -v[144:145], v[146:147], 1.0
	v_fmac_f64_e32 v[146:147], v[146:147], v[150:151]
	v_fma_f64 v[150:151], -v[144:145], v[146:147], 1.0
	v_fmac_f64_e32 v[146:147], v[146:147], v[150:151]
	v_mul_f64 v[150:151], v[148:149], v[146:147]
	v_fma_f64 v[144:145], -v[144:145], v[150:151], v[148:149]
	v_div_fmas_f64 v[144:145], v[144:145], v[146:147], v[150:151]
	v_div_fixup_f64 v[144:145], v[144:145], v[142:143], v[140:141]
	v_fmac_f64_e32 v[142:143], v[140:141], v[144:145]
	v_div_scale_f64 v[140:141], s[10:11], v[142:143], v[142:143], 1.0
	v_rcp_f64_e32 v[146:147], v[140:141]
	s_nop 0
	v_fma_f64 v[148:149], -v[140:141], v[146:147], 1.0
	v_fmac_f64_e32 v[146:147], v[146:147], v[148:149]
	v_fma_f64 v[148:149], -v[140:141], v[146:147], 1.0
	v_fmac_f64_e32 v[146:147], v[146:147], v[148:149]
	v_div_scale_f64 v[148:149], vcc, 1.0, v[142:143], 1.0
	v_mul_f64 v[150:151], v[148:149], v[146:147]
	v_fma_f64 v[140:141], -v[140:141], v[150:151], v[148:149]
	s_nop 1
	v_div_fmas_f64 v[140:141], v[140:141], v[146:147], v[150:151]
	v_div_fixup_f64 v[146:147], v[140:141], v[142:143], 1.0
	v_mul_f64 v[144:145], v[144:145], v[146:147]
	v_xor_b32_e32 v147, 0x80000000, v147
                                        ; implicit-def: $vgpr140_vgpr141
.LBB69_68:
	s_andn2_saveexec_b64 s[2:3], s[2:3]
	s_cbranch_execz .LBB69_70
; %bb.69:
	v_div_scale_f64 v[144:145], s[10:11], v[140:141], v[140:141], v[142:143]
	v_rcp_f64_e32 v[146:147], v[144:145]
	v_div_scale_f64 v[148:149], vcc, v[142:143], v[140:141], v[142:143]
	v_fma_f64 v[150:151], -v[144:145], v[146:147], 1.0
	v_fmac_f64_e32 v[146:147], v[146:147], v[150:151]
	v_fma_f64 v[150:151], -v[144:145], v[146:147], 1.0
	v_fmac_f64_e32 v[146:147], v[146:147], v[150:151]
	v_mul_f64 v[150:151], v[148:149], v[146:147]
	v_fma_f64 v[144:145], -v[144:145], v[150:151], v[148:149]
	v_div_fmas_f64 v[144:145], v[144:145], v[146:147], v[150:151]
	v_div_fixup_f64 v[146:147], v[144:145], v[140:141], v[142:143]
	v_fmac_f64_e32 v[140:141], v[142:143], v[146:147]
	v_div_scale_f64 v[142:143], s[10:11], v[140:141], v[140:141], 1.0
	v_rcp_f64_e32 v[144:145], v[142:143]
	s_nop 0
	v_fma_f64 v[148:149], -v[142:143], v[144:145], 1.0
	v_fmac_f64_e32 v[144:145], v[144:145], v[148:149]
	v_fma_f64 v[148:149], -v[142:143], v[144:145], 1.0
	v_fmac_f64_e32 v[144:145], v[144:145], v[148:149]
	v_div_scale_f64 v[148:149], vcc, 1.0, v[140:141], 1.0
	v_mul_f64 v[150:151], v[148:149], v[144:145]
	v_fma_f64 v[142:143], -v[142:143], v[150:151], v[148:149]
	s_nop 1
	v_div_fmas_f64 v[142:143], v[142:143], v[144:145], v[150:151]
	v_div_fixup_f64 v[144:145], v[142:143], v[140:141], 1.0
	v_mul_f64 v[146:147], v[146:147], -v[144:145]
.LBB69_70:
	s_or_b64 exec, exec, s[2:3]
	ds_write2_b64 v167, v[144:145], v[146:147] offset1:1
.LBB69_71:
	s_or_b64 exec, exec, s[4:5]
	s_waitcnt lgkmcnt(0)
	s_barrier
	ds_read2_b64 v[140:143], v167 offset1:1
	v_cmp_lt_u32_e32 vcc, 7, v166
	s_waitcnt lgkmcnt(0)
	scratch_store_dwordx4 off, v[140:143], off offset:56 ; 16-byte Folded Spill
	s_and_saveexec_b64 s[2:3], vcc
	s_cbranch_execz .LBB69_73
; %bb.72:
	scratch_load_dwordx4 v[142:145], off, off offset:56 ; 16-byte Folded Reload
	s_waitcnt vmcnt(0)
	v_mul_f64 v[140:141], v[144:145], v[106:107]
	v_mul_f64 v[106:107], v[142:143], v[106:107]
	v_fma_f64 v[140:141], v[142:143], v[104:105], -v[140:141]
	v_fmac_f64_e32 v[106:107], v[144:145], v[104:105]
	ds_read2_b64 v[142:145], v168 offset0:16 offset1:17
	s_waitcnt lgkmcnt(0)
	v_mul_f64 v[104:105], v[144:145], v[106:107]
	v_fma_f64 v[104:105], v[142:143], v[140:141], -v[104:105]
	v_mul_f64 v[142:143], v[142:143], v[106:107]
	v_fmac_f64_e32 v[142:143], v[144:145], v[140:141]
	v_add_f64 v[102:103], v[102:103], -v[142:143]
	ds_read2_b64 v[142:145], v168 offset0:18 offset1:19
	v_add_f64 v[100:101], v[100:101], -v[104:105]
	s_waitcnt lgkmcnt(0)
	v_mul_f64 v[104:105], v[144:145], v[106:107]
	v_fma_f64 v[104:105], v[142:143], v[140:141], -v[104:105]
	v_mul_f64 v[142:143], v[142:143], v[106:107]
	v_fmac_f64_e32 v[142:143], v[144:145], v[140:141]
	v_add_f64 v[98:99], v[98:99], -v[142:143]
	ds_read2_b64 v[142:145], v168 offset0:20 offset1:21
	v_add_f64 v[96:97], v[96:97], -v[104:105]
	;; [unrolled: 8-line block ×26, first 2 shown]
	s_waitcnt lgkmcnt(0)
	v_mul_f64 v[104:105], v[144:145], v[106:107]
	v_fma_f64 v[104:105], v[142:143], v[140:141], -v[104:105]
	v_mul_f64 v[142:143], v[142:143], v[106:107]
	v_fmac_f64_e32 v[142:143], v[144:145], v[140:141]
	v_add_f64 v[136:137], v[136:137], -v[104:105]
	v_add_f64 v[138:139], v[138:139], -v[142:143]
	v_mov_b64_e32 v[104:105], v[140:141]
.LBB69_73:
	s_or_b64 exec, exec, s[2:3]
	v_cmp_eq_u32_e32 vcc, 8, v166
	s_barrier
	s_and_saveexec_b64 s[4:5], vcc
	s_cbranch_execz .LBB69_80
; %bb.74:
	s_waitcnt vmcnt(30)
	ds_write2_b64 v167, v[100:101], v[102:103] offset1:1
	s_waitcnt vmcnt(29)
	ds_write2_b64 v168, v[96:97], v[98:99] offset0:18 offset1:19
	s_waitcnt vmcnt(28)
	ds_write2_b64 v168, v[92:93], v[94:95] offset0:20 offset1:21
	;; [unrolled: 2-line block ×26, first 2 shown]
	ds_read2_b64 v[140:143], v167 offset1:1
	s_waitcnt lgkmcnt(0)
	v_cmp_neq_f64_e32 vcc, 0, v[140:141]
	v_cmp_neq_f64_e64 s[2:3], 0, v[142:143]
	s_or_b64 s[2:3], vcc, s[2:3]
	s_and_b64 exec, exec, s[2:3]
	s_cbranch_execz .LBB69_80
; %bb.75:
	v_cmp_ngt_f64_e64 s[2:3], |v[140:141]|, |v[142:143]|
                                        ; implicit-def: $vgpr144_vgpr145
	s_and_saveexec_b64 s[10:11], s[2:3]
	s_xor_b64 s[2:3], exec, s[10:11]
                                        ; implicit-def: $vgpr146_vgpr147
	s_cbranch_execz .LBB69_77
; %bb.76:
	v_div_scale_f64 v[144:145], s[10:11], v[142:143], v[142:143], v[140:141]
	v_rcp_f64_e32 v[146:147], v[144:145]
	v_div_scale_f64 v[148:149], vcc, v[140:141], v[142:143], v[140:141]
	v_fma_f64 v[150:151], -v[144:145], v[146:147], 1.0
	v_fmac_f64_e32 v[146:147], v[146:147], v[150:151]
	v_fma_f64 v[150:151], -v[144:145], v[146:147], 1.0
	v_fmac_f64_e32 v[146:147], v[146:147], v[150:151]
	v_mul_f64 v[150:151], v[148:149], v[146:147]
	v_fma_f64 v[144:145], -v[144:145], v[150:151], v[148:149]
	v_div_fmas_f64 v[144:145], v[144:145], v[146:147], v[150:151]
	v_div_fixup_f64 v[144:145], v[144:145], v[142:143], v[140:141]
	v_fmac_f64_e32 v[142:143], v[140:141], v[144:145]
	v_div_scale_f64 v[140:141], s[10:11], v[142:143], v[142:143], 1.0
	v_rcp_f64_e32 v[146:147], v[140:141]
	s_nop 0
	v_fma_f64 v[148:149], -v[140:141], v[146:147], 1.0
	v_fmac_f64_e32 v[146:147], v[146:147], v[148:149]
	v_fma_f64 v[148:149], -v[140:141], v[146:147], 1.0
	v_fmac_f64_e32 v[146:147], v[146:147], v[148:149]
	v_div_scale_f64 v[148:149], vcc, 1.0, v[142:143], 1.0
	v_mul_f64 v[150:151], v[148:149], v[146:147]
	v_fma_f64 v[140:141], -v[140:141], v[150:151], v[148:149]
	s_nop 1
	v_div_fmas_f64 v[140:141], v[140:141], v[146:147], v[150:151]
	v_div_fixup_f64 v[146:147], v[140:141], v[142:143], 1.0
	v_mul_f64 v[144:145], v[144:145], v[146:147]
	v_xor_b32_e32 v147, 0x80000000, v147
                                        ; implicit-def: $vgpr140_vgpr141
.LBB69_77:
	s_andn2_saveexec_b64 s[2:3], s[2:3]
	s_cbranch_execz .LBB69_79
; %bb.78:
	v_div_scale_f64 v[144:145], s[10:11], v[140:141], v[140:141], v[142:143]
	v_rcp_f64_e32 v[146:147], v[144:145]
	v_div_scale_f64 v[148:149], vcc, v[142:143], v[140:141], v[142:143]
	v_fma_f64 v[150:151], -v[144:145], v[146:147], 1.0
	v_fmac_f64_e32 v[146:147], v[146:147], v[150:151]
	v_fma_f64 v[150:151], -v[144:145], v[146:147], 1.0
	v_fmac_f64_e32 v[146:147], v[146:147], v[150:151]
	v_mul_f64 v[150:151], v[148:149], v[146:147]
	v_fma_f64 v[144:145], -v[144:145], v[150:151], v[148:149]
	v_div_fmas_f64 v[144:145], v[144:145], v[146:147], v[150:151]
	v_div_fixup_f64 v[146:147], v[144:145], v[140:141], v[142:143]
	v_fmac_f64_e32 v[140:141], v[142:143], v[146:147]
	v_div_scale_f64 v[142:143], s[10:11], v[140:141], v[140:141], 1.0
	v_rcp_f64_e32 v[144:145], v[142:143]
	s_nop 0
	v_fma_f64 v[148:149], -v[142:143], v[144:145], 1.0
	v_fmac_f64_e32 v[144:145], v[144:145], v[148:149]
	v_fma_f64 v[148:149], -v[142:143], v[144:145], 1.0
	v_fmac_f64_e32 v[144:145], v[144:145], v[148:149]
	v_div_scale_f64 v[148:149], vcc, 1.0, v[140:141], 1.0
	v_mul_f64 v[150:151], v[148:149], v[144:145]
	v_fma_f64 v[142:143], -v[142:143], v[150:151], v[148:149]
	s_nop 1
	v_div_fmas_f64 v[142:143], v[142:143], v[144:145], v[150:151]
	v_div_fixup_f64 v[144:145], v[142:143], v[140:141], 1.0
	v_mul_f64 v[146:147], v[146:147], -v[144:145]
.LBB69_79:
	s_or_b64 exec, exec, s[2:3]
	ds_write2_b64 v167, v[144:145], v[146:147] offset1:1
.LBB69_80:
	s_or_b64 exec, exec, s[4:5]
	s_waitcnt lgkmcnt(0)
	s_barrier
	ds_read2_b64 v[140:143], v167 offset1:1
	v_cmp_lt_u32_e32 vcc, 8, v166
	s_waitcnt lgkmcnt(0)
	scratch_store_dwordx4 off, v[140:143], off offset:72 ; 16-byte Folded Spill
	s_and_saveexec_b64 s[2:3], vcc
	s_cbranch_execz .LBB69_82
; %bb.81:
	scratch_load_dwordx4 v[142:145], off, off offset:72 ; 16-byte Folded Reload
	s_waitcnt vmcnt(0)
	v_mul_f64 v[140:141], v[144:145], v[102:103]
	v_mul_f64 v[102:103], v[142:143], v[102:103]
	v_fma_f64 v[140:141], v[142:143], v[100:101], -v[140:141]
	v_fmac_f64_e32 v[102:103], v[144:145], v[100:101]
	ds_read2_b64 v[142:145], v168 offset0:18 offset1:19
	s_waitcnt lgkmcnt(0)
	v_mul_f64 v[100:101], v[144:145], v[102:103]
	v_fma_f64 v[100:101], v[142:143], v[140:141], -v[100:101]
	v_mul_f64 v[142:143], v[142:143], v[102:103]
	v_fmac_f64_e32 v[142:143], v[144:145], v[140:141]
	v_add_f64 v[98:99], v[98:99], -v[142:143]
	ds_read2_b64 v[142:145], v168 offset0:20 offset1:21
	v_add_f64 v[96:97], v[96:97], -v[100:101]
	s_waitcnt lgkmcnt(0)
	v_mul_f64 v[100:101], v[144:145], v[102:103]
	v_fma_f64 v[100:101], v[142:143], v[140:141], -v[100:101]
	v_mul_f64 v[142:143], v[142:143], v[102:103]
	v_fmac_f64_e32 v[142:143], v[144:145], v[140:141]
	v_add_f64 v[94:95], v[94:95], -v[142:143]
	ds_read2_b64 v[142:145], v168 offset0:22 offset1:23
	v_add_f64 v[92:93], v[92:93], -v[100:101]
	;; [unrolled: 8-line block ×25, first 2 shown]
	s_waitcnt lgkmcnt(0)
	v_mul_f64 v[100:101], v[144:145], v[102:103]
	v_fma_f64 v[100:101], v[142:143], v[140:141], -v[100:101]
	v_mul_f64 v[142:143], v[142:143], v[102:103]
	v_fmac_f64_e32 v[142:143], v[144:145], v[140:141]
	v_add_f64 v[136:137], v[136:137], -v[100:101]
	v_add_f64 v[138:139], v[138:139], -v[142:143]
	v_mov_b64_e32 v[100:101], v[140:141]
.LBB69_82:
	s_or_b64 exec, exec, s[2:3]
	v_cmp_eq_u32_e32 vcc, 9, v166
	s_barrier
	s_and_saveexec_b64 s[4:5], vcc
	s_cbranch_execz .LBB69_89
; %bb.83:
	s_waitcnt vmcnt(30)
	ds_write2_b64 v167, v[96:97], v[98:99] offset1:1
	s_waitcnt vmcnt(29)
	ds_write2_b64 v168, v[92:93], v[94:95] offset0:20 offset1:21
	s_waitcnt vmcnt(28)
	ds_write2_b64 v168, v[88:89], v[90:91] offset0:22 offset1:23
	;; [unrolled: 2-line block ×25, first 2 shown]
	ds_read2_b64 v[140:143], v167 offset1:1
	s_waitcnt lgkmcnt(0)
	v_cmp_neq_f64_e32 vcc, 0, v[140:141]
	v_cmp_neq_f64_e64 s[2:3], 0, v[142:143]
	s_or_b64 s[2:3], vcc, s[2:3]
	s_and_b64 exec, exec, s[2:3]
	s_cbranch_execz .LBB69_89
; %bb.84:
	v_cmp_ngt_f64_e64 s[2:3], |v[140:141]|, |v[142:143]|
                                        ; implicit-def: $vgpr144_vgpr145
	s_and_saveexec_b64 s[10:11], s[2:3]
	s_xor_b64 s[2:3], exec, s[10:11]
                                        ; implicit-def: $vgpr146_vgpr147
	s_cbranch_execz .LBB69_86
; %bb.85:
	v_div_scale_f64 v[144:145], s[10:11], v[142:143], v[142:143], v[140:141]
	v_rcp_f64_e32 v[146:147], v[144:145]
	v_div_scale_f64 v[148:149], vcc, v[140:141], v[142:143], v[140:141]
	v_fma_f64 v[150:151], -v[144:145], v[146:147], 1.0
	v_fmac_f64_e32 v[146:147], v[146:147], v[150:151]
	v_fma_f64 v[150:151], -v[144:145], v[146:147], 1.0
	v_fmac_f64_e32 v[146:147], v[146:147], v[150:151]
	v_mul_f64 v[150:151], v[148:149], v[146:147]
	v_fma_f64 v[144:145], -v[144:145], v[150:151], v[148:149]
	v_div_fmas_f64 v[144:145], v[144:145], v[146:147], v[150:151]
	v_div_fixup_f64 v[144:145], v[144:145], v[142:143], v[140:141]
	v_fmac_f64_e32 v[142:143], v[140:141], v[144:145]
	v_div_scale_f64 v[140:141], s[10:11], v[142:143], v[142:143], 1.0
	v_rcp_f64_e32 v[146:147], v[140:141]
	s_nop 0
	v_fma_f64 v[148:149], -v[140:141], v[146:147], 1.0
	v_fmac_f64_e32 v[146:147], v[146:147], v[148:149]
	v_fma_f64 v[148:149], -v[140:141], v[146:147], 1.0
	v_fmac_f64_e32 v[146:147], v[146:147], v[148:149]
	v_div_scale_f64 v[148:149], vcc, 1.0, v[142:143], 1.0
	v_mul_f64 v[150:151], v[148:149], v[146:147]
	v_fma_f64 v[140:141], -v[140:141], v[150:151], v[148:149]
	s_nop 1
	v_div_fmas_f64 v[140:141], v[140:141], v[146:147], v[150:151]
	v_div_fixup_f64 v[146:147], v[140:141], v[142:143], 1.0
	v_mul_f64 v[144:145], v[144:145], v[146:147]
	v_xor_b32_e32 v147, 0x80000000, v147
                                        ; implicit-def: $vgpr140_vgpr141
.LBB69_86:
	s_andn2_saveexec_b64 s[2:3], s[2:3]
	s_cbranch_execz .LBB69_88
; %bb.87:
	v_div_scale_f64 v[144:145], s[10:11], v[140:141], v[140:141], v[142:143]
	v_rcp_f64_e32 v[146:147], v[144:145]
	v_div_scale_f64 v[148:149], vcc, v[142:143], v[140:141], v[142:143]
	v_fma_f64 v[150:151], -v[144:145], v[146:147], 1.0
	v_fmac_f64_e32 v[146:147], v[146:147], v[150:151]
	v_fma_f64 v[150:151], -v[144:145], v[146:147], 1.0
	v_fmac_f64_e32 v[146:147], v[146:147], v[150:151]
	v_mul_f64 v[150:151], v[148:149], v[146:147]
	v_fma_f64 v[144:145], -v[144:145], v[150:151], v[148:149]
	v_div_fmas_f64 v[144:145], v[144:145], v[146:147], v[150:151]
	v_div_fixup_f64 v[146:147], v[144:145], v[140:141], v[142:143]
	v_fmac_f64_e32 v[140:141], v[142:143], v[146:147]
	v_div_scale_f64 v[142:143], s[10:11], v[140:141], v[140:141], 1.0
	v_rcp_f64_e32 v[144:145], v[142:143]
	s_nop 0
	v_fma_f64 v[148:149], -v[142:143], v[144:145], 1.0
	v_fmac_f64_e32 v[144:145], v[144:145], v[148:149]
	v_fma_f64 v[148:149], -v[142:143], v[144:145], 1.0
	v_fmac_f64_e32 v[144:145], v[144:145], v[148:149]
	v_div_scale_f64 v[148:149], vcc, 1.0, v[140:141], 1.0
	v_mul_f64 v[150:151], v[148:149], v[144:145]
	v_fma_f64 v[142:143], -v[142:143], v[150:151], v[148:149]
	s_nop 1
	v_div_fmas_f64 v[142:143], v[142:143], v[144:145], v[150:151]
	v_div_fixup_f64 v[144:145], v[142:143], v[140:141], 1.0
	v_mul_f64 v[146:147], v[146:147], -v[144:145]
.LBB69_88:
	s_or_b64 exec, exec, s[2:3]
	ds_write2_b64 v167, v[144:145], v[146:147] offset1:1
.LBB69_89:
	s_or_b64 exec, exec, s[4:5]
	s_waitcnt lgkmcnt(0)
	s_barrier
	ds_read2_b64 v[140:143], v167 offset1:1
	v_cmp_lt_u32_e32 vcc, 9, v166
	s_waitcnt lgkmcnt(0)
	scratch_store_dwordx4 off, v[140:143], off offset:88 ; 16-byte Folded Spill
	s_and_saveexec_b64 s[2:3], vcc
	s_cbranch_execz .LBB69_91
; %bb.90:
	scratch_load_dwordx4 v[142:145], off, off offset:88 ; 16-byte Folded Reload
	s_waitcnt vmcnt(0)
	v_mul_f64 v[140:141], v[144:145], v[98:99]
	v_mul_f64 v[98:99], v[142:143], v[98:99]
	v_fma_f64 v[140:141], v[142:143], v[96:97], -v[140:141]
	v_fmac_f64_e32 v[98:99], v[144:145], v[96:97]
	ds_read2_b64 v[142:145], v168 offset0:20 offset1:21
	s_waitcnt lgkmcnt(0)
	v_mul_f64 v[96:97], v[144:145], v[98:99]
	v_fma_f64 v[96:97], v[142:143], v[140:141], -v[96:97]
	v_mul_f64 v[142:143], v[142:143], v[98:99]
	v_fmac_f64_e32 v[142:143], v[144:145], v[140:141]
	v_add_f64 v[94:95], v[94:95], -v[142:143]
	ds_read2_b64 v[142:145], v168 offset0:22 offset1:23
	v_add_f64 v[92:93], v[92:93], -v[96:97]
	s_waitcnt lgkmcnt(0)
	v_mul_f64 v[96:97], v[144:145], v[98:99]
	v_fma_f64 v[96:97], v[142:143], v[140:141], -v[96:97]
	v_mul_f64 v[142:143], v[142:143], v[98:99]
	v_fmac_f64_e32 v[142:143], v[144:145], v[140:141]
	v_add_f64 v[90:91], v[90:91], -v[142:143]
	ds_read2_b64 v[142:145], v168 offset0:24 offset1:25
	v_add_f64 v[88:89], v[88:89], -v[96:97]
	;; [unrolled: 8-line block ×24, first 2 shown]
	s_waitcnt lgkmcnt(0)
	v_mul_f64 v[96:97], v[144:145], v[98:99]
	v_fma_f64 v[96:97], v[142:143], v[140:141], -v[96:97]
	v_mul_f64 v[142:143], v[142:143], v[98:99]
	v_fmac_f64_e32 v[142:143], v[144:145], v[140:141]
	v_add_f64 v[136:137], v[136:137], -v[96:97]
	v_add_f64 v[138:139], v[138:139], -v[142:143]
	v_mov_b64_e32 v[96:97], v[140:141]
.LBB69_91:
	s_or_b64 exec, exec, s[2:3]
	v_cmp_eq_u32_e32 vcc, 10, v166
	s_barrier
	s_and_saveexec_b64 s[4:5], vcc
	s_cbranch_execz .LBB69_98
; %bb.92:
	s_waitcnt vmcnt(30)
	ds_write2_b64 v167, v[92:93], v[94:95] offset1:1
	s_waitcnt vmcnt(29)
	ds_write2_b64 v168, v[88:89], v[90:91] offset0:22 offset1:23
	s_waitcnt vmcnt(28)
	ds_write2_b64 v168, v[84:85], v[86:87] offset0:24 offset1:25
	;; [unrolled: 2-line block ×24, first 2 shown]
	ds_read2_b64 v[140:143], v167 offset1:1
	s_waitcnt lgkmcnt(0)
	v_cmp_neq_f64_e32 vcc, 0, v[140:141]
	v_cmp_neq_f64_e64 s[2:3], 0, v[142:143]
	s_or_b64 s[2:3], vcc, s[2:3]
	s_and_b64 exec, exec, s[2:3]
	s_cbranch_execz .LBB69_98
; %bb.93:
	v_cmp_ngt_f64_e64 s[2:3], |v[140:141]|, |v[142:143]|
                                        ; implicit-def: $vgpr144_vgpr145
	s_and_saveexec_b64 s[10:11], s[2:3]
	s_xor_b64 s[2:3], exec, s[10:11]
                                        ; implicit-def: $vgpr146_vgpr147
	s_cbranch_execz .LBB69_95
; %bb.94:
	v_div_scale_f64 v[144:145], s[10:11], v[142:143], v[142:143], v[140:141]
	v_rcp_f64_e32 v[146:147], v[144:145]
	v_div_scale_f64 v[148:149], vcc, v[140:141], v[142:143], v[140:141]
	v_fma_f64 v[150:151], -v[144:145], v[146:147], 1.0
	v_fmac_f64_e32 v[146:147], v[146:147], v[150:151]
	v_fma_f64 v[150:151], -v[144:145], v[146:147], 1.0
	v_fmac_f64_e32 v[146:147], v[146:147], v[150:151]
	v_mul_f64 v[150:151], v[148:149], v[146:147]
	v_fma_f64 v[144:145], -v[144:145], v[150:151], v[148:149]
	v_div_fmas_f64 v[144:145], v[144:145], v[146:147], v[150:151]
	v_div_fixup_f64 v[144:145], v[144:145], v[142:143], v[140:141]
	v_fmac_f64_e32 v[142:143], v[140:141], v[144:145]
	v_div_scale_f64 v[140:141], s[10:11], v[142:143], v[142:143], 1.0
	v_rcp_f64_e32 v[146:147], v[140:141]
	s_nop 0
	v_fma_f64 v[148:149], -v[140:141], v[146:147], 1.0
	v_fmac_f64_e32 v[146:147], v[146:147], v[148:149]
	v_fma_f64 v[148:149], -v[140:141], v[146:147], 1.0
	v_fmac_f64_e32 v[146:147], v[146:147], v[148:149]
	v_div_scale_f64 v[148:149], vcc, 1.0, v[142:143], 1.0
	v_mul_f64 v[150:151], v[148:149], v[146:147]
	v_fma_f64 v[140:141], -v[140:141], v[150:151], v[148:149]
	s_nop 1
	v_div_fmas_f64 v[140:141], v[140:141], v[146:147], v[150:151]
	v_div_fixup_f64 v[146:147], v[140:141], v[142:143], 1.0
	v_mul_f64 v[144:145], v[144:145], v[146:147]
	v_xor_b32_e32 v147, 0x80000000, v147
                                        ; implicit-def: $vgpr140_vgpr141
.LBB69_95:
	s_andn2_saveexec_b64 s[2:3], s[2:3]
	s_cbranch_execz .LBB69_97
; %bb.96:
	v_div_scale_f64 v[144:145], s[10:11], v[140:141], v[140:141], v[142:143]
	v_rcp_f64_e32 v[146:147], v[144:145]
	v_div_scale_f64 v[148:149], vcc, v[142:143], v[140:141], v[142:143]
	v_fma_f64 v[150:151], -v[144:145], v[146:147], 1.0
	v_fmac_f64_e32 v[146:147], v[146:147], v[150:151]
	v_fma_f64 v[150:151], -v[144:145], v[146:147], 1.0
	v_fmac_f64_e32 v[146:147], v[146:147], v[150:151]
	v_mul_f64 v[150:151], v[148:149], v[146:147]
	v_fma_f64 v[144:145], -v[144:145], v[150:151], v[148:149]
	v_div_fmas_f64 v[144:145], v[144:145], v[146:147], v[150:151]
	v_div_fixup_f64 v[146:147], v[144:145], v[140:141], v[142:143]
	v_fmac_f64_e32 v[140:141], v[142:143], v[146:147]
	v_div_scale_f64 v[142:143], s[10:11], v[140:141], v[140:141], 1.0
	v_rcp_f64_e32 v[144:145], v[142:143]
	s_nop 0
	v_fma_f64 v[148:149], -v[142:143], v[144:145], 1.0
	v_fmac_f64_e32 v[144:145], v[144:145], v[148:149]
	v_fma_f64 v[148:149], -v[142:143], v[144:145], 1.0
	v_fmac_f64_e32 v[144:145], v[144:145], v[148:149]
	v_div_scale_f64 v[148:149], vcc, 1.0, v[140:141], 1.0
	v_mul_f64 v[150:151], v[148:149], v[144:145]
	v_fma_f64 v[142:143], -v[142:143], v[150:151], v[148:149]
	s_nop 1
	v_div_fmas_f64 v[142:143], v[142:143], v[144:145], v[150:151]
	v_div_fixup_f64 v[144:145], v[142:143], v[140:141], 1.0
	v_mul_f64 v[146:147], v[146:147], -v[144:145]
.LBB69_97:
	s_or_b64 exec, exec, s[2:3]
	ds_write2_b64 v167, v[144:145], v[146:147] offset1:1
.LBB69_98:
	s_or_b64 exec, exec, s[4:5]
	s_waitcnt lgkmcnt(0)
	s_barrier
	ds_read2_b64 v[140:143], v167 offset1:1
	v_cmp_lt_u32_e32 vcc, 10, v166
	s_waitcnt lgkmcnt(0)
	scratch_store_dwordx4 off, v[140:143], off offset:104 ; 16-byte Folded Spill
	s_and_saveexec_b64 s[2:3], vcc
	s_cbranch_execz .LBB69_100
; %bb.99:
	scratch_load_dwordx4 v[142:145], off, off offset:104 ; 16-byte Folded Reload
	s_waitcnt vmcnt(0)
	v_mul_f64 v[140:141], v[144:145], v[94:95]
	v_mul_f64 v[94:95], v[142:143], v[94:95]
	v_fma_f64 v[140:141], v[142:143], v[92:93], -v[140:141]
	v_fmac_f64_e32 v[94:95], v[144:145], v[92:93]
	ds_read2_b64 v[142:145], v168 offset0:22 offset1:23
	s_waitcnt lgkmcnt(0)
	v_mul_f64 v[92:93], v[144:145], v[94:95]
	v_fma_f64 v[92:93], v[142:143], v[140:141], -v[92:93]
	v_mul_f64 v[142:143], v[142:143], v[94:95]
	v_fmac_f64_e32 v[142:143], v[144:145], v[140:141]
	v_add_f64 v[90:91], v[90:91], -v[142:143]
	ds_read2_b64 v[142:145], v168 offset0:24 offset1:25
	v_add_f64 v[88:89], v[88:89], -v[92:93]
	s_waitcnt lgkmcnt(0)
	v_mul_f64 v[92:93], v[144:145], v[94:95]
	v_fma_f64 v[92:93], v[142:143], v[140:141], -v[92:93]
	v_mul_f64 v[142:143], v[142:143], v[94:95]
	v_fmac_f64_e32 v[142:143], v[144:145], v[140:141]
	v_add_f64 v[86:87], v[86:87], -v[142:143]
	ds_read2_b64 v[142:145], v168 offset0:26 offset1:27
	v_add_f64 v[84:85], v[84:85], -v[92:93]
	;; [unrolled: 8-line block ×23, first 2 shown]
	s_waitcnt lgkmcnt(0)
	v_mul_f64 v[92:93], v[144:145], v[94:95]
	v_fma_f64 v[92:93], v[142:143], v[140:141], -v[92:93]
	v_mul_f64 v[142:143], v[142:143], v[94:95]
	v_fmac_f64_e32 v[142:143], v[144:145], v[140:141]
	v_add_f64 v[136:137], v[136:137], -v[92:93]
	v_add_f64 v[138:139], v[138:139], -v[142:143]
	v_mov_b64_e32 v[92:93], v[140:141]
.LBB69_100:
	s_or_b64 exec, exec, s[2:3]
	v_cmp_eq_u32_e32 vcc, 11, v166
	s_barrier
	s_and_saveexec_b64 s[4:5], vcc
	s_cbranch_execz .LBB69_107
; %bb.101:
	s_waitcnt vmcnt(30)
	ds_write2_b64 v167, v[88:89], v[90:91] offset1:1
	s_waitcnt vmcnt(29)
	ds_write2_b64 v168, v[84:85], v[86:87] offset0:24 offset1:25
	s_waitcnt vmcnt(28)
	ds_write2_b64 v168, v[80:81], v[82:83] offset0:26 offset1:27
	;; [unrolled: 2-line block ×23, first 2 shown]
	ds_read2_b64 v[140:143], v167 offset1:1
	s_waitcnt lgkmcnt(0)
	v_cmp_neq_f64_e32 vcc, 0, v[140:141]
	v_cmp_neq_f64_e64 s[2:3], 0, v[142:143]
	s_or_b64 s[2:3], vcc, s[2:3]
	s_and_b64 exec, exec, s[2:3]
	s_cbranch_execz .LBB69_107
; %bb.102:
	v_cmp_ngt_f64_e64 s[2:3], |v[140:141]|, |v[142:143]|
                                        ; implicit-def: $vgpr144_vgpr145
	s_and_saveexec_b64 s[10:11], s[2:3]
	s_xor_b64 s[2:3], exec, s[10:11]
                                        ; implicit-def: $vgpr146_vgpr147
	s_cbranch_execz .LBB69_104
; %bb.103:
	v_div_scale_f64 v[144:145], s[10:11], v[142:143], v[142:143], v[140:141]
	v_rcp_f64_e32 v[146:147], v[144:145]
	v_div_scale_f64 v[148:149], vcc, v[140:141], v[142:143], v[140:141]
	v_fma_f64 v[150:151], -v[144:145], v[146:147], 1.0
	v_fmac_f64_e32 v[146:147], v[146:147], v[150:151]
	v_fma_f64 v[150:151], -v[144:145], v[146:147], 1.0
	v_fmac_f64_e32 v[146:147], v[146:147], v[150:151]
	v_mul_f64 v[150:151], v[148:149], v[146:147]
	v_fma_f64 v[144:145], -v[144:145], v[150:151], v[148:149]
	v_div_fmas_f64 v[144:145], v[144:145], v[146:147], v[150:151]
	v_div_fixup_f64 v[144:145], v[144:145], v[142:143], v[140:141]
	v_fmac_f64_e32 v[142:143], v[140:141], v[144:145]
	v_div_scale_f64 v[140:141], s[10:11], v[142:143], v[142:143], 1.0
	v_rcp_f64_e32 v[146:147], v[140:141]
	s_nop 0
	v_fma_f64 v[148:149], -v[140:141], v[146:147], 1.0
	v_fmac_f64_e32 v[146:147], v[146:147], v[148:149]
	v_fma_f64 v[148:149], -v[140:141], v[146:147], 1.0
	v_fmac_f64_e32 v[146:147], v[146:147], v[148:149]
	v_div_scale_f64 v[148:149], vcc, 1.0, v[142:143], 1.0
	v_mul_f64 v[150:151], v[148:149], v[146:147]
	v_fma_f64 v[140:141], -v[140:141], v[150:151], v[148:149]
	s_nop 1
	v_div_fmas_f64 v[140:141], v[140:141], v[146:147], v[150:151]
	v_div_fixup_f64 v[146:147], v[140:141], v[142:143], 1.0
	v_mul_f64 v[144:145], v[144:145], v[146:147]
	v_xor_b32_e32 v147, 0x80000000, v147
                                        ; implicit-def: $vgpr140_vgpr141
.LBB69_104:
	s_andn2_saveexec_b64 s[2:3], s[2:3]
	s_cbranch_execz .LBB69_106
; %bb.105:
	v_div_scale_f64 v[144:145], s[10:11], v[140:141], v[140:141], v[142:143]
	v_rcp_f64_e32 v[146:147], v[144:145]
	v_div_scale_f64 v[148:149], vcc, v[142:143], v[140:141], v[142:143]
	v_fma_f64 v[150:151], -v[144:145], v[146:147], 1.0
	v_fmac_f64_e32 v[146:147], v[146:147], v[150:151]
	v_fma_f64 v[150:151], -v[144:145], v[146:147], 1.0
	v_fmac_f64_e32 v[146:147], v[146:147], v[150:151]
	v_mul_f64 v[150:151], v[148:149], v[146:147]
	v_fma_f64 v[144:145], -v[144:145], v[150:151], v[148:149]
	v_div_fmas_f64 v[144:145], v[144:145], v[146:147], v[150:151]
	v_div_fixup_f64 v[146:147], v[144:145], v[140:141], v[142:143]
	v_fmac_f64_e32 v[140:141], v[142:143], v[146:147]
	v_div_scale_f64 v[142:143], s[10:11], v[140:141], v[140:141], 1.0
	v_rcp_f64_e32 v[144:145], v[142:143]
	s_nop 0
	v_fma_f64 v[148:149], -v[142:143], v[144:145], 1.0
	v_fmac_f64_e32 v[144:145], v[144:145], v[148:149]
	v_fma_f64 v[148:149], -v[142:143], v[144:145], 1.0
	v_fmac_f64_e32 v[144:145], v[144:145], v[148:149]
	v_div_scale_f64 v[148:149], vcc, 1.0, v[140:141], 1.0
	v_mul_f64 v[150:151], v[148:149], v[144:145]
	v_fma_f64 v[142:143], -v[142:143], v[150:151], v[148:149]
	s_nop 1
	v_div_fmas_f64 v[142:143], v[142:143], v[144:145], v[150:151]
	v_div_fixup_f64 v[144:145], v[142:143], v[140:141], 1.0
	v_mul_f64 v[146:147], v[146:147], -v[144:145]
.LBB69_106:
	s_or_b64 exec, exec, s[2:3]
	ds_write2_b64 v167, v[144:145], v[146:147] offset1:1
.LBB69_107:
	s_or_b64 exec, exec, s[4:5]
	s_waitcnt lgkmcnt(0)
	s_barrier
	ds_read2_b64 v[140:143], v167 offset1:1
	v_cmp_lt_u32_e32 vcc, 11, v166
	s_waitcnt lgkmcnt(0)
	scratch_store_dwordx4 off, v[140:143], off offset:120 ; 16-byte Folded Spill
	s_and_saveexec_b64 s[2:3], vcc
	s_cbranch_execz .LBB69_109
; %bb.108:
	scratch_load_dwordx4 v[142:145], off, off offset:120 ; 16-byte Folded Reload
	s_waitcnt vmcnt(0)
	v_mul_f64 v[140:141], v[144:145], v[90:91]
	v_mul_f64 v[90:91], v[142:143], v[90:91]
	v_fma_f64 v[140:141], v[142:143], v[88:89], -v[140:141]
	v_fmac_f64_e32 v[90:91], v[144:145], v[88:89]
	ds_read2_b64 v[142:145], v168 offset0:24 offset1:25
	s_waitcnt lgkmcnt(0)
	v_mul_f64 v[88:89], v[144:145], v[90:91]
	v_fma_f64 v[88:89], v[142:143], v[140:141], -v[88:89]
	v_mul_f64 v[142:143], v[142:143], v[90:91]
	v_fmac_f64_e32 v[142:143], v[144:145], v[140:141]
	v_add_f64 v[86:87], v[86:87], -v[142:143]
	ds_read2_b64 v[142:145], v168 offset0:26 offset1:27
	v_add_f64 v[84:85], v[84:85], -v[88:89]
	s_waitcnt lgkmcnt(0)
	v_mul_f64 v[88:89], v[144:145], v[90:91]
	v_fma_f64 v[88:89], v[142:143], v[140:141], -v[88:89]
	v_mul_f64 v[142:143], v[142:143], v[90:91]
	v_fmac_f64_e32 v[142:143], v[144:145], v[140:141]
	v_add_f64 v[82:83], v[82:83], -v[142:143]
	ds_read2_b64 v[142:145], v168 offset0:28 offset1:29
	v_add_f64 v[80:81], v[80:81], -v[88:89]
	;; [unrolled: 8-line block ×22, first 2 shown]
	s_waitcnt lgkmcnt(0)
	v_mul_f64 v[88:89], v[144:145], v[90:91]
	v_fma_f64 v[88:89], v[142:143], v[140:141], -v[88:89]
	v_mul_f64 v[142:143], v[142:143], v[90:91]
	v_fmac_f64_e32 v[142:143], v[144:145], v[140:141]
	v_add_f64 v[136:137], v[136:137], -v[88:89]
	v_add_f64 v[138:139], v[138:139], -v[142:143]
	v_mov_b64_e32 v[88:89], v[140:141]
.LBB69_109:
	s_or_b64 exec, exec, s[2:3]
	v_cmp_eq_u32_e32 vcc, 12, v166
	s_barrier
	s_and_saveexec_b64 s[4:5], vcc
	s_cbranch_execz .LBB69_116
; %bb.110:
	s_waitcnt vmcnt(30)
	ds_write2_b64 v167, v[84:85], v[86:87] offset1:1
	s_waitcnt vmcnt(29)
	ds_write2_b64 v168, v[80:81], v[82:83] offset0:26 offset1:27
	s_waitcnt vmcnt(28)
	ds_write2_b64 v168, v[76:77], v[78:79] offset0:28 offset1:29
	;; [unrolled: 2-line block ×22, first 2 shown]
	ds_read2_b64 v[140:143], v167 offset1:1
	s_waitcnt lgkmcnt(0)
	v_cmp_neq_f64_e32 vcc, 0, v[140:141]
	v_cmp_neq_f64_e64 s[2:3], 0, v[142:143]
	s_or_b64 s[2:3], vcc, s[2:3]
	s_and_b64 exec, exec, s[2:3]
	s_cbranch_execz .LBB69_116
; %bb.111:
	v_cmp_ngt_f64_e64 s[2:3], |v[140:141]|, |v[142:143]|
                                        ; implicit-def: $vgpr144_vgpr145
	s_and_saveexec_b64 s[10:11], s[2:3]
	s_xor_b64 s[2:3], exec, s[10:11]
                                        ; implicit-def: $vgpr146_vgpr147
	s_cbranch_execz .LBB69_113
; %bb.112:
	v_div_scale_f64 v[144:145], s[10:11], v[142:143], v[142:143], v[140:141]
	v_rcp_f64_e32 v[146:147], v[144:145]
	v_div_scale_f64 v[148:149], vcc, v[140:141], v[142:143], v[140:141]
	v_fma_f64 v[150:151], -v[144:145], v[146:147], 1.0
	v_fmac_f64_e32 v[146:147], v[146:147], v[150:151]
	v_fma_f64 v[150:151], -v[144:145], v[146:147], 1.0
	v_fmac_f64_e32 v[146:147], v[146:147], v[150:151]
	v_mul_f64 v[150:151], v[148:149], v[146:147]
	v_fma_f64 v[144:145], -v[144:145], v[150:151], v[148:149]
	v_div_fmas_f64 v[144:145], v[144:145], v[146:147], v[150:151]
	v_div_fixup_f64 v[144:145], v[144:145], v[142:143], v[140:141]
	v_fmac_f64_e32 v[142:143], v[140:141], v[144:145]
	v_div_scale_f64 v[140:141], s[10:11], v[142:143], v[142:143], 1.0
	v_rcp_f64_e32 v[146:147], v[140:141]
	s_nop 0
	v_fma_f64 v[148:149], -v[140:141], v[146:147], 1.0
	v_fmac_f64_e32 v[146:147], v[146:147], v[148:149]
	v_fma_f64 v[148:149], -v[140:141], v[146:147], 1.0
	v_fmac_f64_e32 v[146:147], v[146:147], v[148:149]
	v_div_scale_f64 v[148:149], vcc, 1.0, v[142:143], 1.0
	v_mul_f64 v[150:151], v[148:149], v[146:147]
	v_fma_f64 v[140:141], -v[140:141], v[150:151], v[148:149]
	s_nop 1
	v_div_fmas_f64 v[140:141], v[140:141], v[146:147], v[150:151]
	v_div_fixup_f64 v[146:147], v[140:141], v[142:143], 1.0
	v_mul_f64 v[144:145], v[144:145], v[146:147]
	v_xor_b32_e32 v147, 0x80000000, v147
                                        ; implicit-def: $vgpr140_vgpr141
.LBB69_113:
	s_andn2_saveexec_b64 s[2:3], s[2:3]
	s_cbranch_execz .LBB69_115
; %bb.114:
	v_div_scale_f64 v[144:145], s[10:11], v[140:141], v[140:141], v[142:143]
	v_rcp_f64_e32 v[146:147], v[144:145]
	v_div_scale_f64 v[148:149], vcc, v[142:143], v[140:141], v[142:143]
	v_fma_f64 v[150:151], -v[144:145], v[146:147], 1.0
	v_fmac_f64_e32 v[146:147], v[146:147], v[150:151]
	v_fma_f64 v[150:151], -v[144:145], v[146:147], 1.0
	v_fmac_f64_e32 v[146:147], v[146:147], v[150:151]
	v_mul_f64 v[150:151], v[148:149], v[146:147]
	v_fma_f64 v[144:145], -v[144:145], v[150:151], v[148:149]
	v_div_fmas_f64 v[144:145], v[144:145], v[146:147], v[150:151]
	v_div_fixup_f64 v[146:147], v[144:145], v[140:141], v[142:143]
	v_fmac_f64_e32 v[140:141], v[142:143], v[146:147]
	v_div_scale_f64 v[142:143], s[10:11], v[140:141], v[140:141], 1.0
	v_rcp_f64_e32 v[144:145], v[142:143]
	s_nop 0
	v_fma_f64 v[148:149], -v[142:143], v[144:145], 1.0
	v_fmac_f64_e32 v[144:145], v[144:145], v[148:149]
	v_fma_f64 v[148:149], -v[142:143], v[144:145], 1.0
	v_fmac_f64_e32 v[144:145], v[144:145], v[148:149]
	v_div_scale_f64 v[148:149], vcc, 1.0, v[140:141], 1.0
	v_mul_f64 v[150:151], v[148:149], v[144:145]
	v_fma_f64 v[142:143], -v[142:143], v[150:151], v[148:149]
	s_nop 1
	v_div_fmas_f64 v[142:143], v[142:143], v[144:145], v[150:151]
	v_div_fixup_f64 v[144:145], v[142:143], v[140:141], 1.0
	v_mul_f64 v[146:147], v[146:147], -v[144:145]
.LBB69_115:
	s_or_b64 exec, exec, s[2:3]
	ds_write2_b64 v167, v[144:145], v[146:147] offset1:1
.LBB69_116:
	s_or_b64 exec, exec, s[4:5]
	s_waitcnt lgkmcnt(0)
	s_barrier
	ds_read2_b64 v[140:143], v167 offset1:1
	v_cmp_lt_u32_e32 vcc, 12, v166
	s_waitcnt lgkmcnt(0)
	scratch_store_dwordx4 off, v[140:143], off offset:136 ; 16-byte Folded Spill
	s_and_saveexec_b64 s[2:3], vcc
	s_cbranch_execz .LBB69_118
; %bb.117:
	scratch_load_dwordx4 v[142:145], off, off offset:136 ; 16-byte Folded Reload
	s_waitcnt vmcnt(0)
	v_mul_f64 v[140:141], v[144:145], v[86:87]
	v_mul_f64 v[86:87], v[142:143], v[86:87]
	v_fma_f64 v[140:141], v[142:143], v[84:85], -v[140:141]
	v_fmac_f64_e32 v[86:87], v[144:145], v[84:85]
	ds_read2_b64 v[142:145], v168 offset0:26 offset1:27
	s_waitcnt lgkmcnt(0)
	v_mul_f64 v[84:85], v[144:145], v[86:87]
	v_fma_f64 v[84:85], v[142:143], v[140:141], -v[84:85]
	v_mul_f64 v[142:143], v[142:143], v[86:87]
	v_fmac_f64_e32 v[142:143], v[144:145], v[140:141]
	v_add_f64 v[82:83], v[82:83], -v[142:143]
	ds_read2_b64 v[142:145], v168 offset0:28 offset1:29
	v_add_f64 v[80:81], v[80:81], -v[84:85]
	s_waitcnt lgkmcnt(0)
	v_mul_f64 v[84:85], v[144:145], v[86:87]
	v_fma_f64 v[84:85], v[142:143], v[140:141], -v[84:85]
	v_mul_f64 v[142:143], v[142:143], v[86:87]
	v_fmac_f64_e32 v[142:143], v[144:145], v[140:141]
	v_add_f64 v[78:79], v[78:79], -v[142:143]
	ds_read2_b64 v[142:145], v168 offset0:30 offset1:31
	v_add_f64 v[76:77], v[76:77], -v[84:85]
	;; [unrolled: 8-line block ×21, first 2 shown]
	s_waitcnt lgkmcnt(0)
	v_mul_f64 v[84:85], v[144:145], v[86:87]
	v_fma_f64 v[84:85], v[142:143], v[140:141], -v[84:85]
	v_mul_f64 v[142:143], v[142:143], v[86:87]
	v_fmac_f64_e32 v[142:143], v[144:145], v[140:141]
	v_add_f64 v[136:137], v[136:137], -v[84:85]
	v_add_f64 v[138:139], v[138:139], -v[142:143]
	v_mov_b64_e32 v[84:85], v[140:141]
.LBB69_118:
	s_or_b64 exec, exec, s[2:3]
	v_cmp_eq_u32_e32 vcc, 13, v166
	s_barrier
	s_and_saveexec_b64 s[4:5], vcc
	s_cbranch_execz .LBB69_125
; %bb.119:
	s_waitcnt vmcnt(30)
	ds_write2_b64 v167, v[80:81], v[82:83] offset1:1
	s_waitcnt vmcnt(29)
	ds_write2_b64 v168, v[76:77], v[78:79] offset0:28 offset1:29
	s_waitcnt vmcnt(28)
	ds_write2_b64 v168, v[72:73], v[74:75] offset0:30 offset1:31
	;; [unrolled: 2-line block ×21, first 2 shown]
	ds_read2_b64 v[140:143], v167 offset1:1
	s_waitcnt lgkmcnt(0)
	v_cmp_neq_f64_e32 vcc, 0, v[140:141]
	v_cmp_neq_f64_e64 s[2:3], 0, v[142:143]
	s_or_b64 s[2:3], vcc, s[2:3]
	s_and_b64 exec, exec, s[2:3]
	s_cbranch_execz .LBB69_125
; %bb.120:
	v_cmp_ngt_f64_e64 s[2:3], |v[140:141]|, |v[142:143]|
                                        ; implicit-def: $vgpr144_vgpr145
	s_and_saveexec_b64 s[10:11], s[2:3]
	s_xor_b64 s[2:3], exec, s[10:11]
                                        ; implicit-def: $vgpr146_vgpr147
	s_cbranch_execz .LBB69_122
; %bb.121:
	v_div_scale_f64 v[144:145], s[10:11], v[142:143], v[142:143], v[140:141]
	v_rcp_f64_e32 v[146:147], v[144:145]
	v_div_scale_f64 v[148:149], vcc, v[140:141], v[142:143], v[140:141]
	v_fma_f64 v[150:151], -v[144:145], v[146:147], 1.0
	v_fmac_f64_e32 v[146:147], v[146:147], v[150:151]
	v_fma_f64 v[150:151], -v[144:145], v[146:147], 1.0
	v_fmac_f64_e32 v[146:147], v[146:147], v[150:151]
	v_mul_f64 v[150:151], v[148:149], v[146:147]
	v_fma_f64 v[144:145], -v[144:145], v[150:151], v[148:149]
	v_div_fmas_f64 v[144:145], v[144:145], v[146:147], v[150:151]
	v_div_fixup_f64 v[144:145], v[144:145], v[142:143], v[140:141]
	v_fmac_f64_e32 v[142:143], v[140:141], v[144:145]
	v_div_scale_f64 v[140:141], s[10:11], v[142:143], v[142:143], 1.0
	v_rcp_f64_e32 v[146:147], v[140:141]
	s_nop 0
	v_fma_f64 v[148:149], -v[140:141], v[146:147], 1.0
	v_fmac_f64_e32 v[146:147], v[146:147], v[148:149]
	v_fma_f64 v[148:149], -v[140:141], v[146:147], 1.0
	v_fmac_f64_e32 v[146:147], v[146:147], v[148:149]
	v_div_scale_f64 v[148:149], vcc, 1.0, v[142:143], 1.0
	v_mul_f64 v[150:151], v[148:149], v[146:147]
	v_fma_f64 v[140:141], -v[140:141], v[150:151], v[148:149]
	s_nop 1
	v_div_fmas_f64 v[140:141], v[140:141], v[146:147], v[150:151]
	v_div_fixup_f64 v[146:147], v[140:141], v[142:143], 1.0
	v_mul_f64 v[144:145], v[144:145], v[146:147]
	v_xor_b32_e32 v147, 0x80000000, v147
                                        ; implicit-def: $vgpr140_vgpr141
.LBB69_122:
	s_andn2_saveexec_b64 s[2:3], s[2:3]
	s_cbranch_execz .LBB69_124
; %bb.123:
	v_div_scale_f64 v[144:145], s[10:11], v[140:141], v[140:141], v[142:143]
	v_rcp_f64_e32 v[146:147], v[144:145]
	v_div_scale_f64 v[148:149], vcc, v[142:143], v[140:141], v[142:143]
	v_fma_f64 v[150:151], -v[144:145], v[146:147], 1.0
	v_fmac_f64_e32 v[146:147], v[146:147], v[150:151]
	v_fma_f64 v[150:151], -v[144:145], v[146:147], 1.0
	v_fmac_f64_e32 v[146:147], v[146:147], v[150:151]
	v_mul_f64 v[150:151], v[148:149], v[146:147]
	v_fma_f64 v[144:145], -v[144:145], v[150:151], v[148:149]
	v_div_fmas_f64 v[144:145], v[144:145], v[146:147], v[150:151]
	v_div_fixup_f64 v[146:147], v[144:145], v[140:141], v[142:143]
	v_fmac_f64_e32 v[140:141], v[142:143], v[146:147]
	v_div_scale_f64 v[142:143], s[10:11], v[140:141], v[140:141], 1.0
	v_rcp_f64_e32 v[144:145], v[142:143]
	s_nop 0
	v_fma_f64 v[148:149], -v[142:143], v[144:145], 1.0
	v_fmac_f64_e32 v[144:145], v[144:145], v[148:149]
	v_fma_f64 v[148:149], -v[142:143], v[144:145], 1.0
	v_fmac_f64_e32 v[144:145], v[144:145], v[148:149]
	v_div_scale_f64 v[148:149], vcc, 1.0, v[140:141], 1.0
	v_mul_f64 v[150:151], v[148:149], v[144:145]
	v_fma_f64 v[142:143], -v[142:143], v[150:151], v[148:149]
	s_nop 1
	v_div_fmas_f64 v[142:143], v[142:143], v[144:145], v[150:151]
	v_div_fixup_f64 v[144:145], v[142:143], v[140:141], 1.0
	v_mul_f64 v[146:147], v[146:147], -v[144:145]
.LBB69_124:
	s_or_b64 exec, exec, s[2:3]
	ds_write2_b64 v167, v[144:145], v[146:147] offset1:1
.LBB69_125:
	s_or_b64 exec, exec, s[4:5]
	s_waitcnt lgkmcnt(0)
	s_barrier
	ds_read2_b64 v[140:143], v167 offset1:1
	v_cmp_lt_u32_e32 vcc, 13, v166
	s_waitcnt lgkmcnt(0)
	scratch_store_dwordx4 off, v[140:143], off offset:152 ; 16-byte Folded Spill
	s_and_saveexec_b64 s[2:3], vcc
	s_cbranch_execz .LBB69_127
; %bb.126:
	scratch_load_dwordx4 v[142:145], off, off offset:152 ; 16-byte Folded Reload
	s_waitcnt vmcnt(0)
	v_mul_f64 v[140:141], v[144:145], v[82:83]
	v_mul_f64 v[82:83], v[142:143], v[82:83]
	v_fma_f64 v[140:141], v[142:143], v[80:81], -v[140:141]
	v_fmac_f64_e32 v[82:83], v[144:145], v[80:81]
	ds_read2_b64 v[142:145], v168 offset0:28 offset1:29
	s_waitcnt lgkmcnt(0)
	v_mul_f64 v[80:81], v[144:145], v[82:83]
	v_fma_f64 v[80:81], v[142:143], v[140:141], -v[80:81]
	v_mul_f64 v[142:143], v[142:143], v[82:83]
	v_fmac_f64_e32 v[142:143], v[144:145], v[140:141]
	v_add_f64 v[78:79], v[78:79], -v[142:143]
	ds_read2_b64 v[142:145], v168 offset0:30 offset1:31
	v_add_f64 v[76:77], v[76:77], -v[80:81]
	s_waitcnt lgkmcnt(0)
	v_mul_f64 v[80:81], v[144:145], v[82:83]
	v_fma_f64 v[80:81], v[142:143], v[140:141], -v[80:81]
	v_mul_f64 v[142:143], v[142:143], v[82:83]
	v_fmac_f64_e32 v[142:143], v[144:145], v[140:141]
	v_add_f64 v[74:75], v[74:75], -v[142:143]
	ds_read2_b64 v[142:145], v168 offset0:32 offset1:33
	v_add_f64 v[72:73], v[72:73], -v[80:81]
	s_waitcnt lgkmcnt(0)
	v_mul_f64 v[80:81], v[144:145], v[82:83]
	v_fma_f64 v[80:81], v[142:143], v[140:141], -v[80:81]
	v_mul_f64 v[142:143], v[142:143], v[82:83]
	v_fmac_f64_e32 v[142:143], v[144:145], v[140:141]
	v_add_f64 v[70:71], v[70:71], -v[142:143]
	ds_read2_b64 v[142:145], v168 offset0:34 offset1:35
	v_add_f64 v[68:69], v[68:69], -v[80:81]
	s_waitcnt lgkmcnt(0)
	v_mul_f64 v[80:81], v[144:145], v[82:83]
	v_fma_f64 v[80:81], v[142:143], v[140:141], -v[80:81]
	v_mul_f64 v[142:143], v[142:143], v[82:83]
	v_fmac_f64_e32 v[142:143], v[144:145], v[140:141]
	v_add_f64 v[66:67], v[66:67], -v[142:143]
	ds_read2_b64 v[142:145], v168 offset0:36 offset1:37
	v_add_f64 v[64:65], v[64:65], -v[80:81]
	s_waitcnt lgkmcnt(0)
	v_mul_f64 v[80:81], v[144:145], v[82:83]
	v_fma_f64 v[80:81], v[142:143], v[140:141], -v[80:81]
	v_mul_f64 v[142:143], v[142:143], v[82:83]
	v_fmac_f64_e32 v[142:143], v[144:145], v[140:141]
	v_add_f64 v[254:255], v[254:255], -v[142:143]
	ds_read2_b64 v[142:145], v168 offset0:38 offset1:39
	v_add_f64 v[252:253], v[252:253], -v[80:81]
	s_waitcnt lgkmcnt(0)
	v_mul_f64 v[80:81], v[144:145], v[82:83]
	v_fma_f64 v[80:81], v[142:143], v[140:141], -v[80:81]
	v_mul_f64 v[142:143], v[142:143], v[82:83]
	v_fmac_f64_e32 v[142:143], v[144:145], v[140:141]
	v_add_f64 v[58:59], v[58:59], -v[142:143]
	ds_read2_b64 v[142:145], v168 offset0:40 offset1:41
	v_add_f64 v[56:57], v[56:57], -v[80:81]
	s_waitcnt lgkmcnt(0)
	v_mul_f64 v[80:81], v[144:145], v[82:83]
	v_fma_f64 v[80:81], v[142:143], v[140:141], -v[80:81]
	v_mul_f64 v[142:143], v[142:143], v[82:83]
	v_fmac_f64_e32 v[142:143], v[144:145], v[140:141]
	v_add_f64 v[54:55], v[54:55], -v[142:143]
	ds_read2_b64 v[142:145], v168 offset0:42 offset1:43
	v_add_f64 v[52:53], v[52:53], -v[80:81]
	s_waitcnt lgkmcnt(0)
	v_mul_f64 v[80:81], v[144:145], v[82:83]
	v_fma_f64 v[80:81], v[142:143], v[140:141], -v[80:81]
	v_mul_f64 v[142:143], v[142:143], v[82:83]
	v_fmac_f64_e32 v[142:143], v[144:145], v[140:141]
	v_add_f64 v[50:51], v[50:51], -v[142:143]
	ds_read2_b64 v[142:145], v168 offset0:44 offset1:45
	v_add_f64 v[48:49], v[48:49], -v[80:81]
	s_waitcnt lgkmcnt(0)
	v_mul_f64 v[80:81], v[144:145], v[82:83]
	v_fma_f64 v[80:81], v[142:143], v[140:141], -v[80:81]
	v_mul_f64 v[142:143], v[142:143], v[82:83]
	v_fmac_f64_e32 v[142:143], v[144:145], v[140:141]
	v_add_f64 v[46:47], v[46:47], -v[142:143]
	ds_read2_b64 v[142:145], v168 offset0:46 offset1:47
	v_add_f64 v[44:45], v[44:45], -v[80:81]
	s_waitcnt lgkmcnt(0)
	v_mul_f64 v[80:81], v[144:145], v[82:83]
	v_fma_f64 v[80:81], v[142:143], v[140:141], -v[80:81]
	v_mul_f64 v[142:143], v[142:143], v[82:83]
	v_fmac_f64_e32 v[142:143], v[144:145], v[140:141]
	v_add_f64 v[42:43], v[42:43], -v[142:143]
	ds_read2_b64 v[142:145], v168 offset0:48 offset1:49
	v_add_f64 v[40:41], v[40:41], -v[80:81]
	s_waitcnt lgkmcnt(0)
	v_mul_f64 v[80:81], v[144:145], v[82:83]
	v_fma_f64 v[80:81], v[142:143], v[140:141], -v[80:81]
	v_mul_f64 v[142:143], v[142:143], v[82:83]
	v_fmac_f64_e32 v[142:143], v[144:145], v[140:141]
	v_add_f64 v[38:39], v[38:39], -v[142:143]
	ds_read2_b64 v[142:145], v168 offset0:50 offset1:51
	v_add_f64 v[36:37], v[36:37], -v[80:81]
	s_waitcnt lgkmcnt(0)
	v_mul_f64 v[80:81], v[144:145], v[82:83]
	v_fma_f64 v[80:81], v[142:143], v[140:141], -v[80:81]
	v_mul_f64 v[142:143], v[142:143], v[82:83]
	v_fmac_f64_e32 v[142:143], v[144:145], v[140:141]
	v_add_f64 v[34:35], v[34:35], -v[142:143]
	ds_read2_b64 v[142:145], v168 offset0:52 offset1:53
	v_add_f64 v[32:33], v[32:33], -v[80:81]
	s_waitcnt lgkmcnt(0)
	v_mul_f64 v[80:81], v[144:145], v[82:83]
	v_fma_f64 v[80:81], v[142:143], v[140:141], -v[80:81]
	v_mul_f64 v[142:143], v[142:143], v[82:83]
	v_fmac_f64_e32 v[142:143], v[144:145], v[140:141]
	v_add_f64 v[30:31], v[30:31], -v[142:143]
	ds_read2_b64 v[142:145], v168 offset0:54 offset1:55
	v_add_f64 v[28:29], v[28:29], -v[80:81]
	s_waitcnt lgkmcnt(0)
	v_mul_f64 v[80:81], v[144:145], v[82:83]
	v_fma_f64 v[80:81], v[142:143], v[140:141], -v[80:81]
	v_mul_f64 v[142:143], v[142:143], v[82:83]
	v_fmac_f64_e32 v[142:143], v[144:145], v[140:141]
	v_add_f64 v[26:27], v[26:27], -v[142:143]
	ds_read2_b64 v[142:145], v168 offset0:56 offset1:57
	v_add_f64 v[24:25], v[24:25], -v[80:81]
	s_waitcnt lgkmcnt(0)
	v_mul_f64 v[80:81], v[144:145], v[82:83]
	v_fma_f64 v[80:81], v[142:143], v[140:141], -v[80:81]
	v_mul_f64 v[142:143], v[142:143], v[82:83]
	v_fmac_f64_e32 v[142:143], v[144:145], v[140:141]
	v_add_f64 v[22:23], v[22:23], -v[142:143]
	ds_read2_b64 v[142:145], v168 offset0:58 offset1:59
	v_add_f64 v[20:21], v[20:21], -v[80:81]
	s_waitcnt lgkmcnt(0)
	v_mul_f64 v[80:81], v[144:145], v[82:83]
	v_fma_f64 v[80:81], v[142:143], v[140:141], -v[80:81]
	v_mul_f64 v[142:143], v[142:143], v[82:83]
	v_fmac_f64_e32 v[142:143], v[144:145], v[140:141]
	v_add_f64 v[18:19], v[18:19], -v[142:143]
	ds_read2_b64 v[142:145], v168 offset0:60 offset1:61
	v_add_f64 v[16:17], v[16:17], -v[80:81]
	s_waitcnt lgkmcnt(0)
	v_mul_f64 v[80:81], v[144:145], v[82:83]
	v_fma_f64 v[80:81], v[142:143], v[140:141], -v[80:81]
	v_mul_f64 v[142:143], v[142:143], v[82:83]
	v_fmac_f64_e32 v[142:143], v[144:145], v[140:141]
	v_add_f64 v[14:15], v[14:15], -v[142:143]
	ds_read2_b64 v[142:145], v168 offset0:62 offset1:63
	v_add_f64 v[12:13], v[12:13], -v[80:81]
	s_waitcnt lgkmcnt(0)
	v_mul_f64 v[80:81], v[144:145], v[82:83]
	v_fma_f64 v[80:81], v[142:143], v[140:141], -v[80:81]
	v_mul_f64 v[142:143], v[142:143], v[82:83]
	v_fmac_f64_e32 v[142:143], v[144:145], v[140:141]
	v_add_f64 v[10:11], v[10:11], -v[142:143]
	ds_read2_b64 v[142:145], v168 offset0:64 offset1:65
	v_add_f64 v[8:9], v[8:9], -v[80:81]
	s_waitcnt lgkmcnt(0)
	v_mul_f64 v[80:81], v[144:145], v[82:83]
	v_fma_f64 v[80:81], v[142:143], v[140:141], -v[80:81]
	v_mul_f64 v[142:143], v[142:143], v[82:83]
	v_fmac_f64_e32 v[142:143], v[144:145], v[140:141]
	v_add_f64 v[6:7], v[6:7], -v[142:143]
	ds_read2_b64 v[142:145], v168 offset0:66 offset1:67
	v_add_f64 v[4:5], v[4:5], -v[80:81]
	s_waitcnt lgkmcnt(0)
	v_mul_f64 v[80:81], v[144:145], v[82:83]
	v_fma_f64 v[80:81], v[142:143], v[140:141], -v[80:81]
	v_mul_f64 v[142:143], v[142:143], v[82:83]
	v_fmac_f64_e32 v[142:143], v[144:145], v[140:141]
	v_add_f64 v[2:3], v[2:3], -v[142:143]
	ds_read2_b64 v[142:145], v168 offset0:68 offset1:69
	v_add_f64 v[0:1], v[0:1], -v[80:81]
	s_waitcnt lgkmcnt(0)
	v_mul_f64 v[80:81], v[144:145], v[82:83]
	v_fma_f64 v[80:81], v[142:143], v[140:141], -v[80:81]
	v_mul_f64 v[142:143], v[142:143], v[82:83]
	v_fmac_f64_e32 v[142:143], v[144:145], v[140:141]
	v_add_f64 v[136:137], v[136:137], -v[80:81]
	v_add_f64 v[138:139], v[138:139], -v[142:143]
	v_mov_b64_e32 v[80:81], v[140:141]
.LBB69_127:
	s_or_b64 exec, exec, s[2:3]
	v_cmp_eq_u32_e32 vcc, 14, v166
	s_barrier
	s_and_saveexec_b64 s[4:5], vcc
	s_cbranch_execz .LBB69_134
; %bb.128:
	s_waitcnt vmcnt(30)
	ds_write2_b64 v167, v[76:77], v[78:79] offset1:1
	s_waitcnt vmcnt(29)
	ds_write2_b64 v168, v[72:73], v[74:75] offset0:30 offset1:31
	s_waitcnt vmcnt(28)
	ds_write2_b64 v168, v[68:69], v[70:71] offset0:32 offset1:33
	;; [unrolled: 2-line block ×20, first 2 shown]
	ds_read2_b64 v[140:143], v167 offset1:1
	s_waitcnt lgkmcnt(0)
	v_cmp_neq_f64_e32 vcc, 0, v[140:141]
	v_cmp_neq_f64_e64 s[2:3], 0, v[142:143]
	s_or_b64 s[2:3], vcc, s[2:3]
	s_and_b64 exec, exec, s[2:3]
	s_cbranch_execz .LBB69_134
; %bb.129:
	v_cmp_ngt_f64_e64 s[2:3], |v[140:141]|, |v[142:143]|
                                        ; implicit-def: $vgpr144_vgpr145
	s_and_saveexec_b64 s[10:11], s[2:3]
	s_xor_b64 s[2:3], exec, s[10:11]
                                        ; implicit-def: $vgpr146_vgpr147
	s_cbranch_execz .LBB69_131
; %bb.130:
	v_div_scale_f64 v[144:145], s[10:11], v[142:143], v[142:143], v[140:141]
	v_rcp_f64_e32 v[146:147], v[144:145]
	v_div_scale_f64 v[148:149], vcc, v[140:141], v[142:143], v[140:141]
	v_fma_f64 v[150:151], -v[144:145], v[146:147], 1.0
	v_fmac_f64_e32 v[146:147], v[146:147], v[150:151]
	v_fma_f64 v[150:151], -v[144:145], v[146:147], 1.0
	v_fmac_f64_e32 v[146:147], v[146:147], v[150:151]
	v_mul_f64 v[150:151], v[148:149], v[146:147]
	v_fma_f64 v[144:145], -v[144:145], v[150:151], v[148:149]
	v_div_fmas_f64 v[144:145], v[144:145], v[146:147], v[150:151]
	v_div_fixup_f64 v[144:145], v[144:145], v[142:143], v[140:141]
	v_fmac_f64_e32 v[142:143], v[140:141], v[144:145]
	v_div_scale_f64 v[140:141], s[10:11], v[142:143], v[142:143], 1.0
	v_rcp_f64_e32 v[146:147], v[140:141]
	s_nop 0
	v_fma_f64 v[148:149], -v[140:141], v[146:147], 1.0
	v_fmac_f64_e32 v[146:147], v[146:147], v[148:149]
	v_fma_f64 v[148:149], -v[140:141], v[146:147], 1.0
	v_fmac_f64_e32 v[146:147], v[146:147], v[148:149]
	v_div_scale_f64 v[148:149], vcc, 1.0, v[142:143], 1.0
	v_mul_f64 v[150:151], v[148:149], v[146:147]
	v_fma_f64 v[140:141], -v[140:141], v[150:151], v[148:149]
	s_nop 1
	v_div_fmas_f64 v[140:141], v[140:141], v[146:147], v[150:151]
	v_div_fixup_f64 v[146:147], v[140:141], v[142:143], 1.0
	v_mul_f64 v[144:145], v[144:145], v[146:147]
	v_xor_b32_e32 v147, 0x80000000, v147
                                        ; implicit-def: $vgpr140_vgpr141
.LBB69_131:
	s_andn2_saveexec_b64 s[2:3], s[2:3]
	s_cbranch_execz .LBB69_133
; %bb.132:
	v_div_scale_f64 v[144:145], s[10:11], v[140:141], v[140:141], v[142:143]
	v_rcp_f64_e32 v[146:147], v[144:145]
	v_div_scale_f64 v[148:149], vcc, v[142:143], v[140:141], v[142:143]
	v_fma_f64 v[150:151], -v[144:145], v[146:147], 1.0
	v_fmac_f64_e32 v[146:147], v[146:147], v[150:151]
	v_fma_f64 v[150:151], -v[144:145], v[146:147], 1.0
	v_fmac_f64_e32 v[146:147], v[146:147], v[150:151]
	v_mul_f64 v[150:151], v[148:149], v[146:147]
	v_fma_f64 v[144:145], -v[144:145], v[150:151], v[148:149]
	v_div_fmas_f64 v[144:145], v[144:145], v[146:147], v[150:151]
	v_div_fixup_f64 v[146:147], v[144:145], v[140:141], v[142:143]
	v_fmac_f64_e32 v[140:141], v[142:143], v[146:147]
	v_div_scale_f64 v[142:143], s[10:11], v[140:141], v[140:141], 1.0
	v_rcp_f64_e32 v[144:145], v[142:143]
	s_nop 0
	v_fma_f64 v[148:149], -v[142:143], v[144:145], 1.0
	v_fmac_f64_e32 v[144:145], v[144:145], v[148:149]
	v_fma_f64 v[148:149], -v[142:143], v[144:145], 1.0
	v_fmac_f64_e32 v[144:145], v[144:145], v[148:149]
	v_div_scale_f64 v[148:149], vcc, 1.0, v[140:141], 1.0
	v_mul_f64 v[150:151], v[148:149], v[144:145]
	v_fma_f64 v[142:143], -v[142:143], v[150:151], v[148:149]
	s_nop 1
	v_div_fmas_f64 v[142:143], v[142:143], v[144:145], v[150:151]
	v_div_fixup_f64 v[144:145], v[142:143], v[140:141], 1.0
	v_mul_f64 v[146:147], v[146:147], -v[144:145]
.LBB69_133:
	s_or_b64 exec, exec, s[2:3]
	ds_write2_b64 v167, v[144:145], v[146:147] offset1:1
.LBB69_134:
	s_or_b64 exec, exec, s[4:5]
	s_waitcnt lgkmcnt(0)
	s_barrier
	ds_read2_b64 v[140:143], v167 offset1:1
	v_cmp_lt_u32_e32 vcc, 14, v166
	s_waitcnt lgkmcnt(0)
	scratch_store_dwordx4 off, v[140:143], off offset:168 ; 16-byte Folded Spill
	s_and_saveexec_b64 s[2:3], vcc
	s_cbranch_execz .LBB69_136
; %bb.135:
	scratch_load_dwordx4 v[142:145], off, off offset:168 ; 16-byte Folded Reload
	s_waitcnt vmcnt(0)
	v_mul_f64 v[140:141], v[144:145], v[78:79]
	v_mul_f64 v[78:79], v[142:143], v[78:79]
	v_fma_f64 v[140:141], v[142:143], v[76:77], -v[140:141]
	v_fmac_f64_e32 v[78:79], v[144:145], v[76:77]
	ds_read2_b64 v[142:145], v168 offset0:30 offset1:31
	s_waitcnt lgkmcnt(0)
	v_mul_f64 v[76:77], v[144:145], v[78:79]
	v_fma_f64 v[76:77], v[142:143], v[140:141], -v[76:77]
	v_mul_f64 v[142:143], v[142:143], v[78:79]
	v_fmac_f64_e32 v[142:143], v[144:145], v[140:141]
	v_add_f64 v[74:75], v[74:75], -v[142:143]
	ds_read2_b64 v[142:145], v168 offset0:32 offset1:33
	v_add_f64 v[72:73], v[72:73], -v[76:77]
	s_waitcnt lgkmcnt(0)
	v_mul_f64 v[76:77], v[144:145], v[78:79]
	v_fma_f64 v[76:77], v[142:143], v[140:141], -v[76:77]
	v_mul_f64 v[142:143], v[142:143], v[78:79]
	v_fmac_f64_e32 v[142:143], v[144:145], v[140:141]
	v_add_f64 v[70:71], v[70:71], -v[142:143]
	ds_read2_b64 v[142:145], v168 offset0:34 offset1:35
	v_add_f64 v[68:69], v[68:69], -v[76:77]
	;; [unrolled: 8-line block ×19, first 2 shown]
	s_waitcnt lgkmcnt(0)
	v_mul_f64 v[76:77], v[144:145], v[78:79]
	v_fma_f64 v[76:77], v[142:143], v[140:141], -v[76:77]
	v_mul_f64 v[142:143], v[142:143], v[78:79]
	v_fmac_f64_e32 v[142:143], v[144:145], v[140:141]
	v_add_f64 v[136:137], v[136:137], -v[76:77]
	v_add_f64 v[138:139], v[138:139], -v[142:143]
	v_mov_b64_e32 v[76:77], v[140:141]
.LBB69_136:
	s_or_b64 exec, exec, s[2:3]
	v_cmp_eq_u32_e32 vcc, 15, v166
	s_barrier
	s_and_saveexec_b64 s[4:5], vcc
	s_cbranch_execz .LBB69_143
; %bb.137:
	s_waitcnt vmcnt(30)
	ds_write2_b64 v167, v[72:73], v[74:75] offset1:1
	s_waitcnt vmcnt(29)
	ds_write2_b64 v168, v[68:69], v[70:71] offset0:32 offset1:33
	s_waitcnt vmcnt(28)
	ds_write2_b64 v168, v[64:65], v[66:67] offset0:34 offset1:35
	s_waitcnt vmcnt(27)
	ds_write2_b64 v168, v[252:253], v[254:255] offset0:36 offset1:37
	s_waitcnt vmcnt(26)
	ds_write2_b64 v168, v[56:57], v[58:59] offset0:38 offset1:39
	s_waitcnt vmcnt(25)
	ds_write2_b64 v168, v[52:53], v[54:55] offset0:40 offset1:41
	s_waitcnt vmcnt(24)
	ds_write2_b64 v168, v[48:49], v[50:51] offset0:42 offset1:43
	s_waitcnt vmcnt(23)
	ds_write2_b64 v168, v[44:45], v[46:47] offset0:44 offset1:45
	s_waitcnt vmcnt(22)
	ds_write2_b64 v168, v[40:41], v[42:43] offset0:46 offset1:47
	s_waitcnt vmcnt(21)
	ds_write2_b64 v168, v[36:37], v[38:39] offset0:48 offset1:49
	s_waitcnt vmcnt(20)
	ds_write2_b64 v168, v[32:33], v[34:35] offset0:50 offset1:51
	s_waitcnt vmcnt(19)
	ds_write2_b64 v168, v[28:29], v[30:31] offset0:52 offset1:53
	s_waitcnt vmcnt(18)
	ds_write2_b64 v168, v[24:25], v[26:27] offset0:54 offset1:55
	s_waitcnt vmcnt(17)
	ds_write2_b64 v168, v[20:21], v[22:23] offset0:56 offset1:57
	s_waitcnt vmcnt(16)
	ds_write2_b64 v168, v[16:17], v[18:19] offset0:58 offset1:59
	s_waitcnt vmcnt(15)
	ds_write2_b64 v168, v[12:13], v[14:15] offset0:60 offset1:61
	s_waitcnt vmcnt(14)
	ds_write2_b64 v168, v[8:9], v[10:11] offset0:62 offset1:63
	s_waitcnt vmcnt(13)
	ds_write2_b64 v168, v[4:5], v[6:7] offset0:64 offset1:65
	s_waitcnt vmcnt(12)
	ds_write2_b64 v168, v[0:1], v[2:3] offset0:66 offset1:67
	s_waitcnt vmcnt(11)
	ds_write2_b64 v168, v[136:137], v[138:139] offset0:68 offset1:69
	ds_read2_b64 v[140:143], v167 offset1:1
	s_waitcnt lgkmcnt(0)
	v_cmp_neq_f64_e32 vcc, 0, v[140:141]
	v_cmp_neq_f64_e64 s[2:3], 0, v[142:143]
	s_or_b64 s[2:3], vcc, s[2:3]
	s_and_b64 exec, exec, s[2:3]
	s_cbranch_execz .LBB69_143
; %bb.138:
	v_cmp_ngt_f64_e64 s[2:3], |v[140:141]|, |v[142:143]|
                                        ; implicit-def: $vgpr144_vgpr145
	s_and_saveexec_b64 s[10:11], s[2:3]
	s_xor_b64 s[2:3], exec, s[10:11]
                                        ; implicit-def: $vgpr146_vgpr147
	s_cbranch_execz .LBB69_140
; %bb.139:
	v_div_scale_f64 v[144:145], s[10:11], v[142:143], v[142:143], v[140:141]
	v_rcp_f64_e32 v[146:147], v[144:145]
	v_div_scale_f64 v[148:149], vcc, v[140:141], v[142:143], v[140:141]
	v_fma_f64 v[150:151], -v[144:145], v[146:147], 1.0
	v_fmac_f64_e32 v[146:147], v[146:147], v[150:151]
	v_fma_f64 v[150:151], -v[144:145], v[146:147], 1.0
	v_fmac_f64_e32 v[146:147], v[146:147], v[150:151]
	v_mul_f64 v[150:151], v[148:149], v[146:147]
	v_fma_f64 v[144:145], -v[144:145], v[150:151], v[148:149]
	v_div_fmas_f64 v[144:145], v[144:145], v[146:147], v[150:151]
	v_div_fixup_f64 v[144:145], v[144:145], v[142:143], v[140:141]
	v_fmac_f64_e32 v[142:143], v[140:141], v[144:145]
	v_div_scale_f64 v[140:141], s[10:11], v[142:143], v[142:143], 1.0
	v_rcp_f64_e32 v[146:147], v[140:141]
	s_nop 0
	v_fma_f64 v[148:149], -v[140:141], v[146:147], 1.0
	v_fmac_f64_e32 v[146:147], v[146:147], v[148:149]
	v_fma_f64 v[148:149], -v[140:141], v[146:147], 1.0
	v_fmac_f64_e32 v[146:147], v[146:147], v[148:149]
	v_div_scale_f64 v[148:149], vcc, 1.0, v[142:143], 1.0
	v_mul_f64 v[150:151], v[148:149], v[146:147]
	v_fma_f64 v[140:141], -v[140:141], v[150:151], v[148:149]
	s_nop 1
	v_div_fmas_f64 v[140:141], v[140:141], v[146:147], v[150:151]
	v_div_fixup_f64 v[146:147], v[140:141], v[142:143], 1.0
	v_mul_f64 v[144:145], v[144:145], v[146:147]
	v_xor_b32_e32 v147, 0x80000000, v147
                                        ; implicit-def: $vgpr140_vgpr141
.LBB69_140:
	s_andn2_saveexec_b64 s[2:3], s[2:3]
	s_cbranch_execz .LBB69_142
; %bb.141:
	v_div_scale_f64 v[144:145], s[10:11], v[140:141], v[140:141], v[142:143]
	v_rcp_f64_e32 v[146:147], v[144:145]
	v_div_scale_f64 v[148:149], vcc, v[142:143], v[140:141], v[142:143]
	v_fma_f64 v[150:151], -v[144:145], v[146:147], 1.0
	v_fmac_f64_e32 v[146:147], v[146:147], v[150:151]
	v_fma_f64 v[150:151], -v[144:145], v[146:147], 1.0
	v_fmac_f64_e32 v[146:147], v[146:147], v[150:151]
	v_mul_f64 v[150:151], v[148:149], v[146:147]
	v_fma_f64 v[144:145], -v[144:145], v[150:151], v[148:149]
	v_div_fmas_f64 v[144:145], v[144:145], v[146:147], v[150:151]
	v_div_fixup_f64 v[146:147], v[144:145], v[140:141], v[142:143]
	v_fmac_f64_e32 v[140:141], v[142:143], v[146:147]
	v_div_scale_f64 v[142:143], s[10:11], v[140:141], v[140:141], 1.0
	v_rcp_f64_e32 v[144:145], v[142:143]
	s_nop 0
	v_fma_f64 v[148:149], -v[142:143], v[144:145], 1.0
	v_fmac_f64_e32 v[144:145], v[144:145], v[148:149]
	v_fma_f64 v[148:149], -v[142:143], v[144:145], 1.0
	v_fmac_f64_e32 v[144:145], v[144:145], v[148:149]
	v_div_scale_f64 v[148:149], vcc, 1.0, v[140:141], 1.0
	v_mul_f64 v[150:151], v[148:149], v[144:145]
	v_fma_f64 v[142:143], -v[142:143], v[150:151], v[148:149]
	s_nop 1
	v_div_fmas_f64 v[142:143], v[142:143], v[144:145], v[150:151]
	v_div_fixup_f64 v[144:145], v[142:143], v[140:141], 1.0
	v_mul_f64 v[146:147], v[146:147], -v[144:145]
.LBB69_142:
	s_or_b64 exec, exec, s[2:3]
	ds_write2_b64 v167, v[144:145], v[146:147] offset1:1
.LBB69_143:
	s_or_b64 exec, exec, s[4:5]
	s_waitcnt lgkmcnt(0)
	s_barrier
	ds_read2_b64 v[140:143], v167 offset1:1
	v_cmp_lt_u32_e32 vcc, 15, v166
	s_waitcnt lgkmcnt(0)
	scratch_store_dwordx4 off, v[140:143], off offset:184 ; 16-byte Folded Spill
	s_and_saveexec_b64 s[2:3], vcc
	s_cbranch_execz .LBB69_145
; %bb.144:
	scratch_load_dwordx4 v[142:145], off, off offset:184 ; 16-byte Folded Reload
	s_waitcnt vmcnt(0)
	v_mul_f64 v[140:141], v[144:145], v[74:75]
	v_mul_f64 v[74:75], v[142:143], v[74:75]
	v_fma_f64 v[140:141], v[142:143], v[72:73], -v[140:141]
	v_fmac_f64_e32 v[74:75], v[144:145], v[72:73]
	ds_read2_b64 v[142:145], v168 offset0:32 offset1:33
	s_waitcnt lgkmcnt(0)
	v_mul_f64 v[72:73], v[144:145], v[74:75]
	v_fma_f64 v[72:73], v[142:143], v[140:141], -v[72:73]
	v_mul_f64 v[142:143], v[142:143], v[74:75]
	v_fmac_f64_e32 v[142:143], v[144:145], v[140:141]
	v_add_f64 v[70:71], v[70:71], -v[142:143]
	ds_read2_b64 v[142:145], v168 offset0:34 offset1:35
	v_add_f64 v[68:69], v[68:69], -v[72:73]
	s_waitcnt lgkmcnt(0)
	v_mul_f64 v[72:73], v[144:145], v[74:75]
	v_fma_f64 v[72:73], v[142:143], v[140:141], -v[72:73]
	v_mul_f64 v[142:143], v[142:143], v[74:75]
	v_fmac_f64_e32 v[142:143], v[144:145], v[140:141]
	v_add_f64 v[66:67], v[66:67], -v[142:143]
	ds_read2_b64 v[142:145], v168 offset0:36 offset1:37
	v_add_f64 v[64:65], v[64:65], -v[72:73]
	;; [unrolled: 8-line block ×18, first 2 shown]
	s_waitcnt lgkmcnt(0)
	v_mul_f64 v[72:73], v[144:145], v[74:75]
	v_fma_f64 v[72:73], v[142:143], v[140:141], -v[72:73]
	v_mul_f64 v[142:143], v[142:143], v[74:75]
	v_fmac_f64_e32 v[142:143], v[144:145], v[140:141]
	v_add_f64 v[136:137], v[136:137], -v[72:73]
	v_add_f64 v[138:139], v[138:139], -v[142:143]
	v_mov_b64_e32 v[72:73], v[140:141]
.LBB69_145:
	s_or_b64 exec, exec, s[2:3]
	v_cmp_eq_u32_e32 vcc, 16, v166
	s_barrier
	s_and_saveexec_b64 s[4:5], vcc
	s_cbranch_execz .LBB69_152
; %bb.146:
	s_waitcnt vmcnt(30)
	ds_write2_b64 v167, v[68:69], v[70:71] offset1:1
	s_waitcnt vmcnt(29)
	ds_write2_b64 v168, v[64:65], v[66:67] offset0:34 offset1:35
	s_waitcnt vmcnt(28)
	ds_write2_b64 v168, v[252:253], v[254:255] offset0:36 offset1:37
	;; [unrolled: 2-line block ×18, first 2 shown]
	ds_read2_b64 v[140:143], v167 offset1:1
	s_waitcnt lgkmcnt(0)
	v_cmp_neq_f64_e32 vcc, 0, v[140:141]
	v_cmp_neq_f64_e64 s[2:3], 0, v[142:143]
	s_or_b64 s[2:3], vcc, s[2:3]
	s_and_b64 exec, exec, s[2:3]
	s_cbranch_execz .LBB69_152
; %bb.147:
	v_cmp_ngt_f64_e64 s[2:3], |v[140:141]|, |v[142:143]|
                                        ; implicit-def: $vgpr144_vgpr145
	s_and_saveexec_b64 s[10:11], s[2:3]
	s_xor_b64 s[2:3], exec, s[10:11]
                                        ; implicit-def: $vgpr146_vgpr147
	s_cbranch_execz .LBB69_149
; %bb.148:
	v_div_scale_f64 v[144:145], s[10:11], v[142:143], v[142:143], v[140:141]
	v_rcp_f64_e32 v[146:147], v[144:145]
	v_div_scale_f64 v[148:149], vcc, v[140:141], v[142:143], v[140:141]
	v_fma_f64 v[150:151], -v[144:145], v[146:147], 1.0
	v_fmac_f64_e32 v[146:147], v[146:147], v[150:151]
	v_fma_f64 v[150:151], -v[144:145], v[146:147], 1.0
	v_fmac_f64_e32 v[146:147], v[146:147], v[150:151]
	v_mul_f64 v[150:151], v[148:149], v[146:147]
	v_fma_f64 v[144:145], -v[144:145], v[150:151], v[148:149]
	v_div_fmas_f64 v[144:145], v[144:145], v[146:147], v[150:151]
	v_div_fixup_f64 v[144:145], v[144:145], v[142:143], v[140:141]
	v_fmac_f64_e32 v[142:143], v[140:141], v[144:145]
	v_div_scale_f64 v[140:141], s[10:11], v[142:143], v[142:143], 1.0
	v_rcp_f64_e32 v[146:147], v[140:141]
	s_nop 0
	v_fma_f64 v[148:149], -v[140:141], v[146:147], 1.0
	v_fmac_f64_e32 v[146:147], v[146:147], v[148:149]
	v_fma_f64 v[148:149], -v[140:141], v[146:147], 1.0
	v_fmac_f64_e32 v[146:147], v[146:147], v[148:149]
	v_div_scale_f64 v[148:149], vcc, 1.0, v[142:143], 1.0
	v_mul_f64 v[150:151], v[148:149], v[146:147]
	v_fma_f64 v[140:141], -v[140:141], v[150:151], v[148:149]
	s_nop 1
	v_div_fmas_f64 v[140:141], v[140:141], v[146:147], v[150:151]
	v_div_fixup_f64 v[146:147], v[140:141], v[142:143], 1.0
	v_mul_f64 v[144:145], v[144:145], v[146:147]
	v_xor_b32_e32 v147, 0x80000000, v147
                                        ; implicit-def: $vgpr140_vgpr141
.LBB69_149:
	s_andn2_saveexec_b64 s[2:3], s[2:3]
	s_cbranch_execz .LBB69_151
; %bb.150:
	v_div_scale_f64 v[144:145], s[10:11], v[140:141], v[140:141], v[142:143]
	v_rcp_f64_e32 v[146:147], v[144:145]
	v_div_scale_f64 v[148:149], vcc, v[142:143], v[140:141], v[142:143]
	v_fma_f64 v[150:151], -v[144:145], v[146:147], 1.0
	v_fmac_f64_e32 v[146:147], v[146:147], v[150:151]
	v_fma_f64 v[150:151], -v[144:145], v[146:147], 1.0
	v_fmac_f64_e32 v[146:147], v[146:147], v[150:151]
	v_mul_f64 v[150:151], v[148:149], v[146:147]
	v_fma_f64 v[144:145], -v[144:145], v[150:151], v[148:149]
	v_div_fmas_f64 v[144:145], v[144:145], v[146:147], v[150:151]
	v_div_fixup_f64 v[146:147], v[144:145], v[140:141], v[142:143]
	v_fmac_f64_e32 v[140:141], v[142:143], v[146:147]
	v_div_scale_f64 v[142:143], s[10:11], v[140:141], v[140:141], 1.0
	v_rcp_f64_e32 v[144:145], v[142:143]
	s_nop 0
	v_fma_f64 v[148:149], -v[142:143], v[144:145], 1.0
	v_fmac_f64_e32 v[144:145], v[144:145], v[148:149]
	v_fma_f64 v[148:149], -v[142:143], v[144:145], 1.0
	v_fmac_f64_e32 v[144:145], v[144:145], v[148:149]
	v_div_scale_f64 v[148:149], vcc, 1.0, v[140:141], 1.0
	v_mul_f64 v[150:151], v[148:149], v[144:145]
	v_fma_f64 v[142:143], -v[142:143], v[150:151], v[148:149]
	s_nop 1
	v_div_fmas_f64 v[142:143], v[142:143], v[144:145], v[150:151]
	v_div_fixup_f64 v[144:145], v[142:143], v[140:141], 1.0
	v_mul_f64 v[146:147], v[146:147], -v[144:145]
.LBB69_151:
	s_or_b64 exec, exec, s[2:3]
	ds_write2_b64 v167, v[144:145], v[146:147] offset1:1
.LBB69_152:
	s_or_b64 exec, exec, s[4:5]
	s_waitcnt lgkmcnt(0)
	s_barrier
	ds_read2_b64 v[140:143], v167 offset1:1
	v_cmp_lt_u32_e32 vcc, 16, v166
	s_waitcnt lgkmcnt(0)
	scratch_store_dwordx4 off, v[140:143], off offset:200 ; 16-byte Folded Spill
	s_and_saveexec_b64 s[2:3], vcc
	s_cbranch_execz .LBB69_154
; %bb.153:
	scratch_load_dwordx4 v[142:145], off, off offset:200 ; 16-byte Folded Reload
	s_waitcnt vmcnt(0)
	v_mul_f64 v[140:141], v[144:145], v[70:71]
	v_mul_f64 v[70:71], v[142:143], v[70:71]
	v_fma_f64 v[140:141], v[142:143], v[68:69], -v[140:141]
	v_fmac_f64_e32 v[70:71], v[144:145], v[68:69]
	ds_read2_b64 v[142:145], v168 offset0:34 offset1:35
	s_waitcnt lgkmcnt(0)
	v_mul_f64 v[68:69], v[144:145], v[70:71]
	v_fma_f64 v[68:69], v[142:143], v[140:141], -v[68:69]
	v_mul_f64 v[142:143], v[142:143], v[70:71]
	v_fmac_f64_e32 v[142:143], v[144:145], v[140:141]
	v_add_f64 v[66:67], v[66:67], -v[142:143]
	ds_read2_b64 v[142:145], v168 offset0:36 offset1:37
	v_add_f64 v[64:65], v[64:65], -v[68:69]
	s_waitcnt lgkmcnt(0)
	v_mul_f64 v[68:69], v[144:145], v[70:71]
	v_fma_f64 v[68:69], v[142:143], v[140:141], -v[68:69]
	v_mul_f64 v[142:143], v[142:143], v[70:71]
	v_fmac_f64_e32 v[142:143], v[144:145], v[140:141]
	v_add_f64 v[254:255], v[254:255], -v[142:143]
	ds_read2_b64 v[142:145], v168 offset0:38 offset1:39
	v_add_f64 v[252:253], v[252:253], -v[68:69]
	;; [unrolled: 8-line block ×17, first 2 shown]
	s_waitcnt lgkmcnt(0)
	v_mul_f64 v[68:69], v[144:145], v[70:71]
	v_fma_f64 v[68:69], v[142:143], v[140:141], -v[68:69]
	v_mul_f64 v[142:143], v[142:143], v[70:71]
	v_fmac_f64_e32 v[142:143], v[144:145], v[140:141]
	v_add_f64 v[136:137], v[136:137], -v[68:69]
	v_add_f64 v[138:139], v[138:139], -v[142:143]
	v_mov_b64_e32 v[68:69], v[140:141]
.LBB69_154:
	s_or_b64 exec, exec, s[2:3]
	v_cmp_eq_u32_e32 vcc, 17, v166
	s_barrier
	s_and_saveexec_b64 s[4:5], vcc
	s_cbranch_execz .LBB69_161
; %bb.155:
	s_waitcnt vmcnt(30)
	ds_write2_b64 v167, v[64:65], v[66:67] offset1:1
	s_waitcnt vmcnt(29)
	ds_write2_b64 v168, v[252:253], v[254:255] offset0:36 offset1:37
	s_waitcnt vmcnt(28)
	ds_write2_b64 v168, v[56:57], v[58:59] offset0:38 offset1:39
	;; [unrolled: 2-line block ×17, first 2 shown]
	ds_read2_b64 v[140:143], v167 offset1:1
	s_waitcnt lgkmcnt(0)
	v_cmp_neq_f64_e32 vcc, 0, v[140:141]
	v_cmp_neq_f64_e64 s[2:3], 0, v[142:143]
	s_or_b64 s[2:3], vcc, s[2:3]
	s_and_b64 exec, exec, s[2:3]
	s_cbranch_execz .LBB69_161
; %bb.156:
	v_cmp_ngt_f64_e64 s[2:3], |v[140:141]|, |v[142:143]|
                                        ; implicit-def: $vgpr144_vgpr145
	s_and_saveexec_b64 s[10:11], s[2:3]
	s_xor_b64 s[2:3], exec, s[10:11]
                                        ; implicit-def: $vgpr146_vgpr147
	s_cbranch_execz .LBB69_158
; %bb.157:
	v_div_scale_f64 v[144:145], s[10:11], v[142:143], v[142:143], v[140:141]
	v_rcp_f64_e32 v[146:147], v[144:145]
	v_div_scale_f64 v[148:149], vcc, v[140:141], v[142:143], v[140:141]
	v_fma_f64 v[150:151], -v[144:145], v[146:147], 1.0
	v_fmac_f64_e32 v[146:147], v[146:147], v[150:151]
	v_fma_f64 v[150:151], -v[144:145], v[146:147], 1.0
	v_fmac_f64_e32 v[146:147], v[146:147], v[150:151]
	v_mul_f64 v[150:151], v[148:149], v[146:147]
	v_fma_f64 v[144:145], -v[144:145], v[150:151], v[148:149]
	v_div_fmas_f64 v[144:145], v[144:145], v[146:147], v[150:151]
	v_div_fixup_f64 v[144:145], v[144:145], v[142:143], v[140:141]
	v_fmac_f64_e32 v[142:143], v[140:141], v[144:145]
	v_div_scale_f64 v[140:141], s[10:11], v[142:143], v[142:143], 1.0
	v_rcp_f64_e32 v[146:147], v[140:141]
	s_nop 0
	v_fma_f64 v[148:149], -v[140:141], v[146:147], 1.0
	v_fmac_f64_e32 v[146:147], v[146:147], v[148:149]
	v_fma_f64 v[148:149], -v[140:141], v[146:147], 1.0
	v_fmac_f64_e32 v[146:147], v[146:147], v[148:149]
	v_div_scale_f64 v[148:149], vcc, 1.0, v[142:143], 1.0
	v_mul_f64 v[150:151], v[148:149], v[146:147]
	v_fma_f64 v[140:141], -v[140:141], v[150:151], v[148:149]
	s_nop 1
	v_div_fmas_f64 v[140:141], v[140:141], v[146:147], v[150:151]
	v_div_fixup_f64 v[146:147], v[140:141], v[142:143], 1.0
	v_mul_f64 v[144:145], v[144:145], v[146:147]
	v_xor_b32_e32 v147, 0x80000000, v147
                                        ; implicit-def: $vgpr140_vgpr141
.LBB69_158:
	s_andn2_saveexec_b64 s[2:3], s[2:3]
	s_cbranch_execz .LBB69_160
; %bb.159:
	v_div_scale_f64 v[144:145], s[10:11], v[140:141], v[140:141], v[142:143]
	v_rcp_f64_e32 v[146:147], v[144:145]
	v_div_scale_f64 v[148:149], vcc, v[142:143], v[140:141], v[142:143]
	v_fma_f64 v[150:151], -v[144:145], v[146:147], 1.0
	v_fmac_f64_e32 v[146:147], v[146:147], v[150:151]
	v_fma_f64 v[150:151], -v[144:145], v[146:147], 1.0
	v_fmac_f64_e32 v[146:147], v[146:147], v[150:151]
	v_mul_f64 v[150:151], v[148:149], v[146:147]
	v_fma_f64 v[144:145], -v[144:145], v[150:151], v[148:149]
	v_div_fmas_f64 v[144:145], v[144:145], v[146:147], v[150:151]
	v_div_fixup_f64 v[146:147], v[144:145], v[140:141], v[142:143]
	v_fmac_f64_e32 v[140:141], v[142:143], v[146:147]
	v_div_scale_f64 v[142:143], s[10:11], v[140:141], v[140:141], 1.0
	v_rcp_f64_e32 v[144:145], v[142:143]
	s_nop 0
	v_fma_f64 v[148:149], -v[142:143], v[144:145], 1.0
	v_fmac_f64_e32 v[144:145], v[144:145], v[148:149]
	v_fma_f64 v[148:149], -v[142:143], v[144:145], 1.0
	v_fmac_f64_e32 v[144:145], v[144:145], v[148:149]
	v_div_scale_f64 v[148:149], vcc, 1.0, v[140:141], 1.0
	v_mul_f64 v[150:151], v[148:149], v[144:145]
	v_fma_f64 v[142:143], -v[142:143], v[150:151], v[148:149]
	s_nop 1
	v_div_fmas_f64 v[142:143], v[142:143], v[144:145], v[150:151]
	v_div_fixup_f64 v[144:145], v[142:143], v[140:141], 1.0
	v_mul_f64 v[146:147], v[146:147], -v[144:145]
.LBB69_160:
	s_or_b64 exec, exec, s[2:3]
	ds_write2_b64 v167, v[144:145], v[146:147] offset1:1
.LBB69_161:
	s_or_b64 exec, exec, s[4:5]
	s_waitcnt lgkmcnt(0)
	s_barrier
	ds_read2_b64 v[140:143], v167 offset1:1
	v_cmp_lt_u32_e32 vcc, 17, v166
	s_waitcnt lgkmcnt(0)
	scratch_store_dwordx4 off, v[140:143], off offset:216 ; 16-byte Folded Spill
	s_and_saveexec_b64 s[2:3], vcc
	s_cbranch_execz .LBB69_163
; %bb.162:
	scratch_load_dwordx4 v[142:145], off, off offset:216 ; 16-byte Folded Reload
	s_waitcnt vmcnt(0)
	v_mul_f64 v[140:141], v[144:145], v[66:67]
	v_mul_f64 v[66:67], v[142:143], v[66:67]
	v_fma_f64 v[140:141], v[142:143], v[64:65], -v[140:141]
	v_fmac_f64_e32 v[66:67], v[144:145], v[64:65]
	ds_read2_b64 v[142:145], v168 offset0:36 offset1:37
	s_waitcnt lgkmcnt(0)
	v_mul_f64 v[64:65], v[144:145], v[66:67]
	v_fma_f64 v[64:65], v[142:143], v[140:141], -v[64:65]
	v_mul_f64 v[142:143], v[142:143], v[66:67]
	v_fmac_f64_e32 v[142:143], v[144:145], v[140:141]
	v_add_f64 v[254:255], v[254:255], -v[142:143]
	ds_read2_b64 v[142:145], v168 offset0:38 offset1:39
	v_add_f64 v[252:253], v[252:253], -v[64:65]
	s_waitcnt lgkmcnt(0)
	v_mul_f64 v[64:65], v[144:145], v[66:67]
	v_fma_f64 v[64:65], v[142:143], v[140:141], -v[64:65]
	v_mul_f64 v[142:143], v[142:143], v[66:67]
	v_fmac_f64_e32 v[142:143], v[144:145], v[140:141]
	v_add_f64 v[58:59], v[58:59], -v[142:143]
	ds_read2_b64 v[142:145], v168 offset0:40 offset1:41
	v_add_f64 v[56:57], v[56:57], -v[64:65]
	;; [unrolled: 8-line block ×16, first 2 shown]
	s_waitcnt lgkmcnt(0)
	v_mul_f64 v[64:65], v[144:145], v[66:67]
	v_fma_f64 v[64:65], v[142:143], v[140:141], -v[64:65]
	v_mul_f64 v[142:143], v[142:143], v[66:67]
	v_fmac_f64_e32 v[142:143], v[144:145], v[140:141]
	v_add_f64 v[136:137], v[136:137], -v[64:65]
	v_add_f64 v[138:139], v[138:139], -v[142:143]
	v_mov_b64_e32 v[64:65], v[140:141]
.LBB69_163:
	s_or_b64 exec, exec, s[2:3]
	v_cmp_eq_u32_e32 vcc, 18, v166
	s_barrier
	s_and_saveexec_b64 s[4:5], vcc
	s_cbranch_execz .LBB69_170
; %bb.164:
	s_waitcnt vmcnt(30)
	ds_write2_b64 v167, v[252:253], v[254:255] offset1:1
	s_waitcnt vmcnt(29)
	ds_write2_b64 v168, v[56:57], v[58:59] offset0:38 offset1:39
	s_waitcnt vmcnt(28)
	ds_write2_b64 v168, v[52:53], v[54:55] offset0:40 offset1:41
	;; [unrolled: 2-line block ×16, first 2 shown]
	ds_read2_b64 v[140:143], v167 offset1:1
	s_waitcnt lgkmcnt(0)
	v_cmp_neq_f64_e32 vcc, 0, v[140:141]
	v_cmp_neq_f64_e64 s[2:3], 0, v[142:143]
	s_or_b64 s[2:3], vcc, s[2:3]
	s_and_b64 exec, exec, s[2:3]
	s_cbranch_execz .LBB69_170
; %bb.165:
	v_cmp_ngt_f64_e64 s[2:3], |v[140:141]|, |v[142:143]|
                                        ; implicit-def: $vgpr144_vgpr145
	s_and_saveexec_b64 s[10:11], s[2:3]
	s_xor_b64 s[2:3], exec, s[10:11]
                                        ; implicit-def: $vgpr146_vgpr147
	s_cbranch_execz .LBB69_167
; %bb.166:
	v_div_scale_f64 v[144:145], s[10:11], v[142:143], v[142:143], v[140:141]
	v_rcp_f64_e32 v[146:147], v[144:145]
	v_div_scale_f64 v[148:149], vcc, v[140:141], v[142:143], v[140:141]
	v_fma_f64 v[150:151], -v[144:145], v[146:147], 1.0
	v_fmac_f64_e32 v[146:147], v[146:147], v[150:151]
	v_fma_f64 v[150:151], -v[144:145], v[146:147], 1.0
	v_fmac_f64_e32 v[146:147], v[146:147], v[150:151]
	v_mul_f64 v[150:151], v[148:149], v[146:147]
	v_fma_f64 v[144:145], -v[144:145], v[150:151], v[148:149]
	v_div_fmas_f64 v[144:145], v[144:145], v[146:147], v[150:151]
	v_div_fixup_f64 v[144:145], v[144:145], v[142:143], v[140:141]
	v_fmac_f64_e32 v[142:143], v[140:141], v[144:145]
	v_div_scale_f64 v[140:141], s[10:11], v[142:143], v[142:143], 1.0
	v_rcp_f64_e32 v[146:147], v[140:141]
	s_nop 0
	v_fma_f64 v[148:149], -v[140:141], v[146:147], 1.0
	v_fmac_f64_e32 v[146:147], v[146:147], v[148:149]
	v_fma_f64 v[148:149], -v[140:141], v[146:147], 1.0
	v_fmac_f64_e32 v[146:147], v[146:147], v[148:149]
	v_div_scale_f64 v[148:149], vcc, 1.0, v[142:143], 1.0
	v_mul_f64 v[150:151], v[148:149], v[146:147]
	v_fma_f64 v[140:141], -v[140:141], v[150:151], v[148:149]
	s_nop 1
	v_div_fmas_f64 v[140:141], v[140:141], v[146:147], v[150:151]
	v_div_fixup_f64 v[146:147], v[140:141], v[142:143], 1.0
	v_mul_f64 v[144:145], v[144:145], v[146:147]
	v_xor_b32_e32 v147, 0x80000000, v147
                                        ; implicit-def: $vgpr140_vgpr141
.LBB69_167:
	s_andn2_saveexec_b64 s[2:3], s[2:3]
	s_cbranch_execz .LBB69_169
; %bb.168:
	v_div_scale_f64 v[144:145], s[10:11], v[140:141], v[140:141], v[142:143]
	v_rcp_f64_e32 v[146:147], v[144:145]
	v_div_scale_f64 v[148:149], vcc, v[142:143], v[140:141], v[142:143]
	v_fma_f64 v[150:151], -v[144:145], v[146:147], 1.0
	v_fmac_f64_e32 v[146:147], v[146:147], v[150:151]
	v_fma_f64 v[150:151], -v[144:145], v[146:147], 1.0
	v_fmac_f64_e32 v[146:147], v[146:147], v[150:151]
	v_mul_f64 v[150:151], v[148:149], v[146:147]
	v_fma_f64 v[144:145], -v[144:145], v[150:151], v[148:149]
	v_div_fmas_f64 v[144:145], v[144:145], v[146:147], v[150:151]
	v_div_fixup_f64 v[146:147], v[144:145], v[140:141], v[142:143]
	v_fmac_f64_e32 v[140:141], v[142:143], v[146:147]
	v_div_scale_f64 v[142:143], s[10:11], v[140:141], v[140:141], 1.0
	v_rcp_f64_e32 v[144:145], v[142:143]
	s_nop 0
	v_fma_f64 v[148:149], -v[142:143], v[144:145], 1.0
	v_fmac_f64_e32 v[144:145], v[144:145], v[148:149]
	v_fma_f64 v[148:149], -v[142:143], v[144:145], 1.0
	v_fmac_f64_e32 v[144:145], v[144:145], v[148:149]
	v_div_scale_f64 v[148:149], vcc, 1.0, v[140:141], 1.0
	v_mul_f64 v[150:151], v[148:149], v[144:145]
	v_fma_f64 v[142:143], -v[142:143], v[150:151], v[148:149]
	s_nop 1
	v_div_fmas_f64 v[142:143], v[142:143], v[144:145], v[150:151]
	v_div_fixup_f64 v[144:145], v[142:143], v[140:141], 1.0
	v_mul_f64 v[146:147], v[146:147], -v[144:145]
.LBB69_169:
	s_or_b64 exec, exec, s[2:3]
	ds_write2_b64 v167, v[144:145], v[146:147] offset1:1
.LBB69_170:
	s_or_b64 exec, exec, s[4:5]
	s_waitcnt lgkmcnt(0)
	s_barrier
	ds_read2_b64 v[140:143], v167 offset1:1
	v_cmp_lt_u32_e32 vcc, 18, v166
	s_waitcnt lgkmcnt(0)
	scratch_store_dwordx4 off, v[140:143], off offset:232 ; 16-byte Folded Spill
	s_and_saveexec_b64 s[2:3], vcc
	s_cbranch_execz .LBB69_172
; %bb.171:
	scratch_load_dwordx4 v[142:145], off, off offset:232 ; 16-byte Folded Reload
	s_waitcnt vmcnt(0)
	v_mul_f64 v[140:141], v[142:143], v[254:255]
	v_mul_f64 v[62:63], v[144:145], v[254:255]
	v_fmac_f64_e32 v[140:141], v[144:145], v[252:253]
	v_fma_f64 v[252:253], v[142:143], v[252:253], -v[62:63]
	ds_read2_b64 v[142:145], v168 offset0:38 offset1:39
	v_mov_b64_e32 v[254:255], v[140:141]
	s_waitcnt lgkmcnt(0)
	v_mul_f64 v[62:63], v[144:145], v[140:141]
	v_fma_f64 v[62:63], v[142:143], v[252:253], -v[62:63]
	v_mul_f64 v[142:143], v[142:143], v[140:141]
	v_fmac_f64_e32 v[142:143], v[144:145], v[252:253]
	v_add_f64 v[58:59], v[58:59], -v[142:143]
	ds_read2_b64 v[142:145], v168 offset0:40 offset1:41
	v_add_f64 v[56:57], v[56:57], -v[62:63]
	s_waitcnt lgkmcnt(0)
	v_mul_f64 v[62:63], v[144:145], v[140:141]
	v_fma_f64 v[62:63], v[142:143], v[252:253], -v[62:63]
	v_mul_f64 v[142:143], v[142:143], v[140:141]
	v_fmac_f64_e32 v[142:143], v[144:145], v[252:253]
	v_add_f64 v[54:55], v[54:55], -v[142:143]
	ds_read2_b64 v[142:145], v168 offset0:42 offset1:43
	v_add_f64 v[52:53], v[52:53], -v[62:63]
	;; [unrolled: 8-line block ×15, first 2 shown]
	s_waitcnt lgkmcnt(0)
	v_mul_f64 v[62:63], v[144:145], v[140:141]
	v_fma_f64 v[62:63], v[142:143], v[252:253], -v[62:63]
	v_mul_f64 v[142:143], v[142:143], v[140:141]
	v_fmac_f64_e32 v[142:143], v[144:145], v[252:253]
	v_add_f64 v[136:137], v[136:137], -v[62:63]
	v_add_f64 v[138:139], v[138:139], -v[142:143]
.LBB69_172:
	s_or_b64 exec, exec, s[2:3]
	v_cmp_eq_u32_e32 vcc, 19, v166
	s_barrier
	s_and_saveexec_b64 s[4:5], vcc
	s_cbranch_execz .LBB69_179
; %bb.173:
	s_waitcnt vmcnt(30)
	ds_write2_b64 v167, v[56:57], v[58:59] offset1:1
	s_waitcnt vmcnt(29)
	ds_write2_b64 v168, v[52:53], v[54:55] offset0:40 offset1:41
	s_waitcnt vmcnt(28)
	ds_write2_b64 v168, v[48:49], v[50:51] offset0:42 offset1:43
	;; [unrolled: 2-line block ×15, first 2 shown]
	ds_read2_b64 v[140:143], v167 offset1:1
	s_waitcnt lgkmcnt(0)
	v_cmp_neq_f64_e32 vcc, 0, v[140:141]
	v_cmp_neq_f64_e64 s[2:3], 0, v[142:143]
	s_or_b64 s[2:3], vcc, s[2:3]
	s_and_b64 exec, exec, s[2:3]
	s_cbranch_execz .LBB69_179
; %bb.174:
	v_cmp_ngt_f64_e64 s[2:3], |v[140:141]|, |v[142:143]|
                                        ; implicit-def: $vgpr144_vgpr145
	s_and_saveexec_b64 s[10:11], s[2:3]
	s_xor_b64 s[2:3], exec, s[10:11]
                                        ; implicit-def: $vgpr146_vgpr147
	s_cbranch_execz .LBB69_176
; %bb.175:
	v_div_scale_f64 v[144:145], s[10:11], v[142:143], v[142:143], v[140:141]
	v_rcp_f64_e32 v[146:147], v[144:145]
	v_div_scale_f64 v[148:149], vcc, v[140:141], v[142:143], v[140:141]
	v_fma_f64 v[150:151], -v[144:145], v[146:147], 1.0
	v_fmac_f64_e32 v[146:147], v[146:147], v[150:151]
	v_fma_f64 v[150:151], -v[144:145], v[146:147], 1.0
	v_fmac_f64_e32 v[146:147], v[146:147], v[150:151]
	v_mul_f64 v[150:151], v[148:149], v[146:147]
	v_fma_f64 v[144:145], -v[144:145], v[150:151], v[148:149]
	v_div_fmas_f64 v[144:145], v[144:145], v[146:147], v[150:151]
	v_div_fixup_f64 v[144:145], v[144:145], v[142:143], v[140:141]
	v_fmac_f64_e32 v[142:143], v[140:141], v[144:145]
	v_div_scale_f64 v[140:141], s[10:11], v[142:143], v[142:143], 1.0
	v_rcp_f64_e32 v[146:147], v[140:141]
	s_nop 0
	v_fma_f64 v[148:149], -v[140:141], v[146:147], 1.0
	v_fmac_f64_e32 v[146:147], v[146:147], v[148:149]
	v_fma_f64 v[148:149], -v[140:141], v[146:147], 1.0
	v_fmac_f64_e32 v[146:147], v[146:147], v[148:149]
	v_div_scale_f64 v[148:149], vcc, 1.0, v[142:143], 1.0
	v_mul_f64 v[150:151], v[148:149], v[146:147]
	v_fma_f64 v[140:141], -v[140:141], v[150:151], v[148:149]
	s_nop 1
	v_div_fmas_f64 v[140:141], v[140:141], v[146:147], v[150:151]
	v_div_fixup_f64 v[146:147], v[140:141], v[142:143], 1.0
	v_mul_f64 v[144:145], v[144:145], v[146:147]
	v_xor_b32_e32 v147, 0x80000000, v147
                                        ; implicit-def: $vgpr140_vgpr141
.LBB69_176:
	s_andn2_saveexec_b64 s[2:3], s[2:3]
	s_cbranch_execz .LBB69_178
; %bb.177:
	v_div_scale_f64 v[144:145], s[10:11], v[140:141], v[140:141], v[142:143]
	v_rcp_f64_e32 v[146:147], v[144:145]
	v_div_scale_f64 v[148:149], vcc, v[142:143], v[140:141], v[142:143]
	v_fma_f64 v[150:151], -v[144:145], v[146:147], 1.0
	v_fmac_f64_e32 v[146:147], v[146:147], v[150:151]
	v_fma_f64 v[150:151], -v[144:145], v[146:147], 1.0
	v_fmac_f64_e32 v[146:147], v[146:147], v[150:151]
	v_mul_f64 v[150:151], v[148:149], v[146:147]
	v_fma_f64 v[144:145], -v[144:145], v[150:151], v[148:149]
	v_div_fmas_f64 v[144:145], v[144:145], v[146:147], v[150:151]
	v_div_fixup_f64 v[146:147], v[144:145], v[140:141], v[142:143]
	v_fmac_f64_e32 v[140:141], v[142:143], v[146:147]
	v_div_scale_f64 v[142:143], s[10:11], v[140:141], v[140:141], 1.0
	v_rcp_f64_e32 v[144:145], v[142:143]
	s_nop 0
	v_fma_f64 v[148:149], -v[142:143], v[144:145], 1.0
	v_fmac_f64_e32 v[144:145], v[144:145], v[148:149]
	v_fma_f64 v[148:149], -v[142:143], v[144:145], 1.0
	v_fmac_f64_e32 v[144:145], v[144:145], v[148:149]
	v_div_scale_f64 v[148:149], vcc, 1.0, v[140:141], 1.0
	v_mul_f64 v[150:151], v[148:149], v[144:145]
	v_fma_f64 v[142:143], -v[142:143], v[150:151], v[148:149]
	s_nop 1
	v_div_fmas_f64 v[142:143], v[142:143], v[144:145], v[150:151]
	v_div_fixup_f64 v[144:145], v[142:143], v[140:141], 1.0
	v_mul_f64 v[146:147], v[146:147], -v[144:145]
.LBB69_178:
	s_or_b64 exec, exec, s[2:3]
	ds_write2_b64 v167, v[144:145], v[146:147] offset1:1
.LBB69_179:
	s_or_b64 exec, exec, s[4:5]
	s_waitcnt lgkmcnt(0)
	s_barrier
	ds_read2_b64 v[140:143], v167 offset1:1
	v_cmp_lt_u32_e32 vcc, 19, v166
	s_waitcnt lgkmcnt(0)
	scratch_store_dwordx4 off, v[140:143], off offset:248 ; 16-byte Folded Spill
	s_and_saveexec_b64 s[2:3], vcc
	s_cbranch_execz .LBB69_181
; %bb.180:
	scratch_load_dwordx4 v[142:145], off, off offset:248 ; 16-byte Folded Reload
	s_waitcnt vmcnt(0)
	v_mul_f64 v[140:141], v[142:143], v[58:59]
	v_mul_f64 v[58:59], v[144:145], v[58:59]
	v_fmac_f64_e32 v[140:141], v[144:145], v[56:57]
	v_fma_f64 v[56:57], v[142:143], v[56:57], -v[58:59]
	ds_read2_b64 v[142:145], v168 offset0:40 offset1:41
	s_waitcnt lgkmcnt(0)
	v_mul_f64 v[58:59], v[144:145], v[140:141]
	v_fma_f64 v[58:59], v[142:143], v[56:57], -v[58:59]
	v_mul_f64 v[142:143], v[142:143], v[140:141]
	v_fmac_f64_e32 v[142:143], v[144:145], v[56:57]
	v_add_f64 v[54:55], v[54:55], -v[142:143]
	ds_read2_b64 v[142:145], v168 offset0:42 offset1:43
	v_add_f64 v[52:53], v[52:53], -v[58:59]
	s_waitcnt lgkmcnt(0)
	v_mul_f64 v[58:59], v[144:145], v[140:141]
	v_fma_f64 v[58:59], v[142:143], v[56:57], -v[58:59]
	v_mul_f64 v[142:143], v[142:143], v[140:141]
	v_fmac_f64_e32 v[142:143], v[144:145], v[56:57]
	v_add_f64 v[50:51], v[50:51], -v[142:143]
	ds_read2_b64 v[142:145], v168 offset0:44 offset1:45
	v_add_f64 v[48:49], v[48:49], -v[58:59]
	;; [unrolled: 8-line block ×14, first 2 shown]
	s_waitcnt lgkmcnt(0)
	v_mul_f64 v[58:59], v[144:145], v[140:141]
	v_fma_f64 v[58:59], v[142:143], v[56:57], -v[58:59]
	v_mul_f64 v[142:143], v[142:143], v[140:141]
	v_fmac_f64_e32 v[142:143], v[144:145], v[56:57]
	v_add_f64 v[136:137], v[136:137], -v[58:59]
	v_add_f64 v[138:139], v[138:139], -v[142:143]
	v_mov_b64_e32 v[58:59], v[140:141]
.LBB69_181:
	s_or_b64 exec, exec, s[2:3]
	v_cmp_eq_u32_e32 vcc, 20, v166
	s_barrier
	s_and_saveexec_b64 s[4:5], vcc
	s_cbranch_execz .LBB69_188
; %bb.182:
	s_waitcnt vmcnt(30)
	ds_write2_b64 v167, v[52:53], v[54:55] offset1:1
	s_waitcnt vmcnt(29)
	ds_write2_b64 v168, v[48:49], v[50:51] offset0:42 offset1:43
	s_waitcnt vmcnt(28)
	ds_write2_b64 v168, v[44:45], v[46:47] offset0:44 offset1:45
	;; [unrolled: 2-line block ×14, first 2 shown]
	ds_read2_b64 v[140:143], v167 offset1:1
	s_waitcnt lgkmcnt(0)
	v_cmp_neq_f64_e32 vcc, 0, v[140:141]
	v_cmp_neq_f64_e64 s[2:3], 0, v[142:143]
	s_or_b64 s[2:3], vcc, s[2:3]
	s_and_b64 exec, exec, s[2:3]
	s_cbranch_execz .LBB69_188
; %bb.183:
	v_cmp_ngt_f64_e64 s[2:3], |v[140:141]|, |v[142:143]|
                                        ; implicit-def: $vgpr144_vgpr145
	s_and_saveexec_b64 s[10:11], s[2:3]
	s_xor_b64 s[2:3], exec, s[10:11]
                                        ; implicit-def: $vgpr146_vgpr147
	s_cbranch_execz .LBB69_185
; %bb.184:
	v_div_scale_f64 v[144:145], s[10:11], v[142:143], v[142:143], v[140:141]
	v_rcp_f64_e32 v[146:147], v[144:145]
	v_div_scale_f64 v[148:149], vcc, v[140:141], v[142:143], v[140:141]
	v_fma_f64 v[150:151], -v[144:145], v[146:147], 1.0
	v_fmac_f64_e32 v[146:147], v[146:147], v[150:151]
	v_fma_f64 v[150:151], -v[144:145], v[146:147], 1.0
	v_fmac_f64_e32 v[146:147], v[146:147], v[150:151]
	v_mul_f64 v[150:151], v[148:149], v[146:147]
	v_fma_f64 v[144:145], -v[144:145], v[150:151], v[148:149]
	v_div_fmas_f64 v[144:145], v[144:145], v[146:147], v[150:151]
	v_div_fixup_f64 v[144:145], v[144:145], v[142:143], v[140:141]
	v_fmac_f64_e32 v[142:143], v[140:141], v[144:145]
	v_div_scale_f64 v[140:141], s[10:11], v[142:143], v[142:143], 1.0
	v_rcp_f64_e32 v[146:147], v[140:141]
	s_nop 0
	v_fma_f64 v[148:149], -v[140:141], v[146:147], 1.0
	v_fmac_f64_e32 v[146:147], v[146:147], v[148:149]
	v_fma_f64 v[148:149], -v[140:141], v[146:147], 1.0
	v_fmac_f64_e32 v[146:147], v[146:147], v[148:149]
	v_div_scale_f64 v[148:149], vcc, 1.0, v[142:143], 1.0
	v_mul_f64 v[150:151], v[148:149], v[146:147]
	v_fma_f64 v[140:141], -v[140:141], v[150:151], v[148:149]
	s_nop 1
	v_div_fmas_f64 v[140:141], v[140:141], v[146:147], v[150:151]
	v_div_fixup_f64 v[146:147], v[140:141], v[142:143], 1.0
	v_mul_f64 v[144:145], v[144:145], v[146:147]
	v_xor_b32_e32 v147, 0x80000000, v147
                                        ; implicit-def: $vgpr140_vgpr141
.LBB69_185:
	s_andn2_saveexec_b64 s[2:3], s[2:3]
	s_cbranch_execz .LBB69_187
; %bb.186:
	v_div_scale_f64 v[144:145], s[10:11], v[140:141], v[140:141], v[142:143]
	v_rcp_f64_e32 v[146:147], v[144:145]
	v_div_scale_f64 v[148:149], vcc, v[142:143], v[140:141], v[142:143]
	v_fma_f64 v[150:151], -v[144:145], v[146:147], 1.0
	v_fmac_f64_e32 v[146:147], v[146:147], v[150:151]
	v_fma_f64 v[150:151], -v[144:145], v[146:147], 1.0
	v_fmac_f64_e32 v[146:147], v[146:147], v[150:151]
	v_mul_f64 v[150:151], v[148:149], v[146:147]
	v_fma_f64 v[144:145], -v[144:145], v[150:151], v[148:149]
	v_div_fmas_f64 v[144:145], v[144:145], v[146:147], v[150:151]
	v_div_fixup_f64 v[146:147], v[144:145], v[140:141], v[142:143]
	v_fmac_f64_e32 v[140:141], v[142:143], v[146:147]
	v_div_scale_f64 v[142:143], s[10:11], v[140:141], v[140:141], 1.0
	v_rcp_f64_e32 v[144:145], v[142:143]
	s_nop 0
	v_fma_f64 v[148:149], -v[142:143], v[144:145], 1.0
	v_fmac_f64_e32 v[144:145], v[144:145], v[148:149]
	v_fma_f64 v[148:149], -v[142:143], v[144:145], 1.0
	v_fmac_f64_e32 v[144:145], v[144:145], v[148:149]
	v_div_scale_f64 v[148:149], vcc, 1.0, v[140:141], 1.0
	v_mul_f64 v[150:151], v[148:149], v[144:145]
	v_fma_f64 v[142:143], -v[142:143], v[150:151], v[148:149]
	s_nop 1
	v_div_fmas_f64 v[142:143], v[142:143], v[144:145], v[150:151]
	v_div_fixup_f64 v[144:145], v[142:143], v[140:141], 1.0
	v_mul_f64 v[146:147], v[146:147], -v[144:145]
.LBB69_187:
	s_or_b64 exec, exec, s[2:3]
	ds_write2_b64 v167, v[144:145], v[146:147] offset1:1
.LBB69_188:
	s_or_b64 exec, exec, s[4:5]
	s_waitcnt lgkmcnt(0)
	s_barrier
	ds_read2_b64 v[140:143], v167 offset1:1
	v_cmp_lt_u32_e32 vcc, 20, v166
	s_waitcnt lgkmcnt(0)
	scratch_store_dwordx4 off, v[140:143], off offset:264 ; 16-byte Folded Spill
	s_and_saveexec_b64 s[2:3], vcc
	s_cbranch_execz .LBB69_190
; %bb.189:
	scratch_load_dwordx4 v[142:145], off, off offset:264 ; 16-byte Folded Reload
	s_waitcnt vmcnt(0)
	v_mul_f64 v[140:141], v[142:143], v[54:55]
	v_mul_f64 v[54:55], v[144:145], v[54:55]
	v_fmac_f64_e32 v[140:141], v[144:145], v[52:53]
	v_fma_f64 v[52:53], v[142:143], v[52:53], -v[54:55]
	ds_read2_b64 v[142:145], v168 offset0:42 offset1:43
	s_waitcnt lgkmcnt(0)
	v_mul_f64 v[54:55], v[144:145], v[140:141]
	v_fma_f64 v[54:55], v[142:143], v[52:53], -v[54:55]
	v_mul_f64 v[142:143], v[142:143], v[140:141]
	v_fmac_f64_e32 v[142:143], v[144:145], v[52:53]
	v_add_f64 v[50:51], v[50:51], -v[142:143]
	ds_read2_b64 v[142:145], v168 offset0:44 offset1:45
	v_add_f64 v[48:49], v[48:49], -v[54:55]
	s_waitcnt lgkmcnt(0)
	v_mul_f64 v[54:55], v[144:145], v[140:141]
	v_fma_f64 v[54:55], v[142:143], v[52:53], -v[54:55]
	v_mul_f64 v[142:143], v[142:143], v[140:141]
	v_fmac_f64_e32 v[142:143], v[144:145], v[52:53]
	v_add_f64 v[46:47], v[46:47], -v[142:143]
	ds_read2_b64 v[142:145], v168 offset0:46 offset1:47
	v_add_f64 v[44:45], v[44:45], -v[54:55]
	;; [unrolled: 8-line block ×13, first 2 shown]
	s_waitcnt lgkmcnt(0)
	v_mul_f64 v[54:55], v[144:145], v[140:141]
	v_fma_f64 v[54:55], v[142:143], v[52:53], -v[54:55]
	v_mul_f64 v[142:143], v[142:143], v[140:141]
	v_fmac_f64_e32 v[142:143], v[144:145], v[52:53]
	v_add_f64 v[136:137], v[136:137], -v[54:55]
	v_add_f64 v[138:139], v[138:139], -v[142:143]
	v_mov_b64_e32 v[54:55], v[140:141]
.LBB69_190:
	s_or_b64 exec, exec, s[2:3]
	v_cmp_eq_u32_e32 vcc, 21, v166
	s_barrier
	s_and_saveexec_b64 s[4:5], vcc
	s_cbranch_execz .LBB69_197
; %bb.191:
	s_waitcnt vmcnt(30)
	ds_write2_b64 v167, v[48:49], v[50:51] offset1:1
	s_waitcnt vmcnt(29)
	ds_write2_b64 v168, v[44:45], v[46:47] offset0:44 offset1:45
	s_waitcnt vmcnt(28)
	ds_write2_b64 v168, v[40:41], v[42:43] offset0:46 offset1:47
	;; [unrolled: 2-line block ×13, first 2 shown]
	ds_read2_b64 v[140:143], v167 offset1:1
	s_waitcnt lgkmcnt(0)
	v_cmp_neq_f64_e32 vcc, 0, v[140:141]
	v_cmp_neq_f64_e64 s[2:3], 0, v[142:143]
	s_or_b64 s[2:3], vcc, s[2:3]
	s_and_b64 exec, exec, s[2:3]
	s_cbranch_execz .LBB69_197
; %bb.192:
	v_cmp_ngt_f64_e64 s[2:3], |v[140:141]|, |v[142:143]|
                                        ; implicit-def: $vgpr144_vgpr145
	s_and_saveexec_b64 s[10:11], s[2:3]
	s_xor_b64 s[2:3], exec, s[10:11]
                                        ; implicit-def: $vgpr146_vgpr147
	s_cbranch_execz .LBB69_194
; %bb.193:
	v_div_scale_f64 v[144:145], s[10:11], v[142:143], v[142:143], v[140:141]
	v_rcp_f64_e32 v[146:147], v[144:145]
	v_div_scale_f64 v[148:149], vcc, v[140:141], v[142:143], v[140:141]
	v_fma_f64 v[150:151], -v[144:145], v[146:147], 1.0
	v_fmac_f64_e32 v[146:147], v[146:147], v[150:151]
	v_fma_f64 v[150:151], -v[144:145], v[146:147], 1.0
	v_fmac_f64_e32 v[146:147], v[146:147], v[150:151]
	v_mul_f64 v[150:151], v[148:149], v[146:147]
	v_fma_f64 v[144:145], -v[144:145], v[150:151], v[148:149]
	v_div_fmas_f64 v[144:145], v[144:145], v[146:147], v[150:151]
	v_div_fixup_f64 v[144:145], v[144:145], v[142:143], v[140:141]
	v_fmac_f64_e32 v[142:143], v[140:141], v[144:145]
	v_div_scale_f64 v[140:141], s[10:11], v[142:143], v[142:143], 1.0
	v_rcp_f64_e32 v[146:147], v[140:141]
	s_nop 0
	v_fma_f64 v[148:149], -v[140:141], v[146:147], 1.0
	v_fmac_f64_e32 v[146:147], v[146:147], v[148:149]
	v_fma_f64 v[148:149], -v[140:141], v[146:147], 1.0
	v_fmac_f64_e32 v[146:147], v[146:147], v[148:149]
	v_div_scale_f64 v[148:149], vcc, 1.0, v[142:143], 1.0
	v_mul_f64 v[150:151], v[148:149], v[146:147]
	v_fma_f64 v[140:141], -v[140:141], v[150:151], v[148:149]
	s_nop 1
	v_div_fmas_f64 v[140:141], v[140:141], v[146:147], v[150:151]
	v_div_fixup_f64 v[146:147], v[140:141], v[142:143], 1.0
	v_mul_f64 v[144:145], v[144:145], v[146:147]
	v_xor_b32_e32 v147, 0x80000000, v147
                                        ; implicit-def: $vgpr140_vgpr141
.LBB69_194:
	s_andn2_saveexec_b64 s[2:3], s[2:3]
	s_cbranch_execz .LBB69_196
; %bb.195:
	v_div_scale_f64 v[144:145], s[10:11], v[140:141], v[140:141], v[142:143]
	v_rcp_f64_e32 v[146:147], v[144:145]
	v_div_scale_f64 v[148:149], vcc, v[142:143], v[140:141], v[142:143]
	v_fma_f64 v[150:151], -v[144:145], v[146:147], 1.0
	v_fmac_f64_e32 v[146:147], v[146:147], v[150:151]
	v_fma_f64 v[150:151], -v[144:145], v[146:147], 1.0
	v_fmac_f64_e32 v[146:147], v[146:147], v[150:151]
	v_mul_f64 v[150:151], v[148:149], v[146:147]
	v_fma_f64 v[144:145], -v[144:145], v[150:151], v[148:149]
	v_div_fmas_f64 v[144:145], v[144:145], v[146:147], v[150:151]
	v_div_fixup_f64 v[146:147], v[144:145], v[140:141], v[142:143]
	v_fmac_f64_e32 v[140:141], v[142:143], v[146:147]
	v_div_scale_f64 v[142:143], s[10:11], v[140:141], v[140:141], 1.0
	v_rcp_f64_e32 v[144:145], v[142:143]
	s_nop 0
	v_fma_f64 v[148:149], -v[142:143], v[144:145], 1.0
	v_fmac_f64_e32 v[144:145], v[144:145], v[148:149]
	v_fma_f64 v[148:149], -v[142:143], v[144:145], 1.0
	v_fmac_f64_e32 v[144:145], v[144:145], v[148:149]
	v_div_scale_f64 v[148:149], vcc, 1.0, v[140:141], 1.0
	v_mul_f64 v[150:151], v[148:149], v[144:145]
	v_fma_f64 v[142:143], -v[142:143], v[150:151], v[148:149]
	s_nop 1
	v_div_fmas_f64 v[142:143], v[142:143], v[144:145], v[150:151]
	v_div_fixup_f64 v[144:145], v[142:143], v[140:141], 1.0
	v_mul_f64 v[146:147], v[146:147], -v[144:145]
.LBB69_196:
	s_or_b64 exec, exec, s[2:3]
	ds_write2_b64 v167, v[144:145], v[146:147] offset1:1
.LBB69_197:
	s_or_b64 exec, exec, s[4:5]
	s_waitcnt lgkmcnt(0)
	s_barrier
	ds_read2_b64 v[140:143], v167 offset1:1
	v_cmp_lt_u32_e32 vcc, 21, v166
	s_waitcnt lgkmcnt(0)
	scratch_store_dwordx4 off, v[140:143], off offset:280 ; 16-byte Folded Spill
	s_and_saveexec_b64 s[2:3], vcc
	s_cbranch_execz .LBB69_199
; %bb.198:
	scratch_load_dwordx4 v[142:145], off, off offset:280 ; 16-byte Folded Reload
	s_waitcnt vmcnt(0)
	v_mul_f64 v[140:141], v[142:143], v[50:51]
	v_mul_f64 v[50:51], v[144:145], v[50:51]
	v_fmac_f64_e32 v[140:141], v[144:145], v[48:49]
	v_fma_f64 v[48:49], v[142:143], v[48:49], -v[50:51]
	ds_read2_b64 v[142:145], v168 offset0:44 offset1:45
	s_waitcnt lgkmcnt(0)
	v_mul_f64 v[50:51], v[144:145], v[140:141]
	v_fma_f64 v[50:51], v[142:143], v[48:49], -v[50:51]
	v_mul_f64 v[142:143], v[142:143], v[140:141]
	v_fmac_f64_e32 v[142:143], v[144:145], v[48:49]
	v_add_f64 v[46:47], v[46:47], -v[142:143]
	ds_read2_b64 v[142:145], v168 offset0:46 offset1:47
	v_add_f64 v[44:45], v[44:45], -v[50:51]
	s_waitcnt lgkmcnt(0)
	v_mul_f64 v[50:51], v[144:145], v[140:141]
	v_fma_f64 v[50:51], v[142:143], v[48:49], -v[50:51]
	v_mul_f64 v[142:143], v[142:143], v[140:141]
	v_fmac_f64_e32 v[142:143], v[144:145], v[48:49]
	v_add_f64 v[42:43], v[42:43], -v[142:143]
	ds_read2_b64 v[142:145], v168 offset0:48 offset1:49
	v_add_f64 v[40:41], v[40:41], -v[50:51]
	;; [unrolled: 8-line block ×12, first 2 shown]
	s_waitcnt lgkmcnt(0)
	v_mul_f64 v[50:51], v[144:145], v[140:141]
	v_fma_f64 v[50:51], v[142:143], v[48:49], -v[50:51]
	v_mul_f64 v[142:143], v[142:143], v[140:141]
	v_fmac_f64_e32 v[142:143], v[144:145], v[48:49]
	v_add_f64 v[136:137], v[136:137], -v[50:51]
	v_add_f64 v[138:139], v[138:139], -v[142:143]
	v_mov_b64_e32 v[50:51], v[140:141]
.LBB69_199:
	s_or_b64 exec, exec, s[2:3]
	v_cmp_eq_u32_e32 vcc, 22, v166
	s_barrier
	s_and_saveexec_b64 s[4:5], vcc
	s_cbranch_execz .LBB69_206
; %bb.200:
	s_waitcnt vmcnt(30)
	ds_write2_b64 v167, v[44:45], v[46:47] offset1:1
	s_waitcnt vmcnt(29)
	ds_write2_b64 v168, v[40:41], v[42:43] offset0:46 offset1:47
	s_waitcnt vmcnt(28)
	ds_write2_b64 v168, v[36:37], v[38:39] offset0:48 offset1:49
	;; [unrolled: 2-line block ×12, first 2 shown]
	ds_read2_b64 v[140:143], v167 offset1:1
	s_waitcnt lgkmcnt(0)
	v_cmp_neq_f64_e32 vcc, 0, v[140:141]
	v_cmp_neq_f64_e64 s[2:3], 0, v[142:143]
	s_or_b64 s[2:3], vcc, s[2:3]
	s_and_b64 exec, exec, s[2:3]
	s_cbranch_execz .LBB69_206
; %bb.201:
	v_cmp_ngt_f64_e64 s[2:3], |v[140:141]|, |v[142:143]|
                                        ; implicit-def: $vgpr144_vgpr145
	s_and_saveexec_b64 s[10:11], s[2:3]
	s_xor_b64 s[2:3], exec, s[10:11]
                                        ; implicit-def: $vgpr146_vgpr147
	s_cbranch_execz .LBB69_203
; %bb.202:
	v_div_scale_f64 v[144:145], s[10:11], v[142:143], v[142:143], v[140:141]
	v_rcp_f64_e32 v[146:147], v[144:145]
	v_div_scale_f64 v[148:149], vcc, v[140:141], v[142:143], v[140:141]
	v_fma_f64 v[150:151], -v[144:145], v[146:147], 1.0
	v_fmac_f64_e32 v[146:147], v[146:147], v[150:151]
	v_fma_f64 v[150:151], -v[144:145], v[146:147], 1.0
	v_fmac_f64_e32 v[146:147], v[146:147], v[150:151]
	v_mul_f64 v[150:151], v[148:149], v[146:147]
	v_fma_f64 v[144:145], -v[144:145], v[150:151], v[148:149]
	v_div_fmas_f64 v[144:145], v[144:145], v[146:147], v[150:151]
	v_div_fixup_f64 v[144:145], v[144:145], v[142:143], v[140:141]
	v_fmac_f64_e32 v[142:143], v[140:141], v[144:145]
	v_div_scale_f64 v[140:141], s[10:11], v[142:143], v[142:143], 1.0
	v_rcp_f64_e32 v[146:147], v[140:141]
	s_nop 0
	v_fma_f64 v[148:149], -v[140:141], v[146:147], 1.0
	v_fmac_f64_e32 v[146:147], v[146:147], v[148:149]
	v_fma_f64 v[148:149], -v[140:141], v[146:147], 1.0
	v_fmac_f64_e32 v[146:147], v[146:147], v[148:149]
	v_div_scale_f64 v[148:149], vcc, 1.0, v[142:143], 1.0
	v_mul_f64 v[150:151], v[148:149], v[146:147]
	v_fma_f64 v[140:141], -v[140:141], v[150:151], v[148:149]
	s_nop 1
	v_div_fmas_f64 v[140:141], v[140:141], v[146:147], v[150:151]
	v_div_fixup_f64 v[146:147], v[140:141], v[142:143], 1.0
	v_mul_f64 v[144:145], v[144:145], v[146:147]
	v_xor_b32_e32 v147, 0x80000000, v147
                                        ; implicit-def: $vgpr140_vgpr141
.LBB69_203:
	s_andn2_saveexec_b64 s[2:3], s[2:3]
	s_cbranch_execz .LBB69_205
; %bb.204:
	v_div_scale_f64 v[144:145], s[10:11], v[140:141], v[140:141], v[142:143]
	v_rcp_f64_e32 v[146:147], v[144:145]
	v_div_scale_f64 v[148:149], vcc, v[142:143], v[140:141], v[142:143]
	v_fma_f64 v[150:151], -v[144:145], v[146:147], 1.0
	v_fmac_f64_e32 v[146:147], v[146:147], v[150:151]
	v_fma_f64 v[150:151], -v[144:145], v[146:147], 1.0
	v_fmac_f64_e32 v[146:147], v[146:147], v[150:151]
	v_mul_f64 v[150:151], v[148:149], v[146:147]
	v_fma_f64 v[144:145], -v[144:145], v[150:151], v[148:149]
	v_div_fmas_f64 v[144:145], v[144:145], v[146:147], v[150:151]
	v_div_fixup_f64 v[146:147], v[144:145], v[140:141], v[142:143]
	v_fmac_f64_e32 v[140:141], v[142:143], v[146:147]
	v_div_scale_f64 v[142:143], s[10:11], v[140:141], v[140:141], 1.0
	v_rcp_f64_e32 v[144:145], v[142:143]
	s_nop 0
	v_fma_f64 v[148:149], -v[142:143], v[144:145], 1.0
	v_fmac_f64_e32 v[144:145], v[144:145], v[148:149]
	v_fma_f64 v[148:149], -v[142:143], v[144:145], 1.0
	v_fmac_f64_e32 v[144:145], v[144:145], v[148:149]
	v_div_scale_f64 v[148:149], vcc, 1.0, v[140:141], 1.0
	v_mul_f64 v[150:151], v[148:149], v[144:145]
	v_fma_f64 v[142:143], -v[142:143], v[150:151], v[148:149]
	s_nop 1
	v_div_fmas_f64 v[142:143], v[142:143], v[144:145], v[150:151]
	v_div_fixup_f64 v[144:145], v[142:143], v[140:141], 1.0
	v_mul_f64 v[146:147], v[146:147], -v[144:145]
.LBB69_205:
	s_or_b64 exec, exec, s[2:3]
	ds_write2_b64 v167, v[144:145], v[146:147] offset1:1
.LBB69_206:
	s_or_b64 exec, exec, s[4:5]
	s_waitcnt lgkmcnt(0)
	s_barrier
	ds_read2_b64 v[140:143], v167 offset1:1
	v_cmp_lt_u32_e32 vcc, 22, v166
	s_waitcnt lgkmcnt(0)
	scratch_store_dwordx4 off, v[140:143], off offset:296 ; 16-byte Folded Spill
	s_and_saveexec_b64 s[2:3], vcc
	s_cbranch_execz .LBB69_208
; %bb.207:
	scratch_load_dwordx4 v[142:145], off, off offset:296 ; 16-byte Folded Reload
	s_waitcnt vmcnt(0)
	v_mul_f64 v[140:141], v[142:143], v[46:47]
	v_mul_f64 v[46:47], v[144:145], v[46:47]
	v_fmac_f64_e32 v[140:141], v[144:145], v[44:45]
	v_fma_f64 v[44:45], v[142:143], v[44:45], -v[46:47]
	ds_read2_b64 v[142:145], v168 offset0:46 offset1:47
	s_waitcnt lgkmcnt(0)
	v_mul_f64 v[46:47], v[144:145], v[140:141]
	v_fma_f64 v[46:47], v[142:143], v[44:45], -v[46:47]
	v_mul_f64 v[142:143], v[142:143], v[140:141]
	v_fmac_f64_e32 v[142:143], v[144:145], v[44:45]
	v_add_f64 v[42:43], v[42:43], -v[142:143]
	ds_read2_b64 v[142:145], v168 offset0:48 offset1:49
	v_add_f64 v[40:41], v[40:41], -v[46:47]
	s_waitcnt lgkmcnt(0)
	v_mul_f64 v[46:47], v[144:145], v[140:141]
	v_fma_f64 v[46:47], v[142:143], v[44:45], -v[46:47]
	v_mul_f64 v[142:143], v[142:143], v[140:141]
	v_fmac_f64_e32 v[142:143], v[144:145], v[44:45]
	v_add_f64 v[38:39], v[38:39], -v[142:143]
	ds_read2_b64 v[142:145], v168 offset0:50 offset1:51
	v_add_f64 v[36:37], v[36:37], -v[46:47]
	;; [unrolled: 8-line block ×11, first 2 shown]
	s_waitcnt lgkmcnt(0)
	v_mul_f64 v[46:47], v[144:145], v[140:141]
	v_fma_f64 v[46:47], v[142:143], v[44:45], -v[46:47]
	v_mul_f64 v[142:143], v[142:143], v[140:141]
	v_fmac_f64_e32 v[142:143], v[144:145], v[44:45]
	v_add_f64 v[136:137], v[136:137], -v[46:47]
	v_add_f64 v[138:139], v[138:139], -v[142:143]
	v_mov_b64_e32 v[46:47], v[140:141]
.LBB69_208:
	s_or_b64 exec, exec, s[2:3]
	v_cmp_eq_u32_e32 vcc, 23, v166
	s_barrier
	s_and_saveexec_b64 s[4:5], vcc
	s_cbranch_execz .LBB69_215
; %bb.209:
	s_waitcnt vmcnt(30)
	ds_write2_b64 v167, v[40:41], v[42:43] offset1:1
	s_waitcnt vmcnt(29)
	ds_write2_b64 v168, v[36:37], v[38:39] offset0:48 offset1:49
	s_waitcnt vmcnt(28)
	ds_write2_b64 v168, v[32:33], v[34:35] offset0:50 offset1:51
	;; [unrolled: 2-line block ×11, first 2 shown]
	ds_read2_b64 v[140:143], v167 offset1:1
	s_waitcnt lgkmcnt(0)
	v_cmp_neq_f64_e32 vcc, 0, v[140:141]
	v_cmp_neq_f64_e64 s[2:3], 0, v[142:143]
	s_or_b64 s[2:3], vcc, s[2:3]
	s_and_b64 exec, exec, s[2:3]
	s_cbranch_execz .LBB69_215
; %bb.210:
	v_cmp_ngt_f64_e64 s[2:3], |v[140:141]|, |v[142:143]|
                                        ; implicit-def: $vgpr144_vgpr145
	s_and_saveexec_b64 s[10:11], s[2:3]
	s_xor_b64 s[2:3], exec, s[10:11]
                                        ; implicit-def: $vgpr146_vgpr147
	s_cbranch_execz .LBB69_212
; %bb.211:
	v_div_scale_f64 v[144:145], s[10:11], v[142:143], v[142:143], v[140:141]
	v_rcp_f64_e32 v[146:147], v[144:145]
	v_div_scale_f64 v[148:149], vcc, v[140:141], v[142:143], v[140:141]
	v_fma_f64 v[150:151], -v[144:145], v[146:147], 1.0
	v_fmac_f64_e32 v[146:147], v[146:147], v[150:151]
	v_fma_f64 v[150:151], -v[144:145], v[146:147], 1.0
	v_fmac_f64_e32 v[146:147], v[146:147], v[150:151]
	v_mul_f64 v[150:151], v[148:149], v[146:147]
	v_fma_f64 v[144:145], -v[144:145], v[150:151], v[148:149]
	v_div_fmas_f64 v[144:145], v[144:145], v[146:147], v[150:151]
	v_div_fixup_f64 v[144:145], v[144:145], v[142:143], v[140:141]
	v_fmac_f64_e32 v[142:143], v[140:141], v[144:145]
	v_div_scale_f64 v[140:141], s[10:11], v[142:143], v[142:143], 1.0
	v_rcp_f64_e32 v[146:147], v[140:141]
	s_nop 0
	v_fma_f64 v[148:149], -v[140:141], v[146:147], 1.0
	v_fmac_f64_e32 v[146:147], v[146:147], v[148:149]
	v_fma_f64 v[148:149], -v[140:141], v[146:147], 1.0
	v_fmac_f64_e32 v[146:147], v[146:147], v[148:149]
	v_div_scale_f64 v[148:149], vcc, 1.0, v[142:143], 1.0
	v_mul_f64 v[150:151], v[148:149], v[146:147]
	v_fma_f64 v[140:141], -v[140:141], v[150:151], v[148:149]
	s_nop 1
	v_div_fmas_f64 v[140:141], v[140:141], v[146:147], v[150:151]
	v_div_fixup_f64 v[146:147], v[140:141], v[142:143], 1.0
	v_mul_f64 v[144:145], v[144:145], v[146:147]
	v_xor_b32_e32 v147, 0x80000000, v147
                                        ; implicit-def: $vgpr140_vgpr141
.LBB69_212:
	s_andn2_saveexec_b64 s[2:3], s[2:3]
	s_cbranch_execz .LBB69_214
; %bb.213:
	v_div_scale_f64 v[144:145], s[10:11], v[140:141], v[140:141], v[142:143]
	v_rcp_f64_e32 v[146:147], v[144:145]
	v_div_scale_f64 v[148:149], vcc, v[142:143], v[140:141], v[142:143]
	v_fma_f64 v[150:151], -v[144:145], v[146:147], 1.0
	v_fmac_f64_e32 v[146:147], v[146:147], v[150:151]
	v_fma_f64 v[150:151], -v[144:145], v[146:147], 1.0
	v_fmac_f64_e32 v[146:147], v[146:147], v[150:151]
	v_mul_f64 v[150:151], v[148:149], v[146:147]
	v_fma_f64 v[144:145], -v[144:145], v[150:151], v[148:149]
	v_div_fmas_f64 v[144:145], v[144:145], v[146:147], v[150:151]
	v_div_fixup_f64 v[146:147], v[144:145], v[140:141], v[142:143]
	v_fmac_f64_e32 v[140:141], v[142:143], v[146:147]
	v_div_scale_f64 v[142:143], s[10:11], v[140:141], v[140:141], 1.0
	v_rcp_f64_e32 v[144:145], v[142:143]
	s_nop 0
	v_fma_f64 v[148:149], -v[142:143], v[144:145], 1.0
	v_fmac_f64_e32 v[144:145], v[144:145], v[148:149]
	v_fma_f64 v[148:149], -v[142:143], v[144:145], 1.0
	v_fmac_f64_e32 v[144:145], v[144:145], v[148:149]
	v_div_scale_f64 v[148:149], vcc, 1.0, v[140:141], 1.0
	v_mul_f64 v[150:151], v[148:149], v[144:145]
	v_fma_f64 v[142:143], -v[142:143], v[150:151], v[148:149]
	s_nop 1
	v_div_fmas_f64 v[142:143], v[142:143], v[144:145], v[150:151]
	v_div_fixup_f64 v[144:145], v[142:143], v[140:141], 1.0
	v_mul_f64 v[146:147], v[146:147], -v[144:145]
.LBB69_214:
	s_or_b64 exec, exec, s[2:3]
	ds_write2_b64 v167, v[144:145], v[146:147] offset1:1
.LBB69_215:
	s_or_b64 exec, exec, s[4:5]
	s_waitcnt lgkmcnt(0)
	s_barrier
	ds_read2_b64 v[140:143], v167 offset1:1
	v_cmp_lt_u32_e32 vcc, 23, v166
	s_waitcnt lgkmcnt(0)
	scratch_store_dwordx4 off, v[140:143], off offset:312 ; 16-byte Folded Spill
	s_and_saveexec_b64 s[2:3], vcc
	s_cbranch_execz .LBB69_217
; %bb.216:
	scratch_load_dwordx4 v[142:145], off, off offset:312 ; 16-byte Folded Reload
	s_waitcnt vmcnt(0)
	v_mul_f64 v[140:141], v[142:143], v[42:43]
	v_mul_f64 v[42:43], v[144:145], v[42:43]
	v_fmac_f64_e32 v[140:141], v[144:145], v[40:41]
	v_fma_f64 v[40:41], v[142:143], v[40:41], -v[42:43]
	ds_read2_b64 v[142:145], v168 offset0:48 offset1:49
	s_waitcnt lgkmcnt(0)
	v_mul_f64 v[42:43], v[144:145], v[140:141]
	v_fma_f64 v[42:43], v[142:143], v[40:41], -v[42:43]
	v_mul_f64 v[142:143], v[142:143], v[140:141]
	v_fmac_f64_e32 v[142:143], v[144:145], v[40:41]
	v_add_f64 v[38:39], v[38:39], -v[142:143]
	ds_read2_b64 v[142:145], v168 offset0:50 offset1:51
	v_add_f64 v[36:37], v[36:37], -v[42:43]
	s_waitcnt lgkmcnt(0)
	v_mul_f64 v[42:43], v[144:145], v[140:141]
	v_fma_f64 v[42:43], v[142:143], v[40:41], -v[42:43]
	v_mul_f64 v[142:143], v[142:143], v[140:141]
	v_fmac_f64_e32 v[142:143], v[144:145], v[40:41]
	v_add_f64 v[34:35], v[34:35], -v[142:143]
	ds_read2_b64 v[142:145], v168 offset0:52 offset1:53
	v_add_f64 v[32:33], v[32:33], -v[42:43]
	;; [unrolled: 8-line block ×10, first 2 shown]
	s_waitcnt lgkmcnt(0)
	v_mul_f64 v[42:43], v[144:145], v[140:141]
	v_fma_f64 v[42:43], v[142:143], v[40:41], -v[42:43]
	v_mul_f64 v[142:143], v[142:143], v[140:141]
	v_fmac_f64_e32 v[142:143], v[144:145], v[40:41]
	v_add_f64 v[136:137], v[136:137], -v[42:43]
	v_add_f64 v[138:139], v[138:139], -v[142:143]
	v_mov_b64_e32 v[42:43], v[140:141]
.LBB69_217:
	s_or_b64 exec, exec, s[2:3]
	v_cmp_eq_u32_e32 vcc, 24, v166
	s_barrier
	s_and_saveexec_b64 s[4:5], vcc
	s_cbranch_execz .LBB69_224
; %bb.218:
	s_waitcnt vmcnt(30)
	ds_write2_b64 v167, v[36:37], v[38:39] offset1:1
	s_waitcnt vmcnt(29)
	ds_write2_b64 v168, v[32:33], v[34:35] offset0:50 offset1:51
	s_waitcnt vmcnt(28)
	ds_write2_b64 v168, v[28:29], v[30:31] offset0:52 offset1:53
	;; [unrolled: 2-line block ×10, first 2 shown]
	ds_read2_b64 v[140:143], v167 offset1:1
	s_waitcnt lgkmcnt(0)
	v_cmp_neq_f64_e32 vcc, 0, v[140:141]
	v_cmp_neq_f64_e64 s[2:3], 0, v[142:143]
	s_or_b64 s[2:3], vcc, s[2:3]
	s_and_b64 exec, exec, s[2:3]
	s_cbranch_execz .LBB69_224
; %bb.219:
	v_cmp_ngt_f64_e64 s[2:3], |v[140:141]|, |v[142:143]|
                                        ; implicit-def: $vgpr144_vgpr145
	s_and_saveexec_b64 s[10:11], s[2:3]
	s_xor_b64 s[2:3], exec, s[10:11]
                                        ; implicit-def: $vgpr146_vgpr147
	s_cbranch_execz .LBB69_221
; %bb.220:
	v_div_scale_f64 v[144:145], s[10:11], v[142:143], v[142:143], v[140:141]
	v_rcp_f64_e32 v[146:147], v[144:145]
	v_div_scale_f64 v[148:149], vcc, v[140:141], v[142:143], v[140:141]
	v_fma_f64 v[150:151], -v[144:145], v[146:147], 1.0
	v_fmac_f64_e32 v[146:147], v[146:147], v[150:151]
	v_fma_f64 v[150:151], -v[144:145], v[146:147], 1.0
	v_fmac_f64_e32 v[146:147], v[146:147], v[150:151]
	v_mul_f64 v[150:151], v[148:149], v[146:147]
	v_fma_f64 v[144:145], -v[144:145], v[150:151], v[148:149]
	v_div_fmas_f64 v[144:145], v[144:145], v[146:147], v[150:151]
	v_div_fixup_f64 v[144:145], v[144:145], v[142:143], v[140:141]
	v_fmac_f64_e32 v[142:143], v[140:141], v[144:145]
	v_div_scale_f64 v[140:141], s[10:11], v[142:143], v[142:143], 1.0
	v_rcp_f64_e32 v[146:147], v[140:141]
	s_nop 0
	v_fma_f64 v[148:149], -v[140:141], v[146:147], 1.0
	v_fmac_f64_e32 v[146:147], v[146:147], v[148:149]
	v_fma_f64 v[148:149], -v[140:141], v[146:147], 1.0
	v_fmac_f64_e32 v[146:147], v[146:147], v[148:149]
	v_div_scale_f64 v[148:149], vcc, 1.0, v[142:143], 1.0
	v_mul_f64 v[150:151], v[148:149], v[146:147]
	v_fma_f64 v[140:141], -v[140:141], v[150:151], v[148:149]
	s_nop 1
	v_div_fmas_f64 v[140:141], v[140:141], v[146:147], v[150:151]
	v_div_fixup_f64 v[146:147], v[140:141], v[142:143], 1.0
	v_mul_f64 v[144:145], v[144:145], v[146:147]
	v_xor_b32_e32 v147, 0x80000000, v147
                                        ; implicit-def: $vgpr140_vgpr141
.LBB69_221:
	s_andn2_saveexec_b64 s[2:3], s[2:3]
	s_cbranch_execz .LBB69_223
; %bb.222:
	v_div_scale_f64 v[144:145], s[10:11], v[140:141], v[140:141], v[142:143]
	v_rcp_f64_e32 v[146:147], v[144:145]
	v_div_scale_f64 v[148:149], vcc, v[142:143], v[140:141], v[142:143]
	v_fma_f64 v[150:151], -v[144:145], v[146:147], 1.0
	v_fmac_f64_e32 v[146:147], v[146:147], v[150:151]
	v_fma_f64 v[150:151], -v[144:145], v[146:147], 1.0
	v_fmac_f64_e32 v[146:147], v[146:147], v[150:151]
	v_mul_f64 v[150:151], v[148:149], v[146:147]
	v_fma_f64 v[144:145], -v[144:145], v[150:151], v[148:149]
	v_div_fmas_f64 v[144:145], v[144:145], v[146:147], v[150:151]
	v_div_fixup_f64 v[146:147], v[144:145], v[140:141], v[142:143]
	v_fmac_f64_e32 v[140:141], v[142:143], v[146:147]
	v_div_scale_f64 v[142:143], s[10:11], v[140:141], v[140:141], 1.0
	v_rcp_f64_e32 v[144:145], v[142:143]
	s_nop 0
	v_fma_f64 v[148:149], -v[142:143], v[144:145], 1.0
	v_fmac_f64_e32 v[144:145], v[144:145], v[148:149]
	v_fma_f64 v[148:149], -v[142:143], v[144:145], 1.0
	v_fmac_f64_e32 v[144:145], v[144:145], v[148:149]
	v_div_scale_f64 v[148:149], vcc, 1.0, v[140:141], 1.0
	v_mul_f64 v[150:151], v[148:149], v[144:145]
	v_fma_f64 v[142:143], -v[142:143], v[150:151], v[148:149]
	s_nop 1
	v_div_fmas_f64 v[142:143], v[142:143], v[144:145], v[150:151]
	v_div_fixup_f64 v[144:145], v[142:143], v[140:141], 1.0
	v_mul_f64 v[146:147], v[146:147], -v[144:145]
.LBB69_223:
	s_or_b64 exec, exec, s[2:3]
	ds_write2_b64 v167, v[144:145], v[146:147] offset1:1
.LBB69_224:
	s_or_b64 exec, exec, s[4:5]
	s_waitcnt lgkmcnt(0)
	s_barrier
	ds_read2_b64 v[140:143], v167 offset1:1
	v_cmp_lt_u32_e32 vcc, 24, v166
	s_waitcnt lgkmcnt(0)
	scratch_store_dwordx4 off, v[140:143], off offset:328 ; 16-byte Folded Spill
	s_and_saveexec_b64 s[2:3], vcc
	s_cbranch_execz .LBB69_226
; %bb.225:
	scratch_load_dwordx4 v[142:145], off, off offset:328 ; 16-byte Folded Reload
	s_waitcnt vmcnt(0)
	v_mul_f64 v[140:141], v[142:143], v[38:39]
	v_mul_f64 v[38:39], v[144:145], v[38:39]
	v_fmac_f64_e32 v[140:141], v[144:145], v[36:37]
	v_fma_f64 v[36:37], v[142:143], v[36:37], -v[38:39]
	ds_read2_b64 v[142:145], v168 offset0:50 offset1:51
	s_waitcnt lgkmcnt(0)
	v_mul_f64 v[38:39], v[144:145], v[140:141]
	v_fma_f64 v[38:39], v[142:143], v[36:37], -v[38:39]
	v_mul_f64 v[142:143], v[142:143], v[140:141]
	v_fmac_f64_e32 v[142:143], v[144:145], v[36:37]
	v_add_f64 v[34:35], v[34:35], -v[142:143]
	ds_read2_b64 v[142:145], v168 offset0:52 offset1:53
	v_add_f64 v[32:33], v[32:33], -v[38:39]
	s_waitcnt lgkmcnt(0)
	v_mul_f64 v[38:39], v[144:145], v[140:141]
	v_fma_f64 v[38:39], v[142:143], v[36:37], -v[38:39]
	v_mul_f64 v[142:143], v[142:143], v[140:141]
	v_fmac_f64_e32 v[142:143], v[144:145], v[36:37]
	v_add_f64 v[30:31], v[30:31], -v[142:143]
	ds_read2_b64 v[142:145], v168 offset0:54 offset1:55
	v_add_f64 v[28:29], v[28:29], -v[38:39]
	;; [unrolled: 8-line block ×9, first 2 shown]
	s_waitcnt lgkmcnt(0)
	v_mul_f64 v[38:39], v[144:145], v[140:141]
	v_fma_f64 v[38:39], v[142:143], v[36:37], -v[38:39]
	v_mul_f64 v[142:143], v[142:143], v[140:141]
	v_fmac_f64_e32 v[142:143], v[144:145], v[36:37]
	v_add_f64 v[136:137], v[136:137], -v[38:39]
	v_add_f64 v[138:139], v[138:139], -v[142:143]
	v_mov_b64_e32 v[38:39], v[140:141]
.LBB69_226:
	s_or_b64 exec, exec, s[2:3]
	v_cmp_eq_u32_e32 vcc, 25, v166
	s_barrier
	s_and_saveexec_b64 s[4:5], vcc
	s_cbranch_execz .LBB69_233
; %bb.227:
	s_waitcnt vmcnt(30)
	ds_write2_b64 v167, v[32:33], v[34:35] offset1:1
	s_waitcnt vmcnt(29)
	ds_write2_b64 v168, v[28:29], v[30:31] offset0:52 offset1:53
	s_waitcnt vmcnt(28)
	ds_write2_b64 v168, v[24:25], v[26:27] offset0:54 offset1:55
	;; [unrolled: 2-line block ×9, first 2 shown]
	ds_read2_b64 v[140:143], v167 offset1:1
	s_waitcnt lgkmcnt(0)
	v_cmp_neq_f64_e32 vcc, 0, v[140:141]
	v_cmp_neq_f64_e64 s[2:3], 0, v[142:143]
	s_or_b64 s[2:3], vcc, s[2:3]
	s_and_b64 exec, exec, s[2:3]
	s_cbranch_execz .LBB69_233
; %bb.228:
	v_cmp_ngt_f64_e64 s[2:3], |v[140:141]|, |v[142:143]|
                                        ; implicit-def: $vgpr144_vgpr145
	s_and_saveexec_b64 s[10:11], s[2:3]
	s_xor_b64 s[2:3], exec, s[10:11]
                                        ; implicit-def: $vgpr146_vgpr147
	s_cbranch_execz .LBB69_230
; %bb.229:
	v_div_scale_f64 v[144:145], s[10:11], v[142:143], v[142:143], v[140:141]
	v_rcp_f64_e32 v[146:147], v[144:145]
	v_div_scale_f64 v[148:149], vcc, v[140:141], v[142:143], v[140:141]
	v_fma_f64 v[150:151], -v[144:145], v[146:147], 1.0
	v_fmac_f64_e32 v[146:147], v[146:147], v[150:151]
	v_fma_f64 v[150:151], -v[144:145], v[146:147], 1.0
	v_fmac_f64_e32 v[146:147], v[146:147], v[150:151]
	v_mul_f64 v[150:151], v[148:149], v[146:147]
	v_fma_f64 v[144:145], -v[144:145], v[150:151], v[148:149]
	v_div_fmas_f64 v[144:145], v[144:145], v[146:147], v[150:151]
	v_div_fixup_f64 v[144:145], v[144:145], v[142:143], v[140:141]
	v_fmac_f64_e32 v[142:143], v[140:141], v[144:145]
	v_div_scale_f64 v[140:141], s[10:11], v[142:143], v[142:143], 1.0
	v_rcp_f64_e32 v[146:147], v[140:141]
	s_nop 0
	v_fma_f64 v[148:149], -v[140:141], v[146:147], 1.0
	v_fmac_f64_e32 v[146:147], v[146:147], v[148:149]
	v_fma_f64 v[148:149], -v[140:141], v[146:147], 1.0
	v_fmac_f64_e32 v[146:147], v[146:147], v[148:149]
	v_div_scale_f64 v[148:149], vcc, 1.0, v[142:143], 1.0
	v_mul_f64 v[150:151], v[148:149], v[146:147]
	v_fma_f64 v[140:141], -v[140:141], v[150:151], v[148:149]
	s_nop 1
	v_div_fmas_f64 v[140:141], v[140:141], v[146:147], v[150:151]
	v_div_fixup_f64 v[146:147], v[140:141], v[142:143], 1.0
	v_mul_f64 v[144:145], v[144:145], v[146:147]
	v_xor_b32_e32 v147, 0x80000000, v147
                                        ; implicit-def: $vgpr140_vgpr141
.LBB69_230:
	s_andn2_saveexec_b64 s[2:3], s[2:3]
	s_cbranch_execz .LBB69_232
; %bb.231:
	v_div_scale_f64 v[144:145], s[10:11], v[140:141], v[140:141], v[142:143]
	v_rcp_f64_e32 v[146:147], v[144:145]
	v_div_scale_f64 v[148:149], vcc, v[142:143], v[140:141], v[142:143]
	v_fma_f64 v[150:151], -v[144:145], v[146:147], 1.0
	v_fmac_f64_e32 v[146:147], v[146:147], v[150:151]
	v_fma_f64 v[150:151], -v[144:145], v[146:147], 1.0
	v_fmac_f64_e32 v[146:147], v[146:147], v[150:151]
	v_mul_f64 v[150:151], v[148:149], v[146:147]
	v_fma_f64 v[144:145], -v[144:145], v[150:151], v[148:149]
	v_div_fmas_f64 v[144:145], v[144:145], v[146:147], v[150:151]
	v_div_fixup_f64 v[146:147], v[144:145], v[140:141], v[142:143]
	v_fmac_f64_e32 v[140:141], v[142:143], v[146:147]
	v_div_scale_f64 v[142:143], s[10:11], v[140:141], v[140:141], 1.0
	v_rcp_f64_e32 v[144:145], v[142:143]
	s_nop 0
	v_fma_f64 v[148:149], -v[142:143], v[144:145], 1.0
	v_fmac_f64_e32 v[144:145], v[144:145], v[148:149]
	v_fma_f64 v[148:149], -v[142:143], v[144:145], 1.0
	v_fmac_f64_e32 v[144:145], v[144:145], v[148:149]
	v_div_scale_f64 v[148:149], vcc, 1.0, v[140:141], 1.0
	v_mul_f64 v[150:151], v[148:149], v[144:145]
	v_fma_f64 v[142:143], -v[142:143], v[150:151], v[148:149]
	s_nop 1
	v_div_fmas_f64 v[142:143], v[142:143], v[144:145], v[150:151]
	v_div_fixup_f64 v[144:145], v[142:143], v[140:141], 1.0
	v_mul_f64 v[146:147], v[146:147], -v[144:145]
.LBB69_232:
	s_or_b64 exec, exec, s[2:3]
	ds_write2_b64 v167, v[144:145], v[146:147] offset1:1
.LBB69_233:
	s_or_b64 exec, exec, s[4:5]
	s_waitcnt lgkmcnt(0)
	s_barrier
	ds_read2_b64 v[140:143], v167 offset1:1
	v_cmp_lt_u32_e32 vcc, 25, v166
	s_waitcnt lgkmcnt(0)
	scratch_store_dwordx4 off, v[140:143], off offset:344 ; 16-byte Folded Spill
	s_and_saveexec_b64 s[2:3], vcc
	s_cbranch_execz .LBB69_235
; %bb.234:
	scratch_load_dwordx4 v[142:145], off, off offset:344 ; 16-byte Folded Reload
	s_waitcnt vmcnt(0)
	v_mul_f64 v[140:141], v[142:143], v[34:35]
	v_mul_f64 v[34:35], v[144:145], v[34:35]
	v_fmac_f64_e32 v[140:141], v[144:145], v[32:33]
	v_fma_f64 v[32:33], v[142:143], v[32:33], -v[34:35]
	ds_read2_b64 v[142:145], v168 offset0:52 offset1:53
	s_waitcnt lgkmcnt(0)
	v_mul_f64 v[34:35], v[144:145], v[140:141]
	v_fma_f64 v[34:35], v[142:143], v[32:33], -v[34:35]
	v_mul_f64 v[142:143], v[142:143], v[140:141]
	v_fmac_f64_e32 v[142:143], v[144:145], v[32:33]
	v_add_f64 v[30:31], v[30:31], -v[142:143]
	ds_read2_b64 v[142:145], v168 offset0:54 offset1:55
	v_add_f64 v[28:29], v[28:29], -v[34:35]
	s_waitcnt lgkmcnt(0)
	v_mul_f64 v[34:35], v[144:145], v[140:141]
	v_fma_f64 v[34:35], v[142:143], v[32:33], -v[34:35]
	v_mul_f64 v[142:143], v[142:143], v[140:141]
	v_fmac_f64_e32 v[142:143], v[144:145], v[32:33]
	v_add_f64 v[26:27], v[26:27], -v[142:143]
	ds_read2_b64 v[142:145], v168 offset0:56 offset1:57
	v_add_f64 v[24:25], v[24:25], -v[34:35]
	s_waitcnt lgkmcnt(0)
	v_mul_f64 v[34:35], v[144:145], v[140:141]
	v_fma_f64 v[34:35], v[142:143], v[32:33], -v[34:35]
	v_mul_f64 v[142:143], v[142:143], v[140:141]
	v_fmac_f64_e32 v[142:143], v[144:145], v[32:33]
	v_add_f64 v[22:23], v[22:23], -v[142:143]
	ds_read2_b64 v[142:145], v168 offset0:58 offset1:59
	v_add_f64 v[20:21], v[20:21], -v[34:35]
	s_waitcnt lgkmcnt(0)
	v_mul_f64 v[34:35], v[144:145], v[140:141]
	v_fma_f64 v[34:35], v[142:143], v[32:33], -v[34:35]
	v_mul_f64 v[142:143], v[142:143], v[140:141]
	v_fmac_f64_e32 v[142:143], v[144:145], v[32:33]
	v_add_f64 v[18:19], v[18:19], -v[142:143]
	ds_read2_b64 v[142:145], v168 offset0:60 offset1:61
	v_add_f64 v[16:17], v[16:17], -v[34:35]
	s_waitcnt lgkmcnt(0)
	v_mul_f64 v[34:35], v[144:145], v[140:141]
	v_fma_f64 v[34:35], v[142:143], v[32:33], -v[34:35]
	v_mul_f64 v[142:143], v[142:143], v[140:141]
	v_fmac_f64_e32 v[142:143], v[144:145], v[32:33]
	v_add_f64 v[14:15], v[14:15], -v[142:143]
	ds_read2_b64 v[142:145], v168 offset0:62 offset1:63
	v_add_f64 v[12:13], v[12:13], -v[34:35]
	s_waitcnt lgkmcnt(0)
	v_mul_f64 v[34:35], v[144:145], v[140:141]
	v_fma_f64 v[34:35], v[142:143], v[32:33], -v[34:35]
	v_mul_f64 v[142:143], v[142:143], v[140:141]
	v_fmac_f64_e32 v[142:143], v[144:145], v[32:33]
	v_add_f64 v[10:11], v[10:11], -v[142:143]
	ds_read2_b64 v[142:145], v168 offset0:64 offset1:65
	v_add_f64 v[8:9], v[8:9], -v[34:35]
	s_waitcnt lgkmcnt(0)
	v_mul_f64 v[34:35], v[144:145], v[140:141]
	v_fma_f64 v[34:35], v[142:143], v[32:33], -v[34:35]
	v_mul_f64 v[142:143], v[142:143], v[140:141]
	v_fmac_f64_e32 v[142:143], v[144:145], v[32:33]
	v_add_f64 v[6:7], v[6:7], -v[142:143]
	ds_read2_b64 v[142:145], v168 offset0:66 offset1:67
	v_add_f64 v[4:5], v[4:5], -v[34:35]
	s_waitcnt lgkmcnt(0)
	v_mul_f64 v[34:35], v[144:145], v[140:141]
	v_fma_f64 v[34:35], v[142:143], v[32:33], -v[34:35]
	v_mul_f64 v[142:143], v[142:143], v[140:141]
	v_fmac_f64_e32 v[142:143], v[144:145], v[32:33]
	v_add_f64 v[2:3], v[2:3], -v[142:143]
	ds_read2_b64 v[142:145], v168 offset0:68 offset1:69
	v_add_f64 v[0:1], v[0:1], -v[34:35]
	s_waitcnt lgkmcnt(0)
	v_mul_f64 v[34:35], v[144:145], v[140:141]
	v_fma_f64 v[34:35], v[142:143], v[32:33], -v[34:35]
	v_mul_f64 v[142:143], v[142:143], v[140:141]
	v_fmac_f64_e32 v[142:143], v[144:145], v[32:33]
	v_add_f64 v[136:137], v[136:137], -v[34:35]
	v_add_f64 v[138:139], v[138:139], -v[142:143]
	v_mov_b64_e32 v[34:35], v[140:141]
.LBB69_235:
	s_or_b64 exec, exec, s[2:3]
	v_cmp_eq_u32_e32 vcc, 26, v166
	s_barrier
	s_and_saveexec_b64 s[4:5], vcc
	s_cbranch_execz .LBB69_242
; %bb.236:
	s_waitcnt vmcnt(30)
	ds_write2_b64 v167, v[28:29], v[30:31] offset1:1
	s_waitcnt vmcnt(29)
	ds_write2_b64 v168, v[24:25], v[26:27] offset0:54 offset1:55
	s_waitcnt vmcnt(28)
	ds_write2_b64 v168, v[20:21], v[22:23] offset0:56 offset1:57
	;; [unrolled: 2-line block ×8, first 2 shown]
	ds_read2_b64 v[140:143], v167 offset1:1
	s_waitcnt lgkmcnt(0)
	v_cmp_neq_f64_e32 vcc, 0, v[140:141]
	v_cmp_neq_f64_e64 s[2:3], 0, v[142:143]
	s_or_b64 s[2:3], vcc, s[2:3]
	s_and_b64 exec, exec, s[2:3]
	s_cbranch_execz .LBB69_242
; %bb.237:
	v_cmp_ngt_f64_e64 s[2:3], |v[140:141]|, |v[142:143]|
                                        ; implicit-def: $vgpr144_vgpr145
	s_and_saveexec_b64 s[10:11], s[2:3]
	s_xor_b64 s[2:3], exec, s[10:11]
                                        ; implicit-def: $vgpr146_vgpr147
	s_cbranch_execz .LBB69_239
; %bb.238:
	v_div_scale_f64 v[144:145], s[10:11], v[142:143], v[142:143], v[140:141]
	v_rcp_f64_e32 v[146:147], v[144:145]
	v_div_scale_f64 v[148:149], vcc, v[140:141], v[142:143], v[140:141]
	v_fma_f64 v[150:151], -v[144:145], v[146:147], 1.0
	v_fmac_f64_e32 v[146:147], v[146:147], v[150:151]
	v_fma_f64 v[150:151], -v[144:145], v[146:147], 1.0
	v_fmac_f64_e32 v[146:147], v[146:147], v[150:151]
	v_mul_f64 v[150:151], v[148:149], v[146:147]
	v_fma_f64 v[144:145], -v[144:145], v[150:151], v[148:149]
	v_div_fmas_f64 v[144:145], v[144:145], v[146:147], v[150:151]
	v_div_fixup_f64 v[144:145], v[144:145], v[142:143], v[140:141]
	v_fmac_f64_e32 v[142:143], v[140:141], v[144:145]
	v_div_scale_f64 v[140:141], s[10:11], v[142:143], v[142:143], 1.0
	v_rcp_f64_e32 v[146:147], v[140:141]
	s_nop 0
	v_fma_f64 v[148:149], -v[140:141], v[146:147], 1.0
	v_fmac_f64_e32 v[146:147], v[146:147], v[148:149]
	v_fma_f64 v[148:149], -v[140:141], v[146:147], 1.0
	v_fmac_f64_e32 v[146:147], v[146:147], v[148:149]
	v_div_scale_f64 v[148:149], vcc, 1.0, v[142:143], 1.0
	v_mul_f64 v[150:151], v[148:149], v[146:147]
	v_fma_f64 v[140:141], -v[140:141], v[150:151], v[148:149]
	s_nop 1
	v_div_fmas_f64 v[140:141], v[140:141], v[146:147], v[150:151]
	v_div_fixup_f64 v[146:147], v[140:141], v[142:143], 1.0
	v_mul_f64 v[144:145], v[144:145], v[146:147]
	v_xor_b32_e32 v147, 0x80000000, v147
                                        ; implicit-def: $vgpr140_vgpr141
.LBB69_239:
	s_andn2_saveexec_b64 s[2:3], s[2:3]
	s_cbranch_execz .LBB69_241
; %bb.240:
	v_div_scale_f64 v[144:145], s[10:11], v[140:141], v[140:141], v[142:143]
	v_rcp_f64_e32 v[146:147], v[144:145]
	v_div_scale_f64 v[148:149], vcc, v[142:143], v[140:141], v[142:143]
	v_fma_f64 v[150:151], -v[144:145], v[146:147], 1.0
	v_fmac_f64_e32 v[146:147], v[146:147], v[150:151]
	v_fma_f64 v[150:151], -v[144:145], v[146:147], 1.0
	v_fmac_f64_e32 v[146:147], v[146:147], v[150:151]
	v_mul_f64 v[150:151], v[148:149], v[146:147]
	v_fma_f64 v[144:145], -v[144:145], v[150:151], v[148:149]
	v_div_fmas_f64 v[144:145], v[144:145], v[146:147], v[150:151]
	v_div_fixup_f64 v[146:147], v[144:145], v[140:141], v[142:143]
	v_fmac_f64_e32 v[140:141], v[142:143], v[146:147]
	v_div_scale_f64 v[142:143], s[10:11], v[140:141], v[140:141], 1.0
	v_rcp_f64_e32 v[144:145], v[142:143]
	s_nop 0
	v_fma_f64 v[148:149], -v[142:143], v[144:145], 1.0
	v_fmac_f64_e32 v[144:145], v[144:145], v[148:149]
	v_fma_f64 v[148:149], -v[142:143], v[144:145], 1.0
	v_fmac_f64_e32 v[144:145], v[144:145], v[148:149]
	v_div_scale_f64 v[148:149], vcc, 1.0, v[140:141], 1.0
	v_mul_f64 v[150:151], v[148:149], v[144:145]
	v_fma_f64 v[142:143], -v[142:143], v[150:151], v[148:149]
	s_nop 1
	v_div_fmas_f64 v[142:143], v[142:143], v[144:145], v[150:151]
	v_div_fixup_f64 v[144:145], v[142:143], v[140:141], 1.0
	v_mul_f64 v[146:147], v[146:147], -v[144:145]
.LBB69_241:
	s_or_b64 exec, exec, s[2:3]
	ds_write2_b64 v167, v[144:145], v[146:147] offset1:1
.LBB69_242:
	s_or_b64 exec, exec, s[4:5]
	s_waitcnt lgkmcnt(0)
	s_barrier
	ds_read2_b64 v[140:143], v167 offset1:1
	v_cmp_lt_u32_e32 vcc, 26, v166
	s_waitcnt lgkmcnt(0)
	scratch_store_dwordx4 off, v[140:143], off offset:360 ; 16-byte Folded Spill
	s_and_saveexec_b64 s[2:3], vcc
	s_cbranch_execz .LBB69_244
; %bb.243:
	scratch_load_dwordx4 v[142:145], off, off offset:360 ; 16-byte Folded Reload
	s_waitcnt vmcnt(0)
	v_mul_f64 v[140:141], v[142:143], v[30:31]
	v_mul_f64 v[30:31], v[144:145], v[30:31]
	v_fmac_f64_e32 v[140:141], v[144:145], v[28:29]
	v_fma_f64 v[28:29], v[142:143], v[28:29], -v[30:31]
	ds_read2_b64 v[142:145], v168 offset0:54 offset1:55
	s_waitcnt lgkmcnt(0)
	v_mul_f64 v[30:31], v[144:145], v[140:141]
	v_fma_f64 v[30:31], v[142:143], v[28:29], -v[30:31]
	v_mul_f64 v[142:143], v[142:143], v[140:141]
	v_fmac_f64_e32 v[142:143], v[144:145], v[28:29]
	v_add_f64 v[26:27], v[26:27], -v[142:143]
	ds_read2_b64 v[142:145], v168 offset0:56 offset1:57
	v_add_f64 v[24:25], v[24:25], -v[30:31]
	s_waitcnt lgkmcnt(0)
	v_mul_f64 v[30:31], v[144:145], v[140:141]
	v_fma_f64 v[30:31], v[142:143], v[28:29], -v[30:31]
	v_mul_f64 v[142:143], v[142:143], v[140:141]
	v_fmac_f64_e32 v[142:143], v[144:145], v[28:29]
	v_add_f64 v[22:23], v[22:23], -v[142:143]
	ds_read2_b64 v[142:145], v168 offset0:58 offset1:59
	v_add_f64 v[20:21], v[20:21], -v[30:31]
	s_waitcnt lgkmcnt(0)
	v_mul_f64 v[30:31], v[144:145], v[140:141]
	v_fma_f64 v[30:31], v[142:143], v[28:29], -v[30:31]
	v_mul_f64 v[142:143], v[142:143], v[140:141]
	v_fmac_f64_e32 v[142:143], v[144:145], v[28:29]
	v_add_f64 v[18:19], v[18:19], -v[142:143]
	ds_read2_b64 v[142:145], v168 offset0:60 offset1:61
	v_add_f64 v[16:17], v[16:17], -v[30:31]
	s_waitcnt lgkmcnt(0)
	v_mul_f64 v[30:31], v[144:145], v[140:141]
	v_fma_f64 v[30:31], v[142:143], v[28:29], -v[30:31]
	v_mul_f64 v[142:143], v[142:143], v[140:141]
	v_fmac_f64_e32 v[142:143], v[144:145], v[28:29]
	v_add_f64 v[14:15], v[14:15], -v[142:143]
	ds_read2_b64 v[142:145], v168 offset0:62 offset1:63
	v_add_f64 v[12:13], v[12:13], -v[30:31]
	s_waitcnt lgkmcnt(0)
	v_mul_f64 v[30:31], v[144:145], v[140:141]
	v_fma_f64 v[30:31], v[142:143], v[28:29], -v[30:31]
	v_mul_f64 v[142:143], v[142:143], v[140:141]
	v_fmac_f64_e32 v[142:143], v[144:145], v[28:29]
	v_add_f64 v[10:11], v[10:11], -v[142:143]
	ds_read2_b64 v[142:145], v168 offset0:64 offset1:65
	v_add_f64 v[8:9], v[8:9], -v[30:31]
	s_waitcnt lgkmcnt(0)
	v_mul_f64 v[30:31], v[144:145], v[140:141]
	v_fma_f64 v[30:31], v[142:143], v[28:29], -v[30:31]
	v_mul_f64 v[142:143], v[142:143], v[140:141]
	v_fmac_f64_e32 v[142:143], v[144:145], v[28:29]
	v_add_f64 v[6:7], v[6:7], -v[142:143]
	ds_read2_b64 v[142:145], v168 offset0:66 offset1:67
	v_add_f64 v[4:5], v[4:5], -v[30:31]
	s_waitcnt lgkmcnt(0)
	v_mul_f64 v[30:31], v[144:145], v[140:141]
	v_fma_f64 v[30:31], v[142:143], v[28:29], -v[30:31]
	v_mul_f64 v[142:143], v[142:143], v[140:141]
	v_fmac_f64_e32 v[142:143], v[144:145], v[28:29]
	v_add_f64 v[2:3], v[2:3], -v[142:143]
	ds_read2_b64 v[142:145], v168 offset0:68 offset1:69
	v_add_f64 v[0:1], v[0:1], -v[30:31]
	s_waitcnt lgkmcnt(0)
	v_mul_f64 v[30:31], v[144:145], v[140:141]
	v_fma_f64 v[30:31], v[142:143], v[28:29], -v[30:31]
	v_mul_f64 v[142:143], v[142:143], v[140:141]
	v_fmac_f64_e32 v[142:143], v[144:145], v[28:29]
	v_add_f64 v[136:137], v[136:137], -v[30:31]
	v_add_f64 v[138:139], v[138:139], -v[142:143]
	v_mov_b64_e32 v[30:31], v[140:141]
.LBB69_244:
	s_or_b64 exec, exec, s[2:3]
	v_cmp_eq_u32_e32 vcc, 27, v166
	s_barrier
	s_and_saveexec_b64 s[4:5], vcc
	s_cbranch_execz .LBB69_251
; %bb.245:
	s_waitcnt vmcnt(30)
	ds_write2_b64 v167, v[24:25], v[26:27] offset1:1
	s_waitcnt vmcnt(29)
	ds_write2_b64 v168, v[20:21], v[22:23] offset0:56 offset1:57
	s_waitcnt vmcnt(28)
	ds_write2_b64 v168, v[16:17], v[18:19] offset0:58 offset1:59
	;; [unrolled: 2-line block ×7, first 2 shown]
	ds_read2_b64 v[140:143], v167 offset1:1
	s_waitcnt lgkmcnt(0)
	v_cmp_neq_f64_e32 vcc, 0, v[140:141]
	v_cmp_neq_f64_e64 s[2:3], 0, v[142:143]
	s_or_b64 s[2:3], vcc, s[2:3]
	s_and_b64 exec, exec, s[2:3]
	s_cbranch_execz .LBB69_251
; %bb.246:
	v_cmp_ngt_f64_e64 s[2:3], |v[140:141]|, |v[142:143]|
                                        ; implicit-def: $vgpr144_vgpr145
	s_and_saveexec_b64 s[10:11], s[2:3]
	s_xor_b64 s[2:3], exec, s[10:11]
                                        ; implicit-def: $vgpr146_vgpr147
	s_cbranch_execz .LBB69_248
; %bb.247:
	v_div_scale_f64 v[144:145], s[10:11], v[142:143], v[142:143], v[140:141]
	v_rcp_f64_e32 v[146:147], v[144:145]
	v_div_scale_f64 v[148:149], vcc, v[140:141], v[142:143], v[140:141]
	v_fma_f64 v[150:151], -v[144:145], v[146:147], 1.0
	v_fmac_f64_e32 v[146:147], v[146:147], v[150:151]
	v_fma_f64 v[150:151], -v[144:145], v[146:147], 1.0
	v_fmac_f64_e32 v[146:147], v[146:147], v[150:151]
	v_mul_f64 v[150:151], v[148:149], v[146:147]
	v_fma_f64 v[144:145], -v[144:145], v[150:151], v[148:149]
	v_div_fmas_f64 v[144:145], v[144:145], v[146:147], v[150:151]
	v_div_fixup_f64 v[144:145], v[144:145], v[142:143], v[140:141]
	v_fmac_f64_e32 v[142:143], v[140:141], v[144:145]
	v_div_scale_f64 v[140:141], s[10:11], v[142:143], v[142:143], 1.0
	v_rcp_f64_e32 v[146:147], v[140:141]
	s_nop 0
	v_fma_f64 v[148:149], -v[140:141], v[146:147], 1.0
	v_fmac_f64_e32 v[146:147], v[146:147], v[148:149]
	v_fma_f64 v[148:149], -v[140:141], v[146:147], 1.0
	v_fmac_f64_e32 v[146:147], v[146:147], v[148:149]
	v_div_scale_f64 v[148:149], vcc, 1.0, v[142:143], 1.0
	v_mul_f64 v[150:151], v[148:149], v[146:147]
	v_fma_f64 v[140:141], -v[140:141], v[150:151], v[148:149]
	s_nop 1
	v_div_fmas_f64 v[140:141], v[140:141], v[146:147], v[150:151]
	v_div_fixup_f64 v[146:147], v[140:141], v[142:143], 1.0
	v_mul_f64 v[144:145], v[144:145], v[146:147]
	v_xor_b32_e32 v147, 0x80000000, v147
                                        ; implicit-def: $vgpr140_vgpr141
.LBB69_248:
	s_andn2_saveexec_b64 s[2:3], s[2:3]
	s_cbranch_execz .LBB69_250
; %bb.249:
	v_div_scale_f64 v[144:145], s[10:11], v[140:141], v[140:141], v[142:143]
	v_rcp_f64_e32 v[146:147], v[144:145]
	v_div_scale_f64 v[148:149], vcc, v[142:143], v[140:141], v[142:143]
	v_fma_f64 v[150:151], -v[144:145], v[146:147], 1.0
	v_fmac_f64_e32 v[146:147], v[146:147], v[150:151]
	v_fma_f64 v[150:151], -v[144:145], v[146:147], 1.0
	v_fmac_f64_e32 v[146:147], v[146:147], v[150:151]
	v_mul_f64 v[150:151], v[148:149], v[146:147]
	v_fma_f64 v[144:145], -v[144:145], v[150:151], v[148:149]
	v_div_fmas_f64 v[144:145], v[144:145], v[146:147], v[150:151]
	v_div_fixup_f64 v[146:147], v[144:145], v[140:141], v[142:143]
	v_fmac_f64_e32 v[140:141], v[142:143], v[146:147]
	v_div_scale_f64 v[142:143], s[10:11], v[140:141], v[140:141], 1.0
	v_rcp_f64_e32 v[144:145], v[142:143]
	s_nop 0
	v_fma_f64 v[148:149], -v[142:143], v[144:145], 1.0
	v_fmac_f64_e32 v[144:145], v[144:145], v[148:149]
	v_fma_f64 v[148:149], -v[142:143], v[144:145], 1.0
	v_fmac_f64_e32 v[144:145], v[144:145], v[148:149]
	v_div_scale_f64 v[148:149], vcc, 1.0, v[140:141], 1.0
	v_mul_f64 v[150:151], v[148:149], v[144:145]
	v_fma_f64 v[142:143], -v[142:143], v[150:151], v[148:149]
	s_nop 1
	v_div_fmas_f64 v[142:143], v[142:143], v[144:145], v[150:151]
	v_div_fixup_f64 v[144:145], v[142:143], v[140:141], 1.0
	v_mul_f64 v[146:147], v[146:147], -v[144:145]
.LBB69_250:
	s_or_b64 exec, exec, s[2:3]
	ds_write2_b64 v167, v[144:145], v[146:147] offset1:1
.LBB69_251:
	s_or_b64 exec, exec, s[4:5]
	s_waitcnt lgkmcnt(0)
	s_barrier
	ds_read2_b64 v[140:143], v167 offset1:1
	v_cmp_lt_u32_e32 vcc, 27, v166
	s_waitcnt lgkmcnt(0)
	scratch_store_dwordx4 off, v[140:143], off offset:376 ; 16-byte Folded Spill
	s_and_saveexec_b64 s[2:3], vcc
	s_cbranch_execz .LBB69_253
; %bb.252:
	scratch_load_dwordx4 v[142:145], off, off offset:376 ; 16-byte Folded Reload
	s_waitcnt vmcnt(0)
	v_mul_f64 v[140:141], v[142:143], v[26:27]
	v_mul_f64 v[26:27], v[144:145], v[26:27]
	v_fmac_f64_e32 v[140:141], v[144:145], v[24:25]
	v_fma_f64 v[24:25], v[142:143], v[24:25], -v[26:27]
	ds_read2_b64 v[142:145], v168 offset0:56 offset1:57
	s_waitcnt lgkmcnt(0)
	v_mul_f64 v[26:27], v[144:145], v[140:141]
	v_fma_f64 v[26:27], v[142:143], v[24:25], -v[26:27]
	v_mul_f64 v[142:143], v[142:143], v[140:141]
	v_fmac_f64_e32 v[142:143], v[144:145], v[24:25]
	v_add_f64 v[22:23], v[22:23], -v[142:143]
	ds_read2_b64 v[142:145], v168 offset0:58 offset1:59
	v_add_f64 v[20:21], v[20:21], -v[26:27]
	s_waitcnt lgkmcnt(0)
	v_mul_f64 v[26:27], v[144:145], v[140:141]
	v_fma_f64 v[26:27], v[142:143], v[24:25], -v[26:27]
	v_mul_f64 v[142:143], v[142:143], v[140:141]
	v_fmac_f64_e32 v[142:143], v[144:145], v[24:25]
	v_add_f64 v[18:19], v[18:19], -v[142:143]
	ds_read2_b64 v[142:145], v168 offset0:60 offset1:61
	v_add_f64 v[16:17], v[16:17], -v[26:27]
	;; [unrolled: 8-line block ×6, first 2 shown]
	s_waitcnt lgkmcnt(0)
	v_mul_f64 v[26:27], v[144:145], v[140:141]
	v_fma_f64 v[26:27], v[142:143], v[24:25], -v[26:27]
	v_mul_f64 v[142:143], v[142:143], v[140:141]
	v_fmac_f64_e32 v[142:143], v[144:145], v[24:25]
	v_add_f64 v[136:137], v[136:137], -v[26:27]
	v_add_f64 v[138:139], v[138:139], -v[142:143]
	v_mov_b64_e32 v[26:27], v[140:141]
.LBB69_253:
	s_or_b64 exec, exec, s[2:3]
	v_cmp_eq_u32_e32 vcc, 28, v166
	s_barrier
	s_and_saveexec_b64 s[4:5], vcc
	s_cbranch_execz .LBB69_260
; %bb.254:
	s_waitcnt vmcnt(30)
	ds_write2_b64 v167, v[20:21], v[22:23] offset1:1
	s_waitcnt vmcnt(29)
	ds_write2_b64 v168, v[16:17], v[18:19] offset0:58 offset1:59
	s_waitcnt vmcnt(28)
	ds_write2_b64 v168, v[12:13], v[14:15] offset0:60 offset1:61
	;; [unrolled: 2-line block ×6, first 2 shown]
	ds_read2_b64 v[140:143], v167 offset1:1
	s_waitcnt lgkmcnt(0)
	v_cmp_neq_f64_e32 vcc, 0, v[140:141]
	v_cmp_neq_f64_e64 s[2:3], 0, v[142:143]
	s_or_b64 s[2:3], vcc, s[2:3]
	s_and_b64 exec, exec, s[2:3]
	s_cbranch_execz .LBB69_260
; %bb.255:
	v_cmp_ngt_f64_e64 s[2:3], |v[140:141]|, |v[142:143]|
                                        ; implicit-def: $vgpr144_vgpr145
	s_and_saveexec_b64 s[10:11], s[2:3]
	s_xor_b64 s[2:3], exec, s[10:11]
                                        ; implicit-def: $vgpr146_vgpr147
	s_cbranch_execz .LBB69_257
; %bb.256:
	v_div_scale_f64 v[144:145], s[10:11], v[142:143], v[142:143], v[140:141]
	v_rcp_f64_e32 v[146:147], v[144:145]
	v_div_scale_f64 v[148:149], vcc, v[140:141], v[142:143], v[140:141]
	v_fma_f64 v[150:151], -v[144:145], v[146:147], 1.0
	v_fmac_f64_e32 v[146:147], v[146:147], v[150:151]
	v_fma_f64 v[150:151], -v[144:145], v[146:147], 1.0
	v_fmac_f64_e32 v[146:147], v[146:147], v[150:151]
	v_mul_f64 v[150:151], v[148:149], v[146:147]
	v_fma_f64 v[144:145], -v[144:145], v[150:151], v[148:149]
	v_div_fmas_f64 v[144:145], v[144:145], v[146:147], v[150:151]
	v_div_fixup_f64 v[144:145], v[144:145], v[142:143], v[140:141]
	v_fmac_f64_e32 v[142:143], v[140:141], v[144:145]
	v_div_scale_f64 v[140:141], s[10:11], v[142:143], v[142:143], 1.0
	v_rcp_f64_e32 v[146:147], v[140:141]
	s_nop 0
	v_fma_f64 v[148:149], -v[140:141], v[146:147], 1.0
	v_fmac_f64_e32 v[146:147], v[146:147], v[148:149]
	v_fma_f64 v[148:149], -v[140:141], v[146:147], 1.0
	v_fmac_f64_e32 v[146:147], v[146:147], v[148:149]
	v_div_scale_f64 v[148:149], vcc, 1.0, v[142:143], 1.0
	v_mul_f64 v[150:151], v[148:149], v[146:147]
	v_fma_f64 v[140:141], -v[140:141], v[150:151], v[148:149]
	s_nop 1
	v_div_fmas_f64 v[140:141], v[140:141], v[146:147], v[150:151]
	v_div_fixup_f64 v[146:147], v[140:141], v[142:143], 1.0
	v_mul_f64 v[144:145], v[144:145], v[146:147]
	v_xor_b32_e32 v147, 0x80000000, v147
                                        ; implicit-def: $vgpr140_vgpr141
.LBB69_257:
	s_andn2_saveexec_b64 s[2:3], s[2:3]
	s_cbranch_execz .LBB69_259
; %bb.258:
	v_div_scale_f64 v[144:145], s[10:11], v[140:141], v[140:141], v[142:143]
	v_rcp_f64_e32 v[146:147], v[144:145]
	v_div_scale_f64 v[148:149], vcc, v[142:143], v[140:141], v[142:143]
	v_fma_f64 v[150:151], -v[144:145], v[146:147], 1.0
	v_fmac_f64_e32 v[146:147], v[146:147], v[150:151]
	v_fma_f64 v[150:151], -v[144:145], v[146:147], 1.0
	v_fmac_f64_e32 v[146:147], v[146:147], v[150:151]
	v_mul_f64 v[150:151], v[148:149], v[146:147]
	v_fma_f64 v[144:145], -v[144:145], v[150:151], v[148:149]
	v_div_fmas_f64 v[144:145], v[144:145], v[146:147], v[150:151]
	v_div_fixup_f64 v[146:147], v[144:145], v[140:141], v[142:143]
	v_fmac_f64_e32 v[140:141], v[142:143], v[146:147]
	v_div_scale_f64 v[142:143], s[10:11], v[140:141], v[140:141], 1.0
	v_rcp_f64_e32 v[144:145], v[142:143]
	s_nop 0
	v_fma_f64 v[148:149], -v[142:143], v[144:145], 1.0
	v_fmac_f64_e32 v[144:145], v[144:145], v[148:149]
	v_fma_f64 v[148:149], -v[142:143], v[144:145], 1.0
	v_fmac_f64_e32 v[144:145], v[144:145], v[148:149]
	v_div_scale_f64 v[148:149], vcc, 1.0, v[140:141], 1.0
	v_mul_f64 v[150:151], v[148:149], v[144:145]
	v_fma_f64 v[142:143], -v[142:143], v[150:151], v[148:149]
	s_nop 1
	v_div_fmas_f64 v[142:143], v[142:143], v[144:145], v[150:151]
	v_div_fixup_f64 v[144:145], v[142:143], v[140:141], 1.0
	v_mul_f64 v[146:147], v[146:147], -v[144:145]
.LBB69_259:
	s_or_b64 exec, exec, s[2:3]
	ds_write2_b64 v167, v[144:145], v[146:147] offset1:1
.LBB69_260:
	s_or_b64 exec, exec, s[4:5]
	s_waitcnt lgkmcnt(0)
	s_barrier
	ds_read2_b64 v[140:143], v167 offset1:1
	v_cmp_lt_u32_e32 vcc, 28, v166
	s_waitcnt lgkmcnt(0)
	scratch_store_dwordx4 off, v[140:143], off offset:392 ; 16-byte Folded Spill
	s_and_saveexec_b64 s[2:3], vcc
	s_cbranch_execz .LBB69_262
; %bb.261:
	scratch_load_dwordx4 v[140:143], off, off offset:392 ; 16-byte Folded Reload
	s_waitcnt vmcnt(0)
	v_mul_f64 v[144:145], v[140:141], v[22:23]
	v_mul_f64 v[22:23], v[142:143], v[22:23]
	v_fmac_f64_e32 v[144:145], v[142:143], v[20:21]
	v_fma_f64 v[20:21], v[140:141], v[20:21], -v[22:23]
	ds_read2_b64 v[140:143], v168 offset0:58 offset1:59
	s_waitcnt lgkmcnt(0)
	v_mul_f64 v[22:23], v[142:143], v[144:145]
	v_fma_f64 v[22:23], v[140:141], v[20:21], -v[22:23]
	v_mul_f64 v[140:141], v[140:141], v[144:145]
	v_fmac_f64_e32 v[140:141], v[142:143], v[20:21]
	v_add_f64 v[18:19], v[18:19], -v[140:141]
	ds_read2_b64 v[140:143], v168 offset0:60 offset1:61
	v_add_f64 v[16:17], v[16:17], -v[22:23]
	s_waitcnt lgkmcnt(0)
	v_mul_f64 v[22:23], v[142:143], v[144:145]
	v_fma_f64 v[22:23], v[140:141], v[20:21], -v[22:23]
	v_mul_f64 v[140:141], v[140:141], v[144:145]
	v_fmac_f64_e32 v[140:141], v[142:143], v[20:21]
	v_add_f64 v[14:15], v[14:15], -v[140:141]
	ds_read2_b64 v[140:143], v168 offset0:62 offset1:63
	v_add_f64 v[12:13], v[12:13], -v[22:23]
	;; [unrolled: 8-line block ×5, first 2 shown]
	s_waitcnt lgkmcnt(0)
	v_mul_f64 v[22:23], v[142:143], v[144:145]
	v_fma_f64 v[22:23], v[140:141], v[20:21], -v[22:23]
	v_mul_f64 v[140:141], v[140:141], v[144:145]
	v_fmac_f64_e32 v[140:141], v[142:143], v[20:21]
	v_add_f64 v[136:137], v[136:137], -v[22:23]
	v_add_f64 v[138:139], v[138:139], -v[140:141]
	v_mov_b64_e32 v[22:23], v[144:145]
.LBB69_262:
	s_or_b64 exec, exec, s[2:3]
	v_cmp_eq_u32_e32 vcc, 29, v166
	s_barrier
	s_and_saveexec_b64 s[4:5], vcc
	s_cbranch_execz .LBB69_269
; %bb.263:
	s_waitcnt vmcnt(30)
	ds_write2_b64 v167, v[16:17], v[18:19] offset1:1
	s_waitcnt vmcnt(29)
	ds_write2_b64 v168, v[12:13], v[14:15] offset0:60 offset1:61
	s_waitcnt vmcnt(28)
	ds_write2_b64 v168, v[8:9], v[10:11] offset0:62 offset1:63
	s_waitcnt vmcnt(27)
	ds_write2_b64 v168, v[4:5], v[6:7] offset0:64 offset1:65
	s_waitcnt vmcnt(26)
	ds_write2_b64 v168, v[0:1], v[2:3] offset0:66 offset1:67
	s_waitcnt vmcnt(25)
	ds_write2_b64 v168, v[136:137], v[138:139] offset0:68 offset1:69
	ds_read2_b64 v[140:143], v167 offset1:1
	s_waitcnt lgkmcnt(0)
	v_cmp_neq_f64_e32 vcc, 0, v[140:141]
	v_cmp_neq_f64_e64 s[2:3], 0, v[142:143]
	s_or_b64 s[2:3], vcc, s[2:3]
	s_and_b64 exec, exec, s[2:3]
	s_cbranch_execz .LBB69_269
; %bb.264:
	v_cmp_ngt_f64_e64 s[2:3], |v[140:141]|, |v[142:143]|
                                        ; implicit-def: $vgpr144_vgpr145
	s_and_saveexec_b64 s[10:11], s[2:3]
	s_xor_b64 s[2:3], exec, s[10:11]
                                        ; implicit-def: $vgpr146_vgpr147
	s_cbranch_execz .LBB69_266
; %bb.265:
	v_div_scale_f64 v[144:145], s[10:11], v[142:143], v[142:143], v[140:141]
	v_rcp_f64_e32 v[146:147], v[144:145]
	v_div_scale_f64 v[148:149], vcc, v[140:141], v[142:143], v[140:141]
	v_fma_f64 v[150:151], -v[144:145], v[146:147], 1.0
	v_fmac_f64_e32 v[146:147], v[146:147], v[150:151]
	v_fma_f64 v[150:151], -v[144:145], v[146:147], 1.0
	v_fmac_f64_e32 v[146:147], v[146:147], v[150:151]
	v_mul_f64 v[150:151], v[148:149], v[146:147]
	v_fma_f64 v[144:145], -v[144:145], v[150:151], v[148:149]
	v_div_fmas_f64 v[144:145], v[144:145], v[146:147], v[150:151]
	v_div_fixup_f64 v[144:145], v[144:145], v[142:143], v[140:141]
	v_fmac_f64_e32 v[142:143], v[140:141], v[144:145]
	v_div_scale_f64 v[140:141], s[10:11], v[142:143], v[142:143], 1.0
	v_rcp_f64_e32 v[146:147], v[140:141]
	s_nop 0
	v_fma_f64 v[148:149], -v[140:141], v[146:147], 1.0
	v_fmac_f64_e32 v[146:147], v[146:147], v[148:149]
	v_fma_f64 v[148:149], -v[140:141], v[146:147], 1.0
	v_fmac_f64_e32 v[146:147], v[146:147], v[148:149]
	v_div_scale_f64 v[148:149], vcc, 1.0, v[142:143], 1.0
	v_mul_f64 v[150:151], v[148:149], v[146:147]
	v_fma_f64 v[140:141], -v[140:141], v[150:151], v[148:149]
	s_nop 1
	v_div_fmas_f64 v[140:141], v[140:141], v[146:147], v[150:151]
	v_div_fixup_f64 v[146:147], v[140:141], v[142:143], 1.0
	v_mul_f64 v[144:145], v[144:145], v[146:147]
	v_xor_b32_e32 v147, 0x80000000, v147
                                        ; implicit-def: $vgpr140_vgpr141
.LBB69_266:
	s_andn2_saveexec_b64 s[2:3], s[2:3]
	s_cbranch_execz .LBB69_268
; %bb.267:
	v_div_scale_f64 v[144:145], s[10:11], v[140:141], v[140:141], v[142:143]
	v_rcp_f64_e32 v[146:147], v[144:145]
	v_div_scale_f64 v[148:149], vcc, v[142:143], v[140:141], v[142:143]
	v_fma_f64 v[150:151], -v[144:145], v[146:147], 1.0
	v_fmac_f64_e32 v[146:147], v[146:147], v[150:151]
	v_fma_f64 v[150:151], -v[144:145], v[146:147], 1.0
	v_fmac_f64_e32 v[146:147], v[146:147], v[150:151]
	v_mul_f64 v[150:151], v[148:149], v[146:147]
	v_fma_f64 v[144:145], -v[144:145], v[150:151], v[148:149]
	v_div_fmas_f64 v[144:145], v[144:145], v[146:147], v[150:151]
	v_div_fixup_f64 v[146:147], v[144:145], v[140:141], v[142:143]
	v_fmac_f64_e32 v[140:141], v[142:143], v[146:147]
	v_div_scale_f64 v[142:143], s[10:11], v[140:141], v[140:141], 1.0
	v_rcp_f64_e32 v[144:145], v[142:143]
	s_nop 0
	v_fma_f64 v[148:149], -v[142:143], v[144:145], 1.0
	v_fmac_f64_e32 v[144:145], v[144:145], v[148:149]
	v_fma_f64 v[148:149], -v[142:143], v[144:145], 1.0
	v_fmac_f64_e32 v[144:145], v[144:145], v[148:149]
	v_div_scale_f64 v[148:149], vcc, 1.0, v[140:141], 1.0
	v_mul_f64 v[150:151], v[148:149], v[144:145]
	v_fma_f64 v[142:143], -v[142:143], v[150:151], v[148:149]
	s_nop 1
	v_div_fmas_f64 v[142:143], v[142:143], v[144:145], v[150:151]
	v_div_fixup_f64 v[144:145], v[142:143], v[140:141], 1.0
	v_mul_f64 v[146:147], v[146:147], -v[144:145]
.LBB69_268:
	s_or_b64 exec, exec, s[2:3]
	ds_write2_b64 v167, v[144:145], v[146:147] offset1:1
.LBB69_269:
	s_or_b64 exec, exec, s[4:5]
	s_waitcnt lgkmcnt(0)
	s_barrier
	ds_read2_b64 v[140:143], v167 offset1:1
	v_cmp_lt_u32_e32 vcc, 29, v166
	s_and_saveexec_b64 s[2:3], vcc
	s_cbranch_execz .LBB69_271
; %bb.270:
	ds_read2_b64 v[144:147], v168 offset0:60 offset1:61
	s_waitcnt vmcnt(30) lgkmcnt(1)
	v_mul_f64 v[148:149], v[140:141], v[18:19]
	v_fmac_f64_e32 v[148:149], v[142:143], v[16:17]
	v_mul_f64 v[18:19], v[142:143], v[18:19]
	v_fma_f64 v[16:17], v[140:141], v[16:17], -v[18:19]
	s_waitcnt lgkmcnt(0)
	v_mul_f64 v[18:19], v[146:147], v[148:149]
	v_fma_f64 v[18:19], v[144:145], v[16:17], -v[18:19]
	v_mul_f64 v[144:145], v[144:145], v[148:149]
	v_fmac_f64_e32 v[144:145], v[146:147], v[16:17]
	s_waitcnt vmcnt(29)
	v_add_f64 v[14:15], v[14:15], -v[144:145]
	ds_read2_b64 v[144:147], v168 offset0:62 offset1:63
	v_add_f64 v[12:13], v[12:13], -v[18:19]
	s_waitcnt lgkmcnt(0)
	v_mul_f64 v[18:19], v[146:147], v[148:149]
	v_fma_f64 v[18:19], v[144:145], v[16:17], -v[18:19]
	v_mul_f64 v[144:145], v[144:145], v[148:149]
	v_fmac_f64_e32 v[144:145], v[146:147], v[16:17]
	s_waitcnt vmcnt(28)
	v_add_f64 v[10:11], v[10:11], -v[144:145]
	ds_read2_b64 v[144:147], v168 offset0:64 offset1:65
	v_add_f64 v[8:9], v[8:9], -v[18:19]
	;; [unrolled: 9-line block ×4, first 2 shown]
	s_waitcnt lgkmcnt(0)
	v_mul_f64 v[18:19], v[146:147], v[148:149]
	v_fma_f64 v[18:19], v[144:145], v[16:17], -v[18:19]
	v_mul_f64 v[144:145], v[144:145], v[148:149]
	v_fmac_f64_e32 v[144:145], v[146:147], v[16:17]
	s_waitcnt vmcnt(25)
	v_add_f64 v[136:137], v[136:137], -v[18:19]
	v_add_f64 v[138:139], v[138:139], -v[144:145]
	v_mov_b64_e32 v[18:19], v[148:149]
.LBB69_271:
	s_or_b64 exec, exec, s[2:3]
	v_cmp_eq_u32_e32 vcc, 30, v166
	s_waitcnt lgkmcnt(0)
	s_barrier
	s_and_saveexec_b64 s[4:5], vcc
	s_cbranch_execz .LBB69_278
; %bb.272:
	s_waitcnt vmcnt(29)
	ds_write2_b64 v167, v[12:13], v[14:15] offset1:1
	s_waitcnt vmcnt(28)
	ds_write2_b64 v168, v[8:9], v[10:11] offset0:62 offset1:63
	s_waitcnt vmcnt(27)
	ds_write2_b64 v168, v[4:5], v[6:7] offset0:64 offset1:65
	;; [unrolled: 2-line block ×4, first 2 shown]
	ds_read2_b64 v[144:147], v167 offset1:1
	s_waitcnt lgkmcnt(0)
	v_cmp_neq_f64_e32 vcc, 0, v[144:145]
	v_cmp_neq_f64_e64 s[2:3], 0, v[146:147]
	s_or_b64 s[2:3], vcc, s[2:3]
	s_and_b64 exec, exec, s[2:3]
	s_cbranch_execz .LBB69_278
; %bb.273:
	v_cmp_ngt_f64_e64 s[2:3], |v[144:145]|, |v[146:147]|
                                        ; implicit-def: $vgpr148_vgpr149
	s_and_saveexec_b64 s[10:11], s[2:3]
	s_xor_b64 s[2:3], exec, s[10:11]
                                        ; implicit-def: $vgpr150_vgpr151
	s_cbranch_execz .LBB69_275
; %bb.274:
	v_div_scale_f64 v[148:149], s[10:11], v[146:147], v[146:147], v[144:145]
	v_rcp_f64_e32 v[150:151], v[148:149]
	v_div_scale_f64 v[152:153], vcc, v[144:145], v[146:147], v[144:145]
	v_fma_f64 v[154:155], -v[148:149], v[150:151], 1.0
	v_fmac_f64_e32 v[150:151], v[150:151], v[154:155]
	v_fma_f64 v[154:155], -v[148:149], v[150:151], 1.0
	v_fmac_f64_e32 v[150:151], v[150:151], v[154:155]
	v_mul_f64 v[154:155], v[152:153], v[150:151]
	v_fma_f64 v[148:149], -v[148:149], v[154:155], v[152:153]
	v_div_fmas_f64 v[148:149], v[148:149], v[150:151], v[154:155]
	v_div_fixup_f64 v[148:149], v[148:149], v[146:147], v[144:145]
	v_fmac_f64_e32 v[146:147], v[144:145], v[148:149]
	v_div_scale_f64 v[144:145], s[10:11], v[146:147], v[146:147], 1.0
	v_rcp_f64_e32 v[150:151], v[144:145]
	s_nop 0
	v_fma_f64 v[152:153], -v[144:145], v[150:151], 1.0
	v_fmac_f64_e32 v[150:151], v[150:151], v[152:153]
	v_fma_f64 v[152:153], -v[144:145], v[150:151], 1.0
	v_fmac_f64_e32 v[150:151], v[150:151], v[152:153]
	v_div_scale_f64 v[152:153], vcc, 1.0, v[146:147], 1.0
	v_mul_f64 v[154:155], v[152:153], v[150:151]
	v_fma_f64 v[144:145], -v[144:145], v[154:155], v[152:153]
	s_nop 1
	v_div_fmas_f64 v[144:145], v[144:145], v[150:151], v[154:155]
	v_div_fixup_f64 v[150:151], v[144:145], v[146:147], 1.0
	v_mul_f64 v[148:149], v[148:149], v[150:151]
	v_xor_b32_e32 v151, 0x80000000, v151
                                        ; implicit-def: $vgpr144_vgpr145
.LBB69_275:
	s_andn2_saveexec_b64 s[2:3], s[2:3]
	s_cbranch_execz .LBB69_277
; %bb.276:
	v_div_scale_f64 v[148:149], s[10:11], v[144:145], v[144:145], v[146:147]
	v_rcp_f64_e32 v[150:151], v[148:149]
	v_div_scale_f64 v[152:153], vcc, v[146:147], v[144:145], v[146:147]
	v_fma_f64 v[154:155], -v[148:149], v[150:151], 1.0
	v_fmac_f64_e32 v[150:151], v[150:151], v[154:155]
	v_fma_f64 v[154:155], -v[148:149], v[150:151], 1.0
	v_fmac_f64_e32 v[150:151], v[150:151], v[154:155]
	v_mul_f64 v[154:155], v[152:153], v[150:151]
	v_fma_f64 v[148:149], -v[148:149], v[154:155], v[152:153]
	v_div_fmas_f64 v[148:149], v[148:149], v[150:151], v[154:155]
	v_div_fixup_f64 v[150:151], v[148:149], v[144:145], v[146:147]
	v_fmac_f64_e32 v[144:145], v[146:147], v[150:151]
	v_div_scale_f64 v[146:147], s[10:11], v[144:145], v[144:145], 1.0
	v_rcp_f64_e32 v[148:149], v[146:147]
	s_nop 0
	v_fma_f64 v[152:153], -v[146:147], v[148:149], 1.0
	v_fmac_f64_e32 v[148:149], v[148:149], v[152:153]
	v_fma_f64 v[152:153], -v[146:147], v[148:149], 1.0
	v_fmac_f64_e32 v[148:149], v[148:149], v[152:153]
	v_div_scale_f64 v[152:153], vcc, 1.0, v[144:145], 1.0
	v_mul_f64 v[154:155], v[152:153], v[148:149]
	v_fma_f64 v[146:147], -v[146:147], v[154:155], v[152:153]
	s_nop 1
	v_div_fmas_f64 v[146:147], v[146:147], v[148:149], v[154:155]
	v_div_fixup_f64 v[148:149], v[146:147], v[144:145], 1.0
	v_mul_f64 v[150:151], v[150:151], -v[148:149]
.LBB69_277:
	s_or_b64 exec, exec, s[2:3]
	ds_write2_b64 v167, v[148:149], v[150:151] offset1:1
.LBB69_278:
	s_or_b64 exec, exec, s[4:5]
	s_waitcnt lgkmcnt(0)
	s_barrier
	ds_read2_b64 v[144:147], v167 offset1:1
	v_cmp_lt_u32_e32 vcc, 30, v166
	s_and_saveexec_b64 s[2:3], vcc
	s_cbranch_execz .LBB69_280
; %bb.279:
	ds_read2_b64 v[148:151], v168 offset0:62 offset1:63
	s_waitcnt vmcnt(29) lgkmcnt(1)
	v_mul_f64 v[152:153], v[144:145], v[14:15]
	v_fmac_f64_e32 v[152:153], v[146:147], v[12:13]
	v_mul_f64 v[14:15], v[146:147], v[14:15]
	v_fma_f64 v[12:13], v[144:145], v[12:13], -v[14:15]
	s_waitcnt lgkmcnt(0)
	v_mul_f64 v[14:15], v[150:151], v[152:153]
	v_fma_f64 v[14:15], v[148:149], v[12:13], -v[14:15]
	v_mul_f64 v[148:149], v[148:149], v[152:153]
	v_fmac_f64_e32 v[148:149], v[150:151], v[12:13]
	s_waitcnt vmcnt(28)
	v_add_f64 v[10:11], v[10:11], -v[148:149]
	ds_read2_b64 v[148:151], v168 offset0:64 offset1:65
	v_add_f64 v[8:9], v[8:9], -v[14:15]
	s_waitcnt lgkmcnt(0)
	v_mul_f64 v[14:15], v[150:151], v[152:153]
	v_fma_f64 v[14:15], v[148:149], v[12:13], -v[14:15]
	v_mul_f64 v[148:149], v[148:149], v[152:153]
	v_fmac_f64_e32 v[148:149], v[150:151], v[12:13]
	s_waitcnt vmcnt(27)
	v_add_f64 v[6:7], v[6:7], -v[148:149]
	ds_read2_b64 v[148:151], v168 offset0:66 offset1:67
	v_add_f64 v[4:5], v[4:5], -v[14:15]
	;; [unrolled: 9-line block ×3, first 2 shown]
	s_waitcnt lgkmcnt(0)
	v_mul_f64 v[14:15], v[150:151], v[152:153]
	v_fma_f64 v[14:15], v[148:149], v[12:13], -v[14:15]
	v_mul_f64 v[148:149], v[148:149], v[152:153]
	v_fmac_f64_e32 v[148:149], v[150:151], v[12:13]
	s_waitcnt vmcnt(25)
	v_add_f64 v[136:137], v[136:137], -v[14:15]
	v_add_f64 v[138:139], v[138:139], -v[148:149]
	v_mov_b64_e32 v[14:15], v[152:153]
.LBB69_280:
	s_or_b64 exec, exec, s[2:3]
	v_cmp_eq_u32_e32 vcc, 31, v166
	s_waitcnt lgkmcnt(0)
	s_barrier
	s_and_saveexec_b64 s[4:5], vcc
	s_cbranch_execz .LBB69_287
; %bb.281:
	s_waitcnt vmcnt(28)
	ds_write2_b64 v167, v[8:9], v[10:11] offset1:1
	s_waitcnt vmcnt(27)
	ds_write2_b64 v168, v[4:5], v[6:7] offset0:64 offset1:65
	s_waitcnt vmcnt(26)
	ds_write2_b64 v168, v[0:1], v[2:3] offset0:66 offset1:67
	;; [unrolled: 2-line block ×3, first 2 shown]
	ds_read2_b64 v[148:151], v167 offset1:1
	s_waitcnt lgkmcnt(0)
	v_cmp_neq_f64_e32 vcc, 0, v[148:149]
	v_cmp_neq_f64_e64 s[2:3], 0, v[150:151]
	s_or_b64 s[2:3], vcc, s[2:3]
	s_and_b64 exec, exec, s[2:3]
	s_cbranch_execz .LBB69_287
; %bb.282:
	v_cmp_ngt_f64_e64 s[2:3], |v[148:149]|, |v[150:151]|
                                        ; implicit-def: $vgpr152_vgpr153
	s_and_saveexec_b64 s[10:11], s[2:3]
	s_xor_b64 s[2:3], exec, s[10:11]
                                        ; implicit-def: $vgpr154_vgpr155
	s_cbranch_execz .LBB69_284
; %bb.283:
	v_div_scale_f64 v[152:153], s[10:11], v[150:151], v[150:151], v[148:149]
	v_rcp_f64_e32 v[154:155], v[152:153]
	v_div_scale_f64 v[156:157], vcc, v[148:149], v[150:151], v[148:149]
	v_fma_f64 v[158:159], -v[152:153], v[154:155], 1.0
	v_fmac_f64_e32 v[154:155], v[154:155], v[158:159]
	v_fma_f64 v[158:159], -v[152:153], v[154:155], 1.0
	v_fmac_f64_e32 v[154:155], v[154:155], v[158:159]
	v_mul_f64 v[158:159], v[156:157], v[154:155]
	v_fma_f64 v[152:153], -v[152:153], v[158:159], v[156:157]
	v_div_fmas_f64 v[152:153], v[152:153], v[154:155], v[158:159]
	v_div_fixup_f64 v[152:153], v[152:153], v[150:151], v[148:149]
	v_fmac_f64_e32 v[150:151], v[148:149], v[152:153]
	v_div_scale_f64 v[148:149], s[10:11], v[150:151], v[150:151], 1.0
	v_rcp_f64_e32 v[154:155], v[148:149]
	s_nop 0
	v_fma_f64 v[156:157], -v[148:149], v[154:155], 1.0
	v_fmac_f64_e32 v[154:155], v[154:155], v[156:157]
	v_fma_f64 v[156:157], -v[148:149], v[154:155], 1.0
	v_fmac_f64_e32 v[154:155], v[154:155], v[156:157]
	v_div_scale_f64 v[156:157], vcc, 1.0, v[150:151], 1.0
	v_mul_f64 v[158:159], v[156:157], v[154:155]
	v_fma_f64 v[148:149], -v[148:149], v[158:159], v[156:157]
	s_nop 1
	v_div_fmas_f64 v[148:149], v[148:149], v[154:155], v[158:159]
	v_div_fixup_f64 v[154:155], v[148:149], v[150:151], 1.0
	v_mul_f64 v[152:153], v[152:153], v[154:155]
	v_xor_b32_e32 v155, 0x80000000, v155
                                        ; implicit-def: $vgpr148_vgpr149
.LBB69_284:
	s_andn2_saveexec_b64 s[2:3], s[2:3]
	s_cbranch_execz .LBB69_286
; %bb.285:
	v_div_scale_f64 v[152:153], s[10:11], v[148:149], v[148:149], v[150:151]
	v_rcp_f64_e32 v[154:155], v[152:153]
	v_div_scale_f64 v[156:157], vcc, v[150:151], v[148:149], v[150:151]
	v_fma_f64 v[158:159], -v[152:153], v[154:155], 1.0
	v_fmac_f64_e32 v[154:155], v[154:155], v[158:159]
	v_fma_f64 v[158:159], -v[152:153], v[154:155], 1.0
	v_fmac_f64_e32 v[154:155], v[154:155], v[158:159]
	v_mul_f64 v[158:159], v[156:157], v[154:155]
	v_fma_f64 v[152:153], -v[152:153], v[158:159], v[156:157]
	v_div_fmas_f64 v[152:153], v[152:153], v[154:155], v[158:159]
	v_div_fixup_f64 v[154:155], v[152:153], v[148:149], v[150:151]
	v_fmac_f64_e32 v[148:149], v[150:151], v[154:155]
	v_div_scale_f64 v[150:151], s[10:11], v[148:149], v[148:149], 1.0
	v_rcp_f64_e32 v[152:153], v[150:151]
	s_nop 0
	v_fma_f64 v[156:157], -v[150:151], v[152:153], 1.0
	v_fmac_f64_e32 v[152:153], v[152:153], v[156:157]
	v_fma_f64 v[156:157], -v[150:151], v[152:153], 1.0
	v_fmac_f64_e32 v[152:153], v[152:153], v[156:157]
	v_div_scale_f64 v[156:157], vcc, 1.0, v[148:149], 1.0
	v_mul_f64 v[158:159], v[156:157], v[152:153]
	v_fma_f64 v[150:151], -v[150:151], v[158:159], v[156:157]
	s_nop 1
	v_div_fmas_f64 v[150:151], v[150:151], v[152:153], v[158:159]
	v_div_fixup_f64 v[152:153], v[150:151], v[148:149], 1.0
	v_mul_f64 v[154:155], v[154:155], -v[152:153]
.LBB69_286:
	s_or_b64 exec, exec, s[2:3]
	ds_write2_b64 v167, v[152:153], v[154:155] offset1:1
.LBB69_287:
	s_or_b64 exec, exec, s[4:5]
	s_waitcnt lgkmcnt(0)
	s_barrier
	ds_read2_b64 v[148:151], v167 offset1:1
	v_cmp_lt_u32_e32 vcc, 31, v166
	s_and_saveexec_b64 s[2:3], vcc
	s_cbranch_execz .LBB69_289
; %bb.288:
	ds_read2_b64 v[152:155], v168 offset0:64 offset1:65
	s_waitcnt vmcnt(28) lgkmcnt(1)
	v_mul_f64 v[156:157], v[148:149], v[10:11]
	v_fmac_f64_e32 v[156:157], v[150:151], v[8:9]
	v_mul_f64 v[10:11], v[150:151], v[10:11]
	v_fma_f64 v[8:9], v[148:149], v[8:9], -v[10:11]
	s_waitcnt lgkmcnt(0)
	v_mul_f64 v[10:11], v[154:155], v[156:157]
	v_fma_f64 v[10:11], v[152:153], v[8:9], -v[10:11]
	v_mul_f64 v[152:153], v[152:153], v[156:157]
	v_fmac_f64_e32 v[152:153], v[154:155], v[8:9]
	s_waitcnt vmcnt(27)
	v_add_f64 v[6:7], v[6:7], -v[152:153]
	ds_read2_b64 v[152:155], v168 offset0:66 offset1:67
	v_add_f64 v[4:5], v[4:5], -v[10:11]
	s_waitcnt lgkmcnt(0)
	v_mul_f64 v[10:11], v[154:155], v[156:157]
	v_fma_f64 v[10:11], v[152:153], v[8:9], -v[10:11]
	v_mul_f64 v[152:153], v[152:153], v[156:157]
	v_fmac_f64_e32 v[152:153], v[154:155], v[8:9]
	s_waitcnt vmcnt(26)
	v_add_f64 v[2:3], v[2:3], -v[152:153]
	ds_read2_b64 v[152:155], v168 offset0:68 offset1:69
	v_add_f64 v[0:1], v[0:1], -v[10:11]
	s_waitcnt lgkmcnt(0)
	v_mul_f64 v[10:11], v[154:155], v[156:157]
	v_fma_f64 v[10:11], v[152:153], v[8:9], -v[10:11]
	v_mul_f64 v[152:153], v[152:153], v[156:157]
	v_fmac_f64_e32 v[152:153], v[154:155], v[8:9]
	s_waitcnt vmcnt(25)
	v_add_f64 v[136:137], v[136:137], -v[10:11]
	v_add_f64 v[138:139], v[138:139], -v[152:153]
	v_mov_b64_e32 v[10:11], v[156:157]
.LBB69_289:
	s_or_b64 exec, exec, s[2:3]
	v_cmp_eq_u32_e32 vcc, 32, v166
	s_waitcnt lgkmcnt(0)
	s_barrier
	s_and_saveexec_b64 s[4:5], vcc
	s_cbranch_execz .LBB69_296
; %bb.290:
	s_waitcnt vmcnt(27)
	ds_write2_b64 v167, v[4:5], v[6:7] offset1:1
	s_waitcnt vmcnt(26)
	ds_write2_b64 v168, v[0:1], v[2:3] offset0:66 offset1:67
	s_waitcnt vmcnt(25)
	ds_write2_b64 v168, v[136:137], v[138:139] offset0:68 offset1:69
	ds_read2_b64 v[152:155], v167 offset1:1
	s_waitcnt lgkmcnt(0)
	v_cmp_neq_f64_e32 vcc, 0, v[152:153]
	v_cmp_neq_f64_e64 s[2:3], 0, v[154:155]
	s_or_b64 s[2:3], vcc, s[2:3]
	s_and_b64 exec, exec, s[2:3]
	s_cbranch_execz .LBB69_296
; %bb.291:
	v_cmp_ngt_f64_e64 s[2:3], |v[152:153]|, |v[154:155]|
                                        ; implicit-def: $vgpr156_vgpr157
	s_and_saveexec_b64 s[10:11], s[2:3]
	s_xor_b64 s[2:3], exec, s[10:11]
                                        ; implicit-def: $vgpr158_vgpr159
	s_cbranch_execz .LBB69_293
; %bb.292:
	v_div_scale_f64 v[156:157], s[10:11], v[154:155], v[154:155], v[152:153]
	v_rcp_f64_e32 v[158:159], v[156:157]
	v_div_scale_f64 v[160:161], vcc, v[152:153], v[154:155], v[152:153]
	v_fma_f64 v[162:163], -v[156:157], v[158:159], 1.0
	v_fmac_f64_e32 v[158:159], v[158:159], v[162:163]
	v_fma_f64 v[162:163], -v[156:157], v[158:159], 1.0
	v_fmac_f64_e32 v[158:159], v[158:159], v[162:163]
	v_mul_f64 v[162:163], v[160:161], v[158:159]
	v_fma_f64 v[156:157], -v[156:157], v[162:163], v[160:161]
	v_div_fmas_f64 v[156:157], v[156:157], v[158:159], v[162:163]
	v_div_fixup_f64 v[156:157], v[156:157], v[154:155], v[152:153]
	v_fmac_f64_e32 v[154:155], v[152:153], v[156:157]
	v_div_scale_f64 v[152:153], s[10:11], v[154:155], v[154:155], 1.0
	v_rcp_f64_e32 v[158:159], v[152:153]
	s_nop 0
	v_fma_f64 v[160:161], -v[152:153], v[158:159], 1.0
	v_fmac_f64_e32 v[158:159], v[158:159], v[160:161]
	v_fma_f64 v[160:161], -v[152:153], v[158:159], 1.0
	v_fmac_f64_e32 v[158:159], v[158:159], v[160:161]
	v_div_scale_f64 v[160:161], vcc, 1.0, v[154:155], 1.0
	v_mul_f64 v[162:163], v[160:161], v[158:159]
	v_fma_f64 v[152:153], -v[152:153], v[162:163], v[160:161]
	s_nop 1
	v_div_fmas_f64 v[152:153], v[152:153], v[158:159], v[162:163]
	v_div_fixup_f64 v[158:159], v[152:153], v[154:155], 1.0
	v_mul_f64 v[156:157], v[156:157], v[158:159]
	v_xor_b32_e32 v159, 0x80000000, v159
                                        ; implicit-def: $vgpr152_vgpr153
.LBB69_293:
	s_andn2_saveexec_b64 s[2:3], s[2:3]
	s_cbranch_execz .LBB69_295
; %bb.294:
	v_div_scale_f64 v[156:157], s[10:11], v[152:153], v[152:153], v[154:155]
	v_rcp_f64_e32 v[158:159], v[156:157]
	v_div_scale_f64 v[160:161], vcc, v[154:155], v[152:153], v[154:155]
	v_fma_f64 v[162:163], -v[156:157], v[158:159], 1.0
	v_fmac_f64_e32 v[158:159], v[158:159], v[162:163]
	v_fma_f64 v[162:163], -v[156:157], v[158:159], 1.0
	v_fmac_f64_e32 v[158:159], v[158:159], v[162:163]
	v_mul_f64 v[162:163], v[160:161], v[158:159]
	v_fma_f64 v[156:157], -v[156:157], v[162:163], v[160:161]
	v_div_fmas_f64 v[156:157], v[156:157], v[158:159], v[162:163]
	v_div_fixup_f64 v[158:159], v[156:157], v[152:153], v[154:155]
	v_fmac_f64_e32 v[152:153], v[154:155], v[158:159]
	v_div_scale_f64 v[154:155], s[10:11], v[152:153], v[152:153], 1.0
	v_rcp_f64_e32 v[156:157], v[154:155]
	s_nop 0
	v_fma_f64 v[160:161], -v[154:155], v[156:157], 1.0
	v_fmac_f64_e32 v[156:157], v[156:157], v[160:161]
	v_fma_f64 v[160:161], -v[154:155], v[156:157], 1.0
	v_fmac_f64_e32 v[156:157], v[156:157], v[160:161]
	v_div_scale_f64 v[160:161], vcc, 1.0, v[152:153], 1.0
	v_mul_f64 v[162:163], v[160:161], v[156:157]
	v_fma_f64 v[154:155], -v[154:155], v[162:163], v[160:161]
	s_nop 1
	v_div_fmas_f64 v[154:155], v[154:155], v[156:157], v[162:163]
	v_div_fixup_f64 v[156:157], v[154:155], v[152:153], 1.0
	v_mul_f64 v[158:159], v[158:159], -v[156:157]
.LBB69_295:
	s_or_b64 exec, exec, s[2:3]
	ds_write2_b64 v167, v[156:157], v[158:159] offset1:1
.LBB69_296:
	s_or_b64 exec, exec, s[4:5]
	s_waitcnt lgkmcnt(0)
	s_barrier
	ds_read2_b64 v[152:155], v167 offset1:1
	v_cmp_lt_u32_e32 vcc, 32, v166
	s_and_saveexec_b64 s[2:3], vcc
	s_cbranch_execz .LBB69_298
; %bb.297:
	ds_read2_b64 v[156:159], v168 offset0:66 offset1:67
	s_waitcnt vmcnt(27) lgkmcnt(1)
	v_mul_f64 v[160:161], v[152:153], v[6:7]
	v_fmac_f64_e32 v[160:161], v[154:155], v[4:5]
	v_mul_f64 v[6:7], v[154:155], v[6:7]
	v_fma_f64 v[4:5], v[152:153], v[4:5], -v[6:7]
	s_waitcnt lgkmcnt(0)
	v_mul_f64 v[6:7], v[158:159], v[160:161]
	v_fma_f64 v[6:7], v[156:157], v[4:5], -v[6:7]
	v_mul_f64 v[156:157], v[156:157], v[160:161]
	v_fmac_f64_e32 v[156:157], v[158:159], v[4:5]
	s_waitcnt vmcnt(26)
	v_add_f64 v[2:3], v[2:3], -v[156:157]
	ds_read2_b64 v[156:159], v168 offset0:68 offset1:69
	v_add_f64 v[0:1], v[0:1], -v[6:7]
	s_waitcnt lgkmcnt(0)
	v_mul_f64 v[6:7], v[158:159], v[160:161]
	v_fma_f64 v[6:7], v[156:157], v[4:5], -v[6:7]
	v_mul_f64 v[156:157], v[156:157], v[160:161]
	v_fmac_f64_e32 v[156:157], v[158:159], v[4:5]
	s_waitcnt vmcnt(25)
	v_add_f64 v[136:137], v[136:137], -v[6:7]
	v_add_f64 v[138:139], v[138:139], -v[156:157]
	v_mov_b64_e32 v[6:7], v[160:161]
.LBB69_298:
	s_or_b64 exec, exec, s[2:3]
	v_cmp_eq_u32_e32 vcc, 33, v166
	s_waitcnt lgkmcnt(0)
	s_barrier
	s_and_saveexec_b64 s[4:5], vcc
	s_cbranch_execz .LBB69_305
; %bb.299:
	s_waitcnt vmcnt(26)
	ds_write2_b64 v167, v[0:1], v[2:3] offset1:1
	s_waitcnt vmcnt(25)
	ds_write2_b64 v168, v[136:137], v[138:139] offset0:68 offset1:69
	ds_read2_b64 v[156:159], v167 offset1:1
	s_waitcnt lgkmcnt(0)
	v_cmp_neq_f64_e32 vcc, 0, v[156:157]
	v_cmp_neq_f64_e64 s[2:3], 0, v[158:159]
	s_or_b64 s[2:3], vcc, s[2:3]
	s_and_b64 exec, exec, s[2:3]
	s_cbranch_execz .LBB69_305
; %bb.300:
	v_cmp_ngt_f64_e64 s[2:3], |v[156:157]|, |v[158:159]|
                                        ; implicit-def: $vgpr160_vgpr161
	s_and_saveexec_b64 s[10:11], s[2:3]
	s_xor_b64 s[2:3], exec, s[10:11]
                                        ; implicit-def: $vgpr162_vgpr163
	s_cbranch_execz .LBB69_302
; %bb.301:
	v_mov_b64_e32 v[62:63], v[6:7]
	v_mov_b64_e32 v[60:61], v[4:5]
	;; [unrolled: 1-line block ×29, first 2 shown]
	v_div_scale_f64 v[160:161], s[10:11], v[158:159], v[158:159], v[156:157]
	v_mov_b64_e32 v[50:51], v[54:55]
	v_mov_b64_e32 v[52:53], v[56:57]
	v_rcp_f64_e32 v[162:163], v[160:161]
	v_mov_b64_e32 v[54:55], v[58:59]
	v_mov_b64_e32 v[56:57], v[132:133]
	;; [unrolled: 1-line block ×9, first 2 shown]
	v_fma_f64 v[172:173], -v[160:161], v[162:163], 1.0
	v_fmac_f64_e32 v[162:163], v[162:163], v[172:173]
	v_fma_f64 v[172:173], -v[160:161], v[162:163], 1.0
	v_div_scale_f64 v[170:171], vcc, v[156:157], v[158:159], v[156:157]
	v_fmac_f64_e32 v[162:163], v[162:163], v[172:173]
	v_mul_f64 v[172:173], v[170:171], v[162:163]
	v_fma_f64 v[160:161], -v[160:161], v[172:173], v[170:171]
	s_nop 0
	v_div_fmas_f64 v[160:161], v[160:161], v[162:163], v[172:173]
	v_div_fixup_f64 v[160:161], v[160:161], v[158:159], v[156:157]
	v_fmac_f64_e32 v[158:159], v[156:157], v[160:161]
	v_div_scale_f64 v[156:157], s[10:11], v[158:159], v[158:159], 1.0
	v_rcp_f64_e32 v[162:163], v[156:157]
	s_nop 0
	v_fma_f64 v[170:171], -v[156:157], v[162:163], 1.0
	v_fmac_f64_e32 v[162:163], v[162:163], v[170:171]
	v_fma_f64 v[170:171], -v[156:157], v[162:163], 1.0
	v_fmac_f64_e32 v[162:163], v[162:163], v[170:171]
	v_div_scale_f64 v[170:171], vcc, 1.0, v[158:159], 1.0
	v_mul_f64 v[172:173], v[170:171], v[162:163]
	v_fma_f64 v[156:157], -v[156:157], v[172:173], v[170:171]
	s_nop 1
	v_div_fmas_f64 v[156:157], v[156:157], v[162:163], v[172:173]
	v_mov_b64_e32 v[172:173], v[130:131]
	v_mov_b64_e32 v[170:171], v[128:129]
	v_mov_b64_e32 v[130:131], v[126:127]
	v_mov_b64_e32 v[128:129], v[124:125]
	v_mov_b64_e32 v[124:125], v[132:133]
	v_mov_b64_e32 v[126:127], v[134:135]
	v_mov_b64_e32 v[134:135], v[58:59]
	v_mov_b64_e32 v[132:133], v[56:57]
	v_mov_b64_e32 v[58:59], v[54:55]
	v_mov_b64_e32 v[56:57], v[52:53]
	v_mov_b64_e32 v[54:55], v[50:51]
	v_mov_b64_e32 v[52:53], v[48:49]
	v_mov_b64_e32 v[50:51], v[46:47]
	v_mov_b64_e32 v[48:49], v[44:45]
	v_mov_b64_e32 v[46:47], v[42:43]
	v_mov_b64_e32 v[44:45], v[40:41]
	v_mov_b64_e32 v[42:43], v[38:39]
	v_mov_b64_e32 v[40:41], v[36:37]
	v_mov_b64_e32 v[38:39], v[34:35]
	v_mov_b64_e32 v[36:37], v[32:33]
	v_mov_b64_e32 v[34:35], v[30:31]
	v_mov_b64_e32 v[32:33], v[28:29]
	v_mov_b64_e32 v[30:31], v[26:27]
	v_mov_b64_e32 v[28:29], v[24:25]
	v_mov_b64_e32 v[26:27], v[22:23]
	v_mov_b64_e32 v[24:25], v[20:21]
	v_mov_b64_e32 v[22:23], v[18:19]
	v_mov_b64_e32 v[20:21], v[16:17]
	v_mov_b64_e32 v[18:19], v[14:15]
	v_mov_b64_e32 v[16:17], v[12:13]
	v_mov_b64_e32 v[12:13], v[140:141]
	v_mov_b64_e32 v[14:15], v[142:143]
	v_mov_b64_e32 v[140:141], v[144:145]
	v_mov_b64_e32 v[142:143], v[146:147]
	v_mov_b64_e32 v[146:147], v[10:11]
	v_mov_b64_e32 v[144:145], v[8:9]
	v_mov_b64_e32 v[10:11], v[6:7]
	v_mov_b64_e32 v[8:9], v[4:5]
	v_mov_b64_e32 v[4:5], v[60:61]
	v_div_fixup_f64 v[162:163], v[156:157], v[158:159], 1.0
	v_mov_b64_e32 v[6:7], v[62:63]
	v_mul_f64 v[160:161], v[160:161], v[162:163]
	v_xor_b32_e32 v163, 0x80000000, v163
                                        ; implicit-def: $vgpr156_vgpr157
.LBB69_302:
	s_andn2_saveexec_b64 s[2:3], s[2:3]
	s_cbranch_execz .LBB69_304
; %bb.303:
	v_mov_b64_e32 v[62:63], v[6:7]
	v_mov_b64_e32 v[60:61], v[4:5]
	;; [unrolled: 1-line block ×29, first 2 shown]
	v_div_scale_f64 v[160:161], s[10:11], v[156:157], v[156:157], v[158:159]
	v_mov_b64_e32 v[50:51], v[54:55]
	v_mov_b64_e32 v[52:53], v[56:57]
	v_rcp_f64_e32 v[162:163], v[160:161]
	v_mov_b64_e32 v[54:55], v[58:59]
	v_mov_b64_e32 v[56:57], v[132:133]
	;; [unrolled: 1-line block ×9, first 2 shown]
	v_fma_f64 v[172:173], -v[160:161], v[162:163], 1.0
	v_fmac_f64_e32 v[162:163], v[162:163], v[172:173]
	v_fma_f64 v[172:173], -v[160:161], v[162:163], 1.0
	v_div_scale_f64 v[170:171], vcc, v[158:159], v[156:157], v[158:159]
	v_fmac_f64_e32 v[162:163], v[162:163], v[172:173]
	v_mul_f64 v[172:173], v[170:171], v[162:163]
	v_fma_f64 v[160:161], -v[160:161], v[172:173], v[170:171]
	s_nop 0
	v_div_fmas_f64 v[160:161], v[160:161], v[162:163], v[172:173]
	v_div_fixup_f64 v[162:163], v[160:161], v[156:157], v[158:159]
	v_fmac_f64_e32 v[156:157], v[158:159], v[162:163]
	v_div_scale_f64 v[158:159], s[10:11], v[156:157], v[156:157], 1.0
	v_rcp_f64_e32 v[160:161], v[158:159]
	s_nop 0
	v_fma_f64 v[170:171], -v[158:159], v[160:161], 1.0
	v_fmac_f64_e32 v[160:161], v[160:161], v[170:171]
	v_fma_f64 v[170:171], -v[158:159], v[160:161], 1.0
	v_fmac_f64_e32 v[160:161], v[160:161], v[170:171]
	v_div_scale_f64 v[170:171], vcc, 1.0, v[156:157], 1.0
	v_mul_f64 v[172:173], v[170:171], v[160:161]
	v_fma_f64 v[158:159], -v[158:159], v[172:173], v[170:171]
	s_nop 1
	v_div_fmas_f64 v[158:159], v[158:159], v[160:161], v[172:173]
	v_mov_b64_e32 v[172:173], v[130:131]
	v_mov_b64_e32 v[170:171], v[128:129]
	;; [unrolled: 1-line block ×39, first 2 shown]
	v_div_fixup_f64 v[160:161], v[158:159], v[156:157], 1.0
	v_mov_b64_e32 v[6:7], v[62:63]
	v_mul_f64 v[162:163], v[162:163], -v[160:161]
.LBB69_304:
	s_or_b64 exec, exec, s[2:3]
	ds_write2_b64 v167, v[160:161], v[162:163] offset1:1
.LBB69_305:
	s_or_b64 exec, exec, s[4:5]
	s_waitcnt lgkmcnt(0)
	s_barrier
	ds_read2_b64 v[156:159], v167 offset1:1
	v_cmp_lt_u32_e32 vcc, 33, v166
	s_and_saveexec_b64 s[2:3], vcc
	s_cbranch_execz .LBB69_307
; %bb.306:
	ds_read2_b64 v[160:163], v168 offset0:68 offset1:69
	s_waitcnt vmcnt(26) lgkmcnt(1)
	v_mul_f64 v[168:169], v[156:157], v[2:3]
	v_mul_f64 v[2:3], v[158:159], v[2:3]
	v_fmac_f64_e32 v[168:169], v[158:159], v[0:1]
	v_fma_f64 v[0:1], v[156:157], v[0:1], -v[2:3]
	s_waitcnt lgkmcnt(0)
	v_mul_f64 v[2:3], v[162:163], v[168:169]
	v_fma_f64 v[2:3], v[160:161], v[0:1], -v[2:3]
	v_mul_f64 v[160:161], v[160:161], v[168:169]
	v_fmac_f64_e32 v[160:161], v[162:163], v[0:1]
	s_waitcnt vmcnt(25)
	v_add_f64 v[136:137], v[136:137], -v[2:3]
	v_add_f64 v[138:139], v[138:139], -v[160:161]
	v_mov_b64_e32 v[2:3], v[168:169]
.LBB69_307:
	s_or_b64 exec, exec, s[2:3]
	v_cmp_eq_u32_e32 vcc, 34, v166
	s_waitcnt lgkmcnt(0)
	s_barrier
	s_and_saveexec_b64 s[4:5], vcc
	s_cbranch_execz .LBB69_314
; %bb.308:
	s_waitcnt vmcnt(25)
	v_cmp_neq_f64_e32 vcc, 0, v[136:137]
	v_cmp_neq_f64_e64 s[2:3], 0, v[138:139]
	s_or_b64 s[2:3], vcc, s[2:3]
	ds_write2_b64 v167, v[136:137], v[138:139] offset1:1
	s_and_b64 exec, exec, s[2:3]
	s_cbranch_execz .LBB69_314
; %bb.309:
	v_cmp_ngt_f64_e64 s[2:3], |v[136:137]|, |v[138:139]|
                                        ; implicit-def: $vgpr160_vgpr161
	s_mov_b64 s[10:11], exec
	s_and_b64 s[12:13], s[10:11], s[2:3]
	s_xor_b64 s[2:3], s[12:13], s[10:11]
                                        ; implicit-def: $vgpr162_vgpr163
	scratch_store_dwordx4 off, v[140:143], off offset:416 ; 16-byte Folded Spill
	s_mov_b64 exec, s[12:13]
	s_cbranch_execz .LBB69_311
; %bb.310:
	v_mov_b64_e32 v[60:61], v[64:65]
	v_mov_b64_e32 v[62:63], v[66:67]
	;; [unrolled: 1-line block ×31, first 2 shown]
	v_div_scale_f64 v[160:161], s[10:11], v[138:139], v[138:139], v[136:137]
	v_mov_b64_e32 v[114:115], v[118:119]
	v_mov_b64_e32 v[116:117], v[120:121]
	v_rcp_f64_e32 v[162:163], v[160:161]
	v_mov_b64_e32 v[118:119], v[122:123]
	v_mov_b64_e32 v[120:121], v[244:245]
	;; [unrolled: 1-line block ×9, first 2 shown]
	v_fma_f64 v[170:171], -v[160:161], v[162:163], 1.0
	v_fmac_f64_e32 v[162:163], v[162:163], v[170:171]
	v_fma_f64 v[170:171], -v[160:161], v[162:163], 1.0
	scratch_store_dwordx4 off, v[4:7], off offset:432 ; 16-byte Folded Spill
	v_div_scale_f64 v[168:169], vcc, v[136:137], v[138:139], v[136:137]
	s_nop 0
	v_mov_b64_e32 v[4:5], v[8:9]
	v_fmac_f64_e32 v[162:163], v[162:163], v[170:171]
	v_mov_b64_e32 v[6:7], v[10:11]
	v_mov_b64_e32 v[8:9], v[144:145]
	v_mul_f64 v[170:171], v[168:169], v[162:163]
	v_mov_b64_e32 v[10:11], v[146:147]
	v_mov_b64_e32 v[146:147], v[14:15]
	v_fma_f64 v[160:161], -v[160:161], v[170:171], v[168:169]
	v_mov_b64_e32 v[144:145], v[12:13]
	v_mov_b64_e32 v[12:13], v[16:17]
	v_div_fmas_f64 v[160:161], v[160:161], v[162:163], v[170:171]
	v_mov_b64_e32 v[14:15], v[18:19]
	v_mov_b64_e32 v[16:17], v[20:21]
	v_div_fixup_f64 v[160:161], v[160:161], v[138:139], v[136:137]
	v_mov_b64_e32 v[18:19], v[22:23]
	v_mov_b64_e32 v[20:21], v[24:25]
	v_fma_f64 v[162:163], v[136:137], v[160:161], v[138:139]
	v_mov_b64_e32 v[22:23], v[26:27]
	v_mov_b64_e32 v[24:25], v[28:29]
	v_div_scale_f64 v[168:169], s[10:11], v[162:163], v[162:163], 1.0
	v_mov_b64_e32 v[26:27], v[30:31]
	v_mov_b64_e32 v[28:29], v[32:33]
	v_rcp_f64_e32 v[170:171], v[168:169]
	v_mov_b64_e32 v[30:31], v[34:35]
	v_mov_b64_e32 v[32:33], v[36:37]
	;; [unrolled: 1-line block ×8, first 2 shown]
	v_fma_f64 v[172:173], -v[168:169], v[170:171], 1.0
	v_mov_b64_e32 v[46:47], v[50:51]
	v_mov_b64_e32 v[48:49], v[52:53]
	v_fmac_f64_e32 v[170:171], v[170:171], v[172:173]
	v_mov_b64_e32 v[50:51], v[54:55]
	v_mov_b64_e32 v[52:53], v[56:57]
	v_fma_f64 v[172:173], -v[168:169], v[170:171], 1.0
	v_mov_b64_e32 v[54:55], v[58:59]
	v_mov_b64_e32 v[56:57], v[132:133]
	v_fmac_f64_e32 v[170:171], v[170:171], v[172:173]
	v_div_scale_f64 v[172:173], vcc, 1.0, v[162:163], 1.0
	v_mov_b64_e32 v[58:59], v[134:135]
	v_mov_b64_e32 v[132:133], v[176:177]
	v_mov_b64_e32 v[134:135], v[178:179]
	v_mov_b64_e32 v[176:177], v[174:175]
	v_mul_f64 v[174:175], v[172:173], v[170:171]
	v_fma_f64 v[168:169], -v[168:169], v[174:175], v[172:173]
	v_div_fmas_f64 v[168:169], v[168:169], v[170:171], v[174:175]
	v_mov_b64_e32 v[174:175], v[176:177]
	v_mov_b64_e32 v[178:179], v[134:135]
	;; [unrolled: 1-line block ×116, first 2 shown]
	scratch_load_dwordx4 v[140:143], off, off offset:416 ; 16-byte Folded Reload
	v_mov_b64_e32 v[8:9], v[4:5]
	scratch_load_dwordx4 v[4:7], off, off offset:432 ; 16-byte Folded Reload
	v_mov_b64_e32 v[250:251], v[98:99]
	v_mov_b64_e32 v[248:249], v[96:97]
	;; [unrolled: 1-line block ×19, first 2 shown]
	v_div_fixup_f64 v[162:163], v[168:169], v[162:163], 1.0
	v_mov_b64_e32 v[64:65], v[60:61]
	v_mul_f64 v[160:161], v[160:161], v[162:163]
	v_xor_b32_e32 v163, 0x80000000, v163
.LBB69_311:
	s_andn2_saveexec_b64 s[2:3], s[2:3]
	s_cbranch_execz .LBB69_313
; %bb.312:
	s_waitcnt vmcnt(1)
	v_mov_b64_e32 v[142:143], v[66:67]
	v_mov_b64_e32 v[140:141], v[64:65]
	;; [unrolled: 1-line block ×19, first 2 shown]
	scratch_store_dwordx4 off, v[252:255], off offset:432 ; 16-byte Folded Spill
	v_mov_b64_e32 v[98:99], v[250:251]
	v_div_scale_f64 v[160:161], s[10:11], v[136:137], v[136:137], v[138:139]
	v_mov_b64_e32 v[252:253], v[102:103]
	v_mov_b64_e32 v[250:251], v[100:101]
	;; [unrolled: 1-line block ×11, first 2 shown]
	v_rcp_f64_e32 v[162:163], v[160:161]
	v_mov_b64_e32 v[118:119], v[122:123]
	v_mov_b64_e32 v[120:121], v[244:245]
	;; [unrolled: 1-line block ×9, first 2 shown]
	v_fma_f64 v[170:171], -v[160:161], v[162:163], 1.0
	v_fmac_f64_e32 v[162:163], v[162:163], v[170:171]
	s_waitcnt vmcnt(1)
	v_mov_b64_e32 v[62:63], v[6:7]
	v_fma_f64 v[170:171], -v[160:161], v[162:163], 1.0
	v_mov_b64_e32 v[60:61], v[4:5]
	v_mov_b64_e32 v[4:5], v[8:9]
	v_div_scale_f64 v[168:169], vcc, v[138:139], v[136:137], v[138:139]
	v_fmac_f64_e32 v[162:163], v[162:163], v[170:171]
	v_mov_b64_e32 v[6:7], v[10:11]
	v_mov_b64_e32 v[8:9], v[144:145]
	v_mul_f64 v[170:171], v[168:169], v[162:163]
	v_mov_b64_e32 v[10:11], v[146:147]
	v_mov_b64_e32 v[146:147], v[14:15]
	v_fma_f64 v[160:161], -v[160:161], v[170:171], v[168:169]
	v_mov_b64_e32 v[144:145], v[12:13]
	v_mov_b64_e32 v[12:13], v[16:17]
	v_div_fmas_f64 v[160:161], v[160:161], v[162:163], v[170:171]
	v_mov_b64_e32 v[14:15], v[18:19]
	v_mov_b64_e32 v[16:17], v[20:21]
	v_div_fixup_f64 v[162:163], v[160:161], v[136:137], v[138:139]
	v_mov_b64_e32 v[18:19], v[22:23]
	v_mov_b64_e32 v[20:21], v[24:25]
	v_fma_f64 v[160:161], v[138:139], v[162:163], v[136:137]
	v_mov_b64_e32 v[22:23], v[26:27]
	v_mov_b64_e32 v[24:25], v[28:29]
	v_div_scale_f64 v[168:169], s[10:11], v[160:161], v[160:161], 1.0
	v_mov_b64_e32 v[26:27], v[30:31]
	v_mov_b64_e32 v[28:29], v[32:33]
	v_rcp_f64_e32 v[170:171], v[168:169]
	v_mov_b64_e32 v[30:31], v[34:35]
	v_mov_b64_e32 v[32:33], v[36:37]
	v_mov_b64_e32 v[34:35], v[38:39]
	v_mov_b64_e32 v[36:37], v[40:41]
	v_mov_b64_e32 v[38:39], v[42:43]
	v_mov_b64_e32 v[40:41], v[44:45]
	v_mov_b64_e32 v[42:43], v[46:47]
	v_mov_b64_e32 v[44:45], v[48:49]
	v_fma_f64 v[172:173], -v[168:169], v[170:171], 1.0
	v_mov_b64_e32 v[46:47], v[50:51]
	v_mov_b64_e32 v[48:49], v[52:53]
	v_fmac_f64_e32 v[170:171], v[170:171], v[172:173]
	v_mov_b64_e32 v[50:51], v[54:55]
	v_mov_b64_e32 v[52:53], v[56:57]
	v_fma_f64 v[172:173], -v[168:169], v[170:171], 1.0
	v_mov_b64_e32 v[54:55], v[58:59]
	v_mov_b64_e32 v[56:57], v[132:133]
	v_fmac_f64_e32 v[170:171], v[170:171], v[172:173]
	v_div_scale_f64 v[172:173], vcc, 1.0, v[160:161], 1.0
	v_mov_b64_e32 v[58:59], v[134:135]
	v_mov_b64_e32 v[132:133], v[176:177]
	;; [unrolled: 1-line block ×4, first 2 shown]
	v_mul_f64 v[174:175], v[172:173], v[170:171]
	v_fma_f64 v[168:169], -v[168:169], v[174:175], v[172:173]
	v_div_fmas_f64 v[168:169], v[168:169], v[170:171], v[174:175]
	v_mov_b64_e32 v[172:173], v[130:131]
	v_mov_b64_e32 v[170:171], v[128:129]
	;; [unrolled: 1-line block ×102, first 2 shown]
	scratch_load_dwordx4 v[252:255], off, off offset:432 ; 16-byte Folded Reload
	scratch_load_dwordx4 v[140:143], off, off offset:416 ; 16-byte Folded Reload
	v_mov_b64_e32 v[174:175], v[176:177]
	v_mov_b64_e32 v[178:179], v[134:135]
	;; [unrolled: 1-line block ×34, first 2 shown]
	v_div_fixup_f64 v[160:161], v[168:169], v[160:161], 1.0
	v_mov_b64_e32 v[6:7], v[62:63]
	v_mul_f64 v[162:163], v[162:163], -v[160:161]
.LBB69_313:
	s_or_b64 exec, exec, s[2:3]
	ds_write2_b64 v167, v[160:161], v[162:163] offset1:1
.LBB69_314:
	s_or_b64 exec, exec, s[4:5]
	s_waitcnt lgkmcnt(0)
	s_barrier
	ds_read2_b64 v[160:163], v167 offset1:1
	s_waitcnt lgkmcnt(0)
	s_barrier
	s_and_saveexec_b64 s[2:3], s[0:1]
	s_cbranch_execz .LBB69_317
; %bb.315:
	v_cmp_eq_f64_e32 vcc, 0, v[176:177]
	v_cmp_eq_f64_e64 s[0:1], 0, v[178:179]
	s_and_b64 s[4:5], vcc, s[0:1]
	v_cmp_neq_f64_e32 vcc, 0, v[244:245]
	v_cmp_neq_f64_e64 s[0:1], 0, v[246:247]
	s_or_b64 s[0:1], vcc, s[0:1]
	v_cndmask_b32_e64 v167, 0, 1, s[4:5]
	s_or_b64 vcc, s[0:1], s[4:5]
	v_cndmask_b32_e32 v167, 2, v167, vcc
	v_cmp_eq_f64_e32 vcc, 0, v[248:249]
	v_cmp_eq_f64_e64 s[0:1], 0, v[250:251]
	s_and_b64 s[0:1], vcc, s[0:1]
	v_cmp_eq_u32_e32 vcc, 0, v167
	s_and_b64 s[0:1], s[0:1], vcc
	v_cndmask_b32_e64 v167, v167, 3, s[0:1]
	v_cmp_eq_f64_e32 vcc, 0, v[132:133]
	v_cmp_eq_f64_e64 s[0:1], 0, v[134:135]
	scratch_load_dwordx4 v[132:135], off, off offset:8 ; 16-byte Folded Reload
	s_and_b64 s[0:1], vcc, s[0:1]
	v_cmp_eq_u32_e32 vcc, 0, v167
	s_and_b64 s[0:1], s[0:1], vcc
	v_cndmask_b32_e64 v167, v167, 4, s[0:1]
	v_mov_b32_e32 v168, s6
	v_mov_b32_e32 v169, s7
	v_lshl_add_u64 v[164:165], v[164:165], 2, v[168:169]
	global_load_dword v168, v[164:165], off
	s_waitcnt vmcnt(1)
	v_cmp_eq_f64_e32 vcc, 0, v[132:133]
	v_cmp_eq_f64_e64 s[0:1], 0, v[134:135]
	scratch_load_dwordx4 v[132:135], off, off offset:24 ; 16-byte Folded Reload
	s_and_b64 s[0:1], vcc, s[0:1]
	v_cmp_eq_u32_e32 vcc, 0, v167
	s_and_b64 s[0:1], s[0:1], vcc
	v_cndmask_b32_e64 v167, v167, 5, s[0:1]
	s_waitcnt vmcnt(0)
	v_cmp_eq_f64_e32 vcc, 0, v[132:133]
	v_cmp_eq_f64_e64 s[0:1], 0, v[134:135]
	scratch_load_dwordx4 v[132:135], off, off offset:40 ; 16-byte Folded Reload
	s_and_b64 s[0:1], vcc, s[0:1]
	v_cmp_eq_u32_e32 vcc, 0, v167
	s_and_b64 s[0:1], s[0:1], vcc
	v_cndmask_b32_e64 v167, v167, 6, s[0:1]
	;; [unrolled: 8-line block ×24, first 2 shown]
	s_waitcnt vmcnt(0)
	v_cmp_eq_f64_e32 vcc, 0, v[132:133]
	v_cmp_eq_f64_e64 s[0:1], 0, v[134:135]
	s_and_b64 s[0:1], vcc, s[0:1]
	v_cmp_eq_u32_e32 vcc, 0, v167
	s_and_b64 s[0:1], s[0:1], vcc
	v_cndmask_b32_e64 v167, v167, 29, s[0:1]
	v_cmp_eq_f64_e32 vcc, 0, v[140:141]
	v_cmp_eq_f64_e64 s[0:1], 0, v[142:143]
	s_and_b64 s[0:1], vcc, s[0:1]
	v_cmp_eq_u32_e32 vcc, 0, v167
	s_and_b64 s[0:1], s[0:1], vcc
	v_cndmask_b32_e64 v140, v167, 30, s[0:1]
	v_cmp_eq_f64_e32 vcc, 0, v[144:145]
	v_cmp_eq_f64_e64 s[0:1], 0, v[146:147]
	s_and_b64 s[0:1], vcc, s[0:1]
	v_cmp_eq_u32_e32 vcc, 0, v140
	s_and_b64 s[0:1], s[0:1], vcc
	v_cndmask_b32_e64 v140, v140, 31, s[0:1]
	v_cmp_eq_f64_e32 vcc, 0, v[148:149]
	v_cmp_eq_f64_e64 s[0:1], 0, v[150:151]
	s_and_b64 s[0:1], vcc, s[0:1]
	v_cmp_eq_u32_e32 vcc, 0, v140
	s_and_b64 s[0:1], s[0:1], vcc
	v_cndmask_b32_e64 v140, v140, 32, s[0:1]
	v_cmp_eq_f64_e32 vcc, 0, v[152:153]
	v_cmp_eq_f64_e64 s[0:1], 0, v[154:155]
	s_and_b64 s[0:1], vcc, s[0:1]
	v_cmp_eq_u32_e32 vcc, 0, v140
	s_and_b64 s[0:1], s[0:1], vcc
	v_cndmask_b32_e64 v140, v140, 33, s[0:1]
	v_cmp_eq_f64_e32 vcc, 0, v[156:157]
	v_cmp_eq_f64_e64 s[0:1], 0, v[158:159]
	s_and_b64 s[0:1], vcc, s[0:1]
	v_cmp_eq_u32_e32 vcc, 0, v140
	s_and_b64 s[0:1], s[0:1], vcc
	v_cndmask_b32_e64 v140, v140, 34, s[0:1]
	v_cmp_eq_f64_e32 vcc, 0, v[160:161]
	v_cmp_eq_f64_e64 s[0:1], 0, v[162:163]
	s_and_b64 s[0:1], vcc, s[0:1]
	v_cmp_eq_u32_e32 vcc, 0, v140
	s_and_b64 s[0:1], s[0:1], vcc
	v_cndmask_b32_e64 v140, v140, 35, s[0:1]
	v_cmp_eq_u32_e32 vcc, 0, v168
	v_cmp_ne_u32_e64 s[0:1], 0, v140
	s_and_b64 s[0:1], vcc, s[0:1]
	s_and_b64 exec, exec, s[0:1]
	s_cbranch_execz .LBB69_317
; %bb.316:
	v_add_u32_e32 v140, s9, v140
	global_store_dword v[164:165], v140, off
.LBB69_317:
	s_or_b64 exec, exec, s[2:3]
	s_waitcnt vmcnt(61)
	global_store_dwordx4 v[174:175], v[170:173], off
	s_waitcnt vmcnt(61)
	global_store_dwordx4 v[240:241], v[128:131], off
	scratch_load_dwordx2 v[60:61], off, off offset:408 ; 8-byte Folded Reload
	s_waitcnt vmcnt(3)
	v_mul_f64 v[140:141], v[162:163], v[138:139]
	v_mul_f64 v[142:143], v[160:161], v[138:139]
	v_fma_f64 v[140:141], v[160:161], v[136:137], -v[140:141]
	v_fmac_f64_e32 v[142:143], v[162:163], v[136:137]
	v_cmp_lt_u32_e32 vcc, 34, v166
	s_waitcnt vmcnt(0)
	global_store_dwordx4 v[60:61], v[124:127], off
	scratch_load_dwordx2 v[124:125], off, off ; 8-byte Folded Reload
	v_cndmask_b32_e32 v139, v139, v143, vcc
	v_cndmask_b32_e32 v138, v138, v142, vcc
	;; [unrolled: 1-line block ×4, first 2 shown]
	s_waitcnt vmcnt(0)
	global_store_dwordx4 v[124:125], v[120:123], off
	global_store_dwordx4 v[182:183], v[116:119], off
	;; [unrolled: 1-line block ×32, first 2 shown]
.LBB69_318:
	s_endpgm
	.section	.rodata,"a",@progbits
	.p2align	6, 0x0
	.amdhsa_kernel _ZN9rocsolver6v33100L23getf2_npvt_small_kernelILi35E19rocblas_complex_numIdEiiPS3_EEvT1_T3_lS5_lPT2_S5_S5_
		.amdhsa_group_segment_fixed_size 0
		.amdhsa_private_segment_fixed_size 452
		.amdhsa_kernarg_size 312
		.amdhsa_user_sgpr_count 2
		.amdhsa_user_sgpr_dispatch_ptr 0
		.amdhsa_user_sgpr_queue_ptr 0
		.amdhsa_user_sgpr_kernarg_segment_ptr 1
		.amdhsa_user_sgpr_dispatch_id 0
		.amdhsa_user_sgpr_kernarg_preload_length 0
		.amdhsa_user_sgpr_kernarg_preload_offset 0
		.amdhsa_user_sgpr_private_segment_size 0
		.amdhsa_uses_dynamic_stack 0
		.amdhsa_enable_private_segment 1
		.amdhsa_system_sgpr_workgroup_id_x 1
		.amdhsa_system_sgpr_workgroup_id_y 1
		.amdhsa_system_sgpr_workgroup_id_z 0
		.amdhsa_system_sgpr_workgroup_info 0
		.amdhsa_system_vgpr_workitem_id 1
		.amdhsa_next_free_vgpr 256
		.amdhsa_next_free_sgpr 16
		.amdhsa_accum_offset 256
		.amdhsa_reserve_vcc 1
		.amdhsa_float_round_mode_32 0
		.amdhsa_float_round_mode_16_64 0
		.amdhsa_float_denorm_mode_32 3
		.amdhsa_float_denorm_mode_16_64 3
		.amdhsa_dx10_clamp 1
		.amdhsa_ieee_mode 1
		.amdhsa_fp16_overflow 0
		.amdhsa_tg_split 0
		.amdhsa_exception_fp_ieee_invalid_op 0
		.amdhsa_exception_fp_denorm_src 0
		.amdhsa_exception_fp_ieee_div_zero 0
		.amdhsa_exception_fp_ieee_overflow 0
		.amdhsa_exception_fp_ieee_underflow 0
		.amdhsa_exception_fp_ieee_inexact 0
		.amdhsa_exception_int_div_zero 0
	.end_amdhsa_kernel
	.section	.text._ZN9rocsolver6v33100L23getf2_npvt_small_kernelILi35E19rocblas_complex_numIdEiiPS3_EEvT1_T3_lS5_lPT2_S5_S5_,"axG",@progbits,_ZN9rocsolver6v33100L23getf2_npvt_small_kernelILi35E19rocblas_complex_numIdEiiPS3_EEvT1_T3_lS5_lPT2_S5_S5_,comdat
.Lfunc_end69:
	.size	_ZN9rocsolver6v33100L23getf2_npvt_small_kernelILi35E19rocblas_complex_numIdEiiPS3_EEvT1_T3_lS5_lPT2_S5_S5_, .Lfunc_end69-_ZN9rocsolver6v33100L23getf2_npvt_small_kernelILi35E19rocblas_complex_numIdEiiPS3_EEvT1_T3_lS5_lPT2_S5_S5_
                                        ; -- End function
	.set _ZN9rocsolver6v33100L23getf2_npvt_small_kernelILi35E19rocblas_complex_numIdEiiPS3_EEvT1_T3_lS5_lPT2_S5_S5_.num_vgpr, 256
	.set _ZN9rocsolver6v33100L23getf2_npvt_small_kernelILi35E19rocblas_complex_numIdEiiPS3_EEvT1_T3_lS5_lPT2_S5_S5_.num_agpr, 0
	.set _ZN9rocsolver6v33100L23getf2_npvt_small_kernelILi35E19rocblas_complex_numIdEiiPS3_EEvT1_T3_lS5_lPT2_S5_S5_.numbered_sgpr, 16
	.set _ZN9rocsolver6v33100L23getf2_npvt_small_kernelILi35E19rocblas_complex_numIdEiiPS3_EEvT1_T3_lS5_lPT2_S5_S5_.num_named_barrier, 0
	.set _ZN9rocsolver6v33100L23getf2_npvt_small_kernelILi35E19rocblas_complex_numIdEiiPS3_EEvT1_T3_lS5_lPT2_S5_S5_.private_seg_size, 452
	.set _ZN9rocsolver6v33100L23getf2_npvt_small_kernelILi35E19rocblas_complex_numIdEiiPS3_EEvT1_T3_lS5_lPT2_S5_S5_.uses_vcc, 1
	.set _ZN9rocsolver6v33100L23getf2_npvt_small_kernelILi35E19rocblas_complex_numIdEiiPS3_EEvT1_T3_lS5_lPT2_S5_S5_.uses_flat_scratch, 0
	.set _ZN9rocsolver6v33100L23getf2_npvt_small_kernelILi35E19rocblas_complex_numIdEiiPS3_EEvT1_T3_lS5_lPT2_S5_S5_.has_dyn_sized_stack, 0
	.set _ZN9rocsolver6v33100L23getf2_npvt_small_kernelILi35E19rocblas_complex_numIdEiiPS3_EEvT1_T3_lS5_lPT2_S5_S5_.has_recursion, 0
	.set _ZN9rocsolver6v33100L23getf2_npvt_small_kernelILi35E19rocblas_complex_numIdEiiPS3_EEvT1_T3_lS5_lPT2_S5_S5_.has_indirect_call, 0
	.section	.AMDGPU.csdata,"",@progbits
; Kernel info:
; codeLenInByte = 65292
; TotalNumSgprs: 22
; NumVgprs: 256
; NumAgprs: 0
; TotalNumVgprs: 256
; ScratchSize: 452
; MemoryBound: 1
; FloatMode: 240
; IeeeMode: 1
; LDSByteSize: 0 bytes/workgroup (compile time only)
; SGPRBlocks: 2
; VGPRBlocks: 31
; NumSGPRsForWavesPerEU: 22
; NumVGPRsForWavesPerEU: 256
; AccumOffset: 256
; Occupancy: 2
; WaveLimiterHint : 0
; COMPUTE_PGM_RSRC2:SCRATCH_EN: 1
; COMPUTE_PGM_RSRC2:USER_SGPR: 2
; COMPUTE_PGM_RSRC2:TRAP_HANDLER: 0
; COMPUTE_PGM_RSRC2:TGID_X_EN: 1
; COMPUTE_PGM_RSRC2:TGID_Y_EN: 1
; COMPUTE_PGM_RSRC2:TGID_Z_EN: 0
; COMPUTE_PGM_RSRC2:TIDIG_COMP_CNT: 1
; COMPUTE_PGM_RSRC3_GFX90A:ACCUM_OFFSET: 63
; COMPUTE_PGM_RSRC3_GFX90A:TG_SPLIT: 0
	.section	.text._ZN9rocsolver6v33100L18getf2_small_kernelILi36E19rocblas_complex_numIdEiiPS3_EEvT1_T3_lS5_lPS5_llPT2_S5_S5_S7_l,"axG",@progbits,_ZN9rocsolver6v33100L18getf2_small_kernelILi36E19rocblas_complex_numIdEiiPS3_EEvT1_T3_lS5_lPS5_llPT2_S5_S5_S7_l,comdat
	.globl	_ZN9rocsolver6v33100L18getf2_small_kernelILi36E19rocblas_complex_numIdEiiPS3_EEvT1_T3_lS5_lPS5_llPT2_S5_S5_S7_l ; -- Begin function _ZN9rocsolver6v33100L18getf2_small_kernelILi36E19rocblas_complex_numIdEiiPS3_EEvT1_T3_lS5_lPS5_llPT2_S5_S5_S7_l
	.p2align	8
	.type	_ZN9rocsolver6v33100L18getf2_small_kernelILi36E19rocblas_complex_numIdEiiPS3_EEvT1_T3_lS5_lPS5_llPT2_S5_S5_S7_l,@function
_ZN9rocsolver6v33100L18getf2_small_kernelILi36E19rocblas_complex_numIdEiiPS3_EEvT1_T3_lS5_lPS5_llPT2_S5_S5_S7_l: ; @_ZN9rocsolver6v33100L18getf2_small_kernelILi36E19rocblas_complex_numIdEiiPS3_EEvT1_T3_lS5_lPS5_llPT2_S5_S5_S7_l
; %bb.0:
	s_load_dword s2, s[0:1], 0x6c
	s_load_dwordx2 s[12:13], s[0:1], 0x48
	v_bfe_u32 v144, v0, 10, 10
	s_waitcnt lgkmcnt(0)
	s_lshr_b32 s2, s2, 16
	s_mul_i32 s3, s3, s2
	v_add_u32_e32 v150, s3, v144
	v_cmp_gt_i32_e32 vcc, s12, v150
	s_and_saveexec_b64 s[2:3], vcc
	s_cbranch_execz .LBB70_757
; %bb.1:
	s_load_dwordx4 s[4:7], s[0:1], 0x50
	v_ashrrev_i32_e32 v151, 31, v150
	v_mov_b64_e32 v[152:153], 0
	s_waitcnt lgkmcnt(0)
	s_cmp_eq_u64 s[4:5], 0
	s_cselect_b64 s[14:15], -1, 0
	s_and_b64 vcc, exec, s[14:15]
	s_cbranch_vccnz .LBB70_3
; %bb.2:
	v_mul_lo_u32 v1, s7, v150
	v_mul_lo_u32 v4, s6, v151
	v_mad_u64_u32 v[2:3], s[2:3], s6, v150, 0
	v_add3_u32 v3, v3, v4, v1
	v_lshl_add_u64 v[152:153], v[2:3], 2, s[4:5]
.LBB70_3:
	s_load_dwordx4 s[16:19], s[0:1], 0x8
	s_load_dwordx8 s[4:11], s[0:1], 0x20
	s_load_dword s2, s[0:1], 0x18
	s_load_dword s20, s[0:1], 0x0
	v_and_b32_e32 v159, 0x3ff, v0
	s_waitcnt lgkmcnt(0)
	v_mov_b32_e32 v2, s16
	v_mul_lo_u32 v1, s5, v150
	v_mul_lo_u32 v6, s4, v151
	v_mad_u64_u32 v[4:5], s[4:5], s4, v150, 0
	v_mov_b32_e32 v3, s17
	v_add3_u32 v5, v5, v6, v1
	v_lshl_add_u64 v[2:3], v[4:5], 4, v[2:3]
	s_add_i32 s12, s2, s2
	v_lshl_add_u64 v[148:149], s[18:19], 4, v[2:3]
	v_add_u32_e32 v2, s12, v159
	v_add_u32_e32 v4, s2, v2
	;; [unrolled: 1-line block ×3, first 2 shown]
	v_lshlrev_b32_e32 v154, 4, v159
	v_mov_b32_e32 v155, 0
	v_add_u32_e32 v8, s2, v6
	v_lshl_add_u64 v[0:1], v[148:149], 0, v[154:155]
	s_ashr_i32 s3, s2, 31
	v_ashrrev_i32_e32 v9, 31, v8
	v_add_u32_e32 v12, s2, v8
	v_lshl_add_u64 v[10:11], s[2:3], 4, v[0:1]
	global_load_dwordx4 v[100:103], v[0:1], off
	global_load_dwordx4 v[88:91], v[10:11], off
	v_lshl_add_u64 v[0:1], v[8:9], 4, v[148:149]
	v_ashrrev_i32_e32 v13, 31, v12
	v_add_u32_e32 v8, s2, v12
	v_lshl_add_u64 v[10:11], v[12:13], 4, v[148:149]
	v_add_u32_e32 v12, s2, v8
	v_add_u32_e32 v14, s2, v12
	;; [unrolled: 1-line block ×15, first 2 shown]
	v_ashrrev_i32_e32 v41, 31, v40
	v_lshl_add_u64 v[42:43], v[40:41], 4, v[148:149]
	v_add_u32_e32 v40, s2, v40
	v_ashrrev_i32_e32 v41, 31, v40
	v_lshl_add_u64 v[44:45], v[40:41], 4, v[148:149]
	v_add_u32_e32 v40, s2, v40
	;; [unrolled: 3-line block ×12, first 2 shown]
	v_ashrrev_i32_e32 v41, 31, v40
	v_ashrrev_i32_e32 v3, 31, v2
	;; [unrolled: 1-line block ×19, first 2 shown]
	v_lshl_add_u64 v[172:173], v[40:41], 4, v[148:149]
	v_add_u32_e32 v40, s2, v40
	v_lshl_add_u64 v[2:3], v[2:3], 4, v[148:149]
	v_lshl_add_u64 v[4:5], v[4:5], 4, v[148:149]
	;; [unrolled: 1-line block ×18, first 2 shown]
	v_ashrrev_i32_e32 v41, 31, v40
	v_lshl_add_u64 v[174:175], v[40:41], 4, v[148:149]
	global_load_dwordx4 v[136:139], v[2:3], off
	global_load_dwordx4 v[132:135], v[4:5], off
	;; [unrolled: 1-line block ×10, first 2 shown]
                                        ; kill: killed $vgpr6_vgpr7
                                        ; kill: killed $vgpr0_vgpr1
                                        ; kill: killed $vgpr10_vgpr11
                                        ; kill: killed $vgpr8_vgpr9
                                        ; kill: killed $vgpr12_vgpr13
                                        ; kill: killed $vgpr14_vgpr15
                                        ; kill: killed $vgpr16_vgpr17
                                        ; kill: killed $vgpr18_vgpr19
                                        ; kill: killed $vgpr2_vgpr3
                                        ; kill: killed $vgpr4_vgpr5
	global_load_dwordx4 v[96:99], v[20:21], off
	global_load_dwordx4 v[84:87], v[22:23], off
	global_load_dwordx4 v[80:83], v[24:25], off
	global_load_dwordx4 v[76:79], v[26:27], off
	global_load_dwordx4 v[72:75], v[28:29], off
                                        ; kill: killed $vgpr22_vgpr23
                                        ; kill: killed $vgpr24_vgpr25
                                        ; kill: killed $vgpr26_vgpr27
                                        ; kill: killed $vgpr28_vgpr29
                                        ; kill: killed $vgpr20_vgpr21
	global_load_dwordx4 v[68:71], v[30:31], off
	global_load_dwordx4 v[64:67], v[32:33], off
	;; [unrolled: 1-line block ×3, first 2 shown]
                                        ; kill: killed $vgpr30_vgpr31
                                        ; kill: killed $vgpr32_vgpr33
                                        ; kill: killed $vgpr34_vgpr35
	global_load_dwordx4 v[56:59], v[36:37], off
	global_load_dwordx4 v[52:55], v[38:39], off
	global_load_dwordx4 v[48:51], v[42:43], off
	s_nop 0
	global_load_dwordx4 v[44:47], v[44:45], off
	s_nop 0
	global_load_dwordx4 v[40:43], v[140:141], off
	global_load_dwordx4 v[36:39], v[142:143], off
	global_load_dwordx4 v[32:35], v[146:147], off
	global_load_dwordx4 v[28:31], v[156:157], off
	global_load_dwordx4 v[24:27], v[160:161], off
	global_load_dwordx4 v[20:23], v[162:163], off
	global_load_dwordx4 v[16:19], v[164:165], off
	global_load_dwordx4 v[12:15], v[166:167], off
	global_load_dwordx4 v[8:11], v[168:169], off
	global_load_dwordx4 v[4:7], v[170:171], off
	global_load_dwordx4 v[0:3], v[172:173], off
	global_load_dwordx4 v[140:143], v[174:175], off
	s_load_dwordx2 s[4:5], s[0:1], 0x40
	s_max_i32 s0, s20, 36
	v_mul_lo_u32 v157, s0, v144
	v_lshl_add_u32 v156, v157, 4, 0
	v_add_u32_e32 v144, v156, v154
	s_waitcnt vmcnt(35)
	ds_write2_b64 v144, v[100:101], v[102:103] offset1:1
	s_waitcnt lgkmcnt(0)
	s_barrier
	ds_read2_b64 v[144:147], v156 offset1:1
	s_cmp_lt_i32 s20, 2
	v_lshlrev_b32_e32 v160, 4, v157
	s_cbranch_scc1 .LBB70_6
; %bb.4:
	v_add3_u32 v154, v160, 0, 16
	s_mov_b32 s16, 1
	v_mov_b32_e32 v155, 0
.LBB70_5:                               ; =>This Inner Loop Header: Depth=1
	ds_read2_b64 v[162:165], v154 offset1:1
	s_waitcnt lgkmcnt(1)
	v_xor_b32_e32 v157, 0x80000000, v145
	v_xor_b32_e32 v158, 0x80000000, v147
	v_cmp_gt_f64_e32 vcc, 0, v[146:147]
	v_cmp_gt_f64_e64 s[0:1], 0, v[144:145]
	v_mov_b32_e32 v166, v144
	v_mov_b32_e32 v168, v146
	v_cndmask_b32_e64 v167, v145, v157, s[0:1]
	v_cndmask_b32_e32 v169, v147, v158, vcc
	s_waitcnt lgkmcnt(0)
	v_xor_b32_e32 v157, 0x80000000, v163
	v_xor_b32_e32 v158, 0x80000000, v165
	v_cmp_gt_f64_e32 vcc, 0, v[164:165]
	v_cmp_gt_f64_e64 s[0:1], 0, v[162:163]
	v_add_f64 v[166:167], v[166:167], v[168:169]
	v_mov_b32_e32 v168, v162
	v_mov_b32_e32 v170, v164
	v_cndmask_b32_e64 v169, v163, v157, s[0:1]
	v_cndmask_b32_e32 v171, v165, v158, vcc
	v_add_f64 v[168:169], v[168:169], v[170:171]
	v_mov_b32_e32 v161, s16
	s_add_i32 s16, s16, 1
	v_cmp_lt_f64_e32 vcc, v[166:167], v[168:169]
	v_add_u32_e32 v154, 16, v154
	s_cmp_eq_u32 s20, s16
	v_cndmask_b32_e32 v145, v145, v163, vcc
	v_cndmask_b32_e32 v144, v144, v162, vcc
	;; [unrolled: 1-line block ×5, first 2 shown]
	s_cbranch_scc0 .LBB70_5
.LBB70_6:
	s_waitcnt lgkmcnt(0)
	v_cmp_neq_f64_e32 vcc, 0, v[144:145]
	v_cmp_neq_f64_e64 s[0:1], 0, v[146:147]
	s_or_b64 s[16:17], vcc, s[0:1]
	v_mov_b32_e32 v158, 1
	v_mov_b32_e32 v161, 1
	s_and_saveexec_b64 s[0:1], s[16:17]
	s_cbranch_execz .LBB70_12
; %bb.7:
	v_cmp_ngt_f64_e64 s[16:17], |v[144:145]|, |v[146:147]|
	s_and_saveexec_b64 s[18:19], s[16:17]
	s_xor_b64 s[16:17], exec, s[18:19]
	s_cbranch_execz .LBB70_9
; %bb.8:
	v_div_scale_f64 v[162:163], s[18:19], v[146:147], v[146:147], v[144:145]
	v_rcp_f64_e32 v[164:165], v[162:163]
	v_div_scale_f64 v[166:167], vcc, v[144:145], v[146:147], v[144:145]
	v_fma_f64 v[168:169], -v[162:163], v[164:165], 1.0
	v_fmac_f64_e32 v[164:165], v[164:165], v[168:169]
	v_fma_f64 v[168:169], -v[162:163], v[164:165], 1.0
	v_fmac_f64_e32 v[164:165], v[164:165], v[168:169]
	v_mul_f64 v[168:169], v[166:167], v[164:165]
	v_fma_f64 v[162:163], -v[162:163], v[168:169], v[166:167]
	v_div_fmas_f64 v[162:163], v[162:163], v[164:165], v[168:169]
	v_div_fixup_f64 v[162:163], v[162:163], v[146:147], v[144:145]
	v_fmac_f64_e32 v[146:147], v[144:145], v[162:163]
	v_div_scale_f64 v[144:145], s[18:19], v[146:147], v[146:147], 1.0
	v_rcp_f64_e32 v[164:165], v[144:145]
	s_nop 0
	v_fma_f64 v[166:167], -v[144:145], v[164:165], 1.0
	v_fmac_f64_e32 v[164:165], v[164:165], v[166:167]
	v_fma_f64 v[166:167], -v[144:145], v[164:165], 1.0
	v_fmac_f64_e32 v[164:165], v[164:165], v[166:167]
	v_div_scale_f64 v[166:167], vcc, 1.0, v[146:147], 1.0
	v_mul_f64 v[168:169], v[166:167], v[164:165]
	v_fma_f64 v[144:145], -v[144:145], v[168:169], v[166:167]
	s_nop 1
	v_div_fmas_f64 v[144:145], v[144:145], v[164:165], v[168:169]
	v_div_fixup_f64 v[146:147], v[144:145], v[146:147], 1.0
	v_mul_f64 v[144:145], v[162:163], v[146:147]
	v_xor_b32_e32 v147, 0x80000000, v147
.LBB70_9:
	s_andn2_saveexec_b64 s[16:17], s[16:17]
	s_cbranch_execz .LBB70_11
; %bb.10:
	v_div_scale_f64 v[162:163], s[18:19], v[144:145], v[144:145], v[146:147]
	v_rcp_f64_e32 v[164:165], v[162:163]
	v_div_scale_f64 v[166:167], vcc, v[146:147], v[144:145], v[146:147]
	v_fma_f64 v[168:169], -v[162:163], v[164:165], 1.0
	v_fmac_f64_e32 v[164:165], v[164:165], v[168:169]
	v_fma_f64 v[168:169], -v[162:163], v[164:165], 1.0
	v_fmac_f64_e32 v[164:165], v[164:165], v[168:169]
	v_mul_f64 v[168:169], v[166:167], v[164:165]
	v_fma_f64 v[162:163], -v[162:163], v[168:169], v[166:167]
	v_div_fmas_f64 v[162:163], v[162:163], v[164:165], v[168:169]
	v_div_fixup_f64 v[162:163], v[162:163], v[144:145], v[146:147]
	v_fmac_f64_e32 v[144:145], v[146:147], v[162:163]
	v_div_scale_f64 v[146:147], s[18:19], v[144:145], v[144:145], 1.0
	v_rcp_f64_e32 v[164:165], v[146:147]
	s_nop 0
	v_fma_f64 v[166:167], -v[146:147], v[164:165], 1.0
	v_fmac_f64_e32 v[164:165], v[164:165], v[166:167]
	v_fma_f64 v[166:167], -v[146:147], v[164:165], 1.0
	v_fmac_f64_e32 v[164:165], v[164:165], v[166:167]
	v_div_scale_f64 v[166:167], vcc, 1.0, v[144:145], 1.0
	v_mul_f64 v[168:169], v[166:167], v[164:165]
	v_fma_f64 v[146:147], -v[146:147], v[168:169], v[166:167]
	s_nop 1
	v_div_fmas_f64 v[146:147], v[146:147], v[164:165], v[168:169]
	v_div_fixup_f64 v[144:145], v[146:147], v[144:145], 1.0
	v_mul_f64 v[146:147], v[162:163], -v[144:145]
.LBB70_11:
	s_or_b64 exec, exec, s[16:17]
	v_mov_b32_e32 v161, 0
	v_mov_b32_e32 v158, 2
.LBB70_12:
	s_or_b64 exec, exec, s[0:1]
	v_cmp_ne_u32_e32 vcc, v159, v155
	s_and_saveexec_b64 s[0:1], vcc
	s_xor_b64 s[0:1], exec, s[0:1]
	s_cbranch_execz .LBB70_18
; %bb.13:
	v_cmp_eq_u32_e32 vcc, 0, v159
	s_and_saveexec_b64 s[16:17], vcc
	s_cbranch_execz .LBB70_17
; %bb.14:
	v_cmp_ne_u32_e32 vcc, 0, v155
	s_xor_b64 s[18:19], s[14:15], -1
	s_and_b64 s[22:23], s[18:19], vcc
	s_and_saveexec_b64 s[18:19], s[22:23]
	s_cbranch_execz .LBB70_16
; %bb.15:
	v_ashrrev_i32_e32 v163, 31, v155
	v_mov_b32_e32 v162, v155
	v_lshl_add_u64 v[162:163], v[162:163], 2, v[152:153]
	global_load_dword v154, v[162:163], off
	global_load_dword v157, v[152:153], off
	s_waitcnt vmcnt(1)
	global_store_dword v[152:153], v154, off
	s_waitcnt vmcnt(1)
	global_store_dword v[162:163], v157, off
.LBB70_16:
	s_or_b64 exec, exec, s[18:19]
	v_mov_b32_e32 v159, v155
.LBB70_17:
	s_or_b64 exec, exec, s[16:17]
.LBB70_18:
	s_or_saveexec_b64 s[0:1], s[0:1]
	v_mov_b32_e32 v157, v159
	s_xor_b64 exec, exec, s[0:1]
	s_cbranch_execz .LBB70_20
; %bb.19:
	v_mov_b32_e32 v157, 0
	s_waitcnt vmcnt(34)
	ds_write2_b64 v156, v[88:89], v[90:91] offset0:2 offset1:3
	s_waitcnt vmcnt(33)
	ds_write2_b64 v156, v[136:137], v[138:139] offset0:4 offset1:5
	;; [unrolled: 2-line block ×35, first 2 shown]
.LBB70_20:
	s_or_b64 exec, exec, s[0:1]
	v_cmp_lt_i32_e32 vcc, 0, v157
	s_waitcnt lgkmcnt(0)
	s_barrier
	s_and_saveexec_b64 s[0:1], vcc
	s_cbranch_execz .LBB70_22
; %bb.21:
	ds_read2_b64 v[162:165], v156 offset0:2 offset1:3
	v_mul_f64 v[154:155], v[146:147], v[102:103]
	v_mul_f64 v[102:103], v[144:145], v[102:103]
	v_fmac_f64_e32 v[102:103], v[146:147], v[100:101]
	v_fma_f64 v[154:155], v[144:145], v[100:101], -v[154:155]
	ds_read2_b64 v[144:147], v156 offset0:4 offset1:5
	s_waitcnt lgkmcnt(1)
	v_mul_f64 v[100:101], v[164:165], v[102:103]
	v_fma_f64 v[100:101], v[162:163], v[154:155], -v[100:101]
	v_mul_f64 v[162:163], v[162:163], v[102:103]
	v_fmac_f64_e32 v[162:163], v[164:165], v[154:155]
	s_waitcnt vmcnt(34)
	v_add_f64 v[90:91], v[90:91], -v[162:163]
	ds_read2_b64 v[162:165], v156 offset0:6 offset1:7
	v_add_f64 v[88:89], v[88:89], -v[100:101]
	s_waitcnt lgkmcnt(1)
	v_mul_f64 v[100:101], v[146:147], v[102:103]
	v_fma_f64 v[100:101], v[144:145], v[154:155], -v[100:101]
	v_mul_f64 v[144:145], v[144:145], v[102:103]
	v_fmac_f64_e32 v[144:145], v[146:147], v[154:155]
	s_waitcnt vmcnt(33)
	v_add_f64 v[136:137], v[136:137], -v[100:101]
	v_add_f64 v[138:139], v[138:139], -v[144:145]
	ds_read2_b64 v[144:147], v156 offset0:8 offset1:9
	s_waitcnt lgkmcnt(1)
	v_mul_f64 v[100:101], v[164:165], v[102:103]
	v_fma_f64 v[100:101], v[162:163], v[154:155], -v[100:101]
	v_mul_f64 v[162:163], v[162:163], v[102:103]
	v_fmac_f64_e32 v[162:163], v[164:165], v[154:155]
	s_waitcnt vmcnt(32)
	v_add_f64 v[134:135], v[134:135], -v[162:163]
	ds_read2_b64 v[162:165], v156 offset0:10 offset1:11
	v_add_f64 v[132:133], v[132:133], -v[100:101]
	s_waitcnt lgkmcnt(1)
	v_mul_f64 v[100:101], v[146:147], v[102:103]
	v_fma_f64 v[100:101], v[144:145], v[154:155], -v[100:101]
	v_mul_f64 v[144:145], v[144:145], v[102:103]
	v_fmac_f64_e32 v[144:145], v[146:147], v[154:155]
	s_waitcnt vmcnt(31)
	v_add_f64 v[128:129], v[128:129], -v[100:101]
	v_add_f64 v[130:131], v[130:131], -v[144:145]
	;; [unrolled: 18-line block ×17, first 2 shown]
	s_waitcnt lgkmcnt(0)
	v_mul_f64 v[100:101], v[164:165], v[102:103]
	v_mul_f64 v[144:145], v[162:163], v[102:103]
	v_fma_f64 v[100:101], v[162:163], v[154:155], -v[100:101]
	v_fmac_f64_e32 v[144:145], v[164:165], v[154:155]
	s_waitcnt vmcnt(0)
	v_add_f64 v[140:141], v[140:141], -v[100:101]
	v_add_f64 v[142:143], v[142:143], -v[144:145]
	v_mov_b64_e32 v[100:101], v[154:155]
.LBB70_22:
	s_or_b64 exec, exec, s[0:1]
	v_lshl_add_u32 v144, v157, 4, v156
	s_barrier
	s_waitcnt vmcnt(34)
	ds_write2_b64 v144, v[88:89], v[90:91] offset1:1
	s_waitcnt lgkmcnt(0)
	s_barrier
	ds_read2_b64 v[144:147], v156 offset0:2 offset1:3
	s_cmp_lt_i32 s20, 3
	v_mov_b32_e32 v154, 1
	s_cbranch_scc1 .LBB70_25
; %bb.23:
	v_add3_u32 v155, v160, 0, 32
	s_mov_b32 s16, 2
	v_mov_b32_e32 v154, 1
.LBB70_24:                              ; =>This Inner Loop Header: Depth=1
	ds_read2_b64 v[162:165], v155 offset1:1
	s_waitcnt lgkmcnt(1)
	v_xor_b32_e32 v167, 0x80000000, v145
	v_xor_b32_e32 v169, 0x80000000, v147
	v_cmp_gt_f64_e32 vcc, 0, v[146:147]
	v_cmp_gt_f64_e64 s[0:1], 0, v[144:145]
	v_mov_b32_e32 v166, v144
	v_mov_b32_e32 v168, v146
	v_cndmask_b32_e64 v167, v145, v167, s[0:1]
	v_cndmask_b32_e32 v169, v147, v169, vcc
	v_add_f64 v[166:167], v[166:167], v[168:169]
	s_waitcnt lgkmcnt(0)
	v_xor_b32_e32 v169, 0x80000000, v163
	v_xor_b32_e32 v171, 0x80000000, v165
	v_cmp_gt_f64_e32 vcc, 0, v[164:165]
	v_cmp_gt_f64_e64 s[0:1], 0, v[162:163]
	v_mov_b32_e32 v168, v162
	v_mov_b32_e32 v170, v164
	v_cndmask_b32_e64 v169, v163, v169, s[0:1]
	v_cndmask_b32_e32 v171, v165, v171, vcc
	v_add_f64 v[168:169], v[168:169], v[170:171]
	v_mov_b32_e32 v172, s16
	s_add_i32 s16, s16, 1
	v_cmp_lt_f64_e32 vcc, v[166:167], v[168:169]
	v_add_u32_e32 v155, 16, v155
	s_cmp_lg_u32 s20, s16
	v_cndmask_b32_e32 v145, v145, v163, vcc
	v_cndmask_b32_e32 v144, v144, v162, vcc
	;; [unrolled: 1-line block ×5, first 2 shown]
	s_cbranch_scc1 .LBB70_24
.LBB70_25:
	s_waitcnt lgkmcnt(0)
	v_cmp_neq_f64_e32 vcc, 0, v[144:145]
	v_cmp_neq_f64_e64 s[0:1], 0, v[146:147]
	s_or_b64 s[16:17], vcc, s[0:1]
	s_and_saveexec_b64 s[0:1], s[16:17]
	s_cbranch_execz .LBB70_31
; %bb.26:
	v_cmp_ngt_f64_e64 s[16:17], |v[144:145]|, |v[146:147]|
	s_and_saveexec_b64 s[18:19], s[16:17]
	s_xor_b64 s[16:17], exec, s[18:19]
	s_cbranch_execz .LBB70_28
; %bb.27:
	v_div_scale_f64 v[162:163], s[18:19], v[146:147], v[146:147], v[144:145]
	v_rcp_f64_e32 v[164:165], v[162:163]
	v_div_scale_f64 v[166:167], vcc, v[144:145], v[146:147], v[144:145]
	v_fma_f64 v[168:169], -v[162:163], v[164:165], 1.0
	v_fmac_f64_e32 v[164:165], v[164:165], v[168:169]
	v_fma_f64 v[168:169], -v[162:163], v[164:165], 1.0
	v_fmac_f64_e32 v[164:165], v[164:165], v[168:169]
	v_mul_f64 v[168:169], v[166:167], v[164:165]
	v_fma_f64 v[162:163], -v[162:163], v[168:169], v[166:167]
	v_div_fmas_f64 v[162:163], v[162:163], v[164:165], v[168:169]
	v_div_fixup_f64 v[162:163], v[162:163], v[146:147], v[144:145]
	v_fmac_f64_e32 v[146:147], v[144:145], v[162:163]
	v_div_scale_f64 v[144:145], s[18:19], v[146:147], v[146:147], 1.0
	v_rcp_f64_e32 v[164:165], v[144:145]
	s_nop 0
	v_fma_f64 v[166:167], -v[144:145], v[164:165], 1.0
	v_fmac_f64_e32 v[164:165], v[164:165], v[166:167]
	v_fma_f64 v[166:167], -v[144:145], v[164:165], 1.0
	v_fmac_f64_e32 v[164:165], v[164:165], v[166:167]
	v_div_scale_f64 v[166:167], vcc, 1.0, v[146:147], 1.0
	v_mul_f64 v[168:169], v[166:167], v[164:165]
	v_fma_f64 v[144:145], -v[144:145], v[168:169], v[166:167]
	s_nop 1
	v_div_fmas_f64 v[144:145], v[144:145], v[164:165], v[168:169]
	v_div_fixup_f64 v[146:147], v[144:145], v[146:147], 1.0
	v_mul_f64 v[144:145], v[162:163], v[146:147]
	v_xor_b32_e32 v147, 0x80000000, v147
.LBB70_28:
	s_andn2_saveexec_b64 s[16:17], s[16:17]
	s_cbranch_execz .LBB70_30
; %bb.29:
	v_div_scale_f64 v[162:163], s[18:19], v[144:145], v[144:145], v[146:147]
	v_rcp_f64_e32 v[164:165], v[162:163]
	v_div_scale_f64 v[166:167], vcc, v[146:147], v[144:145], v[146:147]
	v_fma_f64 v[168:169], -v[162:163], v[164:165], 1.0
	v_fmac_f64_e32 v[164:165], v[164:165], v[168:169]
	v_fma_f64 v[168:169], -v[162:163], v[164:165], 1.0
	v_fmac_f64_e32 v[164:165], v[164:165], v[168:169]
	v_mul_f64 v[168:169], v[166:167], v[164:165]
	v_fma_f64 v[162:163], -v[162:163], v[168:169], v[166:167]
	v_div_fmas_f64 v[162:163], v[162:163], v[164:165], v[168:169]
	v_div_fixup_f64 v[162:163], v[162:163], v[144:145], v[146:147]
	v_fmac_f64_e32 v[144:145], v[146:147], v[162:163]
	v_div_scale_f64 v[146:147], s[18:19], v[144:145], v[144:145], 1.0
	v_rcp_f64_e32 v[164:165], v[146:147]
	s_nop 0
	v_fma_f64 v[166:167], -v[146:147], v[164:165], 1.0
	v_fmac_f64_e32 v[164:165], v[164:165], v[166:167]
	v_fma_f64 v[166:167], -v[146:147], v[164:165], 1.0
	v_fmac_f64_e32 v[164:165], v[164:165], v[166:167]
	v_div_scale_f64 v[166:167], vcc, 1.0, v[144:145], 1.0
	v_mul_f64 v[168:169], v[166:167], v[164:165]
	v_fma_f64 v[146:147], -v[146:147], v[168:169], v[166:167]
	s_nop 1
	v_div_fmas_f64 v[146:147], v[146:147], v[164:165], v[168:169]
	v_div_fixup_f64 v[144:145], v[146:147], v[144:145], 1.0
	v_mul_f64 v[146:147], v[162:163], -v[144:145]
.LBB70_30:
	s_or_b64 exec, exec, s[16:17]
	v_mov_b32_e32 v158, v161
.LBB70_31:
	s_or_b64 exec, exec, s[0:1]
	v_cmp_ne_u32_e32 vcc, v157, v154
	s_and_saveexec_b64 s[0:1], vcc
	s_xor_b64 s[0:1], exec, s[0:1]
	s_cbranch_execz .LBB70_37
; %bb.32:
	v_cmp_eq_u32_e32 vcc, 1, v157
	s_and_saveexec_b64 s[16:17], vcc
	s_cbranch_execz .LBB70_36
; %bb.33:
	v_cmp_ne_u32_e32 vcc, 1, v154
	s_xor_b64 s[18:19], s[14:15], -1
	s_and_b64 s[22:23], s[18:19], vcc
	s_and_saveexec_b64 s[18:19], s[22:23]
	s_cbranch_execz .LBB70_35
; %bb.34:
	v_ashrrev_i32_e32 v155, 31, v154
	v_lshl_add_u64 v[162:163], v[154:155], 2, v[152:153]
	global_load_dword v155, v[162:163], off
	global_load_dword v157, v[152:153], off offset:4
	s_waitcnt vmcnt(1)
	global_store_dword v[152:153], v155, off offset:4
	s_waitcnt vmcnt(1)
	global_store_dword v[162:163], v157, off
.LBB70_35:
	s_or_b64 exec, exec, s[18:19]
	v_mov_b32_e32 v157, v154
	v_mov_b32_e32 v159, v154
.LBB70_36:
	s_or_b64 exec, exec, s[16:17]
.LBB70_37:
	s_andn2_saveexec_b64 s[0:1], s[0:1]
	s_cbranch_execz .LBB70_39
; %bb.38:
	v_mov_b32_e32 v157, 1
	s_waitcnt vmcnt(33)
	ds_write2_b64 v156, v[136:137], v[138:139] offset0:4 offset1:5
	s_waitcnt vmcnt(32)
	ds_write2_b64 v156, v[132:133], v[134:135] offset0:6 offset1:7
	;; [unrolled: 2-line block ×34, first 2 shown]
.LBB70_39:
	s_or_b64 exec, exec, s[0:1]
	v_cmp_lt_i32_e32 vcc, 1, v157
	s_waitcnt lgkmcnt(0)
	s_barrier
	s_and_saveexec_b64 s[0:1], vcc
	s_cbranch_execz .LBB70_41
; %bb.40:
	ds_read2_b64 v[162:165], v156 offset0:4 offset1:5
	v_mul_f64 v[154:155], v[146:147], v[90:91]
	v_mul_f64 v[90:91], v[144:145], v[90:91]
	v_fma_f64 v[154:155], v[144:145], v[88:89], -v[154:155]
	v_fmac_f64_e32 v[90:91], v[146:147], v[88:89]
	ds_read2_b64 v[144:147], v156 offset0:6 offset1:7
	s_waitcnt lgkmcnt(1)
	v_mul_f64 v[88:89], v[164:165], v[90:91]
	v_fma_f64 v[88:89], v[162:163], v[154:155], -v[88:89]
	v_mul_f64 v[162:163], v[162:163], v[90:91]
	v_fmac_f64_e32 v[162:163], v[164:165], v[154:155]
	s_waitcnt vmcnt(33)
	v_add_f64 v[136:137], v[136:137], -v[88:89]
	s_waitcnt lgkmcnt(0)
	v_mul_f64 v[88:89], v[146:147], v[90:91]
	v_add_f64 v[138:139], v[138:139], -v[162:163]
	v_fma_f64 v[88:89], v[144:145], v[154:155], -v[88:89]
	v_mul_f64 v[144:145], v[144:145], v[90:91]
	ds_read2_b64 v[162:165], v156 offset0:8 offset1:9
	v_fmac_f64_e32 v[144:145], v[146:147], v[154:155]
	s_waitcnt vmcnt(32)
	v_add_f64 v[134:135], v[134:135], -v[144:145]
	ds_read2_b64 v[144:147], v156 offset0:10 offset1:11
	v_add_f64 v[132:133], v[132:133], -v[88:89]
	s_waitcnt lgkmcnt(1)
	v_mul_f64 v[88:89], v[164:165], v[90:91]
	v_fma_f64 v[88:89], v[162:163], v[154:155], -v[88:89]
	v_mul_f64 v[162:163], v[162:163], v[90:91]
	v_fmac_f64_e32 v[162:163], v[164:165], v[154:155]
	s_waitcnt vmcnt(31)
	v_add_f64 v[128:129], v[128:129], -v[88:89]
	s_waitcnt lgkmcnt(0)
	v_mul_f64 v[88:89], v[146:147], v[90:91]
	v_add_f64 v[130:131], v[130:131], -v[162:163]
	v_fma_f64 v[88:89], v[144:145], v[154:155], -v[88:89]
	v_mul_f64 v[144:145], v[144:145], v[90:91]
	ds_read2_b64 v[162:165], v156 offset0:12 offset1:13
	v_fmac_f64_e32 v[144:145], v[146:147], v[154:155]
	s_waitcnt vmcnt(30)
	v_add_f64 v[126:127], v[126:127], -v[144:145]
	ds_read2_b64 v[144:147], v156 offset0:14 offset1:15
	v_add_f64 v[124:125], v[124:125], -v[88:89]
	s_waitcnt lgkmcnt(1)
	v_mul_f64 v[88:89], v[164:165], v[90:91]
	v_fma_f64 v[88:89], v[162:163], v[154:155], -v[88:89]
	v_mul_f64 v[162:163], v[162:163], v[90:91]
	v_fmac_f64_e32 v[162:163], v[164:165], v[154:155]
	s_waitcnt vmcnt(29)
	v_add_f64 v[120:121], v[120:121], -v[88:89]
	s_waitcnt lgkmcnt(0)
	v_mul_f64 v[88:89], v[146:147], v[90:91]
	v_add_f64 v[122:123], v[122:123], -v[162:163]
	v_fma_f64 v[88:89], v[144:145], v[154:155], -v[88:89]
	v_mul_f64 v[144:145], v[144:145], v[90:91]
	ds_read2_b64 v[162:165], v156 offset0:16 offset1:17
	v_fmac_f64_e32 v[144:145], v[146:147], v[154:155]
	s_waitcnt vmcnt(28)
	v_add_f64 v[118:119], v[118:119], -v[144:145]
	ds_read2_b64 v[144:147], v156 offset0:18 offset1:19
	v_add_f64 v[116:117], v[116:117], -v[88:89]
	s_waitcnt lgkmcnt(1)
	v_mul_f64 v[88:89], v[164:165], v[90:91]
	v_fma_f64 v[88:89], v[162:163], v[154:155], -v[88:89]
	v_mul_f64 v[162:163], v[162:163], v[90:91]
	v_fmac_f64_e32 v[162:163], v[164:165], v[154:155]
	s_waitcnt vmcnt(27)
	v_add_f64 v[112:113], v[112:113], -v[88:89]
	s_waitcnt lgkmcnt(0)
	v_mul_f64 v[88:89], v[146:147], v[90:91]
	v_add_f64 v[114:115], v[114:115], -v[162:163]
	v_fma_f64 v[88:89], v[144:145], v[154:155], -v[88:89]
	v_mul_f64 v[144:145], v[144:145], v[90:91]
	ds_read2_b64 v[162:165], v156 offset0:20 offset1:21
	v_fmac_f64_e32 v[144:145], v[146:147], v[154:155]
	s_waitcnt vmcnt(26)
	v_add_f64 v[110:111], v[110:111], -v[144:145]
	ds_read2_b64 v[144:147], v156 offset0:22 offset1:23
	v_add_f64 v[108:109], v[108:109], -v[88:89]
	s_waitcnt lgkmcnt(1)
	v_mul_f64 v[88:89], v[164:165], v[90:91]
	v_fma_f64 v[88:89], v[162:163], v[154:155], -v[88:89]
	v_mul_f64 v[162:163], v[162:163], v[90:91]
	v_fmac_f64_e32 v[162:163], v[164:165], v[154:155]
	s_waitcnt vmcnt(25)
	v_add_f64 v[104:105], v[104:105], -v[88:89]
	s_waitcnt lgkmcnt(0)
	v_mul_f64 v[88:89], v[146:147], v[90:91]
	v_add_f64 v[106:107], v[106:107], -v[162:163]
	v_fma_f64 v[88:89], v[144:145], v[154:155], -v[88:89]
	v_mul_f64 v[144:145], v[144:145], v[90:91]
	ds_read2_b64 v[162:165], v156 offset0:24 offset1:25
	v_fmac_f64_e32 v[144:145], v[146:147], v[154:155]
	s_waitcnt vmcnt(24)
	v_add_f64 v[94:95], v[94:95], -v[144:145]
	ds_read2_b64 v[144:147], v156 offset0:26 offset1:27
	v_add_f64 v[92:93], v[92:93], -v[88:89]
	s_waitcnt lgkmcnt(1)
	v_mul_f64 v[88:89], v[164:165], v[90:91]
	v_fma_f64 v[88:89], v[162:163], v[154:155], -v[88:89]
	v_mul_f64 v[162:163], v[162:163], v[90:91]
	v_fmac_f64_e32 v[162:163], v[164:165], v[154:155]
	s_waitcnt vmcnt(23)
	v_add_f64 v[96:97], v[96:97], -v[88:89]
	s_waitcnt lgkmcnt(0)
	v_mul_f64 v[88:89], v[146:147], v[90:91]
	v_add_f64 v[98:99], v[98:99], -v[162:163]
	v_fma_f64 v[88:89], v[144:145], v[154:155], -v[88:89]
	v_mul_f64 v[144:145], v[144:145], v[90:91]
	ds_read2_b64 v[162:165], v156 offset0:28 offset1:29
	v_fmac_f64_e32 v[144:145], v[146:147], v[154:155]
	s_waitcnt vmcnt(22)
	v_add_f64 v[86:87], v[86:87], -v[144:145]
	ds_read2_b64 v[144:147], v156 offset0:30 offset1:31
	v_add_f64 v[84:85], v[84:85], -v[88:89]
	s_waitcnt lgkmcnt(1)
	v_mul_f64 v[88:89], v[164:165], v[90:91]
	v_fma_f64 v[88:89], v[162:163], v[154:155], -v[88:89]
	v_mul_f64 v[162:163], v[162:163], v[90:91]
	v_fmac_f64_e32 v[162:163], v[164:165], v[154:155]
	s_waitcnt vmcnt(21)
	v_add_f64 v[80:81], v[80:81], -v[88:89]
	s_waitcnt lgkmcnt(0)
	v_mul_f64 v[88:89], v[146:147], v[90:91]
	v_add_f64 v[82:83], v[82:83], -v[162:163]
	v_fma_f64 v[88:89], v[144:145], v[154:155], -v[88:89]
	v_mul_f64 v[144:145], v[144:145], v[90:91]
	ds_read2_b64 v[162:165], v156 offset0:32 offset1:33
	v_fmac_f64_e32 v[144:145], v[146:147], v[154:155]
	s_waitcnt vmcnt(20)
	v_add_f64 v[78:79], v[78:79], -v[144:145]
	ds_read2_b64 v[144:147], v156 offset0:34 offset1:35
	v_add_f64 v[76:77], v[76:77], -v[88:89]
	s_waitcnt lgkmcnt(1)
	v_mul_f64 v[88:89], v[164:165], v[90:91]
	v_fma_f64 v[88:89], v[162:163], v[154:155], -v[88:89]
	v_mul_f64 v[162:163], v[162:163], v[90:91]
	v_fmac_f64_e32 v[162:163], v[164:165], v[154:155]
	s_waitcnt vmcnt(19)
	v_add_f64 v[72:73], v[72:73], -v[88:89]
	s_waitcnt lgkmcnt(0)
	v_mul_f64 v[88:89], v[146:147], v[90:91]
	v_add_f64 v[74:75], v[74:75], -v[162:163]
	v_fma_f64 v[88:89], v[144:145], v[154:155], -v[88:89]
	v_mul_f64 v[144:145], v[144:145], v[90:91]
	ds_read2_b64 v[162:165], v156 offset0:36 offset1:37
	v_fmac_f64_e32 v[144:145], v[146:147], v[154:155]
	s_waitcnt vmcnt(18)
	v_add_f64 v[70:71], v[70:71], -v[144:145]
	ds_read2_b64 v[144:147], v156 offset0:38 offset1:39
	v_add_f64 v[68:69], v[68:69], -v[88:89]
	s_waitcnt lgkmcnt(1)
	v_mul_f64 v[88:89], v[164:165], v[90:91]
	v_fma_f64 v[88:89], v[162:163], v[154:155], -v[88:89]
	v_mul_f64 v[162:163], v[162:163], v[90:91]
	v_fmac_f64_e32 v[162:163], v[164:165], v[154:155]
	s_waitcnt vmcnt(17)
	v_add_f64 v[64:65], v[64:65], -v[88:89]
	s_waitcnt lgkmcnt(0)
	v_mul_f64 v[88:89], v[146:147], v[90:91]
	v_add_f64 v[66:67], v[66:67], -v[162:163]
	v_fma_f64 v[88:89], v[144:145], v[154:155], -v[88:89]
	v_mul_f64 v[144:145], v[144:145], v[90:91]
	ds_read2_b64 v[162:165], v156 offset0:40 offset1:41
	v_fmac_f64_e32 v[144:145], v[146:147], v[154:155]
	s_waitcnt vmcnt(16)
	v_add_f64 v[62:63], v[62:63], -v[144:145]
	ds_read2_b64 v[144:147], v156 offset0:42 offset1:43
	v_add_f64 v[60:61], v[60:61], -v[88:89]
	s_waitcnt lgkmcnt(1)
	v_mul_f64 v[88:89], v[164:165], v[90:91]
	v_fma_f64 v[88:89], v[162:163], v[154:155], -v[88:89]
	v_mul_f64 v[162:163], v[162:163], v[90:91]
	v_fmac_f64_e32 v[162:163], v[164:165], v[154:155]
	s_waitcnt vmcnt(15)
	v_add_f64 v[56:57], v[56:57], -v[88:89]
	s_waitcnt lgkmcnt(0)
	v_mul_f64 v[88:89], v[146:147], v[90:91]
	v_add_f64 v[58:59], v[58:59], -v[162:163]
	v_fma_f64 v[88:89], v[144:145], v[154:155], -v[88:89]
	v_mul_f64 v[144:145], v[144:145], v[90:91]
	ds_read2_b64 v[162:165], v156 offset0:44 offset1:45
	v_fmac_f64_e32 v[144:145], v[146:147], v[154:155]
	s_waitcnt vmcnt(14)
	v_add_f64 v[54:55], v[54:55], -v[144:145]
	ds_read2_b64 v[144:147], v156 offset0:46 offset1:47
	v_add_f64 v[52:53], v[52:53], -v[88:89]
	s_waitcnt lgkmcnt(1)
	v_mul_f64 v[88:89], v[164:165], v[90:91]
	v_fma_f64 v[88:89], v[162:163], v[154:155], -v[88:89]
	v_mul_f64 v[162:163], v[162:163], v[90:91]
	v_fmac_f64_e32 v[162:163], v[164:165], v[154:155]
	s_waitcnt vmcnt(13)
	v_add_f64 v[48:49], v[48:49], -v[88:89]
	s_waitcnt lgkmcnt(0)
	v_mul_f64 v[88:89], v[146:147], v[90:91]
	v_add_f64 v[50:51], v[50:51], -v[162:163]
	v_fma_f64 v[88:89], v[144:145], v[154:155], -v[88:89]
	v_mul_f64 v[144:145], v[144:145], v[90:91]
	ds_read2_b64 v[162:165], v156 offset0:48 offset1:49
	v_fmac_f64_e32 v[144:145], v[146:147], v[154:155]
	s_waitcnt vmcnt(12)
	v_add_f64 v[46:47], v[46:47], -v[144:145]
	ds_read2_b64 v[144:147], v156 offset0:50 offset1:51
	v_add_f64 v[44:45], v[44:45], -v[88:89]
	s_waitcnt lgkmcnt(1)
	v_mul_f64 v[88:89], v[164:165], v[90:91]
	v_fma_f64 v[88:89], v[162:163], v[154:155], -v[88:89]
	v_mul_f64 v[162:163], v[162:163], v[90:91]
	v_fmac_f64_e32 v[162:163], v[164:165], v[154:155]
	s_waitcnt vmcnt(11)
	v_add_f64 v[40:41], v[40:41], -v[88:89]
	s_waitcnt lgkmcnt(0)
	v_mul_f64 v[88:89], v[146:147], v[90:91]
	v_add_f64 v[42:43], v[42:43], -v[162:163]
	v_fma_f64 v[88:89], v[144:145], v[154:155], -v[88:89]
	v_mul_f64 v[144:145], v[144:145], v[90:91]
	ds_read2_b64 v[162:165], v156 offset0:52 offset1:53
	v_fmac_f64_e32 v[144:145], v[146:147], v[154:155]
	s_waitcnt vmcnt(10)
	v_add_f64 v[38:39], v[38:39], -v[144:145]
	ds_read2_b64 v[144:147], v156 offset0:54 offset1:55
	v_add_f64 v[36:37], v[36:37], -v[88:89]
	s_waitcnt lgkmcnt(1)
	v_mul_f64 v[88:89], v[164:165], v[90:91]
	v_fma_f64 v[88:89], v[162:163], v[154:155], -v[88:89]
	v_mul_f64 v[162:163], v[162:163], v[90:91]
	v_fmac_f64_e32 v[162:163], v[164:165], v[154:155]
	s_waitcnt vmcnt(9)
	v_add_f64 v[32:33], v[32:33], -v[88:89]
	s_waitcnt lgkmcnt(0)
	v_mul_f64 v[88:89], v[146:147], v[90:91]
	v_add_f64 v[34:35], v[34:35], -v[162:163]
	v_fma_f64 v[88:89], v[144:145], v[154:155], -v[88:89]
	v_mul_f64 v[144:145], v[144:145], v[90:91]
	ds_read2_b64 v[162:165], v156 offset0:56 offset1:57
	v_fmac_f64_e32 v[144:145], v[146:147], v[154:155]
	s_waitcnt vmcnt(8)
	v_add_f64 v[30:31], v[30:31], -v[144:145]
	ds_read2_b64 v[144:147], v156 offset0:58 offset1:59
	v_add_f64 v[28:29], v[28:29], -v[88:89]
	s_waitcnt lgkmcnt(1)
	v_mul_f64 v[88:89], v[164:165], v[90:91]
	v_fma_f64 v[88:89], v[162:163], v[154:155], -v[88:89]
	v_mul_f64 v[162:163], v[162:163], v[90:91]
	v_fmac_f64_e32 v[162:163], v[164:165], v[154:155]
	s_waitcnt vmcnt(7)
	v_add_f64 v[24:25], v[24:25], -v[88:89]
	s_waitcnt lgkmcnt(0)
	v_mul_f64 v[88:89], v[146:147], v[90:91]
	v_add_f64 v[26:27], v[26:27], -v[162:163]
	v_fma_f64 v[88:89], v[144:145], v[154:155], -v[88:89]
	v_mul_f64 v[144:145], v[144:145], v[90:91]
	ds_read2_b64 v[162:165], v156 offset0:60 offset1:61
	v_fmac_f64_e32 v[144:145], v[146:147], v[154:155]
	s_waitcnt vmcnt(6)
	v_add_f64 v[22:23], v[22:23], -v[144:145]
	ds_read2_b64 v[144:147], v156 offset0:62 offset1:63
	v_add_f64 v[20:21], v[20:21], -v[88:89]
	s_waitcnt lgkmcnt(1)
	v_mul_f64 v[88:89], v[164:165], v[90:91]
	v_fma_f64 v[88:89], v[162:163], v[154:155], -v[88:89]
	v_mul_f64 v[162:163], v[162:163], v[90:91]
	v_fmac_f64_e32 v[162:163], v[164:165], v[154:155]
	s_waitcnt vmcnt(5)
	v_add_f64 v[16:17], v[16:17], -v[88:89]
	s_waitcnt lgkmcnt(0)
	v_mul_f64 v[88:89], v[146:147], v[90:91]
	v_add_f64 v[18:19], v[18:19], -v[162:163]
	v_fma_f64 v[88:89], v[144:145], v[154:155], -v[88:89]
	v_mul_f64 v[144:145], v[144:145], v[90:91]
	ds_read2_b64 v[162:165], v156 offset0:64 offset1:65
	v_fmac_f64_e32 v[144:145], v[146:147], v[154:155]
	s_waitcnt vmcnt(4)
	v_add_f64 v[14:15], v[14:15], -v[144:145]
	ds_read2_b64 v[144:147], v156 offset0:66 offset1:67
	v_add_f64 v[12:13], v[12:13], -v[88:89]
	s_waitcnt lgkmcnt(1)
	v_mul_f64 v[88:89], v[164:165], v[90:91]
	v_fma_f64 v[88:89], v[162:163], v[154:155], -v[88:89]
	v_mul_f64 v[162:163], v[162:163], v[90:91]
	v_fmac_f64_e32 v[162:163], v[164:165], v[154:155]
	s_waitcnt vmcnt(3)
	v_add_f64 v[8:9], v[8:9], -v[88:89]
	s_waitcnt lgkmcnt(0)
	v_mul_f64 v[88:89], v[146:147], v[90:91]
	v_add_f64 v[10:11], v[10:11], -v[162:163]
	v_fma_f64 v[88:89], v[144:145], v[154:155], -v[88:89]
	v_mul_f64 v[144:145], v[144:145], v[90:91]
	ds_read2_b64 v[162:165], v156 offset0:68 offset1:69
	v_fmac_f64_e32 v[144:145], v[146:147], v[154:155]
	s_waitcnt vmcnt(2)
	v_add_f64 v[6:7], v[6:7], -v[144:145]
	ds_read2_b64 v[144:147], v156 offset0:70 offset1:71
	v_add_f64 v[4:5], v[4:5], -v[88:89]
	s_waitcnt lgkmcnt(1)
	v_mul_f64 v[88:89], v[164:165], v[90:91]
	v_fma_f64 v[88:89], v[162:163], v[154:155], -v[88:89]
	s_waitcnt vmcnt(1)
	v_add_f64 v[0:1], v[0:1], -v[88:89]
	s_waitcnt lgkmcnt(0)
	v_mul_f64 v[88:89], v[146:147], v[90:91]
	v_mul_f64 v[162:163], v[162:163], v[90:91]
	v_fma_f64 v[88:89], v[144:145], v[154:155], -v[88:89]
	v_mul_f64 v[144:145], v[144:145], v[90:91]
	v_fmac_f64_e32 v[162:163], v[164:165], v[154:155]
	v_fmac_f64_e32 v[144:145], v[146:147], v[154:155]
	v_add_f64 v[2:3], v[2:3], -v[162:163]
	s_waitcnt vmcnt(0)
	v_add_f64 v[140:141], v[140:141], -v[88:89]
	v_add_f64 v[142:143], v[142:143], -v[144:145]
	v_mov_b64_e32 v[88:89], v[154:155]
.LBB70_41:
	s_or_b64 exec, exec, s[0:1]
	v_lshl_add_u32 v144, v157, 4, v156
	s_barrier
	s_waitcnt vmcnt(33)
	ds_write2_b64 v144, v[136:137], v[138:139] offset1:1
	s_waitcnt lgkmcnt(0)
	s_barrier
	ds_read2_b64 v[144:147], v156 offset0:4 offset1:5
	s_cmp_lt_i32 s20, 4
	v_mov_b32_e32 v154, 2
	s_cbranch_scc1 .LBB70_44
; %bb.42:
	v_add3_u32 v155, v160, 0, 48
	s_mov_b32 s16, 3
	v_mov_b32_e32 v154, 2
.LBB70_43:                              ; =>This Inner Loop Header: Depth=1
	ds_read2_b64 v[162:165], v155 offset1:1
	s_waitcnt lgkmcnt(1)
	v_xor_b32_e32 v161, 0x80000000, v145
	v_xor_b32_e32 v169, 0x80000000, v147
	v_cmp_gt_f64_e32 vcc, 0, v[146:147]
	v_cmp_gt_f64_e64 s[0:1], 0, v[144:145]
	v_mov_b32_e32 v166, v144
	v_mov_b32_e32 v168, v146
	v_cndmask_b32_e64 v167, v145, v161, s[0:1]
	v_cndmask_b32_e32 v169, v147, v169, vcc
	s_waitcnt lgkmcnt(0)
	v_xor_b32_e32 v161, 0x80000000, v163
	v_xor_b32_e32 v171, 0x80000000, v165
	v_cmp_gt_f64_e32 vcc, 0, v[164:165]
	v_cmp_gt_f64_e64 s[0:1], 0, v[162:163]
	v_add_f64 v[166:167], v[166:167], v[168:169]
	v_mov_b32_e32 v168, v162
	v_mov_b32_e32 v170, v164
	v_cndmask_b32_e64 v169, v163, v161, s[0:1]
	v_cndmask_b32_e32 v171, v165, v171, vcc
	v_add_f64 v[168:169], v[168:169], v[170:171]
	v_mov_b32_e32 v172, s16
	s_add_i32 s16, s16, 1
	v_cmp_lt_f64_e32 vcc, v[166:167], v[168:169]
	v_add_u32_e32 v155, 16, v155
	s_cmp_lg_u32 s20, s16
	v_cndmask_b32_e32 v145, v145, v163, vcc
	v_cndmask_b32_e32 v144, v144, v162, vcc
	;; [unrolled: 1-line block ×5, first 2 shown]
	s_cbranch_scc1 .LBB70_43
.LBB70_44:
	s_waitcnt lgkmcnt(0)
	v_cmp_eq_f64_e32 vcc, 0, v[144:145]
	v_cmp_eq_f64_e64 s[0:1], 0, v[146:147]
	s_and_b64 s[0:1], vcc, s[0:1]
	s_and_saveexec_b64 s[16:17], s[0:1]
	s_xor_b64 s[0:1], exec, s[16:17]
; %bb.45:
	v_cmp_ne_u32_e32 vcc, 0, v158
	s_nop 1
	v_cndmask_b32_e32 v158, 3, v158, vcc
; %bb.46:
	s_andn2_saveexec_b64 s[0:1], s[0:1]
	s_cbranch_execz .LBB70_52
; %bb.47:
	v_cmp_ngt_f64_e64 s[16:17], |v[144:145]|, |v[146:147]|
	s_and_saveexec_b64 s[18:19], s[16:17]
	s_xor_b64 s[16:17], exec, s[18:19]
	s_cbranch_execz .LBB70_49
; %bb.48:
	v_div_scale_f64 v[162:163], s[18:19], v[146:147], v[146:147], v[144:145]
	v_rcp_f64_e32 v[164:165], v[162:163]
	v_div_scale_f64 v[166:167], vcc, v[144:145], v[146:147], v[144:145]
	v_fma_f64 v[168:169], -v[162:163], v[164:165], 1.0
	v_fmac_f64_e32 v[164:165], v[164:165], v[168:169]
	v_fma_f64 v[168:169], -v[162:163], v[164:165], 1.0
	v_fmac_f64_e32 v[164:165], v[164:165], v[168:169]
	v_mul_f64 v[168:169], v[166:167], v[164:165]
	v_fma_f64 v[162:163], -v[162:163], v[168:169], v[166:167]
	v_div_fmas_f64 v[162:163], v[162:163], v[164:165], v[168:169]
	v_div_fixup_f64 v[162:163], v[162:163], v[146:147], v[144:145]
	v_fmac_f64_e32 v[146:147], v[144:145], v[162:163]
	v_div_scale_f64 v[144:145], s[18:19], v[146:147], v[146:147], 1.0
	v_rcp_f64_e32 v[164:165], v[144:145]
	s_nop 0
	v_fma_f64 v[166:167], -v[144:145], v[164:165], 1.0
	v_fmac_f64_e32 v[164:165], v[164:165], v[166:167]
	v_fma_f64 v[166:167], -v[144:145], v[164:165], 1.0
	v_fmac_f64_e32 v[164:165], v[164:165], v[166:167]
	v_div_scale_f64 v[166:167], vcc, 1.0, v[146:147], 1.0
	v_mul_f64 v[168:169], v[166:167], v[164:165]
	v_fma_f64 v[144:145], -v[144:145], v[168:169], v[166:167]
	s_nop 1
	v_div_fmas_f64 v[144:145], v[144:145], v[164:165], v[168:169]
	v_div_fixup_f64 v[146:147], v[144:145], v[146:147], 1.0
	v_mul_f64 v[144:145], v[162:163], v[146:147]
	v_xor_b32_e32 v147, 0x80000000, v147
.LBB70_49:
	s_andn2_saveexec_b64 s[16:17], s[16:17]
	s_cbranch_execz .LBB70_51
; %bb.50:
	v_div_scale_f64 v[162:163], s[18:19], v[144:145], v[144:145], v[146:147]
	v_rcp_f64_e32 v[164:165], v[162:163]
	v_div_scale_f64 v[166:167], vcc, v[146:147], v[144:145], v[146:147]
	v_fma_f64 v[168:169], -v[162:163], v[164:165], 1.0
	v_fmac_f64_e32 v[164:165], v[164:165], v[168:169]
	v_fma_f64 v[168:169], -v[162:163], v[164:165], 1.0
	v_fmac_f64_e32 v[164:165], v[164:165], v[168:169]
	v_mul_f64 v[168:169], v[166:167], v[164:165]
	v_fma_f64 v[162:163], -v[162:163], v[168:169], v[166:167]
	v_div_fmas_f64 v[162:163], v[162:163], v[164:165], v[168:169]
	v_div_fixup_f64 v[162:163], v[162:163], v[144:145], v[146:147]
	v_fmac_f64_e32 v[144:145], v[146:147], v[162:163]
	v_div_scale_f64 v[146:147], s[18:19], v[144:145], v[144:145], 1.0
	v_rcp_f64_e32 v[164:165], v[146:147]
	s_nop 0
	v_fma_f64 v[166:167], -v[146:147], v[164:165], 1.0
	v_fmac_f64_e32 v[164:165], v[164:165], v[166:167]
	v_fma_f64 v[166:167], -v[146:147], v[164:165], 1.0
	v_fmac_f64_e32 v[164:165], v[164:165], v[166:167]
	v_div_scale_f64 v[166:167], vcc, 1.0, v[144:145], 1.0
	v_mul_f64 v[168:169], v[166:167], v[164:165]
	v_fma_f64 v[146:147], -v[146:147], v[168:169], v[166:167]
	s_nop 1
	v_div_fmas_f64 v[146:147], v[146:147], v[164:165], v[168:169]
	v_div_fixup_f64 v[144:145], v[146:147], v[144:145], 1.0
	v_mul_f64 v[146:147], v[162:163], -v[144:145]
.LBB70_51:
	s_or_b64 exec, exec, s[16:17]
.LBB70_52:
	s_or_b64 exec, exec, s[0:1]
	v_cmp_ne_u32_e32 vcc, v157, v154
	s_and_saveexec_b64 s[0:1], vcc
	s_xor_b64 s[0:1], exec, s[0:1]
	s_cbranch_execz .LBB70_58
; %bb.53:
	v_cmp_eq_u32_e32 vcc, 2, v157
	s_and_saveexec_b64 s[16:17], vcc
	s_cbranch_execz .LBB70_57
; %bb.54:
	v_cmp_ne_u32_e32 vcc, 2, v154
	s_xor_b64 s[18:19], s[14:15], -1
	s_and_b64 s[22:23], s[18:19], vcc
	s_and_saveexec_b64 s[18:19], s[22:23]
	s_cbranch_execz .LBB70_56
; %bb.55:
	v_ashrrev_i32_e32 v155, 31, v154
	v_lshl_add_u64 v[162:163], v[154:155], 2, v[152:153]
	global_load_dword v155, v[162:163], off
	global_load_dword v157, v[152:153], off offset:8
	s_waitcnt vmcnt(1)
	global_store_dword v[152:153], v155, off offset:8
	s_waitcnt vmcnt(1)
	global_store_dword v[162:163], v157, off
.LBB70_56:
	s_or_b64 exec, exec, s[18:19]
	v_mov_b32_e32 v157, v154
	v_mov_b32_e32 v159, v154
.LBB70_57:
	s_or_b64 exec, exec, s[16:17]
.LBB70_58:
	s_andn2_saveexec_b64 s[0:1], s[0:1]
	s_cbranch_execz .LBB70_60
; %bb.59:
	v_mov_b32_e32 v157, 2
	s_waitcnt vmcnt(32)
	ds_write2_b64 v156, v[132:133], v[134:135] offset0:6 offset1:7
	s_waitcnt vmcnt(31)
	ds_write2_b64 v156, v[128:129], v[130:131] offset0:8 offset1:9
	s_waitcnt vmcnt(30)
	ds_write2_b64 v156, v[124:125], v[126:127] offset0:10 offset1:11
	s_waitcnt vmcnt(29)
	ds_write2_b64 v156, v[120:121], v[122:123] offset0:12 offset1:13
	s_waitcnt vmcnt(28)
	ds_write2_b64 v156, v[116:117], v[118:119] offset0:14 offset1:15
	s_waitcnt vmcnt(27)
	ds_write2_b64 v156, v[112:113], v[114:115] offset0:16 offset1:17
	s_waitcnt vmcnt(26)
	ds_write2_b64 v156, v[108:109], v[110:111] offset0:18 offset1:19
	s_waitcnt vmcnt(25)
	ds_write2_b64 v156, v[104:105], v[106:107] offset0:20 offset1:21
	s_waitcnt vmcnt(24)
	ds_write2_b64 v156, v[92:93], v[94:95] offset0:22 offset1:23
	s_waitcnt vmcnt(23)
	ds_write2_b64 v156, v[96:97], v[98:99] offset0:24 offset1:25
	s_waitcnt vmcnt(22)
	ds_write2_b64 v156, v[84:85], v[86:87] offset0:26 offset1:27
	s_waitcnt vmcnt(21)
	ds_write2_b64 v156, v[80:81], v[82:83] offset0:28 offset1:29
	s_waitcnt vmcnt(20)
	ds_write2_b64 v156, v[76:77], v[78:79] offset0:30 offset1:31
	s_waitcnt vmcnt(19)
	ds_write2_b64 v156, v[72:73], v[74:75] offset0:32 offset1:33
	s_waitcnt vmcnt(18)
	ds_write2_b64 v156, v[68:69], v[70:71] offset0:34 offset1:35
	s_waitcnt vmcnt(17)
	ds_write2_b64 v156, v[64:65], v[66:67] offset0:36 offset1:37
	s_waitcnt vmcnt(16)
	ds_write2_b64 v156, v[60:61], v[62:63] offset0:38 offset1:39
	s_waitcnt vmcnt(15)
	ds_write2_b64 v156, v[56:57], v[58:59] offset0:40 offset1:41
	s_waitcnt vmcnt(14)
	ds_write2_b64 v156, v[52:53], v[54:55] offset0:42 offset1:43
	s_waitcnt vmcnt(13)
	ds_write2_b64 v156, v[48:49], v[50:51] offset0:44 offset1:45
	s_waitcnt vmcnt(12)
	ds_write2_b64 v156, v[44:45], v[46:47] offset0:46 offset1:47
	s_waitcnt vmcnt(11)
	ds_write2_b64 v156, v[40:41], v[42:43] offset0:48 offset1:49
	s_waitcnt vmcnt(10)
	ds_write2_b64 v156, v[36:37], v[38:39] offset0:50 offset1:51
	s_waitcnt vmcnt(9)
	ds_write2_b64 v156, v[32:33], v[34:35] offset0:52 offset1:53
	s_waitcnt vmcnt(8)
	ds_write2_b64 v156, v[28:29], v[30:31] offset0:54 offset1:55
	s_waitcnt vmcnt(7)
	ds_write2_b64 v156, v[24:25], v[26:27] offset0:56 offset1:57
	s_waitcnt vmcnt(6)
	ds_write2_b64 v156, v[20:21], v[22:23] offset0:58 offset1:59
	s_waitcnt vmcnt(5)
	ds_write2_b64 v156, v[16:17], v[18:19] offset0:60 offset1:61
	s_waitcnt vmcnt(4)
	ds_write2_b64 v156, v[12:13], v[14:15] offset0:62 offset1:63
	s_waitcnt vmcnt(3)
	ds_write2_b64 v156, v[8:9], v[10:11] offset0:64 offset1:65
	s_waitcnt vmcnt(2)
	ds_write2_b64 v156, v[4:5], v[6:7] offset0:66 offset1:67
	s_waitcnt vmcnt(1)
	ds_write2_b64 v156, v[0:1], v[2:3] offset0:68 offset1:69
	s_waitcnt vmcnt(0)
	ds_write2_b64 v156, v[140:141], v[142:143] offset0:70 offset1:71
.LBB70_60:
	s_or_b64 exec, exec, s[0:1]
	v_cmp_lt_i32_e32 vcc, 2, v157
	s_waitcnt lgkmcnt(0)
	s_barrier
	s_and_saveexec_b64 s[0:1], vcc
	s_cbranch_execz .LBB70_62
; %bb.61:
	ds_read2_b64 v[162:165], v156 offset0:6 offset1:7
	v_mul_f64 v[154:155], v[146:147], v[138:139]
	v_mul_f64 v[138:139], v[144:145], v[138:139]
	v_fmac_f64_e32 v[138:139], v[146:147], v[136:137]
	v_fma_f64 v[154:155], v[144:145], v[136:137], -v[154:155]
	ds_read2_b64 v[144:147], v156 offset0:8 offset1:9
	s_waitcnt lgkmcnt(1)
	v_mul_f64 v[136:137], v[164:165], v[138:139]
	v_fma_f64 v[136:137], v[162:163], v[154:155], -v[136:137]
	v_mul_f64 v[162:163], v[162:163], v[138:139]
	v_fmac_f64_e32 v[162:163], v[164:165], v[154:155]
	s_waitcnt vmcnt(32)
	v_add_f64 v[134:135], v[134:135], -v[162:163]
	ds_read2_b64 v[162:165], v156 offset0:10 offset1:11
	v_add_f64 v[132:133], v[132:133], -v[136:137]
	s_waitcnt lgkmcnt(1)
	v_mul_f64 v[136:137], v[146:147], v[138:139]
	v_fma_f64 v[136:137], v[144:145], v[154:155], -v[136:137]
	v_mul_f64 v[144:145], v[144:145], v[138:139]
	v_fmac_f64_e32 v[144:145], v[146:147], v[154:155]
	s_waitcnt vmcnt(31)
	v_add_f64 v[128:129], v[128:129], -v[136:137]
	v_add_f64 v[130:131], v[130:131], -v[144:145]
	ds_read2_b64 v[144:147], v156 offset0:12 offset1:13
	s_waitcnt lgkmcnt(1)
	v_mul_f64 v[136:137], v[164:165], v[138:139]
	v_fma_f64 v[136:137], v[162:163], v[154:155], -v[136:137]
	v_mul_f64 v[162:163], v[162:163], v[138:139]
	v_fmac_f64_e32 v[162:163], v[164:165], v[154:155]
	s_waitcnt vmcnt(30)
	v_add_f64 v[126:127], v[126:127], -v[162:163]
	ds_read2_b64 v[162:165], v156 offset0:14 offset1:15
	v_add_f64 v[124:125], v[124:125], -v[136:137]
	s_waitcnt lgkmcnt(1)
	v_mul_f64 v[136:137], v[146:147], v[138:139]
	v_fma_f64 v[136:137], v[144:145], v[154:155], -v[136:137]
	v_mul_f64 v[144:145], v[144:145], v[138:139]
	v_fmac_f64_e32 v[144:145], v[146:147], v[154:155]
	s_waitcnt vmcnt(29)
	v_add_f64 v[120:121], v[120:121], -v[136:137]
	v_add_f64 v[122:123], v[122:123], -v[144:145]
	;; [unrolled: 18-line block ×16, first 2 shown]
	s_waitcnt lgkmcnt(0)
	v_mul_f64 v[136:137], v[164:165], v[138:139]
	v_mul_f64 v[144:145], v[162:163], v[138:139]
	v_fma_f64 v[136:137], v[162:163], v[154:155], -v[136:137]
	v_fmac_f64_e32 v[144:145], v[164:165], v[154:155]
	s_waitcnt vmcnt(0)
	v_add_f64 v[140:141], v[140:141], -v[136:137]
	v_add_f64 v[142:143], v[142:143], -v[144:145]
	v_mov_b64_e32 v[136:137], v[154:155]
.LBB70_62:
	s_or_b64 exec, exec, s[0:1]
	v_lshl_add_u32 v144, v157, 4, v156
	s_barrier
	s_waitcnt vmcnt(32)
	ds_write2_b64 v144, v[132:133], v[134:135] offset1:1
	s_waitcnt lgkmcnt(0)
	s_barrier
	ds_read2_b64 v[144:147], v156 offset0:6 offset1:7
	s_mov_b32 s16, 4
	s_cmp_lt_i32 s20, 5
	v_mov_b32_e32 v154, 3
	s_cbranch_scc1 .LBB70_65
; %bb.63:
	v_add3_u32 v155, v160, 0, 64
	v_mov_b32_e32 v154, 3
.LBB70_64:                              ; =>This Inner Loop Header: Depth=1
	ds_read2_b64 v[160:163], v155 offset1:1
	s_waitcnt lgkmcnt(1)
	v_xor_b32_e32 v165, 0x80000000, v145
	v_xor_b32_e32 v167, 0x80000000, v147
	v_cmp_gt_f64_e32 vcc, 0, v[146:147]
	v_cmp_gt_f64_e64 s[0:1], 0, v[144:145]
	v_mov_b32_e32 v164, v144
	v_mov_b32_e32 v166, v146
	v_cndmask_b32_e64 v165, v145, v165, s[0:1]
	v_cndmask_b32_e32 v167, v147, v167, vcc
	v_add_f64 v[164:165], v[164:165], v[166:167]
	s_waitcnt lgkmcnt(0)
	v_xor_b32_e32 v167, 0x80000000, v161
	v_xor_b32_e32 v169, 0x80000000, v163
	v_cmp_gt_f64_e32 vcc, 0, v[162:163]
	v_cmp_gt_f64_e64 s[0:1], 0, v[160:161]
	v_mov_b32_e32 v166, v160
	v_mov_b32_e32 v168, v162
	v_cndmask_b32_e64 v167, v161, v167, s[0:1]
	v_cndmask_b32_e32 v169, v163, v169, vcc
	v_add_f64 v[166:167], v[166:167], v[168:169]
	v_mov_b32_e32 v170, s16
	s_add_i32 s16, s16, 1
	v_cmp_lt_f64_e32 vcc, v[164:165], v[166:167]
	v_add_u32_e32 v155, 16, v155
	s_cmp_lg_u32 s20, s16
	v_cndmask_b32_e32 v145, v145, v161, vcc
	v_cndmask_b32_e32 v144, v144, v160, vcc
	;; [unrolled: 1-line block ×5, first 2 shown]
	s_cbranch_scc1 .LBB70_64
.LBB70_65:
	s_waitcnt lgkmcnt(0)
	v_cmp_eq_f64_e32 vcc, 0, v[144:145]
	v_cmp_eq_f64_e64 s[0:1], 0, v[146:147]
	s_and_b64 s[0:1], vcc, s[0:1]
	s_and_saveexec_b64 s[16:17], s[0:1]
	s_xor_b64 s[0:1], exec, s[16:17]
; %bb.66:
	v_cmp_ne_u32_e32 vcc, 0, v158
	s_nop 1
	v_cndmask_b32_e32 v158, 4, v158, vcc
; %bb.67:
	s_andn2_saveexec_b64 s[0:1], s[0:1]
	s_cbranch_execz .LBB70_73
; %bb.68:
	v_cmp_ngt_f64_e64 s[16:17], |v[144:145]|, |v[146:147]|
	s_and_saveexec_b64 s[18:19], s[16:17]
	s_xor_b64 s[16:17], exec, s[18:19]
	s_cbranch_execz .LBB70_70
; %bb.69:
	v_div_scale_f64 v[160:161], s[18:19], v[146:147], v[146:147], v[144:145]
	v_rcp_f64_e32 v[162:163], v[160:161]
	v_div_scale_f64 v[164:165], vcc, v[144:145], v[146:147], v[144:145]
	v_fma_f64 v[166:167], -v[160:161], v[162:163], 1.0
	v_fmac_f64_e32 v[162:163], v[162:163], v[166:167]
	v_fma_f64 v[166:167], -v[160:161], v[162:163], 1.0
	v_fmac_f64_e32 v[162:163], v[162:163], v[166:167]
	v_mul_f64 v[166:167], v[164:165], v[162:163]
	v_fma_f64 v[160:161], -v[160:161], v[166:167], v[164:165]
	v_div_fmas_f64 v[160:161], v[160:161], v[162:163], v[166:167]
	v_div_fixup_f64 v[160:161], v[160:161], v[146:147], v[144:145]
	v_fmac_f64_e32 v[146:147], v[144:145], v[160:161]
	v_div_scale_f64 v[144:145], s[18:19], v[146:147], v[146:147], 1.0
	v_rcp_f64_e32 v[162:163], v[144:145]
	s_nop 0
	v_fma_f64 v[164:165], -v[144:145], v[162:163], 1.0
	v_fmac_f64_e32 v[162:163], v[162:163], v[164:165]
	v_fma_f64 v[164:165], -v[144:145], v[162:163], 1.0
	v_fmac_f64_e32 v[162:163], v[162:163], v[164:165]
	v_div_scale_f64 v[164:165], vcc, 1.0, v[146:147], 1.0
	v_mul_f64 v[166:167], v[164:165], v[162:163]
	v_fma_f64 v[144:145], -v[144:145], v[166:167], v[164:165]
	s_nop 1
	v_div_fmas_f64 v[144:145], v[144:145], v[162:163], v[166:167]
	v_div_fixup_f64 v[146:147], v[144:145], v[146:147], 1.0
	v_mul_f64 v[144:145], v[160:161], v[146:147]
	v_xor_b32_e32 v147, 0x80000000, v147
.LBB70_70:
	s_andn2_saveexec_b64 s[16:17], s[16:17]
	s_cbranch_execz .LBB70_72
; %bb.71:
	v_div_scale_f64 v[160:161], s[18:19], v[144:145], v[144:145], v[146:147]
	v_rcp_f64_e32 v[162:163], v[160:161]
	v_div_scale_f64 v[164:165], vcc, v[146:147], v[144:145], v[146:147]
	v_fma_f64 v[166:167], -v[160:161], v[162:163], 1.0
	v_fmac_f64_e32 v[162:163], v[162:163], v[166:167]
	v_fma_f64 v[166:167], -v[160:161], v[162:163], 1.0
	v_fmac_f64_e32 v[162:163], v[162:163], v[166:167]
	v_mul_f64 v[166:167], v[164:165], v[162:163]
	v_fma_f64 v[160:161], -v[160:161], v[166:167], v[164:165]
	v_div_fmas_f64 v[160:161], v[160:161], v[162:163], v[166:167]
	v_div_fixup_f64 v[160:161], v[160:161], v[144:145], v[146:147]
	v_fmac_f64_e32 v[144:145], v[146:147], v[160:161]
	v_div_scale_f64 v[146:147], s[18:19], v[144:145], v[144:145], 1.0
	v_rcp_f64_e32 v[162:163], v[146:147]
	s_nop 0
	v_fma_f64 v[164:165], -v[146:147], v[162:163], 1.0
	v_fmac_f64_e32 v[162:163], v[162:163], v[164:165]
	v_fma_f64 v[164:165], -v[146:147], v[162:163], 1.0
	v_fmac_f64_e32 v[162:163], v[162:163], v[164:165]
	v_div_scale_f64 v[164:165], vcc, 1.0, v[144:145], 1.0
	v_mul_f64 v[166:167], v[164:165], v[162:163]
	v_fma_f64 v[146:147], -v[146:147], v[166:167], v[164:165]
	s_nop 1
	v_div_fmas_f64 v[146:147], v[146:147], v[162:163], v[166:167]
	v_div_fixup_f64 v[144:145], v[146:147], v[144:145], 1.0
	v_mul_f64 v[146:147], v[160:161], -v[144:145]
.LBB70_72:
	s_or_b64 exec, exec, s[16:17]
.LBB70_73:
	s_or_b64 exec, exec, s[0:1]
	v_cmp_ne_u32_e32 vcc, v157, v154
	s_and_saveexec_b64 s[0:1], vcc
	s_xor_b64 s[0:1], exec, s[0:1]
	s_cbranch_execz .LBB70_79
; %bb.74:
	v_cmp_eq_u32_e32 vcc, 3, v157
	s_and_saveexec_b64 s[16:17], vcc
	s_cbranch_execz .LBB70_78
; %bb.75:
	v_cmp_ne_u32_e32 vcc, 3, v154
	s_xor_b64 s[18:19], s[14:15], -1
	s_and_b64 s[22:23], s[18:19], vcc
	s_and_saveexec_b64 s[18:19], s[22:23]
	s_cbranch_execz .LBB70_77
; %bb.76:
	v_ashrrev_i32_e32 v155, 31, v154
	v_lshl_add_u64 v[160:161], v[154:155], 2, v[152:153]
	global_load_dword v155, v[160:161], off
	global_load_dword v157, v[152:153], off offset:12
	s_waitcnt vmcnt(1)
	global_store_dword v[152:153], v155, off offset:12
	s_waitcnt vmcnt(1)
	global_store_dword v[160:161], v157, off
.LBB70_77:
	s_or_b64 exec, exec, s[18:19]
	v_mov_b32_e32 v157, v154
	v_mov_b32_e32 v159, v154
.LBB70_78:
	s_or_b64 exec, exec, s[16:17]
.LBB70_79:
	s_andn2_saveexec_b64 s[0:1], s[0:1]
	s_cbranch_execz .LBB70_81
; %bb.80:
	v_mov_b32_e32 v157, 3
	s_waitcnt vmcnt(31)
	ds_write2_b64 v156, v[128:129], v[130:131] offset0:8 offset1:9
	s_waitcnt vmcnt(30)
	ds_write2_b64 v156, v[124:125], v[126:127] offset0:10 offset1:11
	;; [unrolled: 2-line block ×32, first 2 shown]
.LBB70_81:
	s_or_b64 exec, exec, s[0:1]
	v_cmp_lt_i32_e32 vcc, 3, v157
	s_waitcnt lgkmcnt(0)
	s_barrier
	s_and_saveexec_b64 s[0:1], vcc
	s_cbranch_execz .LBB70_83
; %bb.82:
	ds_read2_b64 v[160:163], v156 offset0:8 offset1:9
	v_mul_f64 v[154:155], v[146:147], v[134:135]
	v_mul_f64 v[134:135], v[144:145], v[134:135]
	v_fma_f64 v[154:155], v[144:145], v[132:133], -v[154:155]
	v_fmac_f64_e32 v[134:135], v[146:147], v[132:133]
	ds_read2_b64 v[144:147], v156 offset0:10 offset1:11
	s_waitcnt lgkmcnt(1)
	v_mul_f64 v[132:133], v[162:163], v[134:135]
	v_fma_f64 v[132:133], v[160:161], v[154:155], -v[132:133]
	v_mul_f64 v[160:161], v[160:161], v[134:135]
	v_fmac_f64_e32 v[160:161], v[162:163], v[154:155]
	s_waitcnt vmcnt(31)
	v_add_f64 v[128:129], v[128:129], -v[132:133]
	s_waitcnt lgkmcnt(0)
	v_mul_f64 v[132:133], v[146:147], v[134:135]
	v_add_f64 v[130:131], v[130:131], -v[160:161]
	v_fma_f64 v[132:133], v[144:145], v[154:155], -v[132:133]
	v_mul_f64 v[144:145], v[144:145], v[134:135]
	ds_read2_b64 v[160:163], v156 offset0:12 offset1:13
	v_fmac_f64_e32 v[144:145], v[146:147], v[154:155]
	s_waitcnt vmcnt(30)
	v_add_f64 v[126:127], v[126:127], -v[144:145]
	ds_read2_b64 v[144:147], v156 offset0:14 offset1:15
	v_add_f64 v[124:125], v[124:125], -v[132:133]
	s_waitcnt lgkmcnt(1)
	v_mul_f64 v[132:133], v[162:163], v[134:135]
	v_fma_f64 v[132:133], v[160:161], v[154:155], -v[132:133]
	v_mul_f64 v[160:161], v[160:161], v[134:135]
	v_fmac_f64_e32 v[160:161], v[162:163], v[154:155]
	s_waitcnt vmcnt(29)
	v_add_f64 v[120:121], v[120:121], -v[132:133]
	s_waitcnt lgkmcnt(0)
	v_mul_f64 v[132:133], v[146:147], v[134:135]
	v_add_f64 v[122:123], v[122:123], -v[160:161]
	v_fma_f64 v[132:133], v[144:145], v[154:155], -v[132:133]
	v_mul_f64 v[144:145], v[144:145], v[134:135]
	ds_read2_b64 v[160:163], v156 offset0:16 offset1:17
	v_fmac_f64_e32 v[144:145], v[146:147], v[154:155]
	s_waitcnt vmcnt(28)
	v_add_f64 v[118:119], v[118:119], -v[144:145]
	ds_read2_b64 v[144:147], v156 offset0:18 offset1:19
	v_add_f64 v[116:117], v[116:117], -v[132:133]
	;; [unrolled: 18-line block ×15, first 2 shown]
	s_waitcnt lgkmcnt(1)
	v_mul_f64 v[132:133], v[162:163], v[134:135]
	v_fma_f64 v[132:133], v[160:161], v[154:155], -v[132:133]
	s_waitcnt vmcnt(1)
	v_add_f64 v[0:1], v[0:1], -v[132:133]
	s_waitcnt lgkmcnt(0)
	v_mul_f64 v[132:133], v[146:147], v[134:135]
	v_mul_f64 v[160:161], v[160:161], v[134:135]
	v_fma_f64 v[132:133], v[144:145], v[154:155], -v[132:133]
	v_mul_f64 v[144:145], v[144:145], v[134:135]
	v_fmac_f64_e32 v[160:161], v[162:163], v[154:155]
	v_fmac_f64_e32 v[144:145], v[146:147], v[154:155]
	v_add_f64 v[2:3], v[2:3], -v[160:161]
	s_waitcnt vmcnt(0)
	v_add_f64 v[140:141], v[140:141], -v[132:133]
	v_add_f64 v[142:143], v[142:143], -v[144:145]
	v_mov_b64_e32 v[132:133], v[154:155]
.LBB70_83:
	s_or_b64 exec, exec, s[0:1]
	v_lshl_add_u32 v144, v157, 4, v156
	s_barrier
	s_waitcnt vmcnt(31)
	ds_write2_b64 v144, v[128:129], v[130:131] offset1:1
	s_waitcnt lgkmcnt(0)
	s_barrier
	ds_read2_b64 v[144:147], v156 offset0:8 offset1:9
	s_cmp_lt_i32 s20, 6
	v_mov_b32_e32 v154, 4
	s_cbranch_scc1 .LBB70_86
; %bb.84:
	v_mov_b32_e32 v154, 4
	v_add_u32_e32 v155, 0x50, v156
	s_mov_b32 s16, 5
.LBB70_85:                              ; =>This Inner Loop Header: Depth=1
	ds_read2_b64 v[160:163], v155 offset1:1
	s_waitcnt lgkmcnt(1)
	v_xor_b32_e32 v165, 0x80000000, v145
	v_xor_b32_e32 v167, 0x80000000, v147
	v_cmp_gt_f64_e32 vcc, 0, v[146:147]
	v_cmp_gt_f64_e64 s[0:1], 0, v[144:145]
	v_mov_b32_e32 v164, v144
	v_mov_b32_e32 v166, v146
	v_cndmask_b32_e64 v165, v145, v165, s[0:1]
	v_cndmask_b32_e32 v167, v147, v167, vcc
	v_add_f64 v[164:165], v[164:165], v[166:167]
	s_waitcnt lgkmcnt(0)
	v_xor_b32_e32 v167, 0x80000000, v161
	v_xor_b32_e32 v169, 0x80000000, v163
	v_cmp_gt_f64_e32 vcc, 0, v[162:163]
	v_cmp_gt_f64_e64 s[0:1], 0, v[160:161]
	v_mov_b32_e32 v166, v160
	v_mov_b32_e32 v168, v162
	v_cndmask_b32_e64 v167, v161, v167, s[0:1]
	v_cndmask_b32_e32 v169, v163, v169, vcc
	v_add_f64 v[166:167], v[166:167], v[168:169]
	v_mov_b32_e32 v170, s16
	s_add_i32 s16, s16, 1
	v_cmp_lt_f64_e32 vcc, v[164:165], v[166:167]
	v_add_u32_e32 v155, 16, v155
	s_cmp_lg_u32 s20, s16
	v_cndmask_b32_e32 v145, v145, v161, vcc
	v_cndmask_b32_e32 v144, v144, v160, vcc
	;; [unrolled: 1-line block ×5, first 2 shown]
	s_cbranch_scc1 .LBB70_85
.LBB70_86:
	s_waitcnt lgkmcnt(0)
	v_cmp_eq_f64_e32 vcc, 0, v[144:145]
	v_cmp_eq_f64_e64 s[0:1], 0, v[146:147]
	s_and_b64 s[0:1], vcc, s[0:1]
	s_and_saveexec_b64 s[16:17], s[0:1]
	s_xor_b64 s[0:1], exec, s[16:17]
; %bb.87:
	v_cmp_ne_u32_e32 vcc, 0, v158
	s_nop 1
	v_cndmask_b32_e32 v158, 5, v158, vcc
; %bb.88:
	s_andn2_saveexec_b64 s[0:1], s[0:1]
	s_cbranch_execz .LBB70_94
; %bb.89:
	v_cmp_ngt_f64_e64 s[16:17], |v[144:145]|, |v[146:147]|
	s_and_saveexec_b64 s[18:19], s[16:17]
	s_xor_b64 s[16:17], exec, s[18:19]
	s_cbranch_execz .LBB70_91
; %bb.90:
	v_div_scale_f64 v[160:161], s[18:19], v[146:147], v[146:147], v[144:145]
	v_rcp_f64_e32 v[162:163], v[160:161]
	v_div_scale_f64 v[164:165], vcc, v[144:145], v[146:147], v[144:145]
	v_fma_f64 v[166:167], -v[160:161], v[162:163], 1.0
	v_fmac_f64_e32 v[162:163], v[162:163], v[166:167]
	v_fma_f64 v[166:167], -v[160:161], v[162:163], 1.0
	v_fmac_f64_e32 v[162:163], v[162:163], v[166:167]
	v_mul_f64 v[166:167], v[164:165], v[162:163]
	v_fma_f64 v[160:161], -v[160:161], v[166:167], v[164:165]
	v_div_fmas_f64 v[160:161], v[160:161], v[162:163], v[166:167]
	v_div_fixup_f64 v[160:161], v[160:161], v[146:147], v[144:145]
	v_fmac_f64_e32 v[146:147], v[144:145], v[160:161]
	v_div_scale_f64 v[144:145], s[18:19], v[146:147], v[146:147], 1.0
	v_rcp_f64_e32 v[162:163], v[144:145]
	s_nop 0
	v_fma_f64 v[164:165], -v[144:145], v[162:163], 1.0
	v_fmac_f64_e32 v[162:163], v[162:163], v[164:165]
	v_fma_f64 v[164:165], -v[144:145], v[162:163], 1.0
	v_fmac_f64_e32 v[162:163], v[162:163], v[164:165]
	v_div_scale_f64 v[164:165], vcc, 1.0, v[146:147], 1.0
	v_mul_f64 v[166:167], v[164:165], v[162:163]
	v_fma_f64 v[144:145], -v[144:145], v[166:167], v[164:165]
	s_nop 1
	v_div_fmas_f64 v[144:145], v[144:145], v[162:163], v[166:167]
	v_div_fixup_f64 v[146:147], v[144:145], v[146:147], 1.0
	v_mul_f64 v[144:145], v[160:161], v[146:147]
	v_xor_b32_e32 v147, 0x80000000, v147
.LBB70_91:
	s_andn2_saveexec_b64 s[16:17], s[16:17]
	s_cbranch_execz .LBB70_93
; %bb.92:
	v_div_scale_f64 v[160:161], s[18:19], v[144:145], v[144:145], v[146:147]
	v_rcp_f64_e32 v[162:163], v[160:161]
	v_div_scale_f64 v[164:165], vcc, v[146:147], v[144:145], v[146:147]
	v_fma_f64 v[166:167], -v[160:161], v[162:163], 1.0
	v_fmac_f64_e32 v[162:163], v[162:163], v[166:167]
	v_fma_f64 v[166:167], -v[160:161], v[162:163], 1.0
	v_fmac_f64_e32 v[162:163], v[162:163], v[166:167]
	v_mul_f64 v[166:167], v[164:165], v[162:163]
	v_fma_f64 v[160:161], -v[160:161], v[166:167], v[164:165]
	v_div_fmas_f64 v[160:161], v[160:161], v[162:163], v[166:167]
	v_div_fixup_f64 v[160:161], v[160:161], v[144:145], v[146:147]
	v_fmac_f64_e32 v[144:145], v[146:147], v[160:161]
	v_div_scale_f64 v[146:147], s[18:19], v[144:145], v[144:145], 1.0
	v_rcp_f64_e32 v[162:163], v[146:147]
	s_nop 0
	v_fma_f64 v[164:165], -v[146:147], v[162:163], 1.0
	v_fmac_f64_e32 v[162:163], v[162:163], v[164:165]
	v_fma_f64 v[164:165], -v[146:147], v[162:163], 1.0
	v_fmac_f64_e32 v[162:163], v[162:163], v[164:165]
	v_div_scale_f64 v[164:165], vcc, 1.0, v[144:145], 1.0
	v_mul_f64 v[166:167], v[164:165], v[162:163]
	v_fma_f64 v[146:147], -v[146:147], v[166:167], v[164:165]
	s_nop 1
	v_div_fmas_f64 v[146:147], v[146:147], v[162:163], v[166:167]
	v_div_fixup_f64 v[144:145], v[146:147], v[144:145], 1.0
	v_mul_f64 v[146:147], v[160:161], -v[144:145]
.LBB70_93:
	s_or_b64 exec, exec, s[16:17]
.LBB70_94:
	s_or_b64 exec, exec, s[0:1]
	v_cmp_ne_u32_e32 vcc, v157, v154
	s_and_saveexec_b64 s[0:1], vcc
	s_xor_b64 s[0:1], exec, s[0:1]
	s_cbranch_execz .LBB70_100
; %bb.95:
	v_cmp_eq_u32_e32 vcc, 4, v157
	s_and_saveexec_b64 s[16:17], vcc
	s_cbranch_execz .LBB70_99
; %bb.96:
	v_cmp_ne_u32_e32 vcc, 4, v154
	s_xor_b64 s[18:19], s[14:15], -1
	s_and_b64 s[22:23], s[18:19], vcc
	s_and_saveexec_b64 s[18:19], s[22:23]
	s_cbranch_execz .LBB70_98
; %bb.97:
	v_ashrrev_i32_e32 v155, 31, v154
	v_lshl_add_u64 v[160:161], v[154:155], 2, v[152:153]
	global_load_dword v155, v[160:161], off
	global_load_dword v157, v[152:153], off offset:16
	s_waitcnt vmcnt(1)
	global_store_dword v[152:153], v155, off offset:16
	s_waitcnt vmcnt(1)
	global_store_dword v[160:161], v157, off
.LBB70_98:
	s_or_b64 exec, exec, s[18:19]
	v_mov_b32_e32 v157, v154
	v_mov_b32_e32 v159, v154
.LBB70_99:
	s_or_b64 exec, exec, s[16:17]
.LBB70_100:
	s_andn2_saveexec_b64 s[0:1], s[0:1]
	s_cbranch_execz .LBB70_102
; %bb.101:
	v_mov_b32_e32 v157, 4
	s_waitcnt vmcnt(30)
	ds_write2_b64 v156, v[124:125], v[126:127] offset0:10 offset1:11
	s_waitcnt vmcnt(29)
	ds_write2_b64 v156, v[120:121], v[122:123] offset0:12 offset1:13
	;; [unrolled: 2-line block ×31, first 2 shown]
.LBB70_102:
	s_or_b64 exec, exec, s[0:1]
	v_cmp_lt_i32_e32 vcc, 4, v157
	s_waitcnt lgkmcnt(0)
	s_barrier
	s_and_saveexec_b64 s[0:1], vcc
	s_cbranch_execz .LBB70_104
; %bb.103:
	ds_read2_b64 v[160:163], v156 offset0:10 offset1:11
	v_mul_f64 v[154:155], v[146:147], v[130:131]
	v_mul_f64 v[130:131], v[144:145], v[130:131]
	v_fmac_f64_e32 v[130:131], v[146:147], v[128:129]
	v_fma_f64 v[154:155], v[144:145], v[128:129], -v[154:155]
	ds_read2_b64 v[144:147], v156 offset0:12 offset1:13
	s_waitcnt lgkmcnt(1)
	v_mul_f64 v[128:129], v[162:163], v[130:131]
	v_fma_f64 v[128:129], v[160:161], v[154:155], -v[128:129]
	v_mul_f64 v[160:161], v[160:161], v[130:131]
	v_fmac_f64_e32 v[160:161], v[162:163], v[154:155]
	s_waitcnt vmcnt(30)
	v_add_f64 v[126:127], v[126:127], -v[160:161]
	ds_read2_b64 v[160:163], v156 offset0:14 offset1:15
	v_add_f64 v[124:125], v[124:125], -v[128:129]
	s_waitcnt lgkmcnt(1)
	v_mul_f64 v[128:129], v[146:147], v[130:131]
	v_fma_f64 v[128:129], v[144:145], v[154:155], -v[128:129]
	v_mul_f64 v[144:145], v[144:145], v[130:131]
	v_fmac_f64_e32 v[144:145], v[146:147], v[154:155]
	s_waitcnt vmcnt(29)
	v_add_f64 v[120:121], v[120:121], -v[128:129]
	v_add_f64 v[122:123], v[122:123], -v[144:145]
	ds_read2_b64 v[144:147], v156 offset0:16 offset1:17
	s_waitcnt lgkmcnt(1)
	v_mul_f64 v[128:129], v[162:163], v[130:131]
	v_fma_f64 v[128:129], v[160:161], v[154:155], -v[128:129]
	v_mul_f64 v[160:161], v[160:161], v[130:131]
	v_fmac_f64_e32 v[160:161], v[162:163], v[154:155]
	s_waitcnt vmcnt(28)
	v_add_f64 v[118:119], v[118:119], -v[160:161]
	ds_read2_b64 v[160:163], v156 offset0:18 offset1:19
	v_add_f64 v[116:117], v[116:117], -v[128:129]
	s_waitcnt lgkmcnt(1)
	v_mul_f64 v[128:129], v[146:147], v[130:131]
	v_fma_f64 v[128:129], v[144:145], v[154:155], -v[128:129]
	v_mul_f64 v[144:145], v[144:145], v[130:131]
	v_fmac_f64_e32 v[144:145], v[146:147], v[154:155]
	s_waitcnt vmcnt(27)
	v_add_f64 v[112:113], v[112:113], -v[128:129]
	v_add_f64 v[114:115], v[114:115], -v[144:145]
	;; [unrolled: 18-line block ×15, first 2 shown]
	s_waitcnt lgkmcnt(0)
	v_mul_f64 v[128:129], v[162:163], v[130:131]
	v_mul_f64 v[144:145], v[160:161], v[130:131]
	v_fma_f64 v[128:129], v[160:161], v[154:155], -v[128:129]
	v_fmac_f64_e32 v[144:145], v[162:163], v[154:155]
	s_waitcnt vmcnt(0)
	v_add_f64 v[140:141], v[140:141], -v[128:129]
	v_add_f64 v[142:143], v[142:143], -v[144:145]
	v_mov_b64_e32 v[128:129], v[154:155]
.LBB70_104:
	s_or_b64 exec, exec, s[0:1]
	v_lshl_add_u32 v144, v157, 4, v156
	s_barrier
	s_waitcnt vmcnt(30)
	ds_write2_b64 v144, v[124:125], v[126:127] offset1:1
	s_waitcnt lgkmcnt(0)
	s_barrier
	ds_read2_b64 v[144:147], v156 offset0:10 offset1:11
	s_cmp_lt_i32 s20, 7
	v_mov_b32_e32 v154, 5
	s_cbranch_scc1 .LBB70_107
; %bb.105:
	v_add_u32_e32 v155, 0x60, v156
	s_mov_b32 s16, 6
	v_mov_b32_e32 v154, 5
.LBB70_106:                             ; =>This Inner Loop Header: Depth=1
	ds_read2_b64 v[160:163], v155 offset1:1
	s_waitcnt lgkmcnt(1)
	v_xor_b32_e32 v165, 0x80000000, v145
	v_xor_b32_e32 v167, 0x80000000, v147
	v_cmp_gt_f64_e32 vcc, 0, v[146:147]
	v_cmp_gt_f64_e64 s[0:1], 0, v[144:145]
	v_mov_b32_e32 v164, v144
	v_mov_b32_e32 v166, v146
	v_cndmask_b32_e64 v165, v145, v165, s[0:1]
	v_cndmask_b32_e32 v167, v147, v167, vcc
	v_add_f64 v[164:165], v[164:165], v[166:167]
	s_waitcnt lgkmcnt(0)
	v_xor_b32_e32 v167, 0x80000000, v161
	v_xor_b32_e32 v169, 0x80000000, v163
	v_cmp_gt_f64_e32 vcc, 0, v[162:163]
	v_cmp_gt_f64_e64 s[0:1], 0, v[160:161]
	v_mov_b32_e32 v166, v160
	v_mov_b32_e32 v168, v162
	v_cndmask_b32_e64 v167, v161, v167, s[0:1]
	v_cndmask_b32_e32 v169, v163, v169, vcc
	v_add_f64 v[166:167], v[166:167], v[168:169]
	v_mov_b32_e32 v170, s16
	s_add_i32 s16, s16, 1
	v_cmp_lt_f64_e32 vcc, v[164:165], v[166:167]
	v_add_u32_e32 v155, 16, v155
	s_cmp_lg_u32 s20, s16
	v_cndmask_b32_e32 v145, v145, v161, vcc
	v_cndmask_b32_e32 v144, v144, v160, vcc
	;; [unrolled: 1-line block ×5, first 2 shown]
	s_cbranch_scc1 .LBB70_106
.LBB70_107:
	s_waitcnt lgkmcnt(0)
	v_cmp_eq_f64_e32 vcc, 0, v[144:145]
	v_cmp_eq_f64_e64 s[0:1], 0, v[146:147]
	s_and_b64 s[0:1], vcc, s[0:1]
	s_and_saveexec_b64 s[16:17], s[0:1]
	s_xor_b64 s[0:1], exec, s[16:17]
; %bb.108:
	v_cmp_ne_u32_e32 vcc, 0, v158
	s_nop 1
	v_cndmask_b32_e32 v158, 6, v158, vcc
; %bb.109:
	s_andn2_saveexec_b64 s[0:1], s[0:1]
	s_cbranch_execz .LBB70_115
; %bb.110:
	v_cmp_ngt_f64_e64 s[16:17], |v[144:145]|, |v[146:147]|
	s_and_saveexec_b64 s[18:19], s[16:17]
	s_xor_b64 s[16:17], exec, s[18:19]
	s_cbranch_execz .LBB70_112
; %bb.111:
	v_div_scale_f64 v[160:161], s[18:19], v[146:147], v[146:147], v[144:145]
	v_rcp_f64_e32 v[162:163], v[160:161]
	v_div_scale_f64 v[164:165], vcc, v[144:145], v[146:147], v[144:145]
	v_fma_f64 v[166:167], -v[160:161], v[162:163], 1.0
	v_fmac_f64_e32 v[162:163], v[162:163], v[166:167]
	v_fma_f64 v[166:167], -v[160:161], v[162:163], 1.0
	v_fmac_f64_e32 v[162:163], v[162:163], v[166:167]
	v_mul_f64 v[166:167], v[164:165], v[162:163]
	v_fma_f64 v[160:161], -v[160:161], v[166:167], v[164:165]
	v_div_fmas_f64 v[160:161], v[160:161], v[162:163], v[166:167]
	v_div_fixup_f64 v[160:161], v[160:161], v[146:147], v[144:145]
	v_fmac_f64_e32 v[146:147], v[144:145], v[160:161]
	v_div_scale_f64 v[144:145], s[18:19], v[146:147], v[146:147], 1.0
	v_rcp_f64_e32 v[162:163], v[144:145]
	s_nop 0
	v_fma_f64 v[164:165], -v[144:145], v[162:163], 1.0
	v_fmac_f64_e32 v[162:163], v[162:163], v[164:165]
	v_fma_f64 v[164:165], -v[144:145], v[162:163], 1.0
	v_fmac_f64_e32 v[162:163], v[162:163], v[164:165]
	v_div_scale_f64 v[164:165], vcc, 1.0, v[146:147], 1.0
	v_mul_f64 v[166:167], v[164:165], v[162:163]
	v_fma_f64 v[144:145], -v[144:145], v[166:167], v[164:165]
	s_nop 1
	v_div_fmas_f64 v[144:145], v[144:145], v[162:163], v[166:167]
	v_div_fixup_f64 v[146:147], v[144:145], v[146:147], 1.0
	v_mul_f64 v[144:145], v[160:161], v[146:147]
	v_xor_b32_e32 v147, 0x80000000, v147
.LBB70_112:
	s_andn2_saveexec_b64 s[16:17], s[16:17]
	s_cbranch_execz .LBB70_114
; %bb.113:
	v_div_scale_f64 v[160:161], s[18:19], v[144:145], v[144:145], v[146:147]
	v_rcp_f64_e32 v[162:163], v[160:161]
	v_div_scale_f64 v[164:165], vcc, v[146:147], v[144:145], v[146:147]
	v_fma_f64 v[166:167], -v[160:161], v[162:163], 1.0
	v_fmac_f64_e32 v[162:163], v[162:163], v[166:167]
	v_fma_f64 v[166:167], -v[160:161], v[162:163], 1.0
	v_fmac_f64_e32 v[162:163], v[162:163], v[166:167]
	v_mul_f64 v[166:167], v[164:165], v[162:163]
	v_fma_f64 v[160:161], -v[160:161], v[166:167], v[164:165]
	v_div_fmas_f64 v[160:161], v[160:161], v[162:163], v[166:167]
	v_div_fixup_f64 v[160:161], v[160:161], v[144:145], v[146:147]
	v_fmac_f64_e32 v[144:145], v[146:147], v[160:161]
	v_div_scale_f64 v[146:147], s[18:19], v[144:145], v[144:145], 1.0
	v_rcp_f64_e32 v[162:163], v[146:147]
	s_nop 0
	v_fma_f64 v[164:165], -v[146:147], v[162:163], 1.0
	v_fmac_f64_e32 v[162:163], v[162:163], v[164:165]
	v_fma_f64 v[164:165], -v[146:147], v[162:163], 1.0
	v_fmac_f64_e32 v[162:163], v[162:163], v[164:165]
	v_div_scale_f64 v[164:165], vcc, 1.0, v[144:145], 1.0
	v_mul_f64 v[166:167], v[164:165], v[162:163]
	v_fma_f64 v[146:147], -v[146:147], v[166:167], v[164:165]
	s_nop 1
	v_div_fmas_f64 v[146:147], v[146:147], v[162:163], v[166:167]
	v_div_fixup_f64 v[144:145], v[146:147], v[144:145], 1.0
	v_mul_f64 v[146:147], v[160:161], -v[144:145]
.LBB70_114:
	s_or_b64 exec, exec, s[16:17]
.LBB70_115:
	s_or_b64 exec, exec, s[0:1]
	v_cmp_ne_u32_e32 vcc, v157, v154
	s_and_saveexec_b64 s[0:1], vcc
	s_xor_b64 s[0:1], exec, s[0:1]
	s_cbranch_execz .LBB70_121
; %bb.116:
	v_cmp_eq_u32_e32 vcc, 5, v157
	s_and_saveexec_b64 s[16:17], vcc
	s_cbranch_execz .LBB70_120
; %bb.117:
	v_cmp_ne_u32_e32 vcc, 5, v154
	s_xor_b64 s[18:19], s[14:15], -1
	s_and_b64 s[22:23], s[18:19], vcc
	s_and_saveexec_b64 s[18:19], s[22:23]
	s_cbranch_execz .LBB70_119
; %bb.118:
	v_ashrrev_i32_e32 v155, 31, v154
	v_lshl_add_u64 v[160:161], v[154:155], 2, v[152:153]
	global_load_dword v155, v[160:161], off
	global_load_dword v157, v[152:153], off offset:20
	s_waitcnt vmcnt(1)
	global_store_dword v[152:153], v155, off offset:20
	s_waitcnt vmcnt(1)
	global_store_dword v[160:161], v157, off
.LBB70_119:
	s_or_b64 exec, exec, s[18:19]
	v_mov_b32_e32 v157, v154
	v_mov_b32_e32 v159, v154
.LBB70_120:
	s_or_b64 exec, exec, s[16:17]
.LBB70_121:
	s_andn2_saveexec_b64 s[0:1], s[0:1]
	s_cbranch_execz .LBB70_123
; %bb.122:
	v_mov_b32_e32 v157, 5
	s_waitcnt vmcnt(29)
	ds_write2_b64 v156, v[120:121], v[122:123] offset0:12 offset1:13
	s_waitcnt vmcnt(28)
	ds_write2_b64 v156, v[116:117], v[118:119] offset0:14 offset1:15
	;; [unrolled: 2-line block ×30, first 2 shown]
.LBB70_123:
	s_or_b64 exec, exec, s[0:1]
	v_cmp_lt_i32_e32 vcc, 5, v157
	s_waitcnt lgkmcnt(0)
	s_barrier
	s_and_saveexec_b64 s[0:1], vcc
	s_cbranch_execz .LBB70_125
; %bb.124:
	ds_read2_b64 v[160:163], v156 offset0:12 offset1:13
	v_mul_f64 v[154:155], v[146:147], v[126:127]
	v_mul_f64 v[126:127], v[144:145], v[126:127]
	v_fma_f64 v[154:155], v[144:145], v[124:125], -v[154:155]
	v_fmac_f64_e32 v[126:127], v[146:147], v[124:125]
	ds_read2_b64 v[144:147], v156 offset0:14 offset1:15
	s_waitcnt lgkmcnt(1)
	v_mul_f64 v[124:125], v[162:163], v[126:127]
	v_fma_f64 v[124:125], v[160:161], v[154:155], -v[124:125]
	v_mul_f64 v[160:161], v[160:161], v[126:127]
	v_fmac_f64_e32 v[160:161], v[162:163], v[154:155]
	s_waitcnt vmcnt(29)
	v_add_f64 v[120:121], v[120:121], -v[124:125]
	s_waitcnt lgkmcnt(0)
	v_mul_f64 v[124:125], v[146:147], v[126:127]
	v_add_f64 v[122:123], v[122:123], -v[160:161]
	v_fma_f64 v[124:125], v[144:145], v[154:155], -v[124:125]
	v_mul_f64 v[144:145], v[144:145], v[126:127]
	ds_read2_b64 v[160:163], v156 offset0:16 offset1:17
	v_fmac_f64_e32 v[144:145], v[146:147], v[154:155]
	s_waitcnt vmcnt(28)
	v_add_f64 v[118:119], v[118:119], -v[144:145]
	ds_read2_b64 v[144:147], v156 offset0:18 offset1:19
	v_add_f64 v[116:117], v[116:117], -v[124:125]
	s_waitcnt lgkmcnt(1)
	v_mul_f64 v[124:125], v[162:163], v[126:127]
	v_fma_f64 v[124:125], v[160:161], v[154:155], -v[124:125]
	v_mul_f64 v[160:161], v[160:161], v[126:127]
	v_fmac_f64_e32 v[160:161], v[162:163], v[154:155]
	s_waitcnt vmcnt(27)
	v_add_f64 v[112:113], v[112:113], -v[124:125]
	s_waitcnt lgkmcnt(0)
	v_mul_f64 v[124:125], v[146:147], v[126:127]
	v_add_f64 v[114:115], v[114:115], -v[160:161]
	v_fma_f64 v[124:125], v[144:145], v[154:155], -v[124:125]
	v_mul_f64 v[144:145], v[144:145], v[126:127]
	ds_read2_b64 v[160:163], v156 offset0:20 offset1:21
	v_fmac_f64_e32 v[144:145], v[146:147], v[154:155]
	s_waitcnt vmcnt(26)
	v_add_f64 v[110:111], v[110:111], -v[144:145]
	ds_read2_b64 v[144:147], v156 offset0:22 offset1:23
	v_add_f64 v[108:109], v[108:109], -v[124:125]
	s_waitcnt lgkmcnt(1)
	v_mul_f64 v[124:125], v[162:163], v[126:127]
	v_fma_f64 v[124:125], v[160:161], v[154:155], -v[124:125]
	v_mul_f64 v[160:161], v[160:161], v[126:127]
	v_fmac_f64_e32 v[160:161], v[162:163], v[154:155]
	s_waitcnt vmcnt(25)
	v_add_f64 v[104:105], v[104:105], -v[124:125]
	s_waitcnt lgkmcnt(0)
	v_mul_f64 v[124:125], v[146:147], v[126:127]
	v_add_f64 v[106:107], v[106:107], -v[160:161]
	v_fma_f64 v[124:125], v[144:145], v[154:155], -v[124:125]
	v_mul_f64 v[144:145], v[144:145], v[126:127]
	ds_read2_b64 v[160:163], v156 offset0:24 offset1:25
	v_fmac_f64_e32 v[144:145], v[146:147], v[154:155]
	s_waitcnt vmcnt(24)
	v_add_f64 v[94:95], v[94:95], -v[144:145]
	ds_read2_b64 v[144:147], v156 offset0:26 offset1:27
	v_add_f64 v[92:93], v[92:93], -v[124:125]
	s_waitcnt lgkmcnt(1)
	v_mul_f64 v[124:125], v[162:163], v[126:127]
	v_fma_f64 v[124:125], v[160:161], v[154:155], -v[124:125]
	v_mul_f64 v[160:161], v[160:161], v[126:127]
	v_fmac_f64_e32 v[160:161], v[162:163], v[154:155]
	s_waitcnt vmcnt(23)
	v_add_f64 v[96:97], v[96:97], -v[124:125]
	s_waitcnt lgkmcnt(0)
	v_mul_f64 v[124:125], v[146:147], v[126:127]
	v_add_f64 v[98:99], v[98:99], -v[160:161]
	v_fma_f64 v[124:125], v[144:145], v[154:155], -v[124:125]
	v_mul_f64 v[144:145], v[144:145], v[126:127]
	ds_read2_b64 v[160:163], v156 offset0:28 offset1:29
	v_fmac_f64_e32 v[144:145], v[146:147], v[154:155]
	s_waitcnt vmcnt(22)
	v_add_f64 v[86:87], v[86:87], -v[144:145]
	ds_read2_b64 v[144:147], v156 offset0:30 offset1:31
	v_add_f64 v[84:85], v[84:85], -v[124:125]
	s_waitcnt lgkmcnt(1)
	v_mul_f64 v[124:125], v[162:163], v[126:127]
	v_fma_f64 v[124:125], v[160:161], v[154:155], -v[124:125]
	v_mul_f64 v[160:161], v[160:161], v[126:127]
	v_fmac_f64_e32 v[160:161], v[162:163], v[154:155]
	s_waitcnt vmcnt(21)
	v_add_f64 v[80:81], v[80:81], -v[124:125]
	s_waitcnt lgkmcnt(0)
	v_mul_f64 v[124:125], v[146:147], v[126:127]
	v_add_f64 v[82:83], v[82:83], -v[160:161]
	v_fma_f64 v[124:125], v[144:145], v[154:155], -v[124:125]
	v_mul_f64 v[144:145], v[144:145], v[126:127]
	ds_read2_b64 v[160:163], v156 offset0:32 offset1:33
	v_fmac_f64_e32 v[144:145], v[146:147], v[154:155]
	s_waitcnt vmcnt(20)
	v_add_f64 v[78:79], v[78:79], -v[144:145]
	ds_read2_b64 v[144:147], v156 offset0:34 offset1:35
	v_add_f64 v[76:77], v[76:77], -v[124:125]
	s_waitcnt lgkmcnt(1)
	v_mul_f64 v[124:125], v[162:163], v[126:127]
	v_fma_f64 v[124:125], v[160:161], v[154:155], -v[124:125]
	v_mul_f64 v[160:161], v[160:161], v[126:127]
	v_fmac_f64_e32 v[160:161], v[162:163], v[154:155]
	s_waitcnt vmcnt(19)
	v_add_f64 v[72:73], v[72:73], -v[124:125]
	s_waitcnt lgkmcnt(0)
	v_mul_f64 v[124:125], v[146:147], v[126:127]
	v_add_f64 v[74:75], v[74:75], -v[160:161]
	v_fma_f64 v[124:125], v[144:145], v[154:155], -v[124:125]
	v_mul_f64 v[144:145], v[144:145], v[126:127]
	ds_read2_b64 v[160:163], v156 offset0:36 offset1:37
	v_fmac_f64_e32 v[144:145], v[146:147], v[154:155]
	s_waitcnt vmcnt(18)
	v_add_f64 v[70:71], v[70:71], -v[144:145]
	ds_read2_b64 v[144:147], v156 offset0:38 offset1:39
	v_add_f64 v[68:69], v[68:69], -v[124:125]
	s_waitcnt lgkmcnt(1)
	v_mul_f64 v[124:125], v[162:163], v[126:127]
	v_fma_f64 v[124:125], v[160:161], v[154:155], -v[124:125]
	v_mul_f64 v[160:161], v[160:161], v[126:127]
	v_fmac_f64_e32 v[160:161], v[162:163], v[154:155]
	s_waitcnt vmcnt(17)
	v_add_f64 v[64:65], v[64:65], -v[124:125]
	s_waitcnt lgkmcnt(0)
	v_mul_f64 v[124:125], v[146:147], v[126:127]
	v_add_f64 v[66:67], v[66:67], -v[160:161]
	v_fma_f64 v[124:125], v[144:145], v[154:155], -v[124:125]
	v_mul_f64 v[144:145], v[144:145], v[126:127]
	ds_read2_b64 v[160:163], v156 offset0:40 offset1:41
	v_fmac_f64_e32 v[144:145], v[146:147], v[154:155]
	s_waitcnt vmcnt(16)
	v_add_f64 v[62:63], v[62:63], -v[144:145]
	ds_read2_b64 v[144:147], v156 offset0:42 offset1:43
	v_add_f64 v[60:61], v[60:61], -v[124:125]
	s_waitcnt lgkmcnt(1)
	v_mul_f64 v[124:125], v[162:163], v[126:127]
	v_fma_f64 v[124:125], v[160:161], v[154:155], -v[124:125]
	v_mul_f64 v[160:161], v[160:161], v[126:127]
	v_fmac_f64_e32 v[160:161], v[162:163], v[154:155]
	s_waitcnt vmcnt(15)
	v_add_f64 v[56:57], v[56:57], -v[124:125]
	s_waitcnt lgkmcnt(0)
	v_mul_f64 v[124:125], v[146:147], v[126:127]
	v_add_f64 v[58:59], v[58:59], -v[160:161]
	v_fma_f64 v[124:125], v[144:145], v[154:155], -v[124:125]
	v_mul_f64 v[144:145], v[144:145], v[126:127]
	ds_read2_b64 v[160:163], v156 offset0:44 offset1:45
	v_fmac_f64_e32 v[144:145], v[146:147], v[154:155]
	s_waitcnt vmcnt(14)
	v_add_f64 v[54:55], v[54:55], -v[144:145]
	ds_read2_b64 v[144:147], v156 offset0:46 offset1:47
	v_add_f64 v[52:53], v[52:53], -v[124:125]
	s_waitcnt lgkmcnt(1)
	v_mul_f64 v[124:125], v[162:163], v[126:127]
	v_fma_f64 v[124:125], v[160:161], v[154:155], -v[124:125]
	v_mul_f64 v[160:161], v[160:161], v[126:127]
	v_fmac_f64_e32 v[160:161], v[162:163], v[154:155]
	s_waitcnt vmcnt(13)
	v_add_f64 v[48:49], v[48:49], -v[124:125]
	s_waitcnt lgkmcnt(0)
	v_mul_f64 v[124:125], v[146:147], v[126:127]
	v_add_f64 v[50:51], v[50:51], -v[160:161]
	v_fma_f64 v[124:125], v[144:145], v[154:155], -v[124:125]
	v_mul_f64 v[144:145], v[144:145], v[126:127]
	ds_read2_b64 v[160:163], v156 offset0:48 offset1:49
	v_fmac_f64_e32 v[144:145], v[146:147], v[154:155]
	s_waitcnt vmcnt(12)
	v_add_f64 v[46:47], v[46:47], -v[144:145]
	ds_read2_b64 v[144:147], v156 offset0:50 offset1:51
	v_add_f64 v[44:45], v[44:45], -v[124:125]
	s_waitcnt lgkmcnt(1)
	v_mul_f64 v[124:125], v[162:163], v[126:127]
	v_fma_f64 v[124:125], v[160:161], v[154:155], -v[124:125]
	v_mul_f64 v[160:161], v[160:161], v[126:127]
	v_fmac_f64_e32 v[160:161], v[162:163], v[154:155]
	s_waitcnt vmcnt(11)
	v_add_f64 v[40:41], v[40:41], -v[124:125]
	s_waitcnt lgkmcnt(0)
	v_mul_f64 v[124:125], v[146:147], v[126:127]
	v_add_f64 v[42:43], v[42:43], -v[160:161]
	v_fma_f64 v[124:125], v[144:145], v[154:155], -v[124:125]
	v_mul_f64 v[144:145], v[144:145], v[126:127]
	ds_read2_b64 v[160:163], v156 offset0:52 offset1:53
	v_fmac_f64_e32 v[144:145], v[146:147], v[154:155]
	s_waitcnt vmcnt(10)
	v_add_f64 v[38:39], v[38:39], -v[144:145]
	ds_read2_b64 v[144:147], v156 offset0:54 offset1:55
	v_add_f64 v[36:37], v[36:37], -v[124:125]
	s_waitcnt lgkmcnt(1)
	v_mul_f64 v[124:125], v[162:163], v[126:127]
	v_fma_f64 v[124:125], v[160:161], v[154:155], -v[124:125]
	v_mul_f64 v[160:161], v[160:161], v[126:127]
	v_fmac_f64_e32 v[160:161], v[162:163], v[154:155]
	s_waitcnt vmcnt(9)
	v_add_f64 v[32:33], v[32:33], -v[124:125]
	s_waitcnt lgkmcnt(0)
	v_mul_f64 v[124:125], v[146:147], v[126:127]
	v_add_f64 v[34:35], v[34:35], -v[160:161]
	v_fma_f64 v[124:125], v[144:145], v[154:155], -v[124:125]
	v_mul_f64 v[144:145], v[144:145], v[126:127]
	ds_read2_b64 v[160:163], v156 offset0:56 offset1:57
	v_fmac_f64_e32 v[144:145], v[146:147], v[154:155]
	s_waitcnt vmcnt(8)
	v_add_f64 v[30:31], v[30:31], -v[144:145]
	ds_read2_b64 v[144:147], v156 offset0:58 offset1:59
	v_add_f64 v[28:29], v[28:29], -v[124:125]
	s_waitcnt lgkmcnt(1)
	v_mul_f64 v[124:125], v[162:163], v[126:127]
	v_fma_f64 v[124:125], v[160:161], v[154:155], -v[124:125]
	v_mul_f64 v[160:161], v[160:161], v[126:127]
	v_fmac_f64_e32 v[160:161], v[162:163], v[154:155]
	s_waitcnt vmcnt(7)
	v_add_f64 v[24:25], v[24:25], -v[124:125]
	s_waitcnt lgkmcnt(0)
	v_mul_f64 v[124:125], v[146:147], v[126:127]
	v_add_f64 v[26:27], v[26:27], -v[160:161]
	v_fma_f64 v[124:125], v[144:145], v[154:155], -v[124:125]
	v_mul_f64 v[144:145], v[144:145], v[126:127]
	ds_read2_b64 v[160:163], v156 offset0:60 offset1:61
	v_fmac_f64_e32 v[144:145], v[146:147], v[154:155]
	s_waitcnt vmcnt(6)
	v_add_f64 v[22:23], v[22:23], -v[144:145]
	ds_read2_b64 v[144:147], v156 offset0:62 offset1:63
	v_add_f64 v[20:21], v[20:21], -v[124:125]
	s_waitcnt lgkmcnt(1)
	v_mul_f64 v[124:125], v[162:163], v[126:127]
	v_fma_f64 v[124:125], v[160:161], v[154:155], -v[124:125]
	v_mul_f64 v[160:161], v[160:161], v[126:127]
	v_fmac_f64_e32 v[160:161], v[162:163], v[154:155]
	s_waitcnt vmcnt(5)
	v_add_f64 v[16:17], v[16:17], -v[124:125]
	s_waitcnt lgkmcnt(0)
	v_mul_f64 v[124:125], v[146:147], v[126:127]
	v_add_f64 v[18:19], v[18:19], -v[160:161]
	v_fma_f64 v[124:125], v[144:145], v[154:155], -v[124:125]
	v_mul_f64 v[144:145], v[144:145], v[126:127]
	ds_read2_b64 v[160:163], v156 offset0:64 offset1:65
	v_fmac_f64_e32 v[144:145], v[146:147], v[154:155]
	s_waitcnt vmcnt(4)
	v_add_f64 v[14:15], v[14:15], -v[144:145]
	ds_read2_b64 v[144:147], v156 offset0:66 offset1:67
	v_add_f64 v[12:13], v[12:13], -v[124:125]
	s_waitcnt lgkmcnt(1)
	v_mul_f64 v[124:125], v[162:163], v[126:127]
	v_fma_f64 v[124:125], v[160:161], v[154:155], -v[124:125]
	v_mul_f64 v[160:161], v[160:161], v[126:127]
	v_fmac_f64_e32 v[160:161], v[162:163], v[154:155]
	s_waitcnt vmcnt(3)
	v_add_f64 v[8:9], v[8:9], -v[124:125]
	s_waitcnt lgkmcnt(0)
	v_mul_f64 v[124:125], v[146:147], v[126:127]
	v_add_f64 v[10:11], v[10:11], -v[160:161]
	v_fma_f64 v[124:125], v[144:145], v[154:155], -v[124:125]
	v_mul_f64 v[144:145], v[144:145], v[126:127]
	ds_read2_b64 v[160:163], v156 offset0:68 offset1:69
	v_fmac_f64_e32 v[144:145], v[146:147], v[154:155]
	s_waitcnt vmcnt(2)
	v_add_f64 v[6:7], v[6:7], -v[144:145]
	ds_read2_b64 v[144:147], v156 offset0:70 offset1:71
	v_add_f64 v[4:5], v[4:5], -v[124:125]
	s_waitcnt lgkmcnt(1)
	v_mul_f64 v[124:125], v[162:163], v[126:127]
	v_fma_f64 v[124:125], v[160:161], v[154:155], -v[124:125]
	s_waitcnt vmcnt(1)
	v_add_f64 v[0:1], v[0:1], -v[124:125]
	s_waitcnt lgkmcnt(0)
	v_mul_f64 v[124:125], v[146:147], v[126:127]
	v_mul_f64 v[160:161], v[160:161], v[126:127]
	v_fma_f64 v[124:125], v[144:145], v[154:155], -v[124:125]
	v_mul_f64 v[144:145], v[144:145], v[126:127]
	v_fmac_f64_e32 v[160:161], v[162:163], v[154:155]
	v_fmac_f64_e32 v[144:145], v[146:147], v[154:155]
	v_add_f64 v[2:3], v[2:3], -v[160:161]
	s_waitcnt vmcnt(0)
	v_add_f64 v[140:141], v[140:141], -v[124:125]
	v_add_f64 v[142:143], v[142:143], -v[144:145]
	v_mov_b64_e32 v[124:125], v[154:155]
.LBB70_125:
	s_or_b64 exec, exec, s[0:1]
	v_lshl_add_u32 v144, v157, 4, v156
	s_barrier
	s_waitcnt vmcnt(29)
	ds_write2_b64 v144, v[120:121], v[122:123] offset1:1
	s_waitcnt lgkmcnt(0)
	s_barrier
	ds_read2_b64 v[144:147], v156 offset0:12 offset1:13
	s_cmp_lt_i32 s20, 8
	v_mov_b32_e32 v154, 6
	s_cbranch_scc1 .LBB70_128
; %bb.126:
	v_add_u32_e32 v155, 0x70, v156
	s_mov_b32 s16, 7
	v_mov_b32_e32 v154, 6
.LBB70_127:                             ; =>This Inner Loop Header: Depth=1
	ds_read2_b64 v[160:163], v155 offset1:1
	s_waitcnt lgkmcnt(1)
	v_xor_b32_e32 v165, 0x80000000, v145
	v_xor_b32_e32 v167, 0x80000000, v147
	v_cmp_gt_f64_e32 vcc, 0, v[146:147]
	v_cmp_gt_f64_e64 s[0:1], 0, v[144:145]
	v_mov_b32_e32 v164, v144
	v_mov_b32_e32 v166, v146
	v_cndmask_b32_e64 v165, v145, v165, s[0:1]
	v_cndmask_b32_e32 v167, v147, v167, vcc
	v_add_f64 v[164:165], v[164:165], v[166:167]
	s_waitcnt lgkmcnt(0)
	v_xor_b32_e32 v167, 0x80000000, v161
	v_xor_b32_e32 v169, 0x80000000, v163
	v_cmp_gt_f64_e32 vcc, 0, v[162:163]
	v_cmp_gt_f64_e64 s[0:1], 0, v[160:161]
	v_mov_b32_e32 v166, v160
	v_mov_b32_e32 v168, v162
	v_cndmask_b32_e64 v167, v161, v167, s[0:1]
	v_cndmask_b32_e32 v169, v163, v169, vcc
	v_add_f64 v[166:167], v[166:167], v[168:169]
	v_mov_b32_e32 v170, s16
	s_add_i32 s16, s16, 1
	v_cmp_lt_f64_e32 vcc, v[164:165], v[166:167]
	v_add_u32_e32 v155, 16, v155
	s_cmp_lg_u32 s20, s16
	v_cndmask_b32_e32 v145, v145, v161, vcc
	v_cndmask_b32_e32 v144, v144, v160, vcc
	v_cndmask_b32_e32 v147, v147, v163, vcc
	v_cndmask_b32_e32 v146, v146, v162, vcc
	v_cndmask_b32_e32 v154, v154, v170, vcc
	s_cbranch_scc1 .LBB70_127
.LBB70_128:
	s_waitcnt lgkmcnt(0)
	v_cmp_eq_f64_e32 vcc, 0, v[144:145]
	v_cmp_eq_f64_e64 s[0:1], 0, v[146:147]
	s_and_b64 s[0:1], vcc, s[0:1]
	s_and_saveexec_b64 s[16:17], s[0:1]
	s_xor_b64 s[0:1], exec, s[16:17]
; %bb.129:
	v_cmp_ne_u32_e32 vcc, 0, v158
	s_nop 1
	v_cndmask_b32_e32 v158, 7, v158, vcc
; %bb.130:
	s_andn2_saveexec_b64 s[0:1], s[0:1]
	s_cbranch_execz .LBB70_136
; %bb.131:
	v_cmp_ngt_f64_e64 s[16:17], |v[144:145]|, |v[146:147]|
	s_and_saveexec_b64 s[18:19], s[16:17]
	s_xor_b64 s[16:17], exec, s[18:19]
	s_cbranch_execz .LBB70_133
; %bb.132:
	v_div_scale_f64 v[160:161], s[18:19], v[146:147], v[146:147], v[144:145]
	v_rcp_f64_e32 v[162:163], v[160:161]
	v_div_scale_f64 v[164:165], vcc, v[144:145], v[146:147], v[144:145]
	v_fma_f64 v[166:167], -v[160:161], v[162:163], 1.0
	v_fmac_f64_e32 v[162:163], v[162:163], v[166:167]
	v_fma_f64 v[166:167], -v[160:161], v[162:163], 1.0
	v_fmac_f64_e32 v[162:163], v[162:163], v[166:167]
	v_mul_f64 v[166:167], v[164:165], v[162:163]
	v_fma_f64 v[160:161], -v[160:161], v[166:167], v[164:165]
	v_div_fmas_f64 v[160:161], v[160:161], v[162:163], v[166:167]
	v_div_fixup_f64 v[160:161], v[160:161], v[146:147], v[144:145]
	v_fmac_f64_e32 v[146:147], v[144:145], v[160:161]
	v_div_scale_f64 v[144:145], s[18:19], v[146:147], v[146:147], 1.0
	v_rcp_f64_e32 v[162:163], v[144:145]
	s_nop 0
	v_fma_f64 v[164:165], -v[144:145], v[162:163], 1.0
	v_fmac_f64_e32 v[162:163], v[162:163], v[164:165]
	v_fma_f64 v[164:165], -v[144:145], v[162:163], 1.0
	v_fmac_f64_e32 v[162:163], v[162:163], v[164:165]
	v_div_scale_f64 v[164:165], vcc, 1.0, v[146:147], 1.0
	v_mul_f64 v[166:167], v[164:165], v[162:163]
	v_fma_f64 v[144:145], -v[144:145], v[166:167], v[164:165]
	s_nop 1
	v_div_fmas_f64 v[144:145], v[144:145], v[162:163], v[166:167]
	v_div_fixup_f64 v[146:147], v[144:145], v[146:147], 1.0
	v_mul_f64 v[144:145], v[160:161], v[146:147]
	v_xor_b32_e32 v147, 0x80000000, v147
.LBB70_133:
	s_andn2_saveexec_b64 s[16:17], s[16:17]
	s_cbranch_execz .LBB70_135
; %bb.134:
	v_div_scale_f64 v[160:161], s[18:19], v[144:145], v[144:145], v[146:147]
	v_rcp_f64_e32 v[162:163], v[160:161]
	v_div_scale_f64 v[164:165], vcc, v[146:147], v[144:145], v[146:147]
	v_fma_f64 v[166:167], -v[160:161], v[162:163], 1.0
	v_fmac_f64_e32 v[162:163], v[162:163], v[166:167]
	v_fma_f64 v[166:167], -v[160:161], v[162:163], 1.0
	v_fmac_f64_e32 v[162:163], v[162:163], v[166:167]
	v_mul_f64 v[166:167], v[164:165], v[162:163]
	v_fma_f64 v[160:161], -v[160:161], v[166:167], v[164:165]
	v_div_fmas_f64 v[160:161], v[160:161], v[162:163], v[166:167]
	v_div_fixup_f64 v[160:161], v[160:161], v[144:145], v[146:147]
	v_fmac_f64_e32 v[144:145], v[146:147], v[160:161]
	v_div_scale_f64 v[146:147], s[18:19], v[144:145], v[144:145], 1.0
	v_rcp_f64_e32 v[162:163], v[146:147]
	s_nop 0
	v_fma_f64 v[164:165], -v[146:147], v[162:163], 1.0
	v_fmac_f64_e32 v[162:163], v[162:163], v[164:165]
	v_fma_f64 v[164:165], -v[146:147], v[162:163], 1.0
	v_fmac_f64_e32 v[162:163], v[162:163], v[164:165]
	v_div_scale_f64 v[164:165], vcc, 1.0, v[144:145], 1.0
	v_mul_f64 v[166:167], v[164:165], v[162:163]
	v_fma_f64 v[146:147], -v[146:147], v[166:167], v[164:165]
	s_nop 1
	v_div_fmas_f64 v[146:147], v[146:147], v[162:163], v[166:167]
	v_div_fixup_f64 v[144:145], v[146:147], v[144:145], 1.0
	v_mul_f64 v[146:147], v[160:161], -v[144:145]
.LBB70_135:
	s_or_b64 exec, exec, s[16:17]
.LBB70_136:
	s_or_b64 exec, exec, s[0:1]
	v_cmp_ne_u32_e32 vcc, v157, v154
	s_and_saveexec_b64 s[0:1], vcc
	s_xor_b64 s[0:1], exec, s[0:1]
	s_cbranch_execz .LBB70_142
; %bb.137:
	v_cmp_eq_u32_e32 vcc, 6, v157
	s_and_saveexec_b64 s[16:17], vcc
	s_cbranch_execz .LBB70_141
; %bb.138:
	v_cmp_ne_u32_e32 vcc, 6, v154
	s_xor_b64 s[18:19], s[14:15], -1
	s_and_b64 s[22:23], s[18:19], vcc
	s_and_saveexec_b64 s[18:19], s[22:23]
	s_cbranch_execz .LBB70_140
; %bb.139:
	v_ashrrev_i32_e32 v155, 31, v154
	v_lshl_add_u64 v[160:161], v[154:155], 2, v[152:153]
	global_load_dword v155, v[160:161], off
	global_load_dword v157, v[152:153], off offset:24
	s_waitcnt vmcnt(1)
	global_store_dword v[152:153], v155, off offset:24
	s_waitcnt vmcnt(1)
	global_store_dword v[160:161], v157, off
.LBB70_140:
	s_or_b64 exec, exec, s[18:19]
	v_mov_b32_e32 v157, v154
	v_mov_b32_e32 v159, v154
.LBB70_141:
	s_or_b64 exec, exec, s[16:17]
.LBB70_142:
	s_andn2_saveexec_b64 s[0:1], s[0:1]
	s_cbranch_execz .LBB70_144
; %bb.143:
	v_mov_b32_e32 v157, 6
	s_waitcnt vmcnt(28)
	ds_write2_b64 v156, v[116:117], v[118:119] offset0:14 offset1:15
	s_waitcnt vmcnt(27)
	ds_write2_b64 v156, v[112:113], v[114:115] offset0:16 offset1:17
	s_waitcnt vmcnt(26)
	ds_write2_b64 v156, v[108:109], v[110:111] offset0:18 offset1:19
	s_waitcnt vmcnt(25)
	ds_write2_b64 v156, v[104:105], v[106:107] offset0:20 offset1:21
	s_waitcnt vmcnt(24)
	ds_write2_b64 v156, v[92:93], v[94:95] offset0:22 offset1:23
	s_waitcnt vmcnt(23)
	ds_write2_b64 v156, v[96:97], v[98:99] offset0:24 offset1:25
	s_waitcnt vmcnt(22)
	ds_write2_b64 v156, v[84:85], v[86:87] offset0:26 offset1:27
	s_waitcnt vmcnt(21)
	ds_write2_b64 v156, v[80:81], v[82:83] offset0:28 offset1:29
	s_waitcnt vmcnt(20)
	ds_write2_b64 v156, v[76:77], v[78:79] offset0:30 offset1:31
	s_waitcnt vmcnt(19)
	ds_write2_b64 v156, v[72:73], v[74:75] offset0:32 offset1:33
	s_waitcnt vmcnt(18)
	ds_write2_b64 v156, v[68:69], v[70:71] offset0:34 offset1:35
	s_waitcnt vmcnt(17)
	ds_write2_b64 v156, v[64:65], v[66:67] offset0:36 offset1:37
	s_waitcnt vmcnt(16)
	ds_write2_b64 v156, v[60:61], v[62:63] offset0:38 offset1:39
	s_waitcnt vmcnt(15)
	ds_write2_b64 v156, v[56:57], v[58:59] offset0:40 offset1:41
	s_waitcnt vmcnt(14)
	ds_write2_b64 v156, v[52:53], v[54:55] offset0:42 offset1:43
	s_waitcnt vmcnt(13)
	ds_write2_b64 v156, v[48:49], v[50:51] offset0:44 offset1:45
	s_waitcnt vmcnt(12)
	ds_write2_b64 v156, v[44:45], v[46:47] offset0:46 offset1:47
	s_waitcnt vmcnt(11)
	ds_write2_b64 v156, v[40:41], v[42:43] offset0:48 offset1:49
	s_waitcnt vmcnt(10)
	ds_write2_b64 v156, v[36:37], v[38:39] offset0:50 offset1:51
	s_waitcnt vmcnt(9)
	ds_write2_b64 v156, v[32:33], v[34:35] offset0:52 offset1:53
	s_waitcnt vmcnt(8)
	ds_write2_b64 v156, v[28:29], v[30:31] offset0:54 offset1:55
	s_waitcnt vmcnt(7)
	ds_write2_b64 v156, v[24:25], v[26:27] offset0:56 offset1:57
	s_waitcnt vmcnt(6)
	ds_write2_b64 v156, v[20:21], v[22:23] offset0:58 offset1:59
	s_waitcnt vmcnt(5)
	ds_write2_b64 v156, v[16:17], v[18:19] offset0:60 offset1:61
	s_waitcnt vmcnt(4)
	ds_write2_b64 v156, v[12:13], v[14:15] offset0:62 offset1:63
	s_waitcnt vmcnt(3)
	ds_write2_b64 v156, v[8:9], v[10:11] offset0:64 offset1:65
	s_waitcnt vmcnt(2)
	ds_write2_b64 v156, v[4:5], v[6:7] offset0:66 offset1:67
	s_waitcnt vmcnt(1)
	ds_write2_b64 v156, v[0:1], v[2:3] offset0:68 offset1:69
	s_waitcnt vmcnt(0)
	ds_write2_b64 v156, v[140:141], v[142:143] offset0:70 offset1:71
.LBB70_144:
	s_or_b64 exec, exec, s[0:1]
	v_cmp_lt_i32_e32 vcc, 6, v157
	s_waitcnt lgkmcnt(0)
	s_barrier
	s_and_saveexec_b64 s[0:1], vcc
	s_cbranch_execz .LBB70_146
; %bb.145:
	ds_read2_b64 v[160:163], v156 offset0:14 offset1:15
	v_mul_f64 v[154:155], v[146:147], v[122:123]
	v_mul_f64 v[122:123], v[144:145], v[122:123]
	v_fmac_f64_e32 v[122:123], v[146:147], v[120:121]
	v_fma_f64 v[154:155], v[144:145], v[120:121], -v[154:155]
	ds_read2_b64 v[144:147], v156 offset0:16 offset1:17
	s_waitcnt lgkmcnt(1)
	v_mul_f64 v[120:121], v[162:163], v[122:123]
	v_fma_f64 v[120:121], v[160:161], v[154:155], -v[120:121]
	v_mul_f64 v[160:161], v[160:161], v[122:123]
	v_fmac_f64_e32 v[160:161], v[162:163], v[154:155]
	s_waitcnt vmcnt(28)
	v_add_f64 v[118:119], v[118:119], -v[160:161]
	ds_read2_b64 v[160:163], v156 offset0:18 offset1:19
	v_add_f64 v[116:117], v[116:117], -v[120:121]
	s_waitcnt lgkmcnt(1)
	v_mul_f64 v[120:121], v[146:147], v[122:123]
	v_fma_f64 v[120:121], v[144:145], v[154:155], -v[120:121]
	v_mul_f64 v[144:145], v[144:145], v[122:123]
	v_fmac_f64_e32 v[144:145], v[146:147], v[154:155]
	s_waitcnt vmcnt(27)
	v_add_f64 v[112:113], v[112:113], -v[120:121]
	v_add_f64 v[114:115], v[114:115], -v[144:145]
	ds_read2_b64 v[144:147], v156 offset0:20 offset1:21
	s_waitcnt lgkmcnt(1)
	v_mul_f64 v[120:121], v[162:163], v[122:123]
	v_fma_f64 v[120:121], v[160:161], v[154:155], -v[120:121]
	v_mul_f64 v[160:161], v[160:161], v[122:123]
	v_fmac_f64_e32 v[160:161], v[162:163], v[154:155]
	s_waitcnt vmcnt(26)
	v_add_f64 v[110:111], v[110:111], -v[160:161]
	ds_read2_b64 v[160:163], v156 offset0:22 offset1:23
	v_add_f64 v[108:109], v[108:109], -v[120:121]
	s_waitcnt lgkmcnt(1)
	v_mul_f64 v[120:121], v[146:147], v[122:123]
	v_fma_f64 v[120:121], v[144:145], v[154:155], -v[120:121]
	v_mul_f64 v[144:145], v[144:145], v[122:123]
	v_fmac_f64_e32 v[144:145], v[146:147], v[154:155]
	s_waitcnt vmcnt(25)
	v_add_f64 v[104:105], v[104:105], -v[120:121]
	v_add_f64 v[106:107], v[106:107], -v[144:145]
	;; [unrolled: 18-line block ×14, first 2 shown]
	s_waitcnt lgkmcnt(0)
	v_mul_f64 v[120:121], v[162:163], v[122:123]
	v_mul_f64 v[144:145], v[160:161], v[122:123]
	v_fma_f64 v[120:121], v[160:161], v[154:155], -v[120:121]
	v_fmac_f64_e32 v[144:145], v[162:163], v[154:155]
	s_waitcnt vmcnt(0)
	v_add_f64 v[140:141], v[140:141], -v[120:121]
	v_add_f64 v[142:143], v[142:143], -v[144:145]
	v_mov_b64_e32 v[120:121], v[154:155]
.LBB70_146:
	s_or_b64 exec, exec, s[0:1]
	v_lshl_add_u32 v144, v157, 4, v156
	s_barrier
	s_waitcnt vmcnt(28)
	ds_write2_b64 v144, v[116:117], v[118:119] offset1:1
	s_waitcnt lgkmcnt(0)
	s_barrier
	ds_read2_b64 v[144:147], v156 offset0:14 offset1:15
	s_cmp_lt_i32 s20, 9
	v_mov_b32_e32 v154, 7
	s_cbranch_scc1 .LBB70_149
; %bb.147:
	v_add_u32_e32 v155, 0x80, v156
	s_mov_b32 s16, 8
	v_mov_b32_e32 v154, 7
.LBB70_148:                             ; =>This Inner Loop Header: Depth=1
	ds_read2_b64 v[160:163], v155 offset1:1
	s_waitcnt lgkmcnt(1)
	v_xor_b32_e32 v165, 0x80000000, v145
	v_xor_b32_e32 v167, 0x80000000, v147
	v_cmp_gt_f64_e32 vcc, 0, v[146:147]
	v_cmp_gt_f64_e64 s[0:1], 0, v[144:145]
	v_mov_b32_e32 v164, v144
	v_mov_b32_e32 v166, v146
	v_cndmask_b32_e64 v165, v145, v165, s[0:1]
	v_cndmask_b32_e32 v167, v147, v167, vcc
	v_add_f64 v[164:165], v[164:165], v[166:167]
	s_waitcnt lgkmcnt(0)
	v_xor_b32_e32 v167, 0x80000000, v161
	v_xor_b32_e32 v169, 0x80000000, v163
	v_cmp_gt_f64_e32 vcc, 0, v[162:163]
	v_cmp_gt_f64_e64 s[0:1], 0, v[160:161]
	v_mov_b32_e32 v166, v160
	v_mov_b32_e32 v168, v162
	v_cndmask_b32_e64 v167, v161, v167, s[0:1]
	v_cndmask_b32_e32 v169, v163, v169, vcc
	v_add_f64 v[166:167], v[166:167], v[168:169]
	v_mov_b32_e32 v170, s16
	s_add_i32 s16, s16, 1
	v_cmp_lt_f64_e32 vcc, v[164:165], v[166:167]
	v_add_u32_e32 v155, 16, v155
	s_cmp_lg_u32 s20, s16
	v_cndmask_b32_e32 v145, v145, v161, vcc
	v_cndmask_b32_e32 v144, v144, v160, vcc
	;; [unrolled: 1-line block ×5, first 2 shown]
	s_cbranch_scc1 .LBB70_148
.LBB70_149:
	s_waitcnt lgkmcnt(0)
	v_cmp_eq_f64_e32 vcc, 0, v[144:145]
	v_cmp_eq_f64_e64 s[0:1], 0, v[146:147]
	s_and_b64 s[0:1], vcc, s[0:1]
	s_and_saveexec_b64 s[16:17], s[0:1]
	s_xor_b64 s[0:1], exec, s[16:17]
; %bb.150:
	v_cmp_ne_u32_e32 vcc, 0, v158
	s_nop 1
	v_cndmask_b32_e32 v158, 8, v158, vcc
; %bb.151:
	s_andn2_saveexec_b64 s[0:1], s[0:1]
	s_cbranch_execz .LBB70_157
; %bb.152:
	v_cmp_ngt_f64_e64 s[16:17], |v[144:145]|, |v[146:147]|
	s_and_saveexec_b64 s[18:19], s[16:17]
	s_xor_b64 s[16:17], exec, s[18:19]
	s_cbranch_execz .LBB70_154
; %bb.153:
	v_div_scale_f64 v[160:161], s[18:19], v[146:147], v[146:147], v[144:145]
	v_rcp_f64_e32 v[162:163], v[160:161]
	v_div_scale_f64 v[164:165], vcc, v[144:145], v[146:147], v[144:145]
	v_fma_f64 v[166:167], -v[160:161], v[162:163], 1.0
	v_fmac_f64_e32 v[162:163], v[162:163], v[166:167]
	v_fma_f64 v[166:167], -v[160:161], v[162:163], 1.0
	v_fmac_f64_e32 v[162:163], v[162:163], v[166:167]
	v_mul_f64 v[166:167], v[164:165], v[162:163]
	v_fma_f64 v[160:161], -v[160:161], v[166:167], v[164:165]
	v_div_fmas_f64 v[160:161], v[160:161], v[162:163], v[166:167]
	v_div_fixup_f64 v[160:161], v[160:161], v[146:147], v[144:145]
	v_fmac_f64_e32 v[146:147], v[144:145], v[160:161]
	v_div_scale_f64 v[144:145], s[18:19], v[146:147], v[146:147], 1.0
	v_rcp_f64_e32 v[162:163], v[144:145]
	s_nop 0
	v_fma_f64 v[164:165], -v[144:145], v[162:163], 1.0
	v_fmac_f64_e32 v[162:163], v[162:163], v[164:165]
	v_fma_f64 v[164:165], -v[144:145], v[162:163], 1.0
	v_fmac_f64_e32 v[162:163], v[162:163], v[164:165]
	v_div_scale_f64 v[164:165], vcc, 1.0, v[146:147], 1.0
	v_mul_f64 v[166:167], v[164:165], v[162:163]
	v_fma_f64 v[144:145], -v[144:145], v[166:167], v[164:165]
	s_nop 1
	v_div_fmas_f64 v[144:145], v[144:145], v[162:163], v[166:167]
	v_div_fixup_f64 v[146:147], v[144:145], v[146:147], 1.0
	v_mul_f64 v[144:145], v[160:161], v[146:147]
	v_xor_b32_e32 v147, 0x80000000, v147
.LBB70_154:
	s_andn2_saveexec_b64 s[16:17], s[16:17]
	s_cbranch_execz .LBB70_156
; %bb.155:
	v_div_scale_f64 v[160:161], s[18:19], v[144:145], v[144:145], v[146:147]
	v_rcp_f64_e32 v[162:163], v[160:161]
	v_div_scale_f64 v[164:165], vcc, v[146:147], v[144:145], v[146:147]
	v_fma_f64 v[166:167], -v[160:161], v[162:163], 1.0
	v_fmac_f64_e32 v[162:163], v[162:163], v[166:167]
	v_fma_f64 v[166:167], -v[160:161], v[162:163], 1.0
	v_fmac_f64_e32 v[162:163], v[162:163], v[166:167]
	v_mul_f64 v[166:167], v[164:165], v[162:163]
	v_fma_f64 v[160:161], -v[160:161], v[166:167], v[164:165]
	v_div_fmas_f64 v[160:161], v[160:161], v[162:163], v[166:167]
	v_div_fixup_f64 v[160:161], v[160:161], v[144:145], v[146:147]
	v_fmac_f64_e32 v[144:145], v[146:147], v[160:161]
	v_div_scale_f64 v[146:147], s[18:19], v[144:145], v[144:145], 1.0
	v_rcp_f64_e32 v[162:163], v[146:147]
	s_nop 0
	v_fma_f64 v[164:165], -v[146:147], v[162:163], 1.0
	v_fmac_f64_e32 v[162:163], v[162:163], v[164:165]
	v_fma_f64 v[164:165], -v[146:147], v[162:163], 1.0
	v_fmac_f64_e32 v[162:163], v[162:163], v[164:165]
	v_div_scale_f64 v[164:165], vcc, 1.0, v[144:145], 1.0
	v_mul_f64 v[166:167], v[164:165], v[162:163]
	v_fma_f64 v[146:147], -v[146:147], v[166:167], v[164:165]
	s_nop 1
	v_div_fmas_f64 v[146:147], v[146:147], v[162:163], v[166:167]
	v_div_fixup_f64 v[144:145], v[146:147], v[144:145], 1.0
	v_mul_f64 v[146:147], v[160:161], -v[144:145]
.LBB70_156:
	s_or_b64 exec, exec, s[16:17]
.LBB70_157:
	s_or_b64 exec, exec, s[0:1]
	v_cmp_ne_u32_e32 vcc, v157, v154
	s_and_saveexec_b64 s[0:1], vcc
	s_xor_b64 s[0:1], exec, s[0:1]
	s_cbranch_execz .LBB70_163
; %bb.158:
	v_cmp_eq_u32_e32 vcc, 7, v157
	s_and_saveexec_b64 s[16:17], vcc
	s_cbranch_execz .LBB70_162
; %bb.159:
	v_cmp_ne_u32_e32 vcc, 7, v154
	s_xor_b64 s[18:19], s[14:15], -1
	s_and_b64 s[22:23], s[18:19], vcc
	s_and_saveexec_b64 s[18:19], s[22:23]
	s_cbranch_execz .LBB70_161
; %bb.160:
	v_ashrrev_i32_e32 v155, 31, v154
	v_lshl_add_u64 v[160:161], v[154:155], 2, v[152:153]
	global_load_dword v155, v[160:161], off
	global_load_dword v157, v[152:153], off offset:28
	s_waitcnt vmcnt(1)
	global_store_dword v[152:153], v155, off offset:28
	s_waitcnt vmcnt(1)
	global_store_dword v[160:161], v157, off
.LBB70_161:
	s_or_b64 exec, exec, s[18:19]
	v_mov_b32_e32 v157, v154
	v_mov_b32_e32 v159, v154
.LBB70_162:
	s_or_b64 exec, exec, s[16:17]
.LBB70_163:
	s_andn2_saveexec_b64 s[0:1], s[0:1]
	s_cbranch_execz .LBB70_165
; %bb.164:
	v_mov_b32_e32 v157, 7
	s_waitcnt vmcnt(27)
	ds_write2_b64 v156, v[112:113], v[114:115] offset0:16 offset1:17
	s_waitcnt vmcnt(26)
	ds_write2_b64 v156, v[108:109], v[110:111] offset0:18 offset1:19
	;; [unrolled: 2-line block ×28, first 2 shown]
.LBB70_165:
	s_or_b64 exec, exec, s[0:1]
	v_cmp_lt_i32_e32 vcc, 7, v157
	s_waitcnt lgkmcnt(0)
	s_barrier
	s_and_saveexec_b64 s[0:1], vcc
	s_cbranch_execz .LBB70_167
; %bb.166:
	ds_read2_b64 v[160:163], v156 offset0:16 offset1:17
	v_mul_f64 v[154:155], v[146:147], v[118:119]
	v_mul_f64 v[118:119], v[144:145], v[118:119]
	v_fma_f64 v[154:155], v[144:145], v[116:117], -v[154:155]
	v_fmac_f64_e32 v[118:119], v[146:147], v[116:117]
	ds_read2_b64 v[144:147], v156 offset0:18 offset1:19
	s_waitcnt lgkmcnt(1)
	v_mul_f64 v[116:117], v[162:163], v[118:119]
	v_fma_f64 v[116:117], v[160:161], v[154:155], -v[116:117]
	v_mul_f64 v[160:161], v[160:161], v[118:119]
	v_fmac_f64_e32 v[160:161], v[162:163], v[154:155]
	s_waitcnt vmcnt(27)
	v_add_f64 v[112:113], v[112:113], -v[116:117]
	s_waitcnt lgkmcnt(0)
	v_mul_f64 v[116:117], v[146:147], v[118:119]
	v_add_f64 v[114:115], v[114:115], -v[160:161]
	v_fma_f64 v[116:117], v[144:145], v[154:155], -v[116:117]
	v_mul_f64 v[144:145], v[144:145], v[118:119]
	ds_read2_b64 v[160:163], v156 offset0:20 offset1:21
	v_fmac_f64_e32 v[144:145], v[146:147], v[154:155]
	s_waitcnt vmcnt(26)
	v_add_f64 v[110:111], v[110:111], -v[144:145]
	ds_read2_b64 v[144:147], v156 offset0:22 offset1:23
	v_add_f64 v[108:109], v[108:109], -v[116:117]
	s_waitcnt lgkmcnt(1)
	v_mul_f64 v[116:117], v[162:163], v[118:119]
	v_fma_f64 v[116:117], v[160:161], v[154:155], -v[116:117]
	v_mul_f64 v[160:161], v[160:161], v[118:119]
	v_fmac_f64_e32 v[160:161], v[162:163], v[154:155]
	s_waitcnt vmcnt(25)
	v_add_f64 v[104:105], v[104:105], -v[116:117]
	s_waitcnt lgkmcnt(0)
	v_mul_f64 v[116:117], v[146:147], v[118:119]
	v_add_f64 v[106:107], v[106:107], -v[160:161]
	v_fma_f64 v[116:117], v[144:145], v[154:155], -v[116:117]
	v_mul_f64 v[144:145], v[144:145], v[118:119]
	ds_read2_b64 v[160:163], v156 offset0:24 offset1:25
	v_fmac_f64_e32 v[144:145], v[146:147], v[154:155]
	s_waitcnt vmcnt(24)
	v_add_f64 v[94:95], v[94:95], -v[144:145]
	ds_read2_b64 v[144:147], v156 offset0:26 offset1:27
	v_add_f64 v[92:93], v[92:93], -v[116:117]
	s_waitcnt lgkmcnt(1)
	v_mul_f64 v[116:117], v[162:163], v[118:119]
	v_fma_f64 v[116:117], v[160:161], v[154:155], -v[116:117]
	v_mul_f64 v[160:161], v[160:161], v[118:119]
	v_fmac_f64_e32 v[160:161], v[162:163], v[154:155]
	s_waitcnt vmcnt(23)
	v_add_f64 v[96:97], v[96:97], -v[116:117]
	s_waitcnt lgkmcnt(0)
	v_mul_f64 v[116:117], v[146:147], v[118:119]
	v_add_f64 v[98:99], v[98:99], -v[160:161]
	v_fma_f64 v[116:117], v[144:145], v[154:155], -v[116:117]
	v_mul_f64 v[144:145], v[144:145], v[118:119]
	ds_read2_b64 v[160:163], v156 offset0:28 offset1:29
	v_fmac_f64_e32 v[144:145], v[146:147], v[154:155]
	s_waitcnt vmcnt(22)
	v_add_f64 v[86:87], v[86:87], -v[144:145]
	ds_read2_b64 v[144:147], v156 offset0:30 offset1:31
	v_add_f64 v[84:85], v[84:85], -v[116:117]
	s_waitcnt lgkmcnt(1)
	v_mul_f64 v[116:117], v[162:163], v[118:119]
	v_fma_f64 v[116:117], v[160:161], v[154:155], -v[116:117]
	v_mul_f64 v[160:161], v[160:161], v[118:119]
	v_fmac_f64_e32 v[160:161], v[162:163], v[154:155]
	s_waitcnt vmcnt(21)
	v_add_f64 v[80:81], v[80:81], -v[116:117]
	s_waitcnt lgkmcnt(0)
	v_mul_f64 v[116:117], v[146:147], v[118:119]
	v_add_f64 v[82:83], v[82:83], -v[160:161]
	v_fma_f64 v[116:117], v[144:145], v[154:155], -v[116:117]
	v_mul_f64 v[144:145], v[144:145], v[118:119]
	ds_read2_b64 v[160:163], v156 offset0:32 offset1:33
	v_fmac_f64_e32 v[144:145], v[146:147], v[154:155]
	s_waitcnt vmcnt(20)
	v_add_f64 v[78:79], v[78:79], -v[144:145]
	ds_read2_b64 v[144:147], v156 offset0:34 offset1:35
	v_add_f64 v[76:77], v[76:77], -v[116:117]
	s_waitcnt lgkmcnt(1)
	v_mul_f64 v[116:117], v[162:163], v[118:119]
	v_fma_f64 v[116:117], v[160:161], v[154:155], -v[116:117]
	v_mul_f64 v[160:161], v[160:161], v[118:119]
	v_fmac_f64_e32 v[160:161], v[162:163], v[154:155]
	s_waitcnt vmcnt(19)
	v_add_f64 v[72:73], v[72:73], -v[116:117]
	s_waitcnt lgkmcnt(0)
	v_mul_f64 v[116:117], v[146:147], v[118:119]
	v_add_f64 v[74:75], v[74:75], -v[160:161]
	v_fma_f64 v[116:117], v[144:145], v[154:155], -v[116:117]
	v_mul_f64 v[144:145], v[144:145], v[118:119]
	ds_read2_b64 v[160:163], v156 offset0:36 offset1:37
	v_fmac_f64_e32 v[144:145], v[146:147], v[154:155]
	s_waitcnt vmcnt(18)
	v_add_f64 v[70:71], v[70:71], -v[144:145]
	ds_read2_b64 v[144:147], v156 offset0:38 offset1:39
	v_add_f64 v[68:69], v[68:69], -v[116:117]
	s_waitcnt lgkmcnt(1)
	v_mul_f64 v[116:117], v[162:163], v[118:119]
	v_fma_f64 v[116:117], v[160:161], v[154:155], -v[116:117]
	v_mul_f64 v[160:161], v[160:161], v[118:119]
	v_fmac_f64_e32 v[160:161], v[162:163], v[154:155]
	s_waitcnt vmcnt(17)
	v_add_f64 v[64:65], v[64:65], -v[116:117]
	s_waitcnt lgkmcnt(0)
	v_mul_f64 v[116:117], v[146:147], v[118:119]
	v_add_f64 v[66:67], v[66:67], -v[160:161]
	v_fma_f64 v[116:117], v[144:145], v[154:155], -v[116:117]
	v_mul_f64 v[144:145], v[144:145], v[118:119]
	ds_read2_b64 v[160:163], v156 offset0:40 offset1:41
	v_fmac_f64_e32 v[144:145], v[146:147], v[154:155]
	s_waitcnt vmcnt(16)
	v_add_f64 v[62:63], v[62:63], -v[144:145]
	ds_read2_b64 v[144:147], v156 offset0:42 offset1:43
	v_add_f64 v[60:61], v[60:61], -v[116:117]
	s_waitcnt lgkmcnt(1)
	v_mul_f64 v[116:117], v[162:163], v[118:119]
	v_fma_f64 v[116:117], v[160:161], v[154:155], -v[116:117]
	v_mul_f64 v[160:161], v[160:161], v[118:119]
	v_fmac_f64_e32 v[160:161], v[162:163], v[154:155]
	s_waitcnt vmcnt(15)
	v_add_f64 v[56:57], v[56:57], -v[116:117]
	s_waitcnt lgkmcnt(0)
	v_mul_f64 v[116:117], v[146:147], v[118:119]
	v_add_f64 v[58:59], v[58:59], -v[160:161]
	v_fma_f64 v[116:117], v[144:145], v[154:155], -v[116:117]
	v_mul_f64 v[144:145], v[144:145], v[118:119]
	ds_read2_b64 v[160:163], v156 offset0:44 offset1:45
	v_fmac_f64_e32 v[144:145], v[146:147], v[154:155]
	s_waitcnt vmcnt(14)
	v_add_f64 v[54:55], v[54:55], -v[144:145]
	ds_read2_b64 v[144:147], v156 offset0:46 offset1:47
	v_add_f64 v[52:53], v[52:53], -v[116:117]
	s_waitcnt lgkmcnt(1)
	v_mul_f64 v[116:117], v[162:163], v[118:119]
	v_fma_f64 v[116:117], v[160:161], v[154:155], -v[116:117]
	v_mul_f64 v[160:161], v[160:161], v[118:119]
	v_fmac_f64_e32 v[160:161], v[162:163], v[154:155]
	s_waitcnt vmcnt(13)
	v_add_f64 v[48:49], v[48:49], -v[116:117]
	s_waitcnt lgkmcnt(0)
	v_mul_f64 v[116:117], v[146:147], v[118:119]
	v_add_f64 v[50:51], v[50:51], -v[160:161]
	v_fma_f64 v[116:117], v[144:145], v[154:155], -v[116:117]
	v_mul_f64 v[144:145], v[144:145], v[118:119]
	ds_read2_b64 v[160:163], v156 offset0:48 offset1:49
	v_fmac_f64_e32 v[144:145], v[146:147], v[154:155]
	s_waitcnt vmcnt(12)
	v_add_f64 v[46:47], v[46:47], -v[144:145]
	ds_read2_b64 v[144:147], v156 offset0:50 offset1:51
	v_add_f64 v[44:45], v[44:45], -v[116:117]
	s_waitcnt lgkmcnt(1)
	v_mul_f64 v[116:117], v[162:163], v[118:119]
	v_fma_f64 v[116:117], v[160:161], v[154:155], -v[116:117]
	v_mul_f64 v[160:161], v[160:161], v[118:119]
	v_fmac_f64_e32 v[160:161], v[162:163], v[154:155]
	s_waitcnt vmcnt(11)
	v_add_f64 v[40:41], v[40:41], -v[116:117]
	s_waitcnt lgkmcnt(0)
	v_mul_f64 v[116:117], v[146:147], v[118:119]
	v_add_f64 v[42:43], v[42:43], -v[160:161]
	v_fma_f64 v[116:117], v[144:145], v[154:155], -v[116:117]
	v_mul_f64 v[144:145], v[144:145], v[118:119]
	ds_read2_b64 v[160:163], v156 offset0:52 offset1:53
	v_fmac_f64_e32 v[144:145], v[146:147], v[154:155]
	s_waitcnt vmcnt(10)
	v_add_f64 v[38:39], v[38:39], -v[144:145]
	ds_read2_b64 v[144:147], v156 offset0:54 offset1:55
	v_add_f64 v[36:37], v[36:37], -v[116:117]
	s_waitcnt lgkmcnt(1)
	v_mul_f64 v[116:117], v[162:163], v[118:119]
	v_fma_f64 v[116:117], v[160:161], v[154:155], -v[116:117]
	v_mul_f64 v[160:161], v[160:161], v[118:119]
	v_fmac_f64_e32 v[160:161], v[162:163], v[154:155]
	s_waitcnt vmcnt(9)
	v_add_f64 v[32:33], v[32:33], -v[116:117]
	s_waitcnt lgkmcnt(0)
	v_mul_f64 v[116:117], v[146:147], v[118:119]
	v_add_f64 v[34:35], v[34:35], -v[160:161]
	v_fma_f64 v[116:117], v[144:145], v[154:155], -v[116:117]
	v_mul_f64 v[144:145], v[144:145], v[118:119]
	ds_read2_b64 v[160:163], v156 offset0:56 offset1:57
	v_fmac_f64_e32 v[144:145], v[146:147], v[154:155]
	s_waitcnt vmcnt(8)
	v_add_f64 v[30:31], v[30:31], -v[144:145]
	ds_read2_b64 v[144:147], v156 offset0:58 offset1:59
	v_add_f64 v[28:29], v[28:29], -v[116:117]
	s_waitcnt lgkmcnt(1)
	v_mul_f64 v[116:117], v[162:163], v[118:119]
	v_fma_f64 v[116:117], v[160:161], v[154:155], -v[116:117]
	v_mul_f64 v[160:161], v[160:161], v[118:119]
	v_fmac_f64_e32 v[160:161], v[162:163], v[154:155]
	s_waitcnt vmcnt(7)
	v_add_f64 v[24:25], v[24:25], -v[116:117]
	s_waitcnt lgkmcnt(0)
	v_mul_f64 v[116:117], v[146:147], v[118:119]
	v_add_f64 v[26:27], v[26:27], -v[160:161]
	v_fma_f64 v[116:117], v[144:145], v[154:155], -v[116:117]
	v_mul_f64 v[144:145], v[144:145], v[118:119]
	ds_read2_b64 v[160:163], v156 offset0:60 offset1:61
	v_fmac_f64_e32 v[144:145], v[146:147], v[154:155]
	s_waitcnt vmcnt(6)
	v_add_f64 v[22:23], v[22:23], -v[144:145]
	ds_read2_b64 v[144:147], v156 offset0:62 offset1:63
	v_add_f64 v[20:21], v[20:21], -v[116:117]
	s_waitcnt lgkmcnt(1)
	v_mul_f64 v[116:117], v[162:163], v[118:119]
	v_fma_f64 v[116:117], v[160:161], v[154:155], -v[116:117]
	v_mul_f64 v[160:161], v[160:161], v[118:119]
	v_fmac_f64_e32 v[160:161], v[162:163], v[154:155]
	s_waitcnt vmcnt(5)
	v_add_f64 v[16:17], v[16:17], -v[116:117]
	s_waitcnt lgkmcnt(0)
	v_mul_f64 v[116:117], v[146:147], v[118:119]
	v_add_f64 v[18:19], v[18:19], -v[160:161]
	v_fma_f64 v[116:117], v[144:145], v[154:155], -v[116:117]
	v_mul_f64 v[144:145], v[144:145], v[118:119]
	ds_read2_b64 v[160:163], v156 offset0:64 offset1:65
	v_fmac_f64_e32 v[144:145], v[146:147], v[154:155]
	s_waitcnt vmcnt(4)
	v_add_f64 v[14:15], v[14:15], -v[144:145]
	ds_read2_b64 v[144:147], v156 offset0:66 offset1:67
	v_add_f64 v[12:13], v[12:13], -v[116:117]
	s_waitcnt lgkmcnt(1)
	v_mul_f64 v[116:117], v[162:163], v[118:119]
	v_fma_f64 v[116:117], v[160:161], v[154:155], -v[116:117]
	v_mul_f64 v[160:161], v[160:161], v[118:119]
	v_fmac_f64_e32 v[160:161], v[162:163], v[154:155]
	s_waitcnt vmcnt(3)
	v_add_f64 v[8:9], v[8:9], -v[116:117]
	s_waitcnt lgkmcnt(0)
	v_mul_f64 v[116:117], v[146:147], v[118:119]
	v_add_f64 v[10:11], v[10:11], -v[160:161]
	v_fma_f64 v[116:117], v[144:145], v[154:155], -v[116:117]
	v_mul_f64 v[144:145], v[144:145], v[118:119]
	ds_read2_b64 v[160:163], v156 offset0:68 offset1:69
	v_fmac_f64_e32 v[144:145], v[146:147], v[154:155]
	s_waitcnt vmcnt(2)
	v_add_f64 v[6:7], v[6:7], -v[144:145]
	ds_read2_b64 v[144:147], v156 offset0:70 offset1:71
	v_add_f64 v[4:5], v[4:5], -v[116:117]
	s_waitcnt lgkmcnt(1)
	v_mul_f64 v[116:117], v[162:163], v[118:119]
	v_fma_f64 v[116:117], v[160:161], v[154:155], -v[116:117]
	s_waitcnt vmcnt(1)
	v_add_f64 v[0:1], v[0:1], -v[116:117]
	s_waitcnt lgkmcnt(0)
	v_mul_f64 v[116:117], v[146:147], v[118:119]
	v_mul_f64 v[160:161], v[160:161], v[118:119]
	v_fma_f64 v[116:117], v[144:145], v[154:155], -v[116:117]
	v_mul_f64 v[144:145], v[144:145], v[118:119]
	v_fmac_f64_e32 v[160:161], v[162:163], v[154:155]
	v_fmac_f64_e32 v[144:145], v[146:147], v[154:155]
	v_add_f64 v[2:3], v[2:3], -v[160:161]
	s_waitcnt vmcnt(0)
	v_add_f64 v[140:141], v[140:141], -v[116:117]
	v_add_f64 v[142:143], v[142:143], -v[144:145]
	v_mov_b64_e32 v[116:117], v[154:155]
.LBB70_167:
	s_or_b64 exec, exec, s[0:1]
	v_lshl_add_u32 v144, v157, 4, v156
	s_barrier
	s_waitcnt vmcnt(27)
	ds_write2_b64 v144, v[112:113], v[114:115] offset1:1
	s_waitcnt lgkmcnt(0)
	s_barrier
	ds_read2_b64 v[144:147], v156 offset0:16 offset1:17
	s_cmp_lt_i32 s20, 10
	v_mov_b32_e32 v154, 8
	s_cbranch_scc1 .LBB70_170
; %bb.168:
	v_add_u32_e32 v155, 0x90, v156
	s_mov_b32 s16, 9
	v_mov_b32_e32 v154, 8
.LBB70_169:                             ; =>This Inner Loop Header: Depth=1
	ds_read2_b64 v[160:163], v155 offset1:1
	s_waitcnt lgkmcnt(1)
	v_xor_b32_e32 v165, 0x80000000, v145
	v_xor_b32_e32 v167, 0x80000000, v147
	v_cmp_gt_f64_e32 vcc, 0, v[146:147]
	v_cmp_gt_f64_e64 s[0:1], 0, v[144:145]
	v_mov_b32_e32 v164, v144
	v_mov_b32_e32 v166, v146
	v_cndmask_b32_e64 v165, v145, v165, s[0:1]
	v_cndmask_b32_e32 v167, v147, v167, vcc
	v_add_f64 v[164:165], v[164:165], v[166:167]
	s_waitcnt lgkmcnt(0)
	v_xor_b32_e32 v167, 0x80000000, v161
	v_xor_b32_e32 v169, 0x80000000, v163
	v_cmp_gt_f64_e32 vcc, 0, v[162:163]
	v_cmp_gt_f64_e64 s[0:1], 0, v[160:161]
	v_mov_b32_e32 v166, v160
	v_mov_b32_e32 v168, v162
	v_cndmask_b32_e64 v167, v161, v167, s[0:1]
	v_cndmask_b32_e32 v169, v163, v169, vcc
	v_add_f64 v[166:167], v[166:167], v[168:169]
	v_mov_b32_e32 v170, s16
	s_add_i32 s16, s16, 1
	v_cmp_lt_f64_e32 vcc, v[164:165], v[166:167]
	v_add_u32_e32 v155, 16, v155
	s_cmp_lg_u32 s20, s16
	v_cndmask_b32_e32 v145, v145, v161, vcc
	v_cndmask_b32_e32 v144, v144, v160, vcc
	v_cndmask_b32_e32 v147, v147, v163, vcc
	v_cndmask_b32_e32 v146, v146, v162, vcc
	v_cndmask_b32_e32 v154, v154, v170, vcc
	s_cbranch_scc1 .LBB70_169
.LBB70_170:
	s_waitcnt lgkmcnt(0)
	v_cmp_eq_f64_e32 vcc, 0, v[144:145]
	v_cmp_eq_f64_e64 s[0:1], 0, v[146:147]
	s_and_b64 s[0:1], vcc, s[0:1]
	s_and_saveexec_b64 s[16:17], s[0:1]
	s_xor_b64 s[0:1], exec, s[16:17]
; %bb.171:
	v_cmp_ne_u32_e32 vcc, 0, v158
	s_nop 1
	v_cndmask_b32_e32 v158, 9, v158, vcc
; %bb.172:
	s_andn2_saveexec_b64 s[0:1], s[0:1]
	s_cbranch_execz .LBB70_178
; %bb.173:
	v_cmp_ngt_f64_e64 s[16:17], |v[144:145]|, |v[146:147]|
	s_and_saveexec_b64 s[18:19], s[16:17]
	s_xor_b64 s[16:17], exec, s[18:19]
	s_cbranch_execz .LBB70_175
; %bb.174:
	v_div_scale_f64 v[160:161], s[18:19], v[146:147], v[146:147], v[144:145]
	v_rcp_f64_e32 v[162:163], v[160:161]
	v_div_scale_f64 v[164:165], vcc, v[144:145], v[146:147], v[144:145]
	v_fma_f64 v[166:167], -v[160:161], v[162:163], 1.0
	v_fmac_f64_e32 v[162:163], v[162:163], v[166:167]
	v_fma_f64 v[166:167], -v[160:161], v[162:163], 1.0
	v_fmac_f64_e32 v[162:163], v[162:163], v[166:167]
	v_mul_f64 v[166:167], v[164:165], v[162:163]
	v_fma_f64 v[160:161], -v[160:161], v[166:167], v[164:165]
	v_div_fmas_f64 v[160:161], v[160:161], v[162:163], v[166:167]
	v_div_fixup_f64 v[160:161], v[160:161], v[146:147], v[144:145]
	v_fmac_f64_e32 v[146:147], v[144:145], v[160:161]
	v_div_scale_f64 v[144:145], s[18:19], v[146:147], v[146:147], 1.0
	v_rcp_f64_e32 v[162:163], v[144:145]
	s_nop 0
	v_fma_f64 v[164:165], -v[144:145], v[162:163], 1.0
	v_fmac_f64_e32 v[162:163], v[162:163], v[164:165]
	v_fma_f64 v[164:165], -v[144:145], v[162:163], 1.0
	v_fmac_f64_e32 v[162:163], v[162:163], v[164:165]
	v_div_scale_f64 v[164:165], vcc, 1.0, v[146:147], 1.0
	v_mul_f64 v[166:167], v[164:165], v[162:163]
	v_fma_f64 v[144:145], -v[144:145], v[166:167], v[164:165]
	s_nop 1
	v_div_fmas_f64 v[144:145], v[144:145], v[162:163], v[166:167]
	v_div_fixup_f64 v[146:147], v[144:145], v[146:147], 1.0
	v_mul_f64 v[144:145], v[160:161], v[146:147]
	v_xor_b32_e32 v147, 0x80000000, v147
.LBB70_175:
	s_andn2_saveexec_b64 s[16:17], s[16:17]
	s_cbranch_execz .LBB70_177
; %bb.176:
	v_div_scale_f64 v[160:161], s[18:19], v[144:145], v[144:145], v[146:147]
	v_rcp_f64_e32 v[162:163], v[160:161]
	v_div_scale_f64 v[164:165], vcc, v[146:147], v[144:145], v[146:147]
	v_fma_f64 v[166:167], -v[160:161], v[162:163], 1.0
	v_fmac_f64_e32 v[162:163], v[162:163], v[166:167]
	v_fma_f64 v[166:167], -v[160:161], v[162:163], 1.0
	v_fmac_f64_e32 v[162:163], v[162:163], v[166:167]
	v_mul_f64 v[166:167], v[164:165], v[162:163]
	v_fma_f64 v[160:161], -v[160:161], v[166:167], v[164:165]
	v_div_fmas_f64 v[160:161], v[160:161], v[162:163], v[166:167]
	v_div_fixup_f64 v[160:161], v[160:161], v[144:145], v[146:147]
	v_fmac_f64_e32 v[144:145], v[146:147], v[160:161]
	v_div_scale_f64 v[146:147], s[18:19], v[144:145], v[144:145], 1.0
	v_rcp_f64_e32 v[162:163], v[146:147]
	s_nop 0
	v_fma_f64 v[164:165], -v[146:147], v[162:163], 1.0
	v_fmac_f64_e32 v[162:163], v[162:163], v[164:165]
	v_fma_f64 v[164:165], -v[146:147], v[162:163], 1.0
	v_fmac_f64_e32 v[162:163], v[162:163], v[164:165]
	v_div_scale_f64 v[164:165], vcc, 1.0, v[144:145], 1.0
	v_mul_f64 v[166:167], v[164:165], v[162:163]
	v_fma_f64 v[146:147], -v[146:147], v[166:167], v[164:165]
	s_nop 1
	v_div_fmas_f64 v[146:147], v[146:147], v[162:163], v[166:167]
	v_div_fixup_f64 v[144:145], v[146:147], v[144:145], 1.0
	v_mul_f64 v[146:147], v[160:161], -v[144:145]
.LBB70_177:
	s_or_b64 exec, exec, s[16:17]
.LBB70_178:
	s_or_b64 exec, exec, s[0:1]
	v_cmp_ne_u32_e32 vcc, v157, v154
	s_and_saveexec_b64 s[0:1], vcc
	s_xor_b64 s[0:1], exec, s[0:1]
	s_cbranch_execz .LBB70_184
; %bb.179:
	v_cmp_eq_u32_e32 vcc, 8, v157
	s_and_saveexec_b64 s[16:17], vcc
	s_cbranch_execz .LBB70_183
; %bb.180:
	v_cmp_ne_u32_e32 vcc, 8, v154
	s_xor_b64 s[18:19], s[14:15], -1
	s_and_b64 s[22:23], s[18:19], vcc
	s_and_saveexec_b64 s[18:19], s[22:23]
	s_cbranch_execz .LBB70_182
; %bb.181:
	v_ashrrev_i32_e32 v155, 31, v154
	v_lshl_add_u64 v[160:161], v[154:155], 2, v[152:153]
	global_load_dword v155, v[160:161], off
	global_load_dword v157, v[152:153], off offset:32
	s_waitcnt vmcnt(1)
	global_store_dword v[152:153], v155, off offset:32
	s_waitcnt vmcnt(1)
	global_store_dword v[160:161], v157, off
.LBB70_182:
	s_or_b64 exec, exec, s[18:19]
	v_mov_b32_e32 v157, v154
	v_mov_b32_e32 v159, v154
.LBB70_183:
	s_or_b64 exec, exec, s[16:17]
.LBB70_184:
	s_andn2_saveexec_b64 s[0:1], s[0:1]
	s_cbranch_execz .LBB70_186
; %bb.185:
	v_mov_b32_e32 v157, 8
	s_waitcnt vmcnt(26)
	ds_write2_b64 v156, v[108:109], v[110:111] offset0:18 offset1:19
	s_waitcnt vmcnt(25)
	ds_write2_b64 v156, v[104:105], v[106:107] offset0:20 offset1:21
	;; [unrolled: 2-line block ×27, first 2 shown]
.LBB70_186:
	s_or_b64 exec, exec, s[0:1]
	v_cmp_lt_i32_e32 vcc, 8, v157
	s_waitcnt lgkmcnt(0)
	s_barrier
	s_and_saveexec_b64 s[0:1], vcc
	s_cbranch_execz .LBB70_188
; %bb.187:
	ds_read2_b64 v[160:163], v156 offset0:18 offset1:19
	v_mul_f64 v[154:155], v[146:147], v[114:115]
	v_mul_f64 v[114:115], v[144:145], v[114:115]
	v_fmac_f64_e32 v[114:115], v[146:147], v[112:113]
	v_fma_f64 v[154:155], v[144:145], v[112:113], -v[154:155]
	ds_read2_b64 v[144:147], v156 offset0:20 offset1:21
	s_waitcnt lgkmcnt(1)
	v_mul_f64 v[112:113], v[162:163], v[114:115]
	v_fma_f64 v[112:113], v[160:161], v[154:155], -v[112:113]
	v_mul_f64 v[160:161], v[160:161], v[114:115]
	v_fmac_f64_e32 v[160:161], v[162:163], v[154:155]
	s_waitcnt vmcnt(26)
	v_add_f64 v[110:111], v[110:111], -v[160:161]
	ds_read2_b64 v[160:163], v156 offset0:22 offset1:23
	v_add_f64 v[108:109], v[108:109], -v[112:113]
	s_waitcnt lgkmcnt(1)
	v_mul_f64 v[112:113], v[146:147], v[114:115]
	v_fma_f64 v[112:113], v[144:145], v[154:155], -v[112:113]
	v_mul_f64 v[144:145], v[144:145], v[114:115]
	v_fmac_f64_e32 v[144:145], v[146:147], v[154:155]
	s_waitcnt vmcnt(25)
	v_add_f64 v[104:105], v[104:105], -v[112:113]
	v_add_f64 v[106:107], v[106:107], -v[144:145]
	ds_read2_b64 v[144:147], v156 offset0:24 offset1:25
	s_waitcnt lgkmcnt(1)
	v_mul_f64 v[112:113], v[162:163], v[114:115]
	v_fma_f64 v[112:113], v[160:161], v[154:155], -v[112:113]
	v_mul_f64 v[160:161], v[160:161], v[114:115]
	v_fmac_f64_e32 v[160:161], v[162:163], v[154:155]
	s_waitcnt vmcnt(24)
	v_add_f64 v[94:95], v[94:95], -v[160:161]
	ds_read2_b64 v[160:163], v156 offset0:26 offset1:27
	v_add_f64 v[92:93], v[92:93], -v[112:113]
	s_waitcnt lgkmcnt(1)
	v_mul_f64 v[112:113], v[146:147], v[114:115]
	v_fma_f64 v[112:113], v[144:145], v[154:155], -v[112:113]
	v_mul_f64 v[144:145], v[144:145], v[114:115]
	v_fmac_f64_e32 v[144:145], v[146:147], v[154:155]
	s_waitcnt vmcnt(23)
	v_add_f64 v[96:97], v[96:97], -v[112:113]
	v_add_f64 v[98:99], v[98:99], -v[144:145]
	;; [unrolled: 18-line block ×13, first 2 shown]
	s_waitcnt lgkmcnt(0)
	v_mul_f64 v[112:113], v[162:163], v[114:115]
	v_mul_f64 v[144:145], v[160:161], v[114:115]
	v_fma_f64 v[112:113], v[160:161], v[154:155], -v[112:113]
	v_fmac_f64_e32 v[144:145], v[162:163], v[154:155]
	s_waitcnt vmcnt(0)
	v_add_f64 v[140:141], v[140:141], -v[112:113]
	v_add_f64 v[142:143], v[142:143], -v[144:145]
	v_mov_b64_e32 v[112:113], v[154:155]
.LBB70_188:
	s_or_b64 exec, exec, s[0:1]
	v_lshl_add_u32 v144, v157, 4, v156
	s_barrier
	s_waitcnt vmcnt(26)
	ds_write2_b64 v144, v[108:109], v[110:111] offset1:1
	s_waitcnt lgkmcnt(0)
	s_barrier
	ds_read2_b64 v[144:147], v156 offset0:18 offset1:19
	s_cmp_lt_i32 s20, 11
	v_mov_b32_e32 v154, 9
	s_cbranch_scc1 .LBB70_191
; %bb.189:
	v_add_u32_e32 v155, 0xa0, v156
	s_mov_b32 s16, 10
	v_mov_b32_e32 v154, 9
.LBB70_190:                             ; =>This Inner Loop Header: Depth=1
	ds_read2_b64 v[160:163], v155 offset1:1
	s_waitcnt lgkmcnt(1)
	v_xor_b32_e32 v165, 0x80000000, v145
	v_xor_b32_e32 v167, 0x80000000, v147
	v_cmp_gt_f64_e32 vcc, 0, v[146:147]
	v_cmp_gt_f64_e64 s[0:1], 0, v[144:145]
	v_mov_b32_e32 v164, v144
	v_mov_b32_e32 v166, v146
	v_cndmask_b32_e64 v165, v145, v165, s[0:1]
	v_cndmask_b32_e32 v167, v147, v167, vcc
	v_add_f64 v[164:165], v[164:165], v[166:167]
	s_waitcnt lgkmcnt(0)
	v_xor_b32_e32 v167, 0x80000000, v161
	v_xor_b32_e32 v169, 0x80000000, v163
	v_cmp_gt_f64_e32 vcc, 0, v[162:163]
	v_cmp_gt_f64_e64 s[0:1], 0, v[160:161]
	v_mov_b32_e32 v166, v160
	v_mov_b32_e32 v168, v162
	v_cndmask_b32_e64 v167, v161, v167, s[0:1]
	v_cndmask_b32_e32 v169, v163, v169, vcc
	v_add_f64 v[166:167], v[166:167], v[168:169]
	v_mov_b32_e32 v170, s16
	s_add_i32 s16, s16, 1
	v_cmp_lt_f64_e32 vcc, v[164:165], v[166:167]
	v_add_u32_e32 v155, 16, v155
	s_cmp_lg_u32 s20, s16
	v_cndmask_b32_e32 v145, v145, v161, vcc
	v_cndmask_b32_e32 v144, v144, v160, vcc
	;; [unrolled: 1-line block ×5, first 2 shown]
	s_cbranch_scc1 .LBB70_190
.LBB70_191:
	s_waitcnt lgkmcnt(0)
	v_cmp_eq_f64_e32 vcc, 0, v[144:145]
	v_cmp_eq_f64_e64 s[0:1], 0, v[146:147]
	s_and_b64 s[0:1], vcc, s[0:1]
	s_and_saveexec_b64 s[16:17], s[0:1]
	s_xor_b64 s[0:1], exec, s[16:17]
; %bb.192:
	v_cmp_ne_u32_e32 vcc, 0, v158
	s_nop 1
	v_cndmask_b32_e32 v158, 10, v158, vcc
; %bb.193:
	s_andn2_saveexec_b64 s[0:1], s[0:1]
	s_cbranch_execz .LBB70_199
; %bb.194:
	v_cmp_ngt_f64_e64 s[16:17], |v[144:145]|, |v[146:147]|
	s_and_saveexec_b64 s[18:19], s[16:17]
	s_xor_b64 s[16:17], exec, s[18:19]
	s_cbranch_execz .LBB70_196
; %bb.195:
	v_div_scale_f64 v[160:161], s[18:19], v[146:147], v[146:147], v[144:145]
	v_rcp_f64_e32 v[162:163], v[160:161]
	v_div_scale_f64 v[164:165], vcc, v[144:145], v[146:147], v[144:145]
	v_fma_f64 v[166:167], -v[160:161], v[162:163], 1.0
	v_fmac_f64_e32 v[162:163], v[162:163], v[166:167]
	v_fma_f64 v[166:167], -v[160:161], v[162:163], 1.0
	v_fmac_f64_e32 v[162:163], v[162:163], v[166:167]
	v_mul_f64 v[166:167], v[164:165], v[162:163]
	v_fma_f64 v[160:161], -v[160:161], v[166:167], v[164:165]
	v_div_fmas_f64 v[160:161], v[160:161], v[162:163], v[166:167]
	v_div_fixup_f64 v[160:161], v[160:161], v[146:147], v[144:145]
	v_fmac_f64_e32 v[146:147], v[144:145], v[160:161]
	v_div_scale_f64 v[144:145], s[18:19], v[146:147], v[146:147], 1.0
	v_rcp_f64_e32 v[162:163], v[144:145]
	s_nop 0
	v_fma_f64 v[164:165], -v[144:145], v[162:163], 1.0
	v_fmac_f64_e32 v[162:163], v[162:163], v[164:165]
	v_fma_f64 v[164:165], -v[144:145], v[162:163], 1.0
	v_fmac_f64_e32 v[162:163], v[162:163], v[164:165]
	v_div_scale_f64 v[164:165], vcc, 1.0, v[146:147], 1.0
	v_mul_f64 v[166:167], v[164:165], v[162:163]
	v_fma_f64 v[144:145], -v[144:145], v[166:167], v[164:165]
	s_nop 1
	v_div_fmas_f64 v[144:145], v[144:145], v[162:163], v[166:167]
	v_div_fixup_f64 v[146:147], v[144:145], v[146:147], 1.0
	v_mul_f64 v[144:145], v[160:161], v[146:147]
	v_xor_b32_e32 v147, 0x80000000, v147
.LBB70_196:
	s_andn2_saveexec_b64 s[16:17], s[16:17]
	s_cbranch_execz .LBB70_198
; %bb.197:
	v_div_scale_f64 v[160:161], s[18:19], v[144:145], v[144:145], v[146:147]
	v_rcp_f64_e32 v[162:163], v[160:161]
	v_div_scale_f64 v[164:165], vcc, v[146:147], v[144:145], v[146:147]
	v_fma_f64 v[166:167], -v[160:161], v[162:163], 1.0
	v_fmac_f64_e32 v[162:163], v[162:163], v[166:167]
	v_fma_f64 v[166:167], -v[160:161], v[162:163], 1.0
	v_fmac_f64_e32 v[162:163], v[162:163], v[166:167]
	v_mul_f64 v[166:167], v[164:165], v[162:163]
	v_fma_f64 v[160:161], -v[160:161], v[166:167], v[164:165]
	v_div_fmas_f64 v[160:161], v[160:161], v[162:163], v[166:167]
	v_div_fixup_f64 v[160:161], v[160:161], v[144:145], v[146:147]
	v_fmac_f64_e32 v[144:145], v[146:147], v[160:161]
	v_div_scale_f64 v[146:147], s[18:19], v[144:145], v[144:145], 1.0
	v_rcp_f64_e32 v[162:163], v[146:147]
	s_nop 0
	v_fma_f64 v[164:165], -v[146:147], v[162:163], 1.0
	v_fmac_f64_e32 v[162:163], v[162:163], v[164:165]
	v_fma_f64 v[164:165], -v[146:147], v[162:163], 1.0
	v_fmac_f64_e32 v[162:163], v[162:163], v[164:165]
	v_div_scale_f64 v[164:165], vcc, 1.0, v[144:145], 1.0
	v_mul_f64 v[166:167], v[164:165], v[162:163]
	v_fma_f64 v[146:147], -v[146:147], v[166:167], v[164:165]
	s_nop 1
	v_div_fmas_f64 v[146:147], v[146:147], v[162:163], v[166:167]
	v_div_fixup_f64 v[144:145], v[146:147], v[144:145], 1.0
	v_mul_f64 v[146:147], v[160:161], -v[144:145]
.LBB70_198:
	s_or_b64 exec, exec, s[16:17]
.LBB70_199:
	s_or_b64 exec, exec, s[0:1]
	v_cmp_ne_u32_e32 vcc, v157, v154
	s_and_saveexec_b64 s[0:1], vcc
	s_xor_b64 s[0:1], exec, s[0:1]
	s_cbranch_execz .LBB70_205
; %bb.200:
	v_cmp_eq_u32_e32 vcc, 9, v157
	s_and_saveexec_b64 s[16:17], vcc
	s_cbranch_execz .LBB70_204
; %bb.201:
	v_cmp_ne_u32_e32 vcc, 9, v154
	s_xor_b64 s[18:19], s[14:15], -1
	s_and_b64 s[22:23], s[18:19], vcc
	s_and_saveexec_b64 s[18:19], s[22:23]
	s_cbranch_execz .LBB70_203
; %bb.202:
	v_ashrrev_i32_e32 v155, 31, v154
	v_lshl_add_u64 v[160:161], v[154:155], 2, v[152:153]
	global_load_dword v155, v[160:161], off
	global_load_dword v157, v[152:153], off offset:36
	s_waitcnt vmcnt(1)
	global_store_dword v[152:153], v155, off offset:36
	s_waitcnt vmcnt(1)
	global_store_dword v[160:161], v157, off
.LBB70_203:
	s_or_b64 exec, exec, s[18:19]
	v_mov_b32_e32 v157, v154
	v_mov_b32_e32 v159, v154
.LBB70_204:
	s_or_b64 exec, exec, s[16:17]
.LBB70_205:
	s_andn2_saveexec_b64 s[0:1], s[0:1]
	s_cbranch_execz .LBB70_207
; %bb.206:
	v_mov_b32_e32 v157, 9
	s_waitcnt vmcnt(25)
	ds_write2_b64 v156, v[104:105], v[106:107] offset0:20 offset1:21
	s_waitcnt vmcnt(24)
	ds_write2_b64 v156, v[92:93], v[94:95] offset0:22 offset1:23
	;; [unrolled: 2-line block ×26, first 2 shown]
.LBB70_207:
	s_or_b64 exec, exec, s[0:1]
	v_cmp_lt_i32_e32 vcc, 9, v157
	s_waitcnt lgkmcnt(0)
	s_barrier
	s_and_saveexec_b64 s[0:1], vcc
	s_cbranch_execz .LBB70_209
; %bb.208:
	ds_read2_b64 v[160:163], v156 offset0:20 offset1:21
	v_mul_f64 v[154:155], v[146:147], v[110:111]
	v_mul_f64 v[110:111], v[144:145], v[110:111]
	v_fma_f64 v[154:155], v[144:145], v[108:109], -v[154:155]
	v_fmac_f64_e32 v[110:111], v[146:147], v[108:109]
	ds_read2_b64 v[144:147], v156 offset0:22 offset1:23
	s_waitcnt lgkmcnt(1)
	v_mul_f64 v[108:109], v[162:163], v[110:111]
	v_fma_f64 v[108:109], v[160:161], v[154:155], -v[108:109]
	v_mul_f64 v[160:161], v[160:161], v[110:111]
	v_fmac_f64_e32 v[160:161], v[162:163], v[154:155]
	s_waitcnt vmcnt(25)
	v_add_f64 v[104:105], v[104:105], -v[108:109]
	s_waitcnt lgkmcnt(0)
	v_mul_f64 v[108:109], v[146:147], v[110:111]
	v_add_f64 v[106:107], v[106:107], -v[160:161]
	v_fma_f64 v[108:109], v[144:145], v[154:155], -v[108:109]
	v_mul_f64 v[144:145], v[144:145], v[110:111]
	ds_read2_b64 v[160:163], v156 offset0:24 offset1:25
	v_fmac_f64_e32 v[144:145], v[146:147], v[154:155]
	s_waitcnt vmcnt(24)
	v_add_f64 v[94:95], v[94:95], -v[144:145]
	ds_read2_b64 v[144:147], v156 offset0:26 offset1:27
	v_add_f64 v[92:93], v[92:93], -v[108:109]
	s_waitcnt lgkmcnt(1)
	v_mul_f64 v[108:109], v[162:163], v[110:111]
	v_fma_f64 v[108:109], v[160:161], v[154:155], -v[108:109]
	v_mul_f64 v[160:161], v[160:161], v[110:111]
	v_fmac_f64_e32 v[160:161], v[162:163], v[154:155]
	s_waitcnt vmcnt(23)
	v_add_f64 v[96:97], v[96:97], -v[108:109]
	s_waitcnt lgkmcnt(0)
	v_mul_f64 v[108:109], v[146:147], v[110:111]
	v_add_f64 v[98:99], v[98:99], -v[160:161]
	v_fma_f64 v[108:109], v[144:145], v[154:155], -v[108:109]
	v_mul_f64 v[144:145], v[144:145], v[110:111]
	ds_read2_b64 v[160:163], v156 offset0:28 offset1:29
	v_fmac_f64_e32 v[144:145], v[146:147], v[154:155]
	s_waitcnt vmcnt(22)
	v_add_f64 v[86:87], v[86:87], -v[144:145]
	ds_read2_b64 v[144:147], v156 offset0:30 offset1:31
	v_add_f64 v[84:85], v[84:85], -v[108:109]
	;; [unrolled: 18-line block ×12, first 2 shown]
	s_waitcnt lgkmcnt(1)
	v_mul_f64 v[108:109], v[162:163], v[110:111]
	v_fma_f64 v[108:109], v[160:161], v[154:155], -v[108:109]
	s_waitcnt vmcnt(1)
	v_add_f64 v[0:1], v[0:1], -v[108:109]
	s_waitcnt lgkmcnt(0)
	v_mul_f64 v[108:109], v[146:147], v[110:111]
	v_mul_f64 v[160:161], v[160:161], v[110:111]
	v_fma_f64 v[108:109], v[144:145], v[154:155], -v[108:109]
	v_mul_f64 v[144:145], v[144:145], v[110:111]
	v_fmac_f64_e32 v[160:161], v[162:163], v[154:155]
	v_fmac_f64_e32 v[144:145], v[146:147], v[154:155]
	v_add_f64 v[2:3], v[2:3], -v[160:161]
	s_waitcnt vmcnt(0)
	v_add_f64 v[140:141], v[140:141], -v[108:109]
	v_add_f64 v[142:143], v[142:143], -v[144:145]
	v_mov_b64_e32 v[108:109], v[154:155]
.LBB70_209:
	s_or_b64 exec, exec, s[0:1]
	v_lshl_add_u32 v144, v157, 4, v156
	s_barrier
	s_waitcnt vmcnt(25)
	ds_write2_b64 v144, v[104:105], v[106:107] offset1:1
	s_waitcnt lgkmcnt(0)
	s_barrier
	ds_read2_b64 v[144:147], v156 offset0:20 offset1:21
	s_cmp_lt_i32 s20, 12
	v_mov_b32_e32 v154, 10
	s_cbranch_scc1 .LBB70_212
; %bb.210:
	v_add_u32_e32 v155, 0xb0, v156
	s_mov_b32 s16, 11
	v_mov_b32_e32 v154, 10
.LBB70_211:                             ; =>This Inner Loop Header: Depth=1
	ds_read2_b64 v[160:163], v155 offset1:1
	s_waitcnt lgkmcnt(1)
	v_xor_b32_e32 v165, 0x80000000, v145
	v_xor_b32_e32 v167, 0x80000000, v147
	v_cmp_gt_f64_e32 vcc, 0, v[146:147]
	v_cmp_gt_f64_e64 s[0:1], 0, v[144:145]
	v_mov_b32_e32 v164, v144
	v_mov_b32_e32 v166, v146
	v_cndmask_b32_e64 v165, v145, v165, s[0:1]
	v_cndmask_b32_e32 v167, v147, v167, vcc
	v_add_f64 v[164:165], v[164:165], v[166:167]
	s_waitcnt lgkmcnt(0)
	v_xor_b32_e32 v167, 0x80000000, v161
	v_xor_b32_e32 v169, 0x80000000, v163
	v_cmp_gt_f64_e32 vcc, 0, v[162:163]
	v_cmp_gt_f64_e64 s[0:1], 0, v[160:161]
	v_mov_b32_e32 v166, v160
	v_mov_b32_e32 v168, v162
	v_cndmask_b32_e64 v167, v161, v167, s[0:1]
	v_cndmask_b32_e32 v169, v163, v169, vcc
	v_add_f64 v[166:167], v[166:167], v[168:169]
	v_mov_b32_e32 v170, s16
	s_add_i32 s16, s16, 1
	v_cmp_lt_f64_e32 vcc, v[164:165], v[166:167]
	v_add_u32_e32 v155, 16, v155
	s_cmp_lg_u32 s20, s16
	v_cndmask_b32_e32 v145, v145, v161, vcc
	v_cndmask_b32_e32 v144, v144, v160, vcc
	;; [unrolled: 1-line block ×5, first 2 shown]
	s_cbranch_scc1 .LBB70_211
.LBB70_212:
	s_waitcnt lgkmcnt(0)
	v_cmp_eq_f64_e32 vcc, 0, v[144:145]
	v_cmp_eq_f64_e64 s[0:1], 0, v[146:147]
	s_and_b64 s[0:1], vcc, s[0:1]
	s_and_saveexec_b64 s[16:17], s[0:1]
	s_xor_b64 s[0:1], exec, s[16:17]
; %bb.213:
	v_cmp_ne_u32_e32 vcc, 0, v158
	s_nop 1
	v_cndmask_b32_e32 v158, 11, v158, vcc
; %bb.214:
	s_andn2_saveexec_b64 s[0:1], s[0:1]
	s_cbranch_execz .LBB70_220
; %bb.215:
	v_cmp_ngt_f64_e64 s[16:17], |v[144:145]|, |v[146:147]|
	s_and_saveexec_b64 s[18:19], s[16:17]
	s_xor_b64 s[16:17], exec, s[18:19]
	s_cbranch_execz .LBB70_217
; %bb.216:
	v_div_scale_f64 v[160:161], s[18:19], v[146:147], v[146:147], v[144:145]
	v_rcp_f64_e32 v[162:163], v[160:161]
	v_div_scale_f64 v[164:165], vcc, v[144:145], v[146:147], v[144:145]
	v_fma_f64 v[166:167], -v[160:161], v[162:163], 1.0
	v_fmac_f64_e32 v[162:163], v[162:163], v[166:167]
	v_fma_f64 v[166:167], -v[160:161], v[162:163], 1.0
	v_fmac_f64_e32 v[162:163], v[162:163], v[166:167]
	v_mul_f64 v[166:167], v[164:165], v[162:163]
	v_fma_f64 v[160:161], -v[160:161], v[166:167], v[164:165]
	v_div_fmas_f64 v[160:161], v[160:161], v[162:163], v[166:167]
	v_div_fixup_f64 v[160:161], v[160:161], v[146:147], v[144:145]
	v_fmac_f64_e32 v[146:147], v[144:145], v[160:161]
	v_div_scale_f64 v[144:145], s[18:19], v[146:147], v[146:147], 1.0
	v_rcp_f64_e32 v[162:163], v[144:145]
	s_nop 0
	v_fma_f64 v[164:165], -v[144:145], v[162:163], 1.0
	v_fmac_f64_e32 v[162:163], v[162:163], v[164:165]
	v_fma_f64 v[164:165], -v[144:145], v[162:163], 1.0
	v_fmac_f64_e32 v[162:163], v[162:163], v[164:165]
	v_div_scale_f64 v[164:165], vcc, 1.0, v[146:147], 1.0
	v_mul_f64 v[166:167], v[164:165], v[162:163]
	v_fma_f64 v[144:145], -v[144:145], v[166:167], v[164:165]
	s_nop 1
	v_div_fmas_f64 v[144:145], v[144:145], v[162:163], v[166:167]
	v_div_fixup_f64 v[146:147], v[144:145], v[146:147], 1.0
	v_mul_f64 v[144:145], v[160:161], v[146:147]
	v_xor_b32_e32 v147, 0x80000000, v147
.LBB70_217:
	s_andn2_saveexec_b64 s[16:17], s[16:17]
	s_cbranch_execz .LBB70_219
; %bb.218:
	v_div_scale_f64 v[160:161], s[18:19], v[144:145], v[144:145], v[146:147]
	v_rcp_f64_e32 v[162:163], v[160:161]
	v_div_scale_f64 v[164:165], vcc, v[146:147], v[144:145], v[146:147]
	v_fma_f64 v[166:167], -v[160:161], v[162:163], 1.0
	v_fmac_f64_e32 v[162:163], v[162:163], v[166:167]
	v_fma_f64 v[166:167], -v[160:161], v[162:163], 1.0
	v_fmac_f64_e32 v[162:163], v[162:163], v[166:167]
	v_mul_f64 v[166:167], v[164:165], v[162:163]
	v_fma_f64 v[160:161], -v[160:161], v[166:167], v[164:165]
	v_div_fmas_f64 v[160:161], v[160:161], v[162:163], v[166:167]
	v_div_fixup_f64 v[160:161], v[160:161], v[144:145], v[146:147]
	v_fmac_f64_e32 v[144:145], v[146:147], v[160:161]
	v_div_scale_f64 v[146:147], s[18:19], v[144:145], v[144:145], 1.0
	v_rcp_f64_e32 v[162:163], v[146:147]
	s_nop 0
	v_fma_f64 v[164:165], -v[146:147], v[162:163], 1.0
	v_fmac_f64_e32 v[162:163], v[162:163], v[164:165]
	v_fma_f64 v[164:165], -v[146:147], v[162:163], 1.0
	v_fmac_f64_e32 v[162:163], v[162:163], v[164:165]
	v_div_scale_f64 v[164:165], vcc, 1.0, v[144:145], 1.0
	v_mul_f64 v[166:167], v[164:165], v[162:163]
	v_fma_f64 v[146:147], -v[146:147], v[166:167], v[164:165]
	s_nop 1
	v_div_fmas_f64 v[146:147], v[146:147], v[162:163], v[166:167]
	v_div_fixup_f64 v[144:145], v[146:147], v[144:145], 1.0
	v_mul_f64 v[146:147], v[160:161], -v[144:145]
.LBB70_219:
	s_or_b64 exec, exec, s[16:17]
.LBB70_220:
	s_or_b64 exec, exec, s[0:1]
	v_cmp_ne_u32_e32 vcc, v157, v154
	s_and_saveexec_b64 s[0:1], vcc
	s_xor_b64 s[0:1], exec, s[0:1]
	s_cbranch_execz .LBB70_226
; %bb.221:
	v_cmp_eq_u32_e32 vcc, 10, v157
	s_and_saveexec_b64 s[16:17], vcc
	s_cbranch_execz .LBB70_225
; %bb.222:
	v_cmp_ne_u32_e32 vcc, 10, v154
	s_xor_b64 s[18:19], s[14:15], -1
	s_and_b64 s[22:23], s[18:19], vcc
	s_and_saveexec_b64 s[18:19], s[22:23]
	s_cbranch_execz .LBB70_224
; %bb.223:
	v_ashrrev_i32_e32 v155, 31, v154
	v_lshl_add_u64 v[160:161], v[154:155], 2, v[152:153]
	global_load_dword v155, v[160:161], off
	global_load_dword v157, v[152:153], off offset:40
	s_waitcnt vmcnt(1)
	global_store_dword v[152:153], v155, off offset:40
	s_waitcnt vmcnt(1)
	global_store_dword v[160:161], v157, off
.LBB70_224:
	s_or_b64 exec, exec, s[18:19]
	v_mov_b32_e32 v157, v154
	v_mov_b32_e32 v159, v154
.LBB70_225:
	s_or_b64 exec, exec, s[16:17]
.LBB70_226:
	s_andn2_saveexec_b64 s[0:1], s[0:1]
	s_cbranch_execz .LBB70_228
; %bb.227:
	v_mov_b32_e32 v157, 10
	s_waitcnt vmcnt(24)
	ds_write2_b64 v156, v[92:93], v[94:95] offset0:22 offset1:23
	s_waitcnt vmcnt(23)
	ds_write2_b64 v156, v[96:97], v[98:99] offset0:24 offset1:25
	;; [unrolled: 2-line block ×25, first 2 shown]
.LBB70_228:
	s_or_b64 exec, exec, s[0:1]
	v_cmp_lt_i32_e32 vcc, 10, v157
	s_waitcnt lgkmcnt(0)
	s_barrier
	s_and_saveexec_b64 s[0:1], vcc
	s_cbranch_execz .LBB70_230
; %bb.229:
	ds_read2_b64 v[160:163], v156 offset0:22 offset1:23
	v_mul_f64 v[154:155], v[146:147], v[106:107]
	v_mul_f64 v[106:107], v[144:145], v[106:107]
	v_fmac_f64_e32 v[106:107], v[146:147], v[104:105]
	v_fma_f64 v[154:155], v[144:145], v[104:105], -v[154:155]
	ds_read2_b64 v[144:147], v156 offset0:24 offset1:25
	s_waitcnt lgkmcnt(1)
	v_mul_f64 v[104:105], v[162:163], v[106:107]
	v_fma_f64 v[104:105], v[160:161], v[154:155], -v[104:105]
	v_mul_f64 v[160:161], v[160:161], v[106:107]
	v_fmac_f64_e32 v[160:161], v[162:163], v[154:155]
	s_waitcnt vmcnt(24)
	v_add_f64 v[94:95], v[94:95], -v[160:161]
	ds_read2_b64 v[160:163], v156 offset0:26 offset1:27
	v_add_f64 v[92:93], v[92:93], -v[104:105]
	s_waitcnt lgkmcnt(1)
	v_mul_f64 v[104:105], v[146:147], v[106:107]
	v_fma_f64 v[104:105], v[144:145], v[154:155], -v[104:105]
	v_mul_f64 v[144:145], v[144:145], v[106:107]
	v_fmac_f64_e32 v[144:145], v[146:147], v[154:155]
	s_waitcnt vmcnt(23)
	v_add_f64 v[96:97], v[96:97], -v[104:105]
	v_add_f64 v[98:99], v[98:99], -v[144:145]
	ds_read2_b64 v[144:147], v156 offset0:28 offset1:29
	s_waitcnt lgkmcnt(1)
	v_mul_f64 v[104:105], v[162:163], v[106:107]
	v_fma_f64 v[104:105], v[160:161], v[154:155], -v[104:105]
	v_mul_f64 v[160:161], v[160:161], v[106:107]
	v_fmac_f64_e32 v[160:161], v[162:163], v[154:155]
	s_waitcnt vmcnt(22)
	v_add_f64 v[86:87], v[86:87], -v[160:161]
	ds_read2_b64 v[160:163], v156 offset0:30 offset1:31
	v_add_f64 v[84:85], v[84:85], -v[104:105]
	s_waitcnt lgkmcnt(1)
	v_mul_f64 v[104:105], v[146:147], v[106:107]
	v_fma_f64 v[104:105], v[144:145], v[154:155], -v[104:105]
	v_mul_f64 v[144:145], v[144:145], v[106:107]
	v_fmac_f64_e32 v[144:145], v[146:147], v[154:155]
	s_waitcnt vmcnt(21)
	v_add_f64 v[80:81], v[80:81], -v[104:105]
	v_add_f64 v[82:83], v[82:83], -v[144:145]
	;; [unrolled: 18-line block ×12, first 2 shown]
	s_waitcnt lgkmcnt(0)
	v_mul_f64 v[104:105], v[162:163], v[106:107]
	v_mul_f64 v[144:145], v[160:161], v[106:107]
	v_fma_f64 v[104:105], v[160:161], v[154:155], -v[104:105]
	v_fmac_f64_e32 v[144:145], v[162:163], v[154:155]
	s_waitcnt vmcnt(0)
	v_add_f64 v[140:141], v[140:141], -v[104:105]
	v_add_f64 v[142:143], v[142:143], -v[144:145]
	v_mov_b64_e32 v[104:105], v[154:155]
.LBB70_230:
	s_or_b64 exec, exec, s[0:1]
	v_lshl_add_u32 v144, v157, 4, v156
	s_barrier
	s_waitcnt vmcnt(24)
	ds_write2_b64 v144, v[92:93], v[94:95] offset1:1
	s_waitcnt lgkmcnt(0)
	s_barrier
	ds_read2_b64 v[144:147], v156 offset0:22 offset1:23
	s_cmp_lt_i32 s20, 13
	v_mov_b32_e32 v154, 11
	s_cbranch_scc1 .LBB70_233
; %bb.231:
	v_add_u32_e32 v155, 0xc0, v156
	s_mov_b32 s16, 12
	v_mov_b32_e32 v154, 11
.LBB70_232:                             ; =>This Inner Loop Header: Depth=1
	ds_read2_b64 v[160:163], v155 offset1:1
	s_waitcnt lgkmcnt(1)
	v_xor_b32_e32 v165, 0x80000000, v145
	v_xor_b32_e32 v167, 0x80000000, v147
	v_cmp_gt_f64_e32 vcc, 0, v[146:147]
	v_cmp_gt_f64_e64 s[0:1], 0, v[144:145]
	v_mov_b32_e32 v164, v144
	v_mov_b32_e32 v166, v146
	v_cndmask_b32_e64 v165, v145, v165, s[0:1]
	v_cndmask_b32_e32 v167, v147, v167, vcc
	v_add_f64 v[164:165], v[164:165], v[166:167]
	s_waitcnt lgkmcnt(0)
	v_xor_b32_e32 v167, 0x80000000, v161
	v_xor_b32_e32 v169, 0x80000000, v163
	v_cmp_gt_f64_e32 vcc, 0, v[162:163]
	v_cmp_gt_f64_e64 s[0:1], 0, v[160:161]
	v_mov_b32_e32 v166, v160
	v_mov_b32_e32 v168, v162
	v_cndmask_b32_e64 v167, v161, v167, s[0:1]
	v_cndmask_b32_e32 v169, v163, v169, vcc
	v_add_f64 v[166:167], v[166:167], v[168:169]
	v_mov_b32_e32 v170, s16
	s_add_i32 s16, s16, 1
	v_cmp_lt_f64_e32 vcc, v[164:165], v[166:167]
	v_add_u32_e32 v155, 16, v155
	s_cmp_lg_u32 s20, s16
	v_cndmask_b32_e32 v145, v145, v161, vcc
	v_cndmask_b32_e32 v144, v144, v160, vcc
	;; [unrolled: 1-line block ×5, first 2 shown]
	s_cbranch_scc1 .LBB70_232
.LBB70_233:
	s_waitcnt lgkmcnt(0)
	v_cmp_eq_f64_e32 vcc, 0, v[144:145]
	v_cmp_eq_f64_e64 s[0:1], 0, v[146:147]
	s_and_b64 s[0:1], vcc, s[0:1]
	s_and_saveexec_b64 s[16:17], s[0:1]
	s_xor_b64 s[0:1], exec, s[16:17]
; %bb.234:
	v_cmp_ne_u32_e32 vcc, 0, v158
	s_nop 1
	v_cndmask_b32_e32 v158, 12, v158, vcc
; %bb.235:
	s_andn2_saveexec_b64 s[0:1], s[0:1]
	s_cbranch_execz .LBB70_241
; %bb.236:
	v_cmp_ngt_f64_e64 s[16:17], |v[144:145]|, |v[146:147]|
	s_and_saveexec_b64 s[18:19], s[16:17]
	s_xor_b64 s[16:17], exec, s[18:19]
	s_cbranch_execz .LBB70_238
; %bb.237:
	v_div_scale_f64 v[160:161], s[18:19], v[146:147], v[146:147], v[144:145]
	v_rcp_f64_e32 v[162:163], v[160:161]
	v_div_scale_f64 v[164:165], vcc, v[144:145], v[146:147], v[144:145]
	v_fma_f64 v[166:167], -v[160:161], v[162:163], 1.0
	v_fmac_f64_e32 v[162:163], v[162:163], v[166:167]
	v_fma_f64 v[166:167], -v[160:161], v[162:163], 1.0
	v_fmac_f64_e32 v[162:163], v[162:163], v[166:167]
	v_mul_f64 v[166:167], v[164:165], v[162:163]
	v_fma_f64 v[160:161], -v[160:161], v[166:167], v[164:165]
	v_div_fmas_f64 v[160:161], v[160:161], v[162:163], v[166:167]
	v_div_fixup_f64 v[160:161], v[160:161], v[146:147], v[144:145]
	v_fmac_f64_e32 v[146:147], v[144:145], v[160:161]
	v_div_scale_f64 v[144:145], s[18:19], v[146:147], v[146:147], 1.0
	v_rcp_f64_e32 v[162:163], v[144:145]
	s_nop 0
	v_fma_f64 v[164:165], -v[144:145], v[162:163], 1.0
	v_fmac_f64_e32 v[162:163], v[162:163], v[164:165]
	v_fma_f64 v[164:165], -v[144:145], v[162:163], 1.0
	v_fmac_f64_e32 v[162:163], v[162:163], v[164:165]
	v_div_scale_f64 v[164:165], vcc, 1.0, v[146:147], 1.0
	v_mul_f64 v[166:167], v[164:165], v[162:163]
	v_fma_f64 v[144:145], -v[144:145], v[166:167], v[164:165]
	s_nop 1
	v_div_fmas_f64 v[144:145], v[144:145], v[162:163], v[166:167]
	v_div_fixup_f64 v[146:147], v[144:145], v[146:147], 1.0
	v_mul_f64 v[144:145], v[160:161], v[146:147]
	v_xor_b32_e32 v147, 0x80000000, v147
.LBB70_238:
	s_andn2_saveexec_b64 s[16:17], s[16:17]
	s_cbranch_execz .LBB70_240
; %bb.239:
	v_div_scale_f64 v[160:161], s[18:19], v[144:145], v[144:145], v[146:147]
	v_rcp_f64_e32 v[162:163], v[160:161]
	v_div_scale_f64 v[164:165], vcc, v[146:147], v[144:145], v[146:147]
	v_fma_f64 v[166:167], -v[160:161], v[162:163], 1.0
	v_fmac_f64_e32 v[162:163], v[162:163], v[166:167]
	v_fma_f64 v[166:167], -v[160:161], v[162:163], 1.0
	v_fmac_f64_e32 v[162:163], v[162:163], v[166:167]
	v_mul_f64 v[166:167], v[164:165], v[162:163]
	v_fma_f64 v[160:161], -v[160:161], v[166:167], v[164:165]
	v_div_fmas_f64 v[160:161], v[160:161], v[162:163], v[166:167]
	v_div_fixup_f64 v[160:161], v[160:161], v[144:145], v[146:147]
	v_fmac_f64_e32 v[144:145], v[146:147], v[160:161]
	v_div_scale_f64 v[146:147], s[18:19], v[144:145], v[144:145], 1.0
	v_rcp_f64_e32 v[162:163], v[146:147]
	s_nop 0
	v_fma_f64 v[164:165], -v[146:147], v[162:163], 1.0
	v_fmac_f64_e32 v[162:163], v[162:163], v[164:165]
	v_fma_f64 v[164:165], -v[146:147], v[162:163], 1.0
	v_fmac_f64_e32 v[162:163], v[162:163], v[164:165]
	v_div_scale_f64 v[164:165], vcc, 1.0, v[144:145], 1.0
	v_mul_f64 v[166:167], v[164:165], v[162:163]
	v_fma_f64 v[146:147], -v[146:147], v[166:167], v[164:165]
	s_nop 1
	v_div_fmas_f64 v[146:147], v[146:147], v[162:163], v[166:167]
	v_div_fixup_f64 v[144:145], v[146:147], v[144:145], 1.0
	v_mul_f64 v[146:147], v[160:161], -v[144:145]
.LBB70_240:
	s_or_b64 exec, exec, s[16:17]
.LBB70_241:
	s_or_b64 exec, exec, s[0:1]
	v_cmp_ne_u32_e32 vcc, v157, v154
	s_and_saveexec_b64 s[0:1], vcc
	s_xor_b64 s[0:1], exec, s[0:1]
	s_cbranch_execz .LBB70_247
; %bb.242:
	v_cmp_eq_u32_e32 vcc, 11, v157
	s_and_saveexec_b64 s[16:17], vcc
	s_cbranch_execz .LBB70_246
; %bb.243:
	v_cmp_ne_u32_e32 vcc, 11, v154
	s_xor_b64 s[18:19], s[14:15], -1
	s_and_b64 s[22:23], s[18:19], vcc
	s_and_saveexec_b64 s[18:19], s[22:23]
	s_cbranch_execz .LBB70_245
; %bb.244:
	v_ashrrev_i32_e32 v155, 31, v154
	v_lshl_add_u64 v[160:161], v[154:155], 2, v[152:153]
	global_load_dword v155, v[160:161], off
	global_load_dword v157, v[152:153], off offset:44
	s_waitcnt vmcnt(1)
	global_store_dword v[152:153], v155, off offset:44
	s_waitcnt vmcnt(1)
	global_store_dword v[160:161], v157, off
.LBB70_245:
	s_or_b64 exec, exec, s[18:19]
	v_mov_b32_e32 v157, v154
	v_mov_b32_e32 v159, v154
.LBB70_246:
	s_or_b64 exec, exec, s[16:17]
.LBB70_247:
	s_andn2_saveexec_b64 s[0:1], s[0:1]
	s_cbranch_execz .LBB70_249
; %bb.248:
	v_mov_b32_e32 v157, 11
	s_waitcnt vmcnt(23)
	ds_write2_b64 v156, v[96:97], v[98:99] offset0:24 offset1:25
	s_waitcnt vmcnt(22)
	ds_write2_b64 v156, v[84:85], v[86:87] offset0:26 offset1:27
	;; [unrolled: 2-line block ×24, first 2 shown]
.LBB70_249:
	s_or_b64 exec, exec, s[0:1]
	v_cmp_lt_i32_e32 vcc, 11, v157
	s_waitcnt lgkmcnt(0)
	s_barrier
	s_and_saveexec_b64 s[0:1], vcc
	s_cbranch_execz .LBB70_251
; %bb.250:
	ds_read2_b64 v[160:163], v156 offset0:24 offset1:25
	v_mul_f64 v[154:155], v[146:147], v[94:95]
	v_mul_f64 v[94:95], v[144:145], v[94:95]
	v_fma_f64 v[154:155], v[144:145], v[92:93], -v[154:155]
	v_fmac_f64_e32 v[94:95], v[146:147], v[92:93]
	ds_read2_b64 v[144:147], v156 offset0:26 offset1:27
	s_waitcnt lgkmcnt(1)
	v_mul_f64 v[92:93], v[162:163], v[94:95]
	v_fma_f64 v[92:93], v[160:161], v[154:155], -v[92:93]
	v_mul_f64 v[160:161], v[160:161], v[94:95]
	v_fmac_f64_e32 v[160:161], v[162:163], v[154:155]
	s_waitcnt vmcnt(23)
	v_add_f64 v[96:97], v[96:97], -v[92:93]
	s_waitcnt lgkmcnt(0)
	v_mul_f64 v[92:93], v[146:147], v[94:95]
	v_add_f64 v[98:99], v[98:99], -v[160:161]
	v_fma_f64 v[92:93], v[144:145], v[154:155], -v[92:93]
	v_mul_f64 v[144:145], v[144:145], v[94:95]
	ds_read2_b64 v[160:163], v156 offset0:28 offset1:29
	v_fmac_f64_e32 v[144:145], v[146:147], v[154:155]
	s_waitcnt vmcnt(22)
	v_add_f64 v[86:87], v[86:87], -v[144:145]
	ds_read2_b64 v[144:147], v156 offset0:30 offset1:31
	v_add_f64 v[84:85], v[84:85], -v[92:93]
	s_waitcnt lgkmcnt(1)
	v_mul_f64 v[92:93], v[162:163], v[94:95]
	v_fma_f64 v[92:93], v[160:161], v[154:155], -v[92:93]
	v_mul_f64 v[160:161], v[160:161], v[94:95]
	v_fmac_f64_e32 v[160:161], v[162:163], v[154:155]
	s_waitcnt vmcnt(21)
	v_add_f64 v[80:81], v[80:81], -v[92:93]
	s_waitcnt lgkmcnt(0)
	v_mul_f64 v[92:93], v[146:147], v[94:95]
	v_add_f64 v[82:83], v[82:83], -v[160:161]
	v_fma_f64 v[92:93], v[144:145], v[154:155], -v[92:93]
	v_mul_f64 v[144:145], v[144:145], v[94:95]
	ds_read2_b64 v[160:163], v156 offset0:32 offset1:33
	v_fmac_f64_e32 v[144:145], v[146:147], v[154:155]
	s_waitcnt vmcnt(20)
	v_add_f64 v[78:79], v[78:79], -v[144:145]
	ds_read2_b64 v[144:147], v156 offset0:34 offset1:35
	v_add_f64 v[76:77], v[76:77], -v[92:93]
	;; [unrolled: 18-line block ×11, first 2 shown]
	s_waitcnt lgkmcnt(1)
	v_mul_f64 v[92:93], v[162:163], v[94:95]
	v_fma_f64 v[92:93], v[160:161], v[154:155], -v[92:93]
	s_waitcnt vmcnt(1)
	v_add_f64 v[0:1], v[0:1], -v[92:93]
	s_waitcnt lgkmcnt(0)
	v_mul_f64 v[92:93], v[146:147], v[94:95]
	v_mul_f64 v[160:161], v[160:161], v[94:95]
	v_fma_f64 v[92:93], v[144:145], v[154:155], -v[92:93]
	v_mul_f64 v[144:145], v[144:145], v[94:95]
	v_fmac_f64_e32 v[160:161], v[162:163], v[154:155]
	v_fmac_f64_e32 v[144:145], v[146:147], v[154:155]
	v_add_f64 v[2:3], v[2:3], -v[160:161]
	s_waitcnt vmcnt(0)
	v_add_f64 v[140:141], v[140:141], -v[92:93]
	v_add_f64 v[142:143], v[142:143], -v[144:145]
	v_mov_b64_e32 v[92:93], v[154:155]
.LBB70_251:
	s_or_b64 exec, exec, s[0:1]
	v_lshl_add_u32 v144, v157, 4, v156
	s_barrier
	s_waitcnt vmcnt(23)
	ds_write2_b64 v144, v[96:97], v[98:99] offset1:1
	s_waitcnt lgkmcnt(0)
	s_barrier
	ds_read2_b64 v[144:147], v156 offset0:24 offset1:25
	s_cmp_lt_i32 s20, 14
	v_mov_b32_e32 v154, 12
	s_cbranch_scc1 .LBB70_254
; %bb.252:
	v_add_u32_e32 v155, 0xd0, v156
	s_mov_b32 s16, 13
	v_mov_b32_e32 v154, 12
.LBB70_253:                             ; =>This Inner Loop Header: Depth=1
	ds_read2_b64 v[160:163], v155 offset1:1
	s_waitcnt lgkmcnt(1)
	v_xor_b32_e32 v165, 0x80000000, v145
	v_xor_b32_e32 v167, 0x80000000, v147
	v_cmp_gt_f64_e32 vcc, 0, v[146:147]
	v_cmp_gt_f64_e64 s[0:1], 0, v[144:145]
	v_mov_b32_e32 v164, v144
	v_mov_b32_e32 v166, v146
	v_cndmask_b32_e64 v165, v145, v165, s[0:1]
	v_cndmask_b32_e32 v167, v147, v167, vcc
	v_add_f64 v[164:165], v[164:165], v[166:167]
	s_waitcnt lgkmcnt(0)
	v_xor_b32_e32 v167, 0x80000000, v161
	v_xor_b32_e32 v169, 0x80000000, v163
	v_cmp_gt_f64_e32 vcc, 0, v[162:163]
	v_cmp_gt_f64_e64 s[0:1], 0, v[160:161]
	v_mov_b32_e32 v166, v160
	v_mov_b32_e32 v168, v162
	v_cndmask_b32_e64 v167, v161, v167, s[0:1]
	v_cndmask_b32_e32 v169, v163, v169, vcc
	v_add_f64 v[166:167], v[166:167], v[168:169]
	v_mov_b32_e32 v170, s16
	s_add_i32 s16, s16, 1
	v_cmp_lt_f64_e32 vcc, v[164:165], v[166:167]
	v_add_u32_e32 v155, 16, v155
	s_cmp_lg_u32 s20, s16
	v_cndmask_b32_e32 v145, v145, v161, vcc
	v_cndmask_b32_e32 v144, v144, v160, vcc
	v_cndmask_b32_e32 v147, v147, v163, vcc
	v_cndmask_b32_e32 v146, v146, v162, vcc
	v_cndmask_b32_e32 v154, v154, v170, vcc
	s_cbranch_scc1 .LBB70_253
.LBB70_254:
	s_waitcnt lgkmcnt(0)
	v_cmp_eq_f64_e32 vcc, 0, v[144:145]
	v_cmp_eq_f64_e64 s[0:1], 0, v[146:147]
	s_and_b64 s[0:1], vcc, s[0:1]
	s_and_saveexec_b64 s[16:17], s[0:1]
	s_xor_b64 s[0:1], exec, s[16:17]
; %bb.255:
	v_cmp_ne_u32_e32 vcc, 0, v158
	s_nop 1
	v_cndmask_b32_e32 v158, 13, v158, vcc
; %bb.256:
	s_andn2_saveexec_b64 s[0:1], s[0:1]
	s_cbranch_execz .LBB70_262
; %bb.257:
	v_cmp_ngt_f64_e64 s[16:17], |v[144:145]|, |v[146:147]|
	s_and_saveexec_b64 s[18:19], s[16:17]
	s_xor_b64 s[16:17], exec, s[18:19]
	s_cbranch_execz .LBB70_259
; %bb.258:
	v_div_scale_f64 v[160:161], s[18:19], v[146:147], v[146:147], v[144:145]
	v_rcp_f64_e32 v[162:163], v[160:161]
	v_div_scale_f64 v[164:165], vcc, v[144:145], v[146:147], v[144:145]
	v_fma_f64 v[166:167], -v[160:161], v[162:163], 1.0
	v_fmac_f64_e32 v[162:163], v[162:163], v[166:167]
	v_fma_f64 v[166:167], -v[160:161], v[162:163], 1.0
	v_fmac_f64_e32 v[162:163], v[162:163], v[166:167]
	v_mul_f64 v[166:167], v[164:165], v[162:163]
	v_fma_f64 v[160:161], -v[160:161], v[166:167], v[164:165]
	v_div_fmas_f64 v[160:161], v[160:161], v[162:163], v[166:167]
	v_div_fixup_f64 v[160:161], v[160:161], v[146:147], v[144:145]
	v_fmac_f64_e32 v[146:147], v[144:145], v[160:161]
	v_div_scale_f64 v[144:145], s[18:19], v[146:147], v[146:147], 1.0
	v_rcp_f64_e32 v[162:163], v[144:145]
	s_nop 0
	v_fma_f64 v[164:165], -v[144:145], v[162:163], 1.0
	v_fmac_f64_e32 v[162:163], v[162:163], v[164:165]
	v_fma_f64 v[164:165], -v[144:145], v[162:163], 1.0
	v_fmac_f64_e32 v[162:163], v[162:163], v[164:165]
	v_div_scale_f64 v[164:165], vcc, 1.0, v[146:147], 1.0
	v_mul_f64 v[166:167], v[164:165], v[162:163]
	v_fma_f64 v[144:145], -v[144:145], v[166:167], v[164:165]
	s_nop 1
	v_div_fmas_f64 v[144:145], v[144:145], v[162:163], v[166:167]
	v_div_fixup_f64 v[146:147], v[144:145], v[146:147], 1.0
	v_mul_f64 v[144:145], v[160:161], v[146:147]
	v_xor_b32_e32 v147, 0x80000000, v147
.LBB70_259:
	s_andn2_saveexec_b64 s[16:17], s[16:17]
	s_cbranch_execz .LBB70_261
; %bb.260:
	v_div_scale_f64 v[160:161], s[18:19], v[144:145], v[144:145], v[146:147]
	v_rcp_f64_e32 v[162:163], v[160:161]
	v_div_scale_f64 v[164:165], vcc, v[146:147], v[144:145], v[146:147]
	v_fma_f64 v[166:167], -v[160:161], v[162:163], 1.0
	v_fmac_f64_e32 v[162:163], v[162:163], v[166:167]
	v_fma_f64 v[166:167], -v[160:161], v[162:163], 1.0
	v_fmac_f64_e32 v[162:163], v[162:163], v[166:167]
	v_mul_f64 v[166:167], v[164:165], v[162:163]
	v_fma_f64 v[160:161], -v[160:161], v[166:167], v[164:165]
	v_div_fmas_f64 v[160:161], v[160:161], v[162:163], v[166:167]
	v_div_fixup_f64 v[160:161], v[160:161], v[144:145], v[146:147]
	v_fmac_f64_e32 v[144:145], v[146:147], v[160:161]
	v_div_scale_f64 v[146:147], s[18:19], v[144:145], v[144:145], 1.0
	v_rcp_f64_e32 v[162:163], v[146:147]
	s_nop 0
	v_fma_f64 v[164:165], -v[146:147], v[162:163], 1.0
	v_fmac_f64_e32 v[162:163], v[162:163], v[164:165]
	v_fma_f64 v[164:165], -v[146:147], v[162:163], 1.0
	v_fmac_f64_e32 v[162:163], v[162:163], v[164:165]
	v_div_scale_f64 v[164:165], vcc, 1.0, v[144:145], 1.0
	v_mul_f64 v[166:167], v[164:165], v[162:163]
	v_fma_f64 v[146:147], -v[146:147], v[166:167], v[164:165]
	s_nop 1
	v_div_fmas_f64 v[146:147], v[146:147], v[162:163], v[166:167]
	v_div_fixup_f64 v[144:145], v[146:147], v[144:145], 1.0
	v_mul_f64 v[146:147], v[160:161], -v[144:145]
.LBB70_261:
	s_or_b64 exec, exec, s[16:17]
.LBB70_262:
	s_or_b64 exec, exec, s[0:1]
	v_cmp_ne_u32_e32 vcc, v157, v154
	s_and_saveexec_b64 s[0:1], vcc
	s_xor_b64 s[0:1], exec, s[0:1]
	s_cbranch_execz .LBB70_268
; %bb.263:
	v_cmp_eq_u32_e32 vcc, 12, v157
	s_and_saveexec_b64 s[16:17], vcc
	s_cbranch_execz .LBB70_267
; %bb.264:
	v_cmp_ne_u32_e32 vcc, 12, v154
	s_xor_b64 s[18:19], s[14:15], -1
	s_and_b64 s[22:23], s[18:19], vcc
	s_and_saveexec_b64 s[18:19], s[22:23]
	s_cbranch_execz .LBB70_266
; %bb.265:
	v_ashrrev_i32_e32 v155, 31, v154
	v_lshl_add_u64 v[160:161], v[154:155], 2, v[152:153]
	global_load_dword v155, v[160:161], off
	global_load_dword v157, v[152:153], off offset:48
	s_waitcnt vmcnt(1)
	global_store_dword v[152:153], v155, off offset:48
	s_waitcnt vmcnt(1)
	global_store_dword v[160:161], v157, off
.LBB70_266:
	s_or_b64 exec, exec, s[18:19]
	v_mov_b32_e32 v157, v154
	v_mov_b32_e32 v159, v154
.LBB70_267:
	s_or_b64 exec, exec, s[16:17]
.LBB70_268:
	s_andn2_saveexec_b64 s[0:1], s[0:1]
	s_cbranch_execz .LBB70_270
; %bb.269:
	v_mov_b32_e32 v157, 12
	s_waitcnt vmcnt(22)
	ds_write2_b64 v156, v[84:85], v[86:87] offset0:26 offset1:27
	s_waitcnt vmcnt(21)
	ds_write2_b64 v156, v[80:81], v[82:83] offset0:28 offset1:29
	;; [unrolled: 2-line block ×23, first 2 shown]
.LBB70_270:
	s_or_b64 exec, exec, s[0:1]
	v_cmp_lt_i32_e32 vcc, 12, v157
	s_waitcnt lgkmcnt(0)
	s_barrier
	s_and_saveexec_b64 s[0:1], vcc
	s_cbranch_execz .LBB70_272
; %bb.271:
	ds_read2_b64 v[160:163], v156 offset0:26 offset1:27
	v_mul_f64 v[154:155], v[146:147], v[98:99]
	v_mul_f64 v[98:99], v[144:145], v[98:99]
	v_fmac_f64_e32 v[98:99], v[146:147], v[96:97]
	v_fma_f64 v[154:155], v[144:145], v[96:97], -v[154:155]
	ds_read2_b64 v[144:147], v156 offset0:28 offset1:29
	s_waitcnt lgkmcnt(1)
	v_mul_f64 v[96:97], v[162:163], v[98:99]
	v_fma_f64 v[96:97], v[160:161], v[154:155], -v[96:97]
	v_mul_f64 v[160:161], v[160:161], v[98:99]
	v_fmac_f64_e32 v[160:161], v[162:163], v[154:155]
	s_waitcnt vmcnt(22)
	v_add_f64 v[86:87], v[86:87], -v[160:161]
	ds_read2_b64 v[160:163], v156 offset0:30 offset1:31
	v_add_f64 v[84:85], v[84:85], -v[96:97]
	s_waitcnt lgkmcnt(1)
	v_mul_f64 v[96:97], v[146:147], v[98:99]
	v_fma_f64 v[96:97], v[144:145], v[154:155], -v[96:97]
	v_mul_f64 v[144:145], v[144:145], v[98:99]
	v_fmac_f64_e32 v[144:145], v[146:147], v[154:155]
	s_waitcnt vmcnt(21)
	v_add_f64 v[80:81], v[80:81], -v[96:97]
	v_add_f64 v[82:83], v[82:83], -v[144:145]
	ds_read2_b64 v[144:147], v156 offset0:32 offset1:33
	s_waitcnt lgkmcnt(1)
	v_mul_f64 v[96:97], v[162:163], v[98:99]
	v_fma_f64 v[96:97], v[160:161], v[154:155], -v[96:97]
	v_mul_f64 v[160:161], v[160:161], v[98:99]
	v_fmac_f64_e32 v[160:161], v[162:163], v[154:155]
	s_waitcnt vmcnt(20)
	v_add_f64 v[78:79], v[78:79], -v[160:161]
	ds_read2_b64 v[160:163], v156 offset0:34 offset1:35
	v_add_f64 v[76:77], v[76:77], -v[96:97]
	s_waitcnt lgkmcnt(1)
	v_mul_f64 v[96:97], v[146:147], v[98:99]
	v_fma_f64 v[96:97], v[144:145], v[154:155], -v[96:97]
	v_mul_f64 v[144:145], v[144:145], v[98:99]
	v_fmac_f64_e32 v[144:145], v[146:147], v[154:155]
	s_waitcnt vmcnt(19)
	v_add_f64 v[72:73], v[72:73], -v[96:97]
	v_add_f64 v[74:75], v[74:75], -v[144:145]
	;; [unrolled: 18-line block ×11, first 2 shown]
	s_waitcnt lgkmcnt(0)
	v_mul_f64 v[96:97], v[162:163], v[98:99]
	v_mul_f64 v[144:145], v[160:161], v[98:99]
	v_fma_f64 v[96:97], v[160:161], v[154:155], -v[96:97]
	v_fmac_f64_e32 v[144:145], v[162:163], v[154:155]
	s_waitcnt vmcnt(0)
	v_add_f64 v[140:141], v[140:141], -v[96:97]
	v_add_f64 v[142:143], v[142:143], -v[144:145]
	v_mov_b64_e32 v[96:97], v[154:155]
.LBB70_272:
	s_or_b64 exec, exec, s[0:1]
	v_lshl_add_u32 v144, v157, 4, v156
	s_barrier
	s_waitcnt vmcnt(22)
	ds_write2_b64 v144, v[84:85], v[86:87] offset1:1
	s_waitcnt lgkmcnt(0)
	s_barrier
	ds_read2_b64 v[144:147], v156 offset0:26 offset1:27
	s_cmp_lt_i32 s20, 15
	v_mov_b32_e32 v154, 13
	s_cbranch_scc1 .LBB70_275
; %bb.273:
	v_add_u32_e32 v155, 0xe0, v156
	s_mov_b32 s16, 14
	v_mov_b32_e32 v154, 13
.LBB70_274:                             ; =>This Inner Loop Header: Depth=1
	ds_read2_b64 v[160:163], v155 offset1:1
	s_waitcnt lgkmcnt(1)
	v_xor_b32_e32 v165, 0x80000000, v145
	v_xor_b32_e32 v167, 0x80000000, v147
	v_cmp_gt_f64_e32 vcc, 0, v[146:147]
	v_cmp_gt_f64_e64 s[0:1], 0, v[144:145]
	v_mov_b32_e32 v164, v144
	v_mov_b32_e32 v166, v146
	v_cndmask_b32_e64 v165, v145, v165, s[0:1]
	v_cndmask_b32_e32 v167, v147, v167, vcc
	v_add_f64 v[164:165], v[164:165], v[166:167]
	s_waitcnt lgkmcnt(0)
	v_xor_b32_e32 v167, 0x80000000, v161
	v_xor_b32_e32 v169, 0x80000000, v163
	v_cmp_gt_f64_e32 vcc, 0, v[162:163]
	v_cmp_gt_f64_e64 s[0:1], 0, v[160:161]
	v_mov_b32_e32 v166, v160
	v_mov_b32_e32 v168, v162
	v_cndmask_b32_e64 v167, v161, v167, s[0:1]
	v_cndmask_b32_e32 v169, v163, v169, vcc
	v_add_f64 v[166:167], v[166:167], v[168:169]
	v_mov_b32_e32 v170, s16
	s_add_i32 s16, s16, 1
	v_cmp_lt_f64_e32 vcc, v[164:165], v[166:167]
	v_add_u32_e32 v155, 16, v155
	s_cmp_lg_u32 s20, s16
	v_cndmask_b32_e32 v145, v145, v161, vcc
	v_cndmask_b32_e32 v144, v144, v160, vcc
	v_cndmask_b32_e32 v147, v147, v163, vcc
	v_cndmask_b32_e32 v146, v146, v162, vcc
	v_cndmask_b32_e32 v154, v154, v170, vcc
	s_cbranch_scc1 .LBB70_274
.LBB70_275:
	s_waitcnt lgkmcnt(0)
	v_cmp_eq_f64_e32 vcc, 0, v[144:145]
	v_cmp_eq_f64_e64 s[0:1], 0, v[146:147]
	s_and_b64 s[0:1], vcc, s[0:1]
	s_and_saveexec_b64 s[16:17], s[0:1]
	s_xor_b64 s[0:1], exec, s[16:17]
; %bb.276:
	v_cmp_ne_u32_e32 vcc, 0, v158
	s_nop 1
	v_cndmask_b32_e32 v158, 14, v158, vcc
; %bb.277:
	s_andn2_saveexec_b64 s[0:1], s[0:1]
	s_cbranch_execz .LBB70_283
; %bb.278:
	v_cmp_ngt_f64_e64 s[16:17], |v[144:145]|, |v[146:147]|
	s_and_saveexec_b64 s[18:19], s[16:17]
	s_xor_b64 s[16:17], exec, s[18:19]
	s_cbranch_execz .LBB70_280
; %bb.279:
	v_div_scale_f64 v[160:161], s[18:19], v[146:147], v[146:147], v[144:145]
	v_rcp_f64_e32 v[162:163], v[160:161]
	v_div_scale_f64 v[164:165], vcc, v[144:145], v[146:147], v[144:145]
	v_fma_f64 v[166:167], -v[160:161], v[162:163], 1.0
	v_fmac_f64_e32 v[162:163], v[162:163], v[166:167]
	v_fma_f64 v[166:167], -v[160:161], v[162:163], 1.0
	v_fmac_f64_e32 v[162:163], v[162:163], v[166:167]
	v_mul_f64 v[166:167], v[164:165], v[162:163]
	v_fma_f64 v[160:161], -v[160:161], v[166:167], v[164:165]
	v_div_fmas_f64 v[160:161], v[160:161], v[162:163], v[166:167]
	v_div_fixup_f64 v[160:161], v[160:161], v[146:147], v[144:145]
	v_fmac_f64_e32 v[146:147], v[144:145], v[160:161]
	v_div_scale_f64 v[144:145], s[18:19], v[146:147], v[146:147], 1.0
	v_rcp_f64_e32 v[162:163], v[144:145]
	s_nop 0
	v_fma_f64 v[164:165], -v[144:145], v[162:163], 1.0
	v_fmac_f64_e32 v[162:163], v[162:163], v[164:165]
	v_fma_f64 v[164:165], -v[144:145], v[162:163], 1.0
	v_fmac_f64_e32 v[162:163], v[162:163], v[164:165]
	v_div_scale_f64 v[164:165], vcc, 1.0, v[146:147], 1.0
	v_mul_f64 v[166:167], v[164:165], v[162:163]
	v_fma_f64 v[144:145], -v[144:145], v[166:167], v[164:165]
	s_nop 1
	v_div_fmas_f64 v[144:145], v[144:145], v[162:163], v[166:167]
	v_div_fixup_f64 v[146:147], v[144:145], v[146:147], 1.0
	v_mul_f64 v[144:145], v[160:161], v[146:147]
	v_xor_b32_e32 v147, 0x80000000, v147
.LBB70_280:
	s_andn2_saveexec_b64 s[16:17], s[16:17]
	s_cbranch_execz .LBB70_282
; %bb.281:
	v_div_scale_f64 v[160:161], s[18:19], v[144:145], v[144:145], v[146:147]
	v_rcp_f64_e32 v[162:163], v[160:161]
	v_div_scale_f64 v[164:165], vcc, v[146:147], v[144:145], v[146:147]
	v_fma_f64 v[166:167], -v[160:161], v[162:163], 1.0
	v_fmac_f64_e32 v[162:163], v[162:163], v[166:167]
	v_fma_f64 v[166:167], -v[160:161], v[162:163], 1.0
	v_fmac_f64_e32 v[162:163], v[162:163], v[166:167]
	v_mul_f64 v[166:167], v[164:165], v[162:163]
	v_fma_f64 v[160:161], -v[160:161], v[166:167], v[164:165]
	v_div_fmas_f64 v[160:161], v[160:161], v[162:163], v[166:167]
	v_div_fixup_f64 v[160:161], v[160:161], v[144:145], v[146:147]
	v_fmac_f64_e32 v[144:145], v[146:147], v[160:161]
	v_div_scale_f64 v[146:147], s[18:19], v[144:145], v[144:145], 1.0
	v_rcp_f64_e32 v[162:163], v[146:147]
	s_nop 0
	v_fma_f64 v[164:165], -v[146:147], v[162:163], 1.0
	v_fmac_f64_e32 v[162:163], v[162:163], v[164:165]
	v_fma_f64 v[164:165], -v[146:147], v[162:163], 1.0
	v_fmac_f64_e32 v[162:163], v[162:163], v[164:165]
	v_div_scale_f64 v[164:165], vcc, 1.0, v[144:145], 1.0
	v_mul_f64 v[166:167], v[164:165], v[162:163]
	v_fma_f64 v[146:147], -v[146:147], v[166:167], v[164:165]
	s_nop 1
	v_div_fmas_f64 v[146:147], v[146:147], v[162:163], v[166:167]
	v_div_fixup_f64 v[144:145], v[146:147], v[144:145], 1.0
	v_mul_f64 v[146:147], v[160:161], -v[144:145]
.LBB70_282:
	s_or_b64 exec, exec, s[16:17]
.LBB70_283:
	s_or_b64 exec, exec, s[0:1]
	v_cmp_ne_u32_e32 vcc, v157, v154
	s_and_saveexec_b64 s[0:1], vcc
	s_xor_b64 s[0:1], exec, s[0:1]
	s_cbranch_execz .LBB70_289
; %bb.284:
	v_cmp_eq_u32_e32 vcc, 13, v157
	s_and_saveexec_b64 s[16:17], vcc
	s_cbranch_execz .LBB70_288
; %bb.285:
	v_cmp_ne_u32_e32 vcc, 13, v154
	s_xor_b64 s[18:19], s[14:15], -1
	s_and_b64 s[22:23], s[18:19], vcc
	s_and_saveexec_b64 s[18:19], s[22:23]
	s_cbranch_execz .LBB70_287
; %bb.286:
	v_ashrrev_i32_e32 v155, 31, v154
	v_lshl_add_u64 v[160:161], v[154:155], 2, v[152:153]
	global_load_dword v155, v[160:161], off
	global_load_dword v157, v[152:153], off offset:52
	s_waitcnt vmcnt(1)
	global_store_dword v[152:153], v155, off offset:52
	s_waitcnt vmcnt(1)
	global_store_dword v[160:161], v157, off
.LBB70_287:
	s_or_b64 exec, exec, s[18:19]
	v_mov_b32_e32 v157, v154
	v_mov_b32_e32 v159, v154
.LBB70_288:
	s_or_b64 exec, exec, s[16:17]
.LBB70_289:
	s_andn2_saveexec_b64 s[0:1], s[0:1]
	s_cbranch_execz .LBB70_291
; %bb.290:
	v_mov_b32_e32 v157, 13
	s_waitcnt vmcnt(21)
	ds_write2_b64 v156, v[80:81], v[82:83] offset0:28 offset1:29
	s_waitcnt vmcnt(20)
	ds_write2_b64 v156, v[76:77], v[78:79] offset0:30 offset1:31
	s_waitcnt vmcnt(19)
	ds_write2_b64 v156, v[72:73], v[74:75] offset0:32 offset1:33
	s_waitcnt vmcnt(18)
	ds_write2_b64 v156, v[68:69], v[70:71] offset0:34 offset1:35
	s_waitcnt vmcnt(17)
	ds_write2_b64 v156, v[64:65], v[66:67] offset0:36 offset1:37
	s_waitcnt vmcnt(16)
	ds_write2_b64 v156, v[60:61], v[62:63] offset0:38 offset1:39
	s_waitcnt vmcnt(15)
	ds_write2_b64 v156, v[56:57], v[58:59] offset0:40 offset1:41
	s_waitcnt vmcnt(14)
	ds_write2_b64 v156, v[52:53], v[54:55] offset0:42 offset1:43
	s_waitcnt vmcnt(13)
	ds_write2_b64 v156, v[48:49], v[50:51] offset0:44 offset1:45
	s_waitcnt vmcnt(12)
	ds_write2_b64 v156, v[44:45], v[46:47] offset0:46 offset1:47
	s_waitcnt vmcnt(11)
	ds_write2_b64 v156, v[40:41], v[42:43] offset0:48 offset1:49
	s_waitcnt vmcnt(10)
	ds_write2_b64 v156, v[36:37], v[38:39] offset0:50 offset1:51
	s_waitcnt vmcnt(9)
	ds_write2_b64 v156, v[32:33], v[34:35] offset0:52 offset1:53
	s_waitcnt vmcnt(8)
	ds_write2_b64 v156, v[28:29], v[30:31] offset0:54 offset1:55
	s_waitcnt vmcnt(7)
	ds_write2_b64 v156, v[24:25], v[26:27] offset0:56 offset1:57
	s_waitcnt vmcnt(6)
	ds_write2_b64 v156, v[20:21], v[22:23] offset0:58 offset1:59
	s_waitcnt vmcnt(5)
	ds_write2_b64 v156, v[16:17], v[18:19] offset0:60 offset1:61
	s_waitcnt vmcnt(4)
	ds_write2_b64 v156, v[12:13], v[14:15] offset0:62 offset1:63
	s_waitcnt vmcnt(3)
	ds_write2_b64 v156, v[8:9], v[10:11] offset0:64 offset1:65
	s_waitcnt vmcnt(2)
	ds_write2_b64 v156, v[4:5], v[6:7] offset0:66 offset1:67
	s_waitcnt vmcnt(1)
	ds_write2_b64 v156, v[0:1], v[2:3] offset0:68 offset1:69
	s_waitcnt vmcnt(0)
	ds_write2_b64 v156, v[140:141], v[142:143] offset0:70 offset1:71
.LBB70_291:
	s_or_b64 exec, exec, s[0:1]
	v_cmp_lt_i32_e32 vcc, 13, v157
	s_waitcnt lgkmcnt(0)
	s_barrier
	s_and_saveexec_b64 s[0:1], vcc
	s_cbranch_execz .LBB70_293
; %bb.292:
	ds_read2_b64 v[160:163], v156 offset0:28 offset1:29
	v_mul_f64 v[154:155], v[146:147], v[86:87]
	v_mul_f64 v[86:87], v[144:145], v[86:87]
	v_fma_f64 v[154:155], v[144:145], v[84:85], -v[154:155]
	v_fmac_f64_e32 v[86:87], v[146:147], v[84:85]
	ds_read2_b64 v[144:147], v156 offset0:30 offset1:31
	s_waitcnt lgkmcnt(1)
	v_mul_f64 v[84:85], v[162:163], v[86:87]
	v_fma_f64 v[84:85], v[160:161], v[154:155], -v[84:85]
	v_mul_f64 v[160:161], v[160:161], v[86:87]
	v_fmac_f64_e32 v[160:161], v[162:163], v[154:155]
	s_waitcnt vmcnt(21)
	v_add_f64 v[80:81], v[80:81], -v[84:85]
	s_waitcnt lgkmcnt(0)
	v_mul_f64 v[84:85], v[146:147], v[86:87]
	v_add_f64 v[82:83], v[82:83], -v[160:161]
	v_fma_f64 v[84:85], v[144:145], v[154:155], -v[84:85]
	v_mul_f64 v[144:145], v[144:145], v[86:87]
	ds_read2_b64 v[160:163], v156 offset0:32 offset1:33
	v_fmac_f64_e32 v[144:145], v[146:147], v[154:155]
	s_waitcnt vmcnt(20)
	v_add_f64 v[78:79], v[78:79], -v[144:145]
	ds_read2_b64 v[144:147], v156 offset0:34 offset1:35
	v_add_f64 v[76:77], v[76:77], -v[84:85]
	s_waitcnt lgkmcnt(1)
	v_mul_f64 v[84:85], v[162:163], v[86:87]
	v_fma_f64 v[84:85], v[160:161], v[154:155], -v[84:85]
	v_mul_f64 v[160:161], v[160:161], v[86:87]
	v_fmac_f64_e32 v[160:161], v[162:163], v[154:155]
	s_waitcnt vmcnt(19)
	v_add_f64 v[72:73], v[72:73], -v[84:85]
	s_waitcnt lgkmcnt(0)
	v_mul_f64 v[84:85], v[146:147], v[86:87]
	v_add_f64 v[74:75], v[74:75], -v[160:161]
	v_fma_f64 v[84:85], v[144:145], v[154:155], -v[84:85]
	v_mul_f64 v[144:145], v[144:145], v[86:87]
	ds_read2_b64 v[160:163], v156 offset0:36 offset1:37
	v_fmac_f64_e32 v[144:145], v[146:147], v[154:155]
	s_waitcnt vmcnt(18)
	v_add_f64 v[70:71], v[70:71], -v[144:145]
	ds_read2_b64 v[144:147], v156 offset0:38 offset1:39
	v_add_f64 v[68:69], v[68:69], -v[84:85]
	;; [unrolled: 18-line block ×10, first 2 shown]
	s_waitcnt lgkmcnt(1)
	v_mul_f64 v[84:85], v[162:163], v[86:87]
	v_fma_f64 v[84:85], v[160:161], v[154:155], -v[84:85]
	s_waitcnt vmcnt(1)
	v_add_f64 v[0:1], v[0:1], -v[84:85]
	s_waitcnt lgkmcnt(0)
	v_mul_f64 v[84:85], v[146:147], v[86:87]
	v_mul_f64 v[160:161], v[160:161], v[86:87]
	v_fma_f64 v[84:85], v[144:145], v[154:155], -v[84:85]
	v_mul_f64 v[144:145], v[144:145], v[86:87]
	v_fmac_f64_e32 v[160:161], v[162:163], v[154:155]
	v_fmac_f64_e32 v[144:145], v[146:147], v[154:155]
	v_add_f64 v[2:3], v[2:3], -v[160:161]
	s_waitcnt vmcnt(0)
	v_add_f64 v[140:141], v[140:141], -v[84:85]
	v_add_f64 v[142:143], v[142:143], -v[144:145]
	v_mov_b64_e32 v[84:85], v[154:155]
.LBB70_293:
	s_or_b64 exec, exec, s[0:1]
	v_lshl_add_u32 v144, v157, 4, v156
	s_barrier
	s_waitcnt vmcnt(21)
	ds_write2_b64 v144, v[80:81], v[82:83] offset1:1
	s_waitcnt lgkmcnt(0)
	s_barrier
	ds_read2_b64 v[144:147], v156 offset0:28 offset1:29
	s_cmp_lt_i32 s20, 16
	v_mov_b32_e32 v154, 14
	s_cbranch_scc1 .LBB70_296
; %bb.294:
	v_add_u32_e32 v155, 0xf0, v156
	s_mov_b32 s16, 15
	v_mov_b32_e32 v154, 14
.LBB70_295:                             ; =>This Inner Loop Header: Depth=1
	ds_read2_b64 v[160:163], v155 offset1:1
	s_waitcnt lgkmcnt(1)
	v_xor_b32_e32 v165, 0x80000000, v145
	v_xor_b32_e32 v167, 0x80000000, v147
	v_cmp_gt_f64_e32 vcc, 0, v[146:147]
	v_cmp_gt_f64_e64 s[0:1], 0, v[144:145]
	v_mov_b32_e32 v164, v144
	v_mov_b32_e32 v166, v146
	v_cndmask_b32_e64 v165, v145, v165, s[0:1]
	v_cndmask_b32_e32 v167, v147, v167, vcc
	v_add_f64 v[164:165], v[164:165], v[166:167]
	s_waitcnt lgkmcnt(0)
	v_xor_b32_e32 v167, 0x80000000, v161
	v_xor_b32_e32 v169, 0x80000000, v163
	v_cmp_gt_f64_e32 vcc, 0, v[162:163]
	v_cmp_gt_f64_e64 s[0:1], 0, v[160:161]
	v_mov_b32_e32 v166, v160
	v_mov_b32_e32 v168, v162
	v_cndmask_b32_e64 v167, v161, v167, s[0:1]
	v_cndmask_b32_e32 v169, v163, v169, vcc
	v_add_f64 v[166:167], v[166:167], v[168:169]
	v_mov_b32_e32 v170, s16
	s_add_i32 s16, s16, 1
	v_cmp_lt_f64_e32 vcc, v[164:165], v[166:167]
	v_add_u32_e32 v155, 16, v155
	s_cmp_lg_u32 s20, s16
	v_cndmask_b32_e32 v145, v145, v161, vcc
	v_cndmask_b32_e32 v144, v144, v160, vcc
	;; [unrolled: 1-line block ×5, first 2 shown]
	s_cbranch_scc1 .LBB70_295
.LBB70_296:
	s_waitcnt lgkmcnt(0)
	v_cmp_eq_f64_e32 vcc, 0, v[144:145]
	v_cmp_eq_f64_e64 s[0:1], 0, v[146:147]
	s_and_b64 s[0:1], vcc, s[0:1]
	s_and_saveexec_b64 s[16:17], s[0:1]
	s_xor_b64 s[0:1], exec, s[16:17]
; %bb.297:
	v_cmp_ne_u32_e32 vcc, 0, v158
	s_nop 1
	v_cndmask_b32_e32 v158, 15, v158, vcc
; %bb.298:
	s_andn2_saveexec_b64 s[0:1], s[0:1]
	s_cbranch_execz .LBB70_304
; %bb.299:
	v_cmp_ngt_f64_e64 s[16:17], |v[144:145]|, |v[146:147]|
	s_and_saveexec_b64 s[18:19], s[16:17]
	s_xor_b64 s[16:17], exec, s[18:19]
	s_cbranch_execz .LBB70_301
; %bb.300:
	v_div_scale_f64 v[160:161], s[18:19], v[146:147], v[146:147], v[144:145]
	v_rcp_f64_e32 v[162:163], v[160:161]
	v_div_scale_f64 v[164:165], vcc, v[144:145], v[146:147], v[144:145]
	v_fma_f64 v[166:167], -v[160:161], v[162:163], 1.0
	v_fmac_f64_e32 v[162:163], v[162:163], v[166:167]
	v_fma_f64 v[166:167], -v[160:161], v[162:163], 1.0
	v_fmac_f64_e32 v[162:163], v[162:163], v[166:167]
	v_mul_f64 v[166:167], v[164:165], v[162:163]
	v_fma_f64 v[160:161], -v[160:161], v[166:167], v[164:165]
	v_div_fmas_f64 v[160:161], v[160:161], v[162:163], v[166:167]
	v_div_fixup_f64 v[160:161], v[160:161], v[146:147], v[144:145]
	v_fmac_f64_e32 v[146:147], v[144:145], v[160:161]
	v_div_scale_f64 v[144:145], s[18:19], v[146:147], v[146:147], 1.0
	v_rcp_f64_e32 v[162:163], v[144:145]
	s_nop 0
	v_fma_f64 v[164:165], -v[144:145], v[162:163], 1.0
	v_fmac_f64_e32 v[162:163], v[162:163], v[164:165]
	v_fma_f64 v[164:165], -v[144:145], v[162:163], 1.0
	v_fmac_f64_e32 v[162:163], v[162:163], v[164:165]
	v_div_scale_f64 v[164:165], vcc, 1.0, v[146:147], 1.0
	v_mul_f64 v[166:167], v[164:165], v[162:163]
	v_fma_f64 v[144:145], -v[144:145], v[166:167], v[164:165]
	s_nop 1
	v_div_fmas_f64 v[144:145], v[144:145], v[162:163], v[166:167]
	v_div_fixup_f64 v[146:147], v[144:145], v[146:147], 1.0
	v_mul_f64 v[144:145], v[160:161], v[146:147]
	v_xor_b32_e32 v147, 0x80000000, v147
.LBB70_301:
	s_andn2_saveexec_b64 s[16:17], s[16:17]
	s_cbranch_execz .LBB70_303
; %bb.302:
	v_div_scale_f64 v[160:161], s[18:19], v[144:145], v[144:145], v[146:147]
	v_rcp_f64_e32 v[162:163], v[160:161]
	v_div_scale_f64 v[164:165], vcc, v[146:147], v[144:145], v[146:147]
	v_fma_f64 v[166:167], -v[160:161], v[162:163], 1.0
	v_fmac_f64_e32 v[162:163], v[162:163], v[166:167]
	v_fma_f64 v[166:167], -v[160:161], v[162:163], 1.0
	v_fmac_f64_e32 v[162:163], v[162:163], v[166:167]
	v_mul_f64 v[166:167], v[164:165], v[162:163]
	v_fma_f64 v[160:161], -v[160:161], v[166:167], v[164:165]
	v_div_fmas_f64 v[160:161], v[160:161], v[162:163], v[166:167]
	v_div_fixup_f64 v[160:161], v[160:161], v[144:145], v[146:147]
	v_fmac_f64_e32 v[144:145], v[146:147], v[160:161]
	v_div_scale_f64 v[146:147], s[18:19], v[144:145], v[144:145], 1.0
	v_rcp_f64_e32 v[162:163], v[146:147]
	s_nop 0
	v_fma_f64 v[164:165], -v[146:147], v[162:163], 1.0
	v_fmac_f64_e32 v[162:163], v[162:163], v[164:165]
	v_fma_f64 v[164:165], -v[146:147], v[162:163], 1.0
	v_fmac_f64_e32 v[162:163], v[162:163], v[164:165]
	v_div_scale_f64 v[164:165], vcc, 1.0, v[144:145], 1.0
	v_mul_f64 v[166:167], v[164:165], v[162:163]
	v_fma_f64 v[146:147], -v[146:147], v[166:167], v[164:165]
	s_nop 1
	v_div_fmas_f64 v[146:147], v[146:147], v[162:163], v[166:167]
	v_div_fixup_f64 v[144:145], v[146:147], v[144:145], 1.0
	v_mul_f64 v[146:147], v[160:161], -v[144:145]
.LBB70_303:
	s_or_b64 exec, exec, s[16:17]
.LBB70_304:
	s_or_b64 exec, exec, s[0:1]
	v_cmp_ne_u32_e32 vcc, v157, v154
	s_and_saveexec_b64 s[0:1], vcc
	s_xor_b64 s[0:1], exec, s[0:1]
	s_cbranch_execz .LBB70_310
; %bb.305:
	v_cmp_eq_u32_e32 vcc, 14, v157
	s_and_saveexec_b64 s[16:17], vcc
	s_cbranch_execz .LBB70_309
; %bb.306:
	v_cmp_ne_u32_e32 vcc, 14, v154
	s_xor_b64 s[18:19], s[14:15], -1
	s_and_b64 s[22:23], s[18:19], vcc
	s_and_saveexec_b64 s[18:19], s[22:23]
	s_cbranch_execz .LBB70_308
; %bb.307:
	v_ashrrev_i32_e32 v155, 31, v154
	v_lshl_add_u64 v[160:161], v[154:155], 2, v[152:153]
	global_load_dword v155, v[160:161], off
	global_load_dword v157, v[152:153], off offset:56
	s_waitcnt vmcnt(1)
	global_store_dword v[152:153], v155, off offset:56
	s_waitcnt vmcnt(1)
	global_store_dword v[160:161], v157, off
.LBB70_308:
	s_or_b64 exec, exec, s[18:19]
	v_mov_b32_e32 v157, v154
	v_mov_b32_e32 v159, v154
.LBB70_309:
	s_or_b64 exec, exec, s[16:17]
.LBB70_310:
	s_andn2_saveexec_b64 s[0:1], s[0:1]
	s_cbranch_execz .LBB70_312
; %bb.311:
	v_mov_b32_e32 v157, 14
	s_waitcnt vmcnt(20)
	ds_write2_b64 v156, v[76:77], v[78:79] offset0:30 offset1:31
	s_waitcnt vmcnt(19)
	ds_write2_b64 v156, v[72:73], v[74:75] offset0:32 offset1:33
	;; [unrolled: 2-line block ×21, first 2 shown]
.LBB70_312:
	s_or_b64 exec, exec, s[0:1]
	v_cmp_lt_i32_e32 vcc, 14, v157
	s_waitcnt lgkmcnt(0)
	s_barrier
	s_and_saveexec_b64 s[0:1], vcc
	s_cbranch_execz .LBB70_314
; %bb.313:
	ds_read2_b64 v[160:163], v156 offset0:30 offset1:31
	v_mul_f64 v[154:155], v[146:147], v[82:83]
	v_mul_f64 v[82:83], v[144:145], v[82:83]
	v_fmac_f64_e32 v[82:83], v[146:147], v[80:81]
	v_fma_f64 v[154:155], v[144:145], v[80:81], -v[154:155]
	ds_read2_b64 v[144:147], v156 offset0:32 offset1:33
	s_waitcnt lgkmcnt(1)
	v_mul_f64 v[80:81], v[162:163], v[82:83]
	v_fma_f64 v[80:81], v[160:161], v[154:155], -v[80:81]
	v_mul_f64 v[160:161], v[160:161], v[82:83]
	v_fmac_f64_e32 v[160:161], v[162:163], v[154:155]
	s_waitcnt vmcnt(20)
	v_add_f64 v[78:79], v[78:79], -v[160:161]
	ds_read2_b64 v[160:163], v156 offset0:34 offset1:35
	v_add_f64 v[76:77], v[76:77], -v[80:81]
	s_waitcnt lgkmcnt(1)
	v_mul_f64 v[80:81], v[146:147], v[82:83]
	v_fma_f64 v[80:81], v[144:145], v[154:155], -v[80:81]
	v_mul_f64 v[144:145], v[144:145], v[82:83]
	v_fmac_f64_e32 v[144:145], v[146:147], v[154:155]
	s_waitcnt vmcnt(19)
	v_add_f64 v[72:73], v[72:73], -v[80:81]
	v_add_f64 v[74:75], v[74:75], -v[144:145]
	ds_read2_b64 v[144:147], v156 offset0:36 offset1:37
	s_waitcnt lgkmcnt(1)
	v_mul_f64 v[80:81], v[162:163], v[82:83]
	v_fma_f64 v[80:81], v[160:161], v[154:155], -v[80:81]
	v_mul_f64 v[160:161], v[160:161], v[82:83]
	v_fmac_f64_e32 v[160:161], v[162:163], v[154:155]
	s_waitcnt vmcnt(18)
	v_add_f64 v[70:71], v[70:71], -v[160:161]
	ds_read2_b64 v[160:163], v156 offset0:38 offset1:39
	v_add_f64 v[68:69], v[68:69], -v[80:81]
	s_waitcnt lgkmcnt(1)
	v_mul_f64 v[80:81], v[146:147], v[82:83]
	v_fma_f64 v[80:81], v[144:145], v[154:155], -v[80:81]
	v_mul_f64 v[144:145], v[144:145], v[82:83]
	v_fmac_f64_e32 v[144:145], v[146:147], v[154:155]
	s_waitcnt vmcnt(17)
	v_add_f64 v[64:65], v[64:65], -v[80:81]
	v_add_f64 v[66:67], v[66:67], -v[144:145]
	;; [unrolled: 18-line block ×10, first 2 shown]
	s_waitcnt lgkmcnt(0)
	v_mul_f64 v[80:81], v[162:163], v[82:83]
	v_mul_f64 v[144:145], v[160:161], v[82:83]
	v_fma_f64 v[80:81], v[160:161], v[154:155], -v[80:81]
	v_fmac_f64_e32 v[144:145], v[162:163], v[154:155]
	s_waitcnt vmcnt(0)
	v_add_f64 v[140:141], v[140:141], -v[80:81]
	v_add_f64 v[142:143], v[142:143], -v[144:145]
	v_mov_b64_e32 v[80:81], v[154:155]
.LBB70_314:
	s_or_b64 exec, exec, s[0:1]
	v_lshl_add_u32 v144, v157, 4, v156
	s_barrier
	s_waitcnt vmcnt(20)
	ds_write2_b64 v144, v[76:77], v[78:79] offset1:1
	s_waitcnt lgkmcnt(0)
	s_barrier
	ds_read2_b64 v[144:147], v156 offset0:30 offset1:31
	s_cmp_lt_i32 s20, 17
	v_mov_b32_e32 v154, 15
	s_cbranch_scc1 .LBB70_317
; %bb.315:
	v_add_u32_e32 v155, 0x100, v156
	s_mov_b32 s16, 16
	v_mov_b32_e32 v154, 15
.LBB70_316:                             ; =>This Inner Loop Header: Depth=1
	ds_read2_b64 v[160:163], v155 offset1:1
	s_waitcnt lgkmcnt(1)
	v_xor_b32_e32 v165, 0x80000000, v145
	v_xor_b32_e32 v167, 0x80000000, v147
	v_cmp_gt_f64_e32 vcc, 0, v[146:147]
	v_cmp_gt_f64_e64 s[0:1], 0, v[144:145]
	v_mov_b32_e32 v164, v144
	v_mov_b32_e32 v166, v146
	v_cndmask_b32_e64 v165, v145, v165, s[0:1]
	v_cndmask_b32_e32 v167, v147, v167, vcc
	v_add_f64 v[164:165], v[164:165], v[166:167]
	s_waitcnt lgkmcnt(0)
	v_xor_b32_e32 v167, 0x80000000, v161
	v_xor_b32_e32 v169, 0x80000000, v163
	v_cmp_gt_f64_e32 vcc, 0, v[162:163]
	v_cmp_gt_f64_e64 s[0:1], 0, v[160:161]
	v_mov_b32_e32 v166, v160
	v_mov_b32_e32 v168, v162
	v_cndmask_b32_e64 v167, v161, v167, s[0:1]
	v_cndmask_b32_e32 v169, v163, v169, vcc
	v_add_f64 v[166:167], v[166:167], v[168:169]
	v_mov_b32_e32 v170, s16
	s_add_i32 s16, s16, 1
	v_cmp_lt_f64_e32 vcc, v[164:165], v[166:167]
	v_add_u32_e32 v155, 16, v155
	s_cmp_lg_u32 s20, s16
	v_cndmask_b32_e32 v145, v145, v161, vcc
	v_cndmask_b32_e32 v144, v144, v160, vcc
	v_cndmask_b32_e32 v147, v147, v163, vcc
	v_cndmask_b32_e32 v146, v146, v162, vcc
	v_cndmask_b32_e32 v154, v154, v170, vcc
	s_cbranch_scc1 .LBB70_316
.LBB70_317:
	s_waitcnt lgkmcnt(0)
	v_cmp_eq_f64_e32 vcc, 0, v[144:145]
	v_cmp_eq_f64_e64 s[0:1], 0, v[146:147]
	s_and_b64 s[0:1], vcc, s[0:1]
	s_and_saveexec_b64 s[16:17], s[0:1]
	s_xor_b64 s[0:1], exec, s[16:17]
; %bb.318:
	v_cmp_ne_u32_e32 vcc, 0, v158
	s_nop 1
	v_cndmask_b32_e32 v158, 16, v158, vcc
; %bb.319:
	s_andn2_saveexec_b64 s[0:1], s[0:1]
	s_cbranch_execz .LBB70_325
; %bb.320:
	v_cmp_ngt_f64_e64 s[16:17], |v[144:145]|, |v[146:147]|
	s_and_saveexec_b64 s[18:19], s[16:17]
	s_xor_b64 s[16:17], exec, s[18:19]
	s_cbranch_execz .LBB70_322
; %bb.321:
	v_div_scale_f64 v[160:161], s[18:19], v[146:147], v[146:147], v[144:145]
	v_rcp_f64_e32 v[162:163], v[160:161]
	v_div_scale_f64 v[164:165], vcc, v[144:145], v[146:147], v[144:145]
	v_fma_f64 v[166:167], -v[160:161], v[162:163], 1.0
	v_fmac_f64_e32 v[162:163], v[162:163], v[166:167]
	v_fma_f64 v[166:167], -v[160:161], v[162:163], 1.0
	v_fmac_f64_e32 v[162:163], v[162:163], v[166:167]
	v_mul_f64 v[166:167], v[164:165], v[162:163]
	v_fma_f64 v[160:161], -v[160:161], v[166:167], v[164:165]
	v_div_fmas_f64 v[160:161], v[160:161], v[162:163], v[166:167]
	v_div_fixup_f64 v[160:161], v[160:161], v[146:147], v[144:145]
	v_fmac_f64_e32 v[146:147], v[144:145], v[160:161]
	v_div_scale_f64 v[144:145], s[18:19], v[146:147], v[146:147], 1.0
	v_rcp_f64_e32 v[162:163], v[144:145]
	s_nop 0
	v_fma_f64 v[164:165], -v[144:145], v[162:163], 1.0
	v_fmac_f64_e32 v[162:163], v[162:163], v[164:165]
	v_fma_f64 v[164:165], -v[144:145], v[162:163], 1.0
	v_fmac_f64_e32 v[162:163], v[162:163], v[164:165]
	v_div_scale_f64 v[164:165], vcc, 1.0, v[146:147], 1.0
	v_mul_f64 v[166:167], v[164:165], v[162:163]
	v_fma_f64 v[144:145], -v[144:145], v[166:167], v[164:165]
	s_nop 1
	v_div_fmas_f64 v[144:145], v[144:145], v[162:163], v[166:167]
	v_div_fixup_f64 v[146:147], v[144:145], v[146:147], 1.0
	v_mul_f64 v[144:145], v[160:161], v[146:147]
	v_xor_b32_e32 v147, 0x80000000, v147
.LBB70_322:
	s_andn2_saveexec_b64 s[16:17], s[16:17]
	s_cbranch_execz .LBB70_324
; %bb.323:
	v_div_scale_f64 v[160:161], s[18:19], v[144:145], v[144:145], v[146:147]
	v_rcp_f64_e32 v[162:163], v[160:161]
	v_div_scale_f64 v[164:165], vcc, v[146:147], v[144:145], v[146:147]
	v_fma_f64 v[166:167], -v[160:161], v[162:163], 1.0
	v_fmac_f64_e32 v[162:163], v[162:163], v[166:167]
	v_fma_f64 v[166:167], -v[160:161], v[162:163], 1.0
	v_fmac_f64_e32 v[162:163], v[162:163], v[166:167]
	v_mul_f64 v[166:167], v[164:165], v[162:163]
	v_fma_f64 v[160:161], -v[160:161], v[166:167], v[164:165]
	v_div_fmas_f64 v[160:161], v[160:161], v[162:163], v[166:167]
	v_div_fixup_f64 v[160:161], v[160:161], v[144:145], v[146:147]
	v_fmac_f64_e32 v[144:145], v[146:147], v[160:161]
	v_div_scale_f64 v[146:147], s[18:19], v[144:145], v[144:145], 1.0
	v_rcp_f64_e32 v[162:163], v[146:147]
	s_nop 0
	v_fma_f64 v[164:165], -v[146:147], v[162:163], 1.0
	v_fmac_f64_e32 v[162:163], v[162:163], v[164:165]
	v_fma_f64 v[164:165], -v[146:147], v[162:163], 1.0
	v_fmac_f64_e32 v[162:163], v[162:163], v[164:165]
	v_div_scale_f64 v[164:165], vcc, 1.0, v[144:145], 1.0
	v_mul_f64 v[166:167], v[164:165], v[162:163]
	v_fma_f64 v[146:147], -v[146:147], v[166:167], v[164:165]
	s_nop 1
	v_div_fmas_f64 v[146:147], v[146:147], v[162:163], v[166:167]
	v_div_fixup_f64 v[144:145], v[146:147], v[144:145], 1.0
	v_mul_f64 v[146:147], v[160:161], -v[144:145]
.LBB70_324:
	s_or_b64 exec, exec, s[16:17]
.LBB70_325:
	s_or_b64 exec, exec, s[0:1]
	v_cmp_ne_u32_e32 vcc, v157, v154
	s_and_saveexec_b64 s[0:1], vcc
	s_xor_b64 s[0:1], exec, s[0:1]
	s_cbranch_execz .LBB70_331
; %bb.326:
	v_cmp_eq_u32_e32 vcc, 15, v157
	s_and_saveexec_b64 s[16:17], vcc
	s_cbranch_execz .LBB70_330
; %bb.327:
	v_cmp_ne_u32_e32 vcc, 15, v154
	s_xor_b64 s[18:19], s[14:15], -1
	s_and_b64 s[22:23], s[18:19], vcc
	s_and_saveexec_b64 s[18:19], s[22:23]
	s_cbranch_execz .LBB70_329
; %bb.328:
	v_ashrrev_i32_e32 v155, 31, v154
	v_lshl_add_u64 v[160:161], v[154:155], 2, v[152:153]
	global_load_dword v155, v[160:161], off
	global_load_dword v157, v[152:153], off offset:60
	s_waitcnt vmcnt(1)
	global_store_dword v[152:153], v155, off offset:60
	s_waitcnt vmcnt(1)
	global_store_dword v[160:161], v157, off
.LBB70_329:
	s_or_b64 exec, exec, s[18:19]
	v_mov_b32_e32 v157, v154
	v_mov_b32_e32 v159, v154
.LBB70_330:
	s_or_b64 exec, exec, s[16:17]
.LBB70_331:
	s_andn2_saveexec_b64 s[0:1], s[0:1]
	s_cbranch_execz .LBB70_333
; %bb.332:
	v_mov_b32_e32 v157, 15
	s_waitcnt vmcnt(19)
	ds_write2_b64 v156, v[72:73], v[74:75] offset0:32 offset1:33
	s_waitcnt vmcnt(18)
	ds_write2_b64 v156, v[68:69], v[70:71] offset0:34 offset1:35
	;; [unrolled: 2-line block ×20, first 2 shown]
.LBB70_333:
	s_or_b64 exec, exec, s[0:1]
	v_cmp_lt_i32_e32 vcc, 15, v157
	s_waitcnt lgkmcnt(0)
	s_barrier
	s_and_saveexec_b64 s[0:1], vcc
	s_cbranch_execz .LBB70_335
; %bb.334:
	ds_read2_b64 v[160:163], v156 offset0:32 offset1:33
	v_mul_f64 v[154:155], v[146:147], v[78:79]
	v_mul_f64 v[78:79], v[144:145], v[78:79]
	v_fma_f64 v[154:155], v[144:145], v[76:77], -v[154:155]
	v_fmac_f64_e32 v[78:79], v[146:147], v[76:77]
	ds_read2_b64 v[144:147], v156 offset0:34 offset1:35
	s_waitcnt lgkmcnt(1)
	v_mul_f64 v[76:77], v[162:163], v[78:79]
	v_fma_f64 v[76:77], v[160:161], v[154:155], -v[76:77]
	v_mul_f64 v[160:161], v[160:161], v[78:79]
	v_fmac_f64_e32 v[160:161], v[162:163], v[154:155]
	s_waitcnt vmcnt(19)
	v_add_f64 v[72:73], v[72:73], -v[76:77]
	s_waitcnt lgkmcnt(0)
	v_mul_f64 v[76:77], v[146:147], v[78:79]
	v_add_f64 v[74:75], v[74:75], -v[160:161]
	v_fma_f64 v[76:77], v[144:145], v[154:155], -v[76:77]
	v_mul_f64 v[144:145], v[144:145], v[78:79]
	ds_read2_b64 v[160:163], v156 offset0:36 offset1:37
	v_fmac_f64_e32 v[144:145], v[146:147], v[154:155]
	s_waitcnt vmcnt(18)
	v_add_f64 v[70:71], v[70:71], -v[144:145]
	ds_read2_b64 v[144:147], v156 offset0:38 offset1:39
	v_add_f64 v[68:69], v[68:69], -v[76:77]
	s_waitcnt lgkmcnt(1)
	v_mul_f64 v[76:77], v[162:163], v[78:79]
	v_fma_f64 v[76:77], v[160:161], v[154:155], -v[76:77]
	v_mul_f64 v[160:161], v[160:161], v[78:79]
	v_fmac_f64_e32 v[160:161], v[162:163], v[154:155]
	s_waitcnt vmcnt(17)
	v_add_f64 v[64:65], v[64:65], -v[76:77]
	s_waitcnt lgkmcnt(0)
	v_mul_f64 v[76:77], v[146:147], v[78:79]
	v_add_f64 v[66:67], v[66:67], -v[160:161]
	v_fma_f64 v[76:77], v[144:145], v[154:155], -v[76:77]
	v_mul_f64 v[144:145], v[144:145], v[78:79]
	ds_read2_b64 v[160:163], v156 offset0:40 offset1:41
	v_fmac_f64_e32 v[144:145], v[146:147], v[154:155]
	s_waitcnt vmcnt(16)
	v_add_f64 v[62:63], v[62:63], -v[144:145]
	ds_read2_b64 v[144:147], v156 offset0:42 offset1:43
	v_add_f64 v[60:61], v[60:61], -v[76:77]
	;; [unrolled: 18-line block ×9, first 2 shown]
	s_waitcnt lgkmcnt(1)
	v_mul_f64 v[76:77], v[162:163], v[78:79]
	v_fma_f64 v[76:77], v[160:161], v[154:155], -v[76:77]
	s_waitcnt vmcnt(1)
	v_add_f64 v[0:1], v[0:1], -v[76:77]
	s_waitcnt lgkmcnt(0)
	v_mul_f64 v[76:77], v[146:147], v[78:79]
	v_mul_f64 v[160:161], v[160:161], v[78:79]
	v_fma_f64 v[76:77], v[144:145], v[154:155], -v[76:77]
	v_mul_f64 v[144:145], v[144:145], v[78:79]
	v_fmac_f64_e32 v[160:161], v[162:163], v[154:155]
	v_fmac_f64_e32 v[144:145], v[146:147], v[154:155]
	v_add_f64 v[2:3], v[2:3], -v[160:161]
	s_waitcnt vmcnt(0)
	v_add_f64 v[140:141], v[140:141], -v[76:77]
	v_add_f64 v[142:143], v[142:143], -v[144:145]
	v_mov_b64_e32 v[76:77], v[154:155]
.LBB70_335:
	s_or_b64 exec, exec, s[0:1]
	v_lshl_add_u32 v144, v157, 4, v156
	s_barrier
	s_waitcnt vmcnt(19)
	ds_write2_b64 v144, v[72:73], v[74:75] offset1:1
	s_waitcnt lgkmcnt(0)
	s_barrier
	ds_read2_b64 v[144:147], v156 offset0:32 offset1:33
	s_cmp_lt_i32 s20, 18
	v_mov_b32_e32 v154, 16
	s_cbranch_scc1 .LBB70_338
; %bb.336:
	v_add_u32_e32 v155, 0x110, v156
	s_mov_b32 s16, 17
	v_mov_b32_e32 v154, 16
.LBB70_337:                             ; =>This Inner Loop Header: Depth=1
	ds_read2_b64 v[160:163], v155 offset1:1
	s_waitcnt lgkmcnt(1)
	v_xor_b32_e32 v165, 0x80000000, v145
	v_xor_b32_e32 v167, 0x80000000, v147
	v_cmp_gt_f64_e32 vcc, 0, v[146:147]
	v_cmp_gt_f64_e64 s[0:1], 0, v[144:145]
	v_mov_b32_e32 v164, v144
	v_mov_b32_e32 v166, v146
	v_cndmask_b32_e64 v165, v145, v165, s[0:1]
	v_cndmask_b32_e32 v167, v147, v167, vcc
	v_add_f64 v[164:165], v[164:165], v[166:167]
	s_waitcnt lgkmcnt(0)
	v_xor_b32_e32 v167, 0x80000000, v161
	v_xor_b32_e32 v169, 0x80000000, v163
	v_cmp_gt_f64_e32 vcc, 0, v[162:163]
	v_cmp_gt_f64_e64 s[0:1], 0, v[160:161]
	v_mov_b32_e32 v166, v160
	v_mov_b32_e32 v168, v162
	v_cndmask_b32_e64 v167, v161, v167, s[0:1]
	v_cndmask_b32_e32 v169, v163, v169, vcc
	v_add_f64 v[166:167], v[166:167], v[168:169]
	v_mov_b32_e32 v170, s16
	s_add_i32 s16, s16, 1
	v_cmp_lt_f64_e32 vcc, v[164:165], v[166:167]
	v_add_u32_e32 v155, 16, v155
	s_cmp_lg_u32 s20, s16
	v_cndmask_b32_e32 v145, v145, v161, vcc
	v_cndmask_b32_e32 v144, v144, v160, vcc
	;; [unrolled: 1-line block ×5, first 2 shown]
	s_cbranch_scc1 .LBB70_337
.LBB70_338:
	s_waitcnt lgkmcnt(0)
	v_cmp_eq_f64_e32 vcc, 0, v[144:145]
	v_cmp_eq_f64_e64 s[0:1], 0, v[146:147]
	s_and_b64 s[0:1], vcc, s[0:1]
	s_and_saveexec_b64 s[16:17], s[0:1]
	s_xor_b64 s[0:1], exec, s[16:17]
; %bb.339:
	v_cmp_ne_u32_e32 vcc, 0, v158
	s_nop 1
	v_cndmask_b32_e32 v158, 17, v158, vcc
; %bb.340:
	s_andn2_saveexec_b64 s[0:1], s[0:1]
	s_cbranch_execz .LBB70_346
; %bb.341:
	v_cmp_ngt_f64_e64 s[16:17], |v[144:145]|, |v[146:147]|
	s_and_saveexec_b64 s[18:19], s[16:17]
	s_xor_b64 s[16:17], exec, s[18:19]
	s_cbranch_execz .LBB70_343
; %bb.342:
	v_div_scale_f64 v[160:161], s[18:19], v[146:147], v[146:147], v[144:145]
	v_rcp_f64_e32 v[162:163], v[160:161]
	v_div_scale_f64 v[164:165], vcc, v[144:145], v[146:147], v[144:145]
	v_fma_f64 v[166:167], -v[160:161], v[162:163], 1.0
	v_fmac_f64_e32 v[162:163], v[162:163], v[166:167]
	v_fma_f64 v[166:167], -v[160:161], v[162:163], 1.0
	v_fmac_f64_e32 v[162:163], v[162:163], v[166:167]
	v_mul_f64 v[166:167], v[164:165], v[162:163]
	v_fma_f64 v[160:161], -v[160:161], v[166:167], v[164:165]
	v_div_fmas_f64 v[160:161], v[160:161], v[162:163], v[166:167]
	v_div_fixup_f64 v[160:161], v[160:161], v[146:147], v[144:145]
	v_fmac_f64_e32 v[146:147], v[144:145], v[160:161]
	v_div_scale_f64 v[144:145], s[18:19], v[146:147], v[146:147], 1.0
	v_rcp_f64_e32 v[162:163], v[144:145]
	s_nop 0
	v_fma_f64 v[164:165], -v[144:145], v[162:163], 1.0
	v_fmac_f64_e32 v[162:163], v[162:163], v[164:165]
	v_fma_f64 v[164:165], -v[144:145], v[162:163], 1.0
	v_fmac_f64_e32 v[162:163], v[162:163], v[164:165]
	v_div_scale_f64 v[164:165], vcc, 1.0, v[146:147], 1.0
	v_mul_f64 v[166:167], v[164:165], v[162:163]
	v_fma_f64 v[144:145], -v[144:145], v[166:167], v[164:165]
	s_nop 1
	v_div_fmas_f64 v[144:145], v[144:145], v[162:163], v[166:167]
	v_div_fixup_f64 v[146:147], v[144:145], v[146:147], 1.0
	v_mul_f64 v[144:145], v[160:161], v[146:147]
	v_xor_b32_e32 v147, 0x80000000, v147
.LBB70_343:
	s_andn2_saveexec_b64 s[16:17], s[16:17]
	s_cbranch_execz .LBB70_345
; %bb.344:
	v_div_scale_f64 v[160:161], s[18:19], v[144:145], v[144:145], v[146:147]
	v_rcp_f64_e32 v[162:163], v[160:161]
	v_div_scale_f64 v[164:165], vcc, v[146:147], v[144:145], v[146:147]
	v_fma_f64 v[166:167], -v[160:161], v[162:163], 1.0
	v_fmac_f64_e32 v[162:163], v[162:163], v[166:167]
	v_fma_f64 v[166:167], -v[160:161], v[162:163], 1.0
	v_fmac_f64_e32 v[162:163], v[162:163], v[166:167]
	v_mul_f64 v[166:167], v[164:165], v[162:163]
	v_fma_f64 v[160:161], -v[160:161], v[166:167], v[164:165]
	v_div_fmas_f64 v[160:161], v[160:161], v[162:163], v[166:167]
	v_div_fixup_f64 v[160:161], v[160:161], v[144:145], v[146:147]
	v_fmac_f64_e32 v[144:145], v[146:147], v[160:161]
	v_div_scale_f64 v[146:147], s[18:19], v[144:145], v[144:145], 1.0
	v_rcp_f64_e32 v[162:163], v[146:147]
	s_nop 0
	v_fma_f64 v[164:165], -v[146:147], v[162:163], 1.0
	v_fmac_f64_e32 v[162:163], v[162:163], v[164:165]
	v_fma_f64 v[164:165], -v[146:147], v[162:163], 1.0
	v_fmac_f64_e32 v[162:163], v[162:163], v[164:165]
	v_div_scale_f64 v[164:165], vcc, 1.0, v[144:145], 1.0
	v_mul_f64 v[166:167], v[164:165], v[162:163]
	v_fma_f64 v[146:147], -v[146:147], v[166:167], v[164:165]
	s_nop 1
	v_div_fmas_f64 v[146:147], v[146:147], v[162:163], v[166:167]
	v_div_fixup_f64 v[144:145], v[146:147], v[144:145], 1.0
	v_mul_f64 v[146:147], v[160:161], -v[144:145]
.LBB70_345:
	s_or_b64 exec, exec, s[16:17]
.LBB70_346:
	s_or_b64 exec, exec, s[0:1]
	v_cmp_ne_u32_e32 vcc, v157, v154
	s_and_saveexec_b64 s[0:1], vcc
	s_xor_b64 s[0:1], exec, s[0:1]
	s_cbranch_execz .LBB70_352
; %bb.347:
	v_cmp_eq_u32_e32 vcc, 16, v157
	s_and_saveexec_b64 s[16:17], vcc
	s_cbranch_execz .LBB70_351
; %bb.348:
	v_cmp_ne_u32_e32 vcc, 16, v154
	s_xor_b64 s[18:19], s[14:15], -1
	s_and_b64 s[22:23], s[18:19], vcc
	s_and_saveexec_b64 s[18:19], s[22:23]
	s_cbranch_execz .LBB70_350
; %bb.349:
	v_ashrrev_i32_e32 v155, 31, v154
	v_lshl_add_u64 v[160:161], v[154:155], 2, v[152:153]
	global_load_dword v155, v[160:161], off
	global_load_dword v157, v[152:153], off offset:64
	s_waitcnt vmcnt(1)
	global_store_dword v[152:153], v155, off offset:64
	s_waitcnt vmcnt(1)
	global_store_dword v[160:161], v157, off
.LBB70_350:
	s_or_b64 exec, exec, s[18:19]
	v_mov_b32_e32 v157, v154
	v_mov_b32_e32 v159, v154
.LBB70_351:
	s_or_b64 exec, exec, s[16:17]
.LBB70_352:
	s_andn2_saveexec_b64 s[0:1], s[0:1]
	s_cbranch_execz .LBB70_354
; %bb.353:
	v_mov_b32_e32 v157, 16
	s_waitcnt vmcnt(18)
	ds_write2_b64 v156, v[68:69], v[70:71] offset0:34 offset1:35
	s_waitcnt vmcnt(17)
	ds_write2_b64 v156, v[64:65], v[66:67] offset0:36 offset1:37
	;; [unrolled: 2-line block ×19, first 2 shown]
.LBB70_354:
	s_or_b64 exec, exec, s[0:1]
	v_cmp_lt_i32_e32 vcc, 16, v157
	s_waitcnt lgkmcnt(0)
	s_barrier
	s_and_saveexec_b64 s[0:1], vcc
	s_cbranch_execz .LBB70_356
; %bb.355:
	ds_read2_b64 v[160:163], v156 offset0:34 offset1:35
	v_mul_f64 v[154:155], v[146:147], v[74:75]
	v_mul_f64 v[74:75], v[144:145], v[74:75]
	v_fmac_f64_e32 v[74:75], v[146:147], v[72:73]
	v_fma_f64 v[154:155], v[144:145], v[72:73], -v[154:155]
	ds_read2_b64 v[144:147], v156 offset0:36 offset1:37
	s_waitcnt lgkmcnt(1)
	v_mul_f64 v[72:73], v[162:163], v[74:75]
	v_fma_f64 v[72:73], v[160:161], v[154:155], -v[72:73]
	v_mul_f64 v[160:161], v[160:161], v[74:75]
	v_fmac_f64_e32 v[160:161], v[162:163], v[154:155]
	s_waitcnt vmcnt(18)
	v_add_f64 v[70:71], v[70:71], -v[160:161]
	ds_read2_b64 v[160:163], v156 offset0:38 offset1:39
	v_add_f64 v[68:69], v[68:69], -v[72:73]
	s_waitcnt lgkmcnt(1)
	v_mul_f64 v[72:73], v[146:147], v[74:75]
	v_fma_f64 v[72:73], v[144:145], v[154:155], -v[72:73]
	v_mul_f64 v[144:145], v[144:145], v[74:75]
	v_fmac_f64_e32 v[144:145], v[146:147], v[154:155]
	s_waitcnt vmcnt(17)
	v_add_f64 v[64:65], v[64:65], -v[72:73]
	v_add_f64 v[66:67], v[66:67], -v[144:145]
	ds_read2_b64 v[144:147], v156 offset0:40 offset1:41
	s_waitcnt lgkmcnt(1)
	v_mul_f64 v[72:73], v[162:163], v[74:75]
	v_fma_f64 v[72:73], v[160:161], v[154:155], -v[72:73]
	v_mul_f64 v[160:161], v[160:161], v[74:75]
	v_fmac_f64_e32 v[160:161], v[162:163], v[154:155]
	s_waitcnt vmcnt(16)
	v_add_f64 v[62:63], v[62:63], -v[160:161]
	ds_read2_b64 v[160:163], v156 offset0:42 offset1:43
	v_add_f64 v[60:61], v[60:61], -v[72:73]
	s_waitcnt lgkmcnt(1)
	v_mul_f64 v[72:73], v[146:147], v[74:75]
	v_fma_f64 v[72:73], v[144:145], v[154:155], -v[72:73]
	v_mul_f64 v[144:145], v[144:145], v[74:75]
	v_fmac_f64_e32 v[144:145], v[146:147], v[154:155]
	s_waitcnt vmcnt(15)
	v_add_f64 v[56:57], v[56:57], -v[72:73]
	v_add_f64 v[58:59], v[58:59], -v[144:145]
	ds_read2_b64 v[144:147], v156 offset0:44 offset1:45
	s_waitcnt lgkmcnt(1)
	v_mul_f64 v[72:73], v[162:163], v[74:75]
	v_fma_f64 v[72:73], v[160:161], v[154:155], -v[72:73]
	v_mul_f64 v[160:161], v[160:161], v[74:75]
	v_fmac_f64_e32 v[160:161], v[162:163], v[154:155]
	s_waitcnt vmcnt(14)
	v_add_f64 v[54:55], v[54:55], -v[160:161]
	ds_read2_b64 v[160:163], v156 offset0:46 offset1:47
	v_add_f64 v[52:53], v[52:53], -v[72:73]
	s_waitcnt lgkmcnt(1)
	v_mul_f64 v[72:73], v[146:147], v[74:75]
	v_fma_f64 v[72:73], v[144:145], v[154:155], -v[72:73]
	v_mul_f64 v[144:145], v[144:145], v[74:75]
	v_fmac_f64_e32 v[144:145], v[146:147], v[154:155]
	s_waitcnt vmcnt(13)
	v_add_f64 v[48:49], v[48:49], -v[72:73]
	v_add_f64 v[50:51], v[50:51], -v[144:145]
	ds_read2_b64 v[144:147], v156 offset0:48 offset1:49
	s_waitcnt lgkmcnt(1)
	v_mul_f64 v[72:73], v[162:163], v[74:75]
	v_fma_f64 v[72:73], v[160:161], v[154:155], -v[72:73]
	v_mul_f64 v[160:161], v[160:161], v[74:75]
	v_fmac_f64_e32 v[160:161], v[162:163], v[154:155]
	s_waitcnt vmcnt(12)
	v_add_f64 v[46:47], v[46:47], -v[160:161]
	ds_read2_b64 v[160:163], v156 offset0:50 offset1:51
	v_add_f64 v[44:45], v[44:45], -v[72:73]
	s_waitcnt lgkmcnt(1)
	v_mul_f64 v[72:73], v[146:147], v[74:75]
	v_fma_f64 v[72:73], v[144:145], v[154:155], -v[72:73]
	v_mul_f64 v[144:145], v[144:145], v[74:75]
	v_fmac_f64_e32 v[144:145], v[146:147], v[154:155]
	s_waitcnt vmcnt(11)
	v_add_f64 v[40:41], v[40:41], -v[72:73]
	v_add_f64 v[42:43], v[42:43], -v[144:145]
	ds_read2_b64 v[144:147], v156 offset0:52 offset1:53
	s_waitcnt lgkmcnt(1)
	v_mul_f64 v[72:73], v[162:163], v[74:75]
	v_fma_f64 v[72:73], v[160:161], v[154:155], -v[72:73]
	v_mul_f64 v[160:161], v[160:161], v[74:75]
	v_fmac_f64_e32 v[160:161], v[162:163], v[154:155]
	s_waitcnt vmcnt(10)
	v_add_f64 v[38:39], v[38:39], -v[160:161]
	ds_read2_b64 v[160:163], v156 offset0:54 offset1:55
	v_add_f64 v[36:37], v[36:37], -v[72:73]
	s_waitcnt lgkmcnt(1)
	v_mul_f64 v[72:73], v[146:147], v[74:75]
	v_fma_f64 v[72:73], v[144:145], v[154:155], -v[72:73]
	v_mul_f64 v[144:145], v[144:145], v[74:75]
	v_fmac_f64_e32 v[144:145], v[146:147], v[154:155]
	s_waitcnt vmcnt(9)
	v_add_f64 v[32:33], v[32:33], -v[72:73]
	v_add_f64 v[34:35], v[34:35], -v[144:145]
	ds_read2_b64 v[144:147], v156 offset0:56 offset1:57
	s_waitcnt lgkmcnt(1)
	v_mul_f64 v[72:73], v[162:163], v[74:75]
	v_fma_f64 v[72:73], v[160:161], v[154:155], -v[72:73]
	v_mul_f64 v[160:161], v[160:161], v[74:75]
	v_fmac_f64_e32 v[160:161], v[162:163], v[154:155]
	s_waitcnt vmcnt(8)
	v_add_f64 v[30:31], v[30:31], -v[160:161]
	ds_read2_b64 v[160:163], v156 offset0:58 offset1:59
	v_add_f64 v[28:29], v[28:29], -v[72:73]
	s_waitcnt lgkmcnt(1)
	v_mul_f64 v[72:73], v[146:147], v[74:75]
	v_fma_f64 v[72:73], v[144:145], v[154:155], -v[72:73]
	v_mul_f64 v[144:145], v[144:145], v[74:75]
	v_fmac_f64_e32 v[144:145], v[146:147], v[154:155]
	s_waitcnt vmcnt(7)
	v_add_f64 v[24:25], v[24:25], -v[72:73]
	v_add_f64 v[26:27], v[26:27], -v[144:145]
	ds_read2_b64 v[144:147], v156 offset0:60 offset1:61
	s_waitcnt lgkmcnt(1)
	v_mul_f64 v[72:73], v[162:163], v[74:75]
	v_fma_f64 v[72:73], v[160:161], v[154:155], -v[72:73]
	v_mul_f64 v[160:161], v[160:161], v[74:75]
	v_fmac_f64_e32 v[160:161], v[162:163], v[154:155]
	s_waitcnt vmcnt(6)
	v_add_f64 v[22:23], v[22:23], -v[160:161]
	ds_read2_b64 v[160:163], v156 offset0:62 offset1:63
	v_add_f64 v[20:21], v[20:21], -v[72:73]
	s_waitcnt lgkmcnt(1)
	v_mul_f64 v[72:73], v[146:147], v[74:75]
	v_fma_f64 v[72:73], v[144:145], v[154:155], -v[72:73]
	v_mul_f64 v[144:145], v[144:145], v[74:75]
	v_fmac_f64_e32 v[144:145], v[146:147], v[154:155]
	s_waitcnt vmcnt(5)
	v_add_f64 v[16:17], v[16:17], -v[72:73]
	v_add_f64 v[18:19], v[18:19], -v[144:145]
	ds_read2_b64 v[144:147], v156 offset0:64 offset1:65
	s_waitcnt lgkmcnt(1)
	v_mul_f64 v[72:73], v[162:163], v[74:75]
	v_fma_f64 v[72:73], v[160:161], v[154:155], -v[72:73]
	v_mul_f64 v[160:161], v[160:161], v[74:75]
	v_fmac_f64_e32 v[160:161], v[162:163], v[154:155]
	s_waitcnt vmcnt(4)
	v_add_f64 v[14:15], v[14:15], -v[160:161]
	ds_read2_b64 v[160:163], v156 offset0:66 offset1:67
	v_add_f64 v[12:13], v[12:13], -v[72:73]
	s_waitcnt lgkmcnt(1)
	v_mul_f64 v[72:73], v[146:147], v[74:75]
	v_fma_f64 v[72:73], v[144:145], v[154:155], -v[72:73]
	v_mul_f64 v[144:145], v[144:145], v[74:75]
	v_fmac_f64_e32 v[144:145], v[146:147], v[154:155]
	s_waitcnt vmcnt(3)
	v_add_f64 v[8:9], v[8:9], -v[72:73]
	v_add_f64 v[10:11], v[10:11], -v[144:145]
	ds_read2_b64 v[144:147], v156 offset0:68 offset1:69
	s_waitcnt lgkmcnt(1)
	v_mul_f64 v[72:73], v[162:163], v[74:75]
	v_fma_f64 v[72:73], v[160:161], v[154:155], -v[72:73]
	v_mul_f64 v[160:161], v[160:161], v[74:75]
	v_fmac_f64_e32 v[160:161], v[162:163], v[154:155]
	s_waitcnt vmcnt(2)
	v_add_f64 v[6:7], v[6:7], -v[160:161]
	ds_read2_b64 v[160:163], v156 offset0:70 offset1:71
	v_add_f64 v[4:5], v[4:5], -v[72:73]
	s_waitcnt lgkmcnt(1)
	v_mul_f64 v[72:73], v[146:147], v[74:75]
	v_fma_f64 v[72:73], v[144:145], v[154:155], -v[72:73]
	v_mul_f64 v[144:145], v[144:145], v[74:75]
	v_fmac_f64_e32 v[144:145], v[146:147], v[154:155]
	s_waitcnt vmcnt(1)
	v_add_f64 v[0:1], v[0:1], -v[72:73]
	v_add_f64 v[2:3], v[2:3], -v[144:145]
	s_waitcnt lgkmcnt(0)
	v_mul_f64 v[72:73], v[162:163], v[74:75]
	v_mul_f64 v[144:145], v[160:161], v[74:75]
	v_fma_f64 v[72:73], v[160:161], v[154:155], -v[72:73]
	v_fmac_f64_e32 v[144:145], v[162:163], v[154:155]
	s_waitcnt vmcnt(0)
	v_add_f64 v[140:141], v[140:141], -v[72:73]
	v_add_f64 v[142:143], v[142:143], -v[144:145]
	v_mov_b64_e32 v[72:73], v[154:155]
.LBB70_356:
	s_or_b64 exec, exec, s[0:1]
	v_lshl_add_u32 v144, v157, 4, v156
	s_barrier
	s_waitcnt vmcnt(18)
	ds_write2_b64 v144, v[68:69], v[70:71] offset1:1
	s_waitcnt lgkmcnt(0)
	s_barrier
	ds_read2_b64 v[144:147], v156 offset0:34 offset1:35
	s_cmp_lt_i32 s20, 19
	v_mov_b32_e32 v154, 17
	s_cbranch_scc1 .LBB70_359
; %bb.357:
	v_add_u32_e32 v155, 0x120, v156
	s_mov_b32 s16, 18
	v_mov_b32_e32 v154, 17
.LBB70_358:                             ; =>This Inner Loop Header: Depth=1
	ds_read2_b64 v[160:163], v155 offset1:1
	s_waitcnt lgkmcnt(1)
	v_xor_b32_e32 v165, 0x80000000, v145
	v_xor_b32_e32 v167, 0x80000000, v147
	v_cmp_gt_f64_e32 vcc, 0, v[146:147]
	v_cmp_gt_f64_e64 s[0:1], 0, v[144:145]
	v_mov_b32_e32 v164, v144
	v_mov_b32_e32 v166, v146
	v_cndmask_b32_e64 v165, v145, v165, s[0:1]
	v_cndmask_b32_e32 v167, v147, v167, vcc
	v_add_f64 v[164:165], v[164:165], v[166:167]
	s_waitcnt lgkmcnt(0)
	v_xor_b32_e32 v167, 0x80000000, v161
	v_xor_b32_e32 v169, 0x80000000, v163
	v_cmp_gt_f64_e32 vcc, 0, v[162:163]
	v_cmp_gt_f64_e64 s[0:1], 0, v[160:161]
	v_mov_b32_e32 v166, v160
	v_mov_b32_e32 v168, v162
	v_cndmask_b32_e64 v167, v161, v167, s[0:1]
	v_cndmask_b32_e32 v169, v163, v169, vcc
	v_add_f64 v[166:167], v[166:167], v[168:169]
	v_mov_b32_e32 v170, s16
	s_add_i32 s16, s16, 1
	v_cmp_lt_f64_e32 vcc, v[164:165], v[166:167]
	v_add_u32_e32 v155, 16, v155
	s_cmp_lg_u32 s20, s16
	v_cndmask_b32_e32 v145, v145, v161, vcc
	v_cndmask_b32_e32 v144, v144, v160, vcc
	;; [unrolled: 1-line block ×5, first 2 shown]
	s_cbranch_scc1 .LBB70_358
.LBB70_359:
	s_waitcnt lgkmcnt(0)
	v_cmp_eq_f64_e32 vcc, 0, v[144:145]
	v_cmp_eq_f64_e64 s[0:1], 0, v[146:147]
	s_and_b64 s[0:1], vcc, s[0:1]
	s_and_saveexec_b64 s[16:17], s[0:1]
	s_xor_b64 s[0:1], exec, s[16:17]
; %bb.360:
	v_cmp_ne_u32_e32 vcc, 0, v158
	s_nop 1
	v_cndmask_b32_e32 v158, 18, v158, vcc
; %bb.361:
	s_andn2_saveexec_b64 s[0:1], s[0:1]
	s_cbranch_execz .LBB70_367
; %bb.362:
	v_cmp_ngt_f64_e64 s[16:17], |v[144:145]|, |v[146:147]|
	s_and_saveexec_b64 s[18:19], s[16:17]
	s_xor_b64 s[16:17], exec, s[18:19]
	s_cbranch_execz .LBB70_364
; %bb.363:
	v_div_scale_f64 v[160:161], s[18:19], v[146:147], v[146:147], v[144:145]
	v_rcp_f64_e32 v[162:163], v[160:161]
	v_div_scale_f64 v[164:165], vcc, v[144:145], v[146:147], v[144:145]
	v_fma_f64 v[166:167], -v[160:161], v[162:163], 1.0
	v_fmac_f64_e32 v[162:163], v[162:163], v[166:167]
	v_fma_f64 v[166:167], -v[160:161], v[162:163], 1.0
	v_fmac_f64_e32 v[162:163], v[162:163], v[166:167]
	v_mul_f64 v[166:167], v[164:165], v[162:163]
	v_fma_f64 v[160:161], -v[160:161], v[166:167], v[164:165]
	v_div_fmas_f64 v[160:161], v[160:161], v[162:163], v[166:167]
	v_div_fixup_f64 v[160:161], v[160:161], v[146:147], v[144:145]
	v_fmac_f64_e32 v[146:147], v[144:145], v[160:161]
	v_div_scale_f64 v[144:145], s[18:19], v[146:147], v[146:147], 1.0
	v_rcp_f64_e32 v[162:163], v[144:145]
	s_nop 0
	v_fma_f64 v[164:165], -v[144:145], v[162:163], 1.0
	v_fmac_f64_e32 v[162:163], v[162:163], v[164:165]
	v_fma_f64 v[164:165], -v[144:145], v[162:163], 1.0
	v_fmac_f64_e32 v[162:163], v[162:163], v[164:165]
	v_div_scale_f64 v[164:165], vcc, 1.0, v[146:147], 1.0
	v_mul_f64 v[166:167], v[164:165], v[162:163]
	v_fma_f64 v[144:145], -v[144:145], v[166:167], v[164:165]
	s_nop 1
	v_div_fmas_f64 v[144:145], v[144:145], v[162:163], v[166:167]
	v_div_fixup_f64 v[146:147], v[144:145], v[146:147], 1.0
	v_mul_f64 v[144:145], v[160:161], v[146:147]
	v_xor_b32_e32 v147, 0x80000000, v147
.LBB70_364:
	s_andn2_saveexec_b64 s[16:17], s[16:17]
	s_cbranch_execz .LBB70_366
; %bb.365:
	v_div_scale_f64 v[160:161], s[18:19], v[144:145], v[144:145], v[146:147]
	v_rcp_f64_e32 v[162:163], v[160:161]
	v_div_scale_f64 v[164:165], vcc, v[146:147], v[144:145], v[146:147]
	v_fma_f64 v[166:167], -v[160:161], v[162:163], 1.0
	v_fmac_f64_e32 v[162:163], v[162:163], v[166:167]
	v_fma_f64 v[166:167], -v[160:161], v[162:163], 1.0
	v_fmac_f64_e32 v[162:163], v[162:163], v[166:167]
	v_mul_f64 v[166:167], v[164:165], v[162:163]
	v_fma_f64 v[160:161], -v[160:161], v[166:167], v[164:165]
	v_div_fmas_f64 v[160:161], v[160:161], v[162:163], v[166:167]
	v_div_fixup_f64 v[160:161], v[160:161], v[144:145], v[146:147]
	v_fmac_f64_e32 v[144:145], v[146:147], v[160:161]
	v_div_scale_f64 v[146:147], s[18:19], v[144:145], v[144:145], 1.0
	v_rcp_f64_e32 v[162:163], v[146:147]
	s_nop 0
	v_fma_f64 v[164:165], -v[146:147], v[162:163], 1.0
	v_fmac_f64_e32 v[162:163], v[162:163], v[164:165]
	v_fma_f64 v[164:165], -v[146:147], v[162:163], 1.0
	v_fmac_f64_e32 v[162:163], v[162:163], v[164:165]
	v_div_scale_f64 v[164:165], vcc, 1.0, v[144:145], 1.0
	v_mul_f64 v[166:167], v[164:165], v[162:163]
	v_fma_f64 v[146:147], -v[146:147], v[166:167], v[164:165]
	s_nop 1
	v_div_fmas_f64 v[146:147], v[146:147], v[162:163], v[166:167]
	v_div_fixup_f64 v[144:145], v[146:147], v[144:145], 1.0
	v_mul_f64 v[146:147], v[160:161], -v[144:145]
.LBB70_366:
	s_or_b64 exec, exec, s[16:17]
.LBB70_367:
	s_or_b64 exec, exec, s[0:1]
	v_cmp_ne_u32_e32 vcc, v157, v154
	s_and_saveexec_b64 s[0:1], vcc
	s_xor_b64 s[0:1], exec, s[0:1]
	s_cbranch_execz .LBB70_373
; %bb.368:
	v_cmp_eq_u32_e32 vcc, 17, v157
	s_and_saveexec_b64 s[16:17], vcc
	s_cbranch_execz .LBB70_372
; %bb.369:
	v_cmp_ne_u32_e32 vcc, 17, v154
	s_xor_b64 s[18:19], s[14:15], -1
	s_and_b64 s[22:23], s[18:19], vcc
	s_and_saveexec_b64 s[18:19], s[22:23]
	s_cbranch_execz .LBB70_371
; %bb.370:
	v_ashrrev_i32_e32 v155, 31, v154
	v_lshl_add_u64 v[160:161], v[154:155], 2, v[152:153]
	global_load_dword v155, v[160:161], off
	global_load_dword v157, v[152:153], off offset:68
	s_waitcnt vmcnt(1)
	global_store_dword v[152:153], v155, off offset:68
	s_waitcnt vmcnt(1)
	global_store_dword v[160:161], v157, off
.LBB70_371:
	s_or_b64 exec, exec, s[18:19]
	v_mov_b32_e32 v157, v154
	v_mov_b32_e32 v159, v154
.LBB70_372:
	s_or_b64 exec, exec, s[16:17]
.LBB70_373:
	s_andn2_saveexec_b64 s[0:1], s[0:1]
	s_cbranch_execz .LBB70_375
; %bb.374:
	v_mov_b32_e32 v157, 17
	s_waitcnt vmcnt(17)
	ds_write2_b64 v156, v[64:65], v[66:67] offset0:36 offset1:37
	s_waitcnt vmcnt(16)
	ds_write2_b64 v156, v[60:61], v[62:63] offset0:38 offset1:39
	;; [unrolled: 2-line block ×18, first 2 shown]
.LBB70_375:
	s_or_b64 exec, exec, s[0:1]
	v_cmp_lt_i32_e32 vcc, 17, v157
	s_waitcnt lgkmcnt(0)
	s_barrier
	s_and_saveexec_b64 s[0:1], vcc
	s_cbranch_execz .LBB70_377
; %bb.376:
	ds_read2_b64 v[160:163], v156 offset0:36 offset1:37
	v_mul_f64 v[154:155], v[146:147], v[70:71]
	v_mul_f64 v[70:71], v[144:145], v[70:71]
	v_fma_f64 v[154:155], v[144:145], v[68:69], -v[154:155]
	v_fmac_f64_e32 v[70:71], v[146:147], v[68:69]
	ds_read2_b64 v[144:147], v156 offset0:38 offset1:39
	s_waitcnt lgkmcnt(1)
	v_mul_f64 v[68:69], v[162:163], v[70:71]
	v_fma_f64 v[68:69], v[160:161], v[154:155], -v[68:69]
	v_mul_f64 v[160:161], v[160:161], v[70:71]
	v_fmac_f64_e32 v[160:161], v[162:163], v[154:155]
	s_waitcnt vmcnt(17)
	v_add_f64 v[64:65], v[64:65], -v[68:69]
	s_waitcnt lgkmcnt(0)
	v_mul_f64 v[68:69], v[146:147], v[70:71]
	v_add_f64 v[66:67], v[66:67], -v[160:161]
	v_fma_f64 v[68:69], v[144:145], v[154:155], -v[68:69]
	v_mul_f64 v[144:145], v[144:145], v[70:71]
	ds_read2_b64 v[160:163], v156 offset0:40 offset1:41
	v_fmac_f64_e32 v[144:145], v[146:147], v[154:155]
	s_waitcnt vmcnt(16)
	v_add_f64 v[62:63], v[62:63], -v[144:145]
	ds_read2_b64 v[144:147], v156 offset0:42 offset1:43
	v_add_f64 v[60:61], v[60:61], -v[68:69]
	s_waitcnt lgkmcnt(1)
	v_mul_f64 v[68:69], v[162:163], v[70:71]
	v_fma_f64 v[68:69], v[160:161], v[154:155], -v[68:69]
	v_mul_f64 v[160:161], v[160:161], v[70:71]
	v_fmac_f64_e32 v[160:161], v[162:163], v[154:155]
	s_waitcnt vmcnt(15)
	v_add_f64 v[56:57], v[56:57], -v[68:69]
	s_waitcnt lgkmcnt(0)
	v_mul_f64 v[68:69], v[146:147], v[70:71]
	v_add_f64 v[58:59], v[58:59], -v[160:161]
	v_fma_f64 v[68:69], v[144:145], v[154:155], -v[68:69]
	v_mul_f64 v[144:145], v[144:145], v[70:71]
	ds_read2_b64 v[160:163], v156 offset0:44 offset1:45
	v_fmac_f64_e32 v[144:145], v[146:147], v[154:155]
	s_waitcnt vmcnt(14)
	v_add_f64 v[54:55], v[54:55], -v[144:145]
	ds_read2_b64 v[144:147], v156 offset0:46 offset1:47
	v_add_f64 v[52:53], v[52:53], -v[68:69]
	;; [unrolled: 18-line block ×8, first 2 shown]
	s_waitcnt lgkmcnt(1)
	v_mul_f64 v[68:69], v[162:163], v[70:71]
	v_fma_f64 v[68:69], v[160:161], v[154:155], -v[68:69]
	s_waitcnt vmcnt(1)
	v_add_f64 v[0:1], v[0:1], -v[68:69]
	s_waitcnt lgkmcnt(0)
	v_mul_f64 v[68:69], v[146:147], v[70:71]
	v_mul_f64 v[160:161], v[160:161], v[70:71]
	v_fma_f64 v[68:69], v[144:145], v[154:155], -v[68:69]
	v_mul_f64 v[144:145], v[144:145], v[70:71]
	v_fmac_f64_e32 v[160:161], v[162:163], v[154:155]
	v_fmac_f64_e32 v[144:145], v[146:147], v[154:155]
	v_add_f64 v[2:3], v[2:3], -v[160:161]
	s_waitcnt vmcnt(0)
	v_add_f64 v[140:141], v[140:141], -v[68:69]
	v_add_f64 v[142:143], v[142:143], -v[144:145]
	v_mov_b64_e32 v[68:69], v[154:155]
.LBB70_377:
	s_or_b64 exec, exec, s[0:1]
	v_lshl_add_u32 v144, v157, 4, v156
	s_barrier
	s_waitcnt vmcnt(17)
	ds_write2_b64 v144, v[64:65], v[66:67] offset1:1
	s_waitcnt lgkmcnt(0)
	s_barrier
	ds_read2_b64 v[144:147], v156 offset0:36 offset1:37
	s_cmp_lt_i32 s20, 20
	v_mov_b32_e32 v154, 18
	s_cbranch_scc1 .LBB70_380
; %bb.378:
	v_add_u32_e32 v155, 0x130, v156
	s_mov_b32 s16, 19
	v_mov_b32_e32 v154, 18
.LBB70_379:                             ; =>This Inner Loop Header: Depth=1
	ds_read2_b64 v[160:163], v155 offset1:1
	s_waitcnt lgkmcnt(1)
	v_xor_b32_e32 v165, 0x80000000, v145
	v_xor_b32_e32 v167, 0x80000000, v147
	v_cmp_gt_f64_e32 vcc, 0, v[146:147]
	v_cmp_gt_f64_e64 s[0:1], 0, v[144:145]
	v_mov_b32_e32 v164, v144
	v_mov_b32_e32 v166, v146
	v_cndmask_b32_e64 v165, v145, v165, s[0:1]
	v_cndmask_b32_e32 v167, v147, v167, vcc
	v_add_f64 v[164:165], v[164:165], v[166:167]
	s_waitcnt lgkmcnt(0)
	v_xor_b32_e32 v167, 0x80000000, v161
	v_xor_b32_e32 v169, 0x80000000, v163
	v_cmp_gt_f64_e32 vcc, 0, v[162:163]
	v_cmp_gt_f64_e64 s[0:1], 0, v[160:161]
	v_mov_b32_e32 v166, v160
	v_mov_b32_e32 v168, v162
	v_cndmask_b32_e64 v167, v161, v167, s[0:1]
	v_cndmask_b32_e32 v169, v163, v169, vcc
	v_add_f64 v[166:167], v[166:167], v[168:169]
	v_mov_b32_e32 v170, s16
	s_add_i32 s16, s16, 1
	v_cmp_lt_f64_e32 vcc, v[164:165], v[166:167]
	v_add_u32_e32 v155, 16, v155
	s_cmp_lg_u32 s20, s16
	v_cndmask_b32_e32 v145, v145, v161, vcc
	v_cndmask_b32_e32 v144, v144, v160, vcc
	;; [unrolled: 1-line block ×5, first 2 shown]
	s_cbranch_scc1 .LBB70_379
.LBB70_380:
	s_waitcnt lgkmcnt(0)
	v_cmp_eq_f64_e32 vcc, 0, v[144:145]
	v_cmp_eq_f64_e64 s[0:1], 0, v[146:147]
	s_and_b64 s[0:1], vcc, s[0:1]
	s_and_saveexec_b64 s[16:17], s[0:1]
	s_xor_b64 s[0:1], exec, s[16:17]
; %bb.381:
	v_cmp_ne_u32_e32 vcc, 0, v158
	s_nop 1
	v_cndmask_b32_e32 v158, 19, v158, vcc
; %bb.382:
	s_andn2_saveexec_b64 s[0:1], s[0:1]
	s_cbranch_execz .LBB70_388
; %bb.383:
	v_cmp_ngt_f64_e64 s[16:17], |v[144:145]|, |v[146:147]|
	s_and_saveexec_b64 s[18:19], s[16:17]
	s_xor_b64 s[16:17], exec, s[18:19]
	s_cbranch_execz .LBB70_385
; %bb.384:
	v_div_scale_f64 v[160:161], s[18:19], v[146:147], v[146:147], v[144:145]
	v_rcp_f64_e32 v[162:163], v[160:161]
	v_div_scale_f64 v[164:165], vcc, v[144:145], v[146:147], v[144:145]
	v_fma_f64 v[166:167], -v[160:161], v[162:163], 1.0
	v_fmac_f64_e32 v[162:163], v[162:163], v[166:167]
	v_fma_f64 v[166:167], -v[160:161], v[162:163], 1.0
	v_fmac_f64_e32 v[162:163], v[162:163], v[166:167]
	v_mul_f64 v[166:167], v[164:165], v[162:163]
	v_fma_f64 v[160:161], -v[160:161], v[166:167], v[164:165]
	v_div_fmas_f64 v[160:161], v[160:161], v[162:163], v[166:167]
	v_div_fixup_f64 v[160:161], v[160:161], v[146:147], v[144:145]
	v_fmac_f64_e32 v[146:147], v[144:145], v[160:161]
	v_div_scale_f64 v[144:145], s[18:19], v[146:147], v[146:147], 1.0
	v_rcp_f64_e32 v[162:163], v[144:145]
	s_nop 0
	v_fma_f64 v[164:165], -v[144:145], v[162:163], 1.0
	v_fmac_f64_e32 v[162:163], v[162:163], v[164:165]
	v_fma_f64 v[164:165], -v[144:145], v[162:163], 1.0
	v_fmac_f64_e32 v[162:163], v[162:163], v[164:165]
	v_div_scale_f64 v[164:165], vcc, 1.0, v[146:147], 1.0
	v_mul_f64 v[166:167], v[164:165], v[162:163]
	v_fma_f64 v[144:145], -v[144:145], v[166:167], v[164:165]
	s_nop 1
	v_div_fmas_f64 v[144:145], v[144:145], v[162:163], v[166:167]
	v_div_fixup_f64 v[146:147], v[144:145], v[146:147], 1.0
	v_mul_f64 v[144:145], v[160:161], v[146:147]
	v_xor_b32_e32 v147, 0x80000000, v147
.LBB70_385:
	s_andn2_saveexec_b64 s[16:17], s[16:17]
	s_cbranch_execz .LBB70_387
; %bb.386:
	v_div_scale_f64 v[160:161], s[18:19], v[144:145], v[144:145], v[146:147]
	v_rcp_f64_e32 v[162:163], v[160:161]
	v_div_scale_f64 v[164:165], vcc, v[146:147], v[144:145], v[146:147]
	v_fma_f64 v[166:167], -v[160:161], v[162:163], 1.0
	v_fmac_f64_e32 v[162:163], v[162:163], v[166:167]
	v_fma_f64 v[166:167], -v[160:161], v[162:163], 1.0
	v_fmac_f64_e32 v[162:163], v[162:163], v[166:167]
	v_mul_f64 v[166:167], v[164:165], v[162:163]
	v_fma_f64 v[160:161], -v[160:161], v[166:167], v[164:165]
	v_div_fmas_f64 v[160:161], v[160:161], v[162:163], v[166:167]
	v_div_fixup_f64 v[160:161], v[160:161], v[144:145], v[146:147]
	v_fmac_f64_e32 v[144:145], v[146:147], v[160:161]
	v_div_scale_f64 v[146:147], s[18:19], v[144:145], v[144:145], 1.0
	v_rcp_f64_e32 v[162:163], v[146:147]
	s_nop 0
	v_fma_f64 v[164:165], -v[146:147], v[162:163], 1.0
	v_fmac_f64_e32 v[162:163], v[162:163], v[164:165]
	v_fma_f64 v[164:165], -v[146:147], v[162:163], 1.0
	v_fmac_f64_e32 v[162:163], v[162:163], v[164:165]
	v_div_scale_f64 v[164:165], vcc, 1.0, v[144:145], 1.0
	v_mul_f64 v[166:167], v[164:165], v[162:163]
	v_fma_f64 v[146:147], -v[146:147], v[166:167], v[164:165]
	s_nop 1
	v_div_fmas_f64 v[146:147], v[146:147], v[162:163], v[166:167]
	v_div_fixup_f64 v[144:145], v[146:147], v[144:145], 1.0
	v_mul_f64 v[146:147], v[160:161], -v[144:145]
.LBB70_387:
	s_or_b64 exec, exec, s[16:17]
.LBB70_388:
	s_or_b64 exec, exec, s[0:1]
	v_cmp_ne_u32_e32 vcc, v157, v154
	s_and_saveexec_b64 s[0:1], vcc
	s_xor_b64 s[0:1], exec, s[0:1]
	s_cbranch_execz .LBB70_394
; %bb.389:
	v_cmp_eq_u32_e32 vcc, 18, v157
	s_and_saveexec_b64 s[16:17], vcc
	s_cbranch_execz .LBB70_393
; %bb.390:
	v_cmp_ne_u32_e32 vcc, 18, v154
	s_xor_b64 s[18:19], s[14:15], -1
	s_and_b64 s[22:23], s[18:19], vcc
	s_and_saveexec_b64 s[18:19], s[22:23]
	s_cbranch_execz .LBB70_392
; %bb.391:
	v_ashrrev_i32_e32 v155, 31, v154
	v_lshl_add_u64 v[160:161], v[154:155], 2, v[152:153]
	global_load_dword v155, v[160:161], off
	global_load_dword v157, v[152:153], off offset:72
	s_waitcnt vmcnt(1)
	global_store_dword v[152:153], v155, off offset:72
	s_waitcnt vmcnt(1)
	global_store_dword v[160:161], v157, off
.LBB70_392:
	s_or_b64 exec, exec, s[18:19]
	v_mov_b32_e32 v157, v154
	v_mov_b32_e32 v159, v154
.LBB70_393:
	s_or_b64 exec, exec, s[16:17]
.LBB70_394:
	s_andn2_saveexec_b64 s[0:1], s[0:1]
	s_cbranch_execz .LBB70_396
; %bb.395:
	v_mov_b32_e32 v157, 18
	s_waitcnt vmcnt(16)
	ds_write2_b64 v156, v[60:61], v[62:63] offset0:38 offset1:39
	s_waitcnt vmcnt(15)
	ds_write2_b64 v156, v[56:57], v[58:59] offset0:40 offset1:41
	;; [unrolled: 2-line block ×17, first 2 shown]
.LBB70_396:
	s_or_b64 exec, exec, s[0:1]
	v_cmp_lt_i32_e32 vcc, 18, v157
	s_waitcnt lgkmcnt(0)
	s_barrier
	s_and_saveexec_b64 s[0:1], vcc
	s_cbranch_execz .LBB70_398
; %bb.397:
	ds_read2_b64 v[160:163], v156 offset0:38 offset1:39
	v_mul_f64 v[154:155], v[146:147], v[66:67]
	v_mul_f64 v[66:67], v[144:145], v[66:67]
	v_fmac_f64_e32 v[66:67], v[146:147], v[64:65]
	v_fma_f64 v[154:155], v[144:145], v[64:65], -v[154:155]
	ds_read2_b64 v[144:147], v156 offset0:40 offset1:41
	s_waitcnt lgkmcnt(1)
	v_mul_f64 v[64:65], v[162:163], v[66:67]
	v_fma_f64 v[64:65], v[160:161], v[154:155], -v[64:65]
	v_mul_f64 v[160:161], v[160:161], v[66:67]
	v_fmac_f64_e32 v[160:161], v[162:163], v[154:155]
	s_waitcnt vmcnt(16)
	v_add_f64 v[62:63], v[62:63], -v[160:161]
	ds_read2_b64 v[160:163], v156 offset0:42 offset1:43
	v_add_f64 v[60:61], v[60:61], -v[64:65]
	s_waitcnt lgkmcnt(1)
	v_mul_f64 v[64:65], v[146:147], v[66:67]
	v_fma_f64 v[64:65], v[144:145], v[154:155], -v[64:65]
	v_mul_f64 v[144:145], v[144:145], v[66:67]
	v_fmac_f64_e32 v[144:145], v[146:147], v[154:155]
	s_waitcnt vmcnt(15)
	v_add_f64 v[56:57], v[56:57], -v[64:65]
	v_add_f64 v[58:59], v[58:59], -v[144:145]
	ds_read2_b64 v[144:147], v156 offset0:44 offset1:45
	s_waitcnt lgkmcnt(1)
	v_mul_f64 v[64:65], v[162:163], v[66:67]
	v_fma_f64 v[64:65], v[160:161], v[154:155], -v[64:65]
	v_mul_f64 v[160:161], v[160:161], v[66:67]
	v_fmac_f64_e32 v[160:161], v[162:163], v[154:155]
	s_waitcnt vmcnt(14)
	v_add_f64 v[54:55], v[54:55], -v[160:161]
	ds_read2_b64 v[160:163], v156 offset0:46 offset1:47
	v_add_f64 v[52:53], v[52:53], -v[64:65]
	s_waitcnt lgkmcnt(1)
	v_mul_f64 v[64:65], v[146:147], v[66:67]
	v_fma_f64 v[64:65], v[144:145], v[154:155], -v[64:65]
	v_mul_f64 v[144:145], v[144:145], v[66:67]
	v_fmac_f64_e32 v[144:145], v[146:147], v[154:155]
	s_waitcnt vmcnt(13)
	v_add_f64 v[48:49], v[48:49], -v[64:65]
	v_add_f64 v[50:51], v[50:51], -v[144:145]
	;; [unrolled: 18-line block ×8, first 2 shown]
	s_waitcnt lgkmcnt(0)
	v_mul_f64 v[64:65], v[162:163], v[66:67]
	v_mul_f64 v[144:145], v[160:161], v[66:67]
	v_fma_f64 v[64:65], v[160:161], v[154:155], -v[64:65]
	v_fmac_f64_e32 v[144:145], v[162:163], v[154:155]
	s_waitcnt vmcnt(0)
	v_add_f64 v[140:141], v[140:141], -v[64:65]
	v_add_f64 v[142:143], v[142:143], -v[144:145]
	v_mov_b64_e32 v[64:65], v[154:155]
.LBB70_398:
	s_or_b64 exec, exec, s[0:1]
	v_lshl_add_u32 v144, v157, 4, v156
	s_barrier
	s_waitcnt vmcnt(16)
	ds_write2_b64 v144, v[60:61], v[62:63] offset1:1
	s_waitcnt lgkmcnt(0)
	s_barrier
	ds_read2_b64 v[144:147], v156 offset0:38 offset1:39
	s_cmp_lt_i32 s20, 21
	v_mov_b32_e32 v154, 19
	s_cbranch_scc1 .LBB70_401
; %bb.399:
	v_add_u32_e32 v155, 0x140, v156
	s_mov_b32 s16, 20
	v_mov_b32_e32 v154, 19
.LBB70_400:                             ; =>This Inner Loop Header: Depth=1
	ds_read2_b64 v[160:163], v155 offset1:1
	s_waitcnt lgkmcnt(1)
	v_xor_b32_e32 v165, 0x80000000, v145
	v_xor_b32_e32 v167, 0x80000000, v147
	v_cmp_gt_f64_e32 vcc, 0, v[146:147]
	v_cmp_gt_f64_e64 s[0:1], 0, v[144:145]
	v_mov_b32_e32 v164, v144
	v_mov_b32_e32 v166, v146
	v_cndmask_b32_e64 v165, v145, v165, s[0:1]
	v_cndmask_b32_e32 v167, v147, v167, vcc
	v_add_f64 v[164:165], v[164:165], v[166:167]
	s_waitcnt lgkmcnt(0)
	v_xor_b32_e32 v167, 0x80000000, v161
	v_xor_b32_e32 v169, 0x80000000, v163
	v_cmp_gt_f64_e32 vcc, 0, v[162:163]
	v_cmp_gt_f64_e64 s[0:1], 0, v[160:161]
	v_mov_b32_e32 v166, v160
	v_mov_b32_e32 v168, v162
	v_cndmask_b32_e64 v167, v161, v167, s[0:1]
	v_cndmask_b32_e32 v169, v163, v169, vcc
	v_add_f64 v[166:167], v[166:167], v[168:169]
	v_mov_b32_e32 v170, s16
	s_add_i32 s16, s16, 1
	v_cmp_lt_f64_e32 vcc, v[164:165], v[166:167]
	v_add_u32_e32 v155, 16, v155
	s_cmp_lg_u32 s20, s16
	v_cndmask_b32_e32 v145, v145, v161, vcc
	v_cndmask_b32_e32 v144, v144, v160, vcc
	;; [unrolled: 1-line block ×5, first 2 shown]
	s_cbranch_scc1 .LBB70_400
.LBB70_401:
	s_waitcnt lgkmcnt(0)
	v_cmp_eq_f64_e32 vcc, 0, v[144:145]
	v_cmp_eq_f64_e64 s[0:1], 0, v[146:147]
	s_and_b64 s[0:1], vcc, s[0:1]
	s_and_saveexec_b64 s[16:17], s[0:1]
	s_xor_b64 s[0:1], exec, s[16:17]
; %bb.402:
	v_cmp_ne_u32_e32 vcc, 0, v158
	s_nop 1
	v_cndmask_b32_e32 v158, 20, v158, vcc
; %bb.403:
	s_andn2_saveexec_b64 s[0:1], s[0:1]
	s_cbranch_execz .LBB70_409
; %bb.404:
	v_cmp_ngt_f64_e64 s[16:17], |v[144:145]|, |v[146:147]|
	s_and_saveexec_b64 s[18:19], s[16:17]
	s_xor_b64 s[16:17], exec, s[18:19]
	s_cbranch_execz .LBB70_406
; %bb.405:
	v_div_scale_f64 v[160:161], s[18:19], v[146:147], v[146:147], v[144:145]
	v_rcp_f64_e32 v[162:163], v[160:161]
	v_div_scale_f64 v[164:165], vcc, v[144:145], v[146:147], v[144:145]
	v_fma_f64 v[166:167], -v[160:161], v[162:163], 1.0
	v_fmac_f64_e32 v[162:163], v[162:163], v[166:167]
	v_fma_f64 v[166:167], -v[160:161], v[162:163], 1.0
	v_fmac_f64_e32 v[162:163], v[162:163], v[166:167]
	v_mul_f64 v[166:167], v[164:165], v[162:163]
	v_fma_f64 v[160:161], -v[160:161], v[166:167], v[164:165]
	v_div_fmas_f64 v[160:161], v[160:161], v[162:163], v[166:167]
	v_div_fixup_f64 v[160:161], v[160:161], v[146:147], v[144:145]
	v_fmac_f64_e32 v[146:147], v[144:145], v[160:161]
	v_div_scale_f64 v[144:145], s[18:19], v[146:147], v[146:147], 1.0
	v_rcp_f64_e32 v[162:163], v[144:145]
	s_nop 0
	v_fma_f64 v[164:165], -v[144:145], v[162:163], 1.0
	v_fmac_f64_e32 v[162:163], v[162:163], v[164:165]
	v_fma_f64 v[164:165], -v[144:145], v[162:163], 1.0
	v_fmac_f64_e32 v[162:163], v[162:163], v[164:165]
	v_div_scale_f64 v[164:165], vcc, 1.0, v[146:147], 1.0
	v_mul_f64 v[166:167], v[164:165], v[162:163]
	v_fma_f64 v[144:145], -v[144:145], v[166:167], v[164:165]
	s_nop 1
	v_div_fmas_f64 v[144:145], v[144:145], v[162:163], v[166:167]
	v_div_fixup_f64 v[146:147], v[144:145], v[146:147], 1.0
	v_mul_f64 v[144:145], v[160:161], v[146:147]
	v_xor_b32_e32 v147, 0x80000000, v147
.LBB70_406:
	s_andn2_saveexec_b64 s[16:17], s[16:17]
	s_cbranch_execz .LBB70_408
; %bb.407:
	v_div_scale_f64 v[160:161], s[18:19], v[144:145], v[144:145], v[146:147]
	v_rcp_f64_e32 v[162:163], v[160:161]
	v_div_scale_f64 v[164:165], vcc, v[146:147], v[144:145], v[146:147]
	v_fma_f64 v[166:167], -v[160:161], v[162:163], 1.0
	v_fmac_f64_e32 v[162:163], v[162:163], v[166:167]
	v_fma_f64 v[166:167], -v[160:161], v[162:163], 1.0
	v_fmac_f64_e32 v[162:163], v[162:163], v[166:167]
	v_mul_f64 v[166:167], v[164:165], v[162:163]
	v_fma_f64 v[160:161], -v[160:161], v[166:167], v[164:165]
	v_div_fmas_f64 v[160:161], v[160:161], v[162:163], v[166:167]
	v_div_fixup_f64 v[160:161], v[160:161], v[144:145], v[146:147]
	v_fmac_f64_e32 v[144:145], v[146:147], v[160:161]
	v_div_scale_f64 v[146:147], s[18:19], v[144:145], v[144:145], 1.0
	v_rcp_f64_e32 v[162:163], v[146:147]
	s_nop 0
	v_fma_f64 v[164:165], -v[146:147], v[162:163], 1.0
	v_fmac_f64_e32 v[162:163], v[162:163], v[164:165]
	v_fma_f64 v[164:165], -v[146:147], v[162:163], 1.0
	v_fmac_f64_e32 v[162:163], v[162:163], v[164:165]
	v_div_scale_f64 v[164:165], vcc, 1.0, v[144:145], 1.0
	v_mul_f64 v[166:167], v[164:165], v[162:163]
	v_fma_f64 v[146:147], -v[146:147], v[166:167], v[164:165]
	s_nop 1
	v_div_fmas_f64 v[146:147], v[146:147], v[162:163], v[166:167]
	v_div_fixup_f64 v[144:145], v[146:147], v[144:145], 1.0
	v_mul_f64 v[146:147], v[160:161], -v[144:145]
.LBB70_408:
	s_or_b64 exec, exec, s[16:17]
.LBB70_409:
	s_or_b64 exec, exec, s[0:1]
	v_cmp_ne_u32_e32 vcc, v157, v154
	s_and_saveexec_b64 s[0:1], vcc
	s_xor_b64 s[0:1], exec, s[0:1]
	s_cbranch_execz .LBB70_415
; %bb.410:
	v_cmp_eq_u32_e32 vcc, 19, v157
	s_and_saveexec_b64 s[16:17], vcc
	s_cbranch_execz .LBB70_414
; %bb.411:
	v_cmp_ne_u32_e32 vcc, 19, v154
	s_xor_b64 s[18:19], s[14:15], -1
	s_and_b64 s[22:23], s[18:19], vcc
	s_and_saveexec_b64 s[18:19], s[22:23]
	s_cbranch_execz .LBB70_413
; %bb.412:
	v_ashrrev_i32_e32 v155, 31, v154
	v_lshl_add_u64 v[160:161], v[154:155], 2, v[152:153]
	global_load_dword v155, v[160:161], off
	global_load_dword v157, v[152:153], off offset:76
	s_waitcnt vmcnt(1)
	global_store_dword v[152:153], v155, off offset:76
	s_waitcnt vmcnt(1)
	global_store_dword v[160:161], v157, off
.LBB70_413:
	s_or_b64 exec, exec, s[18:19]
	v_mov_b32_e32 v157, v154
	v_mov_b32_e32 v159, v154
.LBB70_414:
	s_or_b64 exec, exec, s[16:17]
.LBB70_415:
	s_andn2_saveexec_b64 s[0:1], s[0:1]
	s_cbranch_execz .LBB70_417
; %bb.416:
	v_mov_b32_e32 v157, 19
	s_waitcnt vmcnt(15)
	ds_write2_b64 v156, v[56:57], v[58:59] offset0:40 offset1:41
	s_waitcnt vmcnt(14)
	ds_write2_b64 v156, v[52:53], v[54:55] offset0:42 offset1:43
	;; [unrolled: 2-line block ×16, first 2 shown]
.LBB70_417:
	s_or_b64 exec, exec, s[0:1]
	v_cmp_lt_i32_e32 vcc, 19, v157
	s_waitcnt lgkmcnt(0)
	s_barrier
	s_and_saveexec_b64 s[0:1], vcc
	s_cbranch_execz .LBB70_419
; %bb.418:
	ds_read2_b64 v[160:163], v156 offset0:40 offset1:41
	v_mul_f64 v[154:155], v[144:145], v[62:63]
	v_mul_f64 v[62:63], v[146:147], v[62:63]
	v_fmac_f64_e32 v[154:155], v[146:147], v[60:61]
	v_fma_f64 v[60:61], v[144:145], v[60:61], -v[62:63]
	ds_read2_b64 v[144:147], v156 offset0:42 offset1:43
	s_waitcnt lgkmcnt(1)
	v_mul_f64 v[62:63], v[162:163], v[154:155]
	v_fma_f64 v[62:63], v[160:161], v[60:61], -v[62:63]
	v_mul_f64 v[160:161], v[160:161], v[154:155]
	v_fmac_f64_e32 v[160:161], v[162:163], v[60:61]
	s_waitcnt vmcnt(15)
	v_add_f64 v[56:57], v[56:57], -v[62:63]
	s_waitcnt lgkmcnt(0)
	v_mul_f64 v[62:63], v[146:147], v[154:155]
	v_add_f64 v[58:59], v[58:59], -v[160:161]
	v_fma_f64 v[62:63], v[144:145], v[60:61], -v[62:63]
	v_mul_f64 v[144:145], v[144:145], v[154:155]
	ds_read2_b64 v[160:163], v156 offset0:44 offset1:45
	v_fmac_f64_e32 v[144:145], v[146:147], v[60:61]
	s_waitcnt vmcnt(14)
	v_add_f64 v[54:55], v[54:55], -v[144:145]
	ds_read2_b64 v[144:147], v156 offset0:46 offset1:47
	v_add_f64 v[52:53], v[52:53], -v[62:63]
	s_waitcnt lgkmcnt(1)
	v_mul_f64 v[62:63], v[162:163], v[154:155]
	v_fma_f64 v[62:63], v[160:161], v[60:61], -v[62:63]
	v_mul_f64 v[160:161], v[160:161], v[154:155]
	v_fmac_f64_e32 v[160:161], v[162:163], v[60:61]
	s_waitcnt vmcnt(13)
	v_add_f64 v[48:49], v[48:49], -v[62:63]
	s_waitcnt lgkmcnt(0)
	v_mul_f64 v[62:63], v[146:147], v[154:155]
	v_add_f64 v[50:51], v[50:51], -v[160:161]
	v_fma_f64 v[62:63], v[144:145], v[60:61], -v[62:63]
	v_mul_f64 v[144:145], v[144:145], v[154:155]
	ds_read2_b64 v[160:163], v156 offset0:48 offset1:49
	v_fmac_f64_e32 v[144:145], v[146:147], v[60:61]
	s_waitcnt vmcnt(12)
	v_add_f64 v[46:47], v[46:47], -v[144:145]
	ds_read2_b64 v[144:147], v156 offset0:50 offset1:51
	v_add_f64 v[44:45], v[44:45], -v[62:63]
	;; [unrolled: 18-line block ×7, first 2 shown]
	s_waitcnt lgkmcnt(1)
	v_mul_f64 v[62:63], v[162:163], v[154:155]
	v_fma_f64 v[62:63], v[160:161], v[60:61], -v[62:63]
	s_waitcnt vmcnt(1)
	v_add_f64 v[0:1], v[0:1], -v[62:63]
	s_waitcnt lgkmcnt(0)
	v_mul_f64 v[62:63], v[146:147], v[154:155]
	v_mul_f64 v[160:161], v[160:161], v[154:155]
	v_fma_f64 v[62:63], v[144:145], v[60:61], -v[62:63]
	v_mul_f64 v[144:145], v[144:145], v[154:155]
	v_fmac_f64_e32 v[160:161], v[162:163], v[60:61]
	v_fmac_f64_e32 v[144:145], v[146:147], v[60:61]
	v_add_f64 v[2:3], v[2:3], -v[160:161]
	s_waitcnt vmcnt(0)
	v_add_f64 v[140:141], v[140:141], -v[62:63]
	v_add_f64 v[142:143], v[142:143], -v[144:145]
	v_mov_b64_e32 v[62:63], v[154:155]
.LBB70_419:
	s_or_b64 exec, exec, s[0:1]
	v_lshl_add_u32 v144, v157, 4, v156
	s_barrier
	s_waitcnt vmcnt(15)
	ds_write2_b64 v144, v[56:57], v[58:59] offset1:1
	s_waitcnt lgkmcnt(0)
	s_barrier
	ds_read2_b64 v[144:147], v156 offset0:40 offset1:41
	s_cmp_lt_i32 s20, 22
	v_mov_b32_e32 v154, 20
	s_cbranch_scc1 .LBB70_422
; %bb.420:
	v_add_u32_e32 v155, 0x150, v156
	s_mov_b32 s16, 21
	v_mov_b32_e32 v154, 20
.LBB70_421:                             ; =>This Inner Loop Header: Depth=1
	ds_read2_b64 v[160:163], v155 offset1:1
	s_waitcnt lgkmcnt(1)
	v_xor_b32_e32 v165, 0x80000000, v145
	v_xor_b32_e32 v167, 0x80000000, v147
	v_cmp_gt_f64_e32 vcc, 0, v[146:147]
	v_cmp_gt_f64_e64 s[0:1], 0, v[144:145]
	v_mov_b32_e32 v164, v144
	v_mov_b32_e32 v166, v146
	v_cndmask_b32_e64 v165, v145, v165, s[0:1]
	v_cndmask_b32_e32 v167, v147, v167, vcc
	v_add_f64 v[164:165], v[164:165], v[166:167]
	s_waitcnt lgkmcnt(0)
	v_xor_b32_e32 v167, 0x80000000, v161
	v_xor_b32_e32 v169, 0x80000000, v163
	v_cmp_gt_f64_e32 vcc, 0, v[162:163]
	v_cmp_gt_f64_e64 s[0:1], 0, v[160:161]
	v_mov_b32_e32 v166, v160
	v_mov_b32_e32 v168, v162
	v_cndmask_b32_e64 v167, v161, v167, s[0:1]
	v_cndmask_b32_e32 v169, v163, v169, vcc
	v_add_f64 v[166:167], v[166:167], v[168:169]
	v_mov_b32_e32 v170, s16
	s_add_i32 s16, s16, 1
	v_cmp_lt_f64_e32 vcc, v[164:165], v[166:167]
	v_add_u32_e32 v155, 16, v155
	s_cmp_lg_u32 s20, s16
	v_cndmask_b32_e32 v145, v145, v161, vcc
	v_cndmask_b32_e32 v144, v144, v160, vcc
	;; [unrolled: 1-line block ×5, first 2 shown]
	s_cbranch_scc1 .LBB70_421
.LBB70_422:
	s_waitcnt lgkmcnt(0)
	v_cmp_eq_f64_e32 vcc, 0, v[144:145]
	v_cmp_eq_f64_e64 s[0:1], 0, v[146:147]
	s_and_b64 s[0:1], vcc, s[0:1]
	s_and_saveexec_b64 s[16:17], s[0:1]
	s_xor_b64 s[0:1], exec, s[16:17]
; %bb.423:
	v_cmp_ne_u32_e32 vcc, 0, v158
	s_nop 1
	v_cndmask_b32_e32 v158, 21, v158, vcc
; %bb.424:
	s_andn2_saveexec_b64 s[0:1], s[0:1]
	s_cbranch_execz .LBB70_430
; %bb.425:
	v_cmp_ngt_f64_e64 s[16:17], |v[144:145]|, |v[146:147]|
	s_and_saveexec_b64 s[18:19], s[16:17]
	s_xor_b64 s[16:17], exec, s[18:19]
	s_cbranch_execz .LBB70_427
; %bb.426:
	v_div_scale_f64 v[160:161], s[18:19], v[146:147], v[146:147], v[144:145]
	v_rcp_f64_e32 v[162:163], v[160:161]
	v_div_scale_f64 v[164:165], vcc, v[144:145], v[146:147], v[144:145]
	v_fma_f64 v[166:167], -v[160:161], v[162:163], 1.0
	v_fmac_f64_e32 v[162:163], v[162:163], v[166:167]
	v_fma_f64 v[166:167], -v[160:161], v[162:163], 1.0
	v_fmac_f64_e32 v[162:163], v[162:163], v[166:167]
	v_mul_f64 v[166:167], v[164:165], v[162:163]
	v_fma_f64 v[160:161], -v[160:161], v[166:167], v[164:165]
	v_div_fmas_f64 v[160:161], v[160:161], v[162:163], v[166:167]
	v_div_fixup_f64 v[160:161], v[160:161], v[146:147], v[144:145]
	v_fmac_f64_e32 v[146:147], v[144:145], v[160:161]
	v_div_scale_f64 v[144:145], s[18:19], v[146:147], v[146:147], 1.0
	v_rcp_f64_e32 v[162:163], v[144:145]
	s_nop 0
	v_fma_f64 v[164:165], -v[144:145], v[162:163], 1.0
	v_fmac_f64_e32 v[162:163], v[162:163], v[164:165]
	v_fma_f64 v[164:165], -v[144:145], v[162:163], 1.0
	v_fmac_f64_e32 v[162:163], v[162:163], v[164:165]
	v_div_scale_f64 v[164:165], vcc, 1.0, v[146:147], 1.0
	v_mul_f64 v[166:167], v[164:165], v[162:163]
	v_fma_f64 v[144:145], -v[144:145], v[166:167], v[164:165]
	s_nop 1
	v_div_fmas_f64 v[144:145], v[144:145], v[162:163], v[166:167]
	v_div_fixup_f64 v[146:147], v[144:145], v[146:147], 1.0
	v_mul_f64 v[144:145], v[160:161], v[146:147]
	v_xor_b32_e32 v147, 0x80000000, v147
.LBB70_427:
	s_andn2_saveexec_b64 s[16:17], s[16:17]
	s_cbranch_execz .LBB70_429
; %bb.428:
	v_div_scale_f64 v[160:161], s[18:19], v[144:145], v[144:145], v[146:147]
	v_rcp_f64_e32 v[162:163], v[160:161]
	v_div_scale_f64 v[164:165], vcc, v[146:147], v[144:145], v[146:147]
	v_fma_f64 v[166:167], -v[160:161], v[162:163], 1.0
	v_fmac_f64_e32 v[162:163], v[162:163], v[166:167]
	v_fma_f64 v[166:167], -v[160:161], v[162:163], 1.0
	v_fmac_f64_e32 v[162:163], v[162:163], v[166:167]
	v_mul_f64 v[166:167], v[164:165], v[162:163]
	v_fma_f64 v[160:161], -v[160:161], v[166:167], v[164:165]
	v_div_fmas_f64 v[160:161], v[160:161], v[162:163], v[166:167]
	v_div_fixup_f64 v[160:161], v[160:161], v[144:145], v[146:147]
	v_fmac_f64_e32 v[144:145], v[146:147], v[160:161]
	v_div_scale_f64 v[146:147], s[18:19], v[144:145], v[144:145], 1.0
	v_rcp_f64_e32 v[162:163], v[146:147]
	s_nop 0
	v_fma_f64 v[164:165], -v[146:147], v[162:163], 1.0
	v_fmac_f64_e32 v[162:163], v[162:163], v[164:165]
	v_fma_f64 v[164:165], -v[146:147], v[162:163], 1.0
	v_fmac_f64_e32 v[162:163], v[162:163], v[164:165]
	v_div_scale_f64 v[164:165], vcc, 1.0, v[144:145], 1.0
	v_mul_f64 v[166:167], v[164:165], v[162:163]
	v_fma_f64 v[146:147], -v[146:147], v[166:167], v[164:165]
	s_nop 1
	v_div_fmas_f64 v[146:147], v[146:147], v[162:163], v[166:167]
	v_div_fixup_f64 v[144:145], v[146:147], v[144:145], 1.0
	v_mul_f64 v[146:147], v[160:161], -v[144:145]
.LBB70_429:
	s_or_b64 exec, exec, s[16:17]
.LBB70_430:
	s_or_b64 exec, exec, s[0:1]
	v_cmp_ne_u32_e32 vcc, v157, v154
	s_and_saveexec_b64 s[0:1], vcc
	s_xor_b64 s[0:1], exec, s[0:1]
	s_cbranch_execz .LBB70_436
; %bb.431:
	v_cmp_eq_u32_e32 vcc, 20, v157
	s_and_saveexec_b64 s[16:17], vcc
	s_cbranch_execz .LBB70_435
; %bb.432:
	v_cmp_ne_u32_e32 vcc, 20, v154
	s_xor_b64 s[18:19], s[14:15], -1
	s_and_b64 s[22:23], s[18:19], vcc
	s_and_saveexec_b64 s[18:19], s[22:23]
	s_cbranch_execz .LBB70_434
; %bb.433:
	v_ashrrev_i32_e32 v155, 31, v154
	v_lshl_add_u64 v[160:161], v[154:155], 2, v[152:153]
	global_load_dword v155, v[160:161], off
	global_load_dword v157, v[152:153], off offset:80
	s_waitcnt vmcnt(1)
	global_store_dword v[152:153], v155, off offset:80
	s_waitcnt vmcnt(1)
	global_store_dword v[160:161], v157, off
.LBB70_434:
	s_or_b64 exec, exec, s[18:19]
	v_mov_b32_e32 v157, v154
	v_mov_b32_e32 v159, v154
.LBB70_435:
	s_or_b64 exec, exec, s[16:17]
.LBB70_436:
	s_andn2_saveexec_b64 s[0:1], s[0:1]
	s_cbranch_execz .LBB70_438
; %bb.437:
	v_mov_b32_e32 v157, 20
	s_waitcnt vmcnt(14)
	ds_write2_b64 v156, v[52:53], v[54:55] offset0:42 offset1:43
	s_waitcnt vmcnt(13)
	ds_write2_b64 v156, v[48:49], v[50:51] offset0:44 offset1:45
	;; [unrolled: 2-line block ×15, first 2 shown]
.LBB70_438:
	s_or_b64 exec, exec, s[0:1]
	v_cmp_lt_i32_e32 vcc, 20, v157
	s_waitcnt lgkmcnt(0)
	s_barrier
	s_and_saveexec_b64 s[0:1], vcc
	s_cbranch_execz .LBB70_440
; %bb.439:
	ds_read2_b64 v[160:163], v156 offset0:42 offset1:43
	v_mul_f64 v[154:155], v[144:145], v[58:59]
	v_fmac_f64_e32 v[154:155], v[146:147], v[56:57]
	v_mul_f64 v[58:59], v[146:147], v[58:59]
	v_fma_f64 v[56:57], v[144:145], v[56:57], -v[58:59]
	ds_read2_b64 v[144:147], v156 offset0:44 offset1:45
	s_waitcnt lgkmcnt(1)
	v_mul_f64 v[58:59], v[162:163], v[154:155]
	v_fma_f64 v[58:59], v[160:161], v[56:57], -v[58:59]
	v_mul_f64 v[160:161], v[160:161], v[154:155]
	v_fmac_f64_e32 v[160:161], v[162:163], v[56:57]
	s_waitcnt vmcnt(14)
	v_add_f64 v[54:55], v[54:55], -v[160:161]
	ds_read2_b64 v[160:163], v156 offset0:46 offset1:47
	v_add_f64 v[52:53], v[52:53], -v[58:59]
	s_waitcnt lgkmcnt(1)
	v_mul_f64 v[58:59], v[146:147], v[154:155]
	v_fma_f64 v[58:59], v[144:145], v[56:57], -v[58:59]
	v_mul_f64 v[144:145], v[144:145], v[154:155]
	v_fmac_f64_e32 v[144:145], v[146:147], v[56:57]
	s_waitcnt vmcnt(13)
	v_add_f64 v[48:49], v[48:49], -v[58:59]
	v_add_f64 v[50:51], v[50:51], -v[144:145]
	ds_read2_b64 v[144:147], v156 offset0:48 offset1:49
	s_waitcnt lgkmcnt(1)
	v_mul_f64 v[58:59], v[162:163], v[154:155]
	v_fma_f64 v[58:59], v[160:161], v[56:57], -v[58:59]
	v_mul_f64 v[160:161], v[160:161], v[154:155]
	v_fmac_f64_e32 v[160:161], v[162:163], v[56:57]
	s_waitcnt vmcnt(12)
	v_add_f64 v[46:47], v[46:47], -v[160:161]
	ds_read2_b64 v[160:163], v156 offset0:50 offset1:51
	v_add_f64 v[44:45], v[44:45], -v[58:59]
	s_waitcnt lgkmcnt(1)
	v_mul_f64 v[58:59], v[146:147], v[154:155]
	v_fma_f64 v[58:59], v[144:145], v[56:57], -v[58:59]
	v_mul_f64 v[144:145], v[144:145], v[154:155]
	v_fmac_f64_e32 v[144:145], v[146:147], v[56:57]
	s_waitcnt vmcnt(11)
	v_add_f64 v[40:41], v[40:41], -v[58:59]
	v_add_f64 v[42:43], v[42:43], -v[144:145]
	;; [unrolled: 18-line block ×7, first 2 shown]
	s_waitcnt lgkmcnt(0)
	v_mul_f64 v[58:59], v[162:163], v[154:155]
	v_mul_f64 v[144:145], v[160:161], v[154:155]
	v_fma_f64 v[58:59], v[160:161], v[56:57], -v[58:59]
	v_fmac_f64_e32 v[144:145], v[162:163], v[56:57]
	s_waitcnt vmcnt(0)
	v_add_f64 v[140:141], v[140:141], -v[58:59]
	v_add_f64 v[142:143], v[142:143], -v[144:145]
	v_mov_b64_e32 v[58:59], v[154:155]
.LBB70_440:
	s_or_b64 exec, exec, s[0:1]
	v_lshl_add_u32 v144, v157, 4, v156
	s_barrier
	s_waitcnt vmcnt(14)
	ds_write2_b64 v144, v[52:53], v[54:55] offset1:1
	s_waitcnt lgkmcnt(0)
	s_barrier
	ds_read2_b64 v[144:147], v156 offset0:42 offset1:43
	s_cmp_lt_i32 s20, 23
	v_mov_b32_e32 v154, 21
	s_cbranch_scc1 .LBB70_443
; %bb.441:
	v_add_u32_e32 v155, 0x160, v156
	s_mov_b32 s16, 22
	v_mov_b32_e32 v154, 21
.LBB70_442:                             ; =>This Inner Loop Header: Depth=1
	ds_read2_b64 v[160:163], v155 offset1:1
	s_waitcnt lgkmcnt(1)
	v_xor_b32_e32 v165, 0x80000000, v145
	v_xor_b32_e32 v167, 0x80000000, v147
	v_cmp_gt_f64_e32 vcc, 0, v[146:147]
	v_cmp_gt_f64_e64 s[0:1], 0, v[144:145]
	v_mov_b32_e32 v164, v144
	v_mov_b32_e32 v166, v146
	v_cndmask_b32_e64 v165, v145, v165, s[0:1]
	v_cndmask_b32_e32 v167, v147, v167, vcc
	v_add_f64 v[164:165], v[164:165], v[166:167]
	s_waitcnt lgkmcnt(0)
	v_xor_b32_e32 v167, 0x80000000, v161
	v_xor_b32_e32 v169, 0x80000000, v163
	v_cmp_gt_f64_e32 vcc, 0, v[162:163]
	v_cmp_gt_f64_e64 s[0:1], 0, v[160:161]
	v_mov_b32_e32 v166, v160
	v_mov_b32_e32 v168, v162
	v_cndmask_b32_e64 v167, v161, v167, s[0:1]
	v_cndmask_b32_e32 v169, v163, v169, vcc
	v_add_f64 v[166:167], v[166:167], v[168:169]
	v_mov_b32_e32 v170, s16
	s_add_i32 s16, s16, 1
	v_cmp_lt_f64_e32 vcc, v[164:165], v[166:167]
	v_add_u32_e32 v155, 16, v155
	s_cmp_lg_u32 s20, s16
	v_cndmask_b32_e32 v145, v145, v161, vcc
	v_cndmask_b32_e32 v144, v144, v160, vcc
	;; [unrolled: 1-line block ×5, first 2 shown]
	s_cbranch_scc1 .LBB70_442
.LBB70_443:
	s_waitcnt lgkmcnt(0)
	v_cmp_eq_f64_e32 vcc, 0, v[144:145]
	v_cmp_eq_f64_e64 s[0:1], 0, v[146:147]
	s_and_b64 s[0:1], vcc, s[0:1]
	s_and_saveexec_b64 s[16:17], s[0:1]
	s_xor_b64 s[0:1], exec, s[16:17]
; %bb.444:
	v_cmp_ne_u32_e32 vcc, 0, v158
	s_nop 1
	v_cndmask_b32_e32 v158, 22, v158, vcc
; %bb.445:
	s_andn2_saveexec_b64 s[0:1], s[0:1]
	s_cbranch_execz .LBB70_451
; %bb.446:
	v_cmp_ngt_f64_e64 s[16:17], |v[144:145]|, |v[146:147]|
	s_and_saveexec_b64 s[18:19], s[16:17]
	s_xor_b64 s[16:17], exec, s[18:19]
	s_cbranch_execz .LBB70_448
; %bb.447:
	v_div_scale_f64 v[160:161], s[18:19], v[146:147], v[146:147], v[144:145]
	v_rcp_f64_e32 v[162:163], v[160:161]
	v_div_scale_f64 v[164:165], vcc, v[144:145], v[146:147], v[144:145]
	v_fma_f64 v[166:167], -v[160:161], v[162:163], 1.0
	v_fmac_f64_e32 v[162:163], v[162:163], v[166:167]
	v_fma_f64 v[166:167], -v[160:161], v[162:163], 1.0
	v_fmac_f64_e32 v[162:163], v[162:163], v[166:167]
	v_mul_f64 v[166:167], v[164:165], v[162:163]
	v_fma_f64 v[160:161], -v[160:161], v[166:167], v[164:165]
	v_div_fmas_f64 v[160:161], v[160:161], v[162:163], v[166:167]
	v_div_fixup_f64 v[160:161], v[160:161], v[146:147], v[144:145]
	v_fmac_f64_e32 v[146:147], v[144:145], v[160:161]
	v_div_scale_f64 v[144:145], s[18:19], v[146:147], v[146:147], 1.0
	v_rcp_f64_e32 v[162:163], v[144:145]
	s_nop 0
	v_fma_f64 v[164:165], -v[144:145], v[162:163], 1.0
	v_fmac_f64_e32 v[162:163], v[162:163], v[164:165]
	v_fma_f64 v[164:165], -v[144:145], v[162:163], 1.0
	v_fmac_f64_e32 v[162:163], v[162:163], v[164:165]
	v_div_scale_f64 v[164:165], vcc, 1.0, v[146:147], 1.0
	v_mul_f64 v[166:167], v[164:165], v[162:163]
	v_fma_f64 v[144:145], -v[144:145], v[166:167], v[164:165]
	s_nop 1
	v_div_fmas_f64 v[144:145], v[144:145], v[162:163], v[166:167]
	v_div_fixup_f64 v[146:147], v[144:145], v[146:147], 1.0
	v_mul_f64 v[144:145], v[160:161], v[146:147]
	v_xor_b32_e32 v147, 0x80000000, v147
.LBB70_448:
	s_andn2_saveexec_b64 s[16:17], s[16:17]
	s_cbranch_execz .LBB70_450
; %bb.449:
	v_div_scale_f64 v[160:161], s[18:19], v[144:145], v[144:145], v[146:147]
	v_rcp_f64_e32 v[162:163], v[160:161]
	v_div_scale_f64 v[164:165], vcc, v[146:147], v[144:145], v[146:147]
	v_fma_f64 v[166:167], -v[160:161], v[162:163], 1.0
	v_fmac_f64_e32 v[162:163], v[162:163], v[166:167]
	v_fma_f64 v[166:167], -v[160:161], v[162:163], 1.0
	v_fmac_f64_e32 v[162:163], v[162:163], v[166:167]
	v_mul_f64 v[166:167], v[164:165], v[162:163]
	v_fma_f64 v[160:161], -v[160:161], v[166:167], v[164:165]
	v_div_fmas_f64 v[160:161], v[160:161], v[162:163], v[166:167]
	v_div_fixup_f64 v[160:161], v[160:161], v[144:145], v[146:147]
	v_fmac_f64_e32 v[144:145], v[146:147], v[160:161]
	v_div_scale_f64 v[146:147], s[18:19], v[144:145], v[144:145], 1.0
	v_rcp_f64_e32 v[162:163], v[146:147]
	s_nop 0
	v_fma_f64 v[164:165], -v[146:147], v[162:163], 1.0
	v_fmac_f64_e32 v[162:163], v[162:163], v[164:165]
	v_fma_f64 v[164:165], -v[146:147], v[162:163], 1.0
	v_fmac_f64_e32 v[162:163], v[162:163], v[164:165]
	v_div_scale_f64 v[164:165], vcc, 1.0, v[144:145], 1.0
	v_mul_f64 v[166:167], v[164:165], v[162:163]
	v_fma_f64 v[146:147], -v[146:147], v[166:167], v[164:165]
	s_nop 1
	v_div_fmas_f64 v[146:147], v[146:147], v[162:163], v[166:167]
	v_div_fixup_f64 v[144:145], v[146:147], v[144:145], 1.0
	v_mul_f64 v[146:147], v[160:161], -v[144:145]
.LBB70_450:
	s_or_b64 exec, exec, s[16:17]
.LBB70_451:
	s_or_b64 exec, exec, s[0:1]
	v_cmp_ne_u32_e32 vcc, v157, v154
	s_and_saveexec_b64 s[0:1], vcc
	s_xor_b64 s[0:1], exec, s[0:1]
	s_cbranch_execz .LBB70_457
; %bb.452:
	v_cmp_eq_u32_e32 vcc, 21, v157
	s_and_saveexec_b64 s[16:17], vcc
	s_cbranch_execz .LBB70_456
; %bb.453:
	v_cmp_ne_u32_e32 vcc, 21, v154
	s_xor_b64 s[18:19], s[14:15], -1
	s_and_b64 s[22:23], s[18:19], vcc
	s_and_saveexec_b64 s[18:19], s[22:23]
	s_cbranch_execz .LBB70_455
; %bb.454:
	v_ashrrev_i32_e32 v155, 31, v154
	v_lshl_add_u64 v[160:161], v[154:155], 2, v[152:153]
	global_load_dword v155, v[160:161], off
	global_load_dword v157, v[152:153], off offset:84
	s_waitcnt vmcnt(1)
	global_store_dword v[152:153], v155, off offset:84
	s_waitcnt vmcnt(1)
	global_store_dword v[160:161], v157, off
.LBB70_455:
	s_or_b64 exec, exec, s[18:19]
	v_mov_b32_e32 v157, v154
	v_mov_b32_e32 v159, v154
.LBB70_456:
	s_or_b64 exec, exec, s[16:17]
.LBB70_457:
	s_andn2_saveexec_b64 s[0:1], s[0:1]
	s_cbranch_execz .LBB70_459
; %bb.458:
	v_mov_b32_e32 v157, 21
	s_waitcnt vmcnt(13)
	ds_write2_b64 v156, v[48:49], v[50:51] offset0:44 offset1:45
	s_waitcnt vmcnt(12)
	ds_write2_b64 v156, v[44:45], v[46:47] offset0:46 offset1:47
	;; [unrolled: 2-line block ×14, first 2 shown]
.LBB70_459:
	s_or_b64 exec, exec, s[0:1]
	v_cmp_lt_i32_e32 vcc, 21, v157
	s_waitcnt lgkmcnt(0)
	s_barrier
	s_and_saveexec_b64 s[0:1], vcc
	s_cbranch_execz .LBB70_461
; %bb.460:
	ds_read2_b64 v[160:163], v156 offset0:44 offset1:45
	v_mul_f64 v[154:155], v[144:145], v[54:55]
	v_mul_f64 v[54:55], v[146:147], v[54:55]
	v_fmac_f64_e32 v[154:155], v[146:147], v[52:53]
	v_fma_f64 v[52:53], v[144:145], v[52:53], -v[54:55]
	ds_read2_b64 v[144:147], v156 offset0:46 offset1:47
	s_waitcnt lgkmcnt(1)
	v_mul_f64 v[54:55], v[162:163], v[154:155]
	v_fma_f64 v[54:55], v[160:161], v[52:53], -v[54:55]
	v_mul_f64 v[160:161], v[160:161], v[154:155]
	v_fmac_f64_e32 v[160:161], v[162:163], v[52:53]
	s_waitcnt vmcnt(13)
	v_add_f64 v[48:49], v[48:49], -v[54:55]
	s_waitcnt lgkmcnt(0)
	v_mul_f64 v[54:55], v[146:147], v[154:155]
	v_add_f64 v[50:51], v[50:51], -v[160:161]
	v_fma_f64 v[54:55], v[144:145], v[52:53], -v[54:55]
	v_mul_f64 v[144:145], v[144:145], v[154:155]
	ds_read2_b64 v[160:163], v156 offset0:48 offset1:49
	v_fmac_f64_e32 v[144:145], v[146:147], v[52:53]
	s_waitcnt vmcnt(12)
	v_add_f64 v[46:47], v[46:47], -v[144:145]
	ds_read2_b64 v[144:147], v156 offset0:50 offset1:51
	v_add_f64 v[44:45], v[44:45], -v[54:55]
	s_waitcnt lgkmcnt(1)
	v_mul_f64 v[54:55], v[162:163], v[154:155]
	v_fma_f64 v[54:55], v[160:161], v[52:53], -v[54:55]
	v_mul_f64 v[160:161], v[160:161], v[154:155]
	v_fmac_f64_e32 v[160:161], v[162:163], v[52:53]
	s_waitcnt vmcnt(11)
	v_add_f64 v[40:41], v[40:41], -v[54:55]
	s_waitcnt lgkmcnt(0)
	v_mul_f64 v[54:55], v[146:147], v[154:155]
	v_add_f64 v[42:43], v[42:43], -v[160:161]
	v_fma_f64 v[54:55], v[144:145], v[52:53], -v[54:55]
	v_mul_f64 v[144:145], v[144:145], v[154:155]
	ds_read2_b64 v[160:163], v156 offset0:52 offset1:53
	v_fmac_f64_e32 v[144:145], v[146:147], v[52:53]
	s_waitcnt vmcnt(10)
	v_add_f64 v[38:39], v[38:39], -v[144:145]
	ds_read2_b64 v[144:147], v156 offset0:54 offset1:55
	v_add_f64 v[36:37], v[36:37], -v[54:55]
	;; [unrolled: 18-line block ×6, first 2 shown]
	s_waitcnt lgkmcnt(1)
	v_mul_f64 v[54:55], v[162:163], v[154:155]
	v_fma_f64 v[54:55], v[160:161], v[52:53], -v[54:55]
	s_waitcnt vmcnt(1)
	v_add_f64 v[0:1], v[0:1], -v[54:55]
	s_waitcnt lgkmcnt(0)
	v_mul_f64 v[54:55], v[146:147], v[154:155]
	v_mul_f64 v[160:161], v[160:161], v[154:155]
	v_fma_f64 v[54:55], v[144:145], v[52:53], -v[54:55]
	v_mul_f64 v[144:145], v[144:145], v[154:155]
	v_fmac_f64_e32 v[160:161], v[162:163], v[52:53]
	v_fmac_f64_e32 v[144:145], v[146:147], v[52:53]
	v_add_f64 v[2:3], v[2:3], -v[160:161]
	s_waitcnt vmcnt(0)
	v_add_f64 v[140:141], v[140:141], -v[54:55]
	v_add_f64 v[142:143], v[142:143], -v[144:145]
	v_mov_b64_e32 v[54:55], v[154:155]
.LBB70_461:
	s_or_b64 exec, exec, s[0:1]
	v_lshl_add_u32 v144, v157, 4, v156
	s_barrier
	s_waitcnt vmcnt(13)
	ds_write2_b64 v144, v[48:49], v[50:51] offset1:1
	s_waitcnt lgkmcnt(0)
	s_barrier
	ds_read2_b64 v[144:147], v156 offset0:44 offset1:45
	s_cmp_lt_i32 s20, 24
	v_mov_b32_e32 v154, 22
	s_cbranch_scc1 .LBB70_464
; %bb.462:
	v_add_u32_e32 v155, 0x170, v156
	s_mov_b32 s16, 23
	v_mov_b32_e32 v154, 22
.LBB70_463:                             ; =>This Inner Loop Header: Depth=1
	ds_read2_b64 v[160:163], v155 offset1:1
	s_waitcnt lgkmcnt(1)
	v_xor_b32_e32 v165, 0x80000000, v145
	v_xor_b32_e32 v167, 0x80000000, v147
	v_cmp_gt_f64_e32 vcc, 0, v[146:147]
	v_cmp_gt_f64_e64 s[0:1], 0, v[144:145]
	v_mov_b32_e32 v164, v144
	v_mov_b32_e32 v166, v146
	v_cndmask_b32_e64 v165, v145, v165, s[0:1]
	v_cndmask_b32_e32 v167, v147, v167, vcc
	v_add_f64 v[164:165], v[164:165], v[166:167]
	s_waitcnt lgkmcnt(0)
	v_xor_b32_e32 v167, 0x80000000, v161
	v_xor_b32_e32 v169, 0x80000000, v163
	v_cmp_gt_f64_e32 vcc, 0, v[162:163]
	v_cmp_gt_f64_e64 s[0:1], 0, v[160:161]
	v_mov_b32_e32 v166, v160
	v_mov_b32_e32 v168, v162
	v_cndmask_b32_e64 v167, v161, v167, s[0:1]
	v_cndmask_b32_e32 v169, v163, v169, vcc
	v_add_f64 v[166:167], v[166:167], v[168:169]
	v_mov_b32_e32 v170, s16
	s_add_i32 s16, s16, 1
	v_cmp_lt_f64_e32 vcc, v[164:165], v[166:167]
	v_add_u32_e32 v155, 16, v155
	s_cmp_lg_u32 s20, s16
	v_cndmask_b32_e32 v145, v145, v161, vcc
	v_cndmask_b32_e32 v144, v144, v160, vcc
	;; [unrolled: 1-line block ×5, first 2 shown]
	s_cbranch_scc1 .LBB70_463
.LBB70_464:
	s_waitcnt lgkmcnt(0)
	v_cmp_eq_f64_e32 vcc, 0, v[144:145]
	v_cmp_eq_f64_e64 s[0:1], 0, v[146:147]
	s_and_b64 s[0:1], vcc, s[0:1]
	s_and_saveexec_b64 s[16:17], s[0:1]
	s_xor_b64 s[0:1], exec, s[16:17]
; %bb.465:
	v_cmp_ne_u32_e32 vcc, 0, v158
	s_nop 1
	v_cndmask_b32_e32 v158, 23, v158, vcc
; %bb.466:
	s_andn2_saveexec_b64 s[0:1], s[0:1]
	s_cbranch_execz .LBB70_472
; %bb.467:
	v_cmp_ngt_f64_e64 s[16:17], |v[144:145]|, |v[146:147]|
	s_and_saveexec_b64 s[18:19], s[16:17]
	s_xor_b64 s[16:17], exec, s[18:19]
	s_cbranch_execz .LBB70_469
; %bb.468:
	v_div_scale_f64 v[160:161], s[18:19], v[146:147], v[146:147], v[144:145]
	v_rcp_f64_e32 v[162:163], v[160:161]
	v_div_scale_f64 v[164:165], vcc, v[144:145], v[146:147], v[144:145]
	v_fma_f64 v[166:167], -v[160:161], v[162:163], 1.0
	v_fmac_f64_e32 v[162:163], v[162:163], v[166:167]
	v_fma_f64 v[166:167], -v[160:161], v[162:163], 1.0
	v_fmac_f64_e32 v[162:163], v[162:163], v[166:167]
	v_mul_f64 v[166:167], v[164:165], v[162:163]
	v_fma_f64 v[160:161], -v[160:161], v[166:167], v[164:165]
	v_div_fmas_f64 v[160:161], v[160:161], v[162:163], v[166:167]
	v_div_fixup_f64 v[160:161], v[160:161], v[146:147], v[144:145]
	v_fmac_f64_e32 v[146:147], v[144:145], v[160:161]
	v_div_scale_f64 v[144:145], s[18:19], v[146:147], v[146:147], 1.0
	v_rcp_f64_e32 v[162:163], v[144:145]
	s_nop 0
	v_fma_f64 v[164:165], -v[144:145], v[162:163], 1.0
	v_fmac_f64_e32 v[162:163], v[162:163], v[164:165]
	v_fma_f64 v[164:165], -v[144:145], v[162:163], 1.0
	v_fmac_f64_e32 v[162:163], v[162:163], v[164:165]
	v_div_scale_f64 v[164:165], vcc, 1.0, v[146:147], 1.0
	v_mul_f64 v[166:167], v[164:165], v[162:163]
	v_fma_f64 v[144:145], -v[144:145], v[166:167], v[164:165]
	s_nop 1
	v_div_fmas_f64 v[144:145], v[144:145], v[162:163], v[166:167]
	v_div_fixup_f64 v[146:147], v[144:145], v[146:147], 1.0
	v_mul_f64 v[144:145], v[160:161], v[146:147]
	v_xor_b32_e32 v147, 0x80000000, v147
.LBB70_469:
	s_andn2_saveexec_b64 s[16:17], s[16:17]
	s_cbranch_execz .LBB70_471
; %bb.470:
	v_div_scale_f64 v[160:161], s[18:19], v[144:145], v[144:145], v[146:147]
	v_rcp_f64_e32 v[162:163], v[160:161]
	v_div_scale_f64 v[164:165], vcc, v[146:147], v[144:145], v[146:147]
	v_fma_f64 v[166:167], -v[160:161], v[162:163], 1.0
	v_fmac_f64_e32 v[162:163], v[162:163], v[166:167]
	v_fma_f64 v[166:167], -v[160:161], v[162:163], 1.0
	v_fmac_f64_e32 v[162:163], v[162:163], v[166:167]
	v_mul_f64 v[166:167], v[164:165], v[162:163]
	v_fma_f64 v[160:161], -v[160:161], v[166:167], v[164:165]
	v_div_fmas_f64 v[160:161], v[160:161], v[162:163], v[166:167]
	v_div_fixup_f64 v[160:161], v[160:161], v[144:145], v[146:147]
	v_fmac_f64_e32 v[144:145], v[146:147], v[160:161]
	v_div_scale_f64 v[146:147], s[18:19], v[144:145], v[144:145], 1.0
	v_rcp_f64_e32 v[162:163], v[146:147]
	s_nop 0
	v_fma_f64 v[164:165], -v[146:147], v[162:163], 1.0
	v_fmac_f64_e32 v[162:163], v[162:163], v[164:165]
	v_fma_f64 v[164:165], -v[146:147], v[162:163], 1.0
	v_fmac_f64_e32 v[162:163], v[162:163], v[164:165]
	v_div_scale_f64 v[164:165], vcc, 1.0, v[144:145], 1.0
	v_mul_f64 v[166:167], v[164:165], v[162:163]
	v_fma_f64 v[146:147], -v[146:147], v[166:167], v[164:165]
	s_nop 1
	v_div_fmas_f64 v[146:147], v[146:147], v[162:163], v[166:167]
	v_div_fixup_f64 v[144:145], v[146:147], v[144:145], 1.0
	v_mul_f64 v[146:147], v[160:161], -v[144:145]
.LBB70_471:
	s_or_b64 exec, exec, s[16:17]
.LBB70_472:
	s_or_b64 exec, exec, s[0:1]
	v_cmp_ne_u32_e32 vcc, v157, v154
	s_and_saveexec_b64 s[0:1], vcc
	s_xor_b64 s[0:1], exec, s[0:1]
	s_cbranch_execz .LBB70_478
; %bb.473:
	v_cmp_eq_u32_e32 vcc, 22, v157
	s_and_saveexec_b64 s[16:17], vcc
	s_cbranch_execz .LBB70_477
; %bb.474:
	v_cmp_ne_u32_e32 vcc, 22, v154
	s_xor_b64 s[18:19], s[14:15], -1
	s_and_b64 s[22:23], s[18:19], vcc
	s_and_saveexec_b64 s[18:19], s[22:23]
	s_cbranch_execz .LBB70_476
; %bb.475:
	v_ashrrev_i32_e32 v155, 31, v154
	v_lshl_add_u64 v[160:161], v[154:155], 2, v[152:153]
	global_load_dword v155, v[160:161], off
	global_load_dword v157, v[152:153], off offset:88
	s_waitcnt vmcnt(1)
	global_store_dword v[152:153], v155, off offset:88
	s_waitcnt vmcnt(1)
	global_store_dword v[160:161], v157, off
.LBB70_476:
	s_or_b64 exec, exec, s[18:19]
	v_mov_b32_e32 v157, v154
	v_mov_b32_e32 v159, v154
.LBB70_477:
	s_or_b64 exec, exec, s[16:17]
.LBB70_478:
	s_andn2_saveexec_b64 s[0:1], s[0:1]
	s_cbranch_execz .LBB70_480
; %bb.479:
	v_mov_b32_e32 v157, 22
	s_waitcnt vmcnt(12)
	ds_write2_b64 v156, v[44:45], v[46:47] offset0:46 offset1:47
	s_waitcnt vmcnt(11)
	ds_write2_b64 v156, v[40:41], v[42:43] offset0:48 offset1:49
	;; [unrolled: 2-line block ×13, first 2 shown]
.LBB70_480:
	s_or_b64 exec, exec, s[0:1]
	v_cmp_lt_i32_e32 vcc, 22, v157
	s_waitcnt lgkmcnt(0)
	s_barrier
	s_and_saveexec_b64 s[0:1], vcc
	s_cbranch_execz .LBB70_482
; %bb.481:
	ds_read2_b64 v[160:163], v156 offset0:46 offset1:47
	v_mul_f64 v[154:155], v[144:145], v[50:51]
	v_fmac_f64_e32 v[154:155], v[146:147], v[48:49]
	v_mul_f64 v[50:51], v[146:147], v[50:51]
	v_fma_f64 v[48:49], v[144:145], v[48:49], -v[50:51]
	ds_read2_b64 v[144:147], v156 offset0:48 offset1:49
	s_waitcnt lgkmcnt(1)
	v_mul_f64 v[50:51], v[162:163], v[154:155]
	v_fma_f64 v[50:51], v[160:161], v[48:49], -v[50:51]
	v_mul_f64 v[160:161], v[160:161], v[154:155]
	v_fmac_f64_e32 v[160:161], v[162:163], v[48:49]
	s_waitcnt vmcnt(12)
	v_add_f64 v[46:47], v[46:47], -v[160:161]
	ds_read2_b64 v[160:163], v156 offset0:50 offset1:51
	v_add_f64 v[44:45], v[44:45], -v[50:51]
	s_waitcnt lgkmcnt(1)
	v_mul_f64 v[50:51], v[146:147], v[154:155]
	v_fma_f64 v[50:51], v[144:145], v[48:49], -v[50:51]
	v_mul_f64 v[144:145], v[144:145], v[154:155]
	v_fmac_f64_e32 v[144:145], v[146:147], v[48:49]
	s_waitcnt vmcnt(11)
	v_add_f64 v[40:41], v[40:41], -v[50:51]
	v_add_f64 v[42:43], v[42:43], -v[144:145]
	ds_read2_b64 v[144:147], v156 offset0:52 offset1:53
	s_waitcnt lgkmcnt(1)
	v_mul_f64 v[50:51], v[162:163], v[154:155]
	v_fma_f64 v[50:51], v[160:161], v[48:49], -v[50:51]
	v_mul_f64 v[160:161], v[160:161], v[154:155]
	v_fmac_f64_e32 v[160:161], v[162:163], v[48:49]
	s_waitcnt vmcnt(10)
	v_add_f64 v[38:39], v[38:39], -v[160:161]
	ds_read2_b64 v[160:163], v156 offset0:54 offset1:55
	v_add_f64 v[36:37], v[36:37], -v[50:51]
	s_waitcnt lgkmcnt(1)
	v_mul_f64 v[50:51], v[146:147], v[154:155]
	v_fma_f64 v[50:51], v[144:145], v[48:49], -v[50:51]
	v_mul_f64 v[144:145], v[144:145], v[154:155]
	v_fmac_f64_e32 v[144:145], v[146:147], v[48:49]
	s_waitcnt vmcnt(9)
	v_add_f64 v[32:33], v[32:33], -v[50:51]
	v_add_f64 v[34:35], v[34:35], -v[144:145]
	;; [unrolled: 18-line block ×6, first 2 shown]
	s_waitcnt lgkmcnt(0)
	v_mul_f64 v[50:51], v[162:163], v[154:155]
	v_mul_f64 v[144:145], v[160:161], v[154:155]
	v_fma_f64 v[50:51], v[160:161], v[48:49], -v[50:51]
	v_fmac_f64_e32 v[144:145], v[162:163], v[48:49]
	s_waitcnt vmcnt(0)
	v_add_f64 v[140:141], v[140:141], -v[50:51]
	v_add_f64 v[142:143], v[142:143], -v[144:145]
	v_mov_b64_e32 v[50:51], v[154:155]
.LBB70_482:
	s_or_b64 exec, exec, s[0:1]
	v_lshl_add_u32 v144, v157, 4, v156
	s_barrier
	s_waitcnt vmcnt(12)
	ds_write2_b64 v144, v[44:45], v[46:47] offset1:1
	s_waitcnt lgkmcnt(0)
	s_barrier
	ds_read2_b64 v[144:147], v156 offset0:46 offset1:47
	s_cmp_lt_i32 s20, 25
	v_mov_b32_e32 v154, 23
	s_cbranch_scc1 .LBB70_485
; %bb.483:
	v_add_u32_e32 v155, 0x180, v156
	s_mov_b32 s16, 24
	v_mov_b32_e32 v154, 23
.LBB70_484:                             ; =>This Inner Loop Header: Depth=1
	ds_read2_b64 v[160:163], v155 offset1:1
	s_waitcnt lgkmcnt(1)
	v_xor_b32_e32 v165, 0x80000000, v145
	v_xor_b32_e32 v167, 0x80000000, v147
	v_cmp_gt_f64_e32 vcc, 0, v[146:147]
	v_cmp_gt_f64_e64 s[0:1], 0, v[144:145]
	v_mov_b32_e32 v164, v144
	v_mov_b32_e32 v166, v146
	v_cndmask_b32_e64 v165, v145, v165, s[0:1]
	v_cndmask_b32_e32 v167, v147, v167, vcc
	v_add_f64 v[164:165], v[164:165], v[166:167]
	s_waitcnt lgkmcnt(0)
	v_xor_b32_e32 v167, 0x80000000, v161
	v_xor_b32_e32 v169, 0x80000000, v163
	v_cmp_gt_f64_e32 vcc, 0, v[162:163]
	v_cmp_gt_f64_e64 s[0:1], 0, v[160:161]
	v_mov_b32_e32 v166, v160
	v_mov_b32_e32 v168, v162
	v_cndmask_b32_e64 v167, v161, v167, s[0:1]
	v_cndmask_b32_e32 v169, v163, v169, vcc
	v_add_f64 v[166:167], v[166:167], v[168:169]
	v_mov_b32_e32 v170, s16
	s_add_i32 s16, s16, 1
	v_cmp_lt_f64_e32 vcc, v[164:165], v[166:167]
	v_add_u32_e32 v155, 16, v155
	s_cmp_lg_u32 s20, s16
	v_cndmask_b32_e32 v145, v145, v161, vcc
	v_cndmask_b32_e32 v144, v144, v160, vcc
	;; [unrolled: 1-line block ×5, first 2 shown]
	s_cbranch_scc1 .LBB70_484
.LBB70_485:
	s_waitcnt lgkmcnt(0)
	v_cmp_eq_f64_e32 vcc, 0, v[144:145]
	v_cmp_eq_f64_e64 s[0:1], 0, v[146:147]
	s_and_b64 s[0:1], vcc, s[0:1]
	s_and_saveexec_b64 s[16:17], s[0:1]
	s_xor_b64 s[0:1], exec, s[16:17]
; %bb.486:
	v_cmp_ne_u32_e32 vcc, 0, v158
	s_nop 1
	v_cndmask_b32_e32 v158, 24, v158, vcc
; %bb.487:
	s_andn2_saveexec_b64 s[0:1], s[0:1]
	s_cbranch_execz .LBB70_493
; %bb.488:
	v_cmp_ngt_f64_e64 s[16:17], |v[144:145]|, |v[146:147]|
	s_and_saveexec_b64 s[18:19], s[16:17]
	s_xor_b64 s[16:17], exec, s[18:19]
	s_cbranch_execz .LBB70_490
; %bb.489:
	v_div_scale_f64 v[160:161], s[18:19], v[146:147], v[146:147], v[144:145]
	v_rcp_f64_e32 v[162:163], v[160:161]
	v_div_scale_f64 v[164:165], vcc, v[144:145], v[146:147], v[144:145]
	v_fma_f64 v[166:167], -v[160:161], v[162:163], 1.0
	v_fmac_f64_e32 v[162:163], v[162:163], v[166:167]
	v_fma_f64 v[166:167], -v[160:161], v[162:163], 1.0
	v_fmac_f64_e32 v[162:163], v[162:163], v[166:167]
	v_mul_f64 v[166:167], v[164:165], v[162:163]
	v_fma_f64 v[160:161], -v[160:161], v[166:167], v[164:165]
	v_div_fmas_f64 v[160:161], v[160:161], v[162:163], v[166:167]
	v_div_fixup_f64 v[160:161], v[160:161], v[146:147], v[144:145]
	v_fmac_f64_e32 v[146:147], v[144:145], v[160:161]
	v_div_scale_f64 v[144:145], s[18:19], v[146:147], v[146:147], 1.0
	v_rcp_f64_e32 v[162:163], v[144:145]
	s_nop 0
	v_fma_f64 v[164:165], -v[144:145], v[162:163], 1.0
	v_fmac_f64_e32 v[162:163], v[162:163], v[164:165]
	v_fma_f64 v[164:165], -v[144:145], v[162:163], 1.0
	v_fmac_f64_e32 v[162:163], v[162:163], v[164:165]
	v_div_scale_f64 v[164:165], vcc, 1.0, v[146:147], 1.0
	v_mul_f64 v[166:167], v[164:165], v[162:163]
	v_fma_f64 v[144:145], -v[144:145], v[166:167], v[164:165]
	s_nop 1
	v_div_fmas_f64 v[144:145], v[144:145], v[162:163], v[166:167]
	v_div_fixup_f64 v[146:147], v[144:145], v[146:147], 1.0
	v_mul_f64 v[144:145], v[160:161], v[146:147]
	v_xor_b32_e32 v147, 0x80000000, v147
.LBB70_490:
	s_andn2_saveexec_b64 s[16:17], s[16:17]
	s_cbranch_execz .LBB70_492
; %bb.491:
	v_div_scale_f64 v[160:161], s[18:19], v[144:145], v[144:145], v[146:147]
	v_rcp_f64_e32 v[162:163], v[160:161]
	v_div_scale_f64 v[164:165], vcc, v[146:147], v[144:145], v[146:147]
	v_fma_f64 v[166:167], -v[160:161], v[162:163], 1.0
	v_fmac_f64_e32 v[162:163], v[162:163], v[166:167]
	v_fma_f64 v[166:167], -v[160:161], v[162:163], 1.0
	v_fmac_f64_e32 v[162:163], v[162:163], v[166:167]
	v_mul_f64 v[166:167], v[164:165], v[162:163]
	v_fma_f64 v[160:161], -v[160:161], v[166:167], v[164:165]
	v_div_fmas_f64 v[160:161], v[160:161], v[162:163], v[166:167]
	v_div_fixup_f64 v[160:161], v[160:161], v[144:145], v[146:147]
	v_fmac_f64_e32 v[144:145], v[146:147], v[160:161]
	v_div_scale_f64 v[146:147], s[18:19], v[144:145], v[144:145], 1.0
	v_rcp_f64_e32 v[162:163], v[146:147]
	s_nop 0
	v_fma_f64 v[164:165], -v[146:147], v[162:163], 1.0
	v_fmac_f64_e32 v[162:163], v[162:163], v[164:165]
	v_fma_f64 v[164:165], -v[146:147], v[162:163], 1.0
	v_fmac_f64_e32 v[162:163], v[162:163], v[164:165]
	v_div_scale_f64 v[164:165], vcc, 1.0, v[144:145], 1.0
	v_mul_f64 v[166:167], v[164:165], v[162:163]
	v_fma_f64 v[146:147], -v[146:147], v[166:167], v[164:165]
	s_nop 1
	v_div_fmas_f64 v[146:147], v[146:147], v[162:163], v[166:167]
	v_div_fixup_f64 v[144:145], v[146:147], v[144:145], 1.0
	v_mul_f64 v[146:147], v[160:161], -v[144:145]
.LBB70_492:
	s_or_b64 exec, exec, s[16:17]
.LBB70_493:
	s_or_b64 exec, exec, s[0:1]
	v_cmp_ne_u32_e32 vcc, v157, v154
	s_and_saveexec_b64 s[0:1], vcc
	s_xor_b64 s[0:1], exec, s[0:1]
	s_cbranch_execz .LBB70_499
; %bb.494:
	v_cmp_eq_u32_e32 vcc, 23, v157
	s_and_saveexec_b64 s[16:17], vcc
	s_cbranch_execz .LBB70_498
; %bb.495:
	v_cmp_ne_u32_e32 vcc, 23, v154
	s_xor_b64 s[18:19], s[14:15], -1
	s_and_b64 s[22:23], s[18:19], vcc
	s_and_saveexec_b64 s[18:19], s[22:23]
	s_cbranch_execz .LBB70_497
; %bb.496:
	v_ashrrev_i32_e32 v155, 31, v154
	v_lshl_add_u64 v[160:161], v[154:155], 2, v[152:153]
	global_load_dword v155, v[160:161], off
	global_load_dword v157, v[152:153], off offset:92
	s_waitcnt vmcnt(1)
	global_store_dword v[152:153], v155, off offset:92
	s_waitcnt vmcnt(1)
	global_store_dword v[160:161], v157, off
.LBB70_497:
	s_or_b64 exec, exec, s[18:19]
	v_mov_b32_e32 v157, v154
	v_mov_b32_e32 v159, v154
.LBB70_498:
	s_or_b64 exec, exec, s[16:17]
.LBB70_499:
	s_andn2_saveexec_b64 s[0:1], s[0:1]
	s_cbranch_execz .LBB70_501
; %bb.500:
	v_mov_b32_e32 v157, 23
	s_waitcnt vmcnt(11)
	ds_write2_b64 v156, v[40:41], v[42:43] offset0:48 offset1:49
	s_waitcnt vmcnt(10)
	ds_write2_b64 v156, v[36:37], v[38:39] offset0:50 offset1:51
	;; [unrolled: 2-line block ×12, first 2 shown]
.LBB70_501:
	s_or_b64 exec, exec, s[0:1]
	v_cmp_lt_i32_e32 vcc, 23, v157
	s_waitcnt lgkmcnt(0)
	s_barrier
	s_and_saveexec_b64 s[0:1], vcc
	s_cbranch_execz .LBB70_503
; %bb.502:
	ds_read2_b64 v[160:163], v156 offset0:48 offset1:49
	v_mul_f64 v[154:155], v[144:145], v[46:47]
	v_mul_f64 v[46:47], v[146:147], v[46:47]
	v_fmac_f64_e32 v[154:155], v[146:147], v[44:45]
	v_fma_f64 v[44:45], v[144:145], v[44:45], -v[46:47]
	ds_read2_b64 v[144:147], v156 offset0:50 offset1:51
	s_waitcnt lgkmcnt(1)
	v_mul_f64 v[46:47], v[162:163], v[154:155]
	v_fma_f64 v[46:47], v[160:161], v[44:45], -v[46:47]
	v_mul_f64 v[160:161], v[160:161], v[154:155]
	v_fmac_f64_e32 v[160:161], v[162:163], v[44:45]
	s_waitcnt vmcnt(11)
	v_add_f64 v[40:41], v[40:41], -v[46:47]
	s_waitcnt lgkmcnt(0)
	v_mul_f64 v[46:47], v[146:147], v[154:155]
	v_add_f64 v[42:43], v[42:43], -v[160:161]
	v_fma_f64 v[46:47], v[144:145], v[44:45], -v[46:47]
	v_mul_f64 v[144:145], v[144:145], v[154:155]
	ds_read2_b64 v[160:163], v156 offset0:52 offset1:53
	v_fmac_f64_e32 v[144:145], v[146:147], v[44:45]
	s_waitcnt vmcnt(10)
	v_add_f64 v[38:39], v[38:39], -v[144:145]
	ds_read2_b64 v[144:147], v156 offset0:54 offset1:55
	v_add_f64 v[36:37], v[36:37], -v[46:47]
	s_waitcnt lgkmcnt(1)
	v_mul_f64 v[46:47], v[162:163], v[154:155]
	v_fma_f64 v[46:47], v[160:161], v[44:45], -v[46:47]
	v_mul_f64 v[160:161], v[160:161], v[154:155]
	v_fmac_f64_e32 v[160:161], v[162:163], v[44:45]
	s_waitcnt vmcnt(9)
	v_add_f64 v[32:33], v[32:33], -v[46:47]
	s_waitcnt lgkmcnt(0)
	v_mul_f64 v[46:47], v[146:147], v[154:155]
	v_add_f64 v[34:35], v[34:35], -v[160:161]
	v_fma_f64 v[46:47], v[144:145], v[44:45], -v[46:47]
	v_mul_f64 v[144:145], v[144:145], v[154:155]
	ds_read2_b64 v[160:163], v156 offset0:56 offset1:57
	v_fmac_f64_e32 v[144:145], v[146:147], v[44:45]
	s_waitcnt vmcnt(8)
	v_add_f64 v[30:31], v[30:31], -v[144:145]
	ds_read2_b64 v[144:147], v156 offset0:58 offset1:59
	v_add_f64 v[28:29], v[28:29], -v[46:47]
	;; [unrolled: 18-line block ×5, first 2 shown]
	s_waitcnt lgkmcnt(1)
	v_mul_f64 v[46:47], v[162:163], v[154:155]
	v_fma_f64 v[46:47], v[160:161], v[44:45], -v[46:47]
	s_waitcnt vmcnt(1)
	v_add_f64 v[0:1], v[0:1], -v[46:47]
	s_waitcnt lgkmcnt(0)
	v_mul_f64 v[46:47], v[146:147], v[154:155]
	v_mul_f64 v[160:161], v[160:161], v[154:155]
	v_fma_f64 v[46:47], v[144:145], v[44:45], -v[46:47]
	v_mul_f64 v[144:145], v[144:145], v[154:155]
	v_fmac_f64_e32 v[160:161], v[162:163], v[44:45]
	v_fmac_f64_e32 v[144:145], v[146:147], v[44:45]
	v_add_f64 v[2:3], v[2:3], -v[160:161]
	s_waitcnt vmcnt(0)
	v_add_f64 v[140:141], v[140:141], -v[46:47]
	v_add_f64 v[142:143], v[142:143], -v[144:145]
	v_mov_b64_e32 v[46:47], v[154:155]
.LBB70_503:
	s_or_b64 exec, exec, s[0:1]
	v_lshl_add_u32 v144, v157, 4, v156
	s_barrier
	s_waitcnt vmcnt(11)
	ds_write2_b64 v144, v[40:41], v[42:43] offset1:1
	s_waitcnt lgkmcnt(0)
	s_barrier
	ds_read2_b64 v[144:147], v156 offset0:48 offset1:49
	s_cmp_lt_i32 s20, 26
	v_mov_b32_e32 v154, 24
	s_cbranch_scc1 .LBB70_506
; %bb.504:
	v_add_u32_e32 v155, 0x190, v156
	s_mov_b32 s16, 25
	v_mov_b32_e32 v154, 24
.LBB70_505:                             ; =>This Inner Loop Header: Depth=1
	ds_read2_b64 v[160:163], v155 offset1:1
	s_waitcnt lgkmcnt(1)
	v_xor_b32_e32 v165, 0x80000000, v145
	v_xor_b32_e32 v167, 0x80000000, v147
	v_cmp_gt_f64_e32 vcc, 0, v[146:147]
	v_cmp_gt_f64_e64 s[0:1], 0, v[144:145]
	v_mov_b32_e32 v164, v144
	v_mov_b32_e32 v166, v146
	v_cndmask_b32_e64 v165, v145, v165, s[0:1]
	v_cndmask_b32_e32 v167, v147, v167, vcc
	v_add_f64 v[164:165], v[164:165], v[166:167]
	s_waitcnt lgkmcnt(0)
	v_xor_b32_e32 v167, 0x80000000, v161
	v_xor_b32_e32 v169, 0x80000000, v163
	v_cmp_gt_f64_e32 vcc, 0, v[162:163]
	v_cmp_gt_f64_e64 s[0:1], 0, v[160:161]
	v_mov_b32_e32 v166, v160
	v_mov_b32_e32 v168, v162
	v_cndmask_b32_e64 v167, v161, v167, s[0:1]
	v_cndmask_b32_e32 v169, v163, v169, vcc
	v_add_f64 v[166:167], v[166:167], v[168:169]
	v_mov_b32_e32 v170, s16
	s_add_i32 s16, s16, 1
	v_cmp_lt_f64_e32 vcc, v[164:165], v[166:167]
	v_add_u32_e32 v155, 16, v155
	s_cmp_lg_u32 s20, s16
	v_cndmask_b32_e32 v145, v145, v161, vcc
	v_cndmask_b32_e32 v144, v144, v160, vcc
	v_cndmask_b32_e32 v147, v147, v163, vcc
	v_cndmask_b32_e32 v146, v146, v162, vcc
	v_cndmask_b32_e32 v154, v154, v170, vcc
	s_cbranch_scc1 .LBB70_505
.LBB70_506:
	s_waitcnt lgkmcnt(0)
	v_cmp_eq_f64_e32 vcc, 0, v[144:145]
	v_cmp_eq_f64_e64 s[0:1], 0, v[146:147]
	s_and_b64 s[0:1], vcc, s[0:1]
	s_and_saveexec_b64 s[16:17], s[0:1]
	s_xor_b64 s[0:1], exec, s[16:17]
; %bb.507:
	v_cmp_ne_u32_e32 vcc, 0, v158
	s_nop 1
	v_cndmask_b32_e32 v158, 25, v158, vcc
; %bb.508:
	s_andn2_saveexec_b64 s[0:1], s[0:1]
	s_cbranch_execz .LBB70_514
; %bb.509:
	v_cmp_ngt_f64_e64 s[16:17], |v[144:145]|, |v[146:147]|
	s_and_saveexec_b64 s[18:19], s[16:17]
	s_xor_b64 s[16:17], exec, s[18:19]
	s_cbranch_execz .LBB70_511
; %bb.510:
	v_div_scale_f64 v[160:161], s[18:19], v[146:147], v[146:147], v[144:145]
	v_rcp_f64_e32 v[162:163], v[160:161]
	v_div_scale_f64 v[164:165], vcc, v[144:145], v[146:147], v[144:145]
	v_fma_f64 v[166:167], -v[160:161], v[162:163], 1.0
	v_fmac_f64_e32 v[162:163], v[162:163], v[166:167]
	v_fma_f64 v[166:167], -v[160:161], v[162:163], 1.0
	v_fmac_f64_e32 v[162:163], v[162:163], v[166:167]
	v_mul_f64 v[166:167], v[164:165], v[162:163]
	v_fma_f64 v[160:161], -v[160:161], v[166:167], v[164:165]
	v_div_fmas_f64 v[160:161], v[160:161], v[162:163], v[166:167]
	v_div_fixup_f64 v[160:161], v[160:161], v[146:147], v[144:145]
	v_fmac_f64_e32 v[146:147], v[144:145], v[160:161]
	v_div_scale_f64 v[144:145], s[18:19], v[146:147], v[146:147], 1.0
	v_rcp_f64_e32 v[162:163], v[144:145]
	s_nop 0
	v_fma_f64 v[164:165], -v[144:145], v[162:163], 1.0
	v_fmac_f64_e32 v[162:163], v[162:163], v[164:165]
	v_fma_f64 v[164:165], -v[144:145], v[162:163], 1.0
	v_fmac_f64_e32 v[162:163], v[162:163], v[164:165]
	v_div_scale_f64 v[164:165], vcc, 1.0, v[146:147], 1.0
	v_mul_f64 v[166:167], v[164:165], v[162:163]
	v_fma_f64 v[144:145], -v[144:145], v[166:167], v[164:165]
	s_nop 1
	v_div_fmas_f64 v[144:145], v[144:145], v[162:163], v[166:167]
	v_div_fixup_f64 v[146:147], v[144:145], v[146:147], 1.0
	v_mul_f64 v[144:145], v[160:161], v[146:147]
	v_xor_b32_e32 v147, 0x80000000, v147
.LBB70_511:
	s_andn2_saveexec_b64 s[16:17], s[16:17]
	s_cbranch_execz .LBB70_513
; %bb.512:
	v_div_scale_f64 v[160:161], s[18:19], v[144:145], v[144:145], v[146:147]
	v_rcp_f64_e32 v[162:163], v[160:161]
	v_div_scale_f64 v[164:165], vcc, v[146:147], v[144:145], v[146:147]
	v_fma_f64 v[166:167], -v[160:161], v[162:163], 1.0
	v_fmac_f64_e32 v[162:163], v[162:163], v[166:167]
	v_fma_f64 v[166:167], -v[160:161], v[162:163], 1.0
	v_fmac_f64_e32 v[162:163], v[162:163], v[166:167]
	v_mul_f64 v[166:167], v[164:165], v[162:163]
	v_fma_f64 v[160:161], -v[160:161], v[166:167], v[164:165]
	v_div_fmas_f64 v[160:161], v[160:161], v[162:163], v[166:167]
	v_div_fixup_f64 v[160:161], v[160:161], v[144:145], v[146:147]
	v_fmac_f64_e32 v[144:145], v[146:147], v[160:161]
	v_div_scale_f64 v[146:147], s[18:19], v[144:145], v[144:145], 1.0
	v_rcp_f64_e32 v[162:163], v[146:147]
	s_nop 0
	v_fma_f64 v[164:165], -v[146:147], v[162:163], 1.0
	v_fmac_f64_e32 v[162:163], v[162:163], v[164:165]
	v_fma_f64 v[164:165], -v[146:147], v[162:163], 1.0
	v_fmac_f64_e32 v[162:163], v[162:163], v[164:165]
	v_div_scale_f64 v[164:165], vcc, 1.0, v[144:145], 1.0
	v_mul_f64 v[166:167], v[164:165], v[162:163]
	v_fma_f64 v[146:147], -v[146:147], v[166:167], v[164:165]
	s_nop 1
	v_div_fmas_f64 v[146:147], v[146:147], v[162:163], v[166:167]
	v_div_fixup_f64 v[144:145], v[146:147], v[144:145], 1.0
	v_mul_f64 v[146:147], v[160:161], -v[144:145]
.LBB70_513:
	s_or_b64 exec, exec, s[16:17]
.LBB70_514:
	s_or_b64 exec, exec, s[0:1]
	v_cmp_ne_u32_e32 vcc, v157, v154
	s_and_saveexec_b64 s[0:1], vcc
	s_xor_b64 s[0:1], exec, s[0:1]
	s_cbranch_execz .LBB70_520
; %bb.515:
	v_cmp_eq_u32_e32 vcc, 24, v157
	s_and_saveexec_b64 s[16:17], vcc
	s_cbranch_execz .LBB70_519
; %bb.516:
	v_cmp_ne_u32_e32 vcc, 24, v154
	s_xor_b64 s[18:19], s[14:15], -1
	s_and_b64 s[22:23], s[18:19], vcc
	s_and_saveexec_b64 s[18:19], s[22:23]
	s_cbranch_execz .LBB70_518
; %bb.517:
	v_ashrrev_i32_e32 v155, 31, v154
	v_lshl_add_u64 v[160:161], v[154:155], 2, v[152:153]
	global_load_dword v155, v[160:161], off
	global_load_dword v157, v[152:153], off offset:96
	s_waitcnt vmcnt(1)
	global_store_dword v[152:153], v155, off offset:96
	s_waitcnt vmcnt(1)
	global_store_dword v[160:161], v157, off
.LBB70_518:
	s_or_b64 exec, exec, s[18:19]
	v_mov_b32_e32 v157, v154
	v_mov_b32_e32 v159, v154
.LBB70_519:
	s_or_b64 exec, exec, s[16:17]
.LBB70_520:
	s_andn2_saveexec_b64 s[0:1], s[0:1]
	s_cbranch_execz .LBB70_522
; %bb.521:
	v_mov_b32_e32 v157, 24
	s_waitcnt vmcnt(10)
	ds_write2_b64 v156, v[36:37], v[38:39] offset0:50 offset1:51
	s_waitcnt vmcnt(9)
	ds_write2_b64 v156, v[32:33], v[34:35] offset0:52 offset1:53
	;; [unrolled: 2-line block ×11, first 2 shown]
.LBB70_522:
	s_or_b64 exec, exec, s[0:1]
	v_cmp_lt_i32_e32 vcc, 24, v157
	s_waitcnt lgkmcnt(0)
	s_barrier
	s_and_saveexec_b64 s[0:1], vcc
	s_cbranch_execz .LBB70_524
; %bb.523:
	ds_read2_b64 v[160:163], v156 offset0:50 offset1:51
	v_mul_f64 v[154:155], v[144:145], v[42:43]
	v_fmac_f64_e32 v[154:155], v[146:147], v[40:41]
	v_mul_f64 v[42:43], v[146:147], v[42:43]
	v_fma_f64 v[40:41], v[144:145], v[40:41], -v[42:43]
	ds_read2_b64 v[144:147], v156 offset0:52 offset1:53
	s_waitcnt lgkmcnt(1)
	v_mul_f64 v[42:43], v[162:163], v[154:155]
	v_fma_f64 v[42:43], v[160:161], v[40:41], -v[42:43]
	v_mul_f64 v[160:161], v[160:161], v[154:155]
	v_fmac_f64_e32 v[160:161], v[162:163], v[40:41]
	s_waitcnt vmcnt(10)
	v_add_f64 v[38:39], v[38:39], -v[160:161]
	ds_read2_b64 v[160:163], v156 offset0:54 offset1:55
	v_add_f64 v[36:37], v[36:37], -v[42:43]
	s_waitcnt lgkmcnt(1)
	v_mul_f64 v[42:43], v[146:147], v[154:155]
	v_fma_f64 v[42:43], v[144:145], v[40:41], -v[42:43]
	v_mul_f64 v[144:145], v[144:145], v[154:155]
	v_fmac_f64_e32 v[144:145], v[146:147], v[40:41]
	s_waitcnt vmcnt(9)
	v_add_f64 v[32:33], v[32:33], -v[42:43]
	v_add_f64 v[34:35], v[34:35], -v[144:145]
	ds_read2_b64 v[144:147], v156 offset0:56 offset1:57
	s_waitcnt lgkmcnt(1)
	v_mul_f64 v[42:43], v[162:163], v[154:155]
	v_fma_f64 v[42:43], v[160:161], v[40:41], -v[42:43]
	v_mul_f64 v[160:161], v[160:161], v[154:155]
	v_fmac_f64_e32 v[160:161], v[162:163], v[40:41]
	s_waitcnt vmcnt(8)
	v_add_f64 v[30:31], v[30:31], -v[160:161]
	ds_read2_b64 v[160:163], v156 offset0:58 offset1:59
	v_add_f64 v[28:29], v[28:29], -v[42:43]
	s_waitcnt lgkmcnt(1)
	v_mul_f64 v[42:43], v[146:147], v[154:155]
	v_fma_f64 v[42:43], v[144:145], v[40:41], -v[42:43]
	v_mul_f64 v[144:145], v[144:145], v[154:155]
	v_fmac_f64_e32 v[144:145], v[146:147], v[40:41]
	s_waitcnt vmcnt(7)
	v_add_f64 v[24:25], v[24:25], -v[42:43]
	v_add_f64 v[26:27], v[26:27], -v[144:145]
	ds_read2_b64 v[144:147], v156 offset0:60 offset1:61
	s_waitcnt lgkmcnt(1)
	v_mul_f64 v[42:43], v[162:163], v[154:155]
	v_fma_f64 v[42:43], v[160:161], v[40:41], -v[42:43]
	v_mul_f64 v[160:161], v[160:161], v[154:155]
	v_fmac_f64_e32 v[160:161], v[162:163], v[40:41]
	s_waitcnt vmcnt(6)
	v_add_f64 v[22:23], v[22:23], -v[160:161]
	ds_read2_b64 v[160:163], v156 offset0:62 offset1:63
	v_add_f64 v[20:21], v[20:21], -v[42:43]
	s_waitcnt lgkmcnt(1)
	v_mul_f64 v[42:43], v[146:147], v[154:155]
	v_fma_f64 v[42:43], v[144:145], v[40:41], -v[42:43]
	v_mul_f64 v[144:145], v[144:145], v[154:155]
	v_fmac_f64_e32 v[144:145], v[146:147], v[40:41]
	s_waitcnt vmcnt(5)
	v_add_f64 v[16:17], v[16:17], -v[42:43]
	v_add_f64 v[18:19], v[18:19], -v[144:145]
	ds_read2_b64 v[144:147], v156 offset0:64 offset1:65
	s_waitcnt lgkmcnt(1)
	v_mul_f64 v[42:43], v[162:163], v[154:155]
	v_fma_f64 v[42:43], v[160:161], v[40:41], -v[42:43]
	v_mul_f64 v[160:161], v[160:161], v[154:155]
	v_fmac_f64_e32 v[160:161], v[162:163], v[40:41]
	s_waitcnt vmcnt(4)
	v_add_f64 v[14:15], v[14:15], -v[160:161]
	ds_read2_b64 v[160:163], v156 offset0:66 offset1:67
	v_add_f64 v[12:13], v[12:13], -v[42:43]
	s_waitcnt lgkmcnt(1)
	v_mul_f64 v[42:43], v[146:147], v[154:155]
	v_fma_f64 v[42:43], v[144:145], v[40:41], -v[42:43]
	v_mul_f64 v[144:145], v[144:145], v[154:155]
	v_fmac_f64_e32 v[144:145], v[146:147], v[40:41]
	s_waitcnt vmcnt(3)
	v_add_f64 v[8:9], v[8:9], -v[42:43]
	v_add_f64 v[10:11], v[10:11], -v[144:145]
	ds_read2_b64 v[144:147], v156 offset0:68 offset1:69
	s_waitcnt lgkmcnt(1)
	v_mul_f64 v[42:43], v[162:163], v[154:155]
	v_fma_f64 v[42:43], v[160:161], v[40:41], -v[42:43]
	v_mul_f64 v[160:161], v[160:161], v[154:155]
	v_fmac_f64_e32 v[160:161], v[162:163], v[40:41]
	s_waitcnt vmcnt(2)
	v_add_f64 v[6:7], v[6:7], -v[160:161]
	ds_read2_b64 v[160:163], v156 offset0:70 offset1:71
	v_add_f64 v[4:5], v[4:5], -v[42:43]
	s_waitcnt lgkmcnt(1)
	v_mul_f64 v[42:43], v[146:147], v[154:155]
	v_fma_f64 v[42:43], v[144:145], v[40:41], -v[42:43]
	v_mul_f64 v[144:145], v[144:145], v[154:155]
	v_fmac_f64_e32 v[144:145], v[146:147], v[40:41]
	s_waitcnt vmcnt(1)
	v_add_f64 v[0:1], v[0:1], -v[42:43]
	v_add_f64 v[2:3], v[2:3], -v[144:145]
	s_waitcnt lgkmcnt(0)
	v_mul_f64 v[42:43], v[162:163], v[154:155]
	v_mul_f64 v[144:145], v[160:161], v[154:155]
	v_fma_f64 v[42:43], v[160:161], v[40:41], -v[42:43]
	v_fmac_f64_e32 v[144:145], v[162:163], v[40:41]
	s_waitcnt vmcnt(0)
	v_add_f64 v[140:141], v[140:141], -v[42:43]
	v_add_f64 v[142:143], v[142:143], -v[144:145]
	v_mov_b64_e32 v[42:43], v[154:155]
.LBB70_524:
	s_or_b64 exec, exec, s[0:1]
	v_lshl_add_u32 v144, v157, 4, v156
	s_barrier
	s_waitcnt vmcnt(10)
	ds_write2_b64 v144, v[36:37], v[38:39] offset1:1
	s_waitcnt lgkmcnt(0)
	s_barrier
	ds_read2_b64 v[144:147], v156 offset0:50 offset1:51
	s_cmp_lt_i32 s20, 27
	v_mov_b32_e32 v154, 25
	s_cbranch_scc1 .LBB70_527
; %bb.525:
	v_add_u32_e32 v155, 0x1a0, v156
	s_mov_b32 s16, 26
	v_mov_b32_e32 v154, 25
.LBB70_526:                             ; =>This Inner Loop Header: Depth=1
	ds_read2_b64 v[160:163], v155 offset1:1
	s_waitcnt lgkmcnt(1)
	v_xor_b32_e32 v165, 0x80000000, v145
	v_xor_b32_e32 v167, 0x80000000, v147
	v_cmp_gt_f64_e32 vcc, 0, v[146:147]
	v_cmp_gt_f64_e64 s[0:1], 0, v[144:145]
	v_mov_b32_e32 v164, v144
	v_mov_b32_e32 v166, v146
	v_cndmask_b32_e64 v165, v145, v165, s[0:1]
	v_cndmask_b32_e32 v167, v147, v167, vcc
	v_add_f64 v[164:165], v[164:165], v[166:167]
	s_waitcnt lgkmcnt(0)
	v_xor_b32_e32 v167, 0x80000000, v161
	v_xor_b32_e32 v169, 0x80000000, v163
	v_cmp_gt_f64_e32 vcc, 0, v[162:163]
	v_cmp_gt_f64_e64 s[0:1], 0, v[160:161]
	v_mov_b32_e32 v166, v160
	v_mov_b32_e32 v168, v162
	v_cndmask_b32_e64 v167, v161, v167, s[0:1]
	v_cndmask_b32_e32 v169, v163, v169, vcc
	v_add_f64 v[166:167], v[166:167], v[168:169]
	v_mov_b32_e32 v170, s16
	s_add_i32 s16, s16, 1
	v_cmp_lt_f64_e32 vcc, v[164:165], v[166:167]
	v_add_u32_e32 v155, 16, v155
	s_cmp_lg_u32 s20, s16
	v_cndmask_b32_e32 v145, v145, v161, vcc
	v_cndmask_b32_e32 v144, v144, v160, vcc
	;; [unrolled: 1-line block ×5, first 2 shown]
	s_cbranch_scc1 .LBB70_526
.LBB70_527:
	s_waitcnt lgkmcnt(0)
	v_cmp_eq_f64_e32 vcc, 0, v[144:145]
	v_cmp_eq_f64_e64 s[0:1], 0, v[146:147]
	s_and_b64 s[0:1], vcc, s[0:1]
	s_and_saveexec_b64 s[16:17], s[0:1]
	s_xor_b64 s[0:1], exec, s[16:17]
; %bb.528:
	v_cmp_ne_u32_e32 vcc, 0, v158
	s_nop 1
	v_cndmask_b32_e32 v158, 26, v158, vcc
; %bb.529:
	s_andn2_saveexec_b64 s[0:1], s[0:1]
	s_cbranch_execz .LBB70_535
; %bb.530:
	v_cmp_ngt_f64_e64 s[16:17], |v[144:145]|, |v[146:147]|
	s_and_saveexec_b64 s[18:19], s[16:17]
	s_xor_b64 s[16:17], exec, s[18:19]
	s_cbranch_execz .LBB70_532
; %bb.531:
	v_div_scale_f64 v[160:161], s[18:19], v[146:147], v[146:147], v[144:145]
	v_rcp_f64_e32 v[162:163], v[160:161]
	v_div_scale_f64 v[164:165], vcc, v[144:145], v[146:147], v[144:145]
	v_fma_f64 v[166:167], -v[160:161], v[162:163], 1.0
	v_fmac_f64_e32 v[162:163], v[162:163], v[166:167]
	v_fma_f64 v[166:167], -v[160:161], v[162:163], 1.0
	v_fmac_f64_e32 v[162:163], v[162:163], v[166:167]
	v_mul_f64 v[166:167], v[164:165], v[162:163]
	v_fma_f64 v[160:161], -v[160:161], v[166:167], v[164:165]
	v_div_fmas_f64 v[160:161], v[160:161], v[162:163], v[166:167]
	v_div_fixup_f64 v[160:161], v[160:161], v[146:147], v[144:145]
	v_fmac_f64_e32 v[146:147], v[144:145], v[160:161]
	v_div_scale_f64 v[144:145], s[18:19], v[146:147], v[146:147], 1.0
	v_rcp_f64_e32 v[162:163], v[144:145]
	s_nop 0
	v_fma_f64 v[164:165], -v[144:145], v[162:163], 1.0
	v_fmac_f64_e32 v[162:163], v[162:163], v[164:165]
	v_fma_f64 v[164:165], -v[144:145], v[162:163], 1.0
	v_fmac_f64_e32 v[162:163], v[162:163], v[164:165]
	v_div_scale_f64 v[164:165], vcc, 1.0, v[146:147], 1.0
	v_mul_f64 v[166:167], v[164:165], v[162:163]
	v_fma_f64 v[144:145], -v[144:145], v[166:167], v[164:165]
	s_nop 1
	v_div_fmas_f64 v[144:145], v[144:145], v[162:163], v[166:167]
	v_div_fixup_f64 v[146:147], v[144:145], v[146:147], 1.0
	v_mul_f64 v[144:145], v[160:161], v[146:147]
	v_xor_b32_e32 v147, 0x80000000, v147
.LBB70_532:
	s_andn2_saveexec_b64 s[16:17], s[16:17]
	s_cbranch_execz .LBB70_534
; %bb.533:
	v_div_scale_f64 v[160:161], s[18:19], v[144:145], v[144:145], v[146:147]
	v_rcp_f64_e32 v[162:163], v[160:161]
	v_div_scale_f64 v[164:165], vcc, v[146:147], v[144:145], v[146:147]
	v_fma_f64 v[166:167], -v[160:161], v[162:163], 1.0
	v_fmac_f64_e32 v[162:163], v[162:163], v[166:167]
	v_fma_f64 v[166:167], -v[160:161], v[162:163], 1.0
	v_fmac_f64_e32 v[162:163], v[162:163], v[166:167]
	v_mul_f64 v[166:167], v[164:165], v[162:163]
	v_fma_f64 v[160:161], -v[160:161], v[166:167], v[164:165]
	v_div_fmas_f64 v[160:161], v[160:161], v[162:163], v[166:167]
	v_div_fixup_f64 v[160:161], v[160:161], v[144:145], v[146:147]
	v_fmac_f64_e32 v[144:145], v[146:147], v[160:161]
	v_div_scale_f64 v[146:147], s[18:19], v[144:145], v[144:145], 1.0
	v_rcp_f64_e32 v[162:163], v[146:147]
	s_nop 0
	v_fma_f64 v[164:165], -v[146:147], v[162:163], 1.0
	v_fmac_f64_e32 v[162:163], v[162:163], v[164:165]
	v_fma_f64 v[164:165], -v[146:147], v[162:163], 1.0
	v_fmac_f64_e32 v[162:163], v[162:163], v[164:165]
	v_div_scale_f64 v[164:165], vcc, 1.0, v[144:145], 1.0
	v_mul_f64 v[166:167], v[164:165], v[162:163]
	v_fma_f64 v[146:147], -v[146:147], v[166:167], v[164:165]
	s_nop 1
	v_div_fmas_f64 v[146:147], v[146:147], v[162:163], v[166:167]
	v_div_fixup_f64 v[144:145], v[146:147], v[144:145], 1.0
	v_mul_f64 v[146:147], v[160:161], -v[144:145]
.LBB70_534:
	s_or_b64 exec, exec, s[16:17]
.LBB70_535:
	s_or_b64 exec, exec, s[0:1]
	v_cmp_ne_u32_e32 vcc, v157, v154
	s_and_saveexec_b64 s[0:1], vcc
	s_xor_b64 s[0:1], exec, s[0:1]
	s_cbranch_execz .LBB70_541
; %bb.536:
	v_cmp_eq_u32_e32 vcc, 25, v157
	s_and_saveexec_b64 s[16:17], vcc
	s_cbranch_execz .LBB70_540
; %bb.537:
	v_cmp_ne_u32_e32 vcc, 25, v154
	s_xor_b64 s[18:19], s[14:15], -1
	s_and_b64 s[22:23], s[18:19], vcc
	s_and_saveexec_b64 s[18:19], s[22:23]
	s_cbranch_execz .LBB70_539
; %bb.538:
	v_ashrrev_i32_e32 v155, 31, v154
	v_lshl_add_u64 v[160:161], v[154:155], 2, v[152:153]
	global_load_dword v155, v[160:161], off
	global_load_dword v157, v[152:153], off offset:100
	s_waitcnt vmcnt(1)
	global_store_dword v[152:153], v155, off offset:100
	s_waitcnt vmcnt(1)
	global_store_dword v[160:161], v157, off
.LBB70_539:
	s_or_b64 exec, exec, s[18:19]
	v_mov_b32_e32 v157, v154
	v_mov_b32_e32 v159, v154
.LBB70_540:
	s_or_b64 exec, exec, s[16:17]
.LBB70_541:
	s_andn2_saveexec_b64 s[0:1], s[0:1]
	s_cbranch_execz .LBB70_543
; %bb.542:
	v_mov_b32_e32 v157, 25
	s_waitcnt vmcnt(9)
	ds_write2_b64 v156, v[32:33], v[34:35] offset0:52 offset1:53
	s_waitcnt vmcnt(8)
	ds_write2_b64 v156, v[28:29], v[30:31] offset0:54 offset1:55
	;; [unrolled: 2-line block ×10, first 2 shown]
.LBB70_543:
	s_or_b64 exec, exec, s[0:1]
	v_cmp_lt_i32_e32 vcc, 25, v157
	s_waitcnt lgkmcnt(0)
	s_barrier
	s_and_saveexec_b64 s[0:1], vcc
	s_cbranch_execz .LBB70_545
; %bb.544:
	ds_read2_b64 v[160:163], v156 offset0:52 offset1:53
	v_mul_f64 v[154:155], v[144:145], v[38:39]
	v_mul_f64 v[38:39], v[146:147], v[38:39]
	v_fmac_f64_e32 v[154:155], v[146:147], v[36:37]
	v_fma_f64 v[36:37], v[144:145], v[36:37], -v[38:39]
	ds_read2_b64 v[144:147], v156 offset0:54 offset1:55
	s_waitcnt lgkmcnt(1)
	v_mul_f64 v[38:39], v[162:163], v[154:155]
	v_fma_f64 v[38:39], v[160:161], v[36:37], -v[38:39]
	v_mul_f64 v[160:161], v[160:161], v[154:155]
	v_fmac_f64_e32 v[160:161], v[162:163], v[36:37]
	s_waitcnt vmcnt(9)
	v_add_f64 v[32:33], v[32:33], -v[38:39]
	s_waitcnt lgkmcnt(0)
	v_mul_f64 v[38:39], v[146:147], v[154:155]
	v_add_f64 v[34:35], v[34:35], -v[160:161]
	v_fma_f64 v[38:39], v[144:145], v[36:37], -v[38:39]
	v_mul_f64 v[144:145], v[144:145], v[154:155]
	ds_read2_b64 v[160:163], v156 offset0:56 offset1:57
	v_fmac_f64_e32 v[144:145], v[146:147], v[36:37]
	s_waitcnt vmcnt(8)
	v_add_f64 v[30:31], v[30:31], -v[144:145]
	ds_read2_b64 v[144:147], v156 offset0:58 offset1:59
	v_add_f64 v[28:29], v[28:29], -v[38:39]
	s_waitcnt lgkmcnt(1)
	v_mul_f64 v[38:39], v[162:163], v[154:155]
	v_fma_f64 v[38:39], v[160:161], v[36:37], -v[38:39]
	v_mul_f64 v[160:161], v[160:161], v[154:155]
	v_fmac_f64_e32 v[160:161], v[162:163], v[36:37]
	s_waitcnt vmcnt(7)
	v_add_f64 v[24:25], v[24:25], -v[38:39]
	s_waitcnt lgkmcnt(0)
	v_mul_f64 v[38:39], v[146:147], v[154:155]
	v_add_f64 v[26:27], v[26:27], -v[160:161]
	v_fma_f64 v[38:39], v[144:145], v[36:37], -v[38:39]
	v_mul_f64 v[144:145], v[144:145], v[154:155]
	ds_read2_b64 v[160:163], v156 offset0:60 offset1:61
	v_fmac_f64_e32 v[144:145], v[146:147], v[36:37]
	s_waitcnt vmcnt(6)
	v_add_f64 v[22:23], v[22:23], -v[144:145]
	ds_read2_b64 v[144:147], v156 offset0:62 offset1:63
	v_add_f64 v[20:21], v[20:21], -v[38:39]
	;; [unrolled: 18-line block ×4, first 2 shown]
	s_waitcnt lgkmcnt(1)
	v_mul_f64 v[38:39], v[162:163], v[154:155]
	v_fma_f64 v[38:39], v[160:161], v[36:37], -v[38:39]
	s_waitcnt vmcnt(1)
	v_add_f64 v[0:1], v[0:1], -v[38:39]
	s_waitcnt lgkmcnt(0)
	v_mul_f64 v[38:39], v[146:147], v[154:155]
	v_mul_f64 v[160:161], v[160:161], v[154:155]
	v_fma_f64 v[38:39], v[144:145], v[36:37], -v[38:39]
	v_mul_f64 v[144:145], v[144:145], v[154:155]
	v_fmac_f64_e32 v[160:161], v[162:163], v[36:37]
	v_fmac_f64_e32 v[144:145], v[146:147], v[36:37]
	v_add_f64 v[2:3], v[2:3], -v[160:161]
	s_waitcnt vmcnt(0)
	v_add_f64 v[140:141], v[140:141], -v[38:39]
	v_add_f64 v[142:143], v[142:143], -v[144:145]
	v_mov_b64_e32 v[38:39], v[154:155]
.LBB70_545:
	s_or_b64 exec, exec, s[0:1]
	v_lshl_add_u32 v144, v157, 4, v156
	s_barrier
	s_waitcnt vmcnt(9)
	ds_write2_b64 v144, v[32:33], v[34:35] offset1:1
	s_waitcnt lgkmcnt(0)
	s_barrier
	ds_read2_b64 v[144:147], v156 offset0:52 offset1:53
	s_cmp_lt_i32 s20, 28
	v_mov_b32_e32 v154, 26
	s_cbranch_scc1 .LBB70_548
; %bb.546:
	v_add_u32_e32 v155, 0x1b0, v156
	s_mov_b32 s16, 27
	v_mov_b32_e32 v154, 26
.LBB70_547:                             ; =>This Inner Loop Header: Depth=1
	ds_read2_b64 v[160:163], v155 offset1:1
	s_waitcnt lgkmcnt(1)
	v_xor_b32_e32 v165, 0x80000000, v145
	v_xor_b32_e32 v167, 0x80000000, v147
	v_cmp_gt_f64_e32 vcc, 0, v[146:147]
	v_cmp_gt_f64_e64 s[0:1], 0, v[144:145]
	v_mov_b32_e32 v164, v144
	v_mov_b32_e32 v166, v146
	v_cndmask_b32_e64 v165, v145, v165, s[0:1]
	v_cndmask_b32_e32 v167, v147, v167, vcc
	v_add_f64 v[164:165], v[164:165], v[166:167]
	s_waitcnt lgkmcnt(0)
	v_xor_b32_e32 v167, 0x80000000, v161
	v_xor_b32_e32 v169, 0x80000000, v163
	v_cmp_gt_f64_e32 vcc, 0, v[162:163]
	v_cmp_gt_f64_e64 s[0:1], 0, v[160:161]
	v_mov_b32_e32 v166, v160
	v_mov_b32_e32 v168, v162
	v_cndmask_b32_e64 v167, v161, v167, s[0:1]
	v_cndmask_b32_e32 v169, v163, v169, vcc
	v_add_f64 v[166:167], v[166:167], v[168:169]
	v_mov_b32_e32 v170, s16
	s_add_i32 s16, s16, 1
	v_cmp_lt_f64_e32 vcc, v[164:165], v[166:167]
	v_add_u32_e32 v155, 16, v155
	s_cmp_lg_u32 s20, s16
	v_cndmask_b32_e32 v145, v145, v161, vcc
	v_cndmask_b32_e32 v144, v144, v160, vcc
	v_cndmask_b32_e32 v147, v147, v163, vcc
	v_cndmask_b32_e32 v146, v146, v162, vcc
	v_cndmask_b32_e32 v154, v154, v170, vcc
	s_cbranch_scc1 .LBB70_547
.LBB70_548:
	s_waitcnt lgkmcnt(0)
	v_cmp_eq_f64_e32 vcc, 0, v[144:145]
	v_cmp_eq_f64_e64 s[0:1], 0, v[146:147]
	s_and_b64 s[0:1], vcc, s[0:1]
	s_and_saveexec_b64 s[16:17], s[0:1]
	s_xor_b64 s[0:1], exec, s[16:17]
; %bb.549:
	v_cmp_ne_u32_e32 vcc, 0, v158
	s_nop 1
	v_cndmask_b32_e32 v158, 27, v158, vcc
; %bb.550:
	s_andn2_saveexec_b64 s[0:1], s[0:1]
	s_cbranch_execz .LBB70_556
; %bb.551:
	v_cmp_ngt_f64_e64 s[16:17], |v[144:145]|, |v[146:147]|
	s_and_saveexec_b64 s[18:19], s[16:17]
	s_xor_b64 s[16:17], exec, s[18:19]
	s_cbranch_execz .LBB70_553
; %bb.552:
	v_div_scale_f64 v[160:161], s[18:19], v[146:147], v[146:147], v[144:145]
	v_rcp_f64_e32 v[162:163], v[160:161]
	v_div_scale_f64 v[164:165], vcc, v[144:145], v[146:147], v[144:145]
	v_fma_f64 v[166:167], -v[160:161], v[162:163], 1.0
	v_fmac_f64_e32 v[162:163], v[162:163], v[166:167]
	v_fma_f64 v[166:167], -v[160:161], v[162:163], 1.0
	v_fmac_f64_e32 v[162:163], v[162:163], v[166:167]
	v_mul_f64 v[166:167], v[164:165], v[162:163]
	v_fma_f64 v[160:161], -v[160:161], v[166:167], v[164:165]
	v_div_fmas_f64 v[160:161], v[160:161], v[162:163], v[166:167]
	v_div_fixup_f64 v[160:161], v[160:161], v[146:147], v[144:145]
	v_fmac_f64_e32 v[146:147], v[144:145], v[160:161]
	v_div_scale_f64 v[144:145], s[18:19], v[146:147], v[146:147], 1.0
	v_rcp_f64_e32 v[162:163], v[144:145]
	s_nop 0
	v_fma_f64 v[164:165], -v[144:145], v[162:163], 1.0
	v_fmac_f64_e32 v[162:163], v[162:163], v[164:165]
	v_fma_f64 v[164:165], -v[144:145], v[162:163], 1.0
	v_fmac_f64_e32 v[162:163], v[162:163], v[164:165]
	v_div_scale_f64 v[164:165], vcc, 1.0, v[146:147], 1.0
	v_mul_f64 v[166:167], v[164:165], v[162:163]
	v_fma_f64 v[144:145], -v[144:145], v[166:167], v[164:165]
	s_nop 1
	v_div_fmas_f64 v[144:145], v[144:145], v[162:163], v[166:167]
	v_div_fixup_f64 v[146:147], v[144:145], v[146:147], 1.0
	v_mul_f64 v[144:145], v[160:161], v[146:147]
	v_xor_b32_e32 v147, 0x80000000, v147
.LBB70_553:
	s_andn2_saveexec_b64 s[16:17], s[16:17]
	s_cbranch_execz .LBB70_555
; %bb.554:
	v_div_scale_f64 v[160:161], s[18:19], v[144:145], v[144:145], v[146:147]
	v_rcp_f64_e32 v[162:163], v[160:161]
	v_div_scale_f64 v[164:165], vcc, v[146:147], v[144:145], v[146:147]
	v_fma_f64 v[166:167], -v[160:161], v[162:163], 1.0
	v_fmac_f64_e32 v[162:163], v[162:163], v[166:167]
	v_fma_f64 v[166:167], -v[160:161], v[162:163], 1.0
	v_fmac_f64_e32 v[162:163], v[162:163], v[166:167]
	v_mul_f64 v[166:167], v[164:165], v[162:163]
	v_fma_f64 v[160:161], -v[160:161], v[166:167], v[164:165]
	v_div_fmas_f64 v[160:161], v[160:161], v[162:163], v[166:167]
	v_div_fixup_f64 v[160:161], v[160:161], v[144:145], v[146:147]
	v_fmac_f64_e32 v[144:145], v[146:147], v[160:161]
	v_div_scale_f64 v[146:147], s[18:19], v[144:145], v[144:145], 1.0
	v_rcp_f64_e32 v[162:163], v[146:147]
	s_nop 0
	v_fma_f64 v[164:165], -v[146:147], v[162:163], 1.0
	v_fmac_f64_e32 v[162:163], v[162:163], v[164:165]
	v_fma_f64 v[164:165], -v[146:147], v[162:163], 1.0
	v_fmac_f64_e32 v[162:163], v[162:163], v[164:165]
	v_div_scale_f64 v[164:165], vcc, 1.0, v[144:145], 1.0
	v_mul_f64 v[166:167], v[164:165], v[162:163]
	v_fma_f64 v[146:147], -v[146:147], v[166:167], v[164:165]
	s_nop 1
	v_div_fmas_f64 v[146:147], v[146:147], v[162:163], v[166:167]
	v_div_fixup_f64 v[144:145], v[146:147], v[144:145], 1.0
	v_mul_f64 v[146:147], v[160:161], -v[144:145]
.LBB70_555:
	s_or_b64 exec, exec, s[16:17]
.LBB70_556:
	s_or_b64 exec, exec, s[0:1]
	v_cmp_ne_u32_e32 vcc, v157, v154
	s_and_saveexec_b64 s[0:1], vcc
	s_xor_b64 s[0:1], exec, s[0:1]
	s_cbranch_execz .LBB70_562
; %bb.557:
	v_cmp_eq_u32_e32 vcc, 26, v157
	s_and_saveexec_b64 s[16:17], vcc
	s_cbranch_execz .LBB70_561
; %bb.558:
	v_cmp_ne_u32_e32 vcc, 26, v154
	s_xor_b64 s[18:19], s[14:15], -1
	s_and_b64 s[22:23], s[18:19], vcc
	s_and_saveexec_b64 s[18:19], s[22:23]
	s_cbranch_execz .LBB70_560
; %bb.559:
	v_ashrrev_i32_e32 v155, 31, v154
	v_lshl_add_u64 v[160:161], v[154:155], 2, v[152:153]
	global_load_dword v155, v[160:161], off
	global_load_dword v157, v[152:153], off offset:104
	s_waitcnt vmcnt(1)
	global_store_dword v[152:153], v155, off offset:104
	s_waitcnt vmcnt(1)
	global_store_dword v[160:161], v157, off
.LBB70_560:
	s_or_b64 exec, exec, s[18:19]
	v_mov_b32_e32 v157, v154
	v_mov_b32_e32 v159, v154
.LBB70_561:
	s_or_b64 exec, exec, s[16:17]
.LBB70_562:
	s_andn2_saveexec_b64 s[0:1], s[0:1]
	s_cbranch_execz .LBB70_564
; %bb.563:
	v_mov_b32_e32 v157, 26
	s_waitcnt vmcnt(8)
	ds_write2_b64 v156, v[28:29], v[30:31] offset0:54 offset1:55
	s_waitcnt vmcnt(7)
	ds_write2_b64 v156, v[24:25], v[26:27] offset0:56 offset1:57
	;; [unrolled: 2-line block ×9, first 2 shown]
.LBB70_564:
	s_or_b64 exec, exec, s[0:1]
	v_cmp_lt_i32_e32 vcc, 26, v157
	s_waitcnt lgkmcnt(0)
	s_barrier
	s_and_saveexec_b64 s[0:1], vcc
	s_cbranch_execz .LBB70_566
; %bb.565:
	ds_read2_b64 v[160:163], v156 offset0:54 offset1:55
	v_mul_f64 v[154:155], v[144:145], v[34:35]
	v_fmac_f64_e32 v[154:155], v[146:147], v[32:33]
	v_mul_f64 v[34:35], v[146:147], v[34:35]
	v_fma_f64 v[32:33], v[144:145], v[32:33], -v[34:35]
	ds_read2_b64 v[144:147], v156 offset0:56 offset1:57
	s_waitcnt lgkmcnt(1)
	v_mul_f64 v[34:35], v[162:163], v[154:155]
	v_fma_f64 v[34:35], v[160:161], v[32:33], -v[34:35]
	v_mul_f64 v[160:161], v[160:161], v[154:155]
	v_fmac_f64_e32 v[160:161], v[162:163], v[32:33]
	s_waitcnt vmcnt(8)
	v_add_f64 v[30:31], v[30:31], -v[160:161]
	ds_read2_b64 v[160:163], v156 offset0:58 offset1:59
	v_add_f64 v[28:29], v[28:29], -v[34:35]
	s_waitcnt lgkmcnt(1)
	v_mul_f64 v[34:35], v[146:147], v[154:155]
	v_fma_f64 v[34:35], v[144:145], v[32:33], -v[34:35]
	v_mul_f64 v[144:145], v[144:145], v[154:155]
	v_fmac_f64_e32 v[144:145], v[146:147], v[32:33]
	s_waitcnt vmcnt(7)
	v_add_f64 v[24:25], v[24:25], -v[34:35]
	v_add_f64 v[26:27], v[26:27], -v[144:145]
	ds_read2_b64 v[144:147], v156 offset0:60 offset1:61
	s_waitcnt lgkmcnt(1)
	v_mul_f64 v[34:35], v[162:163], v[154:155]
	v_fma_f64 v[34:35], v[160:161], v[32:33], -v[34:35]
	v_mul_f64 v[160:161], v[160:161], v[154:155]
	v_fmac_f64_e32 v[160:161], v[162:163], v[32:33]
	s_waitcnt vmcnt(6)
	v_add_f64 v[22:23], v[22:23], -v[160:161]
	ds_read2_b64 v[160:163], v156 offset0:62 offset1:63
	v_add_f64 v[20:21], v[20:21], -v[34:35]
	s_waitcnt lgkmcnt(1)
	v_mul_f64 v[34:35], v[146:147], v[154:155]
	v_fma_f64 v[34:35], v[144:145], v[32:33], -v[34:35]
	v_mul_f64 v[144:145], v[144:145], v[154:155]
	v_fmac_f64_e32 v[144:145], v[146:147], v[32:33]
	s_waitcnt vmcnt(5)
	v_add_f64 v[16:17], v[16:17], -v[34:35]
	v_add_f64 v[18:19], v[18:19], -v[144:145]
	;; [unrolled: 18-line block ×4, first 2 shown]
	s_waitcnt lgkmcnt(0)
	v_mul_f64 v[34:35], v[162:163], v[154:155]
	v_mul_f64 v[144:145], v[160:161], v[154:155]
	v_fma_f64 v[34:35], v[160:161], v[32:33], -v[34:35]
	v_fmac_f64_e32 v[144:145], v[162:163], v[32:33]
	s_waitcnt vmcnt(0)
	v_add_f64 v[140:141], v[140:141], -v[34:35]
	v_add_f64 v[142:143], v[142:143], -v[144:145]
	v_mov_b64_e32 v[34:35], v[154:155]
.LBB70_566:
	s_or_b64 exec, exec, s[0:1]
	v_lshl_add_u32 v144, v157, 4, v156
	s_barrier
	s_waitcnt vmcnt(8)
	ds_write2_b64 v144, v[28:29], v[30:31] offset1:1
	s_waitcnt lgkmcnt(0)
	s_barrier
	ds_read2_b64 v[144:147], v156 offset0:54 offset1:55
	s_cmp_lt_i32 s20, 29
	v_mov_b32_e32 v154, 27
	s_cbranch_scc1 .LBB70_569
; %bb.567:
	v_add_u32_e32 v155, 0x1c0, v156
	s_mov_b32 s16, 28
	v_mov_b32_e32 v154, 27
.LBB70_568:                             ; =>This Inner Loop Header: Depth=1
	ds_read2_b64 v[160:163], v155 offset1:1
	s_waitcnt lgkmcnt(1)
	v_xor_b32_e32 v165, 0x80000000, v145
	v_xor_b32_e32 v167, 0x80000000, v147
	v_cmp_gt_f64_e32 vcc, 0, v[146:147]
	v_cmp_gt_f64_e64 s[0:1], 0, v[144:145]
	v_mov_b32_e32 v164, v144
	v_mov_b32_e32 v166, v146
	v_cndmask_b32_e64 v165, v145, v165, s[0:1]
	v_cndmask_b32_e32 v167, v147, v167, vcc
	v_add_f64 v[164:165], v[164:165], v[166:167]
	s_waitcnt lgkmcnt(0)
	v_xor_b32_e32 v167, 0x80000000, v161
	v_xor_b32_e32 v169, 0x80000000, v163
	v_cmp_gt_f64_e32 vcc, 0, v[162:163]
	v_cmp_gt_f64_e64 s[0:1], 0, v[160:161]
	v_mov_b32_e32 v166, v160
	v_mov_b32_e32 v168, v162
	v_cndmask_b32_e64 v167, v161, v167, s[0:1]
	v_cndmask_b32_e32 v169, v163, v169, vcc
	v_add_f64 v[166:167], v[166:167], v[168:169]
	v_mov_b32_e32 v170, s16
	s_add_i32 s16, s16, 1
	v_cmp_lt_f64_e32 vcc, v[164:165], v[166:167]
	v_add_u32_e32 v155, 16, v155
	s_cmp_lg_u32 s20, s16
	v_cndmask_b32_e32 v145, v145, v161, vcc
	v_cndmask_b32_e32 v144, v144, v160, vcc
	;; [unrolled: 1-line block ×5, first 2 shown]
	s_cbranch_scc1 .LBB70_568
.LBB70_569:
	s_waitcnt lgkmcnt(0)
	v_cmp_eq_f64_e32 vcc, 0, v[144:145]
	v_cmp_eq_f64_e64 s[0:1], 0, v[146:147]
	s_and_b64 s[0:1], vcc, s[0:1]
	s_and_saveexec_b64 s[16:17], s[0:1]
	s_xor_b64 s[0:1], exec, s[16:17]
; %bb.570:
	v_cmp_ne_u32_e32 vcc, 0, v158
	s_nop 1
	v_cndmask_b32_e32 v158, 28, v158, vcc
; %bb.571:
	s_andn2_saveexec_b64 s[0:1], s[0:1]
	s_cbranch_execz .LBB70_577
; %bb.572:
	v_cmp_ngt_f64_e64 s[16:17], |v[144:145]|, |v[146:147]|
	s_and_saveexec_b64 s[18:19], s[16:17]
	s_xor_b64 s[16:17], exec, s[18:19]
	s_cbranch_execz .LBB70_574
; %bb.573:
	v_div_scale_f64 v[160:161], s[18:19], v[146:147], v[146:147], v[144:145]
	v_rcp_f64_e32 v[162:163], v[160:161]
	v_div_scale_f64 v[164:165], vcc, v[144:145], v[146:147], v[144:145]
	v_fma_f64 v[166:167], -v[160:161], v[162:163], 1.0
	v_fmac_f64_e32 v[162:163], v[162:163], v[166:167]
	v_fma_f64 v[166:167], -v[160:161], v[162:163], 1.0
	v_fmac_f64_e32 v[162:163], v[162:163], v[166:167]
	v_mul_f64 v[166:167], v[164:165], v[162:163]
	v_fma_f64 v[160:161], -v[160:161], v[166:167], v[164:165]
	v_div_fmas_f64 v[160:161], v[160:161], v[162:163], v[166:167]
	v_div_fixup_f64 v[160:161], v[160:161], v[146:147], v[144:145]
	v_fmac_f64_e32 v[146:147], v[144:145], v[160:161]
	v_div_scale_f64 v[144:145], s[18:19], v[146:147], v[146:147], 1.0
	v_rcp_f64_e32 v[162:163], v[144:145]
	s_nop 0
	v_fma_f64 v[164:165], -v[144:145], v[162:163], 1.0
	v_fmac_f64_e32 v[162:163], v[162:163], v[164:165]
	v_fma_f64 v[164:165], -v[144:145], v[162:163], 1.0
	v_fmac_f64_e32 v[162:163], v[162:163], v[164:165]
	v_div_scale_f64 v[164:165], vcc, 1.0, v[146:147], 1.0
	v_mul_f64 v[166:167], v[164:165], v[162:163]
	v_fma_f64 v[144:145], -v[144:145], v[166:167], v[164:165]
	s_nop 1
	v_div_fmas_f64 v[144:145], v[144:145], v[162:163], v[166:167]
	v_div_fixup_f64 v[146:147], v[144:145], v[146:147], 1.0
	v_mul_f64 v[144:145], v[160:161], v[146:147]
	v_xor_b32_e32 v147, 0x80000000, v147
.LBB70_574:
	s_andn2_saveexec_b64 s[16:17], s[16:17]
	s_cbranch_execz .LBB70_576
; %bb.575:
	v_div_scale_f64 v[160:161], s[18:19], v[144:145], v[144:145], v[146:147]
	v_rcp_f64_e32 v[162:163], v[160:161]
	v_div_scale_f64 v[164:165], vcc, v[146:147], v[144:145], v[146:147]
	v_fma_f64 v[166:167], -v[160:161], v[162:163], 1.0
	v_fmac_f64_e32 v[162:163], v[162:163], v[166:167]
	v_fma_f64 v[166:167], -v[160:161], v[162:163], 1.0
	v_fmac_f64_e32 v[162:163], v[162:163], v[166:167]
	v_mul_f64 v[166:167], v[164:165], v[162:163]
	v_fma_f64 v[160:161], -v[160:161], v[166:167], v[164:165]
	v_div_fmas_f64 v[160:161], v[160:161], v[162:163], v[166:167]
	v_div_fixup_f64 v[160:161], v[160:161], v[144:145], v[146:147]
	v_fmac_f64_e32 v[144:145], v[146:147], v[160:161]
	v_div_scale_f64 v[146:147], s[18:19], v[144:145], v[144:145], 1.0
	v_rcp_f64_e32 v[162:163], v[146:147]
	s_nop 0
	v_fma_f64 v[164:165], -v[146:147], v[162:163], 1.0
	v_fmac_f64_e32 v[162:163], v[162:163], v[164:165]
	v_fma_f64 v[164:165], -v[146:147], v[162:163], 1.0
	v_fmac_f64_e32 v[162:163], v[162:163], v[164:165]
	v_div_scale_f64 v[164:165], vcc, 1.0, v[144:145], 1.0
	v_mul_f64 v[166:167], v[164:165], v[162:163]
	v_fma_f64 v[146:147], -v[146:147], v[166:167], v[164:165]
	s_nop 1
	v_div_fmas_f64 v[146:147], v[146:147], v[162:163], v[166:167]
	v_div_fixup_f64 v[144:145], v[146:147], v[144:145], 1.0
	v_mul_f64 v[146:147], v[160:161], -v[144:145]
.LBB70_576:
	s_or_b64 exec, exec, s[16:17]
.LBB70_577:
	s_or_b64 exec, exec, s[0:1]
	v_cmp_ne_u32_e32 vcc, v157, v154
	s_and_saveexec_b64 s[0:1], vcc
	s_xor_b64 s[0:1], exec, s[0:1]
	s_cbranch_execz .LBB70_583
; %bb.578:
	v_cmp_eq_u32_e32 vcc, 27, v157
	s_and_saveexec_b64 s[16:17], vcc
	s_cbranch_execz .LBB70_582
; %bb.579:
	v_cmp_ne_u32_e32 vcc, 27, v154
	s_xor_b64 s[18:19], s[14:15], -1
	s_and_b64 s[22:23], s[18:19], vcc
	s_and_saveexec_b64 s[18:19], s[22:23]
	s_cbranch_execz .LBB70_581
; %bb.580:
	v_ashrrev_i32_e32 v155, 31, v154
	v_lshl_add_u64 v[160:161], v[154:155], 2, v[152:153]
	global_load_dword v155, v[160:161], off
	global_load_dword v157, v[152:153], off offset:108
	s_waitcnt vmcnt(1)
	global_store_dword v[152:153], v155, off offset:108
	s_waitcnt vmcnt(1)
	global_store_dword v[160:161], v157, off
.LBB70_581:
	s_or_b64 exec, exec, s[18:19]
	v_mov_b32_e32 v157, v154
	v_mov_b32_e32 v159, v154
.LBB70_582:
	s_or_b64 exec, exec, s[16:17]
.LBB70_583:
	s_andn2_saveexec_b64 s[0:1], s[0:1]
	s_cbranch_execz .LBB70_585
; %bb.584:
	v_mov_b32_e32 v157, 27
	s_waitcnt vmcnt(7)
	ds_write2_b64 v156, v[24:25], v[26:27] offset0:56 offset1:57
	s_waitcnt vmcnt(6)
	ds_write2_b64 v156, v[20:21], v[22:23] offset0:58 offset1:59
	s_waitcnt vmcnt(5)
	ds_write2_b64 v156, v[16:17], v[18:19] offset0:60 offset1:61
	s_waitcnt vmcnt(4)
	ds_write2_b64 v156, v[12:13], v[14:15] offset0:62 offset1:63
	s_waitcnt vmcnt(3)
	ds_write2_b64 v156, v[8:9], v[10:11] offset0:64 offset1:65
	s_waitcnt vmcnt(2)
	ds_write2_b64 v156, v[4:5], v[6:7] offset0:66 offset1:67
	s_waitcnt vmcnt(1)
	ds_write2_b64 v156, v[0:1], v[2:3] offset0:68 offset1:69
	s_waitcnt vmcnt(0)
	ds_write2_b64 v156, v[140:141], v[142:143] offset0:70 offset1:71
.LBB70_585:
	s_or_b64 exec, exec, s[0:1]
	v_cmp_lt_i32_e32 vcc, 27, v157
	s_waitcnt lgkmcnt(0)
	s_barrier
	s_and_saveexec_b64 s[0:1], vcc
	s_cbranch_execz .LBB70_587
; %bb.586:
	ds_read2_b64 v[160:163], v156 offset0:56 offset1:57
	v_mul_f64 v[154:155], v[144:145], v[30:31]
	v_mul_f64 v[30:31], v[146:147], v[30:31]
	v_fmac_f64_e32 v[154:155], v[146:147], v[28:29]
	v_fma_f64 v[28:29], v[144:145], v[28:29], -v[30:31]
	ds_read2_b64 v[144:147], v156 offset0:58 offset1:59
	s_waitcnt lgkmcnt(1)
	v_mul_f64 v[30:31], v[162:163], v[154:155]
	v_fma_f64 v[30:31], v[160:161], v[28:29], -v[30:31]
	v_mul_f64 v[160:161], v[160:161], v[154:155]
	v_fmac_f64_e32 v[160:161], v[162:163], v[28:29]
	s_waitcnt vmcnt(7)
	v_add_f64 v[24:25], v[24:25], -v[30:31]
	s_waitcnt lgkmcnt(0)
	v_mul_f64 v[30:31], v[146:147], v[154:155]
	v_add_f64 v[26:27], v[26:27], -v[160:161]
	v_fma_f64 v[30:31], v[144:145], v[28:29], -v[30:31]
	v_mul_f64 v[144:145], v[144:145], v[154:155]
	ds_read2_b64 v[160:163], v156 offset0:60 offset1:61
	v_fmac_f64_e32 v[144:145], v[146:147], v[28:29]
	s_waitcnt vmcnt(6)
	v_add_f64 v[22:23], v[22:23], -v[144:145]
	ds_read2_b64 v[144:147], v156 offset0:62 offset1:63
	v_add_f64 v[20:21], v[20:21], -v[30:31]
	s_waitcnt lgkmcnt(1)
	v_mul_f64 v[30:31], v[162:163], v[154:155]
	v_fma_f64 v[30:31], v[160:161], v[28:29], -v[30:31]
	v_mul_f64 v[160:161], v[160:161], v[154:155]
	v_fmac_f64_e32 v[160:161], v[162:163], v[28:29]
	s_waitcnt vmcnt(5)
	v_add_f64 v[16:17], v[16:17], -v[30:31]
	s_waitcnt lgkmcnt(0)
	v_mul_f64 v[30:31], v[146:147], v[154:155]
	v_add_f64 v[18:19], v[18:19], -v[160:161]
	v_fma_f64 v[30:31], v[144:145], v[28:29], -v[30:31]
	v_mul_f64 v[144:145], v[144:145], v[154:155]
	ds_read2_b64 v[160:163], v156 offset0:64 offset1:65
	v_fmac_f64_e32 v[144:145], v[146:147], v[28:29]
	s_waitcnt vmcnt(4)
	v_add_f64 v[14:15], v[14:15], -v[144:145]
	ds_read2_b64 v[144:147], v156 offset0:66 offset1:67
	v_add_f64 v[12:13], v[12:13], -v[30:31]
	;; [unrolled: 18-line block ×3, first 2 shown]
	s_waitcnt lgkmcnt(1)
	v_mul_f64 v[30:31], v[162:163], v[154:155]
	v_fma_f64 v[30:31], v[160:161], v[28:29], -v[30:31]
	s_waitcnt vmcnt(1)
	v_add_f64 v[0:1], v[0:1], -v[30:31]
	s_waitcnt lgkmcnt(0)
	v_mul_f64 v[30:31], v[146:147], v[154:155]
	v_mul_f64 v[160:161], v[160:161], v[154:155]
	v_fma_f64 v[30:31], v[144:145], v[28:29], -v[30:31]
	v_mul_f64 v[144:145], v[144:145], v[154:155]
	v_fmac_f64_e32 v[160:161], v[162:163], v[28:29]
	v_fmac_f64_e32 v[144:145], v[146:147], v[28:29]
	v_add_f64 v[2:3], v[2:3], -v[160:161]
	s_waitcnt vmcnt(0)
	v_add_f64 v[140:141], v[140:141], -v[30:31]
	v_add_f64 v[142:143], v[142:143], -v[144:145]
	v_mov_b64_e32 v[30:31], v[154:155]
.LBB70_587:
	s_or_b64 exec, exec, s[0:1]
	v_lshl_add_u32 v144, v157, 4, v156
	s_barrier
	s_waitcnt vmcnt(7)
	ds_write2_b64 v144, v[24:25], v[26:27] offset1:1
	s_waitcnt lgkmcnt(0)
	s_barrier
	ds_read2_b64 v[144:147], v156 offset0:56 offset1:57
	s_cmp_lt_i32 s20, 30
	v_mov_b32_e32 v154, 28
	s_cbranch_scc1 .LBB70_590
; %bb.588:
	v_add_u32_e32 v155, 0x1d0, v156
	s_mov_b32 s16, 29
	v_mov_b32_e32 v154, 28
.LBB70_589:                             ; =>This Inner Loop Header: Depth=1
	ds_read2_b64 v[160:163], v155 offset1:1
	s_waitcnt lgkmcnt(1)
	v_xor_b32_e32 v165, 0x80000000, v145
	v_xor_b32_e32 v167, 0x80000000, v147
	v_cmp_gt_f64_e32 vcc, 0, v[146:147]
	v_cmp_gt_f64_e64 s[0:1], 0, v[144:145]
	v_mov_b32_e32 v164, v144
	v_mov_b32_e32 v166, v146
	v_cndmask_b32_e64 v165, v145, v165, s[0:1]
	v_cndmask_b32_e32 v167, v147, v167, vcc
	v_add_f64 v[164:165], v[164:165], v[166:167]
	s_waitcnt lgkmcnt(0)
	v_xor_b32_e32 v167, 0x80000000, v161
	v_xor_b32_e32 v169, 0x80000000, v163
	v_cmp_gt_f64_e32 vcc, 0, v[162:163]
	v_cmp_gt_f64_e64 s[0:1], 0, v[160:161]
	v_mov_b32_e32 v166, v160
	v_mov_b32_e32 v168, v162
	v_cndmask_b32_e64 v167, v161, v167, s[0:1]
	v_cndmask_b32_e32 v169, v163, v169, vcc
	v_add_f64 v[166:167], v[166:167], v[168:169]
	v_mov_b32_e32 v170, s16
	s_add_i32 s16, s16, 1
	v_cmp_lt_f64_e32 vcc, v[164:165], v[166:167]
	v_add_u32_e32 v155, 16, v155
	s_cmp_lg_u32 s20, s16
	v_cndmask_b32_e32 v145, v145, v161, vcc
	v_cndmask_b32_e32 v144, v144, v160, vcc
	;; [unrolled: 1-line block ×5, first 2 shown]
	s_cbranch_scc1 .LBB70_589
.LBB70_590:
	s_waitcnt lgkmcnt(0)
	v_cmp_eq_f64_e32 vcc, 0, v[144:145]
	v_cmp_eq_f64_e64 s[0:1], 0, v[146:147]
	s_and_b64 s[0:1], vcc, s[0:1]
	s_and_saveexec_b64 s[16:17], s[0:1]
	s_xor_b64 s[0:1], exec, s[16:17]
; %bb.591:
	v_cmp_ne_u32_e32 vcc, 0, v158
	s_nop 1
	v_cndmask_b32_e32 v158, 29, v158, vcc
; %bb.592:
	s_andn2_saveexec_b64 s[0:1], s[0:1]
	s_cbranch_execz .LBB70_598
; %bb.593:
	v_cmp_ngt_f64_e64 s[16:17], |v[144:145]|, |v[146:147]|
	s_and_saveexec_b64 s[18:19], s[16:17]
	s_xor_b64 s[16:17], exec, s[18:19]
	s_cbranch_execz .LBB70_595
; %bb.594:
	v_div_scale_f64 v[160:161], s[18:19], v[146:147], v[146:147], v[144:145]
	v_rcp_f64_e32 v[162:163], v[160:161]
	v_div_scale_f64 v[164:165], vcc, v[144:145], v[146:147], v[144:145]
	v_fma_f64 v[166:167], -v[160:161], v[162:163], 1.0
	v_fmac_f64_e32 v[162:163], v[162:163], v[166:167]
	v_fma_f64 v[166:167], -v[160:161], v[162:163], 1.0
	v_fmac_f64_e32 v[162:163], v[162:163], v[166:167]
	v_mul_f64 v[166:167], v[164:165], v[162:163]
	v_fma_f64 v[160:161], -v[160:161], v[166:167], v[164:165]
	v_div_fmas_f64 v[160:161], v[160:161], v[162:163], v[166:167]
	v_div_fixup_f64 v[160:161], v[160:161], v[146:147], v[144:145]
	v_fmac_f64_e32 v[146:147], v[144:145], v[160:161]
	v_div_scale_f64 v[144:145], s[18:19], v[146:147], v[146:147], 1.0
	v_rcp_f64_e32 v[162:163], v[144:145]
	s_nop 0
	v_fma_f64 v[164:165], -v[144:145], v[162:163], 1.0
	v_fmac_f64_e32 v[162:163], v[162:163], v[164:165]
	v_fma_f64 v[164:165], -v[144:145], v[162:163], 1.0
	v_fmac_f64_e32 v[162:163], v[162:163], v[164:165]
	v_div_scale_f64 v[164:165], vcc, 1.0, v[146:147], 1.0
	v_mul_f64 v[166:167], v[164:165], v[162:163]
	v_fma_f64 v[144:145], -v[144:145], v[166:167], v[164:165]
	s_nop 1
	v_div_fmas_f64 v[144:145], v[144:145], v[162:163], v[166:167]
	v_div_fixup_f64 v[146:147], v[144:145], v[146:147], 1.0
	v_mul_f64 v[144:145], v[160:161], v[146:147]
	v_xor_b32_e32 v147, 0x80000000, v147
.LBB70_595:
	s_andn2_saveexec_b64 s[16:17], s[16:17]
	s_cbranch_execz .LBB70_597
; %bb.596:
	v_div_scale_f64 v[160:161], s[18:19], v[144:145], v[144:145], v[146:147]
	v_rcp_f64_e32 v[162:163], v[160:161]
	v_div_scale_f64 v[164:165], vcc, v[146:147], v[144:145], v[146:147]
	v_fma_f64 v[166:167], -v[160:161], v[162:163], 1.0
	v_fmac_f64_e32 v[162:163], v[162:163], v[166:167]
	v_fma_f64 v[166:167], -v[160:161], v[162:163], 1.0
	v_fmac_f64_e32 v[162:163], v[162:163], v[166:167]
	v_mul_f64 v[166:167], v[164:165], v[162:163]
	v_fma_f64 v[160:161], -v[160:161], v[166:167], v[164:165]
	v_div_fmas_f64 v[160:161], v[160:161], v[162:163], v[166:167]
	v_div_fixup_f64 v[160:161], v[160:161], v[144:145], v[146:147]
	v_fmac_f64_e32 v[144:145], v[146:147], v[160:161]
	v_div_scale_f64 v[146:147], s[18:19], v[144:145], v[144:145], 1.0
	v_rcp_f64_e32 v[162:163], v[146:147]
	s_nop 0
	v_fma_f64 v[164:165], -v[146:147], v[162:163], 1.0
	v_fmac_f64_e32 v[162:163], v[162:163], v[164:165]
	v_fma_f64 v[164:165], -v[146:147], v[162:163], 1.0
	v_fmac_f64_e32 v[162:163], v[162:163], v[164:165]
	v_div_scale_f64 v[164:165], vcc, 1.0, v[144:145], 1.0
	v_mul_f64 v[166:167], v[164:165], v[162:163]
	v_fma_f64 v[146:147], -v[146:147], v[166:167], v[164:165]
	s_nop 1
	v_div_fmas_f64 v[146:147], v[146:147], v[162:163], v[166:167]
	v_div_fixup_f64 v[144:145], v[146:147], v[144:145], 1.0
	v_mul_f64 v[146:147], v[160:161], -v[144:145]
.LBB70_597:
	s_or_b64 exec, exec, s[16:17]
.LBB70_598:
	s_or_b64 exec, exec, s[0:1]
	v_cmp_ne_u32_e32 vcc, v157, v154
	s_and_saveexec_b64 s[0:1], vcc
	s_xor_b64 s[0:1], exec, s[0:1]
	s_cbranch_execz .LBB70_604
; %bb.599:
	v_cmp_eq_u32_e32 vcc, 28, v157
	s_and_saveexec_b64 s[16:17], vcc
	s_cbranch_execz .LBB70_603
; %bb.600:
	v_cmp_ne_u32_e32 vcc, 28, v154
	s_xor_b64 s[18:19], s[14:15], -1
	s_and_b64 s[22:23], s[18:19], vcc
	s_and_saveexec_b64 s[18:19], s[22:23]
	s_cbranch_execz .LBB70_602
; %bb.601:
	v_ashrrev_i32_e32 v155, 31, v154
	v_lshl_add_u64 v[160:161], v[154:155], 2, v[152:153]
	global_load_dword v155, v[160:161], off
	global_load_dword v157, v[152:153], off offset:112
	s_waitcnt vmcnt(1)
	global_store_dword v[152:153], v155, off offset:112
	s_waitcnt vmcnt(1)
	global_store_dword v[160:161], v157, off
.LBB70_602:
	s_or_b64 exec, exec, s[18:19]
	v_mov_b32_e32 v157, v154
	v_mov_b32_e32 v159, v154
.LBB70_603:
	s_or_b64 exec, exec, s[16:17]
.LBB70_604:
	s_andn2_saveexec_b64 s[0:1], s[0:1]
	s_cbranch_execz .LBB70_606
; %bb.605:
	v_mov_b32_e32 v157, 28
	s_waitcnt vmcnt(6)
	ds_write2_b64 v156, v[20:21], v[22:23] offset0:58 offset1:59
	s_waitcnt vmcnt(5)
	ds_write2_b64 v156, v[16:17], v[18:19] offset0:60 offset1:61
	;; [unrolled: 2-line block ×7, first 2 shown]
.LBB70_606:
	s_or_b64 exec, exec, s[0:1]
	v_cmp_lt_i32_e32 vcc, 28, v157
	s_waitcnt lgkmcnt(0)
	s_barrier
	s_and_saveexec_b64 s[0:1], vcc
	s_cbranch_execz .LBB70_608
; %bb.607:
	ds_read2_b64 v[160:163], v156 offset0:58 offset1:59
	v_mul_f64 v[154:155], v[144:145], v[26:27]
	v_fmac_f64_e32 v[154:155], v[146:147], v[24:25]
	v_mul_f64 v[26:27], v[146:147], v[26:27]
	v_fma_f64 v[24:25], v[144:145], v[24:25], -v[26:27]
	ds_read2_b64 v[144:147], v156 offset0:60 offset1:61
	s_waitcnt lgkmcnt(1)
	v_mul_f64 v[26:27], v[162:163], v[154:155]
	v_fma_f64 v[26:27], v[160:161], v[24:25], -v[26:27]
	v_mul_f64 v[160:161], v[160:161], v[154:155]
	v_fmac_f64_e32 v[160:161], v[162:163], v[24:25]
	s_waitcnt vmcnt(6)
	v_add_f64 v[22:23], v[22:23], -v[160:161]
	ds_read2_b64 v[160:163], v156 offset0:62 offset1:63
	v_add_f64 v[20:21], v[20:21], -v[26:27]
	s_waitcnt lgkmcnt(1)
	v_mul_f64 v[26:27], v[146:147], v[154:155]
	v_fma_f64 v[26:27], v[144:145], v[24:25], -v[26:27]
	v_mul_f64 v[144:145], v[144:145], v[154:155]
	v_fmac_f64_e32 v[144:145], v[146:147], v[24:25]
	s_waitcnt vmcnt(5)
	v_add_f64 v[16:17], v[16:17], -v[26:27]
	v_add_f64 v[18:19], v[18:19], -v[144:145]
	ds_read2_b64 v[144:147], v156 offset0:64 offset1:65
	s_waitcnt lgkmcnt(1)
	v_mul_f64 v[26:27], v[162:163], v[154:155]
	v_fma_f64 v[26:27], v[160:161], v[24:25], -v[26:27]
	v_mul_f64 v[160:161], v[160:161], v[154:155]
	v_fmac_f64_e32 v[160:161], v[162:163], v[24:25]
	s_waitcnt vmcnt(4)
	v_add_f64 v[14:15], v[14:15], -v[160:161]
	ds_read2_b64 v[160:163], v156 offset0:66 offset1:67
	v_add_f64 v[12:13], v[12:13], -v[26:27]
	s_waitcnt lgkmcnt(1)
	v_mul_f64 v[26:27], v[146:147], v[154:155]
	v_fma_f64 v[26:27], v[144:145], v[24:25], -v[26:27]
	v_mul_f64 v[144:145], v[144:145], v[154:155]
	v_fmac_f64_e32 v[144:145], v[146:147], v[24:25]
	s_waitcnt vmcnt(3)
	v_add_f64 v[8:9], v[8:9], -v[26:27]
	v_add_f64 v[10:11], v[10:11], -v[144:145]
	;; [unrolled: 18-line block ×3, first 2 shown]
	s_waitcnt lgkmcnt(0)
	v_mul_f64 v[26:27], v[162:163], v[154:155]
	v_mul_f64 v[144:145], v[160:161], v[154:155]
	v_fma_f64 v[26:27], v[160:161], v[24:25], -v[26:27]
	v_fmac_f64_e32 v[144:145], v[162:163], v[24:25]
	s_waitcnt vmcnt(0)
	v_add_f64 v[140:141], v[140:141], -v[26:27]
	v_add_f64 v[142:143], v[142:143], -v[144:145]
	v_mov_b64_e32 v[26:27], v[154:155]
.LBB70_608:
	s_or_b64 exec, exec, s[0:1]
	v_lshl_add_u32 v144, v157, 4, v156
	s_barrier
	s_waitcnt vmcnt(6)
	ds_write2_b64 v144, v[20:21], v[22:23] offset1:1
	s_waitcnt lgkmcnt(0)
	s_barrier
	ds_read2_b64 v[144:147], v156 offset0:58 offset1:59
	s_cmp_lt_i32 s20, 31
	v_mov_b32_e32 v154, 29
	s_cbranch_scc1 .LBB70_611
; %bb.609:
	v_add_u32_e32 v155, 0x1e0, v156
	s_mov_b32 s16, 30
	v_mov_b32_e32 v154, 29
.LBB70_610:                             ; =>This Inner Loop Header: Depth=1
	ds_read2_b64 v[160:163], v155 offset1:1
	s_waitcnt lgkmcnt(1)
	v_xor_b32_e32 v165, 0x80000000, v145
	v_xor_b32_e32 v167, 0x80000000, v147
	v_cmp_gt_f64_e32 vcc, 0, v[146:147]
	v_cmp_gt_f64_e64 s[0:1], 0, v[144:145]
	v_mov_b32_e32 v164, v144
	v_mov_b32_e32 v166, v146
	v_cndmask_b32_e64 v165, v145, v165, s[0:1]
	v_cndmask_b32_e32 v167, v147, v167, vcc
	v_add_f64 v[164:165], v[164:165], v[166:167]
	s_waitcnt lgkmcnt(0)
	v_xor_b32_e32 v167, 0x80000000, v161
	v_xor_b32_e32 v169, 0x80000000, v163
	v_cmp_gt_f64_e32 vcc, 0, v[162:163]
	v_cmp_gt_f64_e64 s[0:1], 0, v[160:161]
	v_mov_b32_e32 v166, v160
	v_mov_b32_e32 v168, v162
	v_cndmask_b32_e64 v167, v161, v167, s[0:1]
	v_cndmask_b32_e32 v169, v163, v169, vcc
	v_add_f64 v[166:167], v[166:167], v[168:169]
	v_mov_b32_e32 v170, s16
	s_add_i32 s16, s16, 1
	v_cmp_lt_f64_e32 vcc, v[164:165], v[166:167]
	v_add_u32_e32 v155, 16, v155
	s_cmp_lg_u32 s20, s16
	v_cndmask_b32_e32 v145, v145, v161, vcc
	v_cndmask_b32_e32 v144, v144, v160, vcc
	;; [unrolled: 1-line block ×5, first 2 shown]
	s_cbranch_scc1 .LBB70_610
.LBB70_611:
	s_waitcnt lgkmcnt(0)
	v_cmp_eq_f64_e32 vcc, 0, v[144:145]
	v_cmp_eq_f64_e64 s[0:1], 0, v[146:147]
	s_and_b64 s[0:1], vcc, s[0:1]
	s_and_saveexec_b64 s[16:17], s[0:1]
	s_xor_b64 s[0:1], exec, s[16:17]
; %bb.612:
	v_cmp_ne_u32_e32 vcc, 0, v158
	s_nop 1
	v_cndmask_b32_e32 v158, 30, v158, vcc
; %bb.613:
	s_andn2_saveexec_b64 s[0:1], s[0:1]
	s_cbranch_execz .LBB70_619
; %bb.614:
	v_cmp_ngt_f64_e64 s[16:17], |v[144:145]|, |v[146:147]|
	s_and_saveexec_b64 s[18:19], s[16:17]
	s_xor_b64 s[16:17], exec, s[18:19]
	s_cbranch_execz .LBB70_616
; %bb.615:
	v_div_scale_f64 v[160:161], s[18:19], v[146:147], v[146:147], v[144:145]
	v_rcp_f64_e32 v[162:163], v[160:161]
	v_div_scale_f64 v[164:165], vcc, v[144:145], v[146:147], v[144:145]
	v_fma_f64 v[166:167], -v[160:161], v[162:163], 1.0
	v_fmac_f64_e32 v[162:163], v[162:163], v[166:167]
	v_fma_f64 v[166:167], -v[160:161], v[162:163], 1.0
	v_fmac_f64_e32 v[162:163], v[162:163], v[166:167]
	v_mul_f64 v[166:167], v[164:165], v[162:163]
	v_fma_f64 v[160:161], -v[160:161], v[166:167], v[164:165]
	v_div_fmas_f64 v[160:161], v[160:161], v[162:163], v[166:167]
	v_div_fixup_f64 v[160:161], v[160:161], v[146:147], v[144:145]
	v_fmac_f64_e32 v[146:147], v[144:145], v[160:161]
	v_div_scale_f64 v[144:145], s[18:19], v[146:147], v[146:147], 1.0
	v_rcp_f64_e32 v[162:163], v[144:145]
	s_nop 0
	v_fma_f64 v[164:165], -v[144:145], v[162:163], 1.0
	v_fmac_f64_e32 v[162:163], v[162:163], v[164:165]
	v_fma_f64 v[164:165], -v[144:145], v[162:163], 1.0
	v_fmac_f64_e32 v[162:163], v[162:163], v[164:165]
	v_div_scale_f64 v[164:165], vcc, 1.0, v[146:147], 1.0
	v_mul_f64 v[166:167], v[164:165], v[162:163]
	v_fma_f64 v[144:145], -v[144:145], v[166:167], v[164:165]
	s_nop 1
	v_div_fmas_f64 v[144:145], v[144:145], v[162:163], v[166:167]
	v_div_fixup_f64 v[146:147], v[144:145], v[146:147], 1.0
	v_mul_f64 v[144:145], v[160:161], v[146:147]
	v_xor_b32_e32 v147, 0x80000000, v147
.LBB70_616:
	s_andn2_saveexec_b64 s[16:17], s[16:17]
	s_cbranch_execz .LBB70_618
; %bb.617:
	v_div_scale_f64 v[160:161], s[18:19], v[144:145], v[144:145], v[146:147]
	v_rcp_f64_e32 v[162:163], v[160:161]
	v_div_scale_f64 v[164:165], vcc, v[146:147], v[144:145], v[146:147]
	v_fma_f64 v[166:167], -v[160:161], v[162:163], 1.0
	v_fmac_f64_e32 v[162:163], v[162:163], v[166:167]
	v_fma_f64 v[166:167], -v[160:161], v[162:163], 1.0
	v_fmac_f64_e32 v[162:163], v[162:163], v[166:167]
	v_mul_f64 v[166:167], v[164:165], v[162:163]
	v_fma_f64 v[160:161], -v[160:161], v[166:167], v[164:165]
	v_div_fmas_f64 v[160:161], v[160:161], v[162:163], v[166:167]
	v_div_fixup_f64 v[160:161], v[160:161], v[144:145], v[146:147]
	v_fmac_f64_e32 v[144:145], v[146:147], v[160:161]
	v_div_scale_f64 v[146:147], s[18:19], v[144:145], v[144:145], 1.0
	v_rcp_f64_e32 v[162:163], v[146:147]
	s_nop 0
	v_fma_f64 v[164:165], -v[146:147], v[162:163], 1.0
	v_fmac_f64_e32 v[162:163], v[162:163], v[164:165]
	v_fma_f64 v[164:165], -v[146:147], v[162:163], 1.0
	v_fmac_f64_e32 v[162:163], v[162:163], v[164:165]
	v_div_scale_f64 v[164:165], vcc, 1.0, v[144:145], 1.0
	v_mul_f64 v[166:167], v[164:165], v[162:163]
	v_fma_f64 v[146:147], -v[146:147], v[166:167], v[164:165]
	s_nop 1
	v_div_fmas_f64 v[146:147], v[146:147], v[162:163], v[166:167]
	v_div_fixup_f64 v[144:145], v[146:147], v[144:145], 1.0
	v_mul_f64 v[146:147], v[160:161], -v[144:145]
.LBB70_618:
	s_or_b64 exec, exec, s[16:17]
.LBB70_619:
	s_or_b64 exec, exec, s[0:1]
	v_cmp_ne_u32_e32 vcc, v157, v154
	s_and_saveexec_b64 s[0:1], vcc
	s_xor_b64 s[0:1], exec, s[0:1]
	s_cbranch_execz .LBB70_625
; %bb.620:
	v_cmp_eq_u32_e32 vcc, 29, v157
	s_and_saveexec_b64 s[16:17], vcc
	s_cbranch_execz .LBB70_624
; %bb.621:
	v_cmp_ne_u32_e32 vcc, 29, v154
	s_xor_b64 s[18:19], s[14:15], -1
	s_and_b64 s[22:23], s[18:19], vcc
	s_and_saveexec_b64 s[18:19], s[22:23]
	s_cbranch_execz .LBB70_623
; %bb.622:
	v_ashrrev_i32_e32 v155, 31, v154
	v_lshl_add_u64 v[160:161], v[154:155], 2, v[152:153]
	global_load_dword v155, v[160:161], off
	global_load_dword v157, v[152:153], off offset:116
	s_waitcnt vmcnt(1)
	global_store_dword v[152:153], v155, off offset:116
	s_waitcnt vmcnt(1)
	global_store_dword v[160:161], v157, off
.LBB70_623:
	s_or_b64 exec, exec, s[18:19]
	v_mov_b32_e32 v157, v154
	v_mov_b32_e32 v159, v154
.LBB70_624:
	s_or_b64 exec, exec, s[16:17]
.LBB70_625:
	s_andn2_saveexec_b64 s[0:1], s[0:1]
	s_cbranch_execz .LBB70_627
; %bb.626:
	v_mov_b32_e32 v157, 29
	s_waitcnt vmcnt(5)
	ds_write2_b64 v156, v[16:17], v[18:19] offset0:60 offset1:61
	s_waitcnt vmcnt(4)
	ds_write2_b64 v156, v[12:13], v[14:15] offset0:62 offset1:63
	;; [unrolled: 2-line block ×6, first 2 shown]
.LBB70_627:
	s_or_b64 exec, exec, s[0:1]
	v_cmp_lt_i32_e32 vcc, 29, v157
	s_waitcnt lgkmcnt(0)
	s_barrier
	s_and_saveexec_b64 s[0:1], vcc
	s_cbranch_execz .LBB70_629
; %bb.628:
	ds_read2_b64 v[160:163], v156 offset0:60 offset1:61
	v_mul_f64 v[154:155], v[144:145], v[22:23]
	v_mul_f64 v[22:23], v[146:147], v[22:23]
	v_fmac_f64_e32 v[154:155], v[146:147], v[20:21]
	v_fma_f64 v[20:21], v[144:145], v[20:21], -v[22:23]
	ds_read2_b64 v[144:147], v156 offset0:62 offset1:63
	s_waitcnt lgkmcnt(1)
	v_mul_f64 v[22:23], v[162:163], v[154:155]
	v_fma_f64 v[22:23], v[160:161], v[20:21], -v[22:23]
	v_mul_f64 v[160:161], v[160:161], v[154:155]
	v_fmac_f64_e32 v[160:161], v[162:163], v[20:21]
	s_waitcnt vmcnt(5)
	v_add_f64 v[16:17], v[16:17], -v[22:23]
	s_waitcnt lgkmcnt(0)
	v_mul_f64 v[22:23], v[146:147], v[154:155]
	v_add_f64 v[18:19], v[18:19], -v[160:161]
	v_fma_f64 v[22:23], v[144:145], v[20:21], -v[22:23]
	v_mul_f64 v[144:145], v[144:145], v[154:155]
	ds_read2_b64 v[160:163], v156 offset0:64 offset1:65
	v_fmac_f64_e32 v[144:145], v[146:147], v[20:21]
	s_waitcnt vmcnt(4)
	v_add_f64 v[14:15], v[14:15], -v[144:145]
	ds_read2_b64 v[144:147], v156 offset0:66 offset1:67
	v_add_f64 v[12:13], v[12:13], -v[22:23]
	s_waitcnt lgkmcnt(1)
	v_mul_f64 v[22:23], v[162:163], v[154:155]
	v_fma_f64 v[22:23], v[160:161], v[20:21], -v[22:23]
	v_mul_f64 v[160:161], v[160:161], v[154:155]
	v_fmac_f64_e32 v[160:161], v[162:163], v[20:21]
	s_waitcnt vmcnt(3)
	v_add_f64 v[8:9], v[8:9], -v[22:23]
	s_waitcnt lgkmcnt(0)
	v_mul_f64 v[22:23], v[146:147], v[154:155]
	v_add_f64 v[10:11], v[10:11], -v[160:161]
	v_fma_f64 v[22:23], v[144:145], v[20:21], -v[22:23]
	v_mul_f64 v[144:145], v[144:145], v[154:155]
	ds_read2_b64 v[160:163], v156 offset0:68 offset1:69
	v_fmac_f64_e32 v[144:145], v[146:147], v[20:21]
	s_waitcnt vmcnt(2)
	v_add_f64 v[6:7], v[6:7], -v[144:145]
	ds_read2_b64 v[144:147], v156 offset0:70 offset1:71
	v_add_f64 v[4:5], v[4:5], -v[22:23]
	s_waitcnt lgkmcnt(1)
	v_mul_f64 v[22:23], v[162:163], v[154:155]
	v_fma_f64 v[22:23], v[160:161], v[20:21], -v[22:23]
	s_waitcnt vmcnt(1)
	v_add_f64 v[0:1], v[0:1], -v[22:23]
	s_waitcnt lgkmcnt(0)
	v_mul_f64 v[22:23], v[146:147], v[154:155]
	v_mul_f64 v[160:161], v[160:161], v[154:155]
	v_fma_f64 v[22:23], v[144:145], v[20:21], -v[22:23]
	v_mul_f64 v[144:145], v[144:145], v[154:155]
	v_fmac_f64_e32 v[160:161], v[162:163], v[20:21]
	v_fmac_f64_e32 v[144:145], v[146:147], v[20:21]
	v_add_f64 v[2:3], v[2:3], -v[160:161]
	s_waitcnt vmcnt(0)
	v_add_f64 v[140:141], v[140:141], -v[22:23]
	v_add_f64 v[142:143], v[142:143], -v[144:145]
	v_mov_b64_e32 v[22:23], v[154:155]
.LBB70_629:
	s_or_b64 exec, exec, s[0:1]
	v_lshl_add_u32 v144, v157, 4, v156
	s_barrier
	s_waitcnt vmcnt(5)
	ds_write2_b64 v144, v[16:17], v[18:19] offset1:1
	s_waitcnt lgkmcnt(0)
	s_barrier
	ds_read2_b64 v[144:147], v156 offset0:60 offset1:61
	s_cmp_lt_i32 s20, 32
	v_mov_b32_e32 v154, 30
	s_cbranch_scc1 .LBB70_632
; %bb.630:
	v_add_u32_e32 v155, 0x1f0, v156
	s_mov_b32 s16, 31
	v_mov_b32_e32 v154, 30
.LBB70_631:                             ; =>This Inner Loop Header: Depth=1
	ds_read2_b64 v[160:163], v155 offset1:1
	s_waitcnt lgkmcnt(1)
	v_xor_b32_e32 v165, 0x80000000, v145
	v_xor_b32_e32 v167, 0x80000000, v147
	v_cmp_gt_f64_e32 vcc, 0, v[146:147]
	v_cmp_gt_f64_e64 s[0:1], 0, v[144:145]
	v_mov_b32_e32 v164, v144
	v_mov_b32_e32 v166, v146
	v_cndmask_b32_e64 v165, v145, v165, s[0:1]
	v_cndmask_b32_e32 v167, v147, v167, vcc
	v_add_f64 v[164:165], v[164:165], v[166:167]
	s_waitcnt lgkmcnt(0)
	v_xor_b32_e32 v167, 0x80000000, v161
	v_xor_b32_e32 v169, 0x80000000, v163
	v_cmp_gt_f64_e32 vcc, 0, v[162:163]
	v_cmp_gt_f64_e64 s[0:1], 0, v[160:161]
	v_mov_b32_e32 v166, v160
	v_mov_b32_e32 v168, v162
	v_cndmask_b32_e64 v167, v161, v167, s[0:1]
	v_cndmask_b32_e32 v169, v163, v169, vcc
	v_add_f64 v[166:167], v[166:167], v[168:169]
	v_mov_b32_e32 v170, s16
	s_add_i32 s16, s16, 1
	v_cmp_lt_f64_e32 vcc, v[164:165], v[166:167]
	v_add_u32_e32 v155, 16, v155
	s_cmp_lg_u32 s20, s16
	v_cndmask_b32_e32 v145, v145, v161, vcc
	v_cndmask_b32_e32 v144, v144, v160, vcc
	;; [unrolled: 1-line block ×5, first 2 shown]
	s_cbranch_scc1 .LBB70_631
.LBB70_632:
	s_waitcnt lgkmcnt(0)
	v_cmp_eq_f64_e32 vcc, 0, v[144:145]
	v_cmp_eq_f64_e64 s[0:1], 0, v[146:147]
	s_and_b64 s[0:1], vcc, s[0:1]
	s_and_saveexec_b64 s[16:17], s[0:1]
	s_xor_b64 s[0:1], exec, s[16:17]
; %bb.633:
	v_cmp_ne_u32_e32 vcc, 0, v158
	s_nop 1
	v_cndmask_b32_e32 v158, 31, v158, vcc
; %bb.634:
	s_andn2_saveexec_b64 s[0:1], s[0:1]
	s_cbranch_execz .LBB70_640
; %bb.635:
	v_cmp_ngt_f64_e64 s[16:17], |v[144:145]|, |v[146:147]|
	s_and_saveexec_b64 s[18:19], s[16:17]
	s_xor_b64 s[16:17], exec, s[18:19]
	s_cbranch_execz .LBB70_637
; %bb.636:
	v_div_scale_f64 v[160:161], s[18:19], v[146:147], v[146:147], v[144:145]
	v_rcp_f64_e32 v[162:163], v[160:161]
	v_div_scale_f64 v[164:165], vcc, v[144:145], v[146:147], v[144:145]
	v_fma_f64 v[166:167], -v[160:161], v[162:163], 1.0
	v_fmac_f64_e32 v[162:163], v[162:163], v[166:167]
	v_fma_f64 v[166:167], -v[160:161], v[162:163], 1.0
	v_fmac_f64_e32 v[162:163], v[162:163], v[166:167]
	v_mul_f64 v[166:167], v[164:165], v[162:163]
	v_fma_f64 v[160:161], -v[160:161], v[166:167], v[164:165]
	v_div_fmas_f64 v[160:161], v[160:161], v[162:163], v[166:167]
	v_div_fixup_f64 v[160:161], v[160:161], v[146:147], v[144:145]
	v_fmac_f64_e32 v[146:147], v[144:145], v[160:161]
	v_div_scale_f64 v[144:145], s[18:19], v[146:147], v[146:147], 1.0
	v_rcp_f64_e32 v[162:163], v[144:145]
	s_nop 0
	v_fma_f64 v[164:165], -v[144:145], v[162:163], 1.0
	v_fmac_f64_e32 v[162:163], v[162:163], v[164:165]
	v_fma_f64 v[164:165], -v[144:145], v[162:163], 1.0
	v_fmac_f64_e32 v[162:163], v[162:163], v[164:165]
	v_div_scale_f64 v[164:165], vcc, 1.0, v[146:147], 1.0
	v_mul_f64 v[166:167], v[164:165], v[162:163]
	v_fma_f64 v[144:145], -v[144:145], v[166:167], v[164:165]
	s_nop 1
	v_div_fmas_f64 v[144:145], v[144:145], v[162:163], v[166:167]
	v_div_fixup_f64 v[146:147], v[144:145], v[146:147], 1.0
	v_mul_f64 v[144:145], v[160:161], v[146:147]
	v_xor_b32_e32 v147, 0x80000000, v147
.LBB70_637:
	s_andn2_saveexec_b64 s[16:17], s[16:17]
	s_cbranch_execz .LBB70_639
; %bb.638:
	v_div_scale_f64 v[160:161], s[18:19], v[144:145], v[144:145], v[146:147]
	v_rcp_f64_e32 v[162:163], v[160:161]
	v_div_scale_f64 v[164:165], vcc, v[146:147], v[144:145], v[146:147]
	v_fma_f64 v[166:167], -v[160:161], v[162:163], 1.0
	v_fmac_f64_e32 v[162:163], v[162:163], v[166:167]
	v_fma_f64 v[166:167], -v[160:161], v[162:163], 1.0
	v_fmac_f64_e32 v[162:163], v[162:163], v[166:167]
	v_mul_f64 v[166:167], v[164:165], v[162:163]
	v_fma_f64 v[160:161], -v[160:161], v[166:167], v[164:165]
	v_div_fmas_f64 v[160:161], v[160:161], v[162:163], v[166:167]
	v_div_fixup_f64 v[160:161], v[160:161], v[144:145], v[146:147]
	v_fmac_f64_e32 v[144:145], v[146:147], v[160:161]
	v_div_scale_f64 v[146:147], s[18:19], v[144:145], v[144:145], 1.0
	v_rcp_f64_e32 v[162:163], v[146:147]
	s_nop 0
	v_fma_f64 v[164:165], -v[146:147], v[162:163], 1.0
	v_fmac_f64_e32 v[162:163], v[162:163], v[164:165]
	v_fma_f64 v[164:165], -v[146:147], v[162:163], 1.0
	v_fmac_f64_e32 v[162:163], v[162:163], v[164:165]
	v_div_scale_f64 v[164:165], vcc, 1.0, v[144:145], 1.0
	v_mul_f64 v[166:167], v[164:165], v[162:163]
	v_fma_f64 v[146:147], -v[146:147], v[166:167], v[164:165]
	s_nop 1
	v_div_fmas_f64 v[146:147], v[146:147], v[162:163], v[166:167]
	v_div_fixup_f64 v[144:145], v[146:147], v[144:145], 1.0
	v_mul_f64 v[146:147], v[160:161], -v[144:145]
.LBB70_639:
	s_or_b64 exec, exec, s[16:17]
.LBB70_640:
	s_or_b64 exec, exec, s[0:1]
	v_cmp_ne_u32_e32 vcc, v157, v154
	s_and_saveexec_b64 s[0:1], vcc
	s_xor_b64 s[0:1], exec, s[0:1]
	s_cbranch_execz .LBB70_646
; %bb.641:
	v_cmp_eq_u32_e32 vcc, 30, v157
	s_and_saveexec_b64 s[16:17], vcc
	s_cbranch_execz .LBB70_645
; %bb.642:
	v_cmp_ne_u32_e32 vcc, 30, v154
	s_xor_b64 s[18:19], s[14:15], -1
	s_and_b64 s[22:23], s[18:19], vcc
	s_and_saveexec_b64 s[18:19], s[22:23]
	s_cbranch_execz .LBB70_644
; %bb.643:
	v_ashrrev_i32_e32 v155, 31, v154
	v_lshl_add_u64 v[160:161], v[154:155], 2, v[152:153]
	global_load_dword v155, v[160:161], off
	global_load_dword v157, v[152:153], off offset:120
	s_waitcnt vmcnt(1)
	global_store_dword v[152:153], v155, off offset:120
	s_waitcnt vmcnt(1)
	global_store_dword v[160:161], v157, off
.LBB70_644:
	s_or_b64 exec, exec, s[18:19]
	v_mov_b32_e32 v157, v154
	v_mov_b32_e32 v159, v154
.LBB70_645:
	s_or_b64 exec, exec, s[16:17]
.LBB70_646:
	s_andn2_saveexec_b64 s[0:1], s[0:1]
	s_cbranch_execz .LBB70_648
; %bb.647:
	v_mov_b32_e32 v157, 30
	s_waitcnt vmcnt(4)
	ds_write2_b64 v156, v[12:13], v[14:15] offset0:62 offset1:63
	s_waitcnt vmcnt(3)
	ds_write2_b64 v156, v[8:9], v[10:11] offset0:64 offset1:65
	;; [unrolled: 2-line block ×5, first 2 shown]
.LBB70_648:
	s_or_b64 exec, exec, s[0:1]
	v_cmp_lt_i32_e32 vcc, 30, v157
	s_waitcnt lgkmcnt(0)
	s_barrier
	s_and_saveexec_b64 s[0:1], vcc
	s_cbranch_execz .LBB70_650
; %bb.649:
	ds_read2_b64 v[160:163], v156 offset0:62 offset1:63
	v_mul_f64 v[154:155], v[144:145], v[18:19]
	v_fmac_f64_e32 v[154:155], v[146:147], v[16:17]
	v_mul_f64 v[18:19], v[146:147], v[18:19]
	v_fma_f64 v[16:17], v[144:145], v[16:17], -v[18:19]
	ds_read2_b64 v[144:147], v156 offset0:64 offset1:65
	s_waitcnt lgkmcnt(1)
	v_mul_f64 v[18:19], v[162:163], v[154:155]
	v_fma_f64 v[18:19], v[160:161], v[16:17], -v[18:19]
	v_mul_f64 v[160:161], v[160:161], v[154:155]
	v_fmac_f64_e32 v[160:161], v[162:163], v[16:17]
	s_waitcnt vmcnt(4)
	v_add_f64 v[14:15], v[14:15], -v[160:161]
	ds_read2_b64 v[160:163], v156 offset0:66 offset1:67
	v_add_f64 v[12:13], v[12:13], -v[18:19]
	s_waitcnt lgkmcnt(1)
	v_mul_f64 v[18:19], v[146:147], v[154:155]
	v_fma_f64 v[18:19], v[144:145], v[16:17], -v[18:19]
	v_mul_f64 v[144:145], v[144:145], v[154:155]
	v_fmac_f64_e32 v[144:145], v[146:147], v[16:17]
	s_waitcnt vmcnt(3)
	v_add_f64 v[8:9], v[8:9], -v[18:19]
	v_add_f64 v[10:11], v[10:11], -v[144:145]
	ds_read2_b64 v[144:147], v156 offset0:68 offset1:69
	s_waitcnt lgkmcnt(1)
	v_mul_f64 v[18:19], v[162:163], v[154:155]
	v_fma_f64 v[18:19], v[160:161], v[16:17], -v[18:19]
	v_mul_f64 v[160:161], v[160:161], v[154:155]
	v_fmac_f64_e32 v[160:161], v[162:163], v[16:17]
	s_waitcnt vmcnt(2)
	v_add_f64 v[6:7], v[6:7], -v[160:161]
	ds_read2_b64 v[160:163], v156 offset0:70 offset1:71
	v_add_f64 v[4:5], v[4:5], -v[18:19]
	s_waitcnt lgkmcnt(1)
	v_mul_f64 v[18:19], v[146:147], v[154:155]
	v_fma_f64 v[18:19], v[144:145], v[16:17], -v[18:19]
	v_mul_f64 v[144:145], v[144:145], v[154:155]
	v_fmac_f64_e32 v[144:145], v[146:147], v[16:17]
	s_waitcnt vmcnt(1)
	v_add_f64 v[0:1], v[0:1], -v[18:19]
	v_add_f64 v[2:3], v[2:3], -v[144:145]
	s_waitcnt lgkmcnt(0)
	v_mul_f64 v[18:19], v[162:163], v[154:155]
	v_mul_f64 v[144:145], v[160:161], v[154:155]
	v_fma_f64 v[18:19], v[160:161], v[16:17], -v[18:19]
	v_fmac_f64_e32 v[144:145], v[162:163], v[16:17]
	s_waitcnt vmcnt(0)
	v_add_f64 v[140:141], v[140:141], -v[18:19]
	v_add_f64 v[142:143], v[142:143], -v[144:145]
	v_mov_b64_e32 v[18:19], v[154:155]
.LBB70_650:
	s_or_b64 exec, exec, s[0:1]
	v_lshl_add_u32 v144, v157, 4, v156
	s_barrier
	s_waitcnt vmcnt(4)
	ds_write2_b64 v144, v[12:13], v[14:15] offset1:1
	s_waitcnt lgkmcnt(0)
	s_barrier
	ds_read2_b64 v[144:147], v156 offset0:62 offset1:63
	s_cmp_lt_i32 s20, 33
	v_mov_b32_e32 v154, 31
	s_cbranch_scc1 .LBB70_653
; %bb.651:
	v_add_u32_e32 v155, 0x200, v156
	s_mov_b32 s16, 32
	v_mov_b32_e32 v154, 31
.LBB70_652:                             ; =>This Inner Loop Header: Depth=1
	ds_read2_b64 v[160:163], v155 offset1:1
	s_waitcnt lgkmcnt(1)
	v_xor_b32_e32 v165, 0x80000000, v145
	v_xor_b32_e32 v167, 0x80000000, v147
	v_cmp_gt_f64_e32 vcc, 0, v[146:147]
	v_cmp_gt_f64_e64 s[0:1], 0, v[144:145]
	v_mov_b32_e32 v164, v144
	v_mov_b32_e32 v166, v146
	v_cndmask_b32_e64 v165, v145, v165, s[0:1]
	v_cndmask_b32_e32 v167, v147, v167, vcc
	v_add_f64 v[164:165], v[164:165], v[166:167]
	s_waitcnt lgkmcnt(0)
	v_xor_b32_e32 v167, 0x80000000, v161
	v_xor_b32_e32 v169, 0x80000000, v163
	v_cmp_gt_f64_e32 vcc, 0, v[162:163]
	v_cmp_gt_f64_e64 s[0:1], 0, v[160:161]
	v_mov_b32_e32 v166, v160
	v_mov_b32_e32 v168, v162
	v_cndmask_b32_e64 v167, v161, v167, s[0:1]
	v_cndmask_b32_e32 v169, v163, v169, vcc
	v_add_f64 v[166:167], v[166:167], v[168:169]
	v_mov_b32_e32 v170, s16
	s_add_i32 s16, s16, 1
	v_cmp_lt_f64_e32 vcc, v[164:165], v[166:167]
	v_add_u32_e32 v155, 16, v155
	s_cmp_lg_u32 s20, s16
	v_cndmask_b32_e32 v145, v145, v161, vcc
	v_cndmask_b32_e32 v144, v144, v160, vcc
	;; [unrolled: 1-line block ×5, first 2 shown]
	s_cbranch_scc1 .LBB70_652
.LBB70_653:
	s_waitcnt lgkmcnt(0)
	v_cmp_eq_f64_e32 vcc, 0, v[144:145]
	v_cmp_eq_f64_e64 s[0:1], 0, v[146:147]
	s_and_b64 s[0:1], vcc, s[0:1]
	s_and_saveexec_b64 s[16:17], s[0:1]
	s_xor_b64 s[0:1], exec, s[16:17]
; %bb.654:
	v_cmp_ne_u32_e32 vcc, 0, v158
	s_nop 1
	v_cndmask_b32_e32 v158, 32, v158, vcc
; %bb.655:
	s_andn2_saveexec_b64 s[0:1], s[0:1]
	s_cbranch_execz .LBB70_661
; %bb.656:
	v_cmp_ngt_f64_e64 s[16:17], |v[144:145]|, |v[146:147]|
	s_and_saveexec_b64 s[18:19], s[16:17]
	s_xor_b64 s[16:17], exec, s[18:19]
	s_cbranch_execz .LBB70_658
; %bb.657:
	v_div_scale_f64 v[160:161], s[18:19], v[146:147], v[146:147], v[144:145]
	v_rcp_f64_e32 v[162:163], v[160:161]
	v_div_scale_f64 v[164:165], vcc, v[144:145], v[146:147], v[144:145]
	v_fma_f64 v[166:167], -v[160:161], v[162:163], 1.0
	v_fmac_f64_e32 v[162:163], v[162:163], v[166:167]
	v_fma_f64 v[166:167], -v[160:161], v[162:163], 1.0
	v_fmac_f64_e32 v[162:163], v[162:163], v[166:167]
	v_mul_f64 v[166:167], v[164:165], v[162:163]
	v_fma_f64 v[160:161], -v[160:161], v[166:167], v[164:165]
	v_div_fmas_f64 v[160:161], v[160:161], v[162:163], v[166:167]
	v_div_fixup_f64 v[160:161], v[160:161], v[146:147], v[144:145]
	v_fmac_f64_e32 v[146:147], v[144:145], v[160:161]
	v_div_scale_f64 v[144:145], s[18:19], v[146:147], v[146:147], 1.0
	v_rcp_f64_e32 v[162:163], v[144:145]
	s_nop 0
	v_fma_f64 v[164:165], -v[144:145], v[162:163], 1.0
	v_fmac_f64_e32 v[162:163], v[162:163], v[164:165]
	v_fma_f64 v[164:165], -v[144:145], v[162:163], 1.0
	v_fmac_f64_e32 v[162:163], v[162:163], v[164:165]
	v_div_scale_f64 v[164:165], vcc, 1.0, v[146:147], 1.0
	v_mul_f64 v[166:167], v[164:165], v[162:163]
	v_fma_f64 v[144:145], -v[144:145], v[166:167], v[164:165]
	s_nop 1
	v_div_fmas_f64 v[144:145], v[144:145], v[162:163], v[166:167]
	v_div_fixup_f64 v[146:147], v[144:145], v[146:147], 1.0
	v_mul_f64 v[144:145], v[160:161], v[146:147]
	v_xor_b32_e32 v147, 0x80000000, v147
.LBB70_658:
	s_andn2_saveexec_b64 s[16:17], s[16:17]
	s_cbranch_execz .LBB70_660
; %bb.659:
	v_div_scale_f64 v[160:161], s[18:19], v[144:145], v[144:145], v[146:147]
	v_rcp_f64_e32 v[162:163], v[160:161]
	v_div_scale_f64 v[164:165], vcc, v[146:147], v[144:145], v[146:147]
	v_fma_f64 v[166:167], -v[160:161], v[162:163], 1.0
	v_fmac_f64_e32 v[162:163], v[162:163], v[166:167]
	v_fma_f64 v[166:167], -v[160:161], v[162:163], 1.0
	v_fmac_f64_e32 v[162:163], v[162:163], v[166:167]
	v_mul_f64 v[166:167], v[164:165], v[162:163]
	v_fma_f64 v[160:161], -v[160:161], v[166:167], v[164:165]
	v_div_fmas_f64 v[160:161], v[160:161], v[162:163], v[166:167]
	v_div_fixup_f64 v[160:161], v[160:161], v[144:145], v[146:147]
	v_fmac_f64_e32 v[144:145], v[146:147], v[160:161]
	v_div_scale_f64 v[146:147], s[18:19], v[144:145], v[144:145], 1.0
	v_rcp_f64_e32 v[162:163], v[146:147]
	s_nop 0
	v_fma_f64 v[164:165], -v[146:147], v[162:163], 1.0
	v_fmac_f64_e32 v[162:163], v[162:163], v[164:165]
	v_fma_f64 v[164:165], -v[146:147], v[162:163], 1.0
	v_fmac_f64_e32 v[162:163], v[162:163], v[164:165]
	v_div_scale_f64 v[164:165], vcc, 1.0, v[144:145], 1.0
	v_mul_f64 v[166:167], v[164:165], v[162:163]
	v_fma_f64 v[146:147], -v[146:147], v[166:167], v[164:165]
	s_nop 1
	v_div_fmas_f64 v[146:147], v[146:147], v[162:163], v[166:167]
	v_div_fixup_f64 v[144:145], v[146:147], v[144:145], 1.0
	v_mul_f64 v[146:147], v[160:161], -v[144:145]
.LBB70_660:
	s_or_b64 exec, exec, s[16:17]
.LBB70_661:
	s_or_b64 exec, exec, s[0:1]
	v_cmp_ne_u32_e32 vcc, v157, v154
	s_and_saveexec_b64 s[0:1], vcc
	s_xor_b64 s[0:1], exec, s[0:1]
	s_cbranch_execz .LBB70_667
; %bb.662:
	v_cmp_eq_u32_e32 vcc, 31, v157
	s_and_saveexec_b64 s[16:17], vcc
	s_cbranch_execz .LBB70_666
; %bb.663:
	v_cmp_ne_u32_e32 vcc, 31, v154
	s_xor_b64 s[18:19], s[14:15], -1
	s_and_b64 s[22:23], s[18:19], vcc
	s_and_saveexec_b64 s[18:19], s[22:23]
	s_cbranch_execz .LBB70_665
; %bb.664:
	v_ashrrev_i32_e32 v155, 31, v154
	v_lshl_add_u64 v[160:161], v[154:155], 2, v[152:153]
	global_load_dword v155, v[160:161], off
	global_load_dword v157, v[152:153], off offset:124
	s_waitcnt vmcnt(1)
	global_store_dword v[152:153], v155, off offset:124
	s_waitcnt vmcnt(1)
	global_store_dword v[160:161], v157, off
.LBB70_665:
	s_or_b64 exec, exec, s[18:19]
	v_mov_b32_e32 v157, v154
	v_mov_b32_e32 v159, v154
.LBB70_666:
	s_or_b64 exec, exec, s[16:17]
.LBB70_667:
	s_andn2_saveexec_b64 s[0:1], s[0:1]
	s_cbranch_execz .LBB70_669
; %bb.668:
	v_mov_b32_e32 v157, 31
	s_waitcnt vmcnt(3)
	ds_write2_b64 v156, v[8:9], v[10:11] offset0:64 offset1:65
	s_waitcnt vmcnt(2)
	ds_write2_b64 v156, v[4:5], v[6:7] offset0:66 offset1:67
	;; [unrolled: 2-line block ×4, first 2 shown]
.LBB70_669:
	s_or_b64 exec, exec, s[0:1]
	v_cmp_lt_i32_e32 vcc, 31, v157
	s_waitcnt lgkmcnt(0)
	s_barrier
	s_and_saveexec_b64 s[0:1], vcc
	s_cbranch_execz .LBB70_671
; %bb.670:
	ds_read2_b64 v[160:163], v156 offset0:64 offset1:65
	v_mul_f64 v[154:155], v[144:145], v[14:15]
	v_mul_f64 v[14:15], v[146:147], v[14:15]
	v_fmac_f64_e32 v[154:155], v[146:147], v[12:13]
	v_fma_f64 v[12:13], v[144:145], v[12:13], -v[14:15]
	ds_read2_b64 v[144:147], v156 offset0:66 offset1:67
	s_waitcnt lgkmcnt(1)
	v_mul_f64 v[14:15], v[162:163], v[154:155]
	v_fma_f64 v[14:15], v[160:161], v[12:13], -v[14:15]
	v_mul_f64 v[160:161], v[160:161], v[154:155]
	v_fmac_f64_e32 v[160:161], v[162:163], v[12:13]
	s_waitcnt vmcnt(3)
	v_add_f64 v[8:9], v[8:9], -v[14:15]
	s_waitcnt lgkmcnt(0)
	v_mul_f64 v[14:15], v[146:147], v[154:155]
	v_add_f64 v[10:11], v[10:11], -v[160:161]
	v_fma_f64 v[14:15], v[144:145], v[12:13], -v[14:15]
	v_mul_f64 v[144:145], v[144:145], v[154:155]
	ds_read2_b64 v[160:163], v156 offset0:68 offset1:69
	v_fmac_f64_e32 v[144:145], v[146:147], v[12:13]
	s_waitcnt vmcnt(2)
	v_add_f64 v[6:7], v[6:7], -v[144:145]
	ds_read2_b64 v[144:147], v156 offset0:70 offset1:71
	v_add_f64 v[4:5], v[4:5], -v[14:15]
	s_waitcnt lgkmcnt(1)
	v_mul_f64 v[14:15], v[162:163], v[154:155]
	v_fma_f64 v[14:15], v[160:161], v[12:13], -v[14:15]
	s_waitcnt vmcnt(1)
	v_add_f64 v[0:1], v[0:1], -v[14:15]
	s_waitcnt lgkmcnt(0)
	v_mul_f64 v[14:15], v[146:147], v[154:155]
	v_mul_f64 v[160:161], v[160:161], v[154:155]
	v_fma_f64 v[14:15], v[144:145], v[12:13], -v[14:15]
	v_mul_f64 v[144:145], v[144:145], v[154:155]
	v_fmac_f64_e32 v[160:161], v[162:163], v[12:13]
	v_fmac_f64_e32 v[144:145], v[146:147], v[12:13]
	v_add_f64 v[2:3], v[2:3], -v[160:161]
	s_waitcnt vmcnt(0)
	v_add_f64 v[140:141], v[140:141], -v[14:15]
	v_add_f64 v[142:143], v[142:143], -v[144:145]
	v_mov_b64_e32 v[14:15], v[154:155]
.LBB70_671:
	s_or_b64 exec, exec, s[0:1]
	v_lshl_add_u32 v144, v157, 4, v156
	s_barrier
	s_waitcnt vmcnt(3)
	ds_write2_b64 v144, v[8:9], v[10:11] offset1:1
	s_waitcnt lgkmcnt(0)
	s_barrier
	ds_read2_b64 v[144:147], v156 offset0:64 offset1:65
	s_cmp_lt_i32 s20, 34
	v_mov_b32_e32 v154, 32
	s_cbranch_scc1 .LBB70_674
; %bb.672:
	v_add_u32_e32 v155, 0x210, v156
	s_mov_b32 s16, 33
	v_mov_b32_e32 v154, 32
.LBB70_673:                             ; =>This Inner Loop Header: Depth=1
	ds_read2_b64 v[160:163], v155 offset1:1
	s_waitcnt lgkmcnt(1)
	v_xor_b32_e32 v165, 0x80000000, v145
	v_xor_b32_e32 v167, 0x80000000, v147
	v_cmp_gt_f64_e32 vcc, 0, v[146:147]
	v_cmp_gt_f64_e64 s[0:1], 0, v[144:145]
	v_mov_b32_e32 v164, v144
	v_mov_b32_e32 v166, v146
	v_cndmask_b32_e64 v165, v145, v165, s[0:1]
	v_cndmask_b32_e32 v167, v147, v167, vcc
	v_add_f64 v[164:165], v[164:165], v[166:167]
	s_waitcnt lgkmcnt(0)
	v_xor_b32_e32 v167, 0x80000000, v161
	v_xor_b32_e32 v169, 0x80000000, v163
	v_cmp_gt_f64_e32 vcc, 0, v[162:163]
	v_cmp_gt_f64_e64 s[0:1], 0, v[160:161]
	v_mov_b32_e32 v166, v160
	v_mov_b32_e32 v168, v162
	v_cndmask_b32_e64 v167, v161, v167, s[0:1]
	v_cndmask_b32_e32 v169, v163, v169, vcc
	v_add_f64 v[166:167], v[166:167], v[168:169]
	v_mov_b32_e32 v170, s16
	s_add_i32 s16, s16, 1
	v_cmp_lt_f64_e32 vcc, v[164:165], v[166:167]
	v_add_u32_e32 v155, 16, v155
	s_cmp_lg_u32 s20, s16
	v_cndmask_b32_e32 v145, v145, v161, vcc
	v_cndmask_b32_e32 v144, v144, v160, vcc
	;; [unrolled: 1-line block ×5, first 2 shown]
	s_cbranch_scc1 .LBB70_673
.LBB70_674:
	s_waitcnt lgkmcnt(0)
	v_cmp_eq_f64_e32 vcc, 0, v[144:145]
	v_cmp_eq_f64_e64 s[0:1], 0, v[146:147]
	s_and_b64 s[0:1], vcc, s[0:1]
	s_and_saveexec_b64 s[16:17], s[0:1]
	s_xor_b64 s[0:1], exec, s[16:17]
; %bb.675:
	v_cmp_ne_u32_e32 vcc, 0, v158
	s_nop 1
	v_cndmask_b32_e32 v158, 33, v158, vcc
; %bb.676:
	s_andn2_saveexec_b64 s[0:1], s[0:1]
	s_cbranch_execz .LBB70_682
; %bb.677:
	v_cmp_ngt_f64_e64 s[16:17], |v[144:145]|, |v[146:147]|
	s_and_saveexec_b64 s[18:19], s[16:17]
	s_xor_b64 s[16:17], exec, s[18:19]
	s_cbranch_execz .LBB70_679
; %bb.678:
	v_div_scale_f64 v[160:161], s[18:19], v[146:147], v[146:147], v[144:145]
	v_rcp_f64_e32 v[162:163], v[160:161]
	v_div_scale_f64 v[164:165], vcc, v[144:145], v[146:147], v[144:145]
	v_fma_f64 v[166:167], -v[160:161], v[162:163], 1.0
	v_fmac_f64_e32 v[162:163], v[162:163], v[166:167]
	v_fma_f64 v[166:167], -v[160:161], v[162:163], 1.0
	v_fmac_f64_e32 v[162:163], v[162:163], v[166:167]
	v_mul_f64 v[166:167], v[164:165], v[162:163]
	v_fma_f64 v[160:161], -v[160:161], v[166:167], v[164:165]
	v_div_fmas_f64 v[160:161], v[160:161], v[162:163], v[166:167]
	v_div_fixup_f64 v[160:161], v[160:161], v[146:147], v[144:145]
	v_fmac_f64_e32 v[146:147], v[144:145], v[160:161]
	v_div_scale_f64 v[144:145], s[18:19], v[146:147], v[146:147], 1.0
	v_rcp_f64_e32 v[162:163], v[144:145]
	s_nop 0
	v_fma_f64 v[164:165], -v[144:145], v[162:163], 1.0
	v_fmac_f64_e32 v[162:163], v[162:163], v[164:165]
	v_fma_f64 v[164:165], -v[144:145], v[162:163], 1.0
	v_fmac_f64_e32 v[162:163], v[162:163], v[164:165]
	v_div_scale_f64 v[164:165], vcc, 1.0, v[146:147], 1.0
	v_mul_f64 v[166:167], v[164:165], v[162:163]
	v_fma_f64 v[144:145], -v[144:145], v[166:167], v[164:165]
	s_nop 1
	v_div_fmas_f64 v[144:145], v[144:145], v[162:163], v[166:167]
	v_div_fixup_f64 v[146:147], v[144:145], v[146:147], 1.0
	v_mul_f64 v[144:145], v[160:161], v[146:147]
	v_xor_b32_e32 v147, 0x80000000, v147
.LBB70_679:
	s_andn2_saveexec_b64 s[16:17], s[16:17]
	s_cbranch_execz .LBB70_681
; %bb.680:
	v_div_scale_f64 v[160:161], s[18:19], v[144:145], v[144:145], v[146:147]
	v_rcp_f64_e32 v[162:163], v[160:161]
	v_div_scale_f64 v[164:165], vcc, v[146:147], v[144:145], v[146:147]
	v_fma_f64 v[166:167], -v[160:161], v[162:163], 1.0
	v_fmac_f64_e32 v[162:163], v[162:163], v[166:167]
	v_fma_f64 v[166:167], -v[160:161], v[162:163], 1.0
	v_fmac_f64_e32 v[162:163], v[162:163], v[166:167]
	v_mul_f64 v[166:167], v[164:165], v[162:163]
	v_fma_f64 v[160:161], -v[160:161], v[166:167], v[164:165]
	v_div_fmas_f64 v[160:161], v[160:161], v[162:163], v[166:167]
	v_div_fixup_f64 v[160:161], v[160:161], v[144:145], v[146:147]
	v_fmac_f64_e32 v[144:145], v[146:147], v[160:161]
	v_div_scale_f64 v[146:147], s[18:19], v[144:145], v[144:145], 1.0
	v_rcp_f64_e32 v[162:163], v[146:147]
	s_nop 0
	v_fma_f64 v[164:165], -v[146:147], v[162:163], 1.0
	v_fmac_f64_e32 v[162:163], v[162:163], v[164:165]
	v_fma_f64 v[164:165], -v[146:147], v[162:163], 1.0
	v_fmac_f64_e32 v[162:163], v[162:163], v[164:165]
	v_div_scale_f64 v[164:165], vcc, 1.0, v[144:145], 1.0
	v_mul_f64 v[166:167], v[164:165], v[162:163]
	v_fma_f64 v[146:147], -v[146:147], v[166:167], v[164:165]
	s_nop 1
	v_div_fmas_f64 v[146:147], v[146:147], v[162:163], v[166:167]
	v_div_fixup_f64 v[144:145], v[146:147], v[144:145], 1.0
	v_mul_f64 v[146:147], v[160:161], -v[144:145]
.LBB70_681:
	s_or_b64 exec, exec, s[16:17]
.LBB70_682:
	s_or_b64 exec, exec, s[0:1]
	v_cmp_ne_u32_e32 vcc, v157, v154
	s_and_saveexec_b64 s[0:1], vcc
	s_xor_b64 s[0:1], exec, s[0:1]
	s_cbranch_execz .LBB70_688
; %bb.683:
	v_cmp_eq_u32_e32 vcc, 32, v157
	s_and_saveexec_b64 s[16:17], vcc
	s_cbranch_execz .LBB70_687
; %bb.684:
	v_cmp_ne_u32_e32 vcc, 32, v154
	s_xor_b64 s[18:19], s[14:15], -1
	s_and_b64 s[22:23], s[18:19], vcc
	s_and_saveexec_b64 s[18:19], s[22:23]
	s_cbranch_execz .LBB70_686
; %bb.685:
	v_ashrrev_i32_e32 v155, 31, v154
	v_lshl_add_u64 v[160:161], v[154:155], 2, v[152:153]
	global_load_dword v155, v[160:161], off
	global_load_dword v157, v[152:153], off offset:128
	s_waitcnt vmcnt(1)
	global_store_dword v[152:153], v155, off offset:128
	s_waitcnt vmcnt(1)
	global_store_dword v[160:161], v157, off
.LBB70_686:
	s_or_b64 exec, exec, s[18:19]
	v_mov_b32_e32 v157, v154
	v_mov_b32_e32 v159, v154
.LBB70_687:
	s_or_b64 exec, exec, s[16:17]
.LBB70_688:
	s_andn2_saveexec_b64 s[0:1], s[0:1]
	s_cbranch_execz .LBB70_690
; %bb.689:
	v_mov_b32_e32 v157, 32
	s_waitcnt vmcnt(2)
	ds_write2_b64 v156, v[4:5], v[6:7] offset0:66 offset1:67
	s_waitcnt vmcnt(1)
	ds_write2_b64 v156, v[0:1], v[2:3] offset0:68 offset1:69
	;; [unrolled: 2-line block ×3, first 2 shown]
.LBB70_690:
	s_or_b64 exec, exec, s[0:1]
	v_cmp_lt_i32_e32 vcc, 32, v157
	s_waitcnt lgkmcnt(0)
	s_barrier
	s_and_saveexec_b64 s[0:1], vcc
	s_cbranch_execz .LBB70_692
; %bb.691:
	ds_read2_b64 v[160:163], v156 offset0:66 offset1:67
	v_mul_f64 v[154:155], v[144:145], v[10:11]
	v_fmac_f64_e32 v[154:155], v[146:147], v[8:9]
	v_mul_f64 v[10:11], v[146:147], v[10:11]
	v_fma_f64 v[8:9], v[144:145], v[8:9], -v[10:11]
	ds_read2_b64 v[144:147], v156 offset0:68 offset1:69
	s_waitcnt lgkmcnt(1)
	v_mul_f64 v[10:11], v[162:163], v[154:155]
	v_fma_f64 v[10:11], v[160:161], v[8:9], -v[10:11]
	v_mul_f64 v[160:161], v[160:161], v[154:155]
	v_fmac_f64_e32 v[160:161], v[162:163], v[8:9]
	s_waitcnt vmcnt(2)
	v_add_f64 v[6:7], v[6:7], -v[160:161]
	ds_read2_b64 v[160:163], v156 offset0:70 offset1:71
	v_add_f64 v[4:5], v[4:5], -v[10:11]
	s_waitcnt lgkmcnt(1)
	v_mul_f64 v[10:11], v[146:147], v[154:155]
	v_fma_f64 v[10:11], v[144:145], v[8:9], -v[10:11]
	v_mul_f64 v[144:145], v[144:145], v[154:155]
	v_fmac_f64_e32 v[144:145], v[146:147], v[8:9]
	s_waitcnt vmcnt(1)
	v_add_f64 v[0:1], v[0:1], -v[10:11]
	v_add_f64 v[2:3], v[2:3], -v[144:145]
	s_waitcnt lgkmcnt(0)
	v_mul_f64 v[10:11], v[162:163], v[154:155]
	v_mul_f64 v[144:145], v[160:161], v[154:155]
	v_fma_f64 v[10:11], v[160:161], v[8:9], -v[10:11]
	v_fmac_f64_e32 v[144:145], v[162:163], v[8:9]
	s_waitcnt vmcnt(0)
	v_add_f64 v[140:141], v[140:141], -v[10:11]
	v_add_f64 v[142:143], v[142:143], -v[144:145]
	v_mov_b64_e32 v[10:11], v[154:155]
.LBB70_692:
	s_or_b64 exec, exec, s[0:1]
	v_lshl_add_u32 v144, v157, 4, v156
	s_barrier
	s_waitcnt vmcnt(2)
	ds_write2_b64 v144, v[4:5], v[6:7] offset1:1
	s_waitcnt lgkmcnt(0)
	s_barrier
	ds_read2_b64 v[144:147], v156 offset0:66 offset1:67
	s_cmp_lt_i32 s20, 35
	v_mov_b32_e32 v154, 33
	s_cbranch_scc1 .LBB70_695
; %bb.693:
	v_add_u32_e32 v155, 0x220, v156
	s_mov_b32 s16, 34
	v_mov_b32_e32 v154, 33
.LBB70_694:                             ; =>This Inner Loop Header: Depth=1
	ds_read2_b64 v[160:163], v155 offset1:1
	s_waitcnt lgkmcnt(1)
	v_xor_b32_e32 v165, 0x80000000, v145
	v_xor_b32_e32 v167, 0x80000000, v147
	v_cmp_gt_f64_e32 vcc, 0, v[146:147]
	v_cmp_gt_f64_e64 s[0:1], 0, v[144:145]
	v_mov_b32_e32 v164, v144
	v_mov_b32_e32 v166, v146
	v_cndmask_b32_e64 v165, v145, v165, s[0:1]
	v_cndmask_b32_e32 v167, v147, v167, vcc
	v_add_f64 v[164:165], v[164:165], v[166:167]
	s_waitcnt lgkmcnt(0)
	v_xor_b32_e32 v167, 0x80000000, v161
	v_xor_b32_e32 v169, 0x80000000, v163
	v_cmp_gt_f64_e32 vcc, 0, v[162:163]
	v_cmp_gt_f64_e64 s[0:1], 0, v[160:161]
	v_mov_b32_e32 v166, v160
	v_mov_b32_e32 v168, v162
	v_cndmask_b32_e64 v167, v161, v167, s[0:1]
	v_cndmask_b32_e32 v169, v163, v169, vcc
	v_add_f64 v[166:167], v[166:167], v[168:169]
	v_mov_b32_e32 v170, s16
	s_add_i32 s16, s16, 1
	v_cmp_lt_f64_e32 vcc, v[164:165], v[166:167]
	v_add_u32_e32 v155, 16, v155
	s_cmp_lg_u32 s20, s16
	v_cndmask_b32_e32 v145, v145, v161, vcc
	v_cndmask_b32_e32 v144, v144, v160, vcc
	;; [unrolled: 1-line block ×5, first 2 shown]
	s_cbranch_scc1 .LBB70_694
.LBB70_695:
	s_waitcnt lgkmcnt(0)
	v_cmp_eq_f64_e32 vcc, 0, v[144:145]
	v_cmp_eq_f64_e64 s[0:1], 0, v[146:147]
	s_and_b64 s[0:1], vcc, s[0:1]
	s_and_saveexec_b64 s[16:17], s[0:1]
	s_xor_b64 s[0:1], exec, s[16:17]
; %bb.696:
	v_cmp_ne_u32_e32 vcc, 0, v158
	s_nop 1
	v_cndmask_b32_e32 v158, 34, v158, vcc
; %bb.697:
	s_andn2_saveexec_b64 s[0:1], s[0:1]
	s_cbranch_execz .LBB70_703
; %bb.698:
	v_cmp_ngt_f64_e64 s[16:17], |v[144:145]|, |v[146:147]|
	s_and_saveexec_b64 s[18:19], s[16:17]
	s_xor_b64 s[16:17], exec, s[18:19]
	s_cbranch_execz .LBB70_700
; %bb.699:
	v_div_scale_f64 v[160:161], s[18:19], v[146:147], v[146:147], v[144:145]
	v_rcp_f64_e32 v[162:163], v[160:161]
	v_div_scale_f64 v[164:165], vcc, v[144:145], v[146:147], v[144:145]
	v_fma_f64 v[166:167], -v[160:161], v[162:163], 1.0
	v_fmac_f64_e32 v[162:163], v[162:163], v[166:167]
	v_fma_f64 v[166:167], -v[160:161], v[162:163], 1.0
	v_fmac_f64_e32 v[162:163], v[162:163], v[166:167]
	v_mul_f64 v[166:167], v[164:165], v[162:163]
	v_fma_f64 v[160:161], -v[160:161], v[166:167], v[164:165]
	v_div_fmas_f64 v[160:161], v[160:161], v[162:163], v[166:167]
	v_div_fixup_f64 v[160:161], v[160:161], v[146:147], v[144:145]
	v_fmac_f64_e32 v[146:147], v[144:145], v[160:161]
	v_div_scale_f64 v[144:145], s[18:19], v[146:147], v[146:147], 1.0
	v_rcp_f64_e32 v[162:163], v[144:145]
	s_nop 0
	v_fma_f64 v[164:165], -v[144:145], v[162:163], 1.0
	v_fmac_f64_e32 v[162:163], v[162:163], v[164:165]
	v_fma_f64 v[164:165], -v[144:145], v[162:163], 1.0
	v_fmac_f64_e32 v[162:163], v[162:163], v[164:165]
	v_div_scale_f64 v[164:165], vcc, 1.0, v[146:147], 1.0
	v_mul_f64 v[166:167], v[164:165], v[162:163]
	v_fma_f64 v[144:145], -v[144:145], v[166:167], v[164:165]
	s_nop 1
	v_div_fmas_f64 v[144:145], v[144:145], v[162:163], v[166:167]
	v_div_fixup_f64 v[146:147], v[144:145], v[146:147], 1.0
	v_mul_f64 v[144:145], v[160:161], v[146:147]
	v_xor_b32_e32 v147, 0x80000000, v147
.LBB70_700:
	s_andn2_saveexec_b64 s[16:17], s[16:17]
	s_cbranch_execz .LBB70_702
; %bb.701:
	v_div_scale_f64 v[160:161], s[18:19], v[144:145], v[144:145], v[146:147]
	v_rcp_f64_e32 v[162:163], v[160:161]
	v_div_scale_f64 v[164:165], vcc, v[146:147], v[144:145], v[146:147]
	v_fma_f64 v[166:167], -v[160:161], v[162:163], 1.0
	v_fmac_f64_e32 v[162:163], v[162:163], v[166:167]
	v_fma_f64 v[166:167], -v[160:161], v[162:163], 1.0
	v_fmac_f64_e32 v[162:163], v[162:163], v[166:167]
	v_mul_f64 v[166:167], v[164:165], v[162:163]
	v_fma_f64 v[160:161], -v[160:161], v[166:167], v[164:165]
	v_div_fmas_f64 v[160:161], v[160:161], v[162:163], v[166:167]
	v_div_fixup_f64 v[160:161], v[160:161], v[144:145], v[146:147]
	v_fmac_f64_e32 v[144:145], v[146:147], v[160:161]
	v_div_scale_f64 v[146:147], s[18:19], v[144:145], v[144:145], 1.0
	v_rcp_f64_e32 v[162:163], v[146:147]
	s_nop 0
	v_fma_f64 v[164:165], -v[146:147], v[162:163], 1.0
	v_fmac_f64_e32 v[162:163], v[162:163], v[164:165]
	v_fma_f64 v[164:165], -v[146:147], v[162:163], 1.0
	v_fmac_f64_e32 v[162:163], v[162:163], v[164:165]
	v_div_scale_f64 v[164:165], vcc, 1.0, v[144:145], 1.0
	v_mul_f64 v[166:167], v[164:165], v[162:163]
	v_fma_f64 v[146:147], -v[146:147], v[166:167], v[164:165]
	s_nop 1
	v_div_fmas_f64 v[146:147], v[146:147], v[162:163], v[166:167]
	v_div_fixup_f64 v[144:145], v[146:147], v[144:145], 1.0
	v_mul_f64 v[146:147], v[160:161], -v[144:145]
.LBB70_702:
	s_or_b64 exec, exec, s[16:17]
.LBB70_703:
	s_or_b64 exec, exec, s[0:1]
	v_cmp_ne_u32_e32 vcc, v157, v154
	s_and_saveexec_b64 s[0:1], vcc
	s_xor_b64 s[0:1], exec, s[0:1]
	s_cbranch_execz .LBB70_709
; %bb.704:
	v_cmp_eq_u32_e32 vcc, 33, v157
	s_and_saveexec_b64 s[16:17], vcc
	s_cbranch_execz .LBB70_708
; %bb.705:
	v_cmp_ne_u32_e32 vcc, 33, v154
	s_xor_b64 s[18:19], s[14:15], -1
	s_and_b64 s[22:23], s[18:19], vcc
	s_and_saveexec_b64 s[18:19], s[22:23]
	s_cbranch_execz .LBB70_707
; %bb.706:
	v_ashrrev_i32_e32 v155, 31, v154
	v_lshl_add_u64 v[160:161], v[154:155], 2, v[152:153]
	global_load_dword v155, v[160:161], off
	global_load_dword v157, v[152:153], off offset:132
	s_waitcnt vmcnt(1)
	global_store_dword v[152:153], v155, off offset:132
	s_waitcnt vmcnt(1)
	global_store_dword v[160:161], v157, off
.LBB70_707:
	s_or_b64 exec, exec, s[18:19]
	v_mov_b32_e32 v157, v154
	v_mov_b32_e32 v159, v154
.LBB70_708:
	s_or_b64 exec, exec, s[16:17]
.LBB70_709:
	s_andn2_saveexec_b64 s[0:1], s[0:1]
	s_cbranch_execz .LBB70_711
; %bb.710:
	v_mov_b32_e32 v157, 33
	s_waitcnt vmcnt(1)
	ds_write2_b64 v156, v[0:1], v[2:3] offset0:68 offset1:69
	s_waitcnt vmcnt(0)
	ds_write2_b64 v156, v[140:141], v[142:143] offset0:70 offset1:71
.LBB70_711:
	s_or_b64 exec, exec, s[0:1]
	v_cmp_lt_i32_e32 vcc, 33, v157
	s_waitcnt lgkmcnt(0)
	s_barrier
	s_and_saveexec_b64 s[0:1], vcc
	s_cbranch_execz .LBB70_713
; %bb.712:
	ds_read2_b64 v[160:163], v156 offset0:68 offset1:69
	v_mul_f64 v[154:155], v[144:145], v[6:7]
	v_mul_f64 v[6:7], v[146:147], v[6:7]
	v_fmac_f64_e32 v[154:155], v[146:147], v[4:5]
	v_fma_f64 v[4:5], v[144:145], v[4:5], -v[6:7]
	ds_read2_b64 v[144:147], v156 offset0:70 offset1:71
	s_waitcnt lgkmcnt(1)
	v_mul_f64 v[6:7], v[162:163], v[154:155]
	v_fma_f64 v[6:7], v[160:161], v[4:5], -v[6:7]
	s_waitcnt vmcnt(1)
	v_add_f64 v[0:1], v[0:1], -v[6:7]
	v_mul_f64 v[160:161], v[160:161], v[154:155]
	s_waitcnt lgkmcnt(0)
	v_mul_f64 v[6:7], v[146:147], v[154:155]
	v_fma_f64 v[6:7], v[144:145], v[4:5], -v[6:7]
	v_mul_f64 v[144:145], v[144:145], v[154:155]
	v_fmac_f64_e32 v[160:161], v[162:163], v[4:5]
	v_fmac_f64_e32 v[144:145], v[146:147], v[4:5]
	v_add_f64 v[2:3], v[2:3], -v[160:161]
	s_waitcnt vmcnt(0)
	v_add_f64 v[140:141], v[140:141], -v[6:7]
	v_add_f64 v[142:143], v[142:143], -v[144:145]
	v_mov_b64_e32 v[6:7], v[154:155]
.LBB70_713:
	s_or_b64 exec, exec, s[0:1]
	v_lshl_add_u32 v144, v157, 4, v156
	s_barrier
	s_waitcnt vmcnt(1)
	ds_write2_b64 v144, v[0:1], v[2:3] offset1:1
	s_waitcnt lgkmcnt(0)
	s_barrier
	ds_read2_b64 v[144:147], v156 offset0:68 offset1:69
	s_cmp_lt_i32 s20, 36
	v_mov_b32_e32 v154, 34
	s_cbranch_scc1 .LBB70_716
; %bb.714:
	v_add_u32_e32 v155, 0x230, v156
	s_mov_b32 s16, 35
	v_mov_b32_e32 v154, 34
.LBB70_715:                             ; =>This Inner Loop Header: Depth=1
	ds_read2_b64 v[160:163], v155 offset1:1
	s_waitcnt lgkmcnt(1)
	v_xor_b32_e32 v165, 0x80000000, v145
	v_xor_b32_e32 v167, 0x80000000, v147
	v_cmp_gt_f64_e32 vcc, 0, v[146:147]
	v_cmp_gt_f64_e64 s[0:1], 0, v[144:145]
	v_mov_b32_e32 v164, v144
	v_mov_b32_e32 v166, v146
	v_cndmask_b32_e64 v165, v145, v165, s[0:1]
	v_cndmask_b32_e32 v167, v147, v167, vcc
	v_add_f64 v[164:165], v[164:165], v[166:167]
	s_waitcnt lgkmcnt(0)
	v_xor_b32_e32 v167, 0x80000000, v161
	v_xor_b32_e32 v169, 0x80000000, v163
	v_cmp_gt_f64_e32 vcc, 0, v[162:163]
	v_cmp_gt_f64_e64 s[0:1], 0, v[160:161]
	v_mov_b32_e32 v166, v160
	v_mov_b32_e32 v168, v162
	v_cndmask_b32_e64 v167, v161, v167, s[0:1]
	v_cndmask_b32_e32 v169, v163, v169, vcc
	v_add_f64 v[166:167], v[166:167], v[168:169]
	v_mov_b32_e32 v170, s16
	s_add_i32 s16, s16, 1
	v_cmp_lt_f64_e32 vcc, v[164:165], v[166:167]
	v_add_u32_e32 v155, 16, v155
	s_cmp_lg_u32 s20, s16
	v_cndmask_b32_e32 v145, v145, v161, vcc
	v_cndmask_b32_e32 v144, v144, v160, vcc
	;; [unrolled: 1-line block ×5, first 2 shown]
	s_cbranch_scc1 .LBB70_715
.LBB70_716:
	s_waitcnt lgkmcnt(0)
	v_cmp_eq_f64_e32 vcc, 0, v[144:145]
	v_cmp_eq_f64_e64 s[0:1], 0, v[146:147]
	s_and_b64 s[0:1], vcc, s[0:1]
	s_and_saveexec_b64 s[16:17], s[0:1]
	s_xor_b64 s[0:1], exec, s[16:17]
; %bb.717:
	v_cmp_ne_u32_e32 vcc, 0, v158
	s_nop 1
	v_cndmask_b32_e32 v158, 35, v158, vcc
; %bb.718:
	s_andn2_saveexec_b64 s[0:1], s[0:1]
	s_cbranch_execz .LBB70_724
; %bb.719:
	v_cmp_ngt_f64_e64 s[16:17], |v[144:145]|, |v[146:147]|
	s_and_saveexec_b64 s[18:19], s[16:17]
	s_xor_b64 s[16:17], exec, s[18:19]
	s_cbranch_execz .LBB70_721
; %bb.720:
	v_div_scale_f64 v[160:161], s[18:19], v[146:147], v[146:147], v[144:145]
	v_rcp_f64_e32 v[162:163], v[160:161]
	v_div_scale_f64 v[164:165], vcc, v[144:145], v[146:147], v[144:145]
	v_fma_f64 v[166:167], -v[160:161], v[162:163], 1.0
	v_fmac_f64_e32 v[162:163], v[162:163], v[166:167]
	v_fma_f64 v[166:167], -v[160:161], v[162:163], 1.0
	v_fmac_f64_e32 v[162:163], v[162:163], v[166:167]
	v_mul_f64 v[166:167], v[164:165], v[162:163]
	v_fma_f64 v[160:161], -v[160:161], v[166:167], v[164:165]
	v_div_fmas_f64 v[160:161], v[160:161], v[162:163], v[166:167]
	v_div_fixup_f64 v[160:161], v[160:161], v[146:147], v[144:145]
	v_fmac_f64_e32 v[146:147], v[144:145], v[160:161]
	v_div_scale_f64 v[144:145], s[18:19], v[146:147], v[146:147], 1.0
	v_rcp_f64_e32 v[162:163], v[144:145]
	s_nop 0
	v_fma_f64 v[164:165], -v[144:145], v[162:163], 1.0
	v_fmac_f64_e32 v[162:163], v[162:163], v[164:165]
	v_fma_f64 v[164:165], -v[144:145], v[162:163], 1.0
	v_fmac_f64_e32 v[162:163], v[162:163], v[164:165]
	v_div_scale_f64 v[164:165], vcc, 1.0, v[146:147], 1.0
	v_mul_f64 v[166:167], v[164:165], v[162:163]
	v_fma_f64 v[144:145], -v[144:145], v[166:167], v[164:165]
	s_nop 1
	v_div_fmas_f64 v[144:145], v[144:145], v[162:163], v[166:167]
	v_div_fixup_f64 v[146:147], v[144:145], v[146:147], 1.0
	v_mul_f64 v[144:145], v[160:161], v[146:147]
	v_xor_b32_e32 v147, 0x80000000, v147
.LBB70_721:
	s_andn2_saveexec_b64 s[16:17], s[16:17]
	s_cbranch_execz .LBB70_723
; %bb.722:
	v_div_scale_f64 v[160:161], s[18:19], v[144:145], v[144:145], v[146:147]
	v_rcp_f64_e32 v[162:163], v[160:161]
	v_div_scale_f64 v[164:165], vcc, v[146:147], v[144:145], v[146:147]
	v_fma_f64 v[166:167], -v[160:161], v[162:163], 1.0
	v_fmac_f64_e32 v[162:163], v[162:163], v[166:167]
	v_fma_f64 v[166:167], -v[160:161], v[162:163], 1.0
	v_fmac_f64_e32 v[162:163], v[162:163], v[166:167]
	v_mul_f64 v[166:167], v[164:165], v[162:163]
	v_fma_f64 v[160:161], -v[160:161], v[166:167], v[164:165]
	v_div_fmas_f64 v[160:161], v[160:161], v[162:163], v[166:167]
	v_div_fixup_f64 v[160:161], v[160:161], v[144:145], v[146:147]
	v_fmac_f64_e32 v[144:145], v[146:147], v[160:161]
	v_div_scale_f64 v[146:147], s[18:19], v[144:145], v[144:145], 1.0
	v_rcp_f64_e32 v[162:163], v[146:147]
	s_nop 0
	v_fma_f64 v[164:165], -v[146:147], v[162:163], 1.0
	v_fmac_f64_e32 v[162:163], v[162:163], v[164:165]
	v_fma_f64 v[164:165], -v[146:147], v[162:163], 1.0
	v_fmac_f64_e32 v[162:163], v[162:163], v[164:165]
	v_div_scale_f64 v[164:165], vcc, 1.0, v[144:145], 1.0
	v_mul_f64 v[166:167], v[164:165], v[162:163]
	v_fma_f64 v[146:147], -v[146:147], v[166:167], v[164:165]
	s_nop 1
	v_div_fmas_f64 v[146:147], v[146:147], v[162:163], v[166:167]
	v_div_fixup_f64 v[144:145], v[146:147], v[144:145], 1.0
	v_mul_f64 v[146:147], v[160:161], -v[144:145]
.LBB70_723:
	s_or_b64 exec, exec, s[16:17]
.LBB70_724:
	s_or_b64 exec, exec, s[0:1]
	v_cmp_ne_u32_e32 vcc, v157, v154
	s_and_saveexec_b64 s[0:1], vcc
	s_xor_b64 s[0:1], exec, s[0:1]
	s_cbranch_execz .LBB70_730
; %bb.725:
	v_cmp_eq_u32_e32 vcc, 34, v157
	s_and_saveexec_b64 s[16:17], vcc
	s_cbranch_execz .LBB70_729
; %bb.726:
	v_cmp_ne_u32_e32 vcc, 34, v154
	s_xor_b64 s[18:19], s[14:15], -1
	s_and_b64 s[22:23], s[18:19], vcc
	s_and_saveexec_b64 s[18:19], s[22:23]
	s_cbranch_execz .LBB70_728
; %bb.727:
	v_ashrrev_i32_e32 v155, 31, v154
	v_lshl_add_u64 v[160:161], v[154:155], 2, v[152:153]
	global_load_dword v155, v[160:161], off
	global_load_dword v157, v[152:153], off offset:136
	s_waitcnt vmcnt(1)
	global_store_dword v[152:153], v155, off offset:136
	s_waitcnt vmcnt(1)
	global_store_dword v[160:161], v157, off
.LBB70_728:
	s_or_b64 exec, exec, s[18:19]
	v_mov_b32_e32 v157, v154
	v_mov_b32_e32 v159, v154
.LBB70_729:
	s_or_b64 exec, exec, s[16:17]
.LBB70_730:
	s_andn2_saveexec_b64 s[0:1], s[0:1]
	s_cbranch_execz .LBB70_732
; %bb.731:
	v_mov_b32_e32 v157, 34
	s_waitcnt vmcnt(0)
	ds_write2_b64 v156, v[140:141], v[142:143] offset0:70 offset1:71
.LBB70_732:
	s_or_b64 exec, exec, s[0:1]
	v_cmp_lt_i32_e32 vcc, 34, v157
	s_waitcnt lgkmcnt(0)
	s_barrier
	s_and_saveexec_b64 s[0:1], vcc
	s_cbranch_execz .LBB70_734
; %bb.733:
	ds_read2_b64 v[160:163], v156 offset0:70 offset1:71
	v_mul_f64 v[154:155], v[144:145], v[2:3]
	v_mul_f64 v[2:3], v[146:147], v[2:3]
	v_fmac_f64_e32 v[154:155], v[146:147], v[0:1]
	v_fma_f64 v[0:1], v[144:145], v[0:1], -v[2:3]
	s_waitcnt lgkmcnt(0)
	v_mul_f64 v[2:3], v[162:163], v[154:155]
	v_mul_f64 v[144:145], v[160:161], v[154:155]
	v_fma_f64 v[2:3], v[160:161], v[0:1], -v[2:3]
	v_fmac_f64_e32 v[144:145], v[162:163], v[0:1]
	s_waitcnt vmcnt(0)
	v_add_f64 v[140:141], v[140:141], -v[2:3]
	v_add_f64 v[142:143], v[142:143], -v[144:145]
	v_mov_b64_e32 v[2:3], v[154:155]
.LBB70_734:
	s_or_b64 exec, exec, s[0:1]
	v_lshl_add_u32 v144, v157, 4, v156
	s_barrier
	s_waitcnt vmcnt(0)
	ds_write2_b64 v144, v[140:141], v[142:143] offset1:1
	s_waitcnt lgkmcnt(0)
	s_barrier
	ds_read2_b64 v[144:147], v156 offset0:70 offset1:71
	s_cmp_lt_i32 s20, 37
	v_mov_b32_e32 v154, 35
	s_cbranch_scc1 .LBB70_737
; %bb.735:
	v_add_u32_e32 v155, 0x240, v156
	s_mov_b32 s16, 36
	v_mov_b32_e32 v154, 35
.LBB70_736:                             ; =>This Inner Loop Header: Depth=1
	ds_read2_b64 v[160:163], v155 offset1:1
	s_waitcnt lgkmcnt(1)
	v_xor_b32_e32 v156, 0x80000000, v145
	v_xor_b32_e32 v167, 0x80000000, v147
	v_cmp_gt_f64_e32 vcc, 0, v[146:147]
	v_cmp_gt_f64_e64 s[0:1], 0, v[144:145]
	v_mov_b32_e32 v164, v144
	v_mov_b32_e32 v166, v146
	v_cndmask_b32_e64 v165, v145, v156, s[0:1]
	v_cndmask_b32_e32 v167, v147, v167, vcc
	s_waitcnt lgkmcnt(0)
	v_xor_b32_e32 v156, 0x80000000, v161
	v_xor_b32_e32 v169, 0x80000000, v163
	v_cmp_gt_f64_e32 vcc, 0, v[162:163]
	v_cmp_gt_f64_e64 s[0:1], 0, v[160:161]
	v_add_f64 v[164:165], v[164:165], v[166:167]
	v_mov_b32_e32 v166, v160
	v_mov_b32_e32 v168, v162
	v_cndmask_b32_e64 v167, v161, v156, s[0:1]
	v_cndmask_b32_e32 v169, v163, v169, vcc
	v_add_f64 v[166:167], v[166:167], v[168:169]
	v_mov_b32_e32 v170, s16
	s_add_i32 s16, s16, 1
	v_cmp_lt_f64_e32 vcc, v[164:165], v[166:167]
	v_add_u32_e32 v155, 16, v155
	s_cmp_lg_u32 s20, s16
	v_cndmask_b32_e32 v145, v145, v161, vcc
	v_cndmask_b32_e32 v144, v144, v160, vcc
	;; [unrolled: 1-line block ×5, first 2 shown]
	s_cbranch_scc1 .LBB70_736
.LBB70_737:
	s_waitcnt lgkmcnt(0)
	v_cmp_eq_f64_e32 vcc, 0, v[144:145]
	v_cmp_eq_f64_e64 s[0:1], 0, v[146:147]
	s_and_b64 s[0:1], vcc, s[0:1]
	s_and_saveexec_b64 s[16:17], s[0:1]
	s_xor_b64 s[0:1], exec, s[16:17]
; %bb.738:
	v_cmp_ne_u32_e32 vcc, 0, v158
	s_nop 1
	v_cndmask_b32_e32 v158, 36, v158, vcc
; %bb.739:
	s_andn2_saveexec_b64 s[0:1], s[0:1]
	s_cbranch_execz .LBB70_745
; %bb.740:
	v_cmp_ngt_f64_e64 s[16:17], |v[144:145]|, |v[146:147]|
	s_and_saveexec_b64 s[18:19], s[16:17]
	s_xor_b64 s[16:17], exec, s[18:19]
	s_cbranch_execz .LBB70_742
; %bb.741:
	v_div_scale_f64 v[160:161], s[18:19], v[146:147], v[146:147], v[144:145]
	v_rcp_f64_e32 v[162:163], v[160:161]
	v_div_scale_f64 v[164:165], vcc, v[144:145], v[146:147], v[144:145]
	v_fma_f64 v[166:167], -v[160:161], v[162:163], 1.0
	v_fmac_f64_e32 v[162:163], v[162:163], v[166:167]
	v_fma_f64 v[166:167], -v[160:161], v[162:163], 1.0
	v_fmac_f64_e32 v[162:163], v[162:163], v[166:167]
	v_mul_f64 v[166:167], v[164:165], v[162:163]
	v_fma_f64 v[160:161], -v[160:161], v[166:167], v[164:165]
	v_div_fmas_f64 v[160:161], v[160:161], v[162:163], v[166:167]
	v_div_fixup_f64 v[160:161], v[160:161], v[146:147], v[144:145]
	v_fmac_f64_e32 v[146:147], v[144:145], v[160:161]
	v_div_scale_f64 v[144:145], s[18:19], v[146:147], v[146:147], 1.0
	v_rcp_f64_e32 v[162:163], v[144:145]
	s_nop 0
	v_fma_f64 v[164:165], -v[144:145], v[162:163], 1.0
	v_fmac_f64_e32 v[162:163], v[162:163], v[164:165]
	v_fma_f64 v[164:165], -v[144:145], v[162:163], 1.0
	v_fmac_f64_e32 v[162:163], v[162:163], v[164:165]
	v_div_scale_f64 v[164:165], vcc, 1.0, v[146:147], 1.0
	v_mul_f64 v[166:167], v[164:165], v[162:163]
	v_fma_f64 v[144:145], -v[144:145], v[166:167], v[164:165]
	s_nop 1
	v_div_fmas_f64 v[144:145], v[144:145], v[162:163], v[166:167]
	v_div_fixup_f64 v[146:147], v[144:145], v[146:147], 1.0
	v_mul_f64 v[144:145], v[160:161], v[146:147]
	v_xor_b32_e32 v147, 0x80000000, v147
.LBB70_742:
	s_andn2_saveexec_b64 s[16:17], s[16:17]
	s_cbranch_execz .LBB70_744
; %bb.743:
	v_div_scale_f64 v[160:161], s[18:19], v[144:145], v[144:145], v[146:147]
	v_rcp_f64_e32 v[162:163], v[160:161]
	v_div_scale_f64 v[164:165], vcc, v[146:147], v[144:145], v[146:147]
	v_fma_f64 v[166:167], -v[160:161], v[162:163], 1.0
	v_fmac_f64_e32 v[162:163], v[162:163], v[166:167]
	v_fma_f64 v[166:167], -v[160:161], v[162:163], 1.0
	v_fmac_f64_e32 v[162:163], v[162:163], v[166:167]
	v_mul_f64 v[166:167], v[164:165], v[162:163]
	v_fma_f64 v[160:161], -v[160:161], v[166:167], v[164:165]
	v_div_fmas_f64 v[160:161], v[160:161], v[162:163], v[166:167]
	v_div_fixup_f64 v[160:161], v[160:161], v[144:145], v[146:147]
	v_fmac_f64_e32 v[144:145], v[146:147], v[160:161]
	v_div_scale_f64 v[146:147], s[18:19], v[144:145], v[144:145], 1.0
	v_rcp_f64_e32 v[162:163], v[146:147]
	s_nop 0
	v_fma_f64 v[164:165], -v[146:147], v[162:163], 1.0
	v_fmac_f64_e32 v[162:163], v[162:163], v[164:165]
	v_fma_f64 v[164:165], -v[146:147], v[162:163], 1.0
	v_fmac_f64_e32 v[162:163], v[162:163], v[164:165]
	v_div_scale_f64 v[164:165], vcc, 1.0, v[144:145], 1.0
	v_mul_f64 v[166:167], v[164:165], v[162:163]
	v_fma_f64 v[146:147], -v[146:147], v[166:167], v[164:165]
	s_nop 1
	v_div_fmas_f64 v[146:147], v[146:147], v[162:163], v[166:167]
	v_div_fixup_f64 v[144:145], v[146:147], v[144:145], 1.0
	v_mul_f64 v[146:147], v[160:161], -v[144:145]
.LBB70_744:
	s_or_b64 exec, exec, s[16:17]
.LBB70_745:
	s_or_b64 exec, exec, s[0:1]
	v_cmp_ne_u32_e32 vcc, v157, v154
	v_mov_b32_e32 v156, 35
	s_and_saveexec_b64 s[0:1], vcc
	s_cbranch_execz .LBB70_751
; %bb.746:
	v_cmp_eq_u32_e32 vcc, 35, v157
	s_and_saveexec_b64 s[16:17], vcc
	s_cbranch_execz .LBB70_750
; %bb.747:
	v_cmp_ne_u32_e32 vcc, 35, v154
	s_xor_b64 s[14:15], s[14:15], -1
	s_and_b64 s[18:19], s[14:15], vcc
	s_and_saveexec_b64 s[14:15], s[18:19]
	s_cbranch_execz .LBB70_749
; %bb.748:
	v_ashrrev_i32_e32 v155, 31, v154
	v_lshl_add_u64 v[156:157], v[154:155], 2, v[152:153]
	global_load_dword v155, v[156:157], off
	global_load_dword v159, v[152:153], off offset:140
	s_waitcnt vmcnt(1)
	global_store_dword v[152:153], v155, off offset:140
	s_waitcnt vmcnt(1)
	global_store_dword v[156:157], v159, off
.LBB70_749:
	s_or_b64 exec, exec, s[14:15]
	v_mov_b32_e32 v157, v154
	v_mov_b32_e32 v159, v154
.LBB70_750:
	s_or_b64 exec, exec, s[16:17]
	v_mov_b32_e32 v156, v157
.LBB70_751:
	s_or_b64 exec, exec, s[0:1]
	v_cmp_gt_i32_e32 vcc, 36, v156
	v_ashrrev_i32_e32 v157, 31, v156
	s_barrier
	s_barrier
	s_and_saveexec_b64 s[0:1], vcc
	s_cbranch_execz .LBB70_753
; %bb.752:
	v_mov_b32_e32 v152, s6
	v_mov_b32_e32 v153, s7
	v_mul_lo_u32 v160, s11, v150
	v_mul_lo_u32 v161, s10, v151
	v_mad_u64_u32 v[154:155], s[6:7], s10, v150, 0
	v_add3_u32 v155, v155, v161, v160
	v_lshl_add_u64 v[152:153], v[154:155], 2, v[152:153]
	v_lshl_add_u64 v[152:153], s[8:9], 2, v[152:153]
	;; [unrolled: 1-line block ×3, first 2 shown]
	v_add3_u32 v154, v159, s13, 1
	global_store_dword v[152:153], v154, off
.LBB70_753:
	s_or_b64 exec, exec, s[0:1]
	v_cmp_eq_u32_e32 vcc, 0, v156
	s_and_saveexec_b64 s[6:7], vcc
	s_cbranch_execz .LBB70_756
; %bb.754:
	v_mov_b32_e32 v152, s4
	v_mov_b32_e32 v153, s5
	v_lshl_add_u64 v[150:151], v[150:151], 2, v[152:153]
	global_load_dword v152, v[150:151], off
	v_cmp_ne_u32_e64 s[0:1], 0, v158
	s_waitcnt vmcnt(0)
	v_cmp_eq_u32_e32 vcc, 0, v152
	s_and_b64 s[0:1], vcc, s[0:1]
	s_and_b64 exec, exec, s[0:1]
	s_cbranch_execz .LBB70_756
; %bb.755:
	v_add_u32_e32 v152, s13, v158
	global_store_dword v[150:151], v152, off
.LBB70_756:
	s_or_b64 exec, exec, s[6:7]
	v_mul_f64 v[150:151], v[146:147], v[142:143]
	v_fma_f64 v[150:151], v[144:145], v[140:141], -v[150:151]
	v_mul_f64 v[144:145], v[144:145], v[142:143]
	v_fmac_f64_e32 v[144:145], v[146:147], v[140:141]
	v_cmp_lt_i32_e32 vcc, 35, v156
	s_nop 1
	v_cndmask_b32_e32 v143, v143, v145, vcc
	v_cndmask_b32_e32 v142, v142, v144, vcc
	v_lshl_add_u64 v[144:145], v[156:157], 4, v[148:149]
	global_store_dwordx4 v[144:145], v[100:103], off
	v_cndmask_b32_e32 v141, v141, v151, vcc
	v_cndmask_b32_e32 v140, v140, v150, vcc
	v_lshl_add_u64 v[100:101], s[2:3], 4, v[144:145]
	global_store_dwordx4 v[100:101], v[88:91], off
	s_nop 1
	v_add_u32_e32 v88, s12, v156
	v_ashrrev_i32_e32 v89, 31, v88
	v_lshl_add_u64 v[90:91], v[88:89], 4, v[148:149]
	v_add_u32_e32 v88, s2, v88
	v_ashrrev_i32_e32 v89, 31, v88
	global_store_dwordx4 v[90:91], v[136:139], off
	v_lshl_add_u64 v[90:91], v[88:89], 4, v[148:149]
	v_add_u32_e32 v88, s2, v88
	v_ashrrev_i32_e32 v89, 31, v88
	global_store_dwordx4 v[90:91], v[132:135], off
	;; [unrolled: 4-line block ×11, first 2 shown]
	v_lshl_add_u64 v[90:91], v[88:89], 4, v[148:149]
	global_store_dwordx4 v[90:91], v[84:87], off
	s_nop 1
	v_add_u32_e32 v84, s2, v88
	v_ashrrev_i32_e32 v85, 31, v84
	v_lshl_add_u64 v[86:87], v[84:85], 4, v[148:149]
	global_store_dwordx4 v[86:87], v[80:83], off
	s_nop 1
	v_add_u32_e32 v80, s2, v84
	v_ashrrev_i32_e32 v81, 31, v80
	;; [unrolled: 5-line block ×22, first 2 shown]
	v_lshl_add_u64 v[0:1], v[0:1], 4, v[148:149]
	global_store_dwordx4 v[0:1], v[140:143], off
.LBB70_757:
	s_endpgm
	.section	.rodata,"a",@progbits
	.p2align	6, 0x0
	.amdhsa_kernel _ZN9rocsolver6v33100L18getf2_small_kernelILi36E19rocblas_complex_numIdEiiPS3_EEvT1_T3_lS5_lPS5_llPT2_S5_S5_S7_l
		.amdhsa_group_segment_fixed_size 0
		.amdhsa_private_segment_fixed_size 0
		.amdhsa_kernarg_size 352
		.amdhsa_user_sgpr_count 2
		.amdhsa_user_sgpr_dispatch_ptr 0
		.amdhsa_user_sgpr_queue_ptr 0
		.amdhsa_user_sgpr_kernarg_segment_ptr 1
		.amdhsa_user_sgpr_dispatch_id 0
		.amdhsa_user_sgpr_kernarg_preload_length 0
		.amdhsa_user_sgpr_kernarg_preload_offset 0
		.amdhsa_user_sgpr_private_segment_size 0
		.amdhsa_uses_dynamic_stack 0
		.amdhsa_enable_private_segment 0
		.amdhsa_system_sgpr_workgroup_id_x 1
		.amdhsa_system_sgpr_workgroup_id_y 1
		.amdhsa_system_sgpr_workgroup_id_z 0
		.amdhsa_system_sgpr_workgroup_info 0
		.amdhsa_system_vgpr_workitem_id 1
		.amdhsa_next_free_vgpr 176
		.amdhsa_next_free_sgpr 24
		.amdhsa_accum_offset 176
		.amdhsa_reserve_vcc 1
		.amdhsa_float_round_mode_32 0
		.amdhsa_float_round_mode_16_64 0
		.amdhsa_float_denorm_mode_32 3
		.amdhsa_float_denorm_mode_16_64 3
		.amdhsa_dx10_clamp 1
		.amdhsa_ieee_mode 1
		.amdhsa_fp16_overflow 0
		.amdhsa_tg_split 0
		.amdhsa_exception_fp_ieee_invalid_op 0
		.amdhsa_exception_fp_denorm_src 0
		.amdhsa_exception_fp_ieee_div_zero 0
		.amdhsa_exception_fp_ieee_overflow 0
		.amdhsa_exception_fp_ieee_underflow 0
		.amdhsa_exception_fp_ieee_inexact 0
		.amdhsa_exception_int_div_zero 0
	.end_amdhsa_kernel
	.section	.text._ZN9rocsolver6v33100L18getf2_small_kernelILi36E19rocblas_complex_numIdEiiPS3_EEvT1_T3_lS5_lPS5_llPT2_S5_S5_S7_l,"axG",@progbits,_ZN9rocsolver6v33100L18getf2_small_kernelILi36E19rocblas_complex_numIdEiiPS3_EEvT1_T3_lS5_lPS5_llPT2_S5_S5_S7_l,comdat
.Lfunc_end70:
	.size	_ZN9rocsolver6v33100L18getf2_small_kernelILi36E19rocblas_complex_numIdEiiPS3_EEvT1_T3_lS5_lPS5_llPT2_S5_S5_S7_l, .Lfunc_end70-_ZN9rocsolver6v33100L18getf2_small_kernelILi36E19rocblas_complex_numIdEiiPS3_EEvT1_T3_lS5_lPS5_llPT2_S5_S5_S7_l
                                        ; -- End function
	.set _ZN9rocsolver6v33100L18getf2_small_kernelILi36E19rocblas_complex_numIdEiiPS3_EEvT1_T3_lS5_lPS5_llPT2_S5_S5_S7_l.num_vgpr, 176
	.set _ZN9rocsolver6v33100L18getf2_small_kernelILi36E19rocblas_complex_numIdEiiPS3_EEvT1_T3_lS5_lPS5_llPT2_S5_S5_S7_l.num_agpr, 0
	.set _ZN9rocsolver6v33100L18getf2_small_kernelILi36E19rocblas_complex_numIdEiiPS3_EEvT1_T3_lS5_lPS5_llPT2_S5_S5_S7_l.numbered_sgpr, 24
	.set _ZN9rocsolver6v33100L18getf2_small_kernelILi36E19rocblas_complex_numIdEiiPS3_EEvT1_T3_lS5_lPS5_llPT2_S5_S5_S7_l.num_named_barrier, 0
	.set _ZN9rocsolver6v33100L18getf2_small_kernelILi36E19rocblas_complex_numIdEiiPS3_EEvT1_T3_lS5_lPS5_llPT2_S5_S5_S7_l.private_seg_size, 0
	.set _ZN9rocsolver6v33100L18getf2_small_kernelILi36E19rocblas_complex_numIdEiiPS3_EEvT1_T3_lS5_lPS5_llPT2_S5_S5_S7_l.uses_vcc, 1
	.set _ZN9rocsolver6v33100L18getf2_small_kernelILi36E19rocblas_complex_numIdEiiPS3_EEvT1_T3_lS5_lPS5_llPT2_S5_S5_S7_l.uses_flat_scratch, 0
	.set _ZN9rocsolver6v33100L18getf2_small_kernelILi36E19rocblas_complex_numIdEiiPS3_EEvT1_T3_lS5_lPS5_llPT2_S5_S5_S7_l.has_dyn_sized_stack, 0
	.set _ZN9rocsolver6v33100L18getf2_small_kernelILi36E19rocblas_complex_numIdEiiPS3_EEvT1_T3_lS5_lPS5_llPT2_S5_S5_S7_l.has_recursion, 0
	.set _ZN9rocsolver6v33100L18getf2_small_kernelILi36E19rocblas_complex_numIdEiiPS3_EEvT1_T3_lS5_lPS5_llPT2_S5_S5_S7_l.has_indirect_call, 0
	.section	.AMDGPU.csdata,"",@progbits
; Kernel info:
; codeLenInByte = 78692
; TotalNumSgprs: 30
; NumVgprs: 176
; NumAgprs: 0
; TotalNumVgprs: 176
; ScratchSize: 0
; MemoryBound: 0
; FloatMode: 240
; IeeeMode: 1
; LDSByteSize: 0 bytes/workgroup (compile time only)
; SGPRBlocks: 3
; VGPRBlocks: 21
; NumSGPRsForWavesPerEU: 30
; NumVGPRsForWavesPerEU: 176
; AccumOffset: 176
; Occupancy: 2
; WaveLimiterHint : 0
; COMPUTE_PGM_RSRC2:SCRATCH_EN: 0
; COMPUTE_PGM_RSRC2:USER_SGPR: 2
; COMPUTE_PGM_RSRC2:TRAP_HANDLER: 0
; COMPUTE_PGM_RSRC2:TGID_X_EN: 1
; COMPUTE_PGM_RSRC2:TGID_Y_EN: 1
; COMPUTE_PGM_RSRC2:TGID_Z_EN: 0
; COMPUTE_PGM_RSRC2:TIDIG_COMP_CNT: 1
; COMPUTE_PGM_RSRC3_GFX90A:ACCUM_OFFSET: 43
; COMPUTE_PGM_RSRC3_GFX90A:TG_SPLIT: 0
	.section	.text._ZN9rocsolver6v33100L23getf2_npvt_small_kernelILi36E19rocblas_complex_numIdEiiPS3_EEvT1_T3_lS5_lPT2_S5_S5_,"axG",@progbits,_ZN9rocsolver6v33100L23getf2_npvt_small_kernelILi36E19rocblas_complex_numIdEiiPS3_EEvT1_T3_lS5_lPT2_S5_S5_,comdat
	.globl	_ZN9rocsolver6v33100L23getf2_npvt_small_kernelILi36E19rocblas_complex_numIdEiiPS3_EEvT1_T3_lS5_lPT2_S5_S5_ ; -- Begin function _ZN9rocsolver6v33100L23getf2_npvt_small_kernelILi36E19rocblas_complex_numIdEiiPS3_EEvT1_T3_lS5_lPT2_S5_S5_
	.p2align	8
	.type	_ZN9rocsolver6v33100L23getf2_npvt_small_kernelILi36E19rocblas_complex_numIdEiiPS3_EEvT1_T3_lS5_lPT2_S5_S5_,@function
_ZN9rocsolver6v33100L23getf2_npvt_small_kernelILi36E19rocblas_complex_numIdEiiPS3_EEvT1_T3_lS5_lPT2_S5_S5_: ; @_ZN9rocsolver6v33100L23getf2_npvt_small_kernelILi36E19rocblas_complex_numIdEiiPS3_EEvT1_T3_lS5_lPT2_S5_S5_
; %bb.0:
	s_load_dword s2, s[0:1], 0x44
	s_load_dwordx2 s[8:9], s[0:1], 0x30
	v_bfe_u32 v144, v0, 10, 10
	s_waitcnt lgkmcnt(0)
	s_lshr_b32 s10, s2, 16
	s_mul_i32 s3, s3, s10
	v_add_u32_e32 v204, s3, v144
	v_cmp_gt_i32_e32 vcc, s8, v204
	s_and_saveexec_b64 s[2:3], vcc
	s_cbranch_execz .LBB71_327
; %bb.1:
	s_load_dwordx4 s[12:15], s[0:1], 0x8
	s_load_dword s2, s[0:1], 0x18
	s_load_dwordx4 s[4:7], s[0:1], 0x20
	v_ashrrev_i32_e32 v205, 31, v204
	v_and_b32_e32 v206, 0x3ff, v0
	s_waitcnt lgkmcnt(0)
	v_mov_b32_e32 v0, s12
	v_mov_b32_e32 v1, s13
	v_mul_lo_u32 v4, s5, v204
	v_mul_lo_u32 v5, s4, v205
	v_mad_u64_u32 v[2:3], s[0:1], s4, v204, 0
	v_add3_u32 v3, v3, v5, v4
	v_lshl_add_u64 v[0:1], v[2:3], 4, v[0:1]
	v_lshl_add_u64 v[0:1], s[14:15], 4, v[0:1]
	v_lshlrev_b32_e32 v2, 4, v206
	v_mov_b32_e32 v3, 0
	s_add_i32 s0, s2, s2
	v_lshl_add_u64 v[186:187], v[0:1], 0, v[2:3]
	v_add_u32_e32 v2, s0, v206
	v_ashrrev_i32_e32 v3, 31, v2
	v_lshl_add_u64 v[4:5], v[2:3], 4, v[0:1]
	v_add_u32_e32 v2, s2, v2
	v_ashrrev_i32_e32 v3, 31, v2
	;; [unrolled: 3-line block ×34, first 2 shown]
	v_lshl_add_u64 v[252:253], v[2:3], 4, v[0:1]
	global_load_dwordx4 v[0:3], v[186:187], off
	s_ashr_i32 s3, s2, 31
	v_lshl_add_u64 v[138:139], s[2:3], 4, v[186:187]
	scratch_store_dwordx2 off, v[4:5], off offset:56 ; 8-byte Folded Spill
	scratch_store_dwordx2 off, v[6:7], off offset:48 ; 8-byte Folded Spill
	;; [unrolled: 1-line block ×8, first 2 shown]
	global_load_dwordx4 v[132:135], v[138:139], off
	global_load_dwordx4 v[104:107], v[16:17], off
	global_load_dwordx4 v[128:131], v[4:5], off
	global_load_dwordx4 v[124:127], v[6:7], off
	global_load_dwordx4 v[120:123], v[8:9], off
	global_load_dwordx4 v[116:119], v[10:11], off
	global_load_dwordx4 v[112:115], v[12:13], off
	global_load_dwordx4 v[108:111], v[14:15], off
	s_mulk_i32 s10, 0x240
	s_movk_i32 s0, 0x240
	s_add_i32 s1, s10, 0
	v_mad_u32_u24 v180, v144, s0, 0
	v_lshl_add_u32 v207, v144, 4, s1
	v_cmp_ne_u32_e64 s[2:3], 0, v206
	v_cmp_eq_u32_e64 s[0:1], 0, v206
	s_waitcnt vmcnt(16)
	scratch_store_dwordx4 off, v[0:3], off  ; 16-byte Folded Spill
	global_load_dwordx4 v[100:103], v[18:19], off
	global_load_dwordx4 v[96:99], v[182:183], off
	;; [unrolled: 1-line block ×4, first 2 shown]
	s_nop 0
	scratch_store_dwordx2 off, v[20:21], off offset:472 ; 8-byte Folded Spill
	scratch_store_dwordx2 off, v[24:25], off offset:480 ; 8-byte Folded Spill
	;; [unrolled: 1-line block ×3, first 2 shown]
	global_load_dwordx4 v[84:87], v[22:23], off
	global_load_dwordx4 v[80:83], v[214:215], off
	;; [unrolled: 1-line block ×23, first 2 shown]
	s_and_saveexec_b64 s[10:11], s[0:1]
	s_cbranch_execz .LBB71_8
; %bb.2:
	scratch_load_dwordx4 v[144:147], off, off ; 16-byte Folded Reload
	s_waitcnt vmcnt(0)
	ds_write2_b64 v207, v[144:145], v[146:147] offset1:1
	ds_write2_b64 v180, v[132:133], v[134:135] offset0:2 offset1:3
	ds_write2_b64 v180, v[128:129], v[130:131] offset0:4 offset1:5
	;; [unrolled: 1-line block ×35, first 2 shown]
	ds_read2_b64 v[144:147], v207 offset1:1
	s_waitcnt lgkmcnt(0)
	v_cmp_neq_f64_e32 vcc, 0, v[144:145]
	v_cmp_neq_f64_e64 s[4:5], 0, v[146:147]
	s_or_b64 s[4:5], vcc, s[4:5]
	s_and_b64 exec, exec, s[4:5]
	s_cbranch_execz .LBB71_8
; %bb.3:
	v_cmp_ngt_f64_e64 s[4:5], |v[144:145]|, |v[146:147]|
                                        ; implicit-def: $vgpr148_vgpr149
	s_and_saveexec_b64 s[12:13], s[4:5]
	s_xor_b64 s[4:5], exec, s[12:13]
                                        ; implicit-def: $vgpr150_vgpr151
	s_cbranch_execz .LBB71_5
; %bb.4:
	v_div_scale_f64 v[148:149], s[12:13], v[146:147], v[146:147], v[144:145]
	v_rcp_f64_e32 v[150:151], v[148:149]
	v_div_scale_f64 v[152:153], vcc, v[144:145], v[146:147], v[144:145]
	v_fma_f64 v[154:155], -v[148:149], v[150:151], 1.0
	v_fmac_f64_e32 v[150:151], v[150:151], v[154:155]
	v_fma_f64 v[154:155], -v[148:149], v[150:151], 1.0
	v_fmac_f64_e32 v[150:151], v[150:151], v[154:155]
	v_mul_f64 v[154:155], v[152:153], v[150:151]
	v_fma_f64 v[148:149], -v[148:149], v[154:155], v[152:153]
	v_div_fmas_f64 v[148:149], v[148:149], v[150:151], v[154:155]
	v_div_fixup_f64 v[148:149], v[148:149], v[146:147], v[144:145]
	v_fmac_f64_e32 v[146:147], v[144:145], v[148:149]
	v_div_scale_f64 v[144:145], s[12:13], v[146:147], v[146:147], 1.0
	v_rcp_f64_e32 v[150:151], v[144:145]
	s_nop 0
	v_fma_f64 v[152:153], -v[144:145], v[150:151], 1.0
	v_fmac_f64_e32 v[150:151], v[150:151], v[152:153]
	v_fma_f64 v[152:153], -v[144:145], v[150:151], 1.0
	v_fmac_f64_e32 v[150:151], v[150:151], v[152:153]
	v_div_scale_f64 v[152:153], vcc, 1.0, v[146:147], 1.0
	v_mul_f64 v[154:155], v[152:153], v[150:151]
	v_fma_f64 v[144:145], -v[144:145], v[154:155], v[152:153]
	s_nop 1
	v_div_fmas_f64 v[144:145], v[144:145], v[150:151], v[154:155]
	v_div_fixup_f64 v[150:151], v[144:145], v[146:147], 1.0
	v_mul_f64 v[148:149], v[148:149], v[150:151]
	v_xor_b32_e32 v151, 0x80000000, v151
                                        ; implicit-def: $vgpr144_vgpr145
.LBB71_5:
	s_andn2_saveexec_b64 s[4:5], s[4:5]
	s_cbranch_execz .LBB71_7
; %bb.6:
	v_div_scale_f64 v[148:149], s[12:13], v[144:145], v[144:145], v[146:147]
	v_rcp_f64_e32 v[150:151], v[148:149]
	v_div_scale_f64 v[152:153], vcc, v[146:147], v[144:145], v[146:147]
	v_fma_f64 v[154:155], -v[148:149], v[150:151], 1.0
	v_fmac_f64_e32 v[150:151], v[150:151], v[154:155]
	v_fma_f64 v[154:155], -v[148:149], v[150:151], 1.0
	v_fmac_f64_e32 v[150:151], v[150:151], v[154:155]
	v_mul_f64 v[154:155], v[152:153], v[150:151]
	v_fma_f64 v[148:149], -v[148:149], v[154:155], v[152:153]
	v_div_fmas_f64 v[148:149], v[148:149], v[150:151], v[154:155]
	v_div_fixup_f64 v[150:151], v[148:149], v[144:145], v[146:147]
	v_fmac_f64_e32 v[144:145], v[146:147], v[150:151]
	v_div_scale_f64 v[146:147], s[12:13], v[144:145], v[144:145], 1.0
	v_rcp_f64_e32 v[148:149], v[146:147]
	s_nop 0
	v_fma_f64 v[152:153], -v[146:147], v[148:149], 1.0
	v_fmac_f64_e32 v[148:149], v[148:149], v[152:153]
	v_fma_f64 v[152:153], -v[146:147], v[148:149], 1.0
	v_fmac_f64_e32 v[148:149], v[148:149], v[152:153]
	v_div_scale_f64 v[152:153], vcc, 1.0, v[144:145], 1.0
	v_mul_f64 v[154:155], v[152:153], v[148:149]
	v_fma_f64 v[146:147], -v[146:147], v[154:155], v[152:153]
	s_nop 1
	v_div_fmas_f64 v[146:147], v[146:147], v[148:149], v[154:155]
	v_div_fixup_f64 v[148:149], v[146:147], v[144:145], 1.0
	v_mul_f64 v[150:151], v[150:151], -v[148:149]
.LBB71_7:
	s_or_b64 exec, exec, s[4:5]
	ds_write2_b64 v207, v[148:149], v[150:151] offset1:1
.LBB71_8:
	s_or_b64 exec, exec, s[10:11]
	s_waitcnt lgkmcnt(0)
	s_barrier
	ds_read2_b64 v[144:147], v207 offset1:1
	s_waitcnt lgkmcnt(0)
	scratch_store_dwordx4 off, v[144:147], off offset:16 ; 16-byte Folded Spill
	s_and_saveexec_b64 s[4:5], s[2:3]
	s_cbranch_execz .LBB71_10
; %bb.9:
	scratch_load_dwordx4 v[152:155], off, off ; 16-byte Folded Reload
	scratch_load_dwordx4 v[156:159], off, off offset:16 ; 16-byte Folded Reload
	ds_read2_b64 v[146:149], v180 offset0:2 offset1:3
	s_waitcnt vmcnt(0)
	v_mul_f64 v[144:145], v[158:159], v[154:155]
	v_mul_f64 v[154:155], v[156:157], v[154:155]
	v_fmac_f64_e32 v[154:155], v[158:159], v[152:153]
	v_fma_f64 v[144:145], v[156:157], v[152:153], -v[144:145]
	ds_read2_b64 v[150:153], v180 offset0:4 offset1:5
	s_waitcnt lgkmcnt(1)
	v_mul_f64 v[136:137], v[148:149], v[154:155]
	v_fma_f64 v[136:137], v[146:147], v[144:145], -v[136:137]
	v_mul_f64 v[146:147], v[146:147], v[154:155]
	v_fmac_f64_e32 v[146:147], v[148:149], v[144:145]
	v_add_f64 v[134:135], v[134:135], -v[146:147]
	ds_read2_b64 v[146:149], v180 offset0:6 offset1:7
	v_add_f64 v[132:133], v[132:133], -v[136:137]
	s_waitcnt lgkmcnt(1)
	v_mul_f64 v[136:137], v[152:153], v[154:155]
	v_fma_f64 v[136:137], v[150:151], v[144:145], -v[136:137]
	v_mul_f64 v[150:151], v[150:151], v[154:155]
	v_fmac_f64_e32 v[150:151], v[152:153], v[144:145]
	v_add_f64 v[128:129], v[128:129], -v[136:137]
	v_add_f64 v[130:131], v[130:131], -v[150:151]
	ds_read2_b64 v[150:153], v180 offset0:8 offset1:9
	s_waitcnt lgkmcnt(1)
	v_mul_f64 v[136:137], v[148:149], v[154:155]
	v_fma_f64 v[136:137], v[146:147], v[144:145], -v[136:137]
	v_mul_f64 v[146:147], v[146:147], v[154:155]
	v_fmac_f64_e32 v[146:147], v[148:149], v[144:145]
	v_add_f64 v[126:127], v[126:127], -v[146:147]
	ds_read2_b64 v[146:149], v180 offset0:10 offset1:11
	v_add_f64 v[124:125], v[124:125], -v[136:137]
	s_waitcnt lgkmcnt(1)
	v_mul_f64 v[136:137], v[152:153], v[154:155]
	v_fma_f64 v[136:137], v[150:151], v[144:145], -v[136:137]
	v_mul_f64 v[150:151], v[150:151], v[154:155]
	v_fmac_f64_e32 v[150:151], v[152:153], v[144:145]
	v_add_f64 v[120:121], v[120:121], -v[136:137]
	v_add_f64 v[122:123], v[122:123], -v[150:151]
	;; [unrolled: 16-line block ×16, first 2 shown]
	ds_read2_b64 v[150:153], v180 offset0:68 offset1:69
	s_waitcnt lgkmcnt(1)
	v_mul_f64 v[136:137], v[148:149], v[154:155]
	v_fma_f64 v[136:137], v[146:147], v[144:145], -v[136:137]
	v_mul_f64 v[146:147], v[146:147], v[154:155]
	v_fmac_f64_e32 v[146:147], v[148:149], v[144:145]
	v_add_f64 v[6:7], v[6:7], -v[146:147]
	ds_read2_b64 v[146:149], v180 offset0:70 offset1:71
	v_add_f64 v[4:5], v[4:5], -v[136:137]
	s_waitcnt lgkmcnt(1)
	v_mul_f64 v[136:137], v[152:153], v[154:155]
	v_fma_f64 v[136:137], v[150:151], v[144:145], -v[136:137]
	v_add_f64 v[0:1], v[0:1], -v[136:137]
	s_waitcnt lgkmcnt(0)
	v_mul_f64 v[136:137], v[148:149], v[154:155]
	v_mul_f64 v[150:151], v[150:151], v[154:155]
	v_fma_f64 v[136:137], v[146:147], v[144:145], -v[136:137]
	v_mul_f64 v[146:147], v[146:147], v[154:155]
	v_fmac_f64_e32 v[150:151], v[152:153], v[144:145]
	v_fmac_f64_e32 v[146:147], v[148:149], v[144:145]
	v_add_f64 v[2:3], v[2:3], -v[150:151]
	v_add_f64 v[140:141], v[140:141], -v[136:137]
	;; [unrolled: 1-line block ×3, first 2 shown]
	v_mov_b64_e32 v[152:153], v[144:145]
	scratch_store_dwordx4 off, v[152:155], off ; 16-byte Folded Spill
.LBB71_10:
	s_or_b64 exec, exec, s[4:5]
	v_cmp_eq_u32_e32 vcc, 1, v206
	s_barrier
	s_and_saveexec_b64 s[4:5], vcc
	s_cbranch_execz .LBB71_17
; %bb.11:
	s_waitcnt vmcnt(39)
	ds_write2_b64 v207, v[132:133], v[134:135] offset1:1
	s_waitcnt vmcnt(37)
	ds_write2_b64 v180, v[128:129], v[130:131] offset0:4 offset1:5
	s_waitcnt vmcnt(36)
	ds_write2_b64 v180, v[124:125], v[126:127] offset0:6 offset1:7
	;; [unrolled: 2-line block ×6, first 2 shown]
	ds_write2_b64 v180, v[104:105], v[106:107] offset0:16 offset1:17
	s_waitcnt vmcnt(30)
	ds_write2_b64 v180, v[100:101], v[102:103] offset0:18 offset1:19
	s_waitcnt vmcnt(29)
	;; [unrolled: 2-line block ×27, first 2 shown]
	ds_write2_b64 v180, v[140:141], v[142:143] offset0:70 offset1:71
	ds_read2_b64 v[144:147], v207 offset1:1
	s_waitcnt lgkmcnt(0)
	v_cmp_neq_f64_e32 vcc, 0, v[144:145]
	v_cmp_neq_f64_e64 s[2:3], 0, v[146:147]
	s_or_b64 s[2:3], vcc, s[2:3]
	s_and_b64 exec, exec, s[2:3]
	s_cbranch_execz .LBB71_17
; %bb.12:
	v_cmp_ngt_f64_e64 s[2:3], |v[144:145]|, |v[146:147]|
                                        ; implicit-def: $vgpr148_vgpr149
	s_and_saveexec_b64 s[10:11], s[2:3]
	s_xor_b64 s[2:3], exec, s[10:11]
                                        ; implicit-def: $vgpr150_vgpr151
	s_cbranch_execz .LBB71_14
; %bb.13:
	v_div_scale_f64 v[148:149], s[10:11], v[146:147], v[146:147], v[144:145]
	v_rcp_f64_e32 v[150:151], v[148:149]
	v_div_scale_f64 v[152:153], vcc, v[144:145], v[146:147], v[144:145]
	v_fma_f64 v[154:155], -v[148:149], v[150:151], 1.0
	v_fmac_f64_e32 v[150:151], v[150:151], v[154:155]
	v_fma_f64 v[154:155], -v[148:149], v[150:151], 1.0
	v_fmac_f64_e32 v[150:151], v[150:151], v[154:155]
	v_mul_f64 v[154:155], v[152:153], v[150:151]
	v_fma_f64 v[148:149], -v[148:149], v[154:155], v[152:153]
	v_div_fmas_f64 v[148:149], v[148:149], v[150:151], v[154:155]
	v_div_fixup_f64 v[148:149], v[148:149], v[146:147], v[144:145]
	v_fmac_f64_e32 v[146:147], v[144:145], v[148:149]
	v_div_scale_f64 v[144:145], s[10:11], v[146:147], v[146:147], 1.0
	v_rcp_f64_e32 v[150:151], v[144:145]
	s_nop 0
	v_fma_f64 v[152:153], -v[144:145], v[150:151], 1.0
	v_fmac_f64_e32 v[150:151], v[150:151], v[152:153]
	v_fma_f64 v[152:153], -v[144:145], v[150:151], 1.0
	v_fmac_f64_e32 v[150:151], v[150:151], v[152:153]
	v_div_scale_f64 v[152:153], vcc, 1.0, v[146:147], 1.0
	v_mul_f64 v[154:155], v[152:153], v[150:151]
	v_fma_f64 v[144:145], -v[144:145], v[154:155], v[152:153]
	s_nop 1
	v_div_fmas_f64 v[144:145], v[144:145], v[150:151], v[154:155]
	v_div_fixup_f64 v[150:151], v[144:145], v[146:147], 1.0
	v_mul_f64 v[148:149], v[148:149], v[150:151]
	v_xor_b32_e32 v151, 0x80000000, v151
                                        ; implicit-def: $vgpr144_vgpr145
.LBB71_14:
	s_andn2_saveexec_b64 s[2:3], s[2:3]
	s_cbranch_execz .LBB71_16
; %bb.15:
	v_div_scale_f64 v[148:149], s[10:11], v[144:145], v[144:145], v[146:147]
	v_rcp_f64_e32 v[150:151], v[148:149]
	v_div_scale_f64 v[152:153], vcc, v[146:147], v[144:145], v[146:147]
	v_fma_f64 v[154:155], -v[148:149], v[150:151], 1.0
	v_fmac_f64_e32 v[150:151], v[150:151], v[154:155]
	v_fma_f64 v[154:155], -v[148:149], v[150:151], 1.0
	v_fmac_f64_e32 v[150:151], v[150:151], v[154:155]
	v_mul_f64 v[154:155], v[152:153], v[150:151]
	v_fma_f64 v[148:149], -v[148:149], v[154:155], v[152:153]
	v_div_fmas_f64 v[148:149], v[148:149], v[150:151], v[154:155]
	v_div_fixup_f64 v[150:151], v[148:149], v[144:145], v[146:147]
	v_fmac_f64_e32 v[144:145], v[146:147], v[150:151]
	v_div_scale_f64 v[146:147], s[10:11], v[144:145], v[144:145], 1.0
	v_rcp_f64_e32 v[148:149], v[146:147]
	s_nop 0
	v_fma_f64 v[152:153], -v[146:147], v[148:149], 1.0
	v_fmac_f64_e32 v[148:149], v[148:149], v[152:153]
	v_fma_f64 v[152:153], -v[146:147], v[148:149], 1.0
	v_fmac_f64_e32 v[148:149], v[148:149], v[152:153]
	v_div_scale_f64 v[152:153], vcc, 1.0, v[144:145], 1.0
	v_mul_f64 v[154:155], v[152:153], v[148:149]
	v_fma_f64 v[146:147], -v[146:147], v[154:155], v[152:153]
	s_nop 1
	v_div_fmas_f64 v[146:147], v[146:147], v[148:149], v[154:155]
	v_div_fixup_f64 v[148:149], v[146:147], v[144:145], 1.0
	v_mul_f64 v[150:151], v[150:151], -v[148:149]
.LBB71_16:
	s_or_b64 exec, exec, s[2:3]
	ds_write2_b64 v207, v[148:149], v[150:151] offset1:1
.LBB71_17:
	s_or_b64 exec, exec, s[4:5]
	s_waitcnt lgkmcnt(0)
	s_barrier
	ds_read2_b64 v[144:147], v207 offset1:1
	v_cmp_lt_u32_e32 vcc, 1, v206
	s_waitcnt lgkmcnt(0)
	scratch_store_dwordx4 off, v[144:147], off offset:32 ; 16-byte Folded Spill
	s_and_saveexec_b64 s[2:3], vcc
	s_cbranch_execz .LBB71_19
; %bb.18:
	scratch_load_dwordx4 v[150:153], off, off offset:32 ; 16-byte Folded Reload
	ds_read2_b64 v[146:149], v180 offset0:4 offset1:5
	s_waitcnt vmcnt(0)
	v_mul_f64 v[144:145], v[152:153], v[134:135]
	v_mul_f64 v[134:135], v[150:151], v[134:135]
	v_fma_f64 v[144:145], v[150:151], v[132:133], -v[144:145]
	v_fmac_f64_e32 v[134:135], v[152:153], v[132:133]
	ds_read2_b64 v[150:153], v180 offset0:6 offset1:7
	s_waitcnt lgkmcnt(1)
	v_mul_f64 v[132:133], v[148:149], v[134:135]
	v_fma_f64 v[132:133], v[146:147], v[144:145], -v[132:133]
	v_mul_f64 v[146:147], v[146:147], v[134:135]
	v_fmac_f64_e32 v[146:147], v[148:149], v[144:145]
	v_add_f64 v[128:129], v[128:129], -v[132:133]
	v_add_f64 v[130:131], v[130:131], -v[146:147]
	s_waitcnt lgkmcnt(0)
	v_mul_f64 v[132:133], v[152:153], v[134:135]
	ds_read2_b64 v[146:149], v180 offset0:8 offset1:9
	v_fma_f64 v[132:133], v[150:151], v[144:145], -v[132:133]
	v_mul_f64 v[150:151], v[150:151], v[134:135]
	v_fmac_f64_e32 v[150:151], v[152:153], v[144:145]
	v_add_f64 v[126:127], v[126:127], -v[150:151]
	ds_read2_b64 v[150:153], v180 offset0:10 offset1:11
	v_add_f64 v[124:125], v[124:125], -v[132:133]
	s_waitcnt lgkmcnt(1)
	v_mul_f64 v[132:133], v[148:149], v[134:135]
	v_fma_f64 v[132:133], v[146:147], v[144:145], -v[132:133]
	v_mul_f64 v[146:147], v[146:147], v[134:135]
	v_fmac_f64_e32 v[146:147], v[148:149], v[144:145]
	v_add_f64 v[120:121], v[120:121], -v[132:133]
	v_add_f64 v[122:123], v[122:123], -v[146:147]
	s_waitcnt lgkmcnt(0)
	v_mul_f64 v[132:133], v[152:153], v[134:135]
	ds_read2_b64 v[146:149], v180 offset0:12 offset1:13
	v_fma_f64 v[132:133], v[150:151], v[144:145], -v[132:133]
	v_mul_f64 v[150:151], v[150:151], v[134:135]
	v_fmac_f64_e32 v[150:151], v[152:153], v[144:145]
	v_add_f64 v[118:119], v[118:119], -v[150:151]
	ds_read2_b64 v[150:153], v180 offset0:14 offset1:15
	v_add_f64 v[116:117], v[116:117], -v[132:133]
	;; [unrolled: 16-line block ×16, first 2 shown]
	s_waitcnt lgkmcnt(1)
	v_mul_f64 v[132:133], v[148:149], v[134:135]
	v_fma_f64 v[132:133], v[146:147], v[144:145], -v[132:133]
	v_mul_f64 v[146:147], v[146:147], v[134:135]
	v_fmac_f64_e32 v[146:147], v[148:149], v[144:145]
	v_add_f64 v[0:1], v[0:1], -v[132:133]
	v_add_f64 v[2:3], v[2:3], -v[146:147]
	s_waitcnt lgkmcnt(0)
	v_mul_f64 v[132:133], v[152:153], v[134:135]
	v_mul_f64 v[146:147], v[150:151], v[134:135]
	v_fma_f64 v[132:133], v[150:151], v[144:145], -v[132:133]
	v_fmac_f64_e32 v[146:147], v[152:153], v[144:145]
	v_add_f64 v[140:141], v[140:141], -v[132:133]
	v_add_f64 v[142:143], v[142:143], -v[146:147]
	v_mov_b64_e32 v[132:133], v[144:145]
.LBB71_19:
	s_or_b64 exec, exec, s[2:3]
	v_cmp_eq_u32_e32 vcc, 2, v206
	s_barrier
	s_and_saveexec_b64 s[4:5], vcc
	s_cbranch_execz .LBB71_26
; %bb.20:
	s_waitcnt vmcnt(38)
	ds_write2_b64 v207, v[128:129], v[130:131] offset1:1
	s_waitcnt vmcnt(37)
	ds_write2_b64 v180, v[124:125], v[126:127] offset0:6 offset1:7
	s_waitcnt vmcnt(36)
	ds_write2_b64 v180, v[120:121], v[122:123] offset0:8 offset1:9
	;; [unrolled: 2-line block ×5, first 2 shown]
	ds_write2_b64 v180, v[104:105], v[106:107] offset0:16 offset1:17
	s_waitcnt vmcnt(31)
	ds_write2_b64 v180, v[100:101], v[102:103] offset0:18 offset1:19
	s_waitcnt vmcnt(30)
	ds_write2_b64 v180, v[96:97], v[98:99] offset0:20 offset1:21
	s_waitcnt vmcnt(29)
	ds_write2_b64 v180, v[92:93], v[94:95] offset0:22 offset1:23
	s_waitcnt vmcnt(28)
	ds_write2_b64 v180, v[88:89], v[90:91] offset0:24 offset1:25
	s_waitcnt vmcnt(24)
	ds_write2_b64 v180, v[84:85], v[86:87] offset0:26 offset1:27
	s_waitcnt vmcnt(23)
	ds_write2_b64 v180, v[80:81], v[82:83] offset0:28 offset1:29
	s_waitcnt vmcnt(22)
	ds_write2_b64 v180, v[76:77], v[78:79] offset0:30 offset1:31
	s_waitcnt vmcnt(21)
	ds_write2_b64 v180, v[72:73], v[74:75] offset0:32 offset1:33
	s_waitcnt vmcnt(20)
	ds_write2_b64 v180, v[68:69], v[70:71] offset0:34 offset1:35
	s_waitcnt vmcnt(19)
	ds_write2_b64 v180, v[64:65], v[66:67] offset0:36 offset1:37
	s_waitcnt vmcnt(18)
	ds_write2_b64 v180, v[60:61], v[62:63] offset0:38 offset1:39
	s_waitcnt vmcnt(17)
	ds_write2_b64 v180, v[56:57], v[58:59] offset0:40 offset1:41
	s_waitcnt vmcnt(16)
	ds_write2_b64 v180, v[52:53], v[54:55] offset0:42 offset1:43
	s_waitcnt vmcnt(15)
	ds_write2_b64 v180, v[48:49], v[50:51] offset0:44 offset1:45
	s_waitcnt vmcnt(14)
	ds_write2_b64 v180, v[44:45], v[46:47] offset0:46 offset1:47
	s_waitcnt vmcnt(13)
	ds_write2_b64 v180, v[40:41], v[42:43] offset0:48 offset1:49
	s_waitcnt vmcnt(12)
	ds_write2_b64 v180, v[36:37], v[38:39] offset0:50 offset1:51
	s_waitcnt vmcnt(11)
	ds_write2_b64 v180, v[32:33], v[34:35] offset0:52 offset1:53
	s_waitcnt vmcnt(10)
	ds_write2_b64 v180, v[28:29], v[30:31] offset0:54 offset1:55
	s_waitcnt vmcnt(9)
	ds_write2_b64 v180, v[24:25], v[26:27] offset0:56 offset1:57
	s_waitcnt vmcnt(8)
	ds_write2_b64 v180, v[20:21], v[22:23] offset0:58 offset1:59
	s_waitcnt vmcnt(7)
	ds_write2_b64 v180, v[16:17], v[18:19] offset0:60 offset1:61
	s_waitcnt vmcnt(6)
	ds_write2_b64 v180, v[12:13], v[14:15] offset0:62 offset1:63
	s_waitcnt vmcnt(5)
	ds_write2_b64 v180, v[8:9], v[10:11] offset0:64 offset1:65
	s_waitcnt vmcnt(4)
	ds_write2_b64 v180, v[4:5], v[6:7] offset0:66 offset1:67
	s_waitcnt vmcnt(3)
	ds_write2_b64 v180, v[0:1], v[2:3] offset0:68 offset1:69
	s_waitcnt vmcnt(2)
	ds_write2_b64 v180, v[140:141], v[142:143] offset0:70 offset1:71
	ds_read2_b64 v[144:147], v207 offset1:1
	s_waitcnt lgkmcnt(0)
	v_cmp_neq_f64_e32 vcc, 0, v[144:145]
	v_cmp_neq_f64_e64 s[2:3], 0, v[146:147]
	s_or_b64 s[2:3], vcc, s[2:3]
	s_and_b64 exec, exec, s[2:3]
	s_cbranch_execz .LBB71_26
; %bb.21:
	v_cmp_ngt_f64_e64 s[2:3], |v[144:145]|, |v[146:147]|
                                        ; implicit-def: $vgpr148_vgpr149
	s_and_saveexec_b64 s[10:11], s[2:3]
	s_xor_b64 s[2:3], exec, s[10:11]
                                        ; implicit-def: $vgpr150_vgpr151
	s_cbranch_execz .LBB71_23
; %bb.22:
	v_div_scale_f64 v[148:149], s[10:11], v[146:147], v[146:147], v[144:145]
	v_rcp_f64_e32 v[150:151], v[148:149]
	v_div_scale_f64 v[152:153], vcc, v[144:145], v[146:147], v[144:145]
	v_fma_f64 v[154:155], -v[148:149], v[150:151], 1.0
	v_fmac_f64_e32 v[150:151], v[150:151], v[154:155]
	v_fma_f64 v[154:155], -v[148:149], v[150:151], 1.0
	v_fmac_f64_e32 v[150:151], v[150:151], v[154:155]
	v_mul_f64 v[154:155], v[152:153], v[150:151]
	v_fma_f64 v[148:149], -v[148:149], v[154:155], v[152:153]
	v_div_fmas_f64 v[148:149], v[148:149], v[150:151], v[154:155]
	v_div_fixup_f64 v[148:149], v[148:149], v[146:147], v[144:145]
	v_fmac_f64_e32 v[146:147], v[144:145], v[148:149]
	v_div_scale_f64 v[144:145], s[10:11], v[146:147], v[146:147], 1.0
	v_rcp_f64_e32 v[150:151], v[144:145]
	s_nop 0
	v_fma_f64 v[152:153], -v[144:145], v[150:151], 1.0
	v_fmac_f64_e32 v[150:151], v[150:151], v[152:153]
	v_fma_f64 v[152:153], -v[144:145], v[150:151], 1.0
	v_fmac_f64_e32 v[150:151], v[150:151], v[152:153]
	v_div_scale_f64 v[152:153], vcc, 1.0, v[146:147], 1.0
	v_mul_f64 v[154:155], v[152:153], v[150:151]
	v_fma_f64 v[144:145], -v[144:145], v[154:155], v[152:153]
	s_nop 1
	v_div_fmas_f64 v[144:145], v[144:145], v[150:151], v[154:155]
	v_div_fixup_f64 v[150:151], v[144:145], v[146:147], 1.0
	v_mul_f64 v[148:149], v[148:149], v[150:151]
	v_xor_b32_e32 v151, 0x80000000, v151
                                        ; implicit-def: $vgpr144_vgpr145
.LBB71_23:
	s_andn2_saveexec_b64 s[2:3], s[2:3]
	s_cbranch_execz .LBB71_25
; %bb.24:
	v_div_scale_f64 v[148:149], s[10:11], v[144:145], v[144:145], v[146:147]
	v_rcp_f64_e32 v[150:151], v[148:149]
	v_div_scale_f64 v[152:153], vcc, v[146:147], v[144:145], v[146:147]
	v_fma_f64 v[154:155], -v[148:149], v[150:151], 1.0
	v_fmac_f64_e32 v[150:151], v[150:151], v[154:155]
	v_fma_f64 v[154:155], -v[148:149], v[150:151], 1.0
	v_fmac_f64_e32 v[150:151], v[150:151], v[154:155]
	v_mul_f64 v[154:155], v[152:153], v[150:151]
	v_fma_f64 v[148:149], -v[148:149], v[154:155], v[152:153]
	v_div_fmas_f64 v[148:149], v[148:149], v[150:151], v[154:155]
	v_div_fixup_f64 v[150:151], v[148:149], v[144:145], v[146:147]
	v_fmac_f64_e32 v[144:145], v[146:147], v[150:151]
	v_div_scale_f64 v[146:147], s[10:11], v[144:145], v[144:145], 1.0
	v_rcp_f64_e32 v[148:149], v[146:147]
	s_nop 0
	v_fma_f64 v[152:153], -v[146:147], v[148:149], 1.0
	v_fmac_f64_e32 v[148:149], v[148:149], v[152:153]
	v_fma_f64 v[152:153], -v[146:147], v[148:149], 1.0
	v_fmac_f64_e32 v[148:149], v[148:149], v[152:153]
	v_div_scale_f64 v[152:153], vcc, 1.0, v[144:145], 1.0
	v_mul_f64 v[154:155], v[152:153], v[148:149]
	v_fma_f64 v[146:147], -v[146:147], v[154:155], v[152:153]
	s_nop 1
	v_div_fmas_f64 v[146:147], v[146:147], v[148:149], v[154:155]
	v_div_fixup_f64 v[148:149], v[146:147], v[144:145], 1.0
	v_mul_f64 v[150:151], v[150:151], -v[148:149]
.LBB71_25:
	s_or_b64 exec, exec, s[2:3]
	ds_write2_b64 v207, v[148:149], v[150:151] offset1:1
.LBB71_26:
	s_or_b64 exec, exec, s[4:5]
	s_waitcnt lgkmcnt(0)
	s_barrier
	ds_read2_b64 v[188:191], v207 offset1:1
	v_cmp_lt_u32_e32 vcc, 2, v206
	s_and_saveexec_b64 s[2:3], vcc
	s_cbranch_execz .LBB71_28
; %bb.27:
	ds_read2_b64 v[146:149], v180 offset0:6 offset1:7
	ds_read2_b64 v[150:153], v180 offset0:8 offset1:9
	s_waitcnt vmcnt(38) lgkmcnt(2)
	v_mul_f64 v[144:145], v[190:191], v[130:131]
	v_mul_f64 v[130:131], v[188:189], v[130:131]
	v_fmac_f64_e32 v[130:131], v[190:191], v[128:129]
	v_fma_f64 v[144:145], v[188:189], v[128:129], -v[144:145]
	s_waitcnt lgkmcnt(1)
	v_mul_f64 v[128:129], v[148:149], v[130:131]
	v_fma_f64 v[128:129], v[146:147], v[144:145], -v[128:129]
	v_mul_f64 v[146:147], v[146:147], v[130:131]
	v_fmac_f64_e32 v[146:147], v[148:149], v[144:145]
	s_waitcnt vmcnt(37)
	v_add_f64 v[126:127], v[126:127], -v[146:147]
	ds_read2_b64 v[146:149], v180 offset0:10 offset1:11
	v_add_f64 v[124:125], v[124:125], -v[128:129]
	s_waitcnt lgkmcnt(1)
	v_mul_f64 v[128:129], v[152:153], v[130:131]
	v_fma_f64 v[128:129], v[150:151], v[144:145], -v[128:129]
	v_mul_f64 v[150:151], v[150:151], v[130:131]
	v_fmac_f64_e32 v[150:151], v[152:153], v[144:145]
	s_waitcnt vmcnt(36)
	v_add_f64 v[120:121], v[120:121], -v[128:129]
	v_add_f64 v[122:123], v[122:123], -v[150:151]
	ds_read2_b64 v[150:153], v180 offset0:12 offset1:13
	s_waitcnt lgkmcnt(1)
	v_mul_f64 v[128:129], v[148:149], v[130:131]
	v_fma_f64 v[128:129], v[146:147], v[144:145], -v[128:129]
	v_mul_f64 v[146:147], v[146:147], v[130:131]
	v_fmac_f64_e32 v[146:147], v[148:149], v[144:145]
	s_waitcnt vmcnt(35)
	v_add_f64 v[118:119], v[118:119], -v[146:147]
	ds_read2_b64 v[146:149], v180 offset0:14 offset1:15
	v_add_f64 v[116:117], v[116:117], -v[128:129]
	s_waitcnt lgkmcnt(1)
	v_mul_f64 v[128:129], v[152:153], v[130:131]
	v_fma_f64 v[128:129], v[150:151], v[144:145], -v[128:129]
	v_mul_f64 v[150:151], v[150:151], v[130:131]
	v_fmac_f64_e32 v[150:151], v[152:153], v[144:145]
	s_waitcnt vmcnt(34)
	v_add_f64 v[112:113], v[112:113], -v[128:129]
	v_add_f64 v[114:115], v[114:115], -v[150:151]
	ds_read2_b64 v[150:153], v180 offset0:16 offset1:17
	s_waitcnt lgkmcnt(1)
	v_mul_f64 v[128:129], v[148:149], v[130:131]
	v_fma_f64 v[128:129], v[146:147], v[144:145], -v[128:129]
	v_mul_f64 v[146:147], v[146:147], v[130:131]
	v_fmac_f64_e32 v[146:147], v[148:149], v[144:145]
	s_waitcnt vmcnt(33)
	v_add_f64 v[110:111], v[110:111], -v[146:147]
	ds_read2_b64 v[146:149], v180 offset0:18 offset1:19
	v_add_f64 v[108:109], v[108:109], -v[128:129]
	s_waitcnt lgkmcnt(1)
	v_mul_f64 v[128:129], v[152:153], v[130:131]
	v_fma_f64 v[128:129], v[150:151], v[144:145], -v[128:129]
	v_mul_f64 v[150:151], v[150:151], v[130:131]
	v_fmac_f64_e32 v[150:151], v[152:153], v[144:145]
	v_add_f64 v[104:105], v[104:105], -v[128:129]
	v_add_f64 v[106:107], v[106:107], -v[150:151]
	ds_read2_b64 v[150:153], v180 offset0:20 offset1:21
	s_waitcnt lgkmcnt(1)
	v_mul_f64 v[128:129], v[148:149], v[130:131]
	v_fma_f64 v[128:129], v[146:147], v[144:145], -v[128:129]
	v_mul_f64 v[146:147], v[146:147], v[130:131]
	v_fmac_f64_e32 v[146:147], v[148:149], v[144:145]
	s_waitcnt vmcnt(31)
	v_add_f64 v[102:103], v[102:103], -v[146:147]
	ds_read2_b64 v[146:149], v180 offset0:22 offset1:23
	v_add_f64 v[100:101], v[100:101], -v[128:129]
	s_waitcnt lgkmcnt(1)
	v_mul_f64 v[128:129], v[152:153], v[130:131]
	v_fma_f64 v[128:129], v[150:151], v[144:145], -v[128:129]
	v_mul_f64 v[150:151], v[150:151], v[130:131]
	v_fmac_f64_e32 v[150:151], v[152:153], v[144:145]
	s_waitcnt vmcnt(30)
	v_add_f64 v[96:97], v[96:97], -v[128:129]
	v_add_f64 v[98:99], v[98:99], -v[150:151]
	ds_read2_b64 v[150:153], v180 offset0:24 offset1:25
	s_waitcnt lgkmcnt(1)
	v_mul_f64 v[128:129], v[148:149], v[130:131]
	v_fma_f64 v[128:129], v[146:147], v[144:145], -v[128:129]
	v_mul_f64 v[146:147], v[146:147], v[130:131]
	v_fmac_f64_e32 v[146:147], v[148:149], v[144:145]
	s_waitcnt vmcnt(29)
	v_add_f64 v[94:95], v[94:95], -v[146:147]
	ds_read2_b64 v[146:149], v180 offset0:26 offset1:27
	v_add_f64 v[92:93], v[92:93], -v[128:129]
	s_waitcnt lgkmcnt(1)
	v_mul_f64 v[128:129], v[152:153], v[130:131]
	v_fma_f64 v[128:129], v[150:151], v[144:145], -v[128:129]
	v_mul_f64 v[150:151], v[150:151], v[130:131]
	v_fmac_f64_e32 v[150:151], v[152:153], v[144:145]
	s_waitcnt vmcnt(28)
	v_add_f64 v[88:89], v[88:89], -v[128:129]
	v_add_f64 v[90:91], v[90:91], -v[150:151]
	ds_read2_b64 v[150:153], v180 offset0:28 offset1:29
	s_waitcnt lgkmcnt(1)
	v_mul_f64 v[128:129], v[148:149], v[130:131]
	v_fma_f64 v[128:129], v[146:147], v[144:145], -v[128:129]
	v_mul_f64 v[146:147], v[146:147], v[130:131]
	v_fmac_f64_e32 v[146:147], v[148:149], v[144:145]
	s_waitcnt vmcnt(24)
	v_add_f64 v[86:87], v[86:87], -v[146:147]
	ds_read2_b64 v[146:149], v180 offset0:30 offset1:31
	v_add_f64 v[84:85], v[84:85], -v[128:129]
	s_waitcnt lgkmcnt(1)
	v_mul_f64 v[128:129], v[152:153], v[130:131]
	v_fma_f64 v[128:129], v[150:151], v[144:145], -v[128:129]
	v_mul_f64 v[150:151], v[150:151], v[130:131]
	v_fmac_f64_e32 v[150:151], v[152:153], v[144:145]
	s_waitcnt vmcnt(23)
	v_add_f64 v[80:81], v[80:81], -v[128:129]
	v_add_f64 v[82:83], v[82:83], -v[150:151]
	ds_read2_b64 v[150:153], v180 offset0:32 offset1:33
	s_waitcnt lgkmcnt(1)
	v_mul_f64 v[128:129], v[148:149], v[130:131]
	v_fma_f64 v[128:129], v[146:147], v[144:145], -v[128:129]
	v_mul_f64 v[146:147], v[146:147], v[130:131]
	v_fmac_f64_e32 v[146:147], v[148:149], v[144:145]
	s_waitcnt vmcnt(22)
	v_add_f64 v[78:79], v[78:79], -v[146:147]
	ds_read2_b64 v[146:149], v180 offset0:34 offset1:35
	v_add_f64 v[76:77], v[76:77], -v[128:129]
	s_waitcnt lgkmcnt(1)
	v_mul_f64 v[128:129], v[152:153], v[130:131]
	v_fma_f64 v[128:129], v[150:151], v[144:145], -v[128:129]
	v_mul_f64 v[150:151], v[150:151], v[130:131]
	v_fmac_f64_e32 v[150:151], v[152:153], v[144:145]
	s_waitcnt vmcnt(21)
	v_add_f64 v[72:73], v[72:73], -v[128:129]
	v_add_f64 v[74:75], v[74:75], -v[150:151]
	ds_read2_b64 v[150:153], v180 offset0:36 offset1:37
	s_waitcnt lgkmcnt(1)
	v_mul_f64 v[128:129], v[148:149], v[130:131]
	v_fma_f64 v[128:129], v[146:147], v[144:145], -v[128:129]
	v_mul_f64 v[146:147], v[146:147], v[130:131]
	v_fmac_f64_e32 v[146:147], v[148:149], v[144:145]
	s_waitcnt vmcnt(20)
	v_add_f64 v[70:71], v[70:71], -v[146:147]
	ds_read2_b64 v[146:149], v180 offset0:38 offset1:39
	v_add_f64 v[68:69], v[68:69], -v[128:129]
	s_waitcnt lgkmcnt(1)
	v_mul_f64 v[128:129], v[152:153], v[130:131]
	v_fma_f64 v[128:129], v[150:151], v[144:145], -v[128:129]
	v_mul_f64 v[150:151], v[150:151], v[130:131]
	v_fmac_f64_e32 v[150:151], v[152:153], v[144:145]
	s_waitcnt vmcnt(19)
	v_add_f64 v[64:65], v[64:65], -v[128:129]
	v_add_f64 v[66:67], v[66:67], -v[150:151]
	ds_read2_b64 v[150:153], v180 offset0:40 offset1:41
	s_waitcnt lgkmcnt(1)
	v_mul_f64 v[128:129], v[148:149], v[130:131]
	v_fma_f64 v[128:129], v[146:147], v[144:145], -v[128:129]
	v_mul_f64 v[146:147], v[146:147], v[130:131]
	v_fmac_f64_e32 v[146:147], v[148:149], v[144:145]
	s_waitcnt vmcnt(18)
	v_add_f64 v[62:63], v[62:63], -v[146:147]
	ds_read2_b64 v[146:149], v180 offset0:42 offset1:43
	v_add_f64 v[60:61], v[60:61], -v[128:129]
	s_waitcnt lgkmcnt(1)
	v_mul_f64 v[128:129], v[152:153], v[130:131]
	v_fma_f64 v[128:129], v[150:151], v[144:145], -v[128:129]
	v_mul_f64 v[150:151], v[150:151], v[130:131]
	v_fmac_f64_e32 v[150:151], v[152:153], v[144:145]
	s_waitcnt vmcnt(17)
	v_add_f64 v[56:57], v[56:57], -v[128:129]
	v_add_f64 v[58:59], v[58:59], -v[150:151]
	ds_read2_b64 v[150:153], v180 offset0:44 offset1:45
	s_waitcnt lgkmcnt(1)
	v_mul_f64 v[128:129], v[148:149], v[130:131]
	v_fma_f64 v[128:129], v[146:147], v[144:145], -v[128:129]
	v_mul_f64 v[146:147], v[146:147], v[130:131]
	v_fmac_f64_e32 v[146:147], v[148:149], v[144:145]
	s_waitcnt vmcnt(16)
	v_add_f64 v[54:55], v[54:55], -v[146:147]
	ds_read2_b64 v[146:149], v180 offset0:46 offset1:47
	v_add_f64 v[52:53], v[52:53], -v[128:129]
	s_waitcnt lgkmcnt(1)
	v_mul_f64 v[128:129], v[152:153], v[130:131]
	v_fma_f64 v[128:129], v[150:151], v[144:145], -v[128:129]
	v_mul_f64 v[150:151], v[150:151], v[130:131]
	v_fmac_f64_e32 v[150:151], v[152:153], v[144:145]
	s_waitcnt vmcnt(15)
	v_add_f64 v[48:49], v[48:49], -v[128:129]
	v_add_f64 v[50:51], v[50:51], -v[150:151]
	ds_read2_b64 v[150:153], v180 offset0:48 offset1:49
	s_waitcnt lgkmcnt(1)
	v_mul_f64 v[128:129], v[148:149], v[130:131]
	v_fma_f64 v[128:129], v[146:147], v[144:145], -v[128:129]
	v_mul_f64 v[146:147], v[146:147], v[130:131]
	v_fmac_f64_e32 v[146:147], v[148:149], v[144:145]
	s_waitcnt vmcnt(14)
	v_add_f64 v[46:47], v[46:47], -v[146:147]
	ds_read2_b64 v[146:149], v180 offset0:50 offset1:51
	v_add_f64 v[44:45], v[44:45], -v[128:129]
	s_waitcnt lgkmcnt(1)
	v_mul_f64 v[128:129], v[152:153], v[130:131]
	v_fma_f64 v[128:129], v[150:151], v[144:145], -v[128:129]
	v_mul_f64 v[150:151], v[150:151], v[130:131]
	v_fmac_f64_e32 v[150:151], v[152:153], v[144:145]
	s_waitcnt vmcnt(13)
	v_add_f64 v[40:41], v[40:41], -v[128:129]
	v_add_f64 v[42:43], v[42:43], -v[150:151]
	ds_read2_b64 v[150:153], v180 offset0:52 offset1:53
	s_waitcnt lgkmcnt(1)
	v_mul_f64 v[128:129], v[148:149], v[130:131]
	v_fma_f64 v[128:129], v[146:147], v[144:145], -v[128:129]
	v_mul_f64 v[146:147], v[146:147], v[130:131]
	v_fmac_f64_e32 v[146:147], v[148:149], v[144:145]
	s_waitcnt vmcnt(12)
	v_add_f64 v[38:39], v[38:39], -v[146:147]
	ds_read2_b64 v[146:149], v180 offset0:54 offset1:55
	v_add_f64 v[36:37], v[36:37], -v[128:129]
	s_waitcnt lgkmcnt(1)
	v_mul_f64 v[128:129], v[152:153], v[130:131]
	v_fma_f64 v[128:129], v[150:151], v[144:145], -v[128:129]
	v_mul_f64 v[150:151], v[150:151], v[130:131]
	v_fmac_f64_e32 v[150:151], v[152:153], v[144:145]
	s_waitcnt vmcnt(11)
	v_add_f64 v[32:33], v[32:33], -v[128:129]
	v_add_f64 v[34:35], v[34:35], -v[150:151]
	ds_read2_b64 v[150:153], v180 offset0:56 offset1:57
	s_waitcnt lgkmcnt(1)
	v_mul_f64 v[128:129], v[148:149], v[130:131]
	v_fma_f64 v[128:129], v[146:147], v[144:145], -v[128:129]
	v_mul_f64 v[146:147], v[146:147], v[130:131]
	v_fmac_f64_e32 v[146:147], v[148:149], v[144:145]
	s_waitcnt vmcnt(10)
	v_add_f64 v[30:31], v[30:31], -v[146:147]
	ds_read2_b64 v[146:149], v180 offset0:58 offset1:59
	v_add_f64 v[28:29], v[28:29], -v[128:129]
	s_waitcnt lgkmcnt(1)
	v_mul_f64 v[128:129], v[152:153], v[130:131]
	v_fma_f64 v[128:129], v[150:151], v[144:145], -v[128:129]
	v_mul_f64 v[150:151], v[150:151], v[130:131]
	v_fmac_f64_e32 v[150:151], v[152:153], v[144:145]
	s_waitcnt vmcnt(9)
	v_add_f64 v[24:25], v[24:25], -v[128:129]
	v_add_f64 v[26:27], v[26:27], -v[150:151]
	ds_read2_b64 v[150:153], v180 offset0:60 offset1:61
	s_waitcnt lgkmcnt(1)
	v_mul_f64 v[128:129], v[148:149], v[130:131]
	v_fma_f64 v[128:129], v[146:147], v[144:145], -v[128:129]
	v_mul_f64 v[146:147], v[146:147], v[130:131]
	v_fmac_f64_e32 v[146:147], v[148:149], v[144:145]
	s_waitcnt vmcnt(8)
	v_add_f64 v[22:23], v[22:23], -v[146:147]
	ds_read2_b64 v[146:149], v180 offset0:62 offset1:63
	v_add_f64 v[20:21], v[20:21], -v[128:129]
	s_waitcnt lgkmcnt(1)
	v_mul_f64 v[128:129], v[152:153], v[130:131]
	v_fma_f64 v[128:129], v[150:151], v[144:145], -v[128:129]
	v_mul_f64 v[150:151], v[150:151], v[130:131]
	v_fmac_f64_e32 v[150:151], v[152:153], v[144:145]
	s_waitcnt vmcnt(7)
	v_add_f64 v[16:17], v[16:17], -v[128:129]
	v_add_f64 v[18:19], v[18:19], -v[150:151]
	ds_read2_b64 v[150:153], v180 offset0:64 offset1:65
	s_waitcnt lgkmcnt(1)
	v_mul_f64 v[128:129], v[148:149], v[130:131]
	v_fma_f64 v[128:129], v[146:147], v[144:145], -v[128:129]
	v_mul_f64 v[146:147], v[146:147], v[130:131]
	v_fmac_f64_e32 v[146:147], v[148:149], v[144:145]
	s_waitcnt vmcnt(6)
	v_add_f64 v[14:15], v[14:15], -v[146:147]
	ds_read2_b64 v[146:149], v180 offset0:66 offset1:67
	v_add_f64 v[12:13], v[12:13], -v[128:129]
	s_waitcnt lgkmcnt(1)
	v_mul_f64 v[128:129], v[152:153], v[130:131]
	v_fma_f64 v[128:129], v[150:151], v[144:145], -v[128:129]
	v_mul_f64 v[150:151], v[150:151], v[130:131]
	v_fmac_f64_e32 v[150:151], v[152:153], v[144:145]
	s_waitcnt vmcnt(5)
	v_add_f64 v[8:9], v[8:9], -v[128:129]
	v_add_f64 v[10:11], v[10:11], -v[150:151]
	ds_read2_b64 v[150:153], v180 offset0:68 offset1:69
	s_waitcnt lgkmcnt(1)
	v_mul_f64 v[128:129], v[148:149], v[130:131]
	v_fma_f64 v[128:129], v[146:147], v[144:145], -v[128:129]
	v_mul_f64 v[146:147], v[146:147], v[130:131]
	v_fmac_f64_e32 v[146:147], v[148:149], v[144:145]
	s_waitcnt vmcnt(4)
	v_add_f64 v[6:7], v[6:7], -v[146:147]
	ds_read2_b64 v[146:149], v180 offset0:70 offset1:71
	v_add_f64 v[4:5], v[4:5], -v[128:129]
	s_waitcnt lgkmcnt(1)
	v_mul_f64 v[128:129], v[152:153], v[130:131]
	v_fma_f64 v[128:129], v[150:151], v[144:145], -v[128:129]
	s_waitcnt vmcnt(3)
	v_add_f64 v[0:1], v[0:1], -v[128:129]
	s_waitcnt lgkmcnt(0)
	v_mul_f64 v[128:129], v[148:149], v[130:131]
	v_mul_f64 v[150:151], v[150:151], v[130:131]
	v_fma_f64 v[128:129], v[146:147], v[144:145], -v[128:129]
	v_mul_f64 v[146:147], v[146:147], v[130:131]
	v_fmac_f64_e32 v[150:151], v[152:153], v[144:145]
	v_fmac_f64_e32 v[146:147], v[148:149], v[144:145]
	v_add_f64 v[2:3], v[2:3], -v[150:151]
	s_waitcnt vmcnt(2)
	v_add_f64 v[140:141], v[140:141], -v[128:129]
	v_add_f64 v[142:143], v[142:143], -v[146:147]
	v_mov_b64_e32 v[128:129], v[144:145]
.LBB71_28:
	s_or_b64 exec, exec, s[2:3]
	v_cmp_eq_u32_e32 vcc, 3, v206
	s_waitcnt lgkmcnt(0)
	s_barrier
	s_and_saveexec_b64 s[4:5], vcc
	s_cbranch_execz .LBB71_35
; %bb.29:
	s_waitcnt vmcnt(37)
	ds_write2_b64 v207, v[124:125], v[126:127] offset1:1
	s_waitcnt vmcnt(36)
	ds_write2_b64 v180, v[120:121], v[122:123] offset0:8 offset1:9
	s_waitcnt vmcnt(35)
	ds_write2_b64 v180, v[116:117], v[118:119] offset0:10 offset1:11
	;; [unrolled: 2-line block ×4, first 2 shown]
	ds_write2_b64 v180, v[104:105], v[106:107] offset0:16 offset1:17
	s_waitcnt vmcnt(31)
	ds_write2_b64 v180, v[100:101], v[102:103] offset0:18 offset1:19
	s_waitcnt vmcnt(30)
	;; [unrolled: 2-line block ×27, first 2 shown]
	ds_write2_b64 v180, v[140:141], v[142:143] offset0:70 offset1:71
	ds_read2_b64 v[144:147], v207 offset1:1
	s_waitcnt lgkmcnt(0)
	v_cmp_neq_f64_e32 vcc, 0, v[144:145]
	v_cmp_neq_f64_e64 s[2:3], 0, v[146:147]
	s_or_b64 s[2:3], vcc, s[2:3]
	s_and_b64 exec, exec, s[2:3]
	s_cbranch_execz .LBB71_35
; %bb.30:
	v_cmp_ngt_f64_e64 s[2:3], |v[144:145]|, |v[146:147]|
                                        ; implicit-def: $vgpr148_vgpr149
	s_and_saveexec_b64 s[10:11], s[2:3]
	s_xor_b64 s[2:3], exec, s[10:11]
                                        ; implicit-def: $vgpr150_vgpr151
	s_cbranch_execz .LBB71_32
; %bb.31:
	v_div_scale_f64 v[148:149], s[10:11], v[146:147], v[146:147], v[144:145]
	v_rcp_f64_e32 v[150:151], v[148:149]
	v_div_scale_f64 v[152:153], vcc, v[144:145], v[146:147], v[144:145]
	v_fma_f64 v[154:155], -v[148:149], v[150:151], 1.0
	v_fmac_f64_e32 v[150:151], v[150:151], v[154:155]
	v_fma_f64 v[154:155], -v[148:149], v[150:151], 1.0
	v_fmac_f64_e32 v[150:151], v[150:151], v[154:155]
	v_mul_f64 v[154:155], v[152:153], v[150:151]
	v_fma_f64 v[148:149], -v[148:149], v[154:155], v[152:153]
	v_div_fmas_f64 v[148:149], v[148:149], v[150:151], v[154:155]
	v_div_fixup_f64 v[148:149], v[148:149], v[146:147], v[144:145]
	v_fmac_f64_e32 v[146:147], v[144:145], v[148:149]
	v_div_scale_f64 v[144:145], s[10:11], v[146:147], v[146:147], 1.0
	v_rcp_f64_e32 v[150:151], v[144:145]
	s_nop 0
	v_fma_f64 v[152:153], -v[144:145], v[150:151], 1.0
	v_fmac_f64_e32 v[150:151], v[150:151], v[152:153]
	v_fma_f64 v[152:153], -v[144:145], v[150:151], 1.0
	v_fmac_f64_e32 v[150:151], v[150:151], v[152:153]
	v_div_scale_f64 v[152:153], vcc, 1.0, v[146:147], 1.0
	v_mul_f64 v[154:155], v[152:153], v[150:151]
	v_fma_f64 v[144:145], -v[144:145], v[154:155], v[152:153]
	s_nop 1
	v_div_fmas_f64 v[144:145], v[144:145], v[150:151], v[154:155]
	v_div_fixup_f64 v[150:151], v[144:145], v[146:147], 1.0
	v_mul_f64 v[148:149], v[148:149], v[150:151]
	v_xor_b32_e32 v151, 0x80000000, v151
                                        ; implicit-def: $vgpr144_vgpr145
.LBB71_32:
	s_andn2_saveexec_b64 s[2:3], s[2:3]
	s_cbranch_execz .LBB71_34
; %bb.33:
	v_div_scale_f64 v[148:149], s[10:11], v[144:145], v[144:145], v[146:147]
	v_rcp_f64_e32 v[150:151], v[148:149]
	v_div_scale_f64 v[152:153], vcc, v[146:147], v[144:145], v[146:147]
	v_fma_f64 v[154:155], -v[148:149], v[150:151], 1.0
	v_fmac_f64_e32 v[150:151], v[150:151], v[154:155]
	v_fma_f64 v[154:155], -v[148:149], v[150:151], 1.0
	v_fmac_f64_e32 v[150:151], v[150:151], v[154:155]
	v_mul_f64 v[154:155], v[152:153], v[150:151]
	v_fma_f64 v[148:149], -v[148:149], v[154:155], v[152:153]
	v_div_fmas_f64 v[148:149], v[148:149], v[150:151], v[154:155]
	v_div_fixup_f64 v[150:151], v[148:149], v[144:145], v[146:147]
	v_fmac_f64_e32 v[144:145], v[146:147], v[150:151]
	v_div_scale_f64 v[146:147], s[10:11], v[144:145], v[144:145], 1.0
	v_rcp_f64_e32 v[148:149], v[146:147]
	s_nop 0
	v_fma_f64 v[152:153], -v[146:147], v[148:149], 1.0
	v_fmac_f64_e32 v[148:149], v[148:149], v[152:153]
	v_fma_f64 v[152:153], -v[146:147], v[148:149], 1.0
	v_fmac_f64_e32 v[148:149], v[148:149], v[152:153]
	v_div_scale_f64 v[152:153], vcc, 1.0, v[144:145], 1.0
	v_mul_f64 v[154:155], v[152:153], v[148:149]
	v_fma_f64 v[146:147], -v[146:147], v[154:155], v[152:153]
	s_nop 1
	v_div_fmas_f64 v[146:147], v[146:147], v[148:149], v[154:155]
	v_div_fixup_f64 v[148:149], v[146:147], v[144:145], 1.0
	v_mul_f64 v[150:151], v[150:151], -v[148:149]
.LBB71_34:
	s_or_b64 exec, exec, s[2:3]
	ds_write2_b64 v207, v[148:149], v[150:151] offset1:1
.LBB71_35:
	s_or_b64 exec, exec, s[4:5]
	s_waitcnt lgkmcnt(0)
	s_barrier
	ds_read2_b64 v[192:195], v207 offset1:1
	v_cmp_lt_u32_e32 vcc, 3, v206
	s_and_saveexec_b64 s[2:3], vcc
	s_cbranch_execz .LBB71_37
; %bb.36:
	ds_read2_b64 v[146:149], v180 offset0:8 offset1:9
	ds_read2_b64 v[150:153], v180 offset0:10 offset1:11
	s_waitcnt vmcnt(37) lgkmcnt(2)
	v_mul_f64 v[144:145], v[194:195], v[126:127]
	v_mul_f64 v[126:127], v[192:193], v[126:127]
	v_fmac_f64_e32 v[126:127], v[194:195], v[124:125]
	v_fma_f64 v[144:145], v[192:193], v[124:125], -v[144:145]
	s_waitcnt lgkmcnt(1)
	v_mul_f64 v[124:125], v[148:149], v[126:127]
	v_fma_f64 v[124:125], v[146:147], v[144:145], -v[124:125]
	v_mul_f64 v[146:147], v[146:147], v[126:127]
	v_fmac_f64_e32 v[146:147], v[148:149], v[144:145]
	s_waitcnt vmcnt(36)
	v_add_f64 v[120:121], v[120:121], -v[124:125]
	v_add_f64 v[122:123], v[122:123], -v[146:147]
	s_waitcnt lgkmcnt(0)
	v_mul_f64 v[124:125], v[152:153], v[126:127]
	ds_read2_b64 v[146:149], v180 offset0:12 offset1:13
	v_fma_f64 v[124:125], v[150:151], v[144:145], -v[124:125]
	v_mul_f64 v[150:151], v[150:151], v[126:127]
	v_fmac_f64_e32 v[150:151], v[152:153], v[144:145]
	s_waitcnt vmcnt(35)
	v_add_f64 v[118:119], v[118:119], -v[150:151]
	ds_read2_b64 v[150:153], v180 offset0:14 offset1:15
	v_add_f64 v[116:117], v[116:117], -v[124:125]
	s_waitcnt lgkmcnt(1)
	v_mul_f64 v[124:125], v[148:149], v[126:127]
	v_fma_f64 v[124:125], v[146:147], v[144:145], -v[124:125]
	v_mul_f64 v[146:147], v[146:147], v[126:127]
	v_fmac_f64_e32 v[146:147], v[148:149], v[144:145]
	s_waitcnt vmcnt(34)
	v_add_f64 v[112:113], v[112:113], -v[124:125]
	v_add_f64 v[114:115], v[114:115], -v[146:147]
	s_waitcnt lgkmcnt(0)
	v_mul_f64 v[124:125], v[152:153], v[126:127]
	ds_read2_b64 v[146:149], v180 offset0:16 offset1:17
	v_fma_f64 v[124:125], v[150:151], v[144:145], -v[124:125]
	v_mul_f64 v[150:151], v[150:151], v[126:127]
	v_fmac_f64_e32 v[150:151], v[152:153], v[144:145]
	s_waitcnt vmcnt(33)
	v_add_f64 v[110:111], v[110:111], -v[150:151]
	ds_read2_b64 v[150:153], v180 offset0:18 offset1:19
	v_add_f64 v[108:109], v[108:109], -v[124:125]
	s_waitcnt lgkmcnt(1)
	v_mul_f64 v[124:125], v[148:149], v[126:127]
	v_fma_f64 v[124:125], v[146:147], v[144:145], -v[124:125]
	v_mul_f64 v[146:147], v[146:147], v[126:127]
	v_fmac_f64_e32 v[146:147], v[148:149], v[144:145]
	v_add_f64 v[104:105], v[104:105], -v[124:125]
	v_add_f64 v[106:107], v[106:107], -v[146:147]
	s_waitcnt lgkmcnt(0)
	v_mul_f64 v[124:125], v[152:153], v[126:127]
	ds_read2_b64 v[146:149], v180 offset0:20 offset1:21
	v_fma_f64 v[124:125], v[150:151], v[144:145], -v[124:125]
	v_mul_f64 v[150:151], v[150:151], v[126:127]
	v_fmac_f64_e32 v[150:151], v[152:153], v[144:145]
	s_waitcnt vmcnt(31)
	v_add_f64 v[102:103], v[102:103], -v[150:151]
	ds_read2_b64 v[150:153], v180 offset0:22 offset1:23
	v_add_f64 v[100:101], v[100:101], -v[124:125]
	s_waitcnt lgkmcnt(1)
	v_mul_f64 v[124:125], v[148:149], v[126:127]
	v_fma_f64 v[124:125], v[146:147], v[144:145], -v[124:125]
	v_mul_f64 v[146:147], v[146:147], v[126:127]
	v_fmac_f64_e32 v[146:147], v[148:149], v[144:145]
	s_waitcnt vmcnt(30)
	v_add_f64 v[96:97], v[96:97], -v[124:125]
	v_add_f64 v[98:99], v[98:99], -v[146:147]
	s_waitcnt lgkmcnt(0)
	v_mul_f64 v[124:125], v[152:153], v[126:127]
	ds_read2_b64 v[146:149], v180 offset0:24 offset1:25
	v_fma_f64 v[124:125], v[150:151], v[144:145], -v[124:125]
	v_mul_f64 v[150:151], v[150:151], v[126:127]
	v_fmac_f64_e32 v[150:151], v[152:153], v[144:145]
	s_waitcnt vmcnt(29)
	v_add_f64 v[94:95], v[94:95], -v[150:151]
	ds_read2_b64 v[150:153], v180 offset0:26 offset1:27
	v_add_f64 v[92:93], v[92:93], -v[124:125]
	s_waitcnt lgkmcnt(1)
	v_mul_f64 v[124:125], v[148:149], v[126:127]
	v_fma_f64 v[124:125], v[146:147], v[144:145], -v[124:125]
	v_mul_f64 v[146:147], v[146:147], v[126:127]
	v_fmac_f64_e32 v[146:147], v[148:149], v[144:145]
	s_waitcnt vmcnt(28)
	;; [unrolled: 18-line block ×13, first 2 shown]
	v_add_f64 v[0:1], v[0:1], -v[124:125]
	v_add_f64 v[2:3], v[2:3], -v[146:147]
	s_waitcnt lgkmcnt(0)
	v_mul_f64 v[124:125], v[152:153], v[126:127]
	v_mul_f64 v[146:147], v[150:151], v[126:127]
	v_fma_f64 v[124:125], v[150:151], v[144:145], -v[124:125]
	v_fmac_f64_e32 v[146:147], v[152:153], v[144:145]
	s_waitcnt vmcnt(2)
	v_add_f64 v[140:141], v[140:141], -v[124:125]
	v_add_f64 v[142:143], v[142:143], -v[146:147]
	v_mov_b64_e32 v[124:125], v[144:145]
.LBB71_37:
	s_or_b64 exec, exec, s[2:3]
	v_cmp_eq_u32_e32 vcc, 4, v206
	s_waitcnt lgkmcnt(0)
	s_barrier
	s_and_saveexec_b64 s[4:5], vcc
	s_cbranch_execz .LBB71_44
; %bb.38:
	s_waitcnt vmcnt(36)
	ds_write2_b64 v207, v[120:121], v[122:123] offset1:1
	s_waitcnt vmcnt(35)
	ds_write2_b64 v180, v[116:117], v[118:119] offset0:10 offset1:11
	s_waitcnt vmcnt(34)
	ds_write2_b64 v180, v[112:113], v[114:115] offset0:12 offset1:13
	;; [unrolled: 2-line block ×3, first 2 shown]
	ds_write2_b64 v180, v[104:105], v[106:107] offset0:16 offset1:17
	s_waitcnt vmcnt(31)
	ds_write2_b64 v180, v[100:101], v[102:103] offset0:18 offset1:19
	s_waitcnt vmcnt(30)
	;; [unrolled: 2-line block ×27, first 2 shown]
	ds_write2_b64 v180, v[140:141], v[142:143] offset0:70 offset1:71
	ds_read2_b64 v[144:147], v207 offset1:1
	s_waitcnt lgkmcnt(0)
	v_cmp_neq_f64_e32 vcc, 0, v[144:145]
	v_cmp_neq_f64_e64 s[2:3], 0, v[146:147]
	s_or_b64 s[2:3], vcc, s[2:3]
	s_and_b64 exec, exec, s[2:3]
	s_cbranch_execz .LBB71_44
; %bb.39:
	v_cmp_ngt_f64_e64 s[2:3], |v[144:145]|, |v[146:147]|
                                        ; implicit-def: $vgpr148_vgpr149
	s_and_saveexec_b64 s[10:11], s[2:3]
	s_xor_b64 s[2:3], exec, s[10:11]
                                        ; implicit-def: $vgpr150_vgpr151
	s_cbranch_execz .LBB71_41
; %bb.40:
	v_div_scale_f64 v[148:149], s[10:11], v[146:147], v[146:147], v[144:145]
	v_rcp_f64_e32 v[150:151], v[148:149]
	v_div_scale_f64 v[152:153], vcc, v[144:145], v[146:147], v[144:145]
	v_fma_f64 v[154:155], -v[148:149], v[150:151], 1.0
	v_fmac_f64_e32 v[150:151], v[150:151], v[154:155]
	v_fma_f64 v[154:155], -v[148:149], v[150:151], 1.0
	v_fmac_f64_e32 v[150:151], v[150:151], v[154:155]
	v_mul_f64 v[154:155], v[152:153], v[150:151]
	v_fma_f64 v[148:149], -v[148:149], v[154:155], v[152:153]
	v_div_fmas_f64 v[148:149], v[148:149], v[150:151], v[154:155]
	v_div_fixup_f64 v[148:149], v[148:149], v[146:147], v[144:145]
	v_fmac_f64_e32 v[146:147], v[144:145], v[148:149]
	v_div_scale_f64 v[144:145], s[10:11], v[146:147], v[146:147], 1.0
	v_rcp_f64_e32 v[150:151], v[144:145]
	s_nop 0
	v_fma_f64 v[152:153], -v[144:145], v[150:151], 1.0
	v_fmac_f64_e32 v[150:151], v[150:151], v[152:153]
	v_fma_f64 v[152:153], -v[144:145], v[150:151], 1.0
	v_fmac_f64_e32 v[150:151], v[150:151], v[152:153]
	v_div_scale_f64 v[152:153], vcc, 1.0, v[146:147], 1.0
	v_mul_f64 v[154:155], v[152:153], v[150:151]
	v_fma_f64 v[144:145], -v[144:145], v[154:155], v[152:153]
	s_nop 1
	v_div_fmas_f64 v[144:145], v[144:145], v[150:151], v[154:155]
	v_div_fixup_f64 v[150:151], v[144:145], v[146:147], 1.0
	v_mul_f64 v[148:149], v[148:149], v[150:151]
	v_xor_b32_e32 v151, 0x80000000, v151
                                        ; implicit-def: $vgpr144_vgpr145
.LBB71_41:
	s_andn2_saveexec_b64 s[2:3], s[2:3]
	s_cbranch_execz .LBB71_43
; %bb.42:
	v_div_scale_f64 v[148:149], s[10:11], v[144:145], v[144:145], v[146:147]
	v_rcp_f64_e32 v[150:151], v[148:149]
	v_div_scale_f64 v[152:153], vcc, v[146:147], v[144:145], v[146:147]
	v_fma_f64 v[154:155], -v[148:149], v[150:151], 1.0
	v_fmac_f64_e32 v[150:151], v[150:151], v[154:155]
	v_fma_f64 v[154:155], -v[148:149], v[150:151], 1.0
	v_fmac_f64_e32 v[150:151], v[150:151], v[154:155]
	v_mul_f64 v[154:155], v[152:153], v[150:151]
	v_fma_f64 v[148:149], -v[148:149], v[154:155], v[152:153]
	v_div_fmas_f64 v[148:149], v[148:149], v[150:151], v[154:155]
	v_div_fixup_f64 v[150:151], v[148:149], v[144:145], v[146:147]
	v_fmac_f64_e32 v[144:145], v[146:147], v[150:151]
	v_div_scale_f64 v[146:147], s[10:11], v[144:145], v[144:145], 1.0
	v_rcp_f64_e32 v[148:149], v[146:147]
	s_nop 0
	v_fma_f64 v[152:153], -v[146:147], v[148:149], 1.0
	v_fmac_f64_e32 v[148:149], v[148:149], v[152:153]
	v_fma_f64 v[152:153], -v[146:147], v[148:149], 1.0
	v_fmac_f64_e32 v[148:149], v[148:149], v[152:153]
	v_div_scale_f64 v[152:153], vcc, 1.0, v[144:145], 1.0
	v_mul_f64 v[154:155], v[152:153], v[148:149]
	v_fma_f64 v[146:147], -v[146:147], v[154:155], v[152:153]
	s_nop 1
	v_div_fmas_f64 v[146:147], v[146:147], v[148:149], v[154:155]
	v_div_fixup_f64 v[148:149], v[146:147], v[144:145], 1.0
	v_mul_f64 v[150:151], v[150:151], -v[148:149]
.LBB71_43:
	s_or_b64 exec, exec, s[2:3]
	ds_write2_b64 v207, v[148:149], v[150:151] offset1:1
.LBB71_44:
	s_or_b64 exec, exec, s[4:5]
	s_waitcnt lgkmcnt(0)
	s_barrier
	ds_read2_b64 v[196:199], v207 offset1:1
	v_cmp_lt_u32_e32 vcc, 4, v206
	s_and_saveexec_b64 s[2:3], vcc
	s_cbranch_execz .LBB71_46
; %bb.45:
	ds_read2_b64 v[146:149], v180 offset0:10 offset1:11
	ds_read2_b64 v[150:153], v180 offset0:12 offset1:13
	s_waitcnt vmcnt(36) lgkmcnt(2)
	v_mul_f64 v[144:145], v[198:199], v[122:123]
	v_mul_f64 v[122:123], v[196:197], v[122:123]
	v_fmac_f64_e32 v[122:123], v[198:199], v[120:121]
	v_fma_f64 v[144:145], v[196:197], v[120:121], -v[144:145]
	s_waitcnt lgkmcnt(1)
	v_mul_f64 v[120:121], v[148:149], v[122:123]
	v_fma_f64 v[120:121], v[146:147], v[144:145], -v[120:121]
	v_mul_f64 v[146:147], v[146:147], v[122:123]
	v_fmac_f64_e32 v[146:147], v[148:149], v[144:145]
	s_waitcnt vmcnt(35)
	v_add_f64 v[118:119], v[118:119], -v[146:147]
	ds_read2_b64 v[146:149], v180 offset0:14 offset1:15
	v_add_f64 v[116:117], v[116:117], -v[120:121]
	s_waitcnt lgkmcnt(1)
	v_mul_f64 v[120:121], v[152:153], v[122:123]
	v_fma_f64 v[120:121], v[150:151], v[144:145], -v[120:121]
	v_mul_f64 v[150:151], v[150:151], v[122:123]
	v_fmac_f64_e32 v[150:151], v[152:153], v[144:145]
	s_waitcnt vmcnt(34)
	v_add_f64 v[112:113], v[112:113], -v[120:121]
	v_add_f64 v[114:115], v[114:115], -v[150:151]
	ds_read2_b64 v[150:153], v180 offset0:16 offset1:17
	s_waitcnt lgkmcnt(1)
	v_mul_f64 v[120:121], v[148:149], v[122:123]
	v_fma_f64 v[120:121], v[146:147], v[144:145], -v[120:121]
	v_mul_f64 v[146:147], v[146:147], v[122:123]
	v_fmac_f64_e32 v[146:147], v[148:149], v[144:145]
	s_waitcnt vmcnt(33)
	v_add_f64 v[110:111], v[110:111], -v[146:147]
	ds_read2_b64 v[146:149], v180 offset0:18 offset1:19
	v_add_f64 v[108:109], v[108:109], -v[120:121]
	s_waitcnt lgkmcnt(1)
	v_mul_f64 v[120:121], v[152:153], v[122:123]
	v_fma_f64 v[120:121], v[150:151], v[144:145], -v[120:121]
	v_mul_f64 v[150:151], v[150:151], v[122:123]
	v_fmac_f64_e32 v[150:151], v[152:153], v[144:145]
	v_add_f64 v[104:105], v[104:105], -v[120:121]
	v_add_f64 v[106:107], v[106:107], -v[150:151]
	ds_read2_b64 v[150:153], v180 offset0:20 offset1:21
	s_waitcnt lgkmcnt(1)
	v_mul_f64 v[120:121], v[148:149], v[122:123]
	v_fma_f64 v[120:121], v[146:147], v[144:145], -v[120:121]
	v_mul_f64 v[146:147], v[146:147], v[122:123]
	v_fmac_f64_e32 v[146:147], v[148:149], v[144:145]
	s_waitcnt vmcnt(31)
	v_add_f64 v[102:103], v[102:103], -v[146:147]
	ds_read2_b64 v[146:149], v180 offset0:22 offset1:23
	v_add_f64 v[100:101], v[100:101], -v[120:121]
	s_waitcnt lgkmcnt(1)
	v_mul_f64 v[120:121], v[152:153], v[122:123]
	v_fma_f64 v[120:121], v[150:151], v[144:145], -v[120:121]
	v_mul_f64 v[150:151], v[150:151], v[122:123]
	v_fmac_f64_e32 v[150:151], v[152:153], v[144:145]
	s_waitcnt vmcnt(30)
	v_add_f64 v[96:97], v[96:97], -v[120:121]
	v_add_f64 v[98:99], v[98:99], -v[150:151]
	ds_read2_b64 v[150:153], v180 offset0:24 offset1:25
	s_waitcnt lgkmcnt(1)
	v_mul_f64 v[120:121], v[148:149], v[122:123]
	v_fma_f64 v[120:121], v[146:147], v[144:145], -v[120:121]
	v_mul_f64 v[146:147], v[146:147], v[122:123]
	v_fmac_f64_e32 v[146:147], v[148:149], v[144:145]
	s_waitcnt vmcnt(29)
	v_add_f64 v[94:95], v[94:95], -v[146:147]
	ds_read2_b64 v[146:149], v180 offset0:26 offset1:27
	v_add_f64 v[92:93], v[92:93], -v[120:121]
	s_waitcnt lgkmcnt(1)
	v_mul_f64 v[120:121], v[152:153], v[122:123]
	v_fma_f64 v[120:121], v[150:151], v[144:145], -v[120:121]
	v_mul_f64 v[150:151], v[150:151], v[122:123]
	v_fmac_f64_e32 v[150:151], v[152:153], v[144:145]
	s_waitcnt vmcnt(28)
	;; [unrolled: 18-line block ×12, first 2 shown]
	v_add_f64 v[8:9], v[8:9], -v[120:121]
	v_add_f64 v[10:11], v[10:11], -v[150:151]
	ds_read2_b64 v[150:153], v180 offset0:68 offset1:69
	s_waitcnt lgkmcnt(1)
	v_mul_f64 v[120:121], v[148:149], v[122:123]
	v_fma_f64 v[120:121], v[146:147], v[144:145], -v[120:121]
	v_mul_f64 v[146:147], v[146:147], v[122:123]
	v_fmac_f64_e32 v[146:147], v[148:149], v[144:145]
	s_waitcnt vmcnt(4)
	v_add_f64 v[6:7], v[6:7], -v[146:147]
	ds_read2_b64 v[146:149], v180 offset0:70 offset1:71
	v_add_f64 v[4:5], v[4:5], -v[120:121]
	s_waitcnt lgkmcnt(1)
	v_mul_f64 v[120:121], v[152:153], v[122:123]
	v_fma_f64 v[120:121], v[150:151], v[144:145], -v[120:121]
	s_waitcnt vmcnt(3)
	v_add_f64 v[0:1], v[0:1], -v[120:121]
	s_waitcnt lgkmcnt(0)
	v_mul_f64 v[120:121], v[148:149], v[122:123]
	v_mul_f64 v[150:151], v[150:151], v[122:123]
	v_fma_f64 v[120:121], v[146:147], v[144:145], -v[120:121]
	v_mul_f64 v[146:147], v[146:147], v[122:123]
	v_fmac_f64_e32 v[150:151], v[152:153], v[144:145]
	v_fmac_f64_e32 v[146:147], v[148:149], v[144:145]
	v_add_f64 v[2:3], v[2:3], -v[150:151]
	s_waitcnt vmcnt(2)
	v_add_f64 v[140:141], v[140:141], -v[120:121]
	v_add_f64 v[142:143], v[142:143], -v[146:147]
	v_mov_b64_e32 v[120:121], v[144:145]
.LBB71_46:
	s_or_b64 exec, exec, s[2:3]
	v_cmp_eq_u32_e32 vcc, 5, v206
	s_waitcnt lgkmcnt(0)
	s_barrier
	s_and_saveexec_b64 s[4:5], vcc
	s_cbranch_execz .LBB71_53
; %bb.47:
	s_waitcnt vmcnt(35)
	ds_write2_b64 v207, v[116:117], v[118:119] offset1:1
	s_waitcnt vmcnt(34)
	ds_write2_b64 v180, v[112:113], v[114:115] offset0:12 offset1:13
	s_waitcnt vmcnt(33)
	ds_write2_b64 v180, v[108:109], v[110:111] offset0:14 offset1:15
	ds_write2_b64 v180, v[104:105], v[106:107] offset0:16 offset1:17
	s_waitcnt vmcnt(31)
	ds_write2_b64 v180, v[100:101], v[102:103] offset0:18 offset1:19
	s_waitcnt vmcnt(30)
	;; [unrolled: 2-line block ×27, first 2 shown]
	ds_write2_b64 v180, v[140:141], v[142:143] offset0:70 offset1:71
	ds_read2_b64 v[144:147], v207 offset1:1
	s_waitcnt lgkmcnt(0)
	v_cmp_neq_f64_e32 vcc, 0, v[144:145]
	v_cmp_neq_f64_e64 s[2:3], 0, v[146:147]
	s_or_b64 s[2:3], vcc, s[2:3]
	s_and_b64 exec, exec, s[2:3]
	s_cbranch_execz .LBB71_53
; %bb.48:
	v_cmp_ngt_f64_e64 s[2:3], |v[144:145]|, |v[146:147]|
                                        ; implicit-def: $vgpr148_vgpr149
	s_and_saveexec_b64 s[10:11], s[2:3]
	s_xor_b64 s[2:3], exec, s[10:11]
                                        ; implicit-def: $vgpr150_vgpr151
	s_cbranch_execz .LBB71_50
; %bb.49:
	v_div_scale_f64 v[148:149], s[10:11], v[146:147], v[146:147], v[144:145]
	v_rcp_f64_e32 v[150:151], v[148:149]
	v_div_scale_f64 v[152:153], vcc, v[144:145], v[146:147], v[144:145]
	v_fma_f64 v[154:155], -v[148:149], v[150:151], 1.0
	v_fmac_f64_e32 v[150:151], v[150:151], v[154:155]
	v_fma_f64 v[154:155], -v[148:149], v[150:151], 1.0
	v_fmac_f64_e32 v[150:151], v[150:151], v[154:155]
	v_mul_f64 v[154:155], v[152:153], v[150:151]
	v_fma_f64 v[148:149], -v[148:149], v[154:155], v[152:153]
	v_div_fmas_f64 v[148:149], v[148:149], v[150:151], v[154:155]
	v_div_fixup_f64 v[148:149], v[148:149], v[146:147], v[144:145]
	v_fmac_f64_e32 v[146:147], v[144:145], v[148:149]
	v_div_scale_f64 v[144:145], s[10:11], v[146:147], v[146:147], 1.0
	v_rcp_f64_e32 v[150:151], v[144:145]
	s_nop 0
	v_fma_f64 v[152:153], -v[144:145], v[150:151], 1.0
	v_fmac_f64_e32 v[150:151], v[150:151], v[152:153]
	v_fma_f64 v[152:153], -v[144:145], v[150:151], 1.0
	v_fmac_f64_e32 v[150:151], v[150:151], v[152:153]
	v_div_scale_f64 v[152:153], vcc, 1.0, v[146:147], 1.0
	v_mul_f64 v[154:155], v[152:153], v[150:151]
	v_fma_f64 v[144:145], -v[144:145], v[154:155], v[152:153]
	s_nop 1
	v_div_fmas_f64 v[144:145], v[144:145], v[150:151], v[154:155]
	v_div_fixup_f64 v[150:151], v[144:145], v[146:147], 1.0
	v_mul_f64 v[148:149], v[148:149], v[150:151]
	v_xor_b32_e32 v151, 0x80000000, v151
                                        ; implicit-def: $vgpr144_vgpr145
.LBB71_50:
	s_andn2_saveexec_b64 s[2:3], s[2:3]
	s_cbranch_execz .LBB71_52
; %bb.51:
	v_div_scale_f64 v[148:149], s[10:11], v[144:145], v[144:145], v[146:147]
	v_rcp_f64_e32 v[150:151], v[148:149]
	v_div_scale_f64 v[152:153], vcc, v[146:147], v[144:145], v[146:147]
	v_fma_f64 v[154:155], -v[148:149], v[150:151], 1.0
	v_fmac_f64_e32 v[150:151], v[150:151], v[154:155]
	v_fma_f64 v[154:155], -v[148:149], v[150:151], 1.0
	v_fmac_f64_e32 v[150:151], v[150:151], v[154:155]
	v_mul_f64 v[154:155], v[152:153], v[150:151]
	v_fma_f64 v[148:149], -v[148:149], v[154:155], v[152:153]
	v_div_fmas_f64 v[148:149], v[148:149], v[150:151], v[154:155]
	v_div_fixup_f64 v[150:151], v[148:149], v[144:145], v[146:147]
	v_fmac_f64_e32 v[144:145], v[146:147], v[150:151]
	v_div_scale_f64 v[146:147], s[10:11], v[144:145], v[144:145], 1.0
	v_rcp_f64_e32 v[148:149], v[146:147]
	s_nop 0
	v_fma_f64 v[152:153], -v[146:147], v[148:149], 1.0
	v_fmac_f64_e32 v[148:149], v[148:149], v[152:153]
	v_fma_f64 v[152:153], -v[146:147], v[148:149], 1.0
	v_fmac_f64_e32 v[148:149], v[148:149], v[152:153]
	v_div_scale_f64 v[152:153], vcc, 1.0, v[144:145], 1.0
	v_mul_f64 v[154:155], v[152:153], v[148:149]
	v_fma_f64 v[146:147], -v[146:147], v[154:155], v[152:153]
	s_nop 1
	v_div_fmas_f64 v[146:147], v[146:147], v[148:149], v[154:155]
	v_div_fixup_f64 v[148:149], v[146:147], v[144:145], 1.0
	v_mul_f64 v[150:151], v[150:151], -v[148:149]
.LBB71_52:
	s_or_b64 exec, exec, s[2:3]
	ds_write2_b64 v207, v[148:149], v[150:151] offset1:1
.LBB71_53:
	s_or_b64 exec, exec, s[4:5]
	s_waitcnt lgkmcnt(0)
	s_barrier
	ds_read2_b64 v[200:203], v207 offset1:1
	v_cmp_lt_u32_e32 vcc, 5, v206
	s_and_saveexec_b64 s[2:3], vcc
	s_cbranch_execz .LBB71_55
; %bb.54:
	ds_read2_b64 v[146:149], v180 offset0:12 offset1:13
	s_waitcnt vmcnt(35) lgkmcnt(1)
	v_mul_f64 v[144:145], v[202:203], v[118:119]
	v_mul_f64 v[118:119], v[200:201], v[118:119]
	v_fmac_f64_e32 v[118:119], v[202:203], v[116:117]
	v_fma_f64 v[144:145], v[200:201], v[116:117], -v[144:145]
	s_waitcnt lgkmcnt(0)
	v_mul_f64 v[116:117], v[148:149], v[118:119]
	v_fma_f64 v[116:117], v[146:147], v[144:145], -v[116:117]
	v_mul_f64 v[146:147], v[146:147], v[118:119]
	v_fmac_f64_e32 v[146:147], v[148:149], v[144:145]
	s_waitcnt vmcnt(34)
	v_add_f64 v[114:115], v[114:115], -v[146:147]
	ds_read2_b64 v[146:149], v180 offset0:14 offset1:15
	v_add_f64 v[112:113], v[112:113], -v[116:117]
	s_waitcnt lgkmcnt(0)
	v_mul_f64 v[116:117], v[148:149], v[118:119]
	v_fma_f64 v[116:117], v[146:147], v[144:145], -v[116:117]
	v_mul_f64 v[146:147], v[146:147], v[118:119]
	v_fmac_f64_e32 v[146:147], v[148:149], v[144:145]
	s_waitcnt vmcnt(33)
	v_add_f64 v[110:111], v[110:111], -v[146:147]
	ds_read2_b64 v[146:149], v180 offset0:16 offset1:17
	v_add_f64 v[108:109], v[108:109], -v[116:117]
	s_waitcnt lgkmcnt(0)
	v_mul_f64 v[116:117], v[148:149], v[118:119]
	v_fma_f64 v[116:117], v[146:147], v[144:145], -v[116:117]
	v_mul_f64 v[146:147], v[146:147], v[118:119]
	v_fmac_f64_e32 v[146:147], v[148:149], v[144:145]
	v_add_f64 v[106:107], v[106:107], -v[146:147]
	ds_read2_b64 v[146:149], v180 offset0:18 offset1:19
	v_add_f64 v[104:105], v[104:105], -v[116:117]
	s_waitcnt lgkmcnt(0)
	v_mul_f64 v[116:117], v[148:149], v[118:119]
	v_fma_f64 v[116:117], v[146:147], v[144:145], -v[116:117]
	v_mul_f64 v[146:147], v[146:147], v[118:119]
	v_fmac_f64_e32 v[146:147], v[148:149], v[144:145]
	s_waitcnt vmcnt(31)
	v_add_f64 v[102:103], v[102:103], -v[146:147]
	ds_read2_b64 v[146:149], v180 offset0:20 offset1:21
	v_add_f64 v[100:101], v[100:101], -v[116:117]
	s_waitcnt lgkmcnt(0)
	v_mul_f64 v[116:117], v[148:149], v[118:119]
	v_fma_f64 v[116:117], v[146:147], v[144:145], -v[116:117]
	v_mul_f64 v[146:147], v[146:147], v[118:119]
	v_fmac_f64_e32 v[146:147], v[148:149], v[144:145]
	s_waitcnt vmcnt(30)
	;; [unrolled: 9-line block ×27, first 2 shown]
	v_add_f64 v[140:141], v[140:141], -v[116:117]
	v_add_f64 v[142:143], v[142:143], -v[146:147]
	v_mov_b64_e32 v[116:117], v[144:145]
.LBB71_55:
	s_or_b64 exec, exec, s[2:3]
	v_cmp_eq_u32_e32 vcc, 6, v206
	s_waitcnt lgkmcnt(0)
	s_barrier
	s_and_saveexec_b64 s[4:5], vcc
	s_cbranch_execz .LBB71_62
; %bb.56:
	s_waitcnt vmcnt(34)
	ds_write2_b64 v207, v[112:113], v[114:115] offset1:1
	s_waitcnt vmcnt(33)
	ds_write2_b64 v180, v[108:109], v[110:111] offset0:14 offset1:15
	ds_write2_b64 v180, v[104:105], v[106:107] offset0:16 offset1:17
	s_waitcnt vmcnt(31)
	ds_write2_b64 v180, v[100:101], v[102:103] offset0:18 offset1:19
	s_waitcnt vmcnt(30)
	;; [unrolled: 2-line block ×27, first 2 shown]
	ds_write2_b64 v180, v[140:141], v[142:143] offset0:70 offset1:71
	ds_read2_b64 v[144:147], v207 offset1:1
	s_waitcnt lgkmcnt(0)
	v_cmp_neq_f64_e32 vcc, 0, v[144:145]
	v_cmp_neq_f64_e64 s[2:3], 0, v[146:147]
	s_or_b64 s[2:3], vcc, s[2:3]
	s_and_b64 exec, exec, s[2:3]
	s_cbranch_execz .LBB71_62
; %bb.57:
	v_cmp_ngt_f64_e64 s[2:3], |v[144:145]|, |v[146:147]|
                                        ; implicit-def: $vgpr148_vgpr149
	s_and_saveexec_b64 s[10:11], s[2:3]
	s_xor_b64 s[2:3], exec, s[10:11]
                                        ; implicit-def: $vgpr150_vgpr151
	s_cbranch_execz .LBB71_59
; %bb.58:
	v_div_scale_f64 v[148:149], s[10:11], v[146:147], v[146:147], v[144:145]
	v_rcp_f64_e32 v[150:151], v[148:149]
	v_div_scale_f64 v[152:153], vcc, v[144:145], v[146:147], v[144:145]
	v_fma_f64 v[154:155], -v[148:149], v[150:151], 1.0
	v_fmac_f64_e32 v[150:151], v[150:151], v[154:155]
	v_fma_f64 v[154:155], -v[148:149], v[150:151], 1.0
	v_fmac_f64_e32 v[150:151], v[150:151], v[154:155]
	v_mul_f64 v[154:155], v[152:153], v[150:151]
	v_fma_f64 v[148:149], -v[148:149], v[154:155], v[152:153]
	v_div_fmas_f64 v[148:149], v[148:149], v[150:151], v[154:155]
	v_div_fixup_f64 v[148:149], v[148:149], v[146:147], v[144:145]
	v_fmac_f64_e32 v[146:147], v[144:145], v[148:149]
	v_div_scale_f64 v[144:145], s[10:11], v[146:147], v[146:147], 1.0
	v_rcp_f64_e32 v[150:151], v[144:145]
	s_nop 0
	v_fma_f64 v[152:153], -v[144:145], v[150:151], 1.0
	v_fmac_f64_e32 v[150:151], v[150:151], v[152:153]
	v_fma_f64 v[152:153], -v[144:145], v[150:151], 1.0
	v_fmac_f64_e32 v[150:151], v[150:151], v[152:153]
	v_div_scale_f64 v[152:153], vcc, 1.0, v[146:147], 1.0
	v_mul_f64 v[154:155], v[152:153], v[150:151]
	v_fma_f64 v[144:145], -v[144:145], v[154:155], v[152:153]
	s_nop 1
	v_div_fmas_f64 v[144:145], v[144:145], v[150:151], v[154:155]
	v_div_fixup_f64 v[150:151], v[144:145], v[146:147], 1.0
	v_mul_f64 v[148:149], v[148:149], v[150:151]
	v_xor_b32_e32 v151, 0x80000000, v151
                                        ; implicit-def: $vgpr144_vgpr145
.LBB71_59:
	s_andn2_saveexec_b64 s[2:3], s[2:3]
	s_cbranch_execz .LBB71_61
; %bb.60:
	v_div_scale_f64 v[148:149], s[10:11], v[144:145], v[144:145], v[146:147]
	v_rcp_f64_e32 v[150:151], v[148:149]
	v_div_scale_f64 v[152:153], vcc, v[146:147], v[144:145], v[146:147]
	v_fma_f64 v[154:155], -v[148:149], v[150:151], 1.0
	v_fmac_f64_e32 v[150:151], v[150:151], v[154:155]
	v_fma_f64 v[154:155], -v[148:149], v[150:151], 1.0
	v_fmac_f64_e32 v[150:151], v[150:151], v[154:155]
	v_mul_f64 v[154:155], v[152:153], v[150:151]
	v_fma_f64 v[148:149], -v[148:149], v[154:155], v[152:153]
	v_div_fmas_f64 v[148:149], v[148:149], v[150:151], v[154:155]
	v_div_fixup_f64 v[150:151], v[148:149], v[144:145], v[146:147]
	v_fmac_f64_e32 v[144:145], v[146:147], v[150:151]
	v_div_scale_f64 v[146:147], s[10:11], v[144:145], v[144:145], 1.0
	v_rcp_f64_e32 v[148:149], v[146:147]
	s_nop 0
	v_fma_f64 v[152:153], -v[146:147], v[148:149], 1.0
	v_fmac_f64_e32 v[148:149], v[148:149], v[152:153]
	v_fma_f64 v[152:153], -v[146:147], v[148:149], 1.0
	v_fmac_f64_e32 v[148:149], v[148:149], v[152:153]
	v_div_scale_f64 v[152:153], vcc, 1.0, v[144:145], 1.0
	v_mul_f64 v[154:155], v[152:153], v[148:149]
	v_fma_f64 v[146:147], -v[146:147], v[154:155], v[152:153]
	s_nop 1
	v_div_fmas_f64 v[146:147], v[146:147], v[148:149], v[154:155]
	v_div_fixup_f64 v[148:149], v[146:147], v[144:145], 1.0
	v_mul_f64 v[150:151], v[150:151], -v[148:149]
.LBB71_61:
	s_or_b64 exec, exec, s[2:3]
	ds_write2_b64 v207, v[148:149], v[150:151] offset1:1
.LBB71_62:
	s_or_b64 exec, exec, s[4:5]
	s_waitcnt lgkmcnt(0)
	s_barrier
	ds_read2_b64 v[144:147], v207 offset1:1
	v_cmp_lt_u32_e32 vcc, 6, v206
	s_waitcnt lgkmcnt(0)
	scratch_store_dwordx4 off, v[144:147], off offset:112 ; 16-byte Folded Spill
	s_and_saveexec_b64 s[2:3], vcc
	s_cbranch_execz .LBB71_64
; %bb.63:
	scratch_load_dwordx4 v[146:149], off, off offset:112 ; 16-byte Folded Reload
	s_waitcnt vmcnt(0)
	v_mul_f64 v[144:145], v[148:149], v[114:115]
	v_mul_f64 v[114:115], v[146:147], v[114:115]
	v_fma_f64 v[144:145], v[146:147], v[112:113], -v[144:145]
	v_fmac_f64_e32 v[114:115], v[148:149], v[112:113]
	ds_read2_b64 v[146:149], v180 offset0:14 offset1:15
	s_waitcnt lgkmcnt(0)
	v_mul_f64 v[112:113], v[148:149], v[114:115]
	v_fma_f64 v[112:113], v[146:147], v[144:145], -v[112:113]
	v_mul_f64 v[146:147], v[146:147], v[114:115]
	v_fmac_f64_e32 v[146:147], v[148:149], v[144:145]
	v_add_f64 v[110:111], v[110:111], -v[146:147]
	ds_read2_b64 v[146:149], v180 offset0:16 offset1:17
	v_add_f64 v[108:109], v[108:109], -v[112:113]
	s_waitcnt lgkmcnt(0)
	v_mul_f64 v[112:113], v[148:149], v[114:115]
	v_fma_f64 v[112:113], v[146:147], v[144:145], -v[112:113]
	v_mul_f64 v[146:147], v[146:147], v[114:115]
	v_fmac_f64_e32 v[146:147], v[148:149], v[144:145]
	v_add_f64 v[106:107], v[106:107], -v[146:147]
	ds_read2_b64 v[146:149], v180 offset0:18 offset1:19
	v_add_f64 v[104:105], v[104:105], -v[112:113]
	;; [unrolled: 8-line block ×28, first 2 shown]
	s_waitcnt lgkmcnt(0)
	v_mul_f64 v[112:113], v[148:149], v[114:115]
	v_fma_f64 v[112:113], v[146:147], v[144:145], -v[112:113]
	v_mul_f64 v[146:147], v[146:147], v[114:115]
	v_fmac_f64_e32 v[146:147], v[148:149], v[144:145]
	v_add_f64 v[140:141], v[140:141], -v[112:113]
	v_add_f64 v[142:143], v[142:143], -v[146:147]
	v_mov_b64_e32 v[112:113], v[144:145]
.LBB71_64:
	s_or_b64 exec, exec, s[2:3]
	v_cmp_eq_u32_e32 vcc, 7, v206
	s_barrier
	s_and_saveexec_b64 s[4:5], vcc
	s_cbranch_execz .LBB71_71
; %bb.65:
	s_waitcnt vmcnt(34)
	ds_write2_b64 v207, v[108:109], v[110:111] offset1:1
	ds_write2_b64 v180, v[104:105], v[106:107] offset0:16 offset1:17
	s_waitcnt vmcnt(32)
	ds_write2_b64 v180, v[100:101], v[102:103] offset0:18 offset1:19
	s_waitcnt vmcnt(31)
	;; [unrolled: 2-line block ×27, first 2 shown]
	ds_write2_b64 v180, v[140:141], v[142:143] offset0:70 offset1:71
	ds_read2_b64 v[144:147], v207 offset1:1
	s_waitcnt lgkmcnt(0)
	v_cmp_neq_f64_e32 vcc, 0, v[144:145]
	v_cmp_neq_f64_e64 s[2:3], 0, v[146:147]
	s_or_b64 s[2:3], vcc, s[2:3]
	s_and_b64 exec, exec, s[2:3]
	s_cbranch_execz .LBB71_71
; %bb.66:
	v_cmp_ngt_f64_e64 s[2:3], |v[144:145]|, |v[146:147]|
                                        ; implicit-def: $vgpr148_vgpr149
	s_and_saveexec_b64 s[10:11], s[2:3]
	s_xor_b64 s[2:3], exec, s[10:11]
                                        ; implicit-def: $vgpr150_vgpr151
	s_cbranch_execz .LBB71_68
; %bb.67:
	v_div_scale_f64 v[148:149], s[10:11], v[146:147], v[146:147], v[144:145]
	v_rcp_f64_e32 v[150:151], v[148:149]
	v_div_scale_f64 v[152:153], vcc, v[144:145], v[146:147], v[144:145]
	v_fma_f64 v[154:155], -v[148:149], v[150:151], 1.0
	v_fmac_f64_e32 v[150:151], v[150:151], v[154:155]
	v_fma_f64 v[154:155], -v[148:149], v[150:151], 1.0
	v_fmac_f64_e32 v[150:151], v[150:151], v[154:155]
	v_mul_f64 v[154:155], v[152:153], v[150:151]
	v_fma_f64 v[148:149], -v[148:149], v[154:155], v[152:153]
	v_div_fmas_f64 v[148:149], v[148:149], v[150:151], v[154:155]
	v_div_fixup_f64 v[148:149], v[148:149], v[146:147], v[144:145]
	v_fmac_f64_e32 v[146:147], v[144:145], v[148:149]
	v_div_scale_f64 v[144:145], s[10:11], v[146:147], v[146:147], 1.0
	v_rcp_f64_e32 v[150:151], v[144:145]
	s_nop 0
	v_fma_f64 v[152:153], -v[144:145], v[150:151], 1.0
	v_fmac_f64_e32 v[150:151], v[150:151], v[152:153]
	v_fma_f64 v[152:153], -v[144:145], v[150:151], 1.0
	v_fmac_f64_e32 v[150:151], v[150:151], v[152:153]
	v_div_scale_f64 v[152:153], vcc, 1.0, v[146:147], 1.0
	v_mul_f64 v[154:155], v[152:153], v[150:151]
	v_fma_f64 v[144:145], -v[144:145], v[154:155], v[152:153]
	s_nop 1
	v_div_fmas_f64 v[144:145], v[144:145], v[150:151], v[154:155]
	v_div_fixup_f64 v[150:151], v[144:145], v[146:147], 1.0
	v_mul_f64 v[148:149], v[148:149], v[150:151]
	v_xor_b32_e32 v151, 0x80000000, v151
                                        ; implicit-def: $vgpr144_vgpr145
.LBB71_68:
	s_andn2_saveexec_b64 s[2:3], s[2:3]
	s_cbranch_execz .LBB71_70
; %bb.69:
	v_div_scale_f64 v[148:149], s[10:11], v[144:145], v[144:145], v[146:147]
	v_rcp_f64_e32 v[150:151], v[148:149]
	v_div_scale_f64 v[152:153], vcc, v[146:147], v[144:145], v[146:147]
	v_fma_f64 v[154:155], -v[148:149], v[150:151], 1.0
	v_fmac_f64_e32 v[150:151], v[150:151], v[154:155]
	v_fma_f64 v[154:155], -v[148:149], v[150:151], 1.0
	v_fmac_f64_e32 v[150:151], v[150:151], v[154:155]
	v_mul_f64 v[154:155], v[152:153], v[150:151]
	v_fma_f64 v[148:149], -v[148:149], v[154:155], v[152:153]
	v_div_fmas_f64 v[148:149], v[148:149], v[150:151], v[154:155]
	v_div_fixup_f64 v[150:151], v[148:149], v[144:145], v[146:147]
	v_fmac_f64_e32 v[144:145], v[146:147], v[150:151]
	v_div_scale_f64 v[146:147], s[10:11], v[144:145], v[144:145], 1.0
	v_rcp_f64_e32 v[148:149], v[146:147]
	s_nop 0
	v_fma_f64 v[152:153], -v[146:147], v[148:149], 1.0
	v_fmac_f64_e32 v[148:149], v[148:149], v[152:153]
	v_fma_f64 v[152:153], -v[146:147], v[148:149], 1.0
	v_fmac_f64_e32 v[148:149], v[148:149], v[152:153]
	v_div_scale_f64 v[152:153], vcc, 1.0, v[144:145], 1.0
	v_mul_f64 v[154:155], v[152:153], v[148:149]
	v_fma_f64 v[146:147], -v[146:147], v[154:155], v[152:153]
	s_nop 1
	v_div_fmas_f64 v[146:147], v[146:147], v[148:149], v[154:155]
	v_div_fixup_f64 v[148:149], v[146:147], v[144:145], 1.0
	v_mul_f64 v[150:151], v[150:151], -v[148:149]
.LBB71_70:
	s_or_b64 exec, exec, s[2:3]
	ds_write2_b64 v207, v[148:149], v[150:151] offset1:1
.LBB71_71:
	s_or_b64 exec, exec, s[4:5]
	s_waitcnt lgkmcnt(0)
	s_barrier
	ds_read2_b64 v[144:147], v207 offset1:1
	v_cmp_lt_u32_e32 vcc, 7, v206
	s_waitcnt lgkmcnt(0)
	scratch_store_dwordx4 off, v[144:147], off offset:128 ; 16-byte Folded Spill
	s_and_saveexec_b64 s[2:3], vcc
	s_cbranch_execz .LBB71_73
; %bb.72:
	scratch_load_dwordx4 v[146:149], off, off offset:128 ; 16-byte Folded Reload
	s_waitcnt vmcnt(0)
	v_mul_f64 v[144:145], v[148:149], v[110:111]
	v_mul_f64 v[110:111], v[146:147], v[110:111]
	v_fma_f64 v[144:145], v[146:147], v[108:109], -v[144:145]
	v_fmac_f64_e32 v[110:111], v[148:149], v[108:109]
	ds_read2_b64 v[146:149], v180 offset0:16 offset1:17
	s_waitcnt lgkmcnt(0)
	v_mul_f64 v[108:109], v[148:149], v[110:111]
	v_fma_f64 v[108:109], v[146:147], v[144:145], -v[108:109]
	v_mul_f64 v[146:147], v[146:147], v[110:111]
	v_fmac_f64_e32 v[146:147], v[148:149], v[144:145]
	v_add_f64 v[106:107], v[106:107], -v[146:147]
	ds_read2_b64 v[146:149], v180 offset0:18 offset1:19
	v_add_f64 v[104:105], v[104:105], -v[108:109]
	s_waitcnt lgkmcnt(0)
	v_mul_f64 v[108:109], v[148:149], v[110:111]
	v_fma_f64 v[108:109], v[146:147], v[144:145], -v[108:109]
	v_mul_f64 v[146:147], v[146:147], v[110:111]
	v_fmac_f64_e32 v[146:147], v[148:149], v[144:145]
	v_add_f64 v[102:103], v[102:103], -v[146:147]
	ds_read2_b64 v[146:149], v180 offset0:20 offset1:21
	v_add_f64 v[100:101], v[100:101], -v[108:109]
	;; [unrolled: 8-line block ×27, first 2 shown]
	s_waitcnt lgkmcnt(0)
	v_mul_f64 v[108:109], v[148:149], v[110:111]
	v_fma_f64 v[108:109], v[146:147], v[144:145], -v[108:109]
	v_mul_f64 v[146:147], v[146:147], v[110:111]
	v_fmac_f64_e32 v[146:147], v[148:149], v[144:145]
	v_add_f64 v[140:141], v[140:141], -v[108:109]
	v_add_f64 v[142:143], v[142:143], -v[146:147]
	v_mov_b64_e32 v[108:109], v[144:145]
.LBB71_73:
	s_or_b64 exec, exec, s[2:3]
	v_cmp_eq_u32_e32 vcc, 8, v206
	s_barrier
	s_and_saveexec_b64 s[4:5], vcc
	s_cbranch_execz .LBB71_80
; %bb.74:
	s_waitcnt vmcnt(41)
	ds_write2_b64 v207, v[104:105], v[106:107] offset1:1
	s_waitcnt vmcnt(33)
	ds_write2_b64 v180, v[100:101], v[102:103] offset0:18 offset1:19
	s_waitcnt vmcnt(32)
	ds_write2_b64 v180, v[96:97], v[98:99] offset0:20 offset1:21
	;; [unrolled: 2-line block ×27, first 2 shown]
	ds_read2_b64 v[144:147], v207 offset1:1
	s_waitcnt lgkmcnt(0)
	v_cmp_neq_f64_e32 vcc, 0, v[144:145]
	v_cmp_neq_f64_e64 s[2:3], 0, v[146:147]
	s_or_b64 s[2:3], vcc, s[2:3]
	s_and_b64 exec, exec, s[2:3]
	s_cbranch_execz .LBB71_80
; %bb.75:
	v_cmp_ngt_f64_e64 s[2:3], |v[144:145]|, |v[146:147]|
                                        ; implicit-def: $vgpr148_vgpr149
	s_and_saveexec_b64 s[10:11], s[2:3]
	s_xor_b64 s[2:3], exec, s[10:11]
                                        ; implicit-def: $vgpr150_vgpr151
	s_cbranch_execz .LBB71_77
; %bb.76:
	v_div_scale_f64 v[148:149], s[10:11], v[146:147], v[146:147], v[144:145]
	v_rcp_f64_e32 v[150:151], v[148:149]
	v_div_scale_f64 v[152:153], vcc, v[144:145], v[146:147], v[144:145]
	v_fma_f64 v[154:155], -v[148:149], v[150:151], 1.0
	v_fmac_f64_e32 v[150:151], v[150:151], v[154:155]
	v_fma_f64 v[154:155], -v[148:149], v[150:151], 1.0
	v_fmac_f64_e32 v[150:151], v[150:151], v[154:155]
	v_mul_f64 v[154:155], v[152:153], v[150:151]
	v_fma_f64 v[148:149], -v[148:149], v[154:155], v[152:153]
	v_div_fmas_f64 v[148:149], v[148:149], v[150:151], v[154:155]
	v_div_fixup_f64 v[148:149], v[148:149], v[146:147], v[144:145]
	v_fmac_f64_e32 v[146:147], v[144:145], v[148:149]
	v_div_scale_f64 v[144:145], s[10:11], v[146:147], v[146:147], 1.0
	v_rcp_f64_e32 v[150:151], v[144:145]
	s_nop 0
	v_fma_f64 v[152:153], -v[144:145], v[150:151], 1.0
	v_fmac_f64_e32 v[150:151], v[150:151], v[152:153]
	v_fma_f64 v[152:153], -v[144:145], v[150:151], 1.0
	v_fmac_f64_e32 v[150:151], v[150:151], v[152:153]
	v_div_scale_f64 v[152:153], vcc, 1.0, v[146:147], 1.0
	v_mul_f64 v[154:155], v[152:153], v[150:151]
	v_fma_f64 v[144:145], -v[144:145], v[154:155], v[152:153]
	s_nop 1
	v_div_fmas_f64 v[144:145], v[144:145], v[150:151], v[154:155]
	v_div_fixup_f64 v[150:151], v[144:145], v[146:147], 1.0
	v_mul_f64 v[148:149], v[148:149], v[150:151]
	v_xor_b32_e32 v151, 0x80000000, v151
                                        ; implicit-def: $vgpr144_vgpr145
.LBB71_77:
	s_andn2_saveexec_b64 s[2:3], s[2:3]
	s_cbranch_execz .LBB71_79
; %bb.78:
	v_div_scale_f64 v[148:149], s[10:11], v[144:145], v[144:145], v[146:147]
	v_rcp_f64_e32 v[150:151], v[148:149]
	v_div_scale_f64 v[152:153], vcc, v[146:147], v[144:145], v[146:147]
	v_fma_f64 v[154:155], -v[148:149], v[150:151], 1.0
	v_fmac_f64_e32 v[150:151], v[150:151], v[154:155]
	v_fma_f64 v[154:155], -v[148:149], v[150:151], 1.0
	v_fmac_f64_e32 v[150:151], v[150:151], v[154:155]
	v_mul_f64 v[154:155], v[152:153], v[150:151]
	v_fma_f64 v[148:149], -v[148:149], v[154:155], v[152:153]
	v_div_fmas_f64 v[148:149], v[148:149], v[150:151], v[154:155]
	v_div_fixup_f64 v[150:151], v[148:149], v[144:145], v[146:147]
	v_fmac_f64_e32 v[144:145], v[146:147], v[150:151]
	v_div_scale_f64 v[146:147], s[10:11], v[144:145], v[144:145], 1.0
	v_rcp_f64_e32 v[148:149], v[146:147]
	s_nop 0
	v_fma_f64 v[152:153], -v[146:147], v[148:149], 1.0
	v_fmac_f64_e32 v[148:149], v[148:149], v[152:153]
	v_fma_f64 v[152:153], -v[146:147], v[148:149], 1.0
	v_fmac_f64_e32 v[148:149], v[148:149], v[152:153]
	v_div_scale_f64 v[152:153], vcc, 1.0, v[144:145], 1.0
	v_mul_f64 v[154:155], v[152:153], v[148:149]
	v_fma_f64 v[146:147], -v[146:147], v[154:155], v[152:153]
	s_nop 1
	v_div_fmas_f64 v[146:147], v[146:147], v[148:149], v[154:155]
	v_div_fixup_f64 v[148:149], v[146:147], v[144:145], 1.0
	v_mul_f64 v[150:151], v[150:151], -v[148:149]
.LBB71_79:
	s_or_b64 exec, exec, s[2:3]
	ds_write2_b64 v207, v[148:149], v[150:151] offset1:1
.LBB71_80:
	s_or_b64 exec, exec, s[4:5]
	s_waitcnt lgkmcnt(0)
	s_barrier
	ds_read2_b64 v[144:147], v207 offset1:1
	v_cmp_lt_u32_e32 vcc, 8, v206
	s_waitcnt lgkmcnt(0)
	scratch_store_dwordx4 off, v[144:147], off offset:144 ; 16-byte Folded Spill
	s_and_saveexec_b64 s[2:3], vcc
	s_cbranch_execz .LBB71_82
; %bb.81:
	scratch_load_dwordx4 v[146:149], off, off offset:144 ; 16-byte Folded Reload
	s_waitcnt vmcnt(0)
	v_mul_f64 v[144:145], v[148:149], v[106:107]
	v_mul_f64 v[106:107], v[146:147], v[106:107]
	v_fma_f64 v[144:145], v[146:147], v[104:105], -v[144:145]
	v_fmac_f64_e32 v[106:107], v[148:149], v[104:105]
	ds_read2_b64 v[146:149], v180 offset0:18 offset1:19
	s_waitcnt lgkmcnt(0)
	v_mul_f64 v[104:105], v[148:149], v[106:107]
	v_fma_f64 v[104:105], v[146:147], v[144:145], -v[104:105]
	v_mul_f64 v[146:147], v[146:147], v[106:107]
	v_fmac_f64_e32 v[146:147], v[148:149], v[144:145]
	v_add_f64 v[102:103], v[102:103], -v[146:147]
	ds_read2_b64 v[146:149], v180 offset0:20 offset1:21
	v_add_f64 v[100:101], v[100:101], -v[104:105]
	s_waitcnt lgkmcnt(0)
	v_mul_f64 v[104:105], v[148:149], v[106:107]
	v_fma_f64 v[104:105], v[146:147], v[144:145], -v[104:105]
	v_mul_f64 v[146:147], v[146:147], v[106:107]
	v_fmac_f64_e32 v[146:147], v[148:149], v[144:145]
	v_add_f64 v[98:99], v[98:99], -v[146:147]
	ds_read2_b64 v[146:149], v180 offset0:22 offset1:23
	v_add_f64 v[96:97], v[96:97], -v[104:105]
	s_waitcnt lgkmcnt(0)
	v_mul_f64 v[104:105], v[148:149], v[106:107]
	v_fma_f64 v[104:105], v[146:147], v[144:145], -v[104:105]
	v_mul_f64 v[146:147], v[146:147], v[106:107]
	v_fmac_f64_e32 v[146:147], v[148:149], v[144:145]
	v_add_f64 v[94:95], v[94:95], -v[146:147]
	ds_read2_b64 v[146:149], v180 offset0:24 offset1:25
	v_add_f64 v[92:93], v[92:93], -v[104:105]
	s_waitcnt lgkmcnt(0)
	v_mul_f64 v[104:105], v[148:149], v[106:107]
	v_fma_f64 v[104:105], v[146:147], v[144:145], -v[104:105]
	v_mul_f64 v[146:147], v[146:147], v[106:107]
	v_fmac_f64_e32 v[146:147], v[148:149], v[144:145]
	v_add_f64 v[90:91], v[90:91], -v[146:147]
	ds_read2_b64 v[146:149], v180 offset0:26 offset1:27
	v_add_f64 v[88:89], v[88:89], -v[104:105]
	s_waitcnt lgkmcnt(0)
	v_mul_f64 v[104:105], v[148:149], v[106:107]
	v_fma_f64 v[104:105], v[146:147], v[144:145], -v[104:105]
	v_mul_f64 v[146:147], v[146:147], v[106:107]
	v_fmac_f64_e32 v[146:147], v[148:149], v[144:145]
	v_add_f64 v[86:87], v[86:87], -v[146:147]
	ds_read2_b64 v[146:149], v180 offset0:28 offset1:29
	v_add_f64 v[84:85], v[84:85], -v[104:105]
	s_waitcnt lgkmcnt(0)
	v_mul_f64 v[104:105], v[148:149], v[106:107]
	v_fma_f64 v[104:105], v[146:147], v[144:145], -v[104:105]
	v_mul_f64 v[146:147], v[146:147], v[106:107]
	v_fmac_f64_e32 v[146:147], v[148:149], v[144:145]
	v_add_f64 v[82:83], v[82:83], -v[146:147]
	ds_read2_b64 v[146:149], v180 offset0:30 offset1:31
	v_add_f64 v[80:81], v[80:81], -v[104:105]
	s_waitcnt lgkmcnt(0)
	v_mul_f64 v[104:105], v[148:149], v[106:107]
	v_fma_f64 v[104:105], v[146:147], v[144:145], -v[104:105]
	v_mul_f64 v[146:147], v[146:147], v[106:107]
	v_fmac_f64_e32 v[146:147], v[148:149], v[144:145]
	v_add_f64 v[78:79], v[78:79], -v[146:147]
	ds_read2_b64 v[146:149], v180 offset0:32 offset1:33
	v_add_f64 v[76:77], v[76:77], -v[104:105]
	s_waitcnt lgkmcnt(0)
	v_mul_f64 v[104:105], v[148:149], v[106:107]
	v_fma_f64 v[104:105], v[146:147], v[144:145], -v[104:105]
	v_mul_f64 v[146:147], v[146:147], v[106:107]
	v_fmac_f64_e32 v[146:147], v[148:149], v[144:145]
	v_add_f64 v[74:75], v[74:75], -v[146:147]
	ds_read2_b64 v[146:149], v180 offset0:34 offset1:35
	v_add_f64 v[72:73], v[72:73], -v[104:105]
	s_waitcnt lgkmcnt(0)
	v_mul_f64 v[104:105], v[148:149], v[106:107]
	v_fma_f64 v[104:105], v[146:147], v[144:145], -v[104:105]
	v_mul_f64 v[146:147], v[146:147], v[106:107]
	v_fmac_f64_e32 v[146:147], v[148:149], v[144:145]
	v_add_f64 v[70:71], v[70:71], -v[146:147]
	ds_read2_b64 v[146:149], v180 offset0:36 offset1:37
	v_add_f64 v[68:69], v[68:69], -v[104:105]
	s_waitcnt lgkmcnt(0)
	v_mul_f64 v[104:105], v[148:149], v[106:107]
	v_fma_f64 v[104:105], v[146:147], v[144:145], -v[104:105]
	v_mul_f64 v[146:147], v[146:147], v[106:107]
	v_fmac_f64_e32 v[146:147], v[148:149], v[144:145]
	v_add_f64 v[66:67], v[66:67], -v[146:147]
	ds_read2_b64 v[146:149], v180 offset0:38 offset1:39
	v_add_f64 v[64:65], v[64:65], -v[104:105]
	s_waitcnt lgkmcnt(0)
	v_mul_f64 v[104:105], v[148:149], v[106:107]
	v_fma_f64 v[104:105], v[146:147], v[144:145], -v[104:105]
	v_mul_f64 v[146:147], v[146:147], v[106:107]
	v_fmac_f64_e32 v[146:147], v[148:149], v[144:145]
	v_add_f64 v[62:63], v[62:63], -v[146:147]
	ds_read2_b64 v[146:149], v180 offset0:40 offset1:41
	v_add_f64 v[60:61], v[60:61], -v[104:105]
	s_waitcnt lgkmcnt(0)
	v_mul_f64 v[104:105], v[148:149], v[106:107]
	v_fma_f64 v[104:105], v[146:147], v[144:145], -v[104:105]
	v_mul_f64 v[146:147], v[146:147], v[106:107]
	v_fmac_f64_e32 v[146:147], v[148:149], v[144:145]
	v_add_f64 v[58:59], v[58:59], -v[146:147]
	ds_read2_b64 v[146:149], v180 offset0:42 offset1:43
	v_add_f64 v[56:57], v[56:57], -v[104:105]
	s_waitcnt lgkmcnt(0)
	v_mul_f64 v[104:105], v[148:149], v[106:107]
	v_fma_f64 v[104:105], v[146:147], v[144:145], -v[104:105]
	v_mul_f64 v[146:147], v[146:147], v[106:107]
	v_fmac_f64_e32 v[146:147], v[148:149], v[144:145]
	v_add_f64 v[54:55], v[54:55], -v[146:147]
	ds_read2_b64 v[146:149], v180 offset0:44 offset1:45
	v_add_f64 v[52:53], v[52:53], -v[104:105]
	s_waitcnt lgkmcnt(0)
	v_mul_f64 v[104:105], v[148:149], v[106:107]
	v_fma_f64 v[104:105], v[146:147], v[144:145], -v[104:105]
	v_mul_f64 v[146:147], v[146:147], v[106:107]
	v_fmac_f64_e32 v[146:147], v[148:149], v[144:145]
	v_add_f64 v[50:51], v[50:51], -v[146:147]
	ds_read2_b64 v[146:149], v180 offset0:46 offset1:47
	v_add_f64 v[48:49], v[48:49], -v[104:105]
	s_waitcnt lgkmcnt(0)
	v_mul_f64 v[104:105], v[148:149], v[106:107]
	v_fma_f64 v[104:105], v[146:147], v[144:145], -v[104:105]
	v_mul_f64 v[146:147], v[146:147], v[106:107]
	v_fmac_f64_e32 v[146:147], v[148:149], v[144:145]
	v_add_f64 v[46:47], v[46:47], -v[146:147]
	ds_read2_b64 v[146:149], v180 offset0:48 offset1:49
	v_add_f64 v[44:45], v[44:45], -v[104:105]
	s_waitcnt lgkmcnt(0)
	v_mul_f64 v[104:105], v[148:149], v[106:107]
	v_fma_f64 v[104:105], v[146:147], v[144:145], -v[104:105]
	v_mul_f64 v[146:147], v[146:147], v[106:107]
	v_fmac_f64_e32 v[146:147], v[148:149], v[144:145]
	v_add_f64 v[42:43], v[42:43], -v[146:147]
	ds_read2_b64 v[146:149], v180 offset0:50 offset1:51
	v_add_f64 v[40:41], v[40:41], -v[104:105]
	s_waitcnt lgkmcnt(0)
	v_mul_f64 v[104:105], v[148:149], v[106:107]
	v_fma_f64 v[104:105], v[146:147], v[144:145], -v[104:105]
	v_mul_f64 v[146:147], v[146:147], v[106:107]
	v_fmac_f64_e32 v[146:147], v[148:149], v[144:145]
	v_add_f64 v[38:39], v[38:39], -v[146:147]
	ds_read2_b64 v[146:149], v180 offset0:52 offset1:53
	v_add_f64 v[36:37], v[36:37], -v[104:105]
	s_waitcnt lgkmcnt(0)
	v_mul_f64 v[104:105], v[148:149], v[106:107]
	v_fma_f64 v[104:105], v[146:147], v[144:145], -v[104:105]
	v_mul_f64 v[146:147], v[146:147], v[106:107]
	v_fmac_f64_e32 v[146:147], v[148:149], v[144:145]
	v_add_f64 v[34:35], v[34:35], -v[146:147]
	ds_read2_b64 v[146:149], v180 offset0:54 offset1:55
	v_add_f64 v[32:33], v[32:33], -v[104:105]
	s_waitcnt lgkmcnt(0)
	v_mul_f64 v[104:105], v[148:149], v[106:107]
	v_fma_f64 v[104:105], v[146:147], v[144:145], -v[104:105]
	v_mul_f64 v[146:147], v[146:147], v[106:107]
	v_fmac_f64_e32 v[146:147], v[148:149], v[144:145]
	v_add_f64 v[30:31], v[30:31], -v[146:147]
	ds_read2_b64 v[146:149], v180 offset0:56 offset1:57
	v_add_f64 v[28:29], v[28:29], -v[104:105]
	s_waitcnt lgkmcnt(0)
	v_mul_f64 v[104:105], v[148:149], v[106:107]
	v_fma_f64 v[104:105], v[146:147], v[144:145], -v[104:105]
	v_mul_f64 v[146:147], v[146:147], v[106:107]
	v_fmac_f64_e32 v[146:147], v[148:149], v[144:145]
	v_add_f64 v[26:27], v[26:27], -v[146:147]
	ds_read2_b64 v[146:149], v180 offset0:58 offset1:59
	v_add_f64 v[24:25], v[24:25], -v[104:105]
	s_waitcnt lgkmcnt(0)
	v_mul_f64 v[104:105], v[148:149], v[106:107]
	v_fma_f64 v[104:105], v[146:147], v[144:145], -v[104:105]
	v_mul_f64 v[146:147], v[146:147], v[106:107]
	v_fmac_f64_e32 v[146:147], v[148:149], v[144:145]
	v_add_f64 v[22:23], v[22:23], -v[146:147]
	ds_read2_b64 v[146:149], v180 offset0:60 offset1:61
	v_add_f64 v[20:21], v[20:21], -v[104:105]
	s_waitcnt lgkmcnt(0)
	v_mul_f64 v[104:105], v[148:149], v[106:107]
	v_fma_f64 v[104:105], v[146:147], v[144:145], -v[104:105]
	v_mul_f64 v[146:147], v[146:147], v[106:107]
	v_fmac_f64_e32 v[146:147], v[148:149], v[144:145]
	v_add_f64 v[18:19], v[18:19], -v[146:147]
	ds_read2_b64 v[146:149], v180 offset0:62 offset1:63
	v_add_f64 v[16:17], v[16:17], -v[104:105]
	s_waitcnt lgkmcnt(0)
	v_mul_f64 v[104:105], v[148:149], v[106:107]
	v_fma_f64 v[104:105], v[146:147], v[144:145], -v[104:105]
	v_mul_f64 v[146:147], v[146:147], v[106:107]
	v_fmac_f64_e32 v[146:147], v[148:149], v[144:145]
	v_add_f64 v[14:15], v[14:15], -v[146:147]
	ds_read2_b64 v[146:149], v180 offset0:64 offset1:65
	v_add_f64 v[12:13], v[12:13], -v[104:105]
	s_waitcnt lgkmcnt(0)
	v_mul_f64 v[104:105], v[148:149], v[106:107]
	v_fma_f64 v[104:105], v[146:147], v[144:145], -v[104:105]
	v_mul_f64 v[146:147], v[146:147], v[106:107]
	v_fmac_f64_e32 v[146:147], v[148:149], v[144:145]
	v_add_f64 v[10:11], v[10:11], -v[146:147]
	ds_read2_b64 v[146:149], v180 offset0:66 offset1:67
	v_add_f64 v[8:9], v[8:9], -v[104:105]
	s_waitcnt lgkmcnt(0)
	v_mul_f64 v[104:105], v[148:149], v[106:107]
	v_fma_f64 v[104:105], v[146:147], v[144:145], -v[104:105]
	v_mul_f64 v[146:147], v[146:147], v[106:107]
	v_fmac_f64_e32 v[146:147], v[148:149], v[144:145]
	v_add_f64 v[6:7], v[6:7], -v[146:147]
	ds_read2_b64 v[146:149], v180 offset0:68 offset1:69
	v_add_f64 v[4:5], v[4:5], -v[104:105]
	s_waitcnt lgkmcnt(0)
	v_mul_f64 v[104:105], v[148:149], v[106:107]
	v_fma_f64 v[104:105], v[146:147], v[144:145], -v[104:105]
	v_mul_f64 v[146:147], v[146:147], v[106:107]
	v_fmac_f64_e32 v[146:147], v[148:149], v[144:145]
	v_add_f64 v[2:3], v[2:3], -v[146:147]
	ds_read2_b64 v[146:149], v180 offset0:70 offset1:71
	v_add_f64 v[0:1], v[0:1], -v[104:105]
	s_waitcnt lgkmcnt(0)
	v_mul_f64 v[104:105], v[148:149], v[106:107]
	v_fma_f64 v[104:105], v[146:147], v[144:145], -v[104:105]
	v_mul_f64 v[146:147], v[146:147], v[106:107]
	v_fmac_f64_e32 v[146:147], v[148:149], v[144:145]
	v_add_f64 v[140:141], v[140:141], -v[104:105]
	v_add_f64 v[142:143], v[142:143], -v[146:147]
	v_mov_b64_e32 v[104:105], v[144:145]
.LBB71_82:
	s_or_b64 exec, exec, s[2:3]
	v_cmp_eq_u32_e32 vcc, 9, v206
	s_barrier
	s_and_saveexec_b64 s[4:5], vcc
	s_cbranch_execz .LBB71_89
; %bb.83:
	s_waitcnt vmcnt(34)
	ds_write2_b64 v207, v[100:101], v[102:103] offset1:1
	s_waitcnt vmcnt(33)
	ds_write2_b64 v180, v[96:97], v[98:99] offset0:20 offset1:21
	s_waitcnt vmcnt(32)
	ds_write2_b64 v180, v[92:93], v[94:95] offset0:22 offset1:23
	;; [unrolled: 2-line block ×26, first 2 shown]
	ds_read2_b64 v[144:147], v207 offset1:1
	s_waitcnt lgkmcnt(0)
	v_cmp_neq_f64_e32 vcc, 0, v[144:145]
	v_cmp_neq_f64_e64 s[2:3], 0, v[146:147]
	s_or_b64 s[2:3], vcc, s[2:3]
	s_and_b64 exec, exec, s[2:3]
	s_cbranch_execz .LBB71_89
; %bb.84:
	v_cmp_ngt_f64_e64 s[2:3], |v[144:145]|, |v[146:147]|
                                        ; implicit-def: $vgpr148_vgpr149
	s_and_saveexec_b64 s[10:11], s[2:3]
	s_xor_b64 s[2:3], exec, s[10:11]
                                        ; implicit-def: $vgpr150_vgpr151
	s_cbranch_execz .LBB71_86
; %bb.85:
	v_div_scale_f64 v[148:149], s[10:11], v[146:147], v[146:147], v[144:145]
	v_rcp_f64_e32 v[150:151], v[148:149]
	v_div_scale_f64 v[152:153], vcc, v[144:145], v[146:147], v[144:145]
	v_fma_f64 v[154:155], -v[148:149], v[150:151], 1.0
	v_fmac_f64_e32 v[150:151], v[150:151], v[154:155]
	v_fma_f64 v[154:155], -v[148:149], v[150:151], 1.0
	v_fmac_f64_e32 v[150:151], v[150:151], v[154:155]
	v_mul_f64 v[154:155], v[152:153], v[150:151]
	v_fma_f64 v[148:149], -v[148:149], v[154:155], v[152:153]
	v_div_fmas_f64 v[148:149], v[148:149], v[150:151], v[154:155]
	v_div_fixup_f64 v[148:149], v[148:149], v[146:147], v[144:145]
	v_fmac_f64_e32 v[146:147], v[144:145], v[148:149]
	v_div_scale_f64 v[144:145], s[10:11], v[146:147], v[146:147], 1.0
	v_rcp_f64_e32 v[150:151], v[144:145]
	s_nop 0
	v_fma_f64 v[152:153], -v[144:145], v[150:151], 1.0
	v_fmac_f64_e32 v[150:151], v[150:151], v[152:153]
	v_fma_f64 v[152:153], -v[144:145], v[150:151], 1.0
	v_fmac_f64_e32 v[150:151], v[150:151], v[152:153]
	v_div_scale_f64 v[152:153], vcc, 1.0, v[146:147], 1.0
	v_mul_f64 v[154:155], v[152:153], v[150:151]
	v_fma_f64 v[144:145], -v[144:145], v[154:155], v[152:153]
	s_nop 1
	v_div_fmas_f64 v[144:145], v[144:145], v[150:151], v[154:155]
	v_div_fixup_f64 v[150:151], v[144:145], v[146:147], 1.0
	v_mul_f64 v[148:149], v[148:149], v[150:151]
	v_xor_b32_e32 v151, 0x80000000, v151
                                        ; implicit-def: $vgpr144_vgpr145
.LBB71_86:
	s_andn2_saveexec_b64 s[2:3], s[2:3]
	s_cbranch_execz .LBB71_88
; %bb.87:
	v_div_scale_f64 v[148:149], s[10:11], v[144:145], v[144:145], v[146:147]
	v_rcp_f64_e32 v[150:151], v[148:149]
	v_div_scale_f64 v[152:153], vcc, v[146:147], v[144:145], v[146:147]
	v_fma_f64 v[154:155], -v[148:149], v[150:151], 1.0
	v_fmac_f64_e32 v[150:151], v[150:151], v[154:155]
	v_fma_f64 v[154:155], -v[148:149], v[150:151], 1.0
	v_fmac_f64_e32 v[150:151], v[150:151], v[154:155]
	v_mul_f64 v[154:155], v[152:153], v[150:151]
	v_fma_f64 v[148:149], -v[148:149], v[154:155], v[152:153]
	v_div_fmas_f64 v[148:149], v[148:149], v[150:151], v[154:155]
	v_div_fixup_f64 v[150:151], v[148:149], v[144:145], v[146:147]
	v_fmac_f64_e32 v[144:145], v[146:147], v[150:151]
	v_div_scale_f64 v[146:147], s[10:11], v[144:145], v[144:145], 1.0
	v_rcp_f64_e32 v[148:149], v[146:147]
	s_nop 0
	v_fma_f64 v[152:153], -v[146:147], v[148:149], 1.0
	v_fmac_f64_e32 v[148:149], v[148:149], v[152:153]
	v_fma_f64 v[152:153], -v[146:147], v[148:149], 1.0
	v_fmac_f64_e32 v[148:149], v[148:149], v[152:153]
	v_div_scale_f64 v[152:153], vcc, 1.0, v[144:145], 1.0
	v_mul_f64 v[154:155], v[152:153], v[148:149]
	v_fma_f64 v[146:147], -v[146:147], v[154:155], v[152:153]
	s_nop 1
	v_div_fmas_f64 v[146:147], v[146:147], v[148:149], v[154:155]
	v_div_fixup_f64 v[148:149], v[146:147], v[144:145], 1.0
	v_mul_f64 v[150:151], v[150:151], -v[148:149]
.LBB71_88:
	s_or_b64 exec, exec, s[2:3]
	ds_write2_b64 v207, v[148:149], v[150:151] offset1:1
.LBB71_89:
	s_or_b64 exec, exec, s[4:5]
	s_waitcnt lgkmcnt(0)
	s_barrier
	ds_read2_b64 v[144:147], v207 offset1:1
	v_cmp_lt_u32_e32 vcc, 9, v206
	s_waitcnt lgkmcnt(0)
	scratch_store_dwordx4 off, v[144:147], off offset:160 ; 16-byte Folded Spill
	s_and_saveexec_b64 s[2:3], vcc
	s_cbranch_execz .LBB71_91
; %bb.90:
	scratch_load_dwordx4 v[146:149], off, off offset:160 ; 16-byte Folded Reload
	s_waitcnt vmcnt(0)
	v_mul_f64 v[144:145], v[148:149], v[102:103]
	v_mul_f64 v[102:103], v[146:147], v[102:103]
	v_fma_f64 v[144:145], v[146:147], v[100:101], -v[144:145]
	v_fmac_f64_e32 v[102:103], v[148:149], v[100:101]
	ds_read2_b64 v[146:149], v180 offset0:20 offset1:21
	s_waitcnt lgkmcnt(0)
	v_mul_f64 v[100:101], v[148:149], v[102:103]
	v_fma_f64 v[100:101], v[146:147], v[144:145], -v[100:101]
	v_mul_f64 v[146:147], v[146:147], v[102:103]
	v_fmac_f64_e32 v[146:147], v[148:149], v[144:145]
	v_add_f64 v[98:99], v[98:99], -v[146:147]
	ds_read2_b64 v[146:149], v180 offset0:22 offset1:23
	v_add_f64 v[96:97], v[96:97], -v[100:101]
	s_waitcnt lgkmcnt(0)
	v_mul_f64 v[100:101], v[148:149], v[102:103]
	v_fma_f64 v[100:101], v[146:147], v[144:145], -v[100:101]
	v_mul_f64 v[146:147], v[146:147], v[102:103]
	v_fmac_f64_e32 v[146:147], v[148:149], v[144:145]
	v_add_f64 v[94:95], v[94:95], -v[146:147]
	ds_read2_b64 v[146:149], v180 offset0:24 offset1:25
	v_add_f64 v[92:93], v[92:93], -v[100:101]
	;; [unrolled: 8-line block ×25, first 2 shown]
	s_waitcnt lgkmcnt(0)
	v_mul_f64 v[100:101], v[148:149], v[102:103]
	v_fma_f64 v[100:101], v[146:147], v[144:145], -v[100:101]
	v_mul_f64 v[146:147], v[146:147], v[102:103]
	v_fmac_f64_e32 v[146:147], v[148:149], v[144:145]
	v_add_f64 v[140:141], v[140:141], -v[100:101]
	v_add_f64 v[142:143], v[142:143], -v[146:147]
	v_mov_b64_e32 v[100:101], v[144:145]
.LBB71_91:
	s_or_b64 exec, exec, s[2:3]
	v_cmp_eq_u32_e32 vcc, 10, v206
	s_barrier
	s_and_saveexec_b64 s[4:5], vcc
	s_cbranch_execz .LBB71_98
; %bb.92:
	s_waitcnt vmcnt(34)
	ds_write2_b64 v207, v[96:97], v[98:99] offset1:1
	s_waitcnt vmcnt(33)
	ds_write2_b64 v180, v[92:93], v[94:95] offset0:22 offset1:23
	s_waitcnt vmcnt(32)
	ds_write2_b64 v180, v[88:89], v[90:91] offset0:24 offset1:25
	s_waitcnt vmcnt(28)
	ds_write2_b64 v180, v[84:85], v[86:87] offset0:26 offset1:27
	s_waitcnt vmcnt(27)
	ds_write2_b64 v180, v[80:81], v[82:83] offset0:28 offset1:29
	s_waitcnt vmcnt(26)
	ds_write2_b64 v180, v[76:77], v[78:79] offset0:30 offset1:31
	s_waitcnt vmcnt(25)
	ds_write2_b64 v180, v[72:73], v[74:75] offset0:32 offset1:33
	s_waitcnt vmcnt(24)
	ds_write2_b64 v180, v[68:69], v[70:71] offset0:34 offset1:35
	s_waitcnt vmcnt(23)
	ds_write2_b64 v180, v[64:65], v[66:67] offset0:36 offset1:37
	s_waitcnt vmcnt(22)
	ds_write2_b64 v180, v[60:61], v[62:63] offset0:38 offset1:39
	s_waitcnt vmcnt(21)
	ds_write2_b64 v180, v[56:57], v[58:59] offset0:40 offset1:41
	s_waitcnt vmcnt(20)
	ds_write2_b64 v180, v[52:53], v[54:55] offset0:42 offset1:43
	s_waitcnt vmcnt(19)
	ds_write2_b64 v180, v[48:49], v[50:51] offset0:44 offset1:45
	s_waitcnt vmcnt(18)
	ds_write2_b64 v180, v[44:45], v[46:47] offset0:46 offset1:47
	s_waitcnt vmcnt(17)
	ds_write2_b64 v180, v[40:41], v[42:43] offset0:48 offset1:49
	s_waitcnt vmcnt(16)
	ds_write2_b64 v180, v[36:37], v[38:39] offset0:50 offset1:51
	s_waitcnt vmcnt(15)
	ds_write2_b64 v180, v[32:33], v[34:35] offset0:52 offset1:53
	s_waitcnt vmcnt(14)
	ds_write2_b64 v180, v[28:29], v[30:31] offset0:54 offset1:55
	s_waitcnt vmcnt(13)
	ds_write2_b64 v180, v[24:25], v[26:27] offset0:56 offset1:57
	s_waitcnt vmcnt(12)
	ds_write2_b64 v180, v[20:21], v[22:23] offset0:58 offset1:59
	s_waitcnt vmcnt(11)
	ds_write2_b64 v180, v[16:17], v[18:19] offset0:60 offset1:61
	s_waitcnt vmcnt(10)
	ds_write2_b64 v180, v[12:13], v[14:15] offset0:62 offset1:63
	s_waitcnt vmcnt(9)
	ds_write2_b64 v180, v[8:9], v[10:11] offset0:64 offset1:65
	s_waitcnt vmcnt(8)
	ds_write2_b64 v180, v[4:5], v[6:7] offset0:66 offset1:67
	s_waitcnt vmcnt(7)
	ds_write2_b64 v180, v[0:1], v[2:3] offset0:68 offset1:69
	s_waitcnt vmcnt(6)
	ds_write2_b64 v180, v[140:141], v[142:143] offset0:70 offset1:71
	ds_read2_b64 v[144:147], v207 offset1:1
	s_waitcnt lgkmcnt(0)
	v_cmp_neq_f64_e32 vcc, 0, v[144:145]
	v_cmp_neq_f64_e64 s[2:3], 0, v[146:147]
	s_or_b64 s[2:3], vcc, s[2:3]
	s_and_b64 exec, exec, s[2:3]
	s_cbranch_execz .LBB71_98
; %bb.93:
	v_cmp_ngt_f64_e64 s[2:3], |v[144:145]|, |v[146:147]|
                                        ; implicit-def: $vgpr148_vgpr149
	s_and_saveexec_b64 s[10:11], s[2:3]
	s_xor_b64 s[2:3], exec, s[10:11]
                                        ; implicit-def: $vgpr150_vgpr151
	s_cbranch_execz .LBB71_95
; %bb.94:
	v_div_scale_f64 v[148:149], s[10:11], v[146:147], v[146:147], v[144:145]
	v_rcp_f64_e32 v[150:151], v[148:149]
	v_div_scale_f64 v[152:153], vcc, v[144:145], v[146:147], v[144:145]
	v_fma_f64 v[154:155], -v[148:149], v[150:151], 1.0
	v_fmac_f64_e32 v[150:151], v[150:151], v[154:155]
	v_fma_f64 v[154:155], -v[148:149], v[150:151], 1.0
	v_fmac_f64_e32 v[150:151], v[150:151], v[154:155]
	v_mul_f64 v[154:155], v[152:153], v[150:151]
	v_fma_f64 v[148:149], -v[148:149], v[154:155], v[152:153]
	v_div_fmas_f64 v[148:149], v[148:149], v[150:151], v[154:155]
	v_div_fixup_f64 v[148:149], v[148:149], v[146:147], v[144:145]
	v_fmac_f64_e32 v[146:147], v[144:145], v[148:149]
	v_div_scale_f64 v[144:145], s[10:11], v[146:147], v[146:147], 1.0
	v_rcp_f64_e32 v[150:151], v[144:145]
	s_nop 0
	v_fma_f64 v[152:153], -v[144:145], v[150:151], 1.0
	v_fmac_f64_e32 v[150:151], v[150:151], v[152:153]
	v_fma_f64 v[152:153], -v[144:145], v[150:151], 1.0
	v_fmac_f64_e32 v[150:151], v[150:151], v[152:153]
	v_div_scale_f64 v[152:153], vcc, 1.0, v[146:147], 1.0
	v_mul_f64 v[154:155], v[152:153], v[150:151]
	v_fma_f64 v[144:145], -v[144:145], v[154:155], v[152:153]
	s_nop 1
	v_div_fmas_f64 v[144:145], v[144:145], v[150:151], v[154:155]
	v_div_fixup_f64 v[150:151], v[144:145], v[146:147], 1.0
	v_mul_f64 v[148:149], v[148:149], v[150:151]
	v_xor_b32_e32 v151, 0x80000000, v151
                                        ; implicit-def: $vgpr144_vgpr145
.LBB71_95:
	s_andn2_saveexec_b64 s[2:3], s[2:3]
	s_cbranch_execz .LBB71_97
; %bb.96:
	v_div_scale_f64 v[148:149], s[10:11], v[144:145], v[144:145], v[146:147]
	v_rcp_f64_e32 v[150:151], v[148:149]
	v_div_scale_f64 v[152:153], vcc, v[146:147], v[144:145], v[146:147]
	v_fma_f64 v[154:155], -v[148:149], v[150:151], 1.0
	v_fmac_f64_e32 v[150:151], v[150:151], v[154:155]
	v_fma_f64 v[154:155], -v[148:149], v[150:151], 1.0
	v_fmac_f64_e32 v[150:151], v[150:151], v[154:155]
	v_mul_f64 v[154:155], v[152:153], v[150:151]
	v_fma_f64 v[148:149], -v[148:149], v[154:155], v[152:153]
	v_div_fmas_f64 v[148:149], v[148:149], v[150:151], v[154:155]
	v_div_fixup_f64 v[150:151], v[148:149], v[144:145], v[146:147]
	v_fmac_f64_e32 v[144:145], v[146:147], v[150:151]
	v_div_scale_f64 v[146:147], s[10:11], v[144:145], v[144:145], 1.0
	v_rcp_f64_e32 v[148:149], v[146:147]
	s_nop 0
	v_fma_f64 v[152:153], -v[146:147], v[148:149], 1.0
	v_fmac_f64_e32 v[148:149], v[148:149], v[152:153]
	v_fma_f64 v[152:153], -v[146:147], v[148:149], 1.0
	v_fmac_f64_e32 v[148:149], v[148:149], v[152:153]
	v_div_scale_f64 v[152:153], vcc, 1.0, v[144:145], 1.0
	v_mul_f64 v[154:155], v[152:153], v[148:149]
	v_fma_f64 v[146:147], -v[146:147], v[154:155], v[152:153]
	s_nop 1
	v_div_fmas_f64 v[146:147], v[146:147], v[148:149], v[154:155]
	v_div_fixup_f64 v[148:149], v[146:147], v[144:145], 1.0
	v_mul_f64 v[150:151], v[150:151], -v[148:149]
.LBB71_97:
	s_or_b64 exec, exec, s[2:3]
	ds_write2_b64 v207, v[148:149], v[150:151] offset1:1
.LBB71_98:
	s_or_b64 exec, exec, s[4:5]
	s_waitcnt lgkmcnt(0)
	s_barrier
	ds_read2_b64 v[144:147], v207 offset1:1
	v_cmp_lt_u32_e32 vcc, 10, v206
	s_waitcnt lgkmcnt(0)
	scratch_store_dwordx4 off, v[144:147], off offset:176 ; 16-byte Folded Spill
	s_and_saveexec_b64 s[2:3], vcc
	s_cbranch_execz .LBB71_100
; %bb.99:
	scratch_load_dwordx4 v[146:149], off, off offset:176 ; 16-byte Folded Reload
	s_waitcnt vmcnt(0)
	v_mul_f64 v[144:145], v[148:149], v[98:99]
	v_mul_f64 v[98:99], v[146:147], v[98:99]
	v_fma_f64 v[144:145], v[146:147], v[96:97], -v[144:145]
	v_fmac_f64_e32 v[98:99], v[148:149], v[96:97]
	ds_read2_b64 v[146:149], v180 offset0:22 offset1:23
	s_waitcnt lgkmcnt(0)
	v_mul_f64 v[96:97], v[148:149], v[98:99]
	v_fma_f64 v[96:97], v[146:147], v[144:145], -v[96:97]
	v_mul_f64 v[146:147], v[146:147], v[98:99]
	v_fmac_f64_e32 v[146:147], v[148:149], v[144:145]
	v_add_f64 v[94:95], v[94:95], -v[146:147]
	ds_read2_b64 v[146:149], v180 offset0:24 offset1:25
	v_add_f64 v[92:93], v[92:93], -v[96:97]
	s_waitcnt lgkmcnt(0)
	v_mul_f64 v[96:97], v[148:149], v[98:99]
	v_fma_f64 v[96:97], v[146:147], v[144:145], -v[96:97]
	v_mul_f64 v[146:147], v[146:147], v[98:99]
	v_fmac_f64_e32 v[146:147], v[148:149], v[144:145]
	v_add_f64 v[90:91], v[90:91], -v[146:147]
	ds_read2_b64 v[146:149], v180 offset0:26 offset1:27
	v_add_f64 v[88:89], v[88:89], -v[96:97]
	;; [unrolled: 8-line block ×24, first 2 shown]
	s_waitcnt lgkmcnt(0)
	v_mul_f64 v[96:97], v[148:149], v[98:99]
	v_fma_f64 v[96:97], v[146:147], v[144:145], -v[96:97]
	v_mul_f64 v[146:147], v[146:147], v[98:99]
	v_fmac_f64_e32 v[146:147], v[148:149], v[144:145]
	v_add_f64 v[140:141], v[140:141], -v[96:97]
	v_add_f64 v[142:143], v[142:143], -v[146:147]
	v_mov_b64_e32 v[96:97], v[144:145]
.LBB71_100:
	s_or_b64 exec, exec, s[2:3]
	v_cmp_eq_u32_e32 vcc, 11, v206
	s_barrier
	s_and_saveexec_b64 s[4:5], vcc
	s_cbranch_execz .LBB71_107
; %bb.101:
	s_waitcnt vmcnt(34)
	ds_write2_b64 v207, v[92:93], v[94:95] offset1:1
	s_waitcnt vmcnt(33)
	ds_write2_b64 v180, v[88:89], v[90:91] offset0:24 offset1:25
	s_waitcnt vmcnt(29)
	ds_write2_b64 v180, v[84:85], v[86:87] offset0:26 offset1:27
	;; [unrolled: 2-line block ×24, first 2 shown]
	ds_read2_b64 v[144:147], v207 offset1:1
	s_waitcnt lgkmcnt(0)
	v_cmp_neq_f64_e32 vcc, 0, v[144:145]
	v_cmp_neq_f64_e64 s[2:3], 0, v[146:147]
	s_or_b64 s[2:3], vcc, s[2:3]
	s_and_b64 exec, exec, s[2:3]
	s_cbranch_execz .LBB71_107
; %bb.102:
	v_cmp_ngt_f64_e64 s[2:3], |v[144:145]|, |v[146:147]|
                                        ; implicit-def: $vgpr148_vgpr149
	s_and_saveexec_b64 s[10:11], s[2:3]
	s_xor_b64 s[2:3], exec, s[10:11]
                                        ; implicit-def: $vgpr150_vgpr151
	s_cbranch_execz .LBB71_104
; %bb.103:
	v_div_scale_f64 v[148:149], s[10:11], v[146:147], v[146:147], v[144:145]
	v_rcp_f64_e32 v[150:151], v[148:149]
	v_div_scale_f64 v[152:153], vcc, v[144:145], v[146:147], v[144:145]
	v_fma_f64 v[154:155], -v[148:149], v[150:151], 1.0
	v_fmac_f64_e32 v[150:151], v[150:151], v[154:155]
	v_fma_f64 v[154:155], -v[148:149], v[150:151], 1.0
	v_fmac_f64_e32 v[150:151], v[150:151], v[154:155]
	v_mul_f64 v[154:155], v[152:153], v[150:151]
	v_fma_f64 v[148:149], -v[148:149], v[154:155], v[152:153]
	v_div_fmas_f64 v[148:149], v[148:149], v[150:151], v[154:155]
	v_div_fixup_f64 v[148:149], v[148:149], v[146:147], v[144:145]
	v_fmac_f64_e32 v[146:147], v[144:145], v[148:149]
	v_div_scale_f64 v[144:145], s[10:11], v[146:147], v[146:147], 1.0
	v_rcp_f64_e32 v[150:151], v[144:145]
	s_nop 0
	v_fma_f64 v[152:153], -v[144:145], v[150:151], 1.0
	v_fmac_f64_e32 v[150:151], v[150:151], v[152:153]
	v_fma_f64 v[152:153], -v[144:145], v[150:151], 1.0
	v_fmac_f64_e32 v[150:151], v[150:151], v[152:153]
	v_div_scale_f64 v[152:153], vcc, 1.0, v[146:147], 1.0
	v_mul_f64 v[154:155], v[152:153], v[150:151]
	v_fma_f64 v[144:145], -v[144:145], v[154:155], v[152:153]
	s_nop 1
	v_div_fmas_f64 v[144:145], v[144:145], v[150:151], v[154:155]
	v_div_fixup_f64 v[150:151], v[144:145], v[146:147], 1.0
	v_mul_f64 v[148:149], v[148:149], v[150:151]
	v_xor_b32_e32 v151, 0x80000000, v151
                                        ; implicit-def: $vgpr144_vgpr145
.LBB71_104:
	s_andn2_saveexec_b64 s[2:3], s[2:3]
	s_cbranch_execz .LBB71_106
; %bb.105:
	v_div_scale_f64 v[148:149], s[10:11], v[144:145], v[144:145], v[146:147]
	v_rcp_f64_e32 v[150:151], v[148:149]
	v_div_scale_f64 v[152:153], vcc, v[146:147], v[144:145], v[146:147]
	v_fma_f64 v[154:155], -v[148:149], v[150:151], 1.0
	v_fmac_f64_e32 v[150:151], v[150:151], v[154:155]
	v_fma_f64 v[154:155], -v[148:149], v[150:151], 1.0
	v_fmac_f64_e32 v[150:151], v[150:151], v[154:155]
	v_mul_f64 v[154:155], v[152:153], v[150:151]
	v_fma_f64 v[148:149], -v[148:149], v[154:155], v[152:153]
	v_div_fmas_f64 v[148:149], v[148:149], v[150:151], v[154:155]
	v_div_fixup_f64 v[150:151], v[148:149], v[144:145], v[146:147]
	v_fmac_f64_e32 v[144:145], v[146:147], v[150:151]
	v_div_scale_f64 v[146:147], s[10:11], v[144:145], v[144:145], 1.0
	v_rcp_f64_e32 v[148:149], v[146:147]
	s_nop 0
	v_fma_f64 v[152:153], -v[146:147], v[148:149], 1.0
	v_fmac_f64_e32 v[148:149], v[148:149], v[152:153]
	v_fma_f64 v[152:153], -v[146:147], v[148:149], 1.0
	v_fmac_f64_e32 v[148:149], v[148:149], v[152:153]
	v_div_scale_f64 v[152:153], vcc, 1.0, v[144:145], 1.0
	v_mul_f64 v[154:155], v[152:153], v[148:149]
	v_fma_f64 v[146:147], -v[146:147], v[154:155], v[152:153]
	s_nop 1
	v_div_fmas_f64 v[146:147], v[146:147], v[148:149], v[154:155]
	v_div_fixup_f64 v[148:149], v[146:147], v[144:145], 1.0
	v_mul_f64 v[150:151], v[150:151], -v[148:149]
.LBB71_106:
	s_or_b64 exec, exec, s[2:3]
	ds_write2_b64 v207, v[148:149], v[150:151] offset1:1
.LBB71_107:
	s_or_b64 exec, exec, s[4:5]
	s_waitcnt lgkmcnt(0)
	s_barrier
	ds_read2_b64 v[144:147], v207 offset1:1
	v_cmp_lt_u32_e32 vcc, 11, v206
	s_waitcnt lgkmcnt(0)
	scratch_store_dwordx4 off, v[144:147], off offset:192 ; 16-byte Folded Spill
	s_and_saveexec_b64 s[2:3], vcc
	s_cbranch_execz .LBB71_109
; %bb.108:
	scratch_load_dwordx4 v[146:149], off, off offset:192 ; 16-byte Folded Reload
	s_waitcnt vmcnt(0)
	v_mul_f64 v[144:145], v[148:149], v[94:95]
	v_mul_f64 v[94:95], v[146:147], v[94:95]
	v_fma_f64 v[144:145], v[146:147], v[92:93], -v[144:145]
	v_fmac_f64_e32 v[94:95], v[148:149], v[92:93]
	ds_read2_b64 v[146:149], v180 offset0:24 offset1:25
	s_waitcnt lgkmcnt(0)
	v_mul_f64 v[92:93], v[148:149], v[94:95]
	v_fma_f64 v[92:93], v[146:147], v[144:145], -v[92:93]
	v_mul_f64 v[146:147], v[146:147], v[94:95]
	v_fmac_f64_e32 v[146:147], v[148:149], v[144:145]
	v_add_f64 v[90:91], v[90:91], -v[146:147]
	ds_read2_b64 v[146:149], v180 offset0:26 offset1:27
	v_add_f64 v[88:89], v[88:89], -v[92:93]
	s_waitcnt lgkmcnt(0)
	v_mul_f64 v[92:93], v[148:149], v[94:95]
	v_fma_f64 v[92:93], v[146:147], v[144:145], -v[92:93]
	v_mul_f64 v[146:147], v[146:147], v[94:95]
	v_fmac_f64_e32 v[146:147], v[148:149], v[144:145]
	v_add_f64 v[86:87], v[86:87], -v[146:147]
	ds_read2_b64 v[146:149], v180 offset0:28 offset1:29
	v_add_f64 v[84:85], v[84:85], -v[92:93]
	;; [unrolled: 8-line block ×23, first 2 shown]
	s_waitcnt lgkmcnt(0)
	v_mul_f64 v[92:93], v[148:149], v[94:95]
	v_fma_f64 v[92:93], v[146:147], v[144:145], -v[92:93]
	v_mul_f64 v[146:147], v[146:147], v[94:95]
	v_fmac_f64_e32 v[146:147], v[148:149], v[144:145]
	v_add_f64 v[140:141], v[140:141], -v[92:93]
	v_add_f64 v[142:143], v[142:143], -v[146:147]
	v_mov_b64_e32 v[92:93], v[144:145]
.LBB71_109:
	s_or_b64 exec, exec, s[2:3]
	v_cmp_eq_u32_e32 vcc, 12, v206
	s_barrier
	s_and_saveexec_b64 s[4:5], vcc
	s_cbranch_execz .LBB71_116
; %bb.110:
	s_waitcnt vmcnt(34)
	ds_write2_b64 v207, v[88:89], v[90:91] offset1:1
	s_waitcnt vmcnt(30)
	ds_write2_b64 v180, v[84:85], v[86:87] offset0:26 offset1:27
	s_waitcnt vmcnt(29)
	ds_write2_b64 v180, v[80:81], v[82:83] offset0:28 offset1:29
	;; [unrolled: 2-line block ×23, first 2 shown]
	ds_read2_b64 v[144:147], v207 offset1:1
	s_waitcnt lgkmcnt(0)
	v_cmp_neq_f64_e32 vcc, 0, v[144:145]
	v_cmp_neq_f64_e64 s[2:3], 0, v[146:147]
	s_or_b64 s[2:3], vcc, s[2:3]
	s_and_b64 exec, exec, s[2:3]
	s_cbranch_execz .LBB71_116
; %bb.111:
	v_cmp_ngt_f64_e64 s[2:3], |v[144:145]|, |v[146:147]|
                                        ; implicit-def: $vgpr148_vgpr149
	s_and_saveexec_b64 s[10:11], s[2:3]
	s_xor_b64 s[2:3], exec, s[10:11]
                                        ; implicit-def: $vgpr150_vgpr151
	s_cbranch_execz .LBB71_113
; %bb.112:
	v_div_scale_f64 v[148:149], s[10:11], v[146:147], v[146:147], v[144:145]
	v_rcp_f64_e32 v[150:151], v[148:149]
	v_div_scale_f64 v[152:153], vcc, v[144:145], v[146:147], v[144:145]
	v_fma_f64 v[154:155], -v[148:149], v[150:151], 1.0
	v_fmac_f64_e32 v[150:151], v[150:151], v[154:155]
	v_fma_f64 v[154:155], -v[148:149], v[150:151], 1.0
	v_fmac_f64_e32 v[150:151], v[150:151], v[154:155]
	v_mul_f64 v[154:155], v[152:153], v[150:151]
	v_fma_f64 v[148:149], -v[148:149], v[154:155], v[152:153]
	v_div_fmas_f64 v[148:149], v[148:149], v[150:151], v[154:155]
	v_div_fixup_f64 v[148:149], v[148:149], v[146:147], v[144:145]
	v_fmac_f64_e32 v[146:147], v[144:145], v[148:149]
	v_div_scale_f64 v[144:145], s[10:11], v[146:147], v[146:147], 1.0
	v_rcp_f64_e32 v[150:151], v[144:145]
	s_nop 0
	v_fma_f64 v[152:153], -v[144:145], v[150:151], 1.0
	v_fmac_f64_e32 v[150:151], v[150:151], v[152:153]
	v_fma_f64 v[152:153], -v[144:145], v[150:151], 1.0
	v_fmac_f64_e32 v[150:151], v[150:151], v[152:153]
	v_div_scale_f64 v[152:153], vcc, 1.0, v[146:147], 1.0
	v_mul_f64 v[154:155], v[152:153], v[150:151]
	v_fma_f64 v[144:145], -v[144:145], v[154:155], v[152:153]
	s_nop 1
	v_div_fmas_f64 v[144:145], v[144:145], v[150:151], v[154:155]
	v_div_fixup_f64 v[150:151], v[144:145], v[146:147], 1.0
	v_mul_f64 v[148:149], v[148:149], v[150:151]
	v_xor_b32_e32 v151, 0x80000000, v151
                                        ; implicit-def: $vgpr144_vgpr145
.LBB71_113:
	s_andn2_saveexec_b64 s[2:3], s[2:3]
	s_cbranch_execz .LBB71_115
; %bb.114:
	v_div_scale_f64 v[148:149], s[10:11], v[144:145], v[144:145], v[146:147]
	v_rcp_f64_e32 v[150:151], v[148:149]
	v_div_scale_f64 v[152:153], vcc, v[146:147], v[144:145], v[146:147]
	v_fma_f64 v[154:155], -v[148:149], v[150:151], 1.0
	v_fmac_f64_e32 v[150:151], v[150:151], v[154:155]
	v_fma_f64 v[154:155], -v[148:149], v[150:151], 1.0
	v_fmac_f64_e32 v[150:151], v[150:151], v[154:155]
	v_mul_f64 v[154:155], v[152:153], v[150:151]
	v_fma_f64 v[148:149], -v[148:149], v[154:155], v[152:153]
	v_div_fmas_f64 v[148:149], v[148:149], v[150:151], v[154:155]
	v_div_fixup_f64 v[150:151], v[148:149], v[144:145], v[146:147]
	v_fmac_f64_e32 v[144:145], v[146:147], v[150:151]
	v_div_scale_f64 v[146:147], s[10:11], v[144:145], v[144:145], 1.0
	v_rcp_f64_e32 v[148:149], v[146:147]
	s_nop 0
	v_fma_f64 v[152:153], -v[146:147], v[148:149], 1.0
	v_fmac_f64_e32 v[148:149], v[148:149], v[152:153]
	v_fma_f64 v[152:153], -v[146:147], v[148:149], 1.0
	v_fmac_f64_e32 v[148:149], v[148:149], v[152:153]
	v_div_scale_f64 v[152:153], vcc, 1.0, v[144:145], 1.0
	v_mul_f64 v[154:155], v[152:153], v[148:149]
	v_fma_f64 v[146:147], -v[146:147], v[154:155], v[152:153]
	s_nop 1
	v_div_fmas_f64 v[146:147], v[146:147], v[148:149], v[154:155]
	v_div_fixup_f64 v[148:149], v[146:147], v[144:145], 1.0
	v_mul_f64 v[150:151], v[150:151], -v[148:149]
.LBB71_115:
	s_or_b64 exec, exec, s[2:3]
	ds_write2_b64 v207, v[148:149], v[150:151] offset1:1
.LBB71_116:
	s_or_b64 exec, exec, s[4:5]
	s_waitcnt lgkmcnt(0)
	s_barrier
	ds_read2_b64 v[144:147], v207 offset1:1
	v_cmp_lt_u32_e32 vcc, 12, v206
	s_waitcnt lgkmcnt(0)
	scratch_store_dwordx4 off, v[144:147], off offset:208 ; 16-byte Folded Spill
	s_and_saveexec_b64 s[2:3], vcc
	s_cbranch_execz .LBB71_118
; %bb.117:
	scratch_load_dwordx4 v[146:149], off, off offset:208 ; 16-byte Folded Reload
	s_waitcnt vmcnt(0)
	v_mul_f64 v[144:145], v[148:149], v[90:91]
	v_mul_f64 v[90:91], v[146:147], v[90:91]
	v_fma_f64 v[144:145], v[146:147], v[88:89], -v[144:145]
	v_fmac_f64_e32 v[90:91], v[148:149], v[88:89]
	ds_read2_b64 v[146:149], v180 offset0:26 offset1:27
	s_waitcnt lgkmcnt(0)
	v_mul_f64 v[88:89], v[148:149], v[90:91]
	v_fma_f64 v[88:89], v[146:147], v[144:145], -v[88:89]
	v_mul_f64 v[146:147], v[146:147], v[90:91]
	v_fmac_f64_e32 v[146:147], v[148:149], v[144:145]
	v_add_f64 v[86:87], v[86:87], -v[146:147]
	ds_read2_b64 v[146:149], v180 offset0:28 offset1:29
	v_add_f64 v[84:85], v[84:85], -v[88:89]
	s_waitcnt lgkmcnt(0)
	v_mul_f64 v[88:89], v[148:149], v[90:91]
	v_fma_f64 v[88:89], v[146:147], v[144:145], -v[88:89]
	v_mul_f64 v[146:147], v[146:147], v[90:91]
	v_fmac_f64_e32 v[146:147], v[148:149], v[144:145]
	v_add_f64 v[82:83], v[82:83], -v[146:147]
	ds_read2_b64 v[146:149], v180 offset0:30 offset1:31
	v_add_f64 v[80:81], v[80:81], -v[88:89]
	;; [unrolled: 8-line block ×22, first 2 shown]
	s_waitcnt lgkmcnt(0)
	v_mul_f64 v[88:89], v[148:149], v[90:91]
	v_fma_f64 v[88:89], v[146:147], v[144:145], -v[88:89]
	v_mul_f64 v[146:147], v[146:147], v[90:91]
	v_fmac_f64_e32 v[146:147], v[148:149], v[144:145]
	v_add_f64 v[140:141], v[140:141], -v[88:89]
	v_add_f64 v[142:143], v[142:143], -v[146:147]
	v_mov_b64_e32 v[88:89], v[144:145]
.LBB71_118:
	s_or_b64 exec, exec, s[2:3]
	v_cmp_eq_u32_e32 vcc, 13, v206
	s_barrier
	s_and_saveexec_b64 s[4:5], vcc
	s_cbranch_execz .LBB71_125
; %bb.119:
	s_waitcnt vmcnt(31)
	ds_write2_b64 v207, v[84:85], v[86:87] offset1:1
	s_waitcnt vmcnt(30)
	ds_write2_b64 v180, v[80:81], v[82:83] offset0:28 offset1:29
	s_waitcnt vmcnt(29)
	ds_write2_b64 v180, v[76:77], v[78:79] offset0:30 offset1:31
	;; [unrolled: 2-line block ×22, first 2 shown]
	ds_read2_b64 v[144:147], v207 offset1:1
	s_waitcnt lgkmcnt(0)
	v_cmp_neq_f64_e32 vcc, 0, v[144:145]
	v_cmp_neq_f64_e64 s[2:3], 0, v[146:147]
	s_or_b64 s[2:3], vcc, s[2:3]
	s_and_b64 exec, exec, s[2:3]
	s_cbranch_execz .LBB71_125
; %bb.120:
	v_cmp_ngt_f64_e64 s[2:3], |v[144:145]|, |v[146:147]|
                                        ; implicit-def: $vgpr148_vgpr149
	s_and_saveexec_b64 s[10:11], s[2:3]
	s_xor_b64 s[2:3], exec, s[10:11]
                                        ; implicit-def: $vgpr150_vgpr151
	s_cbranch_execz .LBB71_122
; %bb.121:
	v_div_scale_f64 v[148:149], s[10:11], v[146:147], v[146:147], v[144:145]
	v_rcp_f64_e32 v[150:151], v[148:149]
	v_div_scale_f64 v[152:153], vcc, v[144:145], v[146:147], v[144:145]
	v_fma_f64 v[154:155], -v[148:149], v[150:151], 1.0
	v_fmac_f64_e32 v[150:151], v[150:151], v[154:155]
	v_fma_f64 v[154:155], -v[148:149], v[150:151], 1.0
	v_fmac_f64_e32 v[150:151], v[150:151], v[154:155]
	v_mul_f64 v[154:155], v[152:153], v[150:151]
	v_fma_f64 v[148:149], -v[148:149], v[154:155], v[152:153]
	v_div_fmas_f64 v[148:149], v[148:149], v[150:151], v[154:155]
	v_div_fixup_f64 v[148:149], v[148:149], v[146:147], v[144:145]
	v_fmac_f64_e32 v[146:147], v[144:145], v[148:149]
	v_div_scale_f64 v[144:145], s[10:11], v[146:147], v[146:147], 1.0
	v_rcp_f64_e32 v[150:151], v[144:145]
	s_nop 0
	v_fma_f64 v[152:153], -v[144:145], v[150:151], 1.0
	v_fmac_f64_e32 v[150:151], v[150:151], v[152:153]
	v_fma_f64 v[152:153], -v[144:145], v[150:151], 1.0
	v_fmac_f64_e32 v[150:151], v[150:151], v[152:153]
	v_div_scale_f64 v[152:153], vcc, 1.0, v[146:147], 1.0
	v_mul_f64 v[154:155], v[152:153], v[150:151]
	v_fma_f64 v[144:145], -v[144:145], v[154:155], v[152:153]
	s_nop 1
	v_div_fmas_f64 v[144:145], v[144:145], v[150:151], v[154:155]
	v_div_fixup_f64 v[150:151], v[144:145], v[146:147], 1.0
	v_mul_f64 v[148:149], v[148:149], v[150:151]
	v_xor_b32_e32 v151, 0x80000000, v151
                                        ; implicit-def: $vgpr144_vgpr145
.LBB71_122:
	s_andn2_saveexec_b64 s[2:3], s[2:3]
	s_cbranch_execz .LBB71_124
; %bb.123:
	v_div_scale_f64 v[148:149], s[10:11], v[144:145], v[144:145], v[146:147]
	v_rcp_f64_e32 v[150:151], v[148:149]
	v_div_scale_f64 v[152:153], vcc, v[146:147], v[144:145], v[146:147]
	v_fma_f64 v[154:155], -v[148:149], v[150:151], 1.0
	v_fmac_f64_e32 v[150:151], v[150:151], v[154:155]
	v_fma_f64 v[154:155], -v[148:149], v[150:151], 1.0
	v_fmac_f64_e32 v[150:151], v[150:151], v[154:155]
	v_mul_f64 v[154:155], v[152:153], v[150:151]
	v_fma_f64 v[148:149], -v[148:149], v[154:155], v[152:153]
	v_div_fmas_f64 v[148:149], v[148:149], v[150:151], v[154:155]
	v_div_fixup_f64 v[150:151], v[148:149], v[144:145], v[146:147]
	v_fmac_f64_e32 v[144:145], v[146:147], v[150:151]
	v_div_scale_f64 v[146:147], s[10:11], v[144:145], v[144:145], 1.0
	v_rcp_f64_e32 v[148:149], v[146:147]
	s_nop 0
	v_fma_f64 v[152:153], -v[146:147], v[148:149], 1.0
	v_fmac_f64_e32 v[148:149], v[148:149], v[152:153]
	v_fma_f64 v[152:153], -v[146:147], v[148:149], 1.0
	v_fmac_f64_e32 v[148:149], v[148:149], v[152:153]
	v_div_scale_f64 v[152:153], vcc, 1.0, v[144:145], 1.0
	v_mul_f64 v[154:155], v[152:153], v[148:149]
	v_fma_f64 v[146:147], -v[146:147], v[154:155], v[152:153]
	s_nop 1
	v_div_fmas_f64 v[146:147], v[146:147], v[148:149], v[154:155]
	v_div_fixup_f64 v[148:149], v[146:147], v[144:145], 1.0
	v_mul_f64 v[150:151], v[150:151], -v[148:149]
.LBB71_124:
	s_or_b64 exec, exec, s[2:3]
	ds_write2_b64 v207, v[148:149], v[150:151] offset1:1
.LBB71_125:
	s_or_b64 exec, exec, s[4:5]
	s_waitcnt lgkmcnt(0)
	s_barrier
	ds_read2_b64 v[144:147], v207 offset1:1
	v_cmp_lt_u32_e32 vcc, 13, v206
	s_waitcnt lgkmcnt(0)
	scratch_store_dwordx4 off, v[144:147], off offset:224 ; 16-byte Folded Spill
	s_and_saveexec_b64 s[2:3], vcc
	s_cbranch_execz .LBB71_127
; %bb.126:
	scratch_load_dwordx4 v[146:149], off, off offset:224 ; 16-byte Folded Reload
	s_waitcnt vmcnt(0)
	v_mul_f64 v[144:145], v[148:149], v[86:87]
	v_mul_f64 v[86:87], v[146:147], v[86:87]
	v_fma_f64 v[144:145], v[146:147], v[84:85], -v[144:145]
	v_fmac_f64_e32 v[86:87], v[148:149], v[84:85]
	ds_read2_b64 v[146:149], v180 offset0:28 offset1:29
	s_waitcnt lgkmcnt(0)
	v_mul_f64 v[84:85], v[148:149], v[86:87]
	v_fma_f64 v[84:85], v[146:147], v[144:145], -v[84:85]
	v_mul_f64 v[146:147], v[146:147], v[86:87]
	v_fmac_f64_e32 v[146:147], v[148:149], v[144:145]
	v_add_f64 v[82:83], v[82:83], -v[146:147]
	ds_read2_b64 v[146:149], v180 offset0:30 offset1:31
	v_add_f64 v[80:81], v[80:81], -v[84:85]
	s_waitcnt lgkmcnt(0)
	v_mul_f64 v[84:85], v[148:149], v[86:87]
	v_fma_f64 v[84:85], v[146:147], v[144:145], -v[84:85]
	v_mul_f64 v[146:147], v[146:147], v[86:87]
	v_fmac_f64_e32 v[146:147], v[148:149], v[144:145]
	v_add_f64 v[78:79], v[78:79], -v[146:147]
	ds_read2_b64 v[146:149], v180 offset0:32 offset1:33
	v_add_f64 v[76:77], v[76:77], -v[84:85]
	;; [unrolled: 8-line block ×21, first 2 shown]
	s_waitcnt lgkmcnt(0)
	v_mul_f64 v[84:85], v[148:149], v[86:87]
	v_fma_f64 v[84:85], v[146:147], v[144:145], -v[84:85]
	v_mul_f64 v[146:147], v[146:147], v[86:87]
	v_fmac_f64_e32 v[146:147], v[148:149], v[144:145]
	v_add_f64 v[140:141], v[140:141], -v[84:85]
	v_add_f64 v[142:143], v[142:143], -v[146:147]
	v_mov_b64_e32 v[84:85], v[144:145]
.LBB71_127:
	s_or_b64 exec, exec, s[2:3]
	v_cmp_eq_u32_e32 vcc, 14, v206
	s_barrier
	s_and_saveexec_b64 s[4:5], vcc
	s_cbranch_execz .LBB71_134
; %bb.128:
	s_waitcnt vmcnt(31)
	ds_write2_b64 v207, v[80:81], v[82:83] offset1:1
	s_waitcnt vmcnt(30)
	ds_write2_b64 v180, v[76:77], v[78:79] offset0:30 offset1:31
	s_waitcnt vmcnt(29)
	ds_write2_b64 v180, v[72:73], v[74:75] offset0:32 offset1:33
	;; [unrolled: 2-line block ×21, first 2 shown]
	ds_read2_b64 v[144:147], v207 offset1:1
	s_waitcnt lgkmcnt(0)
	v_cmp_neq_f64_e32 vcc, 0, v[144:145]
	v_cmp_neq_f64_e64 s[2:3], 0, v[146:147]
	s_or_b64 s[2:3], vcc, s[2:3]
	s_and_b64 exec, exec, s[2:3]
	s_cbranch_execz .LBB71_134
; %bb.129:
	v_cmp_ngt_f64_e64 s[2:3], |v[144:145]|, |v[146:147]|
                                        ; implicit-def: $vgpr148_vgpr149
	s_and_saveexec_b64 s[10:11], s[2:3]
	s_xor_b64 s[2:3], exec, s[10:11]
                                        ; implicit-def: $vgpr150_vgpr151
	s_cbranch_execz .LBB71_131
; %bb.130:
	v_div_scale_f64 v[148:149], s[10:11], v[146:147], v[146:147], v[144:145]
	v_rcp_f64_e32 v[150:151], v[148:149]
	v_div_scale_f64 v[152:153], vcc, v[144:145], v[146:147], v[144:145]
	v_fma_f64 v[154:155], -v[148:149], v[150:151], 1.0
	v_fmac_f64_e32 v[150:151], v[150:151], v[154:155]
	v_fma_f64 v[154:155], -v[148:149], v[150:151], 1.0
	v_fmac_f64_e32 v[150:151], v[150:151], v[154:155]
	v_mul_f64 v[154:155], v[152:153], v[150:151]
	v_fma_f64 v[148:149], -v[148:149], v[154:155], v[152:153]
	v_div_fmas_f64 v[148:149], v[148:149], v[150:151], v[154:155]
	v_div_fixup_f64 v[148:149], v[148:149], v[146:147], v[144:145]
	v_fmac_f64_e32 v[146:147], v[144:145], v[148:149]
	v_div_scale_f64 v[144:145], s[10:11], v[146:147], v[146:147], 1.0
	v_rcp_f64_e32 v[150:151], v[144:145]
	s_nop 0
	v_fma_f64 v[152:153], -v[144:145], v[150:151], 1.0
	v_fmac_f64_e32 v[150:151], v[150:151], v[152:153]
	v_fma_f64 v[152:153], -v[144:145], v[150:151], 1.0
	v_fmac_f64_e32 v[150:151], v[150:151], v[152:153]
	v_div_scale_f64 v[152:153], vcc, 1.0, v[146:147], 1.0
	v_mul_f64 v[154:155], v[152:153], v[150:151]
	v_fma_f64 v[144:145], -v[144:145], v[154:155], v[152:153]
	s_nop 1
	v_div_fmas_f64 v[144:145], v[144:145], v[150:151], v[154:155]
	v_div_fixup_f64 v[150:151], v[144:145], v[146:147], 1.0
	v_mul_f64 v[148:149], v[148:149], v[150:151]
	v_xor_b32_e32 v151, 0x80000000, v151
                                        ; implicit-def: $vgpr144_vgpr145
.LBB71_131:
	s_andn2_saveexec_b64 s[2:3], s[2:3]
	s_cbranch_execz .LBB71_133
; %bb.132:
	v_div_scale_f64 v[148:149], s[10:11], v[144:145], v[144:145], v[146:147]
	v_rcp_f64_e32 v[150:151], v[148:149]
	v_div_scale_f64 v[152:153], vcc, v[146:147], v[144:145], v[146:147]
	v_fma_f64 v[154:155], -v[148:149], v[150:151], 1.0
	v_fmac_f64_e32 v[150:151], v[150:151], v[154:155]
	v_fma_f64 v[154:155], -v[148:149], v[150:151], 1.0
	v_fmac_f64_e32 v[150:151], v[150:151], v[154:155]
	v_mul_f64 v[154:155], v[152:153], v[150:151]
	v_fma_f64 v[148:149], -v[148:149], v[154:155], v[152:153]
	v_div_fmas_f64 v[148:149], v[148:149], v[150:151], v[154:155]
	v_div_fixup_f64 v[150:151], v[148:149], v[144:145], v[146:147]
	v_fmac_f64_e32 v[144:145], v[146:147], v[150:151]
	v_div_scale_f64 v[146:147], s[10:11], v[144:145], v[144:145], 1.0
	v_rcp_f64_e32 v[148:149], v[146:147]
	s_nop 0
	v_fma_f64 v[152:153], -v[146:147], v[148:149], 1.0
	v_fmac_f64_e32 v[148:149], v[148:149], v[152:153]
	v_fma_f64 v[152:153], -v[146:147], v[148:149], 1.0
	v_fmac_f64_e32 v[148:149], v[148:149], v[152:153]
	v_div_scale_f64 v[152:153], vcc, 1.0, v[144:145], 1.0
	v_mul_f64 v[154:155], v[152:153], v[148:149]
	v_fma_f64 v[146:147], -v[146:147], v[154:155], v[152:153]
	s_nop 1
	v_div_fmas_f64 v[146:147], v[146:147], v[148:149], v[154:155]
	v_div_fixup_f64 v[148:149], v[146:147], v[144:145], 1.0
	v_mul_f64 v[150:151], v[150:151], -v[148:149]
.LBB71_133:
	s_or_b64 exec, exec, s[2:3]
	ds_write2_b64 v207, v[148:149], v[150:151] offset1:1
.LBB71_134:
	s_or_b64 exec, exec, s[4:5]
	s_waitcnt lgkmcnt(0)
	s_barrier
	ds_read2_b64 v[144:147], v207 offset1:1
	v_cmp_lt_u32_e32 vcc, 14, v206
	s_waitcnt lgkmcnt(0)
	scratch_store_dwordx4 off, v[144:147], off offset:240 ; 16-byte Folded Spill
	s_and_saveexec_b64 s[2:3], vcc
	s_cbranch_execz .LBB71_136
; %bb.135:
	scratch_load_dwordx4 v[146:149], off, off offset:240 ; 16-byte Folded Reload
	s_waitcnt vmcnt(0)
	v_mul_f64 v[144:145], v[148:149], v[82:83]
	v_mul_f64 v[82:83], v[146:147], v[82:83]
	v_fma_f64 v[144:145], v[146:147], v[80:81], -v[144:145]
	v_fmac_f64_e32 v[82:83], v[148:149], v[80:81]
	ds_read2_b64 v[146:149], v180 offset0:30 offset1:31
	s_waitcnt lgkmcnt(0)
	v_mul_f64 v[80:81], v[148:149], v[82:83]
	v_fma_f64 v[80:81], v[146:147], v[144:145], -v[80:81]
	v_mul_f64 v[146:147], v[146:147], v[82:83]
	v_fmac_f64_e32 v[146:147], v[148:149], v[144:145]
	v_add_f64 v[78:79], v[78:79], -v[146:147]
	ds_read2_b64 v[146:149], v180 offset0:32 offset1:33
	v_add_f64 v[76:77], v[76:77], -v[80:81]
	s_waitcnt lgkmcnt(0)
	v_mul_f64 v[80:81], v[148:149], v[82:83]
	v_fma_f64 v[80:81], v[146:147], v[144:145], -v[80:81]
	v_mul_f64 v[146:147], v[146:147], v[82:83]
	v_fmac_f64_e32 v[146:147], v[148:149], v[144:145]
	v_add_f64 v[74:75], v[74:75], -v[146:147]
	ds_read2_b64 v[146:149], v180 offset0:34 offset1:35
	v_add_f64 v[72:73], v[72:73], -v[80:81]
	;; [unrolled: 8-line block ×20, first 2 shown]
	s_waitcnt lgkmcnt(0)
	v_mul_f64 v[80:81], v[148:149], v[82:83]
	v_fma_f64 v[80:81], v[146:147], v[144:145], -v[80:81]
	v_mul_f64 v[146:147], v[146:147], v[82:83]
	v_fmac_f64_e32 v[146:147], v[148:149], v[144:145]
	v_add_f64 v[140:141], v[140:141], -v[80:81]
	v_add_f64 v[142:143], v[142:143], -v[146:147]
	v_mov_b64_e32 v[80:81], v[144:145]
.LBB71_136:
	s_or_b64 exec, exec, s[2:3]
	v_cmp_eq_u32_e32 vcc, 15, v206
	s_barrier
	s_and_saveexec_b64 s[4:5], vcc
	s_cbranch_execz .LBB71_143
; %bb.137:
	s_waitcnt vmcnt(31)
	ds_write2_b64 v207, v[76:77], v[78:79] offset1:1
	s_waitcnt vmcnt(30)
	ds_write2_b64 v180, v[72:73], v[74:75] offset0:32 offset1:33
	s_waitcnt vmcnt(29)
	ds_write2_b64 v180, v[68:69], v[70:71] offset0:34 offset1:35
	s_waitcnt vmcnt(28)
	ds_write2_b64 v180, v[64:65], v[66:67] offset0:36 offset1:37
	s_waitcnt vmcnt(27)
	ds_write2_b64 v180, v[60:61], v[62:63] offset0:38 offset1:39
	s_waitcnt vmcnt(26)
	ds_write2_b64 v180, v[56:57], v[58:59] offset0:40 offset1:41
	s_waitcnt vmcnt(25)
	ds_write2_b64 v180, v[52:53], v[54:55] offset0:42 offset1:43
	s_waitcnt vmcnt(24)
	ds_write2_b64 v180, v[48:49], v[50:51] offset0:44 offset1:45
	s_waitcnt vmcnt(23)
	ds_write2_b64 v180, v[44:45], v[46:47] offset0:46 offset1:47
	s_waitcnt vmcnt(22)
	ds_write2_b64 v180, v[40:41], v[42:43] offset0:48 offset1:49
	s_waitcnt vmcnt(21)
	ds_write2_b64 v180, v[36:37], v[38:39] offset0:50 offset1:51
	s_waitcnt vmcnt(20)
	ds_write2_b64 v180, v[32:33], v[34:35] offset0:52 offset1:53
	s_waitcnt vmcnt(19)
	ds_write2_b64 v180, v[28:29], v[30:31] offset0:54 offset1:55
	s_waitcnt vmcnt(18)
	ds_write2_b64 v180, v[24:25], v[26:27] offset0:56 offset1:57
	s_waitcnt vmcnt(17)
	ds_write2_b64 v180, v[20:21], v[22:23] offset0:58 offset1:59
	s_waitcnt vmcnt(16)
	ds_write2_b64 v180, v[16:17], v[18:19] offset0:60 offset1:61
	s_waitcnt vmcnt(15)
	ds_write2_b64 v180, v[12:13], v[14:15] offset0:62 offset1:63
	s_waitcnt vmcnt(14)
	ds_write2_b64 v180, v[8:9], v[10:11] offset0:64 offset1:65
	s_waitcnt vmcnt(13)
	ds_write2_b64 v180, v[4:5], v[6:7] offset0:66 offset1:67
	s_waitcnt vmcnt(12)
	ds_write2_b64 v180, v[0:1], v[2:3] offset0:68 offset1:69
	s_waitcnt vmcnt(11)
	ds_write2_b64 v180, v[140:141], v[142:143] offset0:70 offset1:71
	ds_read2_b64 v[144:147], v207 offset1:1
	s_waitcnt lgkmcnt(0)
	v_cmp_neq_f64_e32 vcc, 0, v[144:145]
	v_cmp_neq_f64_e64 s[2:3], 0, v[146:147]
	s_or_b64 s[2:3], vcc, s[2:3]
	s_and_b64 exec, exec, s[2:3]
	s_cbranch_execz .LBB71_143
; %bb.138:
	v_cmp_ngt_f64_e64 s[2:3], |v[144:145]|, |v[146:147]|
                                        ; implicit-def: $vgpr148_vgpr149
	s_and_saveexec_b64 s[10:11], s[2:3]
	s_xor_b64 s[2:3], exec, s[10:11]
                                        ; implicit-def: $vgpr150_vgpr151
	s_cbranch_execz .LBB71_140
; %bb.139:
	v_div_scale_f64 v[148:149], s[10:11], v[146:147], v[146:147], v[144:145]
	v_rcp_f64_e32 v[150:151], v[148:149]
	v_div_scale_f64 v[152:153], vcc, v[144:145], v[146:147], v[144:145]
	v_fma_f64 v[154:155], -v[148:149], v[150:151], 1.0
	v_fmac_f64_e32 v[150:151], v[150:151], v[154:155]
	v_fma_f64 v[154:155], -v[148:149], v[150:151], 1.0
	v_fmac_f64_e32 v[150:151], v[150:151], v[154:155]
	v_mul_f64 v[154:155], v[152:153], v[150:151]
	v_fma_f64 v[148:149], -v[148:149], v[154:155], v[152:153]
	v_div_fmas_f64 v[148:149], v[148:149], v[150:151], v[154:155]
	v_div_fixup_f64 v[148:149], v[148:149], v[146:147], v[144:145]
	v_fmac_f64_e32 v[146:147], v[144:145], v[148:149]
	v_div_scale_f64 v[144:145], s[10:11], v[146:147], v[146:147], 1.0
	v_rcp_f64_e32 v[150:151], v[144:145]
	s_nop 0
	v_fma_f64 v[152:153], -v[144:145], v[150:151], 1.0
	v_fmac_f64_e32 v[150:151], v[150:151], v[152:153]
	v_fma_f64 v[152:153], -v[144:145], v[150:151], 1.0
	v_fmac_f64_e32 v[150:151], v[150:151], v[152:153]
	v_div_scale_f64 v[152:153], vcc, 1.0, v[146:147], 1.0
	v_mul_f64 v[154:155], v[152:153], v[150:151]
	v_fma_f64 v[144:145], -v[144:145], v[154:155], v[152:153]
	s_nop 1
	v_div_fmas_f64 v[144:145], v[144:145], v[150:151], v[154:155]
	v_div_fixup_f64 v[150:151], v[144:145], v[146:147], 1.0
	v_mul_f64 v[148:149], v[148:149], v[150:151]
	v_xor_b32_e32 v151, 0x80000000, v151
                                        ; implicit-def: $vgpr144_vgpr145
.LBB71_140:
	s_andn2_saveexec_b64 s[2:3], s[2:3]
	s_cbranch_execz .LBB71_142
; %bb.141:
	v_div_scale_f64 v[148:149], s[10:11], v[144:145], v[144:145], v[146:147]
	v_rcp_f64_e32 v[150:151], v[148:149]
	v_div_scale_f64 v[152:153], vcc, v[146:147], v[144:145], v[146:147]
	v_fma_f64 v[154:155], -v[148:149], v[150:151], 1.0
	v_fmac_f64_e32 v[150:151], v[150:151], v[154:155]
	v_fma_f64 v[154:155], -v[148:149], v[150:151], 1.0
	v_fmac_f64_e32 v[150:151], v[150:151], v[154:155]
	v_mul_f64 v[154:155], v[152:153], v[150:151]
	v_fma_f64 v[148:149], -v[148:149], v[154:155], v[152:153]
	v_div_fmas_f64 v[148:149], v[148:149], v[150:151], v[154:155]
	v_div_fixup_f64 v[150:151], v[148:149], v[144:145], v[146:147]
	v_fmac_f64_e32 v[144:145], v[146:147], v[150:151]
	v_div_scale_f64 v[146:147], s[10:11], v[144:145], v[144:145], 1.0
	v_rcp_f64_e32 v[148:149], v[146:147]
	s_nop 0
	v_fma_f64 v[152:153], -v[146:147], v[148:149], 1.0
	v_fmac_f64_e32 v[148:149], v[148:149], v[152:153]
	v_fma_f64 v[152:153], -v[146:147], v[148:149], 1.0
	v_fmac_f64_e32 v[148:149], v[148:149], v[152:153]
	v_div_scale_f64 v[152:153], vcc, 1.0, v[144:145], 1.0
	v_mul_f64 v[154:155], v[152:153], v[148:149]
	v_fma_f64 v[146:147], -v[146:147], v[154:155], v[152:153]
	s_nop 1
	v_div_fmas_f64 v[146:147], v[146:147], v[148:149], v[154:155]
	v_div_fixup_f64 v[148:149], v[146:147], v[144:145], 1.0
	v_mul_f64 v[150:151], v[150:151], -v[148:149]
.LBB71_142:
	s_or_b64 exec, exec, s[2:3]
	ds_write2_b64 v207, v[148:149], v[150:151] offset1:1
.LBB71_143:
	s_or_b64 exec, exec, s[4:5]
	s_waitcnt lgkmcnt(0)
	s_barrier
	ds_read2_b64 v[144:147], v207 offset1:1
	v_cmp_lt_u32_e32 vcc, 15, v206
	s_waitcnt lgkmcnt(0)
	scratch_store_dwordx4 off, v[144:147], off offset:256 ; 16-byte Folded Spill
	s_and_saveexec_b64 s[2:3], vcc
	s_cbranch_execz .LBB71_145
; %bb.144:
	scratch_load_dwordx4 v[146:149], off, off offset:256 ; 16-byte Folded Reload
	s_waitcnt vmcnt(0)
	v_mul_f64 v[144:145], v[148:149], v[78:79]
	v_mul_f64 v[78:79], v[146:147], v[78:79]
	v_fma_f64 v[144:145], v[146:147], v[76:77], -v[144:145]
	v_fmac_f64_e32 v[78:79], v[148:149], v[76:77]
	ds_read2_b64 v[146:149], v180 offset0:32 offset1:33
	s_waitcnt lgkmcnt(0)
	v_mul_f64 v[76:77], v[148:149], v[78:79]
	v_fma_f64 v[76:77], v[146:147], v[144:145], -v[76:77]
	v_mul_f64 v[146:147], v[146:147], v[78:79]
	v_fmac_f64_e32 v[146:147], v[148:149], v[144:145]
	v_add_f64 v[74:75], v[74:75], -v[146:147]
	ds_read2_b64 v[146:149], v180 offset0:34 offset1:35
	v_add_f64 v[72:73], v[72:73], -v[76:77]
	s_waitcnt lgkmcnt(0)
	v_mul_f64 v[76:77], v[148:149], v[78:79]
	v_fma_f64 v[76:77], v[146:147], v[144:145], -v[76:77]
	v_mul_f64 v[146:147], v[146:147], v[78:79]
	v_fmac_f64_e32 v[146:147], v[148:149], v[144:145]
	v_add_f64 v[70:71], v[70:71], -v[146:147]
	ds_read2_b64 v[146:149], v180 offset0:36 offset1:37
	v_add_f64 v[68:69], v[68:69], -v[76:77]
	;; [unrolled: 8-line block ×19, first 2 shown]
	s_waitcnt lgkmcnt(0)
	v_mul_f64 v[76:77], v[148:149], v[78:79]
	v_fma_f64 v[76:77], v[146:147], v[144:145], -v[76:77]
	v_mul_f64 v[146:147], v[146:147], v[78:79]
	v_fmac_f64_e32 v[146:147], v[148:149], v[144:145]
	v_add_f64 v[140:141], v[140:141], -v[76:77]
	v_add_f64 v[142:143], v[142:143], -v[146:147]
	v_mov_b64_e32 v[76:77], v[144:145]
.LBB71_145:
	s_or_b64 exec, exec, s[2:3]
	v_cmp_eq_u32_e32 vcc, 16, v206
	s_barrier
	s_and_saveexec_b64 s[4:5], vcc
	s_cbranch_execz .LBB71_152
; %bb.146:
	s_waitcnt vmcnt(31)
	ds_write2_b64 v207, v[72:73], v[74:75] offset1:1
	s_waitcnt vmcnt(30)
	ds_write2_b64 v180, v[68:69], v[70:71] offset0:34 offset1:35
	s_waitcnt vmcnt(29)
	ds_write2_b64 v180, v[64:65], v[66:67] offset0:36 offset1:37
	;; [unrolled: 2-line block ×19, first 2 shown]
	ds_read2_b64 v[144:147], v207 offset1:1
	s_waitcnt lgkmcnt(0)
	v_cmp_neq_f64_e32 vcc, 0, v[144:145]
	v_cmp_neq_f64_e64 s[2:3], 0, v[146:147]
	s_or_b64 s[2:3], vcc, s[2:3]
	s_and_b64 exec, exec, s[2:3]
	s_cbranch_execz .LBB71_152
; %bb.147:
	v_cmp_ngt_f64_e64 s[2:3], |v[144:145]|, |v[146:147]|
                                        ; implicit-def: $vgpr148_vgpr149
	s_and_saveexec_b64 s[10:11], s[2:3]
	s_xor_b64 s[2:3], exec, s[10:11]
                                        ; implicit-def: $vgpr150_vgpr151
	s_cbranch_execz .LBB71_149
; %bb.148:
	v_div_scale_f64 v[148:149], s[10:11], v[146:147], v[146:147], v[144:145]
	v_rcp_f64_e32 v[150:151], v[148:149]
	v_div_scale_f64 v[152:153], vcc, v[144:145], v[146:147], v[144:145]
	v_fma_f64 v[154:155], -v[148:149], v[150:151], 1.0
	v_fmac_f64_e32 v[150:151], v[150:151], v[154:155]
	v_fma_f64 v[154:155], -v[148:149], v[150:151], 1.0
	v_fmac_f64_e32 v[150:151], v[150:151], v[154:155]
	v_mul_f64 v[154:155], v[152:153], v[150:151]
	v_fma_f64 v[148:149], -v[148:149], v[154:155], v[152:153]
	v_div_fmas_f64 v[148:149], v[148:149], v[150:151], v[154:155]
	v_div_fixup_f64 v[148:149], v[148:149], v[146:147], v[144:145]
	v_fmac_f64_e32 v[146:147], v[144:145], v[148:149]
	v_div_scale_f64 v[144:145], s[10:11], v[146:147], v[146:147], 1.0
	v_rcp_f64_e32 v[150:151], v[144:145]
	s_nop 0
	v_fma_f64 v[152:153], -v[144:145], v[150:151], 1.0
	v_fmac_f64_e32 v[150:151], v[150:151], v[152:153]
	v_fma_f64 v[152:153], -v[144:145], v[150:151], 1.0
	v_fmac_f64_e32 v[150:151], v[150:151], v[152:153]
	v_div_scale_f64 v[152:153], vcc, 1.0, v[146:147], 1.0
	v_mul_f64 v[154:155], v[152:153], v[150:151]
	v_fma_f64 v[144:145], -v[144:145], v[154:155], v[152:153]
	s_nop 1
	v_div_fmas_f64 v[144:145], v[144:145], v[150:151], v[154:155]
	v_div_fixup_f64 v[150:151], v[144:145], v[146:147], 1.0
	v_mul_f64 v[148:149], v[148:149], v[150:151]
	v_xor_b32_e32 v151, 0x80000000, v151
                                        ; implicit-def: $vgpr144_vgpr145
.LBB71_149:
	s_andn2_saveexec_b64 s[2:3], s[2:3]
	s_cbranch_execz .LBB71_151
; %bb.150:
	v_div_scale_f64 v[148:149], s[10:11], v[144:145], v[144:145], v[146:147]
	v_rcp_f64_e32 v[150:151], v[148:149]
	v_div_scale_f64 v[152:153], vcc, v[146:147], v[144:145], v[146:147]
	v_fma_f64 v[154:155], -v[148:149], v[150:151], 1.0
	v_fmac_f64_e32 v[150:151], v[150:151], v[154:155]
	v_fma_f64 v[154:155], -v[148:149], v[150:151], 1.0
	v_fmac_f64_e32 v[150:151], v[150:151], v[154:155]
	v_mul_f64 v[154:155], v[152:153], v[150:151]
	v_fma_f64 v[148:149], -v[148:149], v[154:155], v[152:153]
	v_div_fmas_f64 v[148:149], v[148:149], v[150:151], v[154:155]
	v_div_fixup_f64 v[150:151], v[148:149], v[144:145], v[146:147]
	v_fmac_f64_e32 v[144:145], v[146:147], v[150:151]
	v_div_scale_f64 v[146:147], s[10:11], v[144:145], v[144:145], 1.0
	v_rcp_f64_e32 v[148:149], v[146:147]
	s_nop 0
	v_fma_f64 v[152:153], -v[146:147], v[148:149], 1.0
	v_fmac_f64_e32 v[148:149], v[148:149], v[152:153]
	v_fma_f64 v[152:153], -v[146:147], v[148:149], 1.0
	v_fmac_f64_e32 v[148:149], v[148:149], v[152:153]
	v_div_scale_f64 v[152:153], vcc, 1.0, v[144:145], 1.0
	v_mul_f64 v[154:155], v[152:153], v[148:149]
	v_fma_f64 v[146:147], -v[146:147], v[154:155], v[152:153]
	s_nop 1
	v_div_fmas_f64 v[146:147], v[146:147], v[148:149], v[154:155]
	v_div_fixup_f64 v[148:149], v[146:147], v[144:145], 1.0
	v_mul_f64 v[150:151], v[150:151], -v[148:149]
.LBB71_151:
	s_or_b64 exec, exec, s[2:3]
	ds_write2_b64 v207, v[148:149], v[150:151] offset1:1
.LBB71_152:
	s_or_b64 exec, exec, s[4:5]
	s_waitcnt lgkmcnt(0)
	s_barrier
	ds_read2_b64 v[144:147], v207 offset1:1
	v_cmp_lt_u32_e32 vcc, 16, v206
	s_waitcnt lgkmcnt(0)
	scratch_store_dwordx4 off, v[144:147], off offset:272 ; 16-byte Folded Spill
	s_and_saveexec_b64 s[2:3], vcc
	s_cbranch_execz .LBB71_154
; %bb.153:
	scratch_load_dwordx4 v[146:149], off, off offset:272 ; 16-byte Folded Reload
	s_waitcnt vmcnt(0)
	v_mul_f64 v[144:145], v[148:149], v[74:75]
	v_mul_f64 v[74:75], v[146:147], v[74:75]
	v_fma_f64 v[144:145], v[146:147], v[72:73], -v[144:145]
	v_fmac_f64_e32 v[74:75], v[148:149], v[72:73]
	ds_read2_b64 v[146:149], v180 offset0:34 offset1:35
	s_waitcnt lgkmcnt(0)
	v_mul_f64 v[72:73], v[148:149], v[74:75]
	v_fma_f64 v[72:73], v[146:147], v[144:145], -v[72:73]
	v_mul_f64 v[146:147], v[146:147], v[74:75]
	v_fmac_f64_e32 v[146:147], v[148:149], v[144:145]
	v_add_f64 v[70:71], v[70:71], -v[146:147]
	ds_read2_b64 v[146:149], v180 offset0:36 offset1:37
	v_add_f64 v[68:69], v[68:69], -v[72:73]
	s_waitcnt lgkmcnt(0)
	v_mul_f64 v[72:73], v[148:149], v[74:75]
	v_fma_f64 v[72:73], v[146:147], v[144:145], -v[72:73]
	v_mul_f64 v[146:147], v[146:147], v[74:75]
	v_fmac_f64_e32 v[146:147], v[148:149], v[144:145]
	v_add_f64 v[66:67], v[66:67], -v[146:147]
	ds_read2_b64 v[146:149], v180 offset0:38 offset1:39
	v_add_f64 v[64:65], v[64:65], -v[72:73]
	;; [unrolled: 8-line block ×18, first 2 shown]
	s_waitcnt lgkmcnt(0)
	v_mul_f64 v[72:73], v[148:149], v[74:75]
	v_fma_f64 v[72:73], v[146:147], v[144:145], -v[72:73]
	v_mul_f64 v[146:147], v[146:147], v[74:75]
	v_fmac_f64_e32 v[146:147], v[148:149], v[144:145]
	v_add_f64 v[140:141], v[140:141], -v[72:73]
	v_add_f64 v[142:143], v[142:143], -v[146:147]
	v_mov_b64_e32 v[72:73], v[144:145]
.LBB71_154:
	s_or_b64 exec, exec, s[2:3]
	v_cmp_eq_u32_e32 vcc, 17, v206
	s_barrier
	s_and_saveexec_b64 s[4:5], vcc
	s_cbranch_execz .LBB71_161
; %bb.155:
	s_waitcnt vmcnt(31)
	ds_write2_b64 v207, v[68:69], v[70:71] offset1:1
	s_waitcnt vmcnt(30)
	ds_write2_b64 v180, v[64:65], v[66:67] offset0:36 offset1:37
	s_waitcnt vmcnt(29)
	ds_write2_b64 v180, v[60:61], v[62:63] offset0:38 offset1:39
	;; [unrolled: 2-line block ×18, first 2 shown]
	ds_read2_b64 v[144:147], v207 offset1:1
	s_waitcnt lgkmcnt(0)
	v_cmp_neq_f64_e32 vcc, 0, v[144:145]
	v_cmp_neq_f64_e64 s[2:3], 0, v[146:147]
	s_or_b64 s[2:3], vcc, s[2:3]
	s_and_b64 exec, exec, s[2:3]
	s_cbranch_execz .LBB71_161
; %bb.156:
	v_cmp_ngt_f64_e64 s[2:3], |v[144:145]|, |v[146:147]|
                                        ; implicit-def: $vgpr148_vgpr149
	s_and_saveexec_b64 s[10:11], s[2:3]
	s_xor_b64 s[2:3], exec, s[10:11]
                                        ; implicit-def: $vgpr150_vgpr151
	s_cbranch_execz .LBB71_158
; %bb.157:
	v_div_scale_f64 v[148:149], s[10:11], v[146:147], v[146:147], v[144:145]
	v_rcp_f64_e32 v[150:151], v[148:149]
	v_div_scale_f64 v[152:153], vcc, v[144:145], v[146:147], v[144:145]
	v_fma_f64 v[154:155], -v[148:149], v[150:151], 1.0
	v_fmac_f64_e32 v[150:151], v[150:151], v[154:155]
	v_fma_f64 v[154:155], -v[148:149], v[150:151], 1.0
	v_fmac_f64_e32 v[150:151], v[150:151], v[154:155]
	v_mul_f64 v[154:155], v[152:153], v[150:151]
	v_fma_f64 v[148:149], -v[148:149], v[154:155], v[152:153]
	v_div_fmas_f64 v[148:149], v[148:149], v[150:151], v[154:155]
	v_div_fixup_f64 v[148:149], v[148:149], v[146:147], v[144:145]
	v_fmac_f64_e32 v[146:147], v[144:145], v[148:149]
	v_div_scale_f64 v[144:145], s[10:11], v[146:147], v[146:147], 1.0
	v_rcp_f64_e32 v[150:151], v[144:145]
	s_nop 0
	v_fma_f64 v[152:153], -v[144:145], v[150:151], 1.0
	v_fmac_f64_e32 v[150:151], v[150:151], v[152:153]
	v_fma_f64 v[152:153], -v[144:145], v[150:151], 1.0
	v_fmac_f64_e32 v[150:151], v[150:151], v[152:153]
	v_div_scale_f64 v[152:153], vcc, 1.0, v[146:147], 1.0
	v_mul_f64 v[154:155], v[152:153], v[150:151]
	v_fma_f64 v[144:145], -v[144:145], v[154:155], v[152:153]
	s_nop 1
	v_div_fmas_f64 v[144:145], v[144:145], v[150:151], v[154:155]
	v_div_fixup_f64 v[150:151], v[144:145], v[146:147], 1.0
	v_mul_f64 v[148:149], v[148:149], v[150:151]
	v_xor_b32_e32 v151, 0x80000000, v151
                                        ; implicit-def: $vgpr144_vgpr145
.LBB71_158:
	s_andn2_saveexec_b64 s[2:3], s[2:3]
	s_cbranch_execz .LBB71_160
; %bb.159:
	v_div_scale_f64 v[148:149], s[10:11], v[144:145], v[144:145], v[146:147]
	v_rcp_f64_e32 v[150:151], v[148:149]
	v_div_scale_f64 v[152:153], vcc, v[146:147], v[144:145], v[146:147]
	v_fma_f64 v[154:155], -v[148:149], v[150:151], 1.0
	v_fmac_f64_e32 v[150:151], v[150:151], v[154:155]
	v_fma_f64 v[154:155], -v[148:149], v[150:151], 1.0
	v_fmac_f64_e32 v[150:151], v[150:151], v[154:155]
	v_mul_f64 v[154:155], v[152:153], v[150:151]
	v_fma_f64 v[148:149], -v[148:149], v[154:155], v[152:153]
	v_div_fmas_f64 v[148:149], v[148:149], v[150:151], v[154:155]
	v_div_fixup_f64 v[150:151], v[148:149], v[144:145], v[146:147]
	v_fmac_f64_e32 v[144:145], v[146:147], v[150:151]
	v_div_scale_f64 v[146:147], s[10:11], v[144:145], v[144:145], 1.0
	v_rcp_f64_e32 v[148:149], v[146:147]
	s_nop 0
	v_fma_f64 v[152:153], -v[146:147], v[148:149], 1.0
	v_fmac_f64_e32 v[148:149], v[148:149], v[152:153]
	v_fma_f64 v[152:153], -v[146:147], v[148:149], 1.0
	v_fmac_f64_e32 v[148:149], v[148:149], v[152:153]
	v_div_scale_f64 v[152:153], vcc, 1.0, v[144:145], 1.0
	v_mul_f64 v[154:155], v[152:153], v[148:149]
	v_fma_f64 v[146:147], -v[146:147], v[154:155], v[152:153]
	s_nop 1
	v_div_fmas_f64 v[146:147], v[146:147], v[148:149], v[154:155]
	v_div_fixup_f64 v[148:149], v[146:147], v[144:145], 1.0
	v_mul_f64 v[150:151], v[150:151], -v[148:149]
.LBB71_160:
	s_or_b64 exec, exec, s[2:3]
	ds_write2_b64 v207, v[148:149], v[150:151] offset1:1
.LBB71_161:
	s_or_b64 exec, exec, s[4:5]
	s_waitcnt lgkmcnt(0)
	s_barrier
	ds_read2_b64 v[144:147], v207 offset1:1
	v_cmp_lt_u32_e32 vcc, 17, v206
	s_waitcnt lgkmcnt(0)
	scratch_store_dwordx4 off, v[144:147], off offset:288 ; 16-byte Folded Spill
	s_and_saveexec_b64 s[2:3], vcc
	s_cbranch_execz .LBB71_163
; %bb.162:
	scratch_load_dwordx4 v[146:149], off, off offset:288 ; 16-byte Folded Reload
	s_waitcnt vmcnt(0)
	v_mul_f64 v[144:145], v[148:149], v[70:71]
	v_mul_f64 v[70:71], v[146:147], v[70:71]
	v_fma_f64 v[144:145], v[146:147], v[68:69], -v[144:145]
	v_fmac_f64_e32 v[70:71], v[148:149], v[68:69]
	ds_read2_b64 v[146:149], v180 offset0:36 offset1:37
	s_waitcnt lgkmcnt(0)
	v_mul_f64 v[68:69], v[148:149], v[70:71]
	v_fma_f64 v[68:69], v[146:147], v[144:145], -v[68:69]
	v_mul_f64 v[146:147], v[146:147], v[70:71]
	v_fmac_f64_e32 v[146:147], v[148:149], v[144:145]
	v_add_f64 v[66:67], v[66:67], -v[146:147]
	ds_read2_b64 v[146:149], v180 offset0:38 offset1:39
	v_add_f64 v[64:65], v[64:65], -v[68:69]
	s_waitcnt lgkmcnt(0)
	v_mul_f64 v[68:69], v[148:149], v[70:71]
	v_fma_f64 v[68:69], v[146:147], v[144:145], -v[68:69]
	v_mul_f64 v[146:147], v[146:147], v[70:71]
	v_fmac_f64_e32 v[146:147], v[148:149], v[144:145]
	v_add_f64 v[62:63], v[62:63], -v[146:147]
	ds_read2_b64 v[146:149], v180 offset0:40 offset1:41
	v_add_f64 v[60:61], v[60:61], -v[68:69]
	;; [unrolled: 8-line block ×17, first 2 shown]
	s_waitcnt lgkmcnt(0)
	v_mul_f64 v[68:69], v[148:149], v[70:71]
	v_fma_f64 v[68:69], v[146:147], v[144:145], -v[68:69]
	v_mul_f64 v[146:147], v[146:147], v[70:71]
	v_fmac_f64_e32 v[146:147], v[148:149], v[144:145]
	v_add_f64 v[140:141], v[140:141], -v[68:69]
	v_add_f64 v[142:143], v[142:143], -v[146:147]
	v_mov_b64_e32 v[68:69], v[144:145]
.LBB71_163:
	s_or_b64 exec, exec, s[2:3]
	v_cmp_eq_u32_e32 vcc, 18, v206
	s_barrier
	s_and_saveexec_b64 s[4:5], vcc
	s_cbranch_execz .LBB71_170
; %bb.164:
	s_waitcnt vmcnt(31)
	ds_write2_b64 v207, v[64:65], v[66:67] offset1:1
	s_waitcnt vmcnt(30)
	ds_write2_b64 v180, v[60:61], v[62:63] offset0:38 offset1:39
	s_waitcnt vmcnt(29)
	ds_write2_b64 v180, v[56:57], v[58:59] offset0:40 offset1:41
	;; [unrolled: 2-line block ×17, first 2 shown]
	ds_read2_b64 v[144:147], v207 offset1:1
	s_waitcnt lgkmcnt(0)
	v_cmp_neq_f64_e32 vcc, 0, v[144:145]
	v_cmp_neq_f64_e64 s[2:3], 0, v[146:147]
	s_or_b64 s[2:3], vcc, s[2:3]
	s_and_b64 exec, exec, s[2:3]
	s_cbranch_execz .LBB71_170
; %bb.165:
	v_cmp_ngt_f64_e64 s[2:3], |v[144:145]|, |v[146:147]|
                                        ; implicit-def: $vgpr148_vgpr149
	s_and_saveexec_b64 s[10:11], s[2:3]
	s_xor_b64 s[2:3], exec, s[10:11]
                                        ; implicit-def: $vgpr150_vgpr151
	s_cbranch_execz .LBB71_167
; %bb.166:
	v_div_scale_f64 v[148:149], s[10:11], v[146:147], v[146:147], v[144:145]
	v_rcp_f64_e32 v[150:151], v[148:149]
	v_div_scale_f64 v[152:153], vcc, v[144:145], v[146:147], v[144:145]
	v_fma_f64 v[154:155], -v[148:149], v[150:151], 1.0
	v_fmac_f64_e32 v[150:151], v[150:151], v[154:155]
	v_fma_f64 v[154:155], -v[148:149], v[150:151], 1.0
	v_fmac_f64_e32 v[150:151], v[150:151], v[154:155]
	v_mul_f64 v[154:155], v[152:153], v[150:151]
	v_fma_f64 v[148:149], -v[148:149], v[154:155], v[152:153]
	v_div_fmas_f64 v[148:149], v[148:149], v[150:151], v[154:155]
	v_div_fixup_f64 v[148:149], v[148:149], v[146:147], v[144:145]
	v_fmac_f64_e32 v[146:147], v[144:145], v[148:149]
	v_div_scale_f64 v[144:145], s[10:11], v[146:147], v[146:147], 1.0
	v_rcp_f64_e32 v[150:151], v[144:145]
	s_nop 0
	v_fma_f64 v[152:153], -v[144:145], v[150:151], 1.0
	v_fmac_f64_e32 v[150:151], v[150:151], v[152:153]
	v_fma_f64 v[152:153], -v[144:145], v[150:151], 1.0
	v_fmac_f64_e32 v[150:151], v[150:151], v[152:153]
	v_div_scale_f64 v[152:153], vcc, 1.0, v[146:147], 1.0
	v_mul_f64 v[154:155], v[152:153], v[150:151]
	v_fma_f64 v[144:145], -v[144:145], v[154:155], v[152:153]
	s_nop 1
	v_div_fmas_f64 v[144:145], v[144:145], v[150:151], v[154:155]
	v_div_fixup_f64 v[150:151], v[144:145], v[146:147], 1.0
	v_mul_f64 v[148:149], v[148:149], v[150:151]
	v_xor_b32_e32 v151, 0x80000000, v151
                                        ; implicit-def: $vgpr144_vgpr145
.LBB71_167:
	s_andn2_saveexec_b64 s[2:3], s[2:3]
	s_cbranch_execz .LBB71_169
; %bb.168:
	v_div_scale_f64 v[148:149], s[10:11], v[144:145], v[144:145], v[146:147]
	v_rcp_f64_e32 v[150:151], v[148:149]
	v_div_scale_f64 v[152:153], vcc, v[146:147], v[144:145], v[146:147]
	v_fma_f64 v[154:155], -v[148:149], v[150:151], 1.0
	v_fmac_f64_e32 v[150:151], v[150:151], v[154:155]
	v_fma_f64 v[154:155], -v[148:149], v[150:151], 1.0
	v_fmac_f64_e32 v[150:151], v[150:151], v[154:155]
	v_mul_f64 v[154:155], v[152:153], v[150:151]
	v_fma_f64 v[148:149], -v[148:149], v[154:155], v[152:153]
	v_div_fmas_f64 v[148:149], v[148:149], v[150:151], v[154:155]
	v_div_fixup_f64 v[150:151], v[148:149], v[144:145], v[146:147]
	v_fmac_f64_e32 v[144:145], v[146:147], v[150:151]
	v_div_scale_f64 v[146:147], s[10:11], v[144:145], v[144:145], 1.0
	v_rcp_f64_e32 v[148:149], v[146:147]
	s_nop 0
	v_fma_f64 v[152:153], -v[146:147], v[148:149], 1.0
	v_fmac_f64_e32 v[148:149], v[148:149], v[152:153]
	v_fma_f64 v[152:153], -v[146:147], v[148:149], 1.0
	v_fmac_f64_e32 v[148:149], v[148:149], v[152:153]
	v_div_scale_f64 v[152:153], vcc, 1.0, v[144:145], 1.0
	v_mul_f64 v[154:155], v[152:153], v[148:149]
	v_fma_f64 v[146:147], -v[146:147], v[154:155], v[152:153]
	s_nop 1
	v_div_fmas_f64 v[146:147], v[146:147], v[148:149], v[154:155]
	v_div_fixup_f64 v[148:149], v[146:147], v[144:145], 1.0
	v_mul_f64 v[150:151], v[150:151], -v[148:149]
.LBB71_169:
	s_or_b64 exec, exec, s[2:3]
	ds_write2_b64 v207, v[148:149], v[150:151] offset1:1
.LBB71_170:
	s_or_b64 exec, exec, s[4:5]
	s_waitcnt lgkmcnt(0)
	s_barrier
	ds_read2_b64 v[144:147], v207 offset1:1
	v_cmp_lt_u32_e32 vcc, 18, v206
	s_waitcnt lgkmcnt(0)
	scratch_store_dwordx4 off, v[144:147], off offset:304 ; 16-byte Folded Spill
	s_and_saveexec_b64 s[2:3], vcc
	s_cbranch_execz .LBB71_172
; %bb.171:
	scratch_load_dwordx4 v[146:149], off, off offset:304 ; 16-byte Folded Reload
	s_waitcnt vmcnt(0)
	v_mul_f64 v[144:145], v[148:149], v[66:67]
	v_mul_f64 v[66:67], v[146:147], v[66:67]
	v_fma_f64 v[144:145], v[146:147], v[64:65], -v[144:145]
	v_fmac_f64_e32 v[66:67], v[148:149], v[64:65]
	ds_read2_b64 v[146:149], v180 offset0:38 offset1:39
	s_waitcnt lgkmcnt(0)
	v_mul_f64 v[64:65], v[148:149], v[66:67]
	v_fma_f64 v[64:65], v[146:147], v[144:145], -v[64:65]
	v_mul_f64 v[146:147], v[146:147], v[66:67]
	v_fmac_f64_e32 v[146:147], v[148:149], v[144:145]
	v_add_f64 v[62:63], v[62:63], -v[146:147]
	ds_read2_b64 v[146:149], v180 offset0:40 offset1:41
	v_add_f64 v[60:61], v[60:61], -v[64:65]
	s_waitcnt lgkmcnt(0)
	v_mul_f64 v[64:65], v[148:149], v[66:67]
	v_fma_f64 v[64:65], v[146:147], v[144:145], -v[64:65]
	v_mul_f64 v[146:147], v[146:147], v[66:67]
	v_fmac_f64_e32 v[146:147], v[148:149], v[144:145]
	v_add_f64 v[58:59], v[58:59], -v[146:147]
	ds_read2_b64 v[146:149], v180 offset0:42 offset1:43
	v_add_f64 v[56:57], v[56:57], -v[64:65]
	;; [unrolled: 8-line block ×16, first 2 shown]
	s_waitcnt lgkmcnt(0)
	v_mul_f64 v[64:65], v[148:149], v[66:67]
	v_fma_f64 v[64:65], v[146:147], v[144:145], -v[64:65]
	v_mul_f64 v[146:147], v[146:147], v[66:67]
	v_fmac_f64_e32 v[146:147], v[148:149], v[144:145]
	v_add_f64 v[140:141], v[140:141], -v[64:65]
	v_add_f64 v[142:143], v[142:143], -v[146:147]
	v_mov_b64_e32 v[64:65], v[144:145]
.LBB71_172:
	s_or_b64 exec, exec, s[2:3]
	v_cmp_eq_u32_e32 vcc, 19, v206
	s_barrier
	s_and_saveexec_b64 s[4:5], vcc
	s_cbranch_execz .LBB71_179
; %bb.173:
	s_waitcnt vmcnt(31)
	ds_write2_b64 v207, v[60:61], v[62:63] offset1:1
	s_waitcnt vmcnt(30)
	ds_write2_b64 v180, v[56:57], v[58:59] offset0:40 offset1:41
	s_waitcnt vmcnt(29)
	ds_write2_b64 v180, v[52:53], v[54:55] offset0:42 offset1:43
	;; [unrolled: 2-line block ×16, first 2 shown]
	ds_read2_b64 v[144:147], v207 offset1:1
	s_waitcnt lgkmcnt(0)
	v_cmp_neq_f64_e32 vcc, 0, v[144:145]
	v_cmp_neq_f64_e64 s[2:3], 0, v[146:147]
	s_or_b64 s[2:3], vcc, s[2:3]
	s_and_b64 exec, exec, s[2:3]
	s_cbranch_execz .LBB71_179
; %bb.174:
	v_cmp_ngt_f64_e64 s[2:3], |v[144:145]|, |v[146:147]|
                                        ; implicit-def: $vgpr148_vgpr149
	s_and_saveexec_b64 s[10:11], s[2:3]
	s_xor_b64 s[2:3], exec, s[10:11]
                                        ; implicit-def: $vgpr150_vgpr151
	s_cbranch_execz .LBB71_176
; %bb.175:
	v_div_scale_f64 v[148:149], s[10:11], v[146:147], v[146:147], v[144:145]
	v_rcp_f64_e32 v[150:151], v[148:149]
	v_div_scale_f64 v[152:153], vcc, v[144:145], v[146:147], v[144:145]
	v_fma_f64 v[154:155], -v[148:149], v[150:151], 1.0
	v_fmac_f64_e32 v[150:151], v[150:151], v[154:155]
	v_fma_f64 v[154:155], -v[148:149], v[150:151], 1.0
	v_fmac_f64_e32 v[150:151], v[150:151], v[154:155]
	v_mul_f64 v[154:155], v[152:153], v[150:151]
	v_fma_f64 v[148:149], -v[148:149], v[154:155], v[152:153]
	v_div_fmas_f64 v[148:149], v[148:149], v[150:151], v[154:155]
	v_div_fixup_f64 v[148:149], v[148:149], v[146:147], v[144:145]
	v_fmac_f64_e32 v[146:147], v[144:145], v[148:149]
	v_div_scale_f64 v[144:145], s[10:11], v[146:147], v[146:147], 1.0
	v_rcp_f64_e32 v[150:151], v[144:145]
	s_nop 0
	v_fma_f64 v[152:153], -v[144:145], v[150:151], 1.0
	v_fmac_f64_e32 v[150:151], v[150:151], v[152:153]
	v_fma_f64 v[152:153], -v[144:145], v[150:151], 1.0
	v_fmac_f64_e32 v[150:151], v[150:151], v[152:153]
	v_div_scale_f64 v[152:153], vcc, 1.0, v[146:147], 1.0
	v_mul_f64 v[154:155], v[152:153], v[150:151]
	v_fma_f64 v[144:145], -v[144:145], v[154:155], v[152:153]
	s_nop 1
	v_div_fmas_f64 v[144:145], v[144:145], v[150:151], v[154:155]
	v_div_fixup_f64 v[150:151], v[144:145], v[146:147], 1.0
	v_mul_f64 v[148:149], v[148:149], v[150:151]
	v_xor_b32_e32 v151, 0x80000000, v151
                                        ; implicit-def: $vgpr144_vgpr145
.LBB71_176:
	s_andn2_saveexec_b64 s[2:3], s[2:3]
	s_cbranch_execz .LBB71_178
; %bb.177:
	v_div_scale_f64 v[148:149], s[10:11], v[144:145], v[144:145], v[146:147]
	v_rcp_f64_e32 v[150:151], v[148:149]
	v_div_scale_f64 v[152:153], vcc, v[146:147], v[144:145], v[146:147]
	v_fma_f64 v[154:155], -v[148:149], v[150:151], 1.0
	v_fmac_f64_e32 v[150:151], v[150:151], v[154:155]
	v_fma_f64 v[154:155], -v[148:149], v[150:151], 1.0
	v_fmac_f64_e32 v[150:151], v[150:151], v[154:155]
	v_mul_f64 v[154:155], v[152:153], v[150:151]
	v_fma_f64 v[148:149], -v[148:149], v[154:155], v[152:153]
	v_div_fmas_f64 v[148:149], v[148:149], v[150:151], v[154:155]
	v_div_fixup_f64 v[150:151], v[148:149], v[144:145], v[146:147]
	v_fmac_f64_e32 v[144:145], v[146:147], v[150:151]
	v_div_scale_f64 v[146:147], s[10:11], v[144:145], v[144:145], 1.0
	v_rcp_f64_e32 v[148:149], v[146:147]
	s_nop 0
	v_fma_f64 v[152:153], -v[146:147], v[148:149], 1.0
	v_fmac_f64_e32 v[148:149], v[148:149], v[152:153]
	v_fma_f64 v[152:153], -v[146:147], v[148:149], 1.0
	v_fmac_f64_e32 v[148:149], v[148:149], v[152:153]
	v_div_scale_f64 v[152:153], vcc, 1.0, v[144:145], 1.0
	v_mul_f64 v[154:155], v[152:153], v[148:149]
	v_fma_f64 v[146:147], -v[146:147], v[154:155], v[152:153]
	s_nop 1
	v_div_fmas_f64 v[146:147], v[146:147], v[148:149], v[154:155]
	v_div_fixup_f64 v[148:149], v[146:147], v[144:145], 1.0
	v_mul_f64 v[150:151], v[150:151], -v[148:149]
.LBB71_178:
	s_or_b64 exec, exec, s[2:3]
	ds_write2_b64 v207, v[148:149], v[150:151] offset1:1
.LBB71_179:
	s_or_b64 exec, exec, s[4:5]
	s_waitcnt lgkmcnt(0)
	s_barrier
	ds_read2_b64 v[144:147], v207 offset1:1
	v_cmp_lt_u32_e32 vcc, 19, v206
	s_waitcnt lgkmcnt(0)
	scratch_store_dwordx4 off, v[144:147], off offset:320 ; 16-byte Folded Spill
	s_and_saveexec_b64 s[2:3], vcc
	s_cbranch_execz .LBB71_181
; %bb.180:
	scratch_load_dwordx4 v[146:149], off, off offset:320 ; 16-byte Folded Reload
	s_waitcnt vmcnt(0)
	v_mul_f64 v[144:145], v[146:147], v[62:63]
	v_mul_f64 v[62:63], v[148:149], v[62:63]
	v_fmac_f64_e32 v[144:145], v[148:149], v[60:61]
	v_fma_f64 v[60:61], v[146:147], v[60:61], -v[62:63]
	ds_read2_b64 v[146:149], v180 offset0:40 offset1:41
	s_waitcnt lgkmcnt(0)
	v_mul_f64 v[62:63], v[148:149], v[144:145]
	v_fma_f64 v[62:63], v[146:147], v[60:61], -v[62:63]
	v_mul_f64 v[146:147], v[146:147], v[144:145]
	v_fmac_f64_e32 v[146:147], v[148:149], v[60:61]
	v_add_f64 v[58:59], v[58:59], -v[146:147]
	ds_read2_b64 v[146:149], v180 offset0:42 offset1:43
	v_add_f64 v[56:57], v[56:57], -v[62:63]
	s_waitcnt lgkmcnt(0)
	v_mul_f64 v[62:63], v[148:149], v[144:145]
	v_fma_f64 v[62:63], v[146:147], v[60:61], -v[62:63]
	v_mul_f64 v[146:147], v[146:147], v[144:145]
	v_fmac_f64_e32 v[146:147], v[148:149], v[60:61]
	v_add_f64 v[54:55], v[54:55], -v[146:147]
	ds_read2_b64 v[146:149], v180 offset0:44 offset1:45
	v_add_f64 v[52:53], v[52:53], -v[62:63]
	;; [unrolled: 8-line block ×15, first 2 shown]
	s_waitcnt lgkmcnt(0)
	v_mul_f64 v[62:63], v[148:149], v[144:145]
	v_fma_f64 v[62:63], v[146:147], v[60:61], -v[62:63]
	v_mul_f64 v[146:147], v[146:147], v[144:145]
	v_fmac_f64_e32 v[146:147], v[148:149], v[60:61]
	v_add_f64 v[140:141], v[140:141], -v[62:63]
	v_add_f64 v[142:143], v[142:143], -v[146:147]
	v_mov_b64_e32 v[62:63], v[144:145]
.LBB71_181:
	s_or_b64 exec, exec, s[2:3]
	v_cmp_eq_u32_e32 vcc, 20, v206
	s_barrier
	s_and_saveexec_b64 s[4:5], vcc
	s_cbranch_execz .LBB71_188
; %bb.182:
	s_waitcnt vmcnt(31)
	ds_write2_b64 v207, v[56:57], v[58:59] offset1:1
	s_waitcnt vmcnt(30)
	ds_write2_b64 v180, v[52:53], v[54:55] offset0:42 offset1:43
	s_waitcnt vmcnt(29)
	ds_write2_b64 v180, v[48:49], v[50:51] offset0:44 offset1:45
	;; [unrolled: 2-line block ×15, first 2 shown]
	ds_read2_b64 v[144:147], v207 offset1:1
	s_waitcnt lgkmcnt(0)
	v_cmp_neq_f64_e32 vcc, 0, v[144:145]
	v_cmp_neq_f64_e64 s[2:3], 0, v[146:147]
	s_or_b64 s[2:3], vcc, s[2:3]
	s_and_b64 exec, exec, s[2:3]
	s_cbranch_execz .LBB71_188
; %bb.183:
	v_cmp_ngt_f64_e64 s[2:3], |v[144:145]|, |v[146:147]|
                                        ; implicit-def: $vgpr148_vgpr149
	s_and_saveexec_b64 s[10:11], s[2:3]
	s_xor_b64 s[2:3], exec, s[10:11]
                                        ; implicit-def: $vgpr150_vgpr151
	s_cbranch_execz .LBB71_185
; %bb.184:
	v_div_scale_f64 v[148:149], s[10:11], v[146:147], v[146:147], v[144:145]
	v_rcp_f64_e32 v[150:151], v[148:149]
	v_div_scale_f64 v[152:153], vcc, v[144:145], v[146:147], v[144:145]
	v_fma_f64 v[154:155], -v[148:149], v[150:151], 1.0
	v_fmac_f64_e32 v[150:151], v[150:151], v[154:155]
	v_fma_f64 v[154:155], -v[148:149], v[150:151], 1.0
	v_fmac_f64_e32 v[150:151], v[150:151], v[154:155]
	v_mul_f64 v[154:155], v[152:153], v[150:151]
	v_fma_f64 v[148:149], -v[148:149], v[154:155], v[152:153]
	v_div_fmas_f64 v[148:149], v[148:149], v[150:151], v[154:155]
	v_div_fixup_f64 v[148:149], v[148:149], v[146:147], v[144:145]
	v_fmac_f64_e32 v[146:147], v[144:145], v[148:149]
	v_div_scale_f64 v[144:145], s[10:11], v[146:147], v[146:147], 1.0
	v_rcp_f64_e32 v[150:151], v[144:145]
	s_nop 0
	v_fma_f64 v[152:153], -v[144:145], v[150:151], 1.0
	v_fmac_f64_e32 v[150:151], v[150:151], v[152:153]
	v_fma_f64 v[152:153], -v[144:145], v[150:151], 1.0
	v_fmac_f64_e32 v[150:151], v[150:151], v[152:153]
	v_div_scale_f64 v[152:153], vcc, 1.0, v[146:147], 1.0
	v_mul_f64 v[154:155], v[152:153], v[150:151]
	v_fma_f64 v[144:145], -v[144:145], v[154:155], v[152:153]
	s_nop 1
	v_div_fmas_f64 v[144:145], v[144:145], v[150:151], v[154:155]
	v_div_fixup_f64 v[150:151], v[144:145], v[146:147], 1.0
	v_mul_f64 v[148:149], v[148:149], v[150:151]
	v_xor_b32_e32 v151, 0x80000000, v151
                                        ; implicit-def: $vgpr144_vgpr145
.LBB71_185:
	s_andn2_saveexec_b64 s[2:3], s[2:3]
	s_cbranch_execz .LBB71_187
; %bb.186:
	v_div_scale_f64 v[148:149], s[10:11], v[144:145], v[144:145], v[146:147]
	v_rcp_f64_e32 v[150:151], v[148:149]
	v_div_scale_f64 v[152:153], vcc, v[146:147], v[144:145], v[146:147]
	v_fma_f64 v[154:155], -v[148:149], v[150:151], 1.0
	v_fmac_f64_e32 v[150:151], v[150:151], v[154:155]
	v_fma_f64 v[154:155], -v[148:149], v[150:151], 1.0
	v_fmac_f64_e32 v[150:151], v[150:151], v[154:155]
	v_mul_f64 v[154:155], v[152:153], v[150:151]
	v_fma_f64 v[148:149], -v[148:149], v[154:155], v[152:153]
	v_div_fmas_f64 v[148:149], v[148:149], v[150:151], v[154:155]
	v_div_fixup_f64 v[150:151], v[148:149], v[144:145], v[146:147]
	v_fmac_f64_e32 v[144:145], v[146:147], v[150:151]
	v_div_scale_f64 v[146:147], s[10:11], v[144:145], v[144:145], 1.0
	v_rcp_f64_e32 v[148:149], v[146:147]
	s_nop 0
	v_fma_f64 v[152:153], -v[146:147], v[148:149], 1.0
	v_fmac_f64_e32 v[148:149], v[148:149], v[152:153]
	v_fma_f64 v[152:153], -v[146:147], v[148:149], 1.0
	v_fmac_f64_e32 v[148:149], v[148:149], v[152:153]
	v_div_scale_f64 v[152:153], vcc, 1.0, v[144:145], 1.0
	v_mul_f64 v[154:155], v[152:153], v[148:149]
	v_fma_f64 v[146:147], -v[146:147], v[154:155], v[152:153]
	s_nop 1
	v_div_fmas_f64 v[146:147], v[146:147], v[148:149], v[154:155]
	v_div_fixup_f64 v[148:149], v[146:147], v[144:145], 1.0
	v_mul_f64 v[150:151], v[150:151], -v[148:149]
.LBB71_187:
	s_or_b64 exec, exec, s[2:3]
	ds_write2_b64 v207, v[148:149], v[150:151] offset1:1
.LBB71_188:
	s_or_b64 exec, exec, s[4:5]
	s_waitcnt lgkmcnt(0)
	s_barrier
	ds_read2_b64 v[144:147], v207 offset1:1
	v_cmp_lt_u32_e32 vcc, 20, v206
	s_waitcnt lgkmcnt(0)
	scratch_store_dwordx4 off, v[144:147], off offset:336 ; 16-byte Folded Spill
	s_and_saveexec_b64 s[2:3], vcc
	s_cbranch_execz .LBB71_190
; %bb.189:
	scratch_load_dwordx4 v[146:149], off, off offset:336 ; 16-byte Folded Reload
	s_waitcnt vmcnt(0)
	v_mul_f64 v[144:145], v[146:147], v[58:59]
	v_mul_f64 v[58:59], v[148:149], v[58:59]
	v_fmac_f64_e32 v[144:145], v[148:149], v[56:57]
	v_fma_f64 v[56:57], v[146:147], v[56:57], -v[58:59]
	ds_read2_b64 v[146:149], v180 offset0:42 offset1:43
	s_waitcnt lgkmcnt(0)
	v_mul_f64 v[58:59], v[148:149], v[144:145]
	v_fma_f64 v[58:59], v[146:147], v[56:57], -v[58:59]
	v_mul_f64 v[146:147], v[146:147], v[144:145]
	v_fmac_f64_e32 v[146:147], v[148:149], v[56:57]
	v_add_f64 v[54:55], v[54:55], -v[146:147]
	ds_read2_b64 v[146:149], v180 offset0:44 offset1:45
	v_add_f64 v[52:53], v[52:53], -v[58:59]
	s_waitcnt lgkmcnt(0)
	v_mul_f64 v[58:59], v[148:149], v[144:145]
	v_fma_f64 v[58:59], v[146:147], v[56:57], -v[58:59]
	v_mul_f64 v[146:147], v[146:147], v[144:145]
	v_fmac_f64_e32 v[146:147], v[148:149], v[56:57]
	v_add_f64 v[50:51], v[50:51], -v[146:147]
	ds_read2_b64 v[146:149], v180 offset0:46 offset1:47
	v_add_f64 v[48:49], v[48:49], -v[58:59]
	;; [unrolled: 8-line block ×14, first 2 shown]
	s_waitcnt lgkmcnt(0)
	v_mul_f64 v[58:59], v[148:149], v[144:145]
	v_fma_f64 v[58:59], v[146:147], v[56:57], -v[58:59]
	v_mul_f64 v[146:147], v[146:147], v[144:145]
	v_fmac_f64_e32 v[146:147], v[148:149], v[56:57]
	v_add_f64 v[140:141], v[140:141], -v[58:59]
	v_add_f64 v[142:143], v[142:143], -v[146:147]
	v_mov_b64_e32 v[58:59], v[144:145]
.LBB71_190:
	s_or_b64 exec, exec, s[2:3]
	v_cmp_eq_u32_e32 vcc, 21, v206
	s_waitcnt vmcnt(63) expcnt(7) lgkmcnt(15)
	s_barrier
	s_and_saveexec_b64 s[4:5], vcc
	s_cbranch_execz .LBB71_197
; %bb.191:
	s_waitcnt vmcnt(31)
	ds_write2_b64 v207, v[52:53], v[54:55] offset1:1
	s_waitcnt vmcnt(30)
	ds_write2_b64 v180, v[48:49], v[50:51] offset0:44 offset1:45
	s_waitcnt vmcnt(29)
	ds_write2_b64 v180, v[44:45], v[46:47] offset0:46 offset1:47
	s_waitcnt vmcnt(28)
	ds_write2_b64 v180, v[40:41], v[42:43] offset0:48 offset1:49
	s_waitcnt vmcnt(27)
	ds_write2_b64 v180, v[36:37], v[38:39] offset0:50 offset1:51
	s_waitcnt vmcnt(26)
	ds_write2_b64 v180, v[32:33], v[34:35] offset0:52 offset1:53
	s_waitcnt vmcnt(25)
	ds_write2_b64 v180, v[28:29], v[30:31] offset0:54 offset1:55
	s_waitcnt vmcnt(24)
	ds_write2_b64 v180, v[24:25], v[26:27] offset0:56 offset1:57
	s_waitcnt vmcnt(23)
	ds_write2_b64 v180, v[20:21], v[22:23] offset0:58 offset1:59
	s_waitcnt vmcnt(22)
	ds_write2_b64 v180, v[16:17], v[18:19] offset0:60 offset1:61
	s_waitcnt vmcnt(21)
	ds_write2_b64 v180, v[12:13], v[14:15] offset0:62 offset1:63
	s_waitcnt vmcnt(20)
	ds_write2_b64 v180, v[8:9], v[10:11] offset0:64 offset1:65
	s_waitcnt vmcnt(19)
	ds_write2_b64 v180, v[4:5], v[6:7] offset0:66 offset1:67
	s_waitcnt vmcnt(18)
	ds_write2_b64 v180, v[0:1], v[2:3] offset0:68 offset1:69
	s_waitcnt vmcnt(17)
	ds_write2_b64 v180, v[140:141], v[142:143] offset0:70 offset1:71
	ds_read2_b64 v[144:147], v207 offset1:1
	s_waitcnt lgkmcnt(0)
	v_cmp_neq_f64_e32 vcc, 0, v[144:145]
	v_cmp_neq_f64_e64 s[2:3], 0, v[146:147]
	s_or_b64 s[2:3], vcc, s[2:3]
	s_and_b64 exec, exec, s[2:3]
	s_cbranch_execz .LBB71_197
; %bb.192:
	v_cmp_ngt_f64_e64 s[2:3], |v[144:145]|, |v[146:147]|
                                        ; implicit-def: $vgpr148_vgpr149
	s_and_saveexec_b64 s[10:11], s[2:3]
	s_xor_b64 s[2:3], exec, s[10:11]
                                        ; implicit-def: $vgpr150_vgpr151
	s_cbranch_execz .LBB71_194
; %bb.193:
	v_div_scale_f64 v[148:149], s[10:11], v[146:147], v[146:147], v[144:145]
	v_rcp_f64_e32 v[150:151], v[148:149]
	v_div_scale_f64 v[152:153], vcc, v[144:145], v[146:147], v[144:145]
	v_fma_f64 v[154:155], -v[148:149], v[150:151], 1.0
	v_fmac_f64_e32 v[150:151], v[150:151], v[154:155]
	v_fma_f64 v[154:155], -v[148:149], v[150:151], 1.0
	v_fmac_f64_e32 v[150:151], v[150:151], v[154:155]
	v_mul_f64 v[154:155], v[152:153], v[150:151]
	v_fma_f64 v[148:149], -v[148:149], v[154:155], v[152:153]
	v_div_fmas_f64 v[148:149], v[148:149], v[150:151], v[154:155]
	v_div_fixup_f64 v[148:149], v[148:149], v[146:147], v[144:145]
	v_fmac_f64_e32 v[146:147], v[144:145], v[148:149]
	v_div_scale_f64 v[144:145], s[10:11], v[146:147], v[146:147], 1.0
	v_rcp_f64_e32 v[150:151], v[144:145]
	s_nop 0
	v_fma_f64 v[152:153], -v[144:145], v[150:151], 1.0
	v_fmac_f64_e32 v[150:151], v[150:151], v[152:153]
	v_fma_f64 v[152:153], -v[144:145], v[150:151], 1.0
	v_fmac_f64_e32 v[150:151], v[150:151], v[152:153]
	v_div_scale_f64 v[152:153], vcc, 1.0, v[146:147], 1.0
	v_mul_f64 v[154:155], v[152:153], v[150:151]
	v_fma_f64 v[144:145], -v[144:145], v[154:155], v[152:153]
	s_nop 1
	v_div_fmas_f64 v[144:145], v[144:145], v[150:151], v[154:155]
	v_div_fixup_f64 v[150:151], v[144:145], v[146:147], 1.0
	v_mul_f64 v[148:149], v[148:149], v[150:151]
	v_xor_b32_e32 v151, 0x80000000, v151
                                        ; implicit-def: $vgpr144_vgpr145
.LBB71_194:
	s_andn2_saveexec_b64 s[2:3], s[2:3]
	s_cbranch_execz .LBB71_196
; %bb.195:
	v_div_scale_f64 v[148:149], s[10:11], v[144:145], v[144:145], v[146:147]
	v_rcp_f64_e32 v[150:151], v[148:149]
	v_div_scale_f64 v[152:153], vcc, v[146:147], v[144:145], v[146:147]
	v_fma_f64 v[154:155], -v[148:149], v[150:151], 1.0
	v_fmac_f64_e32 v[150:151], v[150:151], v[154:155]
	v_fma_f64 v[154:155], -v[148:149], v[150:151], 1.0
	v_fmac_f64_e32 v[150:151], v[150:151], v[154:155]
	v_mul_f64 v[154:155], v[152:153], v[150:151]
	v_fma_f64 v[148:149], -v[148:149], v[154:155], v[152:153]
	v_div_fmas_f64 v[148:149], v[148:149], v[150:151], v[154:155]
	v_div_fixup_f64 v[150:151], v[148:149], v[144:145], v[146:147]
	v_fmac_f64_e32 v[144:145], v[146:147], v[150:151]
	v_div_scale_f64 v[146:147], s[10:11], v[144:145], v[144:145], 1.0
	v_rcp_f64_e32 v[148:149], v[146:147]
	s_nop 0
	v_fma_f64 v[152:153], -v[146:147], v[148:149], 1.0
	v_fmac_f64_e32 v[148:149], v[148:149], v[152:153]
	v_fma_f64 v[152:153], -v[146:147], v[148:149], 1.0
	v_fmac_f64_e32 v[148:149], v[148:149], v[152:153]
	v_div_scale_f64 v[152:153], vcc, 1.0, v[144:145], 1.0
	v_mul_f64 v[154:155], v[152:153], v[148:149]
	v_fma_f64 v[146:147], -v[146:147], v[154:155], v[152:153]
	s_nop 1
	v_div_fmas_f64 v[146:147], v[146:147], v[148:149], v[154:155]
	v_div_fixup_f64 v[148:149], v[146:147], v[144:145], 1.0
	v_mul_f64 v[150:151], v[150:151], -v[148:149]
.LBB71_196:
	s_or_b64 exec, exec, s[2:3]
	ds_write2_b64 v207, v[148:149], v[150:151] offset1:1
.LBB71_197:
	s_or_b64 exec, exec, s[4:5]
	s_waitcnt lgkmcnt(0)
	s_barrier
	ds_read2_b64 v[144:147], v207 offset1:1
	v_cmp_lt_u32_e32 vcc, 21, v206
	s_waitcnt lgkmcnt(0)
	scratch_store_dwordx4 off, v[144:147], off offset:352 ; 16-byte Folded Spill
	s_and_saveexec_b64 s[2:3], vcc
	s_cbranch_execz .LBB71_199
; %bb.198:
	scratch_load_dwordx4 v[146:149], off, off offset:352 ; 16-byte Folded Reload
	s_waitcnt vmcnt(0)
	v_mul_f64 v[144:145], v[146:147], v[54:55]
	v_mul_f64 v[54:55], v[148:149], v[54:55]
	v_fmac_f64_e32 v[144:145], v[148:149], v[52:53]
	v_fma_f64 v[52:53], v[146:147], v[52:53], -v[54:55]
	ds_read2_b64 v[146:149], v180 offset0:44 offset1:45
	s_waitcnt lgkmcnt(0)
	v_mul_f64 v[54:55], v[148:149], v[144:145]
	v_fma_f64 v[54:55], v[146:147], v[52:53], -v[54:55]
	v_mul_f64 v[146:147], v[146:147], v[144:145]
	v_fmac_f64_e32 v[146:147], v[148:149], v[52:53]
	v_add_f64 v[50:51], v[50:51], -v[146:147]
	ds_read2_b64 v[146:149], v180 offset0:46 offset1:47
	v_add_f64 v[48:49], v[48:49], -v[54:55]
	s_waitcnt lgkmcnt(0)
	v_mul_f64 v[54:55], v[148:149], v[144:145]
	v_fma_f64 v[54:55], v[146:147], v[52:53], -v[54:55]
	v_mul_f64 v[146:147], v[146:147], v[144:145]
	v_fmac_f64_e32 v[146:147], v[148:149], v[52:53]
	v_add_f64 v[46:47], v[46:47], -v[146:147]
	ds_read2_b64 v[146:149], v180 offset0:48 offset1:49
	v_add_f64 v[44:45], v[44:45], -v[54:55]
	;; [unrolled: 8-line block ×13, first 2 shown]
	s_waitcnt lgkmcnt(0)
	v_mul_f64 v[54:55], v[148:149], v[144:145]
	v_fma_f64 v[54:55], v[146:147], v[52:53], -v[54:55]
	v_mul_f64 v[146:147], v[146:147], v[144:145]
	v_fmac_f64_e32 v[146:147], v[148:149], v[52:53]
	v_add_f64 v[140:141], v[140:141], -v[54:55]
	v_add_f64 v[142:143], v[142:143], -v[146:147]
	v_mov_b64_e32 v[54:55], v[144:145]
.LBB71_199:
	s_or_b64 exec, exec, s[2:3]
	v_cmp_eq_u32_e32 vcc, 22, v206
	s_waitcnt vmcnt(63) expcnt(7) lgkmcnt(15)
	s_barrier
	s_and_saveexec_b64 s[4:5], vcc
	s_cbranch_execz .LBB71_206
; %bb.200:
	s_waitcnt vmcnt(31)
	ds_write2_b64 v207, v[48:49], v[50:51] offset1:1
	s_waitcnt vmcnt(30)
	ds_write2_b64 v180, v[44:45], v[46:47] offset0:46 offset1:47
	s_waitcnt vmcnt(29)
	ds_write2_b64 v180, v[40:41], v[42:43] offset0:48 offset1:49
	;; [unrolled: 2-line block ×13, first 2 shown]
	ds_read2_b64 v[144:147], v207 offset1:1
	s_waitcnt lgkmcnt(0)
	v_cmp_neq_f64_e32 vcc, 0, v[144:145]
	v_cmp_neq_f64_e64 s[2:3], 0, v[146:147]
	s_or_b64 s[2:3], vcc, s[2:3]
	s_and_b64 exec, exec, s[2:3]
	s_cbranch_execz .LBB71_206
; %bb.201:
	v_cmp_ngt_f64_e64 s[2:3], |v[144:145]|, |v[146:147]|
                                        ; implicit-def: $vgpr148_vgpr149
	s_and_saveexec_b64 s[10:11], s[2:3]
	s_xor_b64 s[2:3], exec, s[10:11]
                                        ; implicit-def: $vgpr150_vgpr151
	s_cbranch_execz .LBB71_203
; %bb.202:
	v_div_scale_f64 v[148:149], s[10:11], v[146:147], v[146:147], v[144:145]
	v_rcp_f64_e32 v[150:151], v[148:149]
	v_div_scale_f64 v[152:153], vcc, v[144:145], v[146:147], v[144:145]
	v_fma_f64 v[154:155], -v[148:149], v[150:151], 1.0
	v_fmac_f64_e32 v[150:151], v[150:151], v[154:155]
	v_fma_f64 v[154:155], -v[148:149], v[150:151], 1.0
	v_fmac_f64_e32 v[150:151], v[150:151], v[154:155]
	v_mul_f64 v[154:155], v[152:153], v[150:151]
	v_fma_f64 v[148:149], -v[148:149], v[154:155], v[152:153]
	v_div_fmas_f64 v[148:149], v[148:149], v[150:151], v[154:155]
	v_div_fixup_f64 v[148:149], v[148:149], v[146:147], v[144:145]
	v_fmac_f64_e32 v[146:147], v[144:145], v[148:149]
	v_div_scale_f64 v[144:145], s[10:11], v[146:147], v[146:147], 1.0
	v_rcp_f64_e32 v[150:151], v[144:145]
	s_nop 0
	v_fma_f64 v[152:153], -v[144:145], v[150:151], 1.0
	v_fmac_f64_e32 v[150:151], v[150:151], v[152:153]
	v_fma_f64 v[152:153], -v[144:145], v[150:151], 1.0
	v_fmac_f64_e32 v[150:151], v[150:151], v[152:153]
	v_div_scale_f64 v[152:153], vcc, 1.0, v[146:147], 1.0
	v_mul_f64 v[154:155], v[152:153], v[150:151]
	v_fma_f64 v[144:145], -v[144:145], v[154:155], v[152:153]
	s_nop 1
	v_div_fmas_f64 v[144:145], v[144:145], v[150:151], v[154:155]
	v_div_fixup_f64 v[150:151], v[144:145], v[146:147], 1.0
	v_mul_f64 v[148:149], v[148:149], v[150:151]
	v_xor_b32_e32 v151, 0x80000000, v151
                                        ; implicit-def: $vgpr144_vgpr145
.LBB71_203:
	s_andn2_saveexec_b64 s[2:3], s[2:3]
	s_cbranch_execz .LBB71_205
; %bb.204:
	v_div_scale_f64 v[148:149], s[10:11], v[144:145], v[144:145], v[146:147]
	v_rcp_f64_e32 v[150:151], v[148:149]
	v_div_scale_f64 v[152:153], vcc, v[146:147], v[144:145], v[146:147]
	v_fma_f64 v[154:155], -v[148:149], v[150:151], 1.0
	v_fmac_f64_e32 v[150:151], v[150:151], v[154:155]
	v_fma_f64 v[154:155], -v[148:149], v[150:151], 1.0
	v_fmac_f64_e32 v[150:151], v[150:151], v[154:155]
	v_mul_f64 v[154:155], v[152:153], v[150:151]
	v_fma_f64 v[148:149], -v[148:149], v[154:155], v[152:153]
	v_div_fmas_f64 v[148:149], v[148:149], v[150:151], v[154:155]
	v_div_fixup_f64 v[150:151], v[148:149], v[144:145], v[146:147]
	v_fmac_f64_e32 v[144:145], v[146:147], v[150:151]
	v_div_scale_f64 v[146:147], s[10:11], v[144:145], v[144:145], 1.0
	v_rcp_f64_e32 v[148:149], v[146:147]
	s_nop 0
	v_fma_f64 v[152:153], -v[146:147], v[148:149], 1.0
	v_fmac_f64_e32 v[148:149], v[148:149], v[152:153]
	v_fma_f64 v[152:153], -v[146:147], v[148:149], 1.0
	v_fmac_f64_e32 v[148:149], v[148:149], v[152:153]
	v_div_scale_f64 v[152:153], vcc, 1.0, v[144:145], 1.0
	v_mul_f64 v[154:155], v[152:153], v[148:149]
	v_fma_f64 v[146:147], -v[146:147], v[154:155], v[152:153]
	s_nop 1
	v_div_fmas_f64 v[146:147], v[146:147], v[148:149], v[154:155]
	v_div_fixup_f64 v[148:149], v[146:147], v[144:145], 1.0
	v_mul_f64 v[150:151], v[150:151], -v[148:149]
.LBB71_205:
	s_or_b64 exec, exec, s[2:3]
	ds_write2_b64 v207, v[148:149], v[150:151] offset1:1
.LBB71_206:
	s_or_b64 exec, exec, s[4:5]
	s_waitcnt lgkmcnt(0)
	s_barrier
	ds_read2_b64 v[144:147], v207 offset1:1
	v_cmp_lt_u32_e32 vcc, 22, v206
	s_waitcnt lgkmcnt(0)
	scratch_store_dwordx4 off, v[144:147], off offset:368 ; 16-byte Folded Spill
	s_and_saveexec_b64 s[2:3], vcc
	s_cbranch_execz .LBB71_208
; %bb.207:
	scratch_load_dwordx4 v[146:149], off, off offset:368 ; 16-byte Folded Reload
	s_waitcnt vmcnt(0)
	v_mul_f64 v[144:145], v[146:147], v[50:51]
	v_mul_f64 v[50:51], v[148:149], v[50:51]
	v_fmac_f64_e32 v[144:145], v[148:149], v[48:49]
	v_fma_f64 v[48:49], v[146:147], v[48:49], -v[50:51]
	ds_read2_b64 v[146:149], v180 offset0:46 offset1:47
	s_waitcnt lgkmcnt(0)
	v_mul_f64 v[50:51], v[148:149], v[144:145]
	v_fma_f64 v[50:51], v[146:147], v[48:49], -v[50:51]
	v_mul_f64 v[146:147], v[146:147], v[144:145]
	v_fmac_f64_e32 v[146:147], v[148:149], v[48:49]
	v_add_f64 v[46:47], v[46:47], -v[146:147]
	ds_read2_b64 v[146:149], v180 offset0:48 offset1:49
	v_add_f64 v[44:45], v[44:45], -v[50:51]
	s_waitcnt lgkmcnt(0)
	v_mul_f64 v[50:51], v[148:149], v[144:145]
	v_fma_f64 v[50:51], v[146:147], v[48:49], -v[50:51]
	v_mul_f64 v[146:147], v[146:147], v[144:145]
	v_fmac_f64_e32 v[146:147], v[148:149], v[48:49]
	v_add_f64 v[42:43], v[42:43], -v[146:147]
	ds_read2_b64 v[146:149], v180 offset0:50 offset1:51
	v_add_f64 v[40:41], v[40:41], -v[50:51]
	;; [unrolled: 8-line block ×12, first 2 shown]
	s_waitcnt lgkmcnt(0)
	v_mul_f64 v[50:51], v[148:149], v[144:145]
	v_fma_f64 v[50:51], v[146:147], v[48:49], -v[50:51]
	v_mul_f64 v[146:147], v[146:147], v[144:145]
	v_fmac_f64_e32 v[146:147], v[148:149], v[48:49]
	v_add_f64 v[140:141], v[140:141], -v[50:51]
	v_add_f64 v[142:143], v[142:143], -v[146:147]
	v_mov_b64_e32 v[50:51], v[144:145]
.LBB71_208:
	s_or_b64 exec, exec, s[2:3]
	v_cmp_eq_u32_e32 vcc, 23, v206
	s_waitcnt vmcnt(63) expcnt(7) lgkmcnt(15)
	s_barrier
	s_and_saveexec_b64 s[4:5], vcc
	s_cbranch_execz .LBB71_215
; %bb.209:
	s_waitcnt vmcnt(31)
	ds_write2_b64 v207, v[44:45], v[46:47] offset1:1
	s_waitcnt vmcnt(30)
	ds_write2_b64 v180, v[40:41], v[42:43] offset0:48 offset1:49
	s_waitcnt vmcnt(29)
	ds_write2_b64 v180, v[36:37], v[38:39] offset0:50 offset1:51
	;; [unrolled: 2-line block ×12, first 2 shown]
	ds_read2_b64 v[144:147], v207 offset1:1
	s_waitcnt lgkmcnt(0)
	v_cmp_neq_f64_e32 vcc, 0, v[144:145]
	v_cmp_neq_f64_e64 s[2:3], 0, v[146:147]
	s_or_b64 s[2:3], vcc, s[2:3]
	s_and_b64 exec, exec, s[2:3]
	s_cbranch_execz .LBB71_215
; %bb.210:
	v_cmp_ngt_f64_e64 s[2:3], |v[144:145]|, |v[146:147]|
                                        ; implicit-def: $vgpr148_vgpr149
	s_and_saveexec_b64 s[10:11], s[2:3]
	s_xor_b64 s[2:3], exec, s[10:11]
                                        ; implicit-def: $vgpr150_vgpr151
	s_cbranch_execz .LBB71_212
; %bb.211:
	v_div_scale_f64 v[148:149], s[10:11], v[146:147], v[146:147], v[144:145]
	v_rcp_f64_e32 v[150:151], v[148:149]
	v_div_scale_f64 v[152:153], vcc, v[144:145], v[146:147], v[144:145]
	v_fma_f64 v[154:155], -v[148:149], v[150:151], 1.0
	v_fmac_f64_e32 v[150:151], v[150:151], v[154:155]
	v_fma_f64 v[154:155], -v[148:149], v[150:151], 1.0
	v_fmac_f64_e32 v[150:151], v[150:151], v[154:155]
	v_mul_f64 v[154:155], v[152:153], v[150:151]
	v_fma_f64 v[148:149], -v[148:149], v[154:155], v[152:153]
	v_div_fmas_f64 v[148:149], v[148:149], v[150:151], v[154:155]
	v_div_fixup_f64 v[148:149], v[148:149], v[146:147], v[144:145]
	v_fmac_f64_e32 v[146:147], v[144:145], v[148:149]
	v_div_scale_f64 v[144:145], s[10:11], v[146:147], v[146:147], 1.0
	v_rcp_f64_e32 v[150:151], v[144:145]
	s_nop 0
	v_fma_f64 v[152:153], -v[144:145], v[150:151], 1.0
	v_fmac_f64_e32 v[150:151], v[150:151], v[152:153]
	v_fma_f64 v[152:153], -v[144:145], v[150:151], 1.0
	v_fmac_f64_e32 v[150:151], v[150:151], v[152:153]
	v_div_scale_f64 v[152:153], vcc, 1.0, v[146:147], 1.0
	v_mul_f64 v[154:155], v[152:153], v[150:151]
	v_fma_f64 v[144:145], -v[144:145], v[154:155], v[152:153]
	s_nop 1
	v_div_fmas_f64 v[144:145], v[144:145], v[150:151], v[154:155]
	v_div_fixup_f64 v[150:151], v[144:145], v[146:147], 1.0
	v_mul_f64 v[148:149], v[148:149], v[150:151]
	v_xor_b32_e32 v151, 0x80000000, v151
                                        ; implicit-def: $vgpr144_vgpr145
.LBB71_212:
	s_andn2_saveexec_b64 s[2:3], s[2:3]
	s_cbranch_execz .LBB71_214
; %bb.213:
	v_div_scale_f64 v[148:149], s[10:11], v[144:145], v[144:145], v[146:147]
	v_rcp_f64_e32 v[150:151], v[148:149]
	v_div_scale_f64 v[152:153], vcc, v[146:147], v[144:145], v[146:147]
	v_fma_f64 v[154:155], -v[148:149], v[150:151], 1.0
	v_fmac_f64_e32 v[150:151], v[150:151], v[154:155]
	v_fma_f64 v[154:155], -v[148:149], v[150:151], 1.0
	v_fmac_f64_e32 v[150:151], v[150:151], v[154:155]
	v_mul_f64 v[154:155], v[152:153], v[150:151]
	v_fma_f64 v[148:149], -v[148:149], v[154:155], v[152:153]
	v_div_fmas_f64 v[148:149], v[148:149], v[150:151], v[154:155]
	v_div_fixup_f64 v[150:151], v[148:149], v[144:145], v[146:147]
	v_fmac_f64_e32 v[144:145], v[146:147], v[150:151]
	v_div_scale_f64 v[146:147], s[10:11], v[144:145], v[144:145], 1.0
	v_rcp_f64_e32 v[148:149], v[146:147]
	s_nop 0
	v_fma_f64 v[152:153], -v[146:147], v[148:149], 1.0
	v_fmac_f64_e32 v[148:149], v[148:149], v[152:153]
	v_fma_f64 v[152:153], -v[146:147], v[148:149], 1.0
	v_fmac_f64_e32 v[148:149], v[148:149], v[152:153]
	v_div_scale_f64 v[152:153], vcc, 1.0, v[144:145], 1.0
	v_mul_f64 v[154:155], v[152:153], v[148:149]
	v_fma_f64 v[146:147], -v[146:147], v[154:155], v[152:153]
	s_nop 1
	v_div_fmas_f64 v[146:147], v[146:147], v[148:149], v[154:155]
	v_div_fixup_f64 v[148:149], v[146:147], v[144:145], 1.0
	v_mul_f64 v[150:151], v[150:151], -v[148:149]
.LBB71_214:
	s_or_b64 exec, exec, s[2:3]
	ds_write2_b64 v207, v[148:149], v[150:151] offset1:1
.LBB71_215:
	s_or_b64 exec, exec, s[4:5]
	s_waitcnt lgkmcnt(0)
	s_barrier
	ds_read2_b64 v[144:147], v207 offset1:1
	v_cmp_lt_u32_e32 vcc, 23, v206
	s_waitcnt lgkmcnt(0)
	scratch_store_dwordx4 off, v[144:147], off offset:384 ; 16-byte Folded Spill
	s_and_saveexec_b64 s[2:3], vcc
	s_cbranch_execz .LBB71_217
; %bb.216:
	scratch_load_dwordx4 v[146:149], off, off offset:384 ; 16-byte Folded Reload
	s_waitcnt vmcnt(0)
	v_mul_f64 v[144:145], v[146:147], v[46:47]
	v_mul_f64 v[46:47], v[148:149], v[46:47]
	v_fmac_f64_e32 v[144:145], v[148:149], v[44:45]
	v_fma_f64 v[44:45], v[146:147], v[44:45], -v[46:47]
	ds_read2_b64 v[146:149], v180 offset0:48 offset1:49
	s_waitcnt lgkmcnt(0)
	v_mul_f64 v[46:47], v[148:149], v[144:145]
	v_fma_f64 v[46:47], v[146:147], v[44:45], -v[46:47]
	v_mul_f64 v[146:147], v[146:147], v[144:145]
	v_fmac_f64_e32 v[146:147], v[148:149], v[44:45]
	v_add_f64 v[42:43], v[42:43], -v[146:147]
	ds_read2_b64 v[146:149], v180 offset0:50 offset1:51
	v_add_f64 v[40:41], v[40:41], -v[46:47]
	s_waitcnt lgkmcnt(0)
	v_mul_f64 v[46:47], v[148:149], v[144:145]
	v_fma_f64 v[46:47], v[146:147], v[44:45], -v[46:47]
	v_mul_f64 v[146:147], v[146:147], v[144:145]
	v_fmac_f64_e32 v[146:147], v[148:149], v[44:45]
	v_add_f64 v[38:39], v[38:39], -v[146:147]
	ds_read2_b64 v[146:149], v180 offset0:52 offset1:53
	v_add_f64 v[36:37], v[36:37], -v[46:47]
	s_waitcnt lgkmcnt(0)
	v_mul_f64 v[46:47], v[148:149], v[144:145]
	v_fma_f64 v[46:47], v[146:147], v[44:45], -v[46:47]
	v_mul_f64 v[146:147], v[146:147], v[144:145]
	v_fmac_f64_e32 v[146:147], v[148:149], v[44:45]
	v_add_f64 v[34:35], v[34:35], -v[146:147]
	ds_read2_b64 v[146:149], v180 offset0:54 offset1:55
	v_add_f64 v[32:33], v[32:33], -v[46:47]
	s_waitcnt lgkmcnt(0)
	v_mul_f64 v[46:47], v[148:149], v[144:145]
	v_fma_f64 v[46:47], v[146:147], v[44:45], -v[46:47]
	v_mul_f64 v[146:147], v[146:147], v[144:145]
	v_fmac_f64_e32 v[146:147], v[148:149], v[44:45]
	v_add_f64 v[30:31], v[30:31], -v[146:147]
	ds_read2_b64 v[146:149], v180 offset0:56 offset1:57
	v_add_f64 v[28:29], v[28:29], -v[46:47]
	s_waitcnt lgkmcnt(0)
	v_mul_f64 v[46:47], v[148:149], v[144:145]
	v_fma_f64 v[46:47], v[146:147], v[44:45], -v[46:47]
	v_mul_f64 v[146:147], v[146:147], v[144:145]
	v_fmac_f64_e32 v[146:147], v[148:149], v[44:45]
	v_add_f64 v[26:27], v[26:27], -v[146:147]
	ds_read2_b64 v[146:149], v180 offset0:58 offset1:59
	v_add_f64 v[24:25], v[24:25], -v[46:47]
	s_waitcnt lgkmcnt(0)
	v_mul_f64 v[46:47], v[148:149], v[144:145]
	v_fma_f64 v[46:47], v[146:147], v[44:45], -v[46:47]
	v_mul_f64 v[146:147], v[146:147], v[144:145]
	v_fmac_f64_e32 v[146:147], v[148:149], v[44:45]
	v_add_f64 v[22:23], v[22:23], -v[146:147]
	ds_read2_b64 v[146:149], v180 offset0:60 offset1:61
	v_add_f64 v[20:21], v[20:21], -v[46:47]
	s_waitcnt lgkmcnt(0)
	v_mul_f64 v[46:47], v[148:149], v[144:145]
	v_fma_f64 v[46:47], v[146:147], v[44:45], -v[46:47]
	v_mul_f64 v[146:147], v[146:147], v[144:145]
	v_fmac_f64_e32 v[146:147], v[148:149], v[44:45]
	v_add_f64 v[18:19], v[18:19], -v[146:147]
	ds_read2_b64 v[146:149], v180 offset0:62 offset1:63
	v_add_f64 v[16:17], v[16:17], -v[46:47]
	s_waitcnt lgkmcnt(0)
	v_mul_f64 v[46:47], v[148:149], v[144:145]
	v_fma_f64 v[46:47], v[146:147], v[44:45], -v[46:47]
	v_mul_f64 v[146:147], v[146:147], v[144:145]
	v_fmac_f64_e32 v[146:147], v[148:149], v[44:45]
	v_add_f64 v[14:15], v[14:15], -v[146:147]
	ds_read2_b64 v[146:149], v180 offset0:64 offset1:65
	v_add_f64 v[12:13], v[12:13], -v[46:47]
	s_waitcnt lgkmcnt(0)
	v_mul_f64 v[46:47], v[148:149], v[144:145]
	v_fma_f64 v[46:47], v[146:147], v[44:45], -v[46:47]
	v_mul_f64 v[146:147], v[146:147], v[144:145]
	v_fmac_f64_e32 v[146:147], v[148:149], v[44:45]
	v_add_f64 v[10:11], v[10:11], -v[146:147]
	ds_read2_b64 v[146:149], v180 offset0:66 offset1:67
	v_add_f64 v[8:9], v[8:9], -v[46:47]
	s_waitcnt lgkmcnt(0)
	v_mul_f64 v[46:47], v[148:149], v[144:145]
	v_fma_f64 v[46:47], v[146:147], v[44:45], -v[46:47]
	v_mul_f64 v[146:147], v[146:147], v[144:145]
	v_fmac_f64_e32 v[146:147], v[148:149], v[44:45]
	v_add_f64 v[6:7], v[6:7], -v[146:147]
	ds_read2_b64 v[146:149], v180 offset0:68 offset1:69
	v_add_f64 v[4:5], v[4:5], -v[46:47]
	s_waitcnt lgkmcnt(0)
	v_mul_f64 v[46:47], v[148:149], v[144:145]
	v_fma_f64 v[46:47], v[146:147], v[44:45], -v[46:47]
	v_mul_f64 v[146:147], v[146:147], v[144:145]
	v_fmac_f64_e32 v[146:147], v[148:149], v[44:45]
	v_add_f64 v[2:3], v[2:3], -v[146:147]
	ds_read2_b64 v[146:149], v180 offset0:70 offset1:71
	v_add_f64 v[0:1], v[0:1], -v[46:47]
	s_waitcnt lgkmcnt(0)
	v_mul_f64 v[46:47], v[148:149], v[144:145]
	v_fma_f64 v[46:47], v[146:147], v[44:45], -v[46:47]
	v_mul_f64 v[146:147], v[146:147], v[144:145]
	v_fmac_f64_e32 v[146:147], v[148:149], v[44:45]
	v_add_f64 v[140:141], v[140:141], -v[46:47]
	v_add_f64 v[142:143], v[142:143], -v[146:147]
	v_mov_b64_e32 v[46:47], v[144:145]
.LBB71_217:
	s_or_b64 exec, exec, s[2:3]
	v_cmp_eq_u32_e32 vcc, 24, v206
	s_waitcnt vmcnt(63) expcnt(7) lgkmcnt(15)
	s_barrier
	s_and_saveexec_b64 s[4:5], vcc
	s_cbranch_execz .LBB71_224
; %bb.218:
	s_waitcnt vmcnt(31)
	ds_write2_b64 v207, v[40:41], v[42:43] offset1:1
	s_waitcnt vmcnt(30)
	ds_write2_b64 v180, v[36:37], v[38:39] offset0:50 offset1:51
	s_waitcnt vmcnt(29)
	ds_write2_b64 v180, v[32:33], v[34:35] offset0:52 offset1:53
	;; [unrolled: 2-line block ×11, first 2 shown]
	ds_read2_b64 v[144:147], v207 offset1:1
	s_waitcnt lgkmcnt(0)
	v_cmp_neq_f64_e32 vcc, 0, v[144:145]
	v_cmp_neq_f64_e64 s[2:3], 0, v[146:147]
	s_or_b64 s[2:3], vcc, s[2:3]
	s_and_b64 exec, exec, s[2:3]
	s_cbranch_execz .LBB71_224
; %bb.219:
	v_cmp_ngt_f64_e64 s[2:3], |v[144:145]|, |v[146:147]|
                                        ; implicit-def: $vgpr148_vgpr149
	s_and_saveexec_b64 s[10:11], s[2:3]
	s_xor_b64 s[2:3], exec, s[10:11]
                                        ; implicit-def: $vgpr150_vgpr151
	s_cbranch_execz .LBB71_221
; %bb.220:
	v_div_scale_f64 v[148:149], s[10:11], v[146:147], v[146:147], v[144:145]
	v_rcp_f64_e32 v[150:151], v[148:149]
	v_div_scale_f64 v[152:153], vcc, v[144:145], v[146:147], v[144:145]
	v_fma_f64 v[154:155], -v[148:149], v[150:151], 1.0
	v_fmac_f64_e32 v[150:151], v[150:151], v[154:155]
	v_fma_f64 v[154:155], -v[148:149], v[150:151], 1.0
	v_fmac_f64_e32 v[150:151], v[150:151], v[154:155]
	v_mul_f64 v[154:155], v[152:153], v[150:151]
	v_fma_f64 v[148:149], -v[148:149], v[154:155], v[152:153]
	v_div_fmas_f64 v[148:149], v[148:149], v[150:151], v[154:155]
	v_div_fixup_f64 v[148:149], v[148:149], v[146:147], v[144:145]
	v_fmac_f64_e32 v[146:147], v[144:145], v[148:149]
	v_div_scale_f64 v[144:145], s[10:11], v[146:147], v[146:147], 1.0
	v_rcp_f64_e32 v[150:151], v[144:145]
	s_nop 0
	v_fma_f64 v[152:153], -v[144:145], v[150:151], 1.0
	v_fmac_f64_e32 v[150:151], v[150:151], v[152:153]
	v_fma_f64 v[152:153], -v[144:145], v[150:151], 1.0
	v_fmac_f64_e32 v[150:151], v[150:151], v[152:153]
	v_div_scale_f64 v[152:153], vcc, 1.0, v[146:147], 1.0
	v_mul_f64 v[154:155], v[152:153], v[150:151]
	v_fma_f64 v[144:145], -v[144:145], v[154:155], v[152:153]
	s_nop 1
	v_div_fmas_f64 v[144:145], v[144:145], v[150:151], v[154:155]
	v_div_fixup_f64 v[150:151], v[144:145], v[146:147], 1.0
	v_mul_f64 v[148:149], v[148:149], v[150:151]
	v_xor_b32_e32 v151, 0x80000000, v151
                                        ; implicit-def: $vgpr144_vgpr145
.LBB71_221:
	s_andn2_saveexec_b64 s[2:3], s[2:3]
	s_cbranch_execz .LBB71_223
; %bb.222:
	v_div_scale_f64 v[148:149], s[10:11], v[144:145], v[144:145], v[146:147]
	v_rcp_f64_e32 v[150:151], v[148:149]
	v_div_scale_f64 v[152:153], vcc, v[146:147], v[144:145], v[146:147]
	v_fma_f64 v[154:155], -v[148:149], v[150:151], 1.0
	v_fmac_f64_e32 v[150:151], v[150:151], v[154:155]
	v_fma_f64 v[154:155], -v[148:149], v[150:151], 1.0
	v_fmac_f64_e32 v[150:151], v[150:151], v[154:155]
	v_mul_f64 v[154:155], v[152:153], v[150:151]
	v_fma_f64 v[148:149], -v[148:149], v[154:155], v[152:153]
	v_div_fmas_f64 v[148:149], v[148:149], v[150:151], v[154:155]
	v_div_fixup_f64 v[150:151], v[148:149], v[144:145], v[146:147]
	v_fmac_f64_e32 v[144:145], v[146:147], v[150:151]
	v_div_scale_f64 v[146:147], s[10:11], v[144:145], v[144:145], 1.0
	v_rcp_f64_e32 v[148:149], v[146:147]
	s_nop 0
	v_fma_f64 v[152:153], -v[146:147], v[148:149], 1.0
	v_fmac_f64_e32 v[148:149], v[148:149], v[152:153]
	v_fma_f64 v[152:153], -v[146:147], v[148:149], 1.0
	v_fmac_f64_e32 v[148:149], v[148:149], v[152:153]
	v_div_scale_f64 v[152:153], vcc, 1.0, v[144:145], 1.0
	v_mul_f64 v[154:155], v[152:153], v[148:149]
	v_fma_f64 v[146:147], -v[146:147], v[154:155], v[152:153]
	s_nop 1
	v_div_fmas_f64 v[146:147], v[146:147], v[148:149], v[154:155]
	v_div_fixup_f64 v[148:149], v[146:147], v[144:145], 1.0
	v_mul_f64 v[150:151], v[150:151], -v[148:149]
.LBB71_223:
	s_or_b64 exec, exec, s[2:3]
	ds_write2_b64 v207, v[148:149], v[150:151] offset1:1
.LBB71_224:
	s_or_b64 exec, exec, s[4:5]
	s_waitcnt lgkmcnt(0)
	s_barrier
	ds_read2_b64 v[144:147], v207 offset1:1
	v_cmp_lt_u32_e32 vcc, 24, v206
	s_waitcnt lgkmcnt(0)
	scratch_store_dwordx4 off, v[144:147], off offset:400 ; 16-byte Folded Spill
	s_and_saveexec_b64 s[2:3], vcc
	s_cbranch_execz .LBB71_226
; %bb.225:
	scratch_load_dwordx4 v[146:149], off, off offset:400 ; 16-byte Folded Reload
	s_waitcnt vmcnt(0)
	v_mul_f64 v[144:145], v[146:147], v[42:43]
	v_mul_f64 v[42:43], v[148:149], v[42:43]
	v_fmac_f64_e32 v[144:145], v[148:149], v[40:41]
	v_fma_f64 v[40:41], v[146:147], v[40:41], -v[42:43]
	ds_read2_b64 v[146:149], v180 offset0:50 offset1:51
	s_waitcnt lgkmcnt(0)
	v_mul_f64 v[42:43], v[148:149], v[144:145]
	v_fma_f64 v[42:43], v[146:147], v[40:41], -v[42:43]
	v_mul_f64 v[146:147], v[146:147], v[144:145]
	v_fmac_f64_e32 v[146:147], v[148:149], v[40:41]
	v_add_f64 v[38:39], v[38:39], -v[146:147]
	ds_read2_b64 v[146:149], v180 offset0:52 offset1:53
	v_add_f64 v[36:37], v[36:37], -v[42:43]
	s_waitcnt lgkmcnt(0)
	v_mul_f64 v[42:43], v[148:149], v[144:145]
	v_fma_f64 v[42:43], v[146:147], v[40:41], -v[42:43]
	v_mul_f64 v[146:147], v[146:147], v[144:145]
	v_fmac_f64_e32 v[146:147], v[148:149], v[40:41]
	v_add_f64 v[34:35], v[34:35], -v[146:147]
	ds_read2_b64 v[146:149], v180 offset0:54 offset1:55
	v_add_f64 v[32:33], v[32:33], -v[42:43]
	;; [unrolled: 8-line block ×10, first 2 shown]
	s_waitcnt lgkmcnt(0)
	v_mul_f64 v[42:43], v[148:149], v[144:145]
	v_fma_f64 v[42:43], v[146:147], v[40:41], -v[42:43]
	v_mul_f64 v[146:147], v[146:147], v[144:145]
	v_fmac_f64_e32 v[146:147], v[148:149], v[40:41]
	v_add_f64 v[140:141], v[140:141], -v[42:43]
	v_add_f64 v[142:143], v[142:143], -v[146:147]
	v_mov_b64_e32 v[42:43], v[144:145]
.LBB71_226:
	s_or_b64 exec, exec, s[2:3]
	v_cmp_eq_u32_e32 vcc, 25, v206
	s_waitcnt vmcnt(63) expcnt(7) lgkmcnt(15)
	s_barrier
	s_and_saveexec_b64 s[4:5], vcc
	s_cbranch_execz .LBB71_233
; %bb.227:
	s_waitcnt vmcnt(31)
	ds_write2_b64 v207, v[36:37], v[38:39] offset1:1
	s_waitcnt vmcnt(30)
	ds_write2_b64 v180, v[32:33], v[34:35] offset0:52 offset1:53
	s_waitcnt vmcnt(29)
	ds_write2_b64 v180, v[28:29], v[30:31] offset0:54 offset1:55
	;; [unrolled: 2-line block ×10, first 2 shown]
	ds_read2_b64 v[144:147], v207 offset1:1
	s_waitcnt lgkmcnt(0)
	v_cmp_neq_f64_e32 vcc, 0, v[144:145]
	v_cmp_neq_f64_e64 s[2:3], 0, v[146:147]
	s_or_b64 s[2:3], vcc, s[2:3]
	s_and_b64 exec, exec, s[2:3]
	s_cbranch_execz .LBB71_233
; %bb.228:
	v_cmp_ngt_f64_e64 s[2:3], |v[144:145]|, |v[146:147]|
                                        ; implicit-def: $vgpr148_vgpr149
	s_and_saveexec_b64 s[10:11], s[2:3]
	s_xor_b64 s[2:3], exec, s[10:11]
                                        ; implicit-def: $vgpr150_vgpr151
	s_cbranch_execz .LBB71_230
; %bb.229:
	v_div_scale_f64 v[148:149], s[10:11], v[146:147], v[146:147], v[144:145]
	v_rcp_f64_e32 v[150:151], v[148:149]
	v_div_scale_f64 v[152:153], vcc, v[144:145], v[146:147], v[144:145]
	v_fma_f64 v[154:155], -v[148:149], v[150:151], 1.0
	v_fmac_f64_e32 v[150:151], v[150:151], v[154:155]
	v_fma_f64 v[154:155], -v[148:149], v[150:151], 1.0
	v_fmac_f64_e32 v[150:151], v[150:151], v[154:155]
	v_mul_f64 v[154:155], v[152:153], v[150:151]
	v_fma_f64 v[148:149], -v[148:149], v[154:155], v[152:153]
	v_div_fmas_f64 v[148:149], v[148:149], v[150:151], v[154:155]
	v_div_fixup_f64 v[148:149], v[148:149], v[146:147], v[144:145]
	v_fmac_f64_e32 v[146:147], v[144:145], v[148:149]
	v_div_scale_f64 v[144:145], s[10:11], v[146:147], v[146:147], 1.0
	v_rcp_f64_e32 v[150:151], v[144:145]
	s_nop 0
	v_fma_f64 v[152:153], -v[144:145], v[150:151], 1.0
	v_fmac_f64_e32 v[150:151], v[150:151], v[152:153]
	v_fma_f64 v[152:153], -v[144:145], v[150:151], 1.0
	v_fmac_f64_e32 v[150:151], v[150:151], v[152:153]
	v_div_scale_f64 v[152:153], vcc, 1.0, v[146:147], 1.0
	v_mul_f64 v[154:155], v[152:153], v[150:151]
	v_fma_f64 v[144:145], -v[144:145], v[154:155], v[152:153]
	s_nop 1
	v_div_fmas_f64 v[144:145], v[144:145], v[150:151], v[154:155]
	v_div_fixup_f64 v[150:151], v[144:145], v[146:147], 1.0
	v_mul_f64 v[148:149], v[148:149], v[150:151]
	v_xor_b32_e32 v151, 0x80000000, v151
                                        ; implicit-def: $vgpr144_vgpr145
.LBB71_230:
	s_andn2_saveexec_b64 s[2:3], s[2:3]
	s_cbranch_execz .LBB71_232
; %bb.231:
	v_div_scale_f64 v[148:149], s[10:11], v[144:145], v[144:145], v[146:147]
	v_rcp_f64_e32 v[150:151], v[148:149]
	v_div_scale_f64 v[152:153], vcc, v[146:147], v[144:145], v[146:147]
	v_fma_f64 v[154:155], -v[148:149], v[150:151], 1.0
	v_fmac_f64_e32 v[150:151], v[150:151], v[154:155]
	v_fma_f64 v[154:155], -v[148:149], v[150:151], 1.0
	v_fmac_f64_e32 v[150:151], v[150:151], v[154:155]
	v_mul_f64 v[154:155], v[152:153], v[150:151]
	v_fma_f64 v[148:149], -v[148:149], v[154:155], v[152:153]
	v_div_fmas_f64 v[148:149], v[148:149], v[150:151], v[154:155]
	v_div_fixup_f64 v[150:151], v[148:149], v[144:145], v[146:147]
	v_fmac_f64_e32 v[144:145], v[146:147], v[150:151]
	v_div_scale_f64 v[146:147], s[10:11], v[144:145], v[144:145], 1.0
	v_rcp_f64_e32 v[148:149], v[146:147]
	s_nop 0
	v_fma_f64 v[152:153], -v[146:147], v[148:149], 1.0
	v_fmac_f64_e32 v[148:149], v[148:149], v[152:153]
	v_fma_f64 v[152:153], -v[146:147], v[148:149], 1.0
	v_fmac_f64_e32 v[148:149], v[148:149], v[152:153]
	v_div_scale_f64 v[152:153], vcc, 1.0, v[144:145], 1.0
	v_mul_f64 v[154:155], v[152:153], v[148:149]
	v_fma_f64 v[146:147], -v[146:147], v[154:155], v[152:153]
	s_nop 1
	v_div_fmas_f64 v[146:147], v[146:147], v[148:149], v[154:155]
	v_div_fixup_f64 v[148:149], v[146:147], v[144:145], 1.0
	v_mul_f64 v[150:151], v[150:151], -v[148:149]
.LBB71_232:
	s_or_b64 exec, exec, s[2:3]
	ds_write2_b64 v207, v[148:149], v[150:151] offset1:1
.LBB71_233:
	s_or_b64 exec, exec, s[4:5]
	s_waitcnt lgkmcnt(0)
	s_barrier
	ds_read2_b64 v[144:147], v207 offset1:1
	v_cmp_lt_u32_e32 vcc, 25, v206
	s_waitcnt lgkmcnt(0)
	scratch_store_dwordx4 off, v[144:147], off offset:416 ; 16-byte Folded Spill
	s_and_saveexec_b64 s[2:3], vcc
	s_cbranch_execz .LBB71_235
; %bb.234:
	scratch_load_dwordx4 v[146:149], off, off offset:416 ; 16-byte Folded Reload
	s_waitcnt vmcnt(0)
	v_mul_f64 v[144:145], v[146:147], v[38:39]
	v_mul_f64 v[38:39], v[148:149], v[38:39]
	v_fmac_f64_e32 v[144:145], v[148:149], v[36:37]
	v_fma_f64 v[36:37], v[146:147], v[36:37], -v[38:39]
	ds_read2_b64 v[146:149], v180 offset0:52 offset1:53
	s_waitcnt lgkmcnt(0)
	v_mul_f64 v[38:39], v[148:149], v[144:145]
	v_fma_f64 v[38:39], v[146:147], v[36:37], -v[38:39]
	v_mul_f64 v[146:147], v[146:147], v[144:145]
	v_fmac_f64_e32 v[146:147], v[148:149], v[36:37]
	v_add_f64 v[34:35], v[34:35], -v[146:147]
	ds_read2_b64 v[146:149], v180 offset0:54 offset1:55
	v_add_f64 v[32:33], v[32:33], -v[38:39]
	s_waitcnt lgkmcnt(0)
	v_mul_f64 v[38:39], v[148:149], v[144:145]
	v_fma_f64 v[38:39], v[146:147], v[36:37], -v[38:39]
	v_mul_f64 v[146:147], v[146:147], v[144:145]
	v_fmac_f64_e32 v[146:147], v[148:149], v[36:37]
	v_add_f64 v[30:31], v[30:31], -v[146:147]
	ds_read2_b64 v[146:149], v180 offset0:56 offset1:57
	v_add_f64 v[28:29], v[28:29], -v[38:39]
	;; [unrolled: 8-line block ×9, first 2 shown]
	s_waitcnt lgkmcnt(0)
	v_mul_f64 v[38:39], v[148:149], v[144:145]
	v_fma_f64 v[38:39], v[146:147], v[36:37], -v[38:39]
	v_mul_f64 v[146:147], v[146:147], v[144:145]
	v_fmac_f64_e32 v[146:147], v[148:149], v[36:37]
	v_add_f64 v[140:141], v[140:141], -v[38:39]
	v_add_f64 v[142:143], v[142:143], -v[146:147]
	v_mov_b64_e32 v[38:39], v[144:145]
.LBB71_235:
	s_or_b64 exec, exec, s[2:3]
	v_cmp_eq_u32_e32 vcc, 26, v206
	s_waitcnt vmcnt(63) expcnt(7) lgkmcnt(15)
	s_barrier
	s_and_saveexec_b64 s[4:5], vcc
	s_cbranch_execz .LBB71_242
; %bb.236:
	s_waitcnt vmcnt(31)
	ds_write2_b64 v207, v[32:33], v[34:35] offset1:1
	s_waitcnt vmcnt(30)
	ds_write2_b64 v180, v[28:29], v[30:31] offset0:54 offset1:55
	s_waitcnt vmcnt(29)
	ds_write2_b64 v180, v[24:25], v[26:27] offset0:56 offset1:57
	;; [unrolled: 2-line block ×9, first 2 shown]
	ds_read2_b64 v[144:147], v207 offset1:1
	s_waitcnt lgkmcnt(0)
	v_cmp_neq_f64_e32 vcc, 0, v[144:145]
	v_cmp_neq_f64_e64 s[2:3], 0, v[146:147]
	s_or_b64 s[2:3], vcc, s[2:3]
	s_and_b64 exec, exec, s[2:3]
	s_cbranch_execz .LBB71_242
; %bb.237:
	v_cmp_ngt_f64_e64 s[2:3], |v[144:145]|, |v[146:147]|
                                        ; implicit-def: $vgpr148_vgpr149
	s_and_saveexec_b64 s[10:11], s[2:3]
	s_xor_b64 s[2:3], exec, s[10:11]
                                        ; implicit-def: $vgpr150_vgpr151
	s_cbranch_execz .LBB71_239
; %bb.238:
	v_div_scale_f64 v[148:149], s[10:11], v[146:147], v[146:147], v[144:145]
	v_rcp_f64_e32 v[150:151], v[148:149]
	v_div_scale_f64 v[152:153], vcc, v[144:145], v[146:147], v[144:145]
	v_fma_f64 v[154:155], -v[148:149], v[150:151], 1.0
	v_fmac_f64_e32 v[150:151], v[150:151], v[154:155]
	v_fma_f64 v[154:155], -v[148:149], v[150:151], 1.0
	v_fmac_f64_e32 v[150:151], v[150:151], v[154:155]
	v_mul_f64 v[154:155], v[152:153], v[150:151]
	v_fma_f64 v[148:149], -v[148:149], v[154:155], v[152:153]
	v_div_fmas_f64 v[148:149], v[148:149], v[150:151], v[154:155]
	v_div_fixup_f64 v[148:149], v[148:149], v[146:147], v[144:145]
	v_fmac_f64_e32 v[146:147], v[144:145], v[148:149]
	v_div_scale_f64 v[144:145], s[10:11], v[146:147], v[146:147], 1.0
	v_rcp_f64_e32 v[150:151], v[144:145]
	s_nop 0
	v_fma_f64 v[152:153], -v[144:145], v[150:151], 1.0
	v_fmac_f64_e32 v[150:151], v[150:151], v[152:153]
	v_fma_f64 v[152:153], -v[144:145], v[150:151], 1.0
	v_fmac_f64_e32 v[150:151], v[150:151], v[152:153]
	v_div_scale_f64 v[152:153], vcc, 1.0, v[146:147], 1.0
	v_mul_f64 v[154:155], v[152:153], v[150:151]
	v_fma_f64 v[144:145], -v[144:145], v[154:155], v[152:153]
	s_nop 1
	v_div_fmas_f64 v[144:145], v[144:145], v[150:151], v[154:155]
	v_div_fixup_f64 v[150:151], v[144:145], v[146:147], 1.0
	v_mul_f64 v[148:149], v[148:149], v[150:151]
	v_xor_b32_e32 v151, 0x80000000, v151
                                        ; implicit-def: $vgpr144_vgpr145
.LBB71_239:
	s_andn2_saveexec_b64 s[2:3], s[2:3]
	s_cbranch_execz .LBB71_241
; %bb.240:
	v_div_scale_f64 v[148:149], s[10:11], v[144:145], v[144:145], v[146:147]
	v_rcp_f64_e32 v[150:151], v[148:149]
	v_div_scale_f64 v[152:153], vcc, v[146:147], v[144:145], v[146:147]
	v_fma_f64 v[154:155], -v[148:149], v[150:151], 1.0
	v_fmac_f64_e32 v[150:151], v[150:151], v[154:155]
	v_fma_f64 v[154:155], -v[148:149], v[150:151], 1.0
	v_fmac_f64_e32 v[150:151], v[150:151], v[154:155]
	v_mul_f64 v[154:155], v[152:153], v[150:151]
	v_fma_f64 v[148:149], -v[148:149], v[154:155], v[152:153]
	v_div_fmas_f64 v[148:149], v[148:149], v[150:151], v[154:155]
	v_div_fixup_f64 v[150:151], v[148:149], v[144:145], v[146:147]
	v_fmac_f64_e32 v[144:145], v[146:147], v[150:151]
	v_div_scale_f64 v[146:147], s[10:11], v[144:145], v[144:145], 1.0
	v_rcp_f64_e32 v[148:149], v[146:147]
	s_nop 0
	v_fma_f64 v[152:153], -v[146:147], v[148:149], 1.0
	v_fmac_f64_e32 v[148:149], v[148:149], v[152:153]
	v_fma_f64 v[152:153], -v[146:147], v[148:149], 1.0
	v_fmac_f64_e32 v[148:149], v[148:149], v[152:153]
	v_div_scale_f64 v[152:153], vcc, 1.0, v[144:145], 1.0
	v_mul_f64 v[154:155], v[152:153], v[148:149]
	v_fma_f64 v[146:147], -v[146:147], v[154:155], v[152:153]
	s_nop 1
	v_div_fmas_f64 v[146:147], v[146:147], v[148:149], v[154:155]
	v_div_fixup_f64 v[148:149], v[146:147], v[144:145], 1.0
	v_mul_f64 v[150:151], v[150:151], -v[148:149]
.LBB71_241:
	s_or_b64 exec, exec, s[2:3]
	ds_write2_b64 v207, v[148:149], v[150:151] offset1:1
.LBB71_242:
	s_or_b64 exec, exec, s[4:5]
	s_waitcnt lgkmcnt(0)
	s_barrier
	ds_read2_b64 v[144:147], v207 offset1:1
	v_cmp_lt_u32_e32 vcc, 26, v206
	s_waitcnt lgkmcnt(0)
	scratch_store_dwordx4 off, v[144:147], off offset:432 ; 16-byte Folded Spill
	s_and_saveexec_b64 s[2:3], vcc
	s_cbranch_execz .LBB71_244
; %bb.243:
	scratch_load_dwordx4 v[146:149], off, off offset:432 ; 16-byte Folded Reload
	s_waitcnt vmcnt(0)
	v_mul_f64 v[144:145], v[146:147], v[34:35]
	v_mul_f64 v[34:35], v[148:149], v[34:35]
	v_fmac_f64_e32 v[144:145], v[148:149], v[32:33]
	v_fma_f64 v[32:33], v[146:147], v[32:33], -v[34:35]
	ds_read2_b64 v[146:149], v180 offset0:54 offset1:55
	s_waitcnt lgkmcnt(0)
	v_mul_f64 v[34:35], v[148:149], v[144:145]
	v_fma_f64 v[34:35], v[146:147], v[32:33], -v[34:35]
	v_mul_f64 v[146:147], v[146:147], v[144:145]
	v_fmac_f64_e32 v[146:147], v[148:149], v[32:33]
	v_add_f64 v[30:31], v[30:31], -v[146:147]
	ds_read2_b64 v[146:149], v180 offset0:56 offset1:57
	v_add_f64 v[28:29], v[28:29], -v[34:35]
	s_waitcnt lgkmcnt(0)
	v_mul_f64 v[34:35], v[148:149], v[144:145]
	v_fma_f64 v[34:35], v[146:147], v[32:33], -v[34:35]
	v_mul_f64 v[146:147], v[146:147], v[144:145]
	v_fmac_f64_e32 v[146:147], v[148:149], v[32:33]
	v_add_f64 v[26:27], v[26:27], -v[146:147]
	ds_read2_b64 v[146:149], v180 offset0:58 offset1:59
	v_add_f64 v[24:25], v[24:25], -v[34:35]
	;; [unrolled: 8-line block ×8, first 2 shown]
	s_waitcnt lgkmcnt(0)
	v_mul_f64 v[34:35], v[148:149], v[144:145]
	v_fma_f64 v[34:35], v[146:147], v[32:33], -v[34:35]
	v_mul_f64 v[146:147], v[146:147], v[144:145]
	v_fmac_f64_e32 v[146:147], v[148:149], v[32:33]
	v_add_f64 v[140:141], v[140:141], -v[34:35]
	v_add_f64 v[142:143], v[142:143], -v[146:147]
	v_mov_b64_e32 v[34:35], v[144:145]
.LBB71_244:
	s_or_b64 exec, exec, s[2:3]
	v_cmp_eq_u32_e32 vcc, 27, v206
	s_waitcnt vmcnt(63) expcnt(7) lgkmcnt(15)
	s_barrier
	s_and_saveexec_b64 s[4:5], vcc
	s_cbranch_execz .LBB71_251
; %bb.245:
	s_waitcnt vmcnt(31)
	ds_write2_b64 v207, v[28:29], v[30:31] offset1:1
	s_waitcnt vmcnt(30)
	ds_write2_b64 v180, v[24:25], v[26:27] offset0:56 offset1:57
	s_waitcnt vmcnt(29)
	ds_write2_b64 v180, v[20:21], v[22:23] offset0:58 offset1:59
	;; [unrolled: 2-line block ×8, first 2 shown]
	ds_read2_b64 v[144:147], v207 offset1:1
	s_waitcnt lgkmcnt(0)
	v_cmp_neq_f64_e32 vcc, 0, v[144:145]
	v_cmp_neq_f64_e64 s[2:3], 0, v[146:147]
	s_or_b64 s[2:3], vcc, s[2:3]
	s_and_b64 exec, exec, s[2:3]
	s_cbranch_execz .LBB71_251
; %bb.246:
	v_cmp_ngt_f64_e64 s[2:3], |v[144:145]|, |v[146:147]|
                                        ; implicit-def: $vgpr148_vgpr149
	s_and_saveexec_b64 s[10:11], s[2:3]
	s_xor_b64 s[2:3], exec, s[10:11]
                                        ; implicit-def: $vgpr150_vgpr151
	s_cbranch_execz .LBB71_248
; %bb.247:
	v_div_scale_f64 v[148:149], s[10:11], v[146:147], v[146:147], v[144:145]
	v_rcp_f64_e32 v[150:151], v[148:149]
	v_div_scale_f64 v[152:153], vcc, v[144:145], v[146:147], v[144:145]
	v_fma_f64 v[154:155], -v[148:149], v[150:151], 1.0
	v_fmac_f64_e32 v[150:151], v[150:151], v[154:155]
	v_fma_f64 v[154:155], -v[148:149], v[150:151], 1.0
	v_fmac_f64_e32 v[150:151], v[150:151], v[154:155]
	v_mul_f64 v[154:155], v[152:153], v[150:151]
	v_fma_f64 v[148:149], -v[148:149], v[154:155], v[152:153]
	v_div_fmas_f64 v[148:149], v[148:149], v[150:151], v[154:155]
	v_div_fixup_f64 v[148:149], v[148:149], v[146:147], v[144:145]
	v_fmac_f64_e32 v[146:147], v[144:145], v[148:149]
	v_div_scale_f64 v[144:145], s[10:11], v[146:147], v[146:147], 1.0
	v_rcp_f64_e32 v[150:151], v[144:145]
	s_nop 0
	v_fma_f64 v[152:153], -v[144:145], v[150:151], 1.0
	v_fmac_f64_e32 v[150:151], v[150:151], v[152:153]
	v_fma_f64 v[152:153], -v[144:145], v[150:151], 1.0
	v_fmac_f64_e32 v[150:151], v[150:151], v[152:153]
	v_div_scale_f64 v[152:153], vcc, 1.0, v[146:147], 1.0
	v_mul_f64 v[154:155], v[152:153], v[150:151]
	v_fma_f64 v[144:145], -v[144:145], v[154:155], v[152:153]
	s_nop 1
	v_div_fmas_f64 v[144:145], v[144:145], v[150:151], v[154:155]
	v_div_fixup_f64 v[150:151], v[144:145], v[146:147], 1.0
	v_mul_f64 v[148:149], v[148:149], v[150:151]
	v_xor_b32_e32 v151, 0x80000000, v151
                                        ; implicit-def: $vgpr144_vgpr145
.LBB71_248:
	s_andn2_saveexec_b64 s[2:3], s[2:3]
	s_cbranch_execz .LBB71_250
; %bb.249:
	v_div_scale_f64 v[148:149], s[10:11], v[144:145], v[144:145], v[146:147]
	v_rcp_f64_e32 v[150:151], v[148:149]
	v_div_scale_f64 v[152:153], vcc, v[146:147], v[144:145], v[146:147]
	v_fma_f64 v[154:155], -v[148:149], v[150:151], 1.0
	v_fmac_f64_e32 v[150:151], v[150:151], v[154:155]
	v_fma_f64 v[154:155], -v[148:149], v[150:151], 1.0
	v_fmac_f64_e32 v[150:151], v[150:151], v[154:155]
	v_mul_f64 v[154:155], v[152:153], v[150:151]
	v_fma_f64 v[148:149], -v[148:149], v[154:155], v[152:153]
	v_div_fmas_f64 v[148:149], v[148:149], v[150:151], v[154:155]
	v_div_fixup_f64 v[150:151], v[148:149], v[144:145], v[146:147]
	v_fmac_f64_e32 v[144:145], v[146:147], v[150:151]
	v_div_scale_f64 v[146:147], s[10:11], v[144:145], v[144:145], 1.0
	v_rcp_f64_e32 v[148:149], v[146:147]
	s_nop 0
	v_fma_f64 v[152:153], -v[146:147], v[148:149], 1.0
	v_fmac_f64_e32 v[148:149], v[148:149], v[152:153]
	v_fma_f64 v[152:153], -v[146:147], v[148:149], 1.0
	v_fmac_f64_e32 v[148:149], v[148:149], v[152:153]
	v_div_scale_f64 v[152:153], vcc, 1.0, v[144:145], 1.0
	v_mul_f64 v[154:155], v[152:153], v[148:149]
	v_fma_f64 v[146:147], -v[146:147], v[154:155], v[152:153]
	s_nop 1
	v_div_fmas_f64 v[146:147], v[146:147], v[148:149], v[154:155]
	v_div_fixup_f64 v[148:149], v[146:147], v[144:145], 1.0
	v_mul_f64 v[150:151], v[150:151], -v[148:149]
.LBB71_250:
	s_or_b64 exec, exec, s[2:3]
	ds_write2_b64 v207, v[148:149], v[150:151] offset1:1
.LBB71_251:
	s_or_b64 exec, exec, s[4:5]
	s_waitcnt lgkmcnt(0)
	s_barrier
	ds_read2_b64 v[144:147], v207 offset1:1
	v_cmp_lt_u32_e32 vcc, 27, v206
	s_waitcnt lgkmcnt(0)
	scratch_store_dwordx4 off, v[144:147], off offset:448 ; 16-byte Folded Spill
	s_and_saveexec_b64 s[2:3], vcc
	s_cbranch_execz .LBB71_253
; %bb.252:
	scratch_load_dwordx4 v[146:149], off, off offset:448 ; 16-byte Folded Reload
	s_waitcnt vmcnt(0)
	v_mul_f64 v[144:145], v[146:147], v[30:31]
	v_mul_f64 v[30:31], v[148:149], v[30:31]
	v_fmac_f64_e32 v[144:145], v[148:149], v[28:29]
	v_fma_f64 v[28:29], v[146:147], v[28:29], -v[30:31]
	ds_read2_b64 v[146:149], v180 offset0:56 offset1:57
	s_waitcnt lgkmcnt(0)
	v_mul_f64 v[30:31], v[148:149], v[144:145]
	v_fma_f64 v[30:31], v[146:147], v[28:29], -v[30:31]
	v_mul_f64 v[146:147], v[146:147], v[144:145]
	v_fmac_f64_e32 v[146:147], v[148:149], v[28:29]
	v_add_f64 v[26:27], v[26:27], -v[146:147]
	ds_read2_b64 v[146:149], v180 offset0:58 offset1:59
	v_add_f64 v[24:25], v[24:25], -v[30:31]
	s_waitcnt lgkmcnt(0)
	v_mul_f64 v[30:31], v[148:149], v[144:145]
	v_fma_f64 v[30:31], v[146:147], v[28:29], -v[30:31]
	v_mul_f64 v[146:147], v[146:147], v[144:145]
	v_fmac_f64_e32 v[146:147], v[148:149], v[28:29]
	v_add_f64 v[22:23], v[22:23], -v[146:147]
	ds_read2_b64 v[146:149], v180 offset0:60 offset1:61
	v_add_f64 v[20:21], v[20:21], -v[30:31]
	;; [unrolled: 8-line block ×7, first 2 shown]
	s_waitcnt lgkmcnt(0)
	v_mul_f64 v[30:31], v[148:149], v[144:145]
	v_fma_f64 v[30:31], v[146:147], v[28:29], -v[30:31]
	v_mul_f64 v[146:147], v[146:147], v[144:145]
	v_fmac_f64_e32 v[146:147], v[148:149], v[28:29]
	v_add_f64 v[140:141], v[140:141], -v[30:31]
	v_add_f64 v[142:143], v[142:143], -v[146:147]
	v_mov_b64_e32 v[30:31], v[144:145]
.LBB71_253:
	s_or_b64 exec, exec, s[2:3]
	v_cmp_eq_u32_e32 vcc, 28, v206
	s_waitcnt vmcnt(63) expcnt(7) lgkmcnt(15)
	s_barrier
	s_and_saveexec_b64 s[4:5], vcc
	s_cbranch_execz .LBB71_260
; %bb.254:
	s_waitcnt vmcnt(31)
	ds_write2_b64 v207, v[24:25], v[26:27] offset1:1
	s_waitcnt vmcnt(30)
	ds_write2_b64 v180, v[20:21], v[22:23] offset0:58 offset1:59
	s_waitcnt vmcnt(29)
	ds_write2_b64 v180, v[16:17], v[18:19] offset0:60 offset1:61
	s_waitcnt vmcnt(28)
	ds_write2_b64 v180, v[12:13], v[14:15] offset0:62 offset1:63
	s_waitcnt vmcnt(27)
	ds_write2_b64 v180, v[8:9], v[10:11] offset0:64 offset1:65
	s_waitcnt vmcnt(26)
	ds_write2_b64 v180, v[4:5], v[6:7] offset0:66 offset1:67
	s_waitcnt vmcnt(25)
	ds_write2_b64 v180, v[0:1], v[2:3] offset0:68 offset1:69
	s_waitcnt vmcnt(24)
	ds_write2_b64 v180, v[140:141], v[142:143] offset0:70 offset1:71
	ds_read2_b64 v[144:147], v207 offset1:1
	s_waitcnt lgkmcnt(0)
	v_cmp_neq_f64_e32 vcc, 0, v[144:145]
	v_cmp_neq_f64_e64 s[2:3], 0, v[146:147]
	s_or_b64 s[2:3], vcc, s[2:3]
	s_and_b64 exec, exec, s[2:3]
	s_cbranch_execz .LBB71_260
; %bb.255:
	v_cmp_ngt_f64_e64 s[2:3], |v[144:145]|, |v[146:147]|
                                        ; implicit-def: $vgpr148_vgpr149
	s_and_saveexec_b64 s[10:11], s[2:3]
	s_xor_b64 s[2:3], exec, s[10:11]
                                        ; implicit-def: $vgpr150_vgpr151
	s_cbranch_execz .LBB71_257
; %bb.256:
	v_div_scale_f64 v[148:149], s[10:11], v[146:147], v[146:147], v[144:145]
	v_rcp_f64_e32 v[150:151], v[148:149]
	v_div_scale_f64 v[152:153], vcc, v[144:145], v[146:147], v[144:145]
	v_fma_f64 v[154:155], -v[148:149], v[150:151], 1.0
	v_fmac_f64_e32 v[150:151], v[150:151], v[154:155]
	v_fma_f64 v[154:155], -v[148:149], v[150:151], 1.0
	v_fmac_f64_e32 v[150:151], v[150:151], v[154:155]
	v_mul_f64 v[154:155], v[152:153], v[150:151]
	v_fma_f64 v[148:149], -v[148:149], v[154:155], v[152:153]
	v_div_fmas_f64 v[148:149], v[148:149], v[150:151], v[154:155]
	v_div_fixup_f64 v[148:149], v[148:149], v[146:147], v[144:145]
	v_fmac_f64_e32 v[146:147], v[144:145], v[148:149]
	v_div_scale_f64 v[144:145], s[10:11], v[146:147], v[146:147], 1.0
	v_rcp_f64_e32 v[150:151], v[144:145]
	s_nop 0
	v_fma_f64 v[152:153], -v[144:145], v[150:151], 1.0
	v_fmac_f64_e32 v[150:151], v[150:151], v[152:153]
	v_fma_f64 v[152:153], -v[144:145], v[150:151], 1.0
	v_fmac_f64_e32 v[150:151], v[150:151], v[152:153]
	v_div_scale_f64 v[152:153], vcc, 1.0, v[146:147], 1.0
	v_mul_f64 v[154:155], v[152:153], v[150:151]
	v_fma_f64 v[144:145], -v[144:145], v[154:155], v[152:153]
	s_nop 1
	v_div_fmas_f64 v[144:145], v[144:145], v[150:151], v[154:155]
	v_div_fixup_f64 v[150:151], v[144:145], v[146:147], 1.0
	v_mul_f64 v[148:149], v[148:149], v[150:151]
	v_xor_b32_e32 v151, 0x80000000, v151
                                        ; implicit-def: $vgpr144_vgpr145
.LBB71_257:
	s_andn2_saveexec_b64 s[2:3], s[2:3]
	s_cbranch_execz .LBB71_259
; %bb.258:
	v_div_scale_f64 v[148:149], s[10:11], v[144:145], v[144:145], v[146:147]
	v_rcp_f64_e32 v[150:151], v[148:149]
	v_div_scale_f64 v[152:153], vcc, v[146:147], v[144:145], v[146:147]
	v_fma_f64 v[154:155], -v[148:149], v[150:151], 1.0
	v_fmac_f64_e32 v[150:151], v[150:151], v[154:155]
	v_fma_f64 v[154:155], -v[148:149], v[150:151], 1.0
	v_fmac_f64_e32 v[150:151], v[150:151], v[154:155]
	v_mul_f64 v[154:155], v[152:153], v[150:151]
	v_fma_f64 v[148:149], -v[148:149], v[154:155], v[152:153]
	v_div_fmas_f64 v[148:149], v[148:149], v[150:151], v[154:155]
	v_div_fixup_f64 v[150:151], v[148:149], v[144:145], v[146:147]
	v_fmac_f64_e32 v[144:145], v[146:147], v[150:151]
	v_div_scale_f64 v[146:147], s[10:11], v[144:145], v[144:145], 1.0
	v_rcp_f64_e32 v[148:149], v[146:147]
	s_nop 0
	v_fma_f64 v[152:153], -v[146:147], v[148:149], 1.0
	v_fmac_f64_e32 v[148:149], v[148:149], v[152:153]
	v_fma_f64 v[152:153], -v[146:147], v[148:149], 1.0
	v_fmac_f64_e32 v[148:149], v[148:149], v[152:153]
	v_div_scale_f64 v[152:153], vcc, 1.0, v[144:145], 1.0
	v_mul_f64 v[154:155], v[152:153], v[148:149]
	v_fma_f64 v[146:147], -v[146:147], v[154:155], v[152:153]
	s_nop 1
	v_div_fmas_f64 v[146:147], v[146:147], v[148:149], v[154:155]
	v_div_fixup_f64 v[148:149], v[146:147], v[144:145], 1.0
	v_mul_f64 v[150:151], v[150:151], -v[148:149]
.LBB71_259:
	s_or_b64 exec, exec, s[2:3]
	ds_write2_b64 v207, v[148:149], v[150:151] offset1:1
.LBB71_260:
	s_or_b64 exec, exec, s[4:5]
	s_waitcnt lgkmcnt(0)
	s_barrier
	ds_read2_b64 v[144:147], v207 offset1:1
	v_cmp_lt_u32_e32 vcc, 28, v206
	s_and_saveexec_b64 s[2:3], vcc
	s_cbranch_execz .LBB71_262
; %bb.261:
	ds_read2_b64 v[150:153], v180 offset0:58 offset1:59
	s_waitcnt vmcnt(31) lgkmcnt(1)
	v_mul_f64 v[148:149], v[144:145], v[26:27]
	v_fmac_f64_e32 v[148:149], v[146:147], v[24:25]
	v_mul_f64 v[26:27], v[146:147], v[26:27]
	v_fma_f64 v[24:25], v[144:145], v[24:25], -v[26:27]
	s_waitcnt lgkmcnt(0)
	v_mul_f64 v[26:27], v[152:153], v[148:149]
	v_fma_f64 v[26:27], v[150:151], v[24:25], -v[26:27]
	v_mul_f64 v[150:151], v[150:151], v[148:149]
	v_fmac_f64_e32 v[150:151], v[152:153], v[24:25]
	s_waitcnt vmcnt(30)
	v_add_f64 v[22:23], v[22:23], -v[150:151]
	ds_read2_b64 v[150:153], v180 offset0:60 offset1:61
	v_add_f64 v[20:21], v[20:21], -v[26:27]
	s_waitcnt lgkmcnt(0)
	v_mul_f64 v[26:27], v[152:153], v[148:149]
	v_fma_f64 v[26:27], v[150:151], v[24:25], -v[26:27]
	v_mul_f64 v[150:151], v[150:151], v[148:149]
	v_fmac_f64_e32 v[150:151], v[152:153], v[24:25]
	s_waitcnt vmcnt(29)
	v_add_f64 v[18:19], v[18:19], -v[150:151]
	ds_read2_b64 v[150:153], v180 offset0:62 offset1:63
	v_add_f64 v[16:17], v[16:17], -v[26:27]
	;; [unrolled: 9-line block ×6, first 2 shown]
	s_waitcnt lgkmcnt(0)
	v_mul_f64 v[26:27], v[152:153], v[148:149]
	v_fma_f64 v[26:27], v[150:151], v[24:25], -v[26:27]
	v_mul_f64 v[150:151], v[150:151], v[148:149]
	v_fmac_f64_e32 v[150:151], v[152:153], v[24:25]
	s_waitcnt vmcnt(24)
	v_add_f64 v[140:141], v[140:141], -v[26:27]
	v_add_f64 v[142:143], v[142:143], -v[150:151]
	v_mov_b64_e32 v[26:27], v[148:149]
.LBB71_262:
	s_or_b64 exec, exec, s[2:3]
	v_cmp_eq_u32_e32 vcc, 29, v206
	s_waitcnt lgkmcnt(0)
	s_barrier
	s_and_saveexec_b64 s[4:5], vcc
	s_cbranch_execz .LBB71_269
; %bb.263:
	s_waitcnt vmcnt(30)
	ds_write2_b64 v207, v[20:21], v[22:23] offset1:1
	s_waitcnt vmcnt(29)
	ds_write2_b64 v180, v[16:17], v[18:19] offset0:60 offset1:61
	s_waitcnt vmcnt(28)
	ds_write2_b64 v180, v[12:13], v[14:15] offset0:62 offset1:63
	;; [unrolled: 2-line block ×6, first 2 shown]
	ds_read2_b64 v[148:151], v207 offset1:1
	s_waitcnt lgkmcnt(0)
	v_cmp_neq_f64_e32 vcc, 0, v[148:149]
	v_cmp_neq_f64_e64 s[2:3], 0, v[150:151]
	s_or_b64 s[2:3], vcc, s[2:3]
	s_and_b64 exec, exec, s[2:3]
	s_cbranch_execz .LBB71_269
; %bb.264:
	v_cmp_ngt_f64_e64 s[2:3], |v[148:149]|, |v[150:151]|
                                        ; implicit-def: $vgpr152_vgpr153
	s_and_saveexec_b64 s[10:11], s[2:3]
	s_xor_b64 s[2:3], exec, s[10:11]
                                        ; implicit-def: $vgpr154_vgpr155
	s_cbranch_execz .LBB71_266
; %bb.265:
	v_div_scale_f64 v[152:153], s[10:11], v[150:151], v[150:151], v[148:149]
	v_rcp_f64_e32 v[154:155], v[152:153]
	v_div_scale_f64 v[156:157], vcc, v[148:149], v[150:151], v[148:149]
	v_fma_f64 v[158:159], -v[152:153], v[154:155], 1.0
	v_fmac_f64_e32 v[154:155], v[154:155], v[158:159]
	v_fma_f64 v[158:159], -v[152:153], v[154:155], 1.0
	v_fmac_f64_e32 v[154:155], v[154:155], v[158:159]
	v_mul_f64 v[158:159], v[156:157], v[154:155]
	v_fma_f64 v[152:153], -v[152:153], v[158:159], v[156:157]
	v_div_fmas_f64 v[152:153], v[152:153], v[154:155], v[158:159]
	v_div_fixup_f64 v[152:153], v[152:153], v[150:151], v[148:149]
	v_fmac_f64_e32 v[150:151], v[148:149], v[152:153]
	v_div_scale_f64 v[148:149], s[10:11], v[150:151], v[150:151], 1.0
	v_rcp_f64_e32 v[154:155], v[148:149]
	s_nop 0
	v_fma_f64 v[156:157], -v[148:149], v[154:155], 1.0
	v_fmac_f64_e32 v[154:155], v[154:155], v[156:157]
	v_fma_f64 v[156:157], -v[148:149], v[154:155], 1.0
	v_fmac_f64_e32 v[154:155], v[154:155], v[156:157]
	v_div_scale_f64 v[156:157], vcc, 1.0, v[150:151], 1.0
	v_mul_f64 v[158:159], v[156:157], v[154:155]
	v_fma_f64 v[148:149], -v[148:149], v[158:159], v[156:157]
	s_nop 1
	v_div_fmas_f64 v[148:149], v[148:149], v[154:155], v[158:159]
	v_div_fixup_f64 v[154:155], v[148:149], v[150:151], 1.0
	v_mul_f64 v[152:153], v[152:153], v[154:155]
	v_xor_b32_e32 v155, 0x80000000, v155
                                        ; implicit-def: $vgpr148_vgpr149
.LBB71_266:
	s_andn2_saveexec_b64 s[2:3], s[2:3]
	s_cbranch_execz .LBB71_268
; %bb.267:
	v_div_scale_f64 v[152:153], s[10:11], v[148:149], v[148:149], v[150:151]
	v_rcp_f64_e32 v[154:155], v[152:153]
	v_div_scale_f64 v[156:157], vcc, v[150:151], v[148:149], v[150:151]
	v_fma_f64 v[158:159], -v[152:153], v[154:155], 1.0
	v_fmac_f64_e32 v[154:155], v[154:155], v[158:159]
	v_fma_f64 v[158:159], -v[152:153], v[154:155], 1.0
	v_fmac_f64_e32 v[154:155], v[154:155], v[158:159]
	v_mul_f64 v[158:159], v[156:157], v[154:155]
	v_fma_f64 v[152:153], -v[152:153], v[158:159], v[156:157]
	v_div_fmas_f64 v[152:153], v[152:153], v[154:155], v[158:159]
	v_div_fixup_f64 v[154:155], v[152:153], v[148:149], v[150:151]
	v_fmac_f64_e32 v[148:149], v[150:151], v[154:155]
	v_div_scale_f64 v[150:151], s[10:11], v[148:149], v[148:149], 1.0
	v_rcp_f64_e32 v[152:153], v[150:151]
	s_nop 0
	v_fma_f64 v[156:157], -v[150:151], v[152:153], 1.0
	v_fmac_f64_e32 v[152:153], v[152:153], v[156:157]
	v_fma_f64 v[156:157], -v[150:151], v[152:153], 1.0
	v_fmac_f64_e32 v[152:153], v[152:153], v[156:157]
	v_div_scale_f64 v[156:157], vcc, 1.0, v[148:149], 1.0
	v_mul_f64 v[158:159], v[156:157], v[152:153]
	v_fma_f64 v[150:151], -v[150:151], v[158:159], v[156:157]
	s_nop 1
	v_div_fmas_f64 v[150:151], v[150:151], v[152:153], v[158:159]
	v_div_fixup_f64 v[152:153], v[150:151], v[148:149], 1.0
	v_mul_f64 v[154:155], v[154:155], -v[152:153]
.LBB71_268:
	s_or_b64 exec, exec, s[2:3]
	ds_write2_b64 v207, v[152:153], v[154:155] offset1:1
.LBB71_269:
	s_or_b64 exec, exec, s[4:5]
	s_waitcnt lgkmcnt(0)
	s_barrier
	ds_read2_b64 v[148:151], v207 offset1:1
	v_cmp_lt_u32_e32 vcc, 29, v206
	s_and_saveexec_b64 s[2:3], vcc
	s_cbranch_execz .LBB71_271
; %bb.270:
	ds_read2_b64 v[152:155], v180 offset0:60 offset1:61
	s_waitcnt vmcnt(30) lgkmcnt(1)
	v_mul_f64 v[156:157], v[148:149], v[22:23]
	v_fmac_f64_e32 v[156:157], v[150:151], v[20:21]
	v_mul_f64 v[22:23], v[150:151], v[22:23]
	v_fma_f64 v[20:21], v[148:149], v[20:21], -v[22:23]
	s_waitcnt lgkmcnt(0)
	v_mul_f64 v[22:23], v[154:155], v[156:157]
	v_fma_f64 v[22:23], v[152:153], v[20:21], -v[22:23]
	v_mul_f64 v[152:153], v[152:153], v[156:157]
	v_fmac_f64_e32 v[152:153], v[154:155], v[20:21]
	s_waitcnt vmcnt(29)
	v_add_f64 v[18:19], v[18:19], -v[152:153]
	ds_read2_b64 v[152:155], v180 offset0:62 offset1:63
	v_add_f64 v[16:17], v[16:17], -v[22:23]
	s_waitcnt lgkmcnt(0)
	v_mul_f64 v[22:23], v[154:155], v[156:157]
	v_fma_f64 v[22:23], v[152:153], v[20:21], -v[22:23]
	v_mul_f64 v[152:153], v[152:153], v[156:157]
	v_fmac_f64_e32 v[152:153], v[154:155], v[20:21]
	s_waitcnt vmcnt(28)
	v_add_f64 v[14:15], v[14:15], -v[152:153]
	ds_read2_b64 v[152:155], v180 offset0:64 offset1:65
	v_add_f64 v[12:13], v[12:13], -v[22:23]
	;; [unrolled: 9-line block ×5, first 2 shown]
	s_waitcnt lgkmcnt(0)
	v_mul_f64 v[22:23], v[154:155], v[156:157]
	v_fma_f64 v[22:23], v[152:153], v[20:21], -v[22:23]
	v_mul_f64 v[152:153], v[152:153], v[156:157]
	v_fmac_f64_e32 v[152:153], v[154:155], v[20:21]
	s_waitcnt vmcnt(24)
	v_add_f64 v[140:141], v[140:141], -v[22:23]
	v_add_f64 v[142:143], v[142:143], -v[152:153]
	v_mov_b64_e32 v[22:23], v[156:157]
.LBB71_271:
	s_or_b64 exec, exec, s[2:3]
	v_cmp_eq_u32_e32 vcc, 30, v206
	s_waitcnt lgkmcnt(0)
	s_barrier
	s_and_saveexec_b64 s[4:5], vcc
	s_cbranch_execz .LBB71_278
; %bb.272:
	s_waitcnt vmcnt(29)
	ds_write2_b64 v207, v[16:17], v[18:19] offset1:1
	s_waitcnt vmcnt(28)
	ds_write2_b64 v180, v[12:13], v[14:15] offset0:62 offset1:63
	s_waitcnt vmcnt(27)
	ds_write2_b64 v180, v[8:9], v[10:11] offset0:64 offset1:65
	;; [unrolled: 2-line block ×5, first 2 shown]
	ds_read2_b64 v[152:155], v207 offset1:1
	s_waitcnt lgkmcnt(0)
	v_cmp_neq_f64_e32 vcc, 0, v[152:153]
	v_cmp_neq_f64_e64 s[2:3], 0, v[154:155]
	s_or_b64 s[2:3], vcc, s[2:3]
	s_and_b64 exec, exec, s[2:3]
	s_cbranch_execz .LBB71_278
; %bb.273:
	v_cmp_ngt_f64_e64 s[2:3], |v[152:153]|, |v[154:155]|
                                        ; implicit-def: $vgpr156_vgpr157
	s_and_saveexec_b64 s[10:11], s[2:3]
	s_xor_b64 s[2:3], exec, s[10:11]
                                        ; implicit-def: $vgpr158_vgpr159
	s_cbranch_execz .LBB71_275
; %bb.274:
	v_div_scale_f64 v[156:157], s[10:11], v[154:155], v[154:155], v[152:153]
	v_rcp_f64_e32 v[158:159], v[156:157]
	v_div_scale_f64 v[160:161], vcc, v[152:153], v[154:155], v[152:153]
	v_fma_f64 v[162:163], -v[156:157], v[158:159], 1.0
	v_fmac_f64_e32 v[158:159], v[158:159], v[162:163]
	v_fma_f64 v[162:163], -v[156:157], v[158:159], 1.0
	v_fmac_f64_e32 v[158:159], v[158:159], v[162:163]
	v_mul_f64 v[162:163], v[160:161], v[158:159]
	v_fma_f64 v[156:157], -v[156:157], v[162:163], v[160:161]
	v_div_fmas_f64 v[156:157], v[156:157], v[158:159], v[162:163]
	v_div_fixup_f64 v[156:157], v[156:157], v[154:155], v[152:153]
	v_fmac_f64_e32 v[154:155], v[152:153], v[156:157]
	v_div_scale_f64 v[152:153], s[10:11], v[154:155], v[154:155], 1.0
	v_rcp_f64_e32 v[158:159], v[152:153]
	s_nop 0
	v_fma_f64 v[160:161], -v[152:153], v[158:159], 1.0
	v_fmac_f64_e32 v[158:159], v[158:159], v[160:161]
	v_fma_f64 v[160:161], -v[152:153], v[158:159], 1.0
	v_fmac_f64_e32 v[158:159], v[158:159], v[160:161]
	v_div_scale_f64 v[160:161], vcc, 1.0, v[154:155], 1.0
	v_mul_f64 v[162:163], v[160:161], v[158:159]
	v_fma_f64 v[152:153], -v[152:153], v[162:163], v[160:161]
	s_nop 1
	v_div_fmas_f64 v[152:153], v[152:153], v[158:159], v[162:163]
	v_div_fixup_f64 v[158:159], v[152:153], v[154:155], 1.0
	v_mul_f64 v[156:157], v[156:157], v[158:159]
	v_xor_b32_e32 v159, 0x80000000, v159
                                        ; implicit-def: $vgpr152_vgpr153
.LBB71_275:
	s_andn2_saveexec_b64 s[2:3], s[2:3]
	s_cbranch_execz .LBB71_277
; %bb.276:
	v_div_scale_f64 v[156:157], s[10:11], v[152:153], v[152:153], v[154:155]
	v_rcp_f64_e32 v[158:159], v[156:157]
	v_div_scale_f64 v[160:161], vcc, v[154:155], v[152:153], v[154:155]
	v_fma_f64 v[162:163], -v[156:157], v[158:159], 1.0
	v_fmac_f64_e32 v[158:159], v[158:159], v[162:163]
	v_fma_f64 v[162:163], -v[156:157], v[158:159], 1.0
	v_fmac_f64_e32 v[158:159], v[158:159], v[162:163]
	v_mul_f64 v[162:163], v[160:161], v[158:159]
	v_fma_f64 v[156:157], -v[156:157], v[162:163], v[160:161]
	v_div_fmas_f64 v[156:157], v[156:157], v[158:159], v[162:163]
	v_div_fixup_f64 v[158:159], v[156:157], v[152:153], v[154:155]
	v_fmac_f64_e32 v[152:153], v[154:155], v[158:159]
	v_div_scale_f64 v[154:155], s[10:11], v[152:153], v[152:153], 1.0
	v_rcp_f64_e32 v[156:157], v[154:155]
	s_nop 0
	v_fma_f64 v[160:161], -v[154:155], v[156:157], 1.0
	v_fmac_f64_e32 v[156:157], v[156:157], v[160:161]
	v_fma_f64 v[160:161], -v[154:155], v[156:157], 1.0
	v_fmac_f64_e32 v[156:157], v[156:157], v[160:161]
	v_div_scale_f64 v[160:161], vcc, 1.0, v[152:153], 1.0
	v_mul_f64 v[162:163], v[160:161], v[156:157]
	v_fma_f64 v[154:155], -v[154:155], v[162:163], v[160:161]
	s_nop 1
	v_div_fmas_f64 v[154:155], v[154:155], v[156:157], v[162:163]
	v_div_fixup_f64 v[156:157], v[154:155], v[152:153], 1.0
	v_mul_f64 v[158:159], v[158:159], -v[156:157]
.LBB71_277:
	s_or_b64 exec, exec, s[2:3]
	ds_write2_b64 v207, v[156:157], v[158:159] offset1:1
.LBB71_278:
	s_or_b64 exec, exec, s[4:5]
	s_waitcnt lgkmcnt(0)
	s_barrier
	ds_read2_b64 v[152:155], v207 offset1:1
	v_cmp_lt_u32_e32 vcc, 30, v206
	s_and_saveexec_b64 s[2:3], vcc
	s_cbranch_execz .LBB71_280
; %bb.279:
	ds_read2_b64 v[156:159], v180 offset0:62 offset1:63
	s_waitcnt vmcnt(29) lgkmcnt(1)
	v_mul_f64 v[160:161], v[152:153], v[18:19]
	v_fmac_f64_e32 v[160:161], v[154:155], v[16:17]
	v_mul_f64 v[18:19], v[154:155], v[18:19]
	v_fma_f64 v[16:17], v[152:153], v[16:17], -v[18:19]
	s_waitcnt lgkmcnt(0)
	v_mul_f64 v[18:19], v[158:159], v[160:161]
	v_fma_f64 v[18:19], v[156:157], v[16:17], -v[18:19]
	v_mul_f64 v[156:157], v[156:157], v[160:161]
	v_fmac_f64_e32 v[156:157], v[158:159], v[16:17]
	s_waitcnt vmcnt(28)
	v_add_f64 v[14:15], v[14:15], -v[156:157]
	ds_read2_b64 v[156:159], v180 offset0:64 offset1:65
	v_add_f64 v[12:13], v[12:13], -v[18:19]
	s_waitcnt lgkmcnt(0)
	v_mul_f64 v[18:19], v[158:159], v[160:161]
	v_fma_f64 v[18:19], v[156:157], v[16:17], -v[18:19]
	v_mul_f64 v[156:157], v[156:157], v[160:161]
	v_fmac_f64_e32 v[156:157], v[158:159], v[16:17]
	s_waitcnt vmcnt(27)
	v_add_f64 v[10:11], v[10:11], -v[156:157]
	ds_read2_b64 v[156:159], v180 offset0:66 offset1:67
	v_add_f64 v[8:9], v[8:9], -v[18:19]
	;; [unrolled: 9-line block ×4, first 2 shown]
	s_waitcnt lgkmcnt(0)
	v_mul_f64 v[18:19], v[158:159], v[160:161]
	v_fma_f64 v[18:19], v[156:157], v[16:17], -v[18:19]
	v_mul_f64 v[156:157], v[156:157], v[160:161]
	v_fmac_f64_e32 v[156:157], v[158:159], v[16:17]
	s_waitcnt vmcnt(24)
	v_add_f64 v[140:141], v[140:141], -v[18:19]
	v_add_f64 v[142:143], v[142:143], -v[156:157]
	v_mov_b64_e32 v[18:19], v[160:161]
.LBB71_280:
	s_or_b64 exec, exec, s[2:3]
	v_cmp_eq_u32_e32 vcc, 31, v206
	s_waitcnt lgkmcnt(0)
	s_barrier
	s_and_saveexec_b64 s[4:5], vcc
	s_cbranch_execz .LBB71_287
; %bb.281:
	s_waitcnt vmcnt(28)
	ds_write2_b64 v207, v[12:13], v[14:15] offset1:1
	s_waitcnt vmcnt(27)
	ds_write2_b64 v180, v[8:9], v[10:11] offset0:64 offset1:65
	s_waitcnt vmcnt(26)
	ds_write2_b64 v180, v[4:5], v[6:7] offset0:66 offset1:67
	;; [unrolled: 2-line block ×4, first 2 shown]
	ds_read2_b64 v[156:159], v207 offset1:1
	s_waitcnt lgkmcnt(0)
	v_cmp_neq_f64_e32 vcc, 0, v[156:157]
	v_cmp_neq_f64_e64 s[2:3], 0, v[158:159]
	s_or_b64 s[2:3], vcc, s[2:3]
	s_and_b64 exec, exec, s[2:3]
	s_cbranch_execz .LBB71_287
; %bb.282:
	v_cmp_ngt_f64_e64 s[2:3], |v[156:157]|, |v[158:159]|
                                        ; implicit-def: $vgpr160_vgpr161
	s_and_saveexec_b64 s[10:11], s[2:3]
	s_xor_b64 s[2:3], exec, s[10:11]
                                        ; implicit-def: $vgpr162_vgpr163
	s_cbranch_execz .LBB71_284
; %bb.283:
	v_div_scale_f64 v[160:161], s[10:11], v[158:159], v[158:159], v[156:157]
	v_rcp_f64_e32 v[162:163], v[160:161]
	v_div_scale_f64 v[164:165], vcc, v[156:157], v[158:159], v[156:157]
	v_fma_f64 v[166:167], -v[160:161], v[162:163], 1.0
	v_fmac_f64_e32 v[162:163], v[162:163], v[166:167]
	v_fma_f64 v[166:167], -v[160:161], v[162:163], 1.0
	v_fmac_f64_e32 v[162:163], v[162:163], v[166:167]
	v_mul_f64 v[166:167], v[164:165], v[162:163]
	v_fma_f64 v[160:161], -v[160:161], v[166:167], v[164:165]
	v_div_fmas_f64 v[160:161], v[160:161], v[162:163], v[166:167]
	v_div_fixup_f64 v[160:161], v[160:161], v[158:159], v[156:157]
	v_fmac_f64_e32 v[158:159], v[156:157], v[160:161]
	v_div_scale_f64 v[156:157], s[10:11], v[158:159], v[158:159], 1.0
	v_rcp_f64_e32 v[162:163], v[156:157]
	s_nop 0
	v_fma_f64 v[164:165], -v[156:157], v[162:163], 1.0
	v_fmac_f64_e32 v[162:163], v[162:163], v[164:165]
	v_fma_f64 v[164:165], -v[156:157], v[162:163], 1.0
	v_fmac_f64_e32 v[162:163], v[162:163], v[164:165]
	v_div_scale_f64 v[164:165], vcc, 1.0, v[158:159], 1.0
	v_mul_f64 v[166:167], v[164:165], v[162:163]
	v_fma_f64 v[156:157], -v[156:157], v[166:167], v[164:165]
	s_nop 1
	v_div_fmas_f64 v[156:157], v[156:157], v[162:163], v[166:167]
	v_div_fixup_f64 v[162:163], v[156:157], v[158:159], 1.0
	v_mul_f64 v[160:161], v[160:161], v[162:163]
	v_xor_b32_e32 v163, 0x80000000, v163
                                        ; implicit-def: $vgpr156_vgpr157
.LBB71_284:
	s_andn2_saveexec_b64 s[2:3], s[2:3]
	s_cbranch_execz .LBB71_286
; %bb.285:
	v_div_scale_f64 v[160:161], s[10:11], v[156:157], v[156:157], v[158:159]
	v_rcp_f64_e32 v[162:163], v[160:161]
	v_div_scale_f64 v[164:165], vcc, v[158:159], v[156:157], v[158:159]
	v_fma_f64 v[166:167], -v[160:161], v[162:163], 1.0
	v_fmac_f64_e32 v[162:163], v[162:163], v[166:167]
	v_fma_f64 v[166:167], -v[160:161], v[162:163], 1.0
	v_fmac_f64_e32 v[162:163], v[162:163], v[166:167]
	v_mul_f64 v[166:167], v[164:165], v[162:163]
	v_fma_f64 v[160:161], -v[160:161], v[166:167], v[164:165]
	v_div_fmas_f64 v[160:161], v[160:161], v[162:163], v[166:167]
	v_div_fixup_f64 v[162:163], v[160:161], v[156:157], v[158:159]
	v_fmac_f64_e32 v[156:157], v[158:159], v[162:163]
	v_div_scale_f64 v[158:159], s[10:11], v[156:157], v[156:157], 1.0
	v_rcp_f64_e32 v[160:161], v[158:159]
	s_nop 0
	v_fma_f64 v[164:165], -v[158:159], v[160:161], 1.0
	v_fmac_f64_e32 v[160:161], v[160:161], v[164:165]
	v_fma_f64 v[164:165], -v[158:159], v[160:161], 1.0
	v_fmac_f64_e32 v[160:161], v[160:161], v[164:165]
	v_div_scale_f64 v[164:165], vcc, 1.0, v[156:157], 1.0
	v_mul_f64 v[166:167], v[164:165], v[160:161]
	v_fma_f64 v[158:159], -v[158:159], v[166:167], v[164:165]
	s_nop 1
	v_div_fmas_f64 v[158:159], v[158:159], v[160:161], v[166:167]
	v_div_fixup_f64 v[160:161], v[158:159], v[156:157], 1.0
	v_mul_f64 v[162:163], v[162:163], -v[160:161]
.LBB71_286:
	s_or_b64 exec, exec, s[2:3]
	ds_write2_b64 v207, v[160:161], v[162:163] offset1:1
.LBB71_287:
	s_or_b64 exec, exec, s[4:5]
	s_waitcnt lgkmcnt(0)
	s_barrier
	ds_read2_b64 v[156:159], v207 offset1:1
	v_cmp_lt_u32_e32 vcc, 31, v206
	s_and_saveexec_b64 s[2:3], vcc
	s_cbranch_execz .LBB71_289
; %bb.288:
	ds_read2_b64 v[160:163], v180 offset0:64 offset1:65
	s_waitcnt vmcnt(28) lgkmcnt(1)
	v_mul_f64 v[164:165], v[156:157], v[14:15]
	v_fmac_f64_e32 v[164:165], v[158:159], v[12:13]
	v_mul_f64 v[14:15], v[158:159], v[14:15]
	v_fma_f64 v[12:13], v[156:157], v[12:13], -v[14:15]
	s_waitcnt lgkmcnt(0)
	v_mul_f64 v[14:15], v[162:163], v[164:165]
	v_fma_f64 v[14:15], v[160:161], v[12:13], -v[14:15]
	v_mul_f64 v[160:161], v[160:161], v[164:165]
	v_fmac_f64_e32 v[160:161], v[162:163], v[12:13]
	s_waitcnt vmcnt(27)
	v_add_f64 v[10:11], v[10:11], -v[160:161]
	ds_read2_b64 v[160:163], v180 offset0:66 offset1:67
	v_add_f64 v[8:9], v[8:9], -v[14:15]
	s_waitcnt lgkmcnt(0)
	v_mul_f64 v[14:15], v[162:163], v[164:165]
	v_fma_f64 v[14:15], v[160:161], v[12:13], -v[14:15]
	v_mul_f64 v[160:161], v[160:161], v[164:165]
	v_fmac_f64_e32 v[160:161], v[162:163], v[12:13]
	s_waitcnt vmcnt(26)
	v_add_f64 v[6:7], v[6:7], -v[160:161]
	ds_read2_b64 v[160:163], v180 offset0:68 offset1:69
	v_add_f64 v[4:5], v[4:5], -v[14:15]
	;; [unrolled: 9-line block ×3, first 2 shown]
	s_waitcnt lgkmcnt(0)
	v_mul_f64 v[14:15], v[162:163], v[164:165]
	v_fma_f64 v[14:15], v[160:161], v[12:13], -v[14:15]
	v_mul_f64 v[160:161], v[160:161], v[164:165]
	v_fmac_f64_e32 v[160:161], v[162:163], v[12:13]
	s_waitcnt vmcnt(24)
	v_add_f64 v[140:141], v[140:141], -v[14:15]
	v_add_f64 v[142:143], v[142:143], -v[160:161]
	v_mov_b64_e32 v[14:15], v[164:165]
.LBB71_289:
	s_or_b64 exec, exec, s[2:3]
	v_cmp_eq_u32_e32 vcc, 32, v206
	s_waitcnt lgkmcnt(0)
	s_barrier
	s_and_saveexec_b64 s[4:5], vcc
	s_cbranch_execz .LBB71_296
; %bb.290:
	s_waitcnt vmcnt(27)
	ds_write2_b64 v207, v[8:9], v[10:11] offset1:1
	s_waitcnt vmcnt(26)
	ds_write2_b64 v180, v[4:5], v[6:7] offset0:66 offset1:67
	s_waitcnt vmcnt(25)
	ds_write2_b64 v180, v[0:1], v[2:3] offset0:68 offset1:69
	;; [unrolled: 2-line block ×3, first 2 shown]
	ds_read2_b64 v[160:163], v207 offset1:1
	s_waitcnt lgkmcnt(0)
	v_cmp_neq_f64_e32 vcc, 0, v[160:161]
	v_cmp_neq_f64_e64 s[2:3], 0, v[162:163]
	s_or_b64 s[2:3], vcc, s[2:3]
	s_and_b64 exec, exec, s[2:3]
	s_cbranch_execz .LBB71_296
; %bb.291:
	v_cmp_ngt_f64_e64 s[2:3], |v[160:161]|, |v[162:163]|
                                        ; implicit-def: $vgpr164_vgpr165
	s_and_saveexec_b64 s[10:11], s[2:3]
	s_xor_b64 s[2:3], exec, s[10:11]
                                        ; implicit-def: $vgpr166_vgpr167
	s_cbranch_execz .LBB71_293
; %bb.292:
	v_div_scale_f64 v[164:165], s[10:11], v[162:163], v[162:163], v[160:161]
	v_rcp_f64_e32 v[166:167], v[164:165]
	v_div_scale_f64 v[168:169], vcc, v[160:161], v[162:163], v[160:161]
	v_fma_f64 v[170:171], -v[164:165], v[166:167], 1.0
	v_fmac_f64_e32 v[166:167], v[166:167], v[170:171]
	v_fma_f64 v[170:171], -v[164:165], v[166:167], 1.0
	v_fmac_f64_e32 v[166:167], v[166:167], v[170:171]
	v_mul_f64 v[170:171], v[168:169], v[166:167]
	v_fma_f64 v[164:165], -v[164:165], v[170:171], v[168:169]
	v_div_fmas_f64 v[164:165], v[164:165], v[166:167], v[170:171]
	v_div_fixup_f64 v[164:165], v[164:165], v[162:163], v[160:161]
	v_fmac_f64_e32 v[162:163], v[160:161], v[164:165]
	v_div_scale_f64 v[160:161], s[10:11], v[162:163], v[162:163], 1.0
	v_rcp_f64_e32 v[166:167], v[160:161]
	s_nop 0
	v_fma_f64 v[168:169], -v[160:161], v[166:167], 1.0
	v_fmac_f64_e32 v[166:167], v[166:167], v[168:169]
	v_fma_f64 v[168:169], -v[160:161], v[166:167], 1.0
	v_fmac_f64_e32 v[166:167], v[166:167], v[168:169]
	v_div_scale_f64 v[168:169], vcc, 1.0, v[162:163], 1.0
	v_mul_f64 v[170:171], v[168:169], v[166:167]
	v_fma_f64 v[160:161], -v[160:161], v[170:171], v[168:169]
	s_nop 1
	v_div_fmas_f64 v[160:161], v[160:161], v[166:167], v[170:171]
	v_div_fixup_f64 v[166:167], v[160:161], v[162:163], 1.0
	v_mul_f64 v[164:165], v[164:165], v[166:167]
	v_xor_b32_e32 v167, 0x80000000, v167
                                        ; implicit-def: $vgpr160_vgpr161
.LBB71_293:
	s_andn2_saveexec_b64 s[2:3], s[2:3]
	s_cbranch_execz .LBB71_295
; %bb.294:
	v_div_scale_f64 v[164:165], s[10:11], v[160:161], v[160:161], v[162:163]
	v_rcp_f64_e32 v[166:167], v[164:165]
	v_div_scale_f64 v[168:169], vcc, v[162:163], v[160:161], v[162:163]
	v_fma_f64 v[170:171], -v[164:165], v[166:167], 1.0
	v_fmac_f64_e32 v[166:167], v[166:167], v[170:171]
	v_fma_f64 v[170:171], -v[164:165], v[166:167], 1.0
	v_fmac_f64_e32 v[166:167], v[166:167], v[170:171]
	v_mul_f64 v[170:171], v[168:169], v[166:167]
	v_fma_f64 v[164:165], -v[164:165], v[170:171], v[168:169]
	v_div_fmas_f64 v[164:165], v[164:165], v[166:167], v[170:171]
	v_div_fixup_f64 v[166:167], v[164:165], v[160:161], v[162:163]
	v_fmac_f64_e32 v[160:161], v[162:163], v[166:167]
	v_div_scale_f64 v[162:163], s[10:11], v[160:161], v[160:161], 1.0
	v_rcp_f64_e32 v[164:165], v[162:163]
	s_nop 0
	v_fma_f64 v[168:169], -v[162:163], v[164:165], 1.0
	v_fmac_f64_e32 v[164:165], v[164:165], v[168:169]
	v_fma_f64 v[168:169], -v[162:163], v[164:165], 1.0
	v_fmac_f64_e32 v[164:165], v[164:165], v[168:169]
	v_div_scale_f64 v[168:169], vcc, 1.0, v[160:161], 1.0
	v_mul_f64 v[170:171], v[168:169], v[164:165]
	v_fma_f64 v[162:163], -v[162:163], v[170:171], v[168:169]
	s_nop 1
	v_div_fmas_f64 v[162:163], v[162:163], v[164:165], v[170:171]
	v_div_fixup_f64 v[164:165], v[162:163], v[160:161], 1.0
	v_mul_f64 v[166:167], v[166:167], -v[164:165]
.LBB71_295:
	s_or_b64 exec, exec, s[2:3]
	ds_write2_b64 v207, v[164:165], v[166:167] offset1:1
.LBB71_296:
	s_or_b64 exec, exec, s[4:5]
	s_waitcnt lgkmcnt(0)
	s_barrier
	ds_read2_b64 v[160:163], v207 offset1:1
	v_cmp_lt_u32_e32 vcc, 32, v206
	s_and_saveexec_b64 s[2:3], vcc
	s_cbranch_execz .LBB71_298
; %bb.297:
	ds_read2_b64 v[164:167], v180 offset0:66 offset1:67
	s_waitcnt vmcnt(27) lgkmcnt(1)
	v_mul_f64 v[168:169], v[160:161], v[10:11]
	v_fmac_f64_e32 v[168:169], v[162:163], v[8:9]
	v_mul_f64 v[10:11], v[162:163], v[10:11]
	v_fma_f64 v[8:9], v[160:161], v[8:9], -v[10:11]
	s_waitcnt lgkmcnt(0)
	v_mul_f64 v[10:11], v[166:167], v[168:169]
	v_fma_f64 v[10:11], v[164:165], v[8:9], -v[10:11]
	v_mul_f64 v[164:165], v[164:165], v[168:169]
	v_fmac_f64_e32 v[164:165], v[166:167], v[8:9]
	s_waitcnt vmcnt(26)
	v_add_f64 v[6:7], v[6:7], -v[164:165]
	ds_read2_b64 v[164:167], v180 offset0:68 offset1:69
	v_add_f64 v[4:5], v[4:5], -v[10:11]
	s_waitcnt lgkmcnt(0)
	v_mul_f64 v[10:11], v[166:167], v[168:169]
	v_fma_f64 v[10:11], v[164:165], v[8:9], -v[10:11]
	v_mul_f64 v[164:165], v[164:165], v[168:169]
	v_fmac_f64_e32 v[164:165], v[166:167], v[8:9]
	s_waitcnt vmcnt(25)
	v_add_f64 v[2:3], v[2:3], -v[164:165]
	ds_read2_b64 v[164:167], v180 offset0:70 offset1:71
	v_add_f64 v[0:1], v[0:1], -v[10:11]
	s_waitcnt lgkmcnt(0)
	v_mul_f64 v[10:11], v[166:167], v[168:169]
	v_fma_f64 v[10:11], v[164:165], v[8:9], -v[10:11]
	v_mul_f64 v[164:165], v[164:165], v[168:169]
	v_fmac_f64_e32 v[164:165], v[166:167], v[8:9]
	s_waitcnt vmcnt(24)
	v_add_f64 v[140:141], v[140:141], -v[10:11]
	v_add_f64 v[142:143], v[142:143], -v[164:165]
	v_mov_b64_e32 v[10:11], v[168:169]
.LBB71_298:
	s_or_b64 exec, exec, s[2:3]
	v_cmp_eq_u32_e32 vcc, 33, v206
	s_waitcnt lgkmcnt(0)
	s_barrier
	s_and_saveexec_b64 s[4:5], vcc
	s_cbranch_execz .LBB71_305
; %bb.299:
	s_waitcnt vmcnt(26)
	ds_write2_b64 v207, v[4:5], v[6:7] offset1:1
	s_waitcnt vmcnt(25)
	ds_write2_b64 v180, v[0:1], v[2:3] offset0:68 offset1:69
	s_waitcnt vmcnt(24)
	ds_write2_b64 v180, v[140:141], v[142:143] offset0:70 offset1:71
	ds_read2_b64 v[164:167], v207 offset1:1
	s_waitcnt lgkmcnt(0)
	v_cmp_neq_f64_e32 vcc, 0, v[164:165]
	v_cmp_neq_f64_e64 s[2:3], 0, v[166:167]
	s_or_b64 s[2:3], vcc, s[2:3]
	s_and_b64 exec, exec, s[2:3]
	s_cbranch_execz .LBB71_305
; %bb.300:
	v_cmp_ngt_f64_e64 s[2:3], |v[164:165]|, |v[166:167]|
                                        ; implicit-def: $vgpr168_vgpr169
	s_and_saveexec_b64 s[10:11], s[2:3]
	s_xor_b64 s[2:3], exec, s[10:11]
                                        ; implicit-def: $vgpr170_vgpr171
	s_cbranch_execz .LBB71_302
; %bb.301:
	v_div_scale_f64 v[168:169], s[10:11], v[166:167], v[166:167], v[164:165]
	v_rcp_f64_e32 v[170:171], v[168:169]
	v_div_scale_f64 v[172:173], vcc, v[164:165], v[166:167], v[164:165]
	v_fma_f64 v[174:175], -v[168:169], v[170:171], 1.0
	v_fmac_f64_e32 v[170:171], v[170:171], v[174:175]
	v_fma_f64 v[174:175], -v[168:169], v[170:171], 1.0
	v_fmac_f64_e32 v[170:171], v[170:171], v[174:175]
	v_mul_f64 v[174:175], v[172:173], v[170:171]
	v_fma_f64 v[168:169], -v[168:169], v[174:175], v[172:173]
	v_div_fmas_f64 v[168:169], v[168:169], v[170:171], v[174:175]
	v_div_fixup_f64 v[168:169], v[168:169], v[166:167], v[164:165]
	v_fmac_f64_e32 v[166:167], v[164:165], v[168:169]
	v_div_scale_f64 v[164:165], s[10:11], v[166:167], v[166:167], 1.0
	v_rcp_f64_e32 v[170:171], v[164:165]
	s_nop 0
	v_fma_f64 v[172:173], -v[164:165], v[170:171], 1.0
	v_fmac_f64_e32 v[170:171], v[170:171], v[172:173]
	v_fma_f64 v[172:173], -v[164:165], v[170:171], 1.0
	v_fmac_f64_e32 v[170:171], v[170:171], v[172:173]
	v_div_scale_f64 v[172:173], vcc, 1.0, v[166:167], 1.0
	v_mul_f64 v[174:175], v[172:173], v[170:171]
	v_fma_f64 v[164:165], -v[164:165], v[174:175], v[172:173]
	s_nop 1
	v_div_fmas_f64 v[164:165], v[164:165], v[170:171], v[174:175]
	v_div_fixup_f64 v[170:171], v[164:165], v[166:167], 1.0
	v_mul_f64 v[168:169], v[168:169], v[170:171]
	v_xor_b32_e32 v171, 0x80000000, v171
                                        ; implicit-def: $vgpr164_vgpr165
.LBB71_302:
	s_andn2_saveexec_b64 s[2:3], s[2:3]
	s_cbranch_execz .LBB71_304
; %bb.303:
	v_div_scale_f64 v[168:169], s[10:11], v[164:165], v[164:165], v[166:167]
	v_rcp_f64_e32 v[170:171], v[168:169]
	v_div_scale_f64 v[172:173], vcc, v[166:167], v[164:165], v[166:167]
	v_fma_f64 v[174:175], -v[168:169], v[170:171], 1.0
	v_fmac_f64_e32 v[170:171], v[170:171], v[174:175]
	v_fma_f64 v[174:175], -v[168:169], v[170:171], 1.0
	v_fmac_f64_e32 v[170:171], v[170:171], v[174:175]
	v_mul_f64 v[174:175], v[172:173], v[170:171]
	v_fma_f64 v[168:169], -v[168:169], v[174:175], v[172:173]
	v_div_fmas_f64 v[168:169], v[168:169], v[170:171], v[174:175]
	v_div_fixup_f64 v[170:171], v[168:169], v[164:165], v[166:167]
	v_fmac_f64_e32 v[164:165], v[166:167], v[170:171]
	v_div_scale_f64 v[166:167], s[10:11], v[164:165], v[164:165], 1.0
	v_rcp_f64_e32 v[168:169], v[166:167]
	s_nop 0
	v_fma_f64 v[172:173], -v[166:167], v[168:169], 1.0
	v_fmac_f64_e32 v[168:169], v[168:169], v[172:173]
	v_fma_f64 v[172:173], -v[166:167], v[168:169], 1.0
	v_fmac_f64_e32 v[168:169], v[168:169], v[172:173]
	v_div_scale_f64 v[172:173], vcc, 1.0, v[164:165], 1.0
	v_mul_f64 v[174:175], v[172:173], v[168:169]
	v_fma_f64 v[166:167], -v[166:167], v[174:175], v[172:173]
	s_nop 1
	v_div_fmas_f64 v[166:167], v[166:167], v[168:169], v[174:175]
	v_div_fixup_f64 v[168:169], v[166:167], v[164:165], 1.0
	v_mul_f64 v[170:171], v[170:171], -v[168:169]
.LBB71_304:
	s_or_b64 exec, exec, s[2:3]
	ds_write2_b64 v207, v[168:169], v[170:171] offset1:1
.LBB71_305:
	s_or_b64 exec, exec, s[4:5]
	s_waitcnt lgkmcnt(0)
	s_barrier
	ds_read2_b64 v[164:167], v207 offset1:1
	v_cmp_lt_u32_e32 vcc, 33, v206
	s_and_saveexec_b64 s[2:3], vcc
	s_cbranch_execz .LBB71_307
; %bb.306:
	ds_read2_b64 v[168:171], v180 offset0:68 offset1:69
	s_waitcnt vmcnt(26) lgkmcnt(1)
	v_mul_f64 v[172:173], v[164:165], v[6:7]
	v_fmac_f64_e32 v[172:173], v[166:167], v[4:5]
	v_mul_f64 v[6:7], v[166:167], v[6:7]
	v_fma_f64 v[4:5], v[164:165], v[4:5], -v[6:7]
	s_waitcnt lgkmcnt(0)
	v_mul_f64 v[6:7], v[170:171], v[172:173]
	v_fma_f64 v[6:7], v[168:169], v[4:5], -v[6:7]
	v_mul_f64 v[168:169], v[168:169], v[172:173]
	v_fmac_f64_e32 v[168:169], v[170:171], v[4:5]
	s_waitcnt vmcnt(25)
	v_add_f64 v[2:3], v[2:3], -v[168:169]
	ds_read2_b64 v[168:171], v180 offset0:70 offset1:71
	v_add_f64 v[0:1], v[0:1], -v[6:7]
	s_waitcnt lgkmcnt(0)
	v_mul_f64 v[6:7], v[170:171], v[172:173]
	v_fma_f64 v[6:7], v[168:169], v[4:5], -v[6:7]
	v_mul_f64 v[168:169], v[168:169], v[172:173]
	v_fmac_f64_e32 v[168:169], v[170:171], v[4:5]
	s_waitcnt vmcnt(24)
	v_add_f64 v[140:141], v[140:141], -v[6:7]
	v_add_f64 v[142:143], v[142:143], -v[168:169]
	v_mov_b64_e32 v[6:7], v[172:173]
.LBB71_307:
	s_or_b64 exec, exec, s[2:3]
	v_cmp_eq_u32_e32 vcc, 34, v206
	s_waitcnt lgkmcnt(0)
	s_barrier
	s_and_saveexec_b64 s[4:5], vcc
	s_cbranch_execz .LBB71_314
; %bb.308:
	s_waitcnt vmcnt(25)
	ds_write2_b64 v207, v[0:1], v[2:3] offset1:1
	s_waitcnt vmcnt(24)
	ds_write2_b64 v180, v[140:141], v[142:143] offset0:70 offset1:71
	ds_read2_b64 v[168:171], v207 offset1:1
	s_waitcnt lgkmcnt(0)
	v_cmp_neq_f64_e32 vcc, 0, v[168:169]
	v_cmp_neq_f64_e64 s[2:3], 0, v[170:171]
	s_or_b64 s[2:3], vcc, s[2:3]
	s_and_b64 exec, exec, s[2:3]
	s_cbranch_execz .LBB71_314
; %bb.309:
	v_cmp_ngt_f64_e64 s[2:3], |v[168:169]|, |v[170:171]|
                                        ; implicit-def: $vgpr172_vgpr173
	s_and_saveexec_b64 s[10:11], s[2:3]
	s_xor_b64 s[2:3], exec, s[10:11]
                                        ; implicit-def: $vgpr174_vgpr175
	s_cbranch_execz .LBB71_311
; %bb.310:
	v_div_scale_f64 v[172:173], s[10:11], v[170:171], v[170:171], v[168:169]
	v_rcp_f64_e32 v[174:175], v[172:173]
	v_mov_b64_e32 v[176:177], v[182:183]
	v_div_scale_f64 v[182:183], vcc, v[168:169], v[170:171], v[168:169]
	v_fma_f64 v[184:185], -v[172:173], v[174:175], 1.0
	v_fmac_f64_e32 v[174:175], v[174:175], v[184:185]
	v_fma_f64 v[184:185], -v[172:173], v[174:175], 1.0
	v_fmac_f64_e32 v[174:175], v[174:175], v[184:185]
	v_mul_f64 v[184:185], v[182:183], v[174:175]
	v_fma_f64 v[172:173], -v[172:173], v[184:185], v[182:183]
	v_div_fmas_f64 v[172:173], v[172:173], v[174:175], v[184:185]
	v_div_fixup_f64 v[172:173], v[172:173], v[170:171], v[168:169]
	v_fmac_f64_e32 v[170:171], v[168:169], v[172:173]
	v_div_scale_f64 v[168:169], s[10:11], v[170:171], v[170:171], 1.0
	v_rcp_f64_e32 v[174:175], v[168:169]
	s_nop 0
	v_fma_f64 v[182:183], -v[168:169], v[174:175], 1.0
	v_fmac_f64_e32 v[174:175], v[174:175], v[182:183]
	v_fma_f64 v[182:183], -v[168:169], v[174:175], 1.0
	v_fmac_f64_e32 v[174:175], v[174:175], v[182:183]
	v_div_scale_f64 v[182:183], vcc, 1.0, v[170:171], 1.0
	v_mul_f64 v[184:185], v[182:183], v[174:175]
	v_fma_f64 v[168:169], -v[168:169], v[184:185], v[182:183]
	v_mov_b64_e32 v[182:183], v[176:177]
	s_nop 0
	v_div_fmas_f64 v[168:169], v[168:169], v[174:175], v[184:185]
	v_div_fixup_f64 v[174:175], v[168:169], v[170:171], 1.0
	v_mul_f64 v[172:173], v[172:173], v[174:175]
	v_xor_b32_e32 v175, 0x80000000, v175
                                        ; implicit-def: $vgpr168_vgpr169
.LBB71_311:
	s_andn2_saveexec_b64 s[2:3], s[2:3]
	s_cbranch_execz .LBB71_313
; %bb.312:
	v_div_scale_f64 v[172:173], s[10:11], v[168:169], v[168:169], v[170:171]
	v_rcp_f64_e32 v[174:175], v[172:173]
	v_mov_b64_e32 v[176:177], v[182:183]
	v_div_scale_f64 v[182:183], vcc, v[170:171], v[168:169], v[170:171]
	v_fma_f64 v[184:185], -v[172:173], v[174:175], 1.0
	v_fmac_f64_e32 v[174:175], v[174:175], v[184:185]
	v_fma_f64 v[184:185], -v[172:173], v[174:175], 1.0
	v_fmac_f64_e32 v[174:175], v[174:175], v[184:185]
	v_mul_f64 v[184:185], v[182:183], v[174:175]
	v_fma_f64 v[172:173], -v[172:173], v[184:185], v[182:183]
	v_div_fmas_f64 v[172:173], v[172:173], v[174:175], v[184:185]
	v_div_fixup_f64 v[174:175], v[172:173], v[168:169], v[170:171]
	v_fmac_f64_e32 v[168:169], v[170:171], v[174:175]
	v_div_scale_f64 v[170:171], s[10:11], v[168:169], v[168:169], 1.0
	v_rcp_f64_e32 v[172:173], v[170:171]
	s_nop 0
	v_fma_f64 v[182:183], -v[170:171], v[172:173], 1.0
	v_fmac_f64_e32 v[172:173], v[172:173], v[182:183]
	v_fma_f64 v[182:183], -v[170:171], v[172:173], 1.0
	v_fmac_f64_e32 v[172:173], v[172:173], v[182:183]
	v_div_scale_f64 v[182:183], vcc, 1.0, v[168:169], 1.0
	v_mul_f64 v[184:185], v[182:183], v[172:173]
	v_fma_f64 v[170:171], -v[170:171], v[184:185], v[182:183]
	v_mov_b64_e32 v[182:183], v[176:177]
	s_nop 0
	v_div_fmas_f64 v[170:171], v[170:171], v[172:173], v[184:185]
	v_div_fixup_f64 v[172:173], v[170:171], v[168:169], 1.0
	v_mul_f64 v[174:175], v[174:175], -v[172:173]
.LBB71_313:
	s_or_b64 exec, exec, s[2:3]
	ds_write2_b64 v207, v[172:173], v[174:175] offset1:1
.LBB71_314:
	s_or_b64 exec, exec, s[4:5]
	s_waitcnt lgkmcnt(0)
	s_barrier
	ds_read2_b64 v[168:171], v207 offset1:1
	v_cmp_lt_u32_e32 vcc, 34, v206
	s_and_saveexec_b64 s[2:3], vcc
	s_cbranch_execz .LBB71_316
; %bb.315:
	ds_read2_b64 v[172:175], v180 offset0:70 offset1:71
	s_waitcnt vmcnt(25) lgkmcnt(1)
	v_mul_f64 v[180:181], v[168:169], v[2:3]
	v_mul_f64 v[2:3], v[170:171], v[2:3]
	v_fmac_f64_e32 v[180:181], v[170:171], v[0:1]
	v_fma_f64 v[0:1], v[168:169], v[0:1], -v[2:3]
	s_waitcnt lgkmcnt(0)
	v_mul_f64 v[2:3], v[174:175], v[180:181]
	v_fma_f64 v[2:3], v[172:173], v[0:1], -v[2:3]
	v_mul_f64 v[172:173], v[172:173], v[180:181]
	v_fmac_f64_e32 v[172:173], v[174:175], v[0:1]
	s_waitcnt vmcnt(24)
	v_add_f64 v[140:141], v[140:141], -v[2:3]
	v_add_f64 v[142:143], v[142:143], -v[172:173]
	v_mov_b64_e32 v[2:3], v[180:181]
.LBB71_316:
	s_or_b64 exec, exec, s[2:3]
	v_cmp_eq_u32_e32 vcc, 35, v206
	s_waitcnt lgkmcnt(0)
	s_barrier
	s_and_saveexec_b64 s[4:5], vcc
	s_cbranch_execz .LBB71_323
; %bb.317:
	s_waitcnt vmcnt(24)
	v_cmp_neq_f64_e32 vcc, 0, v[140:141]
	v_cmp_neq_f64_e64 s[2:3], 0, v[142:143]
	s_or_b64 s[2:3], vcc, s[2:3]
	ds_write2_b64 v207, v[140:141], v[142:143] offset1:1
	s_and_b64 exec, exec, s[2:3]
	s_cbranch_execz .LBB71_323
; %bb.318:
	v_cmp_ngt_f64_e64 s[2:3], |v[140:141]|, |v[142:143]|
                                        ; implicit-def: $vgpr172_vgpr173
	s_and_saveexec_b64 s[10:11], s[2:3]
	s_xor_b64 s[2:3], exec, s[10:11]
                                        ; implicit-def: $vgpr174_vgpr175
	s_cbranch_execz .LBB71_320
; %bb.319:
	v_mov_b64_e32 v[178:179], v[30:31]
	v_mov_b64_e32 v[176:177], v[28:29]
	;; [unrolled: 1-line block ×21, first 2 shown]
	v_div_scale_f64 v[172:173], s[10:11], v[142:143], v[142:143], v[140:141]
	v_mov_b64_e32 v[62:63], v[66:67]
	v_mov_b64_e32 v[64:65], v[68:69]
	v_rcp_f64_e32 v[174:175], v[172:173]
	v_mov_b64_e32 v[66:67], v[70:71]
	v_mov_b64_e32 v[68:69], v[72:73]
	v_mov_b64_e32 v[70:71], v[74:75]
	v_mov_b64_e32 v[72:73], v[76:77]
	v_mov_b64_e32 v[74:75], v[78:79]
	v_mov_b64_e32 v[76:77], v[80:81]
	v_mov_b64_e32 v[78:79], v[82:83]
	v_mov_b64_e32 v[80:81], v[84:85]
	v_mov_b64_e32 v[208:209], v[204:205]
	v_mov_b64_e32 v[204:205], v[182:183]
	v_fma_f64 v[182:183], -v[172:173], v[174:175], 1.0
	v_mov_b64_e32 v[82:83], v[86:87]
	v_mov_b64_e32 v[84:85], v[88:89]
	v_fmac_f64_e32 v[174:175], v[174:175], v[182:183]
	v_mov_b64_e32 v[86:87], v[90:91]
	v_mov_b64_e32 v[88:89], v[148:149]
	v_fma_f64 v[182:183], -v[172:173], v[174:175], 1.0
	v_mov_b64_e32 v[90:91], v[150:151]
	v_mov_b64_e32 v[150:151], v[94:95]
	v_div_scale_f64 v[180:181], vcc, v[140:141], v[142:143], v[140:141]
	v_fmac_f64_e32 v[174:175], v[174:175], v[182:183]
	v_mov_b64_e32 v[148:149], v[92:93]
	v_mov_b64_e32 v[92:93], v[96:97]
	v_mul_f64 v[182:183], v[180:181], v[174:175]
	v_mov_b64_e32 v[94:95], v[98:99]
	v_mov_b64_e32 v[96:97], v[100:101]
	v_fma_f64 v[172:173], -v[172:173], v[182:183], v[180:181]
	v_mov_b64_e32 v[98:99], v[102:103]
	v_mov_b64_e32 v[100:101], v[104:105]
	v_div_fmas_f64 v[172:173], v[172:173], v[174:175], v[182:183]
	v_mov_b64_e32 v[102:103], v[106:107]
	v_mov_b64_e32 v[104:105], v[108:109]
	v_div_fixup_f64 v[172:173], v[172:173], v[142:143], v[140:141]
	v_mov_b64_e32 v[106:107], v[110:111]
	v_mov_b64_e32 v[108:109], v[112:113]
	v_fma_f64 v[174:175], v[140:141], v[172:173], v[142:143]
	v_mov_b64_e32 v[110:111], v[114:115]
	v_mov_b64_e32 v[112:113], v[116:117]
	v_div_scale_f64 v[180:181], s[10:11], v[174:175], v[174:175], 1.0
	v_mov_b64_e32 v[114:115], v[118:119]
	v_mov_b64_e32 v[116:117], v[144:145]
	v_rcp_f64_e32 v[182:183], v[180:181]
	v_mov_b64_e32 v[118:119], v[146:147]
	v_mov_b64_e32 v[146:147], v[122:123]
	;; [unrolled: 1-line block ×8, first 2 shown]
	v_fma_f64 v[184:185], -v[180:181], v[182:183], 1.0
	v_mov_b64_e32 v[130:131], v[134:135]
	v_mov_b64_e32 v[132:133], v[200:201]
	v_fmac_f64_e32 v[182:183], v[182:183], v[184:185]
	v_mov_b64_e32 v[134:135], v[202:203]
	v_mov_b64_e32 v[200:201], v[198:199]
	v_fma_f64 v[184:185], -v[180:181], v[182:183], 1.0
	v_mov_b64_e32 v[198:199], v[196:197]
	v_mov_b64_e32 v[196:197], v[194:195]
	v_fmac_f64_e32 v[182:183], v[182:183], v[184:185]
	v_div_scale_f64 v[184:185], vcc, 1.0, v[174:175], 1.0
	v_mov_b64_e32 v[194:195], v[192:193]
	v_mov_b64_e32 v[192:193], v[190:191]
	;; [unrolled: 1-line block ×4, first 2 shown]
	v_mul_f64 v[186:187], v[184:185], v[182:183]
	v_fma_f64 v[180:181], -v[180:181], v[186:187], v[184:185]
	v_div_fmas_f64 v[180:181], v[180:181], v[182:183], v[186:187]
	v_mov_b64_e32 v[186:187], v[188:189]
	v_mov_b64_e32 v[188:189], v[190:191]
	;; [unrolled: 1-line block ×88, first 2 shown]
	v_div_fixup_f64 v[174:175], v[180:181], v[174:175], 1.0
	v_mov_b64_e32 v[182:183], v[204:205]
	v_mov_b64_e32 v[204:205], v[208:209]
	;; [unrolled: 1-line block ×23, first 2 shown]
	v_mul_f64 v[172:173], v[172:173], v[174:175]
	v_xor_b32_e32 v175, 0x80000000, v175
.LBB71_320:
	s_andn2_saveexec_b64 s[2:3], s[2:3]
	s_cbranch_execz .LBB71_322
; %bb.321:
	v_mov_b64_e32 v[178:179], v[30:31]
	v_mov_b64_e32 v[176:177], v[28:29]
	;; [unrolled: 1-line block ×21, first 2 shown]
	v_div_scale_f64 v[172:173], s[10:11], v[140:141], v[140:141], v[142:143]
	v_mov_b64_e32 v[62:63], v[66:67]
	v_mov_b64_e32 v[64:65], v[68:69]
	v_rcp_f64_e32 v[174:175], v[172:173]
	v_mov_b64_e32 v[66:67], v[70:71]
	v_mov_b64_e32 v[68:69], v[72:73]
	;; [unrolled: 1-line block ×10, first 2 shown]
	v_fma_f64 v[182:183], -v[172:173], v[174:175], 1.0
	v_mov_b64_e32 v[82:83], v[86:87]
	v_mov_b64_e32 v[84:85], v[88:89]
	v_fmac_f64_e32 v[174:175], v[174:175], v[182:183]
	v_mov_b64_e32 v[86:87], v[90:91]
	v_mov_b64_e32 v[88:89], v[148:149]
	v_fma_f64 v[182:183], -v[172:173], v[174:175], 1.0
	v_mov_b64_e32 v[90:91], v[150:151]
	v_mov_b64_e32 v[150:151], v[94:95]
	v_div_scale_f64 v[180:181], vcc, v[142:143], v[140:141], v[142:143]
	v_fmac_f64_e32 v[174:175], v[174:175], v[182:183]
	v_mov_b64_e32 v[148:149], v[92:93]
	v_mov_b64_e32 v[92:93], v[96:97]
	v_mul_f64 v[182:183], v[180:181], v[174:175]
	v_mov_b64_e32 v[94:95], v[98:99]
	v_mov_b64_e32 v[96:97], v[100:101]
	v_fma_f64 v[172:173], -v[172:173], v[182:183], v[180:181]
	v_mov_b64_e32 v[98:99], v[102:103]
	v_mov_b64_e32 v[100:101], v[104:105]
	v_div_fmas_f64 v[172:173], v[172:173], v[174:175], v[182:183]
	v_mov_b64_e32 v[102:103], v[106:107]
	v_mov_b64_e32 v[104:105], v[108:109]
	v_div_fixup_f64 v[174:175], v[172:173], v[140:141], v[142:143]
	v_mov_b64_e32 v[106:107], v[110:111]
	v_mov_b64_e32 v[108:109], v[112:113]
	v_fma_f64 v[172:173], v[142:143], v[174:175], v[140:141]
	v_mov_b64_e32 v[110:111], v[114:115]
	v_mov_b64_e32 v[112:113], v[116:117]
	v_div_scale_f64 v[180:181], s[10:11], v[172:173], v[172:173], 1.0
	v_mov_b64_e32 v[114:115], v[118:119]
	v_mov_b64_e32 v[116:117], v[144:145]
	v_rcp_f64_e32 v[182:183], v[180:181]
	v_mov_b64_e32 v[118:119], v[146:147]
	v_mov_b64_e32 v[146:147], v[122:123]
	;; [unrolled: 1-line block ×8, first 2 shown]
	v_fma_f64 v[184:185], -v[180:181], v[182:183], 1.0
	v_mov_b64_e32 v[130:131], v[134:135]
	v_mov_b64_e32 v[132:133], v[200:201]
	v_fmac_f64_e32 v[182:183], v[182:183], v[184:185]
	v_mov_b64_e32 v[134:135], v[202:203]
	v_mov_b64_e32 v[200:201], v[198:199]
	v_fma_f64 v[184:185], -v[180:181], v[182:183], 1.0
	v_mov_b64_e32 v[198:199], v[196:197]
	v_mov_b64_e32 v[196:197], v[194:195]
	v_fmac_f64_e32 v[182:183], v[182:183], v[184:185]
	v_div_scale_f64 v[184:185], vcc, 1.0, v[172:173], 1.0
	v_mov_b64_e32 v[194:195], v[192:193]
	v_mov_b64_e32 v[192:193], v[190:191]
	;; [unrolled: 1-line block ×4, first 2 shown]
	v_mul_f64 v[186:187], v[184:185], v[182:183]
	v_fma_f64 v[180:181], -v[180:181], v[186:187], v[184:185]
	v_div_fmas_f64 v[180:181], v[180:181], v[182:183], v[186:187]
	v_mov_b64_e32 v[186:187], v[188:189]
	v_mov_b64_e32 v[188:189], v[190:191]
	;; [unrolled: 1-line block ×88, first 2 shown]
	v_div_fixup_f64 v[172:173], v[180:181], v[172:173], 1.0
	v_mov_b64_e32 v[182:183], v[204:205]
	v_mov_b64_e32 v[204:205], v[208:209]
	;; [unrolled: 1-line block ×23, first 2 shown]
	v_mul_f64 v[174:175], v[174:175], -v[172:173]
.LBB71_322:
	s_or_b64 exec, exec, s[2:3]
	ds_write2_b64 v207, v[172:173], v[174:175] offset1:1
.LBB71_323:
	s_or_b64 exec, exec, s[4:5]
	s_waitcnt lgkmcnt(0)
	s_barrier
	ds_read2_b64 v[172:175], v207 offset1:1
	s_waitcnt lgkmcnt(0)
	s_barrier
	s_and_saveexec_b64 s[2:3], s[0:1]
	s_cbranch_execz .LBB71_326
; %bb.324:
	s_waitcnt vmcnt(57)
	v_mov_b64_e32 v[210:211], v[118:119]
	v_mov_b64_e32 v[208:209], v[116:117]
	;; [unrolled: 1-line block ×18, first 2 shown]
	scratch_load_dwordx4 v[136:139], off, off offset:16 ; 16-byte Folded Reload
	v_mov_b64_e32 v[196:197], v[192:193]
	v_mov_b64_e32 v[194:195], v[190:191]
	v_mov_b64_e32 v[192:193], v[188:189]
	scratch_load_dwordx4 v[188:191], off, off offset:32 ; 16-byte Folded Reload
	v_mov_b32_e32 v180, s6
	v_mov_b32_e32 v181, s7
	s_waitcnt vmcnt(1)
	v_cmp_eq_f64_e32 vcc, 0, v[136:137]
	v_cmp_eq_f64_e64 s[0:1], 0, v[138:139]
	s_and_b64 s[4:5], vcc, s[0:1]
	v_cndmask_b32_e64 v179, 0, 1, s[4:5]
	s_waitcnt vmcnt(0)
	v_cmp_neq_f64_e32 vcc, 0, v[188:189]
	v_cmp_neq_f64_e64 s[0:1], 0, v[190:191]
	s_or_b64 s[0:1], vcc, s[0:1]
	s_or_b64 vcc, s[0:1], s[4:5]
	v_cndmask_b32_e32 v179, 2, v179, vcc
	v_cmp_eq_f64_e32 vcc, 0, v[192:193]
	v_cmp_eq_f64_e64 s[0:1], 0, v[194:195]
	s_and_b64 s[0:1], vcc, s[0:1]
	v_cmp_eq_u32_e32 vcc, 0, v179
	s_and_b64 s[0:1], s[0:1], vcc
	v_cndmask_b32_e64 v179, v179, 3, s[0:1]
	v_cmp_eq_f64_e32 vcc, 0, v[196:197]
	v_cmp_eq_f64_e64 s[0:1], 0, v[198:199]
	s_and_b64 s[0:1], vcc, s[0:1]
	v_cmp_eq_u32_e32 vcc, 0, v179
	s_and_b64 s[0:1], s[0:1], vcc
	v_cndmask_b32_e64 v179, v179, 4, s[0:1]
	;; [unrolled: 6-line block ×3, first 2 shown]
	v_cmp_eq_f64_e32 vcc, 0, v[132:133]
	v_cmp_eq_f64_e64 s[0:1], 0, v[134:135]
	v_mov_b64_e32 v[134:135], v[130:131]
	v_mov_b64_e32 v[132:133], v[128:129]
	;; [unrolled: 1-line block ×8, first 2 shown]
	scratch_load_dwordx4 v[144:147], off, off offset:112 ; 16-byte Folded Reload
	s_and_b64 s[0:1], vcc, s[0:1]
	v_cmp_eq_u32_e32 vcc, 0, v179
	s_and_b64 s[0:1], s[0:1], vcc
	v_cndmask_b32_e64 v179, v179, 6, s[0:1]
	v_mov_b64_e32 v[138:139], v[176:177]
	v_lshl_add_u64 v[176:177], v[204:205], 2, v[180:181]
	global_load_dword v180, v[176:177], off
	s_waitcnt vmcnt(1)
	v_cmp_eq_f64_e32 vcc, 0, v[144:145]
	v_cmp_eq_f64_e64 s[0:1], 0, v[146:147]
	scratch_load_dwordx4 v[144:147], off, off offset:128 ; 16-byte Folded Reload
	s_and_b64 s[0:1], vcc, s[0:1]
	v_cmp_eq_u32_e32 vcc, 0, v179
	s_and_b64 s[0:1], s[0:1], vcc
	v_cndmask_b32_e64 v179, v179, 7, s[0:1]
	s_waitcnt vmcnt(0)
	v_cmp_eq_f64_e32 vcc, 0, v[144:145]
	v_cmp_eq_f64_e64 s[0:1], 0, v[146:147]
	scratch_load_dwordx4 v[144:147], off, off offset:144 ; 16-byte Folded Reload
	s_and_b64 s[0:1], vcc, s[0:1]
	v_cmp_eq_u32_e32 vcc, 0, v179
	s_and_b64 s[0:1], s[0:1], vcc
	v_cndmask_b32_e64 v179, v179, 8, s[0:1]
	;; [unrolled: 8-line block ×21, first 2 shown]
	s_waitcnt vmcnt(0)
	v_cmp_eq_f64_e32 vcc, 0, v[144:145]
	v_cmp_eq_f64_e64 s[0:1], 0, v[146:147]
	s_and_b64 s[0:1], vcc, s[0:1]
	v_cmp_eq_u32_e32 vcc, 0, v179
	s_and_b64 s[0:1], s[0:1], vcc
	v_cndmask_b32_e64 v179, v179, 28, s[0:1]
	v_cmp_eq_f64_e32 vcc, 0, v[116:117]
	v_cmp_eq_f64_e64 s[0:1], 0, v[118:119]
	s_and_b64 s[0:1], vcc, s[0:1]
	v_cmp_eq_u32_e32 vcc, 0, v179
	s_and_b64 s[0:1], s[0:1], vcc
	v_cndmask_b32_e64 v144, v179, 29, s[0:1]
	;; [unrolled: 6-line block ×9, first 2 shown]
	v_mov_b64_e32 v[116:117], v[208:209]
	v_cmp_eq_u32_e32 vcc, 0, v180
	v_cmp_ne_u32_e64 s[0:1], 0, v144
	v_mov_b64_e32 v[118:119], v[210:211]
	s_and_b64 s[0:1], vcc, s[0:1]
	s_and_b64 exec, exec, s[0:1]
	s_cbranch_execz .LBB71_326
; %bb.325:
	v_add_u32_e32 v144, s9, v144
	global_store_dword v[176:177], v144, off
.LBB71_326:
	s_or_b64 exec, exec, s[2:3]
	s_waitcnt vmcnt(24)
	v_mul_f64 v[144:145], v[174:175], v[142:143]
	v_mul_f64 v[146:147], v[172:173], v[142:143]
	v_fma_f64 v[144:145], v[172:173], v[140:141], -v[144:145]
	v_fmac_f64_e32 v[146:147], v[174:175], v[140:141]
	v_cmp_lt_u32_e32 vcc, 35, v206
	s_nop 1
	v_cndmask_b32_e32 v143, v143, v147, vcc
	v_cndmask_b32_e32 v142, v142, v146, vcc
	;; [unrolled: 1-line block ×4, first 2 shown]
	scratch_load_dwordx4 v[144:147], off, off ; 16-byte Folded Reload
	s_waitcnt vmcnt(0)
	global_store_dwordx4 v[186:187], v[144:147], off
	global_store_dwordx4 v[138:139], v[132:135], off
	scratch_load_dwordx2 v[132:133], off, off offset:56 ; 8-byte Folded Reload
	s_waitcnt vmcnt(0)
	global_store_dwordx4 v[132:133], v[128:131], off
	scratch_load_dwordx2 v[128:129], off, off offset:48 ; 8-byte Folded Reload
	s_waitcnt vmcnt(0)
	;; [unrolled: 3-line block ×8, first 2 shown]
	global_store_dwordx4 v[104:105], v[100:103], off
	global_store_dwordx4 v[182:183], v[96:99], off
	scratch_load_dwordx2 v[96:97], off, off offset:472 ; 8-byte Folded Reload
	s_waitcnt vmcnt(0)
	global_store_dwordx4 v[96:97], v[92:95], off
	scratch_load_dwordx2 v[92:93], off, off offset:480 ; 8-byte Folded Reload
	s_waitcnt vmcnt(0)
	;; [unrolled: 3-line block ×3, first 2 shown]
	global_store_dwordx4 v[88:89], v[84:87], off
	global_store_dwordx4 v[214:215], v[80:83], off
	;; [unrolled: 1-line block ×23, first 2 shown]
.LBB71_327:
	s_endpgm
	.section	.rodata,"a",@progbits
	.p2align	6, 0x0
	.amdhsa_kernel _ZN9rocsolver6v33100L23getf2_npvt_small_kernelILi36E19rocblas_complex_numIdEiiPS3_EEvT1_T3_lS5_lPT2_S5_S5_
		.amdhsa_group_segment_fixed_size 0
		.amdhsa_private_segment_fixed_size 492
		.amdhsa_kernarg_size 312
		.amdhsa_user_sgpr_count 2
		.amdhsa_user_sgpr_dispatch_ptr 0
		.amdhsa_user_sgpr_queue_ptr 0
		.amdhsa_user_sgpr_kernarg_segment_ptr 1
		.amdhsa_user_sgpr_dispatch_id 0
		.amdhsa_user_sgpr_kernarg_preload_length 0
		.amdhsa_user_sgpr_kernarg_preload_offset 0
		.amdhsa_user_sgpr_private_segment_size 0
		.amdhsa_uses_dynamic_stack 0
		.amdhsa_enable_private_segment 1
		.amdhsa_system_sgpr_workgroup_id_x 1
		.amdhsa_system_sgpr_workgroup_id_y 1
		.amdhsa_system_sgpr_workgroup_id_z 0
		.amdhsa_system_sgpr_workgroup_info 0
		.amdhsa_system_vgpr_workitem_id 1
		.amdhsa_next_free_vgpr 256
		.amdhsa_next_free_sgpr 16
		.amdhsa_accum_offset 256
		.amdhsa_reserve_vcc 1
		.amdhsa_float_round_mode_32 0
		.amdhsa_float_round_mode_16_64 0
		.amdhsa_float_denorm_mode_32 3
		.amdhsa_float_denorm_mode_16_64 3
		.amdhsa_dx10_clamp 1
		.amdhsa_ieee_mode 1
		.amdhsa_fp16_overflow 0
		.amdhsa_tg_split 0
		.amdhsa_exception_fp_ieee_invalid_op 0
		.amdhsa_exception_fp_denorm_src 0
		.amdhsa_exception_fp_ieee_div_zero 0
		.amdhsa_exception_fp_ieee_overflow 0
		.amdhsa_exception_fp_ieee_underflow 0
		.amdhsa_exception_fp_ieee_inexact 0
		.amdhsa_exception_int_div_zero 0
	.end_amdhsa_kernel
	.section	.text._ZN9rocsolver6v33100L23getf2_npvt_small_kernelILi36E19rocblas_complex_numIdEiiPS3_EEvT1_T3_lS5_lPT2_S5_S5_,"axG",@progbits,_ZN9rocsolver6v33100L23getf2_npvt_small_kernelILi36E19rocblas_complex_numIdEiiPS3_EEvT1_T3_lS5_lPT2_S5_S5_,comdat
.Lfunc_end71:
	.size	_ZN9rocsolver6v33100L23getf2_npvt_small_kernelILi36E19rocblas_complex_numIdEiiPS3_EEvT1_T3_lS5_lPT2_S5_S5_, .Lfunc_end71-_ZN9rocsolver6v33100L23getf2_npvt_small_kernelILi36E19rocblas_complex_numIdEiiPS3_EEvT1_T3_lS5_lPT2_S5_S5_
                                        ; -- End function
	.set _ZN9rocsolver6v33100L23getf2_npvt_small_kernelILi36E19rocblas_complex_numIdEiiPS3_EEvT1_T3_lS5_lPT2_S5_S5_.num_vgpr, 256
	.set _ZN9rocsolver6v33100L23getf2_npvt_small_kernelILi36E19rocblas_complex_numIdEiiPS3_EEvT1_T3_lS5_lPT2_S5_S5_.num_agpr, 0
	.set _ZN9rocsolver6v33100L23getf2_npvt_small_kernelILi36E19rocblas_complex_numIdEiiPS3_EEvT1_T3_lS5_lPT2_S5_S5_.numbered_sgpr, 16
	.set _ZN9rocsolver6v33100L23getf2_npvt_small_kernelILi36E19rocblas_complex_numIdEiiPS3_EEvT1_T3_lS5_lPT2_S5_S5_.num_named_barrier, 0
	.set _ZN9rocsolver6v33100L23getf2_npvt_small_kernelILi36E19rocblas_complex_numIdEiiPS3_EEvT1_T3_lS5_lPT2_S5_S5_.private_seg_size, 492
	.set _ZN9rocsolver6v33100L23getf2_npvt_small_kernelILi36E19rocblas_complex_numIdEiiPS3_EEvT1_T3_lS5_lPT2_S5_S5_.uses_vcc, 1
	.set _ZN9rocsolver6v33100L23getf2_npvt_small_kernelILi36E19rocblas_complex_numIdEiiPS3_EEvT1_T3_lS5_lPT2_S5_S5_.uses_flat_scratch, 0
	.set _ZN9rocsolver6v33100L23getf2_npvt_small_kernelILi36E19rocblas_complex_numIdEiiPS3_EEvT1_T3_lS5_lPT2_S5_S5_.has_dyn_sized_stack, 0
	.set _ZN9rocsolver6v33100L23getf2_npvt_small_kernelILi36E19rocblas_complex_numIdEiiPS3_EEvT1_T3_lS5_lPT2_S5_S5_.has_recursion, 0
	.set _ZN9rocsolver6v33100L23getf2_npvt_small_kernelILi36E19rocblas_complex_numIdEiiPS3_EEvT1_T3_lS5_lPT2_S5_S5_.has_indirect_call, 0
	.section	.AMDGPU.csdata,"",@progbits
; Kernel info:
; codeLenInByte = 67536
; TotalNumSgprs: 22
; NumVgprs: 256
; NumAgprs: 0
; TotalNumVgprs: 256
; ScratchSize: 492
; MemoryBound: 1
; FloatMode: 240
; IeeeMode: 1
; LDSByteSize: 0 bytes/workgroup (compile time only)
; SGPRBlocks: 2
; VGPRBlocks: 31
; NumSGPRsForWavesPerEU: 22
; NumVGPRsForWavesPerEU: 256
; AccumOffset: 256
; Occupancy: 2
; WaveLimiterHint : 0
; COMPUTE_PGM_RSRC2:SCRATCH_EN: 1
; COMPUTE_PGM_RSRC2:USER_SGPR: 2
; COMPUTE_PGM_RSRC2:TRAP_HANDLER: 0
; COMPUTE_PGM_RSRC2:TGID_X_EN: 1
; COMPUTE_PGM_RSRC2:TGID_Y_EN: 1
; COMPUTE_PGM_RSRC2:TGID_Z_EN: 0
; COMPUTE_PGM_RSRC2:TIDIG_COMP_CNT: 1
; COMPUTE_PGM_RSRC3_GFX90A:ACCUM_OFFSET: 63
; COMPUTE_PGM_RSRC3_GFX90A:TG_SPLIT: 0
	.section	.text._ZN9rocsolver6v33100L18getf2_small_kernelILi37E19rocblas_complex_numIdEiiPS3_EEvT1_T3_lS5_lPS5_llPT2_S5_S5_S7_l,"axG",@progbits,_ZN9rocsolver6v33100L18getf2_small_kernelILi37E19rocblas_complex_numIdEiiPS3_EEvT1_T3_lS5_lPS5_llPT2_S5_S5_S7_l,comdat
	.globl	_ZN9rocsolver6v33100L18getf2_small_kernelILi37E19rocblas_complex_numIdEiiPS3_EEvT1_T3_lS5_lPS5_llPT2_S5_S5_S7_l ; -- Begin function _ZN9rocsolver6v33100L18getf2_small_kernelILi37E19rocblas_complex_numIdEiiPS3_EEvT1_T3_lS5_lPS5_llPT2_S5_S5_S7_l
	.p2align	8
	.type	_ZN9rocsolver6v33100L18getf2_small_kernelILi37E19rocblas_complex_numIdEiiPS3_EEvT1_T3_lS5_lPS5_llPT2_S5_S5_S7_l,@function
_ZN9rocsolver6v33100L18getf2_small_kernelILi37E19rocblas_complex_numIdEiiPS3_EEvT1_T3_lS5_lPS5_llPT2_S5_S5_S7_l: ; @_ZN9rocsolver6v33100L18getf2_small_kernelILi37E19rocblas_complex_numIdEiiPS3_EEvT1_T3_lS5_lPS5_llPT2_S5_S5_S7_l
; %bb.0:
	s_load_dword s2, s[0:1], 0x6c
	s_load_dwordx2 s[12:13], s[0:1], 0x48
	v_bfe_u32 v148, v0, 10, 10
	s_waitcnt lgkmcnt(0)
	s_lshr_b32 s2, s2, 16
	s_mul_i32 s3, s3, s2
	v_add_u32_e32 v154, s3, v148
	v_cmp_gt_i32_e32 vcc, s12, v154
	s_and_saveexec_b64 s[2:3], vcc
	s_cbranch_execz .LBB72_778
; %bb.1:
	s_load_dwordx4 s[4:7], s[0:1], 0x50
	v_ashrrev_i32_e32 v155, 31, v154
	v_mov_b64_e32 v[156:157], 0
	s_waitcnt lgkmcnt(0)
	s_cmp_eq_u64 s[4:5], 0
	s_cselect_b64 s[14:15], -1, 0
	s_and_b64 vcc, exec, s[14:15]
	s_cbranch_vccnz .LBB72_3
; %bb.2:
	v_mul_lo_u32 v1, s7, v154
	v_mul_lo_u32 v4, s6, v155
	v_mad_u64_u32 v[2:3], s[2:3], s6, v154, 0
	v_add3_u32 v3, v3, v4, v1
	v_lshl_add_u64 v[156:157], v[2:3], 2, s[4:5]
.LBB72_3:
	s_load_dwordx4 s[16:19], s[0:1], 0x8
	s_load_dwordx8 s[4:11], s[0:1], 0x20
	s_load_dword s2, s[0:1], 0x18
	s_load_dword s20, s[0:1], 0x0
	v_and_b32_e32 v163, 0x3ff, v0
	s_waitcnt lgkmcnt(0)
	v_mov_b32_e32 v2, s16
	v_mul_lo_u32 v1, s5, v154
	v_mul_lo_u32 v6, s4, v155
	v_mad_u64_u32 v[4:5], s[4:5], s4, v154, 0
	v_mov_b32_e32 v3, s17
	v_add3_u32 v5, v5, v6, v1
	v_lshl_add_u64 v[2:3], v[4:5], 4, v[2:3]
	s_add_i32 s12, s2, s2
	v_lshl_add_u64 v[152:153], s[18:19], 4, v[2:3]
	v_add_u32_e32 v2, s12, v163
	v_add_u32_e32 v4, s2, v2
	;; [unrolled: 1-line block ×3, first 2 shown]
	v_lshlrev_b32_e32 v158, 4, v163
	v_mov_b32_e32 v159, 0
	v_add_u32_e32 v8, s2, v6
	v_lshl_add_u64 v[0:1], v[152:153], 0, v[158:159]
	s_ashr_i32 s3, s2, 31
	v_ashrrev_i32_e32 v9, 31, v8
	v_add_u32_e32 v12, s2, v8
	v_lshl_add_u64 v[10:11], s[2:3], 4, v[0:1]
	global_load_dwordx4 v[96:99], v[0:1], off
	global_load_dwordx4 v[92:95], v[10:11], off
	v_lshl_add_u64 v[0:1], v[8:9], 4, v[152:153]
	v_ashrrev_i32_e32 v13, 31, v12
	v_add_u32_e32 v8, s2, v12
	v_lshl_add_u64 v[10:11], v[12:13], 4, v[152:153]
	v_add_u32_e32 v12, s2, v8
	v_add_u32_e32 v14, s2, v12
	;; [unrolled: 1-line block ×15, first 2 shown]
	v_ashrrev_i32_e32 v41, 31, v40
	v_lshl_add_u64 v[42:43], v[40:41], 4, v[152:153]
	v_add_u32_e32 v40, s2, v40
	v_ashrrev_i32_e32 v41, 31, v40
	v_lshl_add_u64 v[44:45], v[40:41], 4, v[152:153]
	v_add_u32_e32 v40, s2, v40
	;; [unrolled: 3-line block ×13, first 2 shown]
	v_ashrrev_i32_e32 v41, 31, v40
	v_ashrrev_i32_e32 v3, 31, v2
	;; [unrolled: 1-line block ×19, first 2 shown]
	v_lshl_add_u64 v[176:177], v[40:41], 4, v[152:153]
	v_add_u32_e32 v40, s2, v40
	v_lshl_add_u64 v[2:3], v[2:3], 4, v[152:153]
	v_lshl_add_u64 v[4:5], v[4:5], 4, v[152:153]
	;; [unrolled: 1-line block ×18, first 2 shown]
	v_ashrrev_i32_e32 v41, 31, v40
	v_lshl_add_u64 v[178:179], v[40:41], 4, v[152:153]
	global_load_dwordx4 v[140:143], v[2:3], off
	global_load_dwordx4 v[136:139], v[4:5], off
	;; [unrolled: 1-line block ×10, first 2 shown]
                                        ; kill: killed $vgpr12_vgpr13
                                        ; kill: killed $vgpr14_vgpr15
                                        ; kill: killed $vgpr16_vgpr17
                                        ; kill: killed $vgpr18_vgpr19
                                        ; kill: killed $vgpr2_vgpr3
                                        ; kill: killed $vgpr4_vgpr5
                                        ; kill: killed $vgpr6_vgpr7
                                        ; kill: killed $vgpr0_vgpr1
                                        ; kill: killed $vgpr10_vgpr11
                                        ; kill: killed $vgpr8_vgpr9
	global_load_dwordx4 v[104:107], v[20:21], off
	global_load_dwordx4 v[88:91], v[22:23], off
	;; [unrolled: 1-line block ×5, first 2 shown]
                                        ; kill: killed $vgpr20_vgpr21
                                        ; kill: killed $vgpr22_vgpr23
                                        ; kill: killed $vgpr24_vgpr25
                                        ; kill: killed $vgpr26_vgpr27
                                        ; kill: killed $vgpr28_vgpr29
	global_load_dwordx4 v[72:75], v[30:31], off
	global_load_dwordx4 v[68:71], v[32:33], off
                                        ; kill: killed $vgpr30_vgpr31
                                        ; kill: killed $vgpr32_vgpr33
	global_load_dwordx4 v[64:67], v[34:35], off
	global_load_dwordx4 v[60:63], v[36:37], off
	;; [unrolled: 1-line block ×5, first 2 shown]
	s_nop 0
	global_load_dwordx4 v[44:47], v[46:47], off
	s_nop 0
	global_load_dwordx4 v[40:43], v[144:145], off
	global_load_dwordx4 v[36:39], v[146:147], off
	;; [unrolled: 1-line block ×12, first 2 shown]
	s_load_dwordx2 s[4:5], s[0:1], 0x40
	s_max_i32 s0, s20, 37
	v_mul_lo_u32 v161, s0, v148
	v_lshl_add_u32 v160, v161, 4, 0
	v_add_u32_e32 v148, v160, v158
	s_waitcnt vmcnt(36)
	ds_write2_b64 v148, v[96:97], v[98:99] offset1:1
	s_waitcnt lgkmcnt(0)
	s_barrier
	ds_read2_b64 v[148:151], v160 offset1:1
	s_cmp_lt_i32 s20, 2
	v_lshlrev_b32_e32 v164, 4, v161
	s_cbranch_scc1 .LBB72_6
; %bb.4:
	v_add3_u32 v158, v164, 0, 16
	s_mov_b32 s16, 1
	v_mov_b32_e32 v159, 0
.LBB72_5:                               ; =>This Inner Loop Header: Depth=1
	ds_read2_b64 v[166:169], v158 offset1:1
	s_waitcnt lgkmcnt(1)
	v_xor_b32_e32 v161, 0x80000000, v149
	v_xor_b32_e32 v162, 0x80000000, v151
	v_cmp_gt_f64_e32 vcc, 0, v[150:151]
	v_cmp_gt_f64_e64 s[0:1], 0, v[148:149]
	v_mov_b32_e32 v170, v148
	v_mov_b32_e32 v172, v150
	v_cndmask_b32_e64 v171, v149, v161, s[0:1]
	v_cndmask_b32_e32 v173, v151, v162, vcc
	s_waitcnt lgkmcnt(0)
	v_xor_b32_e32 v161, 0x80000000, v167
	v_xor_b32_e32 v162, 0x80000000, v169
	v_cmp_gt_f64_e32 vcc, 0, v[168:169]
	v_cmp_gt_f64_e64 s[0:1], 0, v[166:167]
	v_add_f64 v[170:171], v[170:171], v[172:173]
	v_mov_b32_e32 v172, v166
	v_mov_b32_e32 v174, v168
	v_cndmask_b32_e64 v173, v167, v161, s[0:1]
	v_cndmask_b32_e32 v175, v169, v162, vcc
	v_add_f64 v[172:173], v[172:173], v[174:175]
	v_mov_b32_e32 v165, s16
	s_add_i32 s16, s16, 1
	v_cmp_lt_f64_e32 vcc, v[170:171], v[172:173]
	v_add_u32_e32 v158, 16, v158
	s_cmp_eq_u32 s20, s16
	v_cndmask_b32_e32 v149, v149, v167, vcc
	v_cndmask_b32_e32 v148, v148, v166, vcc
	;; [unrolled: 1-line block ×5, first 2 shown]
	s_cbranch_scc0 .LBB72_5
.LBB72_6:
	s_waitcnt lgkmcnt(0)
	v_cmp_neq_f64_e32 vcc, 0, v[148:149]
	v_cmp_neq_f64_e64 s[0:1], 0, v[150:151]
	s_or_b64 s[16:17], vcc, s[0:1]
	v_mov_b32_e32 v162, 1
	v_mov_b32_e32 v165, 1
	s_and_saveexec_b64 s[0:1], s[16:17]
	s_cbranch_execz .LBB72_12
; %bb.7:
	v_cmp_ngt_f64_e64 s[16:17], |v[148:149]|, |v[150:151]|
	s_and_saveexec_b64 s[18:19], s[16:17]
	s_xor_b64 s[16:17], exec, s[18:19]
	s_cbranch_execz .LBB72_9
; %bb.8:
	v_div_scale_f64 v[166:167], s[18:19], v[150:151], v[150:151], v[148:149]
	v_rcp_f64_e32 v[168:169], v[166:167]
	v_div_scale_f64 v[170:171], vcc, v[148:149], v[150:151], v[148:149]
	v_fma_f64 v[172:173], -v[166:167], v[168:169], 1.0
	v_fmac_f64_e32 v[168:169], v[168:169], v[172:173]
	v_fma_f64 v[172:173], -v[166:167], v[168:169], 1.0
	v_fmac_f64_e32 v[168:169], v[168:169], v[172:173]
	v_mul_f64 v[172:173], v[170:171], v[168:169]
	v_fma_f64 v[166:167], -v[166:167], v[172:173], v[170:171]
	v_div_fmas_f64 v[166:167], v[166:167], v[168:169], v[172:173]
	v_div_fixup_f64 v[166:167], v[166:167], v[150:151], v[148:149]
	v_fmac_f64_e32 v[150:151], v[148:149], v[166:167]
	v_div_scale_f64 v[148:149], s[18:19], v[150:151], v[150:151], 1.0
	v_rcp_f64_e32 v[168:169], v[148:149]
	s_nop 0
	v_fma_f64 v[170:171], -v[148:149], v[168:169], 1.0
	v_fmac_f64_e32 v[168:169], v[168:169], v[170:171]
	v_fma_f64 v[170:171], -v[148:149], v[168:169], 1.0
	v_fmac_f64_e32 v[168:169], v[168:169], v[170:171]
	v_div_scale_f64 v[170:171], vcc, 1.0, v[150:151], 1.0
	v_mul_f64 v[172:173], v[170:171], v[168:169]
	v_fma_f64 v[148:149], -v[148:149], v[172:173], v[170:171]
	s_nop 1
	v_div_fmas_f64 v[148:149], v[148:149], v[168:169], v[172:173]
	v_div_fixup_f64 v[150:151], v[148:149], v[150:151], 1.0
	v_mul_f64 v[148:149], v[166:167], v[150:151]
	v_xor_b32_e32 v151, 0x80000000, v151
.LBB72_9:
	s_andn2_saveexec_b64 s[16:17], s[16:17]
	s_cbranch_execz .LBB72_11
; %bb.10:
	v_div_scale_f64 v[166:167], s[18:19], v[148:149], v[148:149], v[150:151]
	v_rcp_f64_e32 v[168:169], v[166:167]
	v_div_scale_f64 v[170:171], vcc, v[150:151], v[148:149], v[150:151]
	v_fma_f64 v[172:173], -v[166:167], v[168:169], 1.0
	v_fmac_f64_e32 v[168:169], v[168:169], v[172:173]
	v_fma_f64 v[172:173], -v[166:167], v[168:169], 1.0
	v_fmac_f64_e32 v[168:169], v[168:169], v[172:173]
	v_mul_f64 v[172:173], v[170:171], v[168:169]
	v_fma_f64 v[166:167], -v[166:167], v[172:173], v[170:171]
	v_div_fmas_f64 v[166:167], v[166:167], v[168:169], v[172:173]
	v_div_fixup_f64 v[166:167], v[166:167], v[148:149], v[150:151]
	v_fmac_f64_e32 v[148:149], v[150:151], v[166:167]
	v_div_scale_f64 v[150:151], s[18:19], v[148:149], v[148:149], 1.0
	v_rcp_f64_e32 v[168:169], v[150:151]
	s_nop 0
	v_fma_f64 v[170:171], -v[150:151], v[168:169], 1.0
	v_fmac_f64_e32 v[168:169], v[168:169], v[170:171]
	v_fma_f64 v[170:171], -v[150:151], v[168:169], 1.0
	v_fmac_f64_e32 v[168:169], v[168:169], v[170:171]
	v_div_scale_f64 v[170:171], vcc, 1.0, v[148:149], 1.0
	v_mul_f64 v[172:173], v[170:171], v[168:169]
	v_fma_f64 v[150:151], -v[150:151], v[172:173], v[170:171]
	s_nop 1
	v_div_fmas_f64 v[150:151], v[150:151], v[168:169], v[172:173]
	v_div_fixup_f64 v[148:149], v[150:151], v[148:149], 1.0
	v_mul_f64 v[150:151], v[166:167], -v[148:149]
.LBB72_11:
	s_or_b64 exec, exec, s[16:17]
	v_mov_b32_e32 v165, 0
	v_mov_b32_e32 v162, 2
.LBB72_12:
	s_or_b64 exec, exec, s[0:1]
	v_cmp_ne_u32_e32 vcc, v163, v159
	s_and_saveexec_b64 s[0:1], vcc
	s_xor_b64 s[0:1], exec, s[0:1]
	s_cbranch_execz .LBB72_18
; %bb.13:
	v_cmp_eq_u32_e32 vcc, 0, v163
	s_and_saveexec_b64 s[16:17], vcc
	s_cbranch_execz .LBB72_17
; %bb.14:
	v_cmp_ne_u32_e32 vcc, 0, v159
	s_xor_b64 s[18:19], s[14:15], -1
	s_and_b64 s[22:23], s[18:19], vcc
	s_and_saveexec_b64 s[18:19], s[22:23]
	s_cbranch_execz .LBB72_16
; %bb.15:
	v_ashrrev_i32_e32 v167, 31, v159
	v_mov_b32_e32 v166, v159
	v_lshl_add_u64 v[166:167], v[166:167], 2, v[156:157]
	global_load_dword v158, v[166:167], off
	global_load_dword v161, v[156:157], off
	s_waitcnt vmcnt(1)
	global_store_dword v[156:157], v158, off
	s_waitcnt vmcnt(1)
	global_store_dword v[166:167], v161, off
.LBB72_16:
	s_or_b64 exec, exec, s[18:19]
	v_mov_b32_e32 v163, v159
.LBB72_17:
	s_or_b64 exec, exec, s[16:17]
.LBB72_18:
	s_or_saveexec_b64 s[0:1], s[0:1]
	v_mov_b32_e32 v161, v163
	s_xor_b64 exec, exec, s[0:1]
	s_cbranch_execz .LBB72_20
; %bb.19:
	v_mov_b32_e32 v161, 0
	s_waitcnt vmcnt(35)
	ds_write2_b64 v160, v[92:93], v[94:95] offset0:2 offset1:3
	s_waitcnt vmcnt(34)
	ds_write2_b64 v160, v[140:141], v[142:143] offset0:4 offset1:5
	;; [unrolled: 2-line block ×36, first 2 shown]
.LBB72_20:
	s_or_b64 exec, exec, s[0:1]
	v_cmp_lt_i32_e32 vcc, 0, v161
	s_waitcnt lgkmcnt(0)
	s_barrier
	s_and_saveexec_b64 s[0:1], vcc
	s_cbranch_execz .LBB72_22
; %bb.21:
	ds_read2_b64 v[166:169], v160 offset0:2 offset1:3
	v_mul_f64 v[158:159], v[150:151], v[98:99]
	v_mul_f64 v[98:99], v[148:149], v[98:99]
	v_fma_f64 v[158:159], v[148:149], v[96:97], -v[158:159]
	v_fmac_f64_e32 v[98:99], v[150:151], v[96:97]
	ds_read2_b64 v[148:151], v160 offset0:4 offset1:5
	s_waitcnt lgkmcnt(1)
	v_mul_f64 v[96:97], v[168:169], v[98:99]
	v_fma_f64 v[96:97], v[166:167], v[158:159], -v[96:97]
	v_mul_f64 v[166:167], v[166:167], v[98:99]
	v_fmac_f64_e32 v[166:167], v[168:169], v[158:159]
	s_waitcnt vmcnt(35)
	v_add_f64 v[92:93], v[92:93], -v[96:97]
	s_waitcnt lgkmcnt(0)
	v_mul_f64 v[96:97], v[150:151], v[98:99]
	v_add_f64 v[94:95], v[94:95], -v[166:167]
	v_fma_f64 v[96:97], v[148:149], v[158:159], -v[96:97]
	v_mul_f64 v[148:149], v[148:149], v[98:99]
	ds_read2_b64 v[166:169], v160 offset0:6 offset1:7
	v_fmac_f64_e32 v[148:149], v[150:151], v[158:159]
	s_waitcnt vmcnt(34)
	v_add_f64 v[142:143], v[142:143], -v[148:149]
	ds_read2_b64 v[148:151], v160 offset0:8 offset1:9
	v_add_f64 v[140:141], v[140:141], -v[96:97]
	s_waitcnt lgkmcnt(1)
	v_mul_f64 v[96:97], v[168:169], v[98:99]
	v_fma_f64 v[96:97], v[166:167], v[158:159], -v[96:97]
	v_mul_f64 v[166:167], v[166:167], v[98:99]
	v_fmac_f64_e32 v[166:167], v[168:169], v[158:159]
	s_waitcnt vmcnt(33)
	v_add_f64 v[136:137], v[136:137], -v[96:97]
	s_waitcnt lgkmcnt(0)
	v_mul_f64 v[96:97], v[150:151], v[98:99]
	v_add_f64 v[138:139], v[138:139], -v[166:167]
	v_fma_f64 v[96:97], v[148:149], v[158:159], -v[96:97]
	v_mul_f64 v[148:149], v[148:149], v[98:99]
	ds_read2_b64 v[166:169], v160 offset0:10 offset1:11
	v_fmac_f64_e32 v[148:149], v[150:151], v[158:159]
	s_waitcnt vmcnt(32)
	v_add_f64 v[134:135], v[134:135], -v[148:149]
	ds_read2_b64 v[148:151], v160 offset0:12 offset1:13
	v_add_f64 v[132:133], v[132:133], -v[96:97]
	s_waitcnt lgkmcnt(1)
	v_mul_f64 v[96:97], v[168:169], v[98:99]
	v_fma_f64 v[96:97], v[166:167], v[158:159], -v[96:97]
	v_mul_f64 v[166:167], v[166:167], v[98:99]
	v_fmac_f64_e32 v[166:167], v[168:169], v[158:159]
	s_waitcnt vmcnt(31)
	v_add_f64 v[128:129], v[128:129], -v[96:97]
	s_waitcnt lgkmcnt(0)
	v_mul_f64 v[96:97], v[150:151], v[98:99]
	v_add_f64 v[130:131], v[130:131], -v[166:167]
	v_fma_f64 v[96:97], v[148:149], v[158:159], -v[96:97]
	v_mul_f64 v[148:149], v[148:149], v[98:99]
	ds_read2_b64 v[166:169], v160 offset0:14 offset1:15
	v_fmac_f64_e32 v[148:149], v[150:151], v[158:159]
	s_waitcnt vmcnt(30)
	v_add_f64 v[126:127], v[126:127], -v[148:149]
	ds_read2_b64 v[148:151], v160 offset0:16 offset1:17
	v_add_f64 v[124:125], v[124:125], -v[96:97]
	s_waitcnt lgkmcnt(1)
	v_mul_f64 v[96:97], v[168:169], v[98:99]
	v_fma_f64 v[96:97], v[166:167], v[158:159], -v[96:97]
	v_mul_f64 v[166:167], v[166:167], v[98:99]
	v_fmac_f64_e32 v[166:167], v[168:169], v[158:159]
	s_waitcnt vmcnt(29)
	v_add_f64 v[120:121], v[120:121], -v[96:97]
	s_waitcnt lgkmcnt(0)
	v_mul_f64 v[96:97], v[150:151], v[98:99]
	v_add_f64 v[122:123], v[122:123], -v[166:167]
	v_fma_f64 v[96:97], v[148:149], v[158:159], -v[96:97]
	v_mul_f64 v[148:149], v[148:149], v[98:99]
	ds_read2_b64 v[166:169], v160 offset0:18 offset1:19
	v_fmac_f64_e32 v[148:149], v[150:151], v[158:159]
	s_waitcnt vmcnt(28)
	v_add_f64 v[118:119], v[118:119], -v[148:149]
	ds_read2_b64 v[148:151], v160 offset0:20 offset1:21
	v_add_f64 v[116:117], v[116:117], -v[96:97]
	s_waitcnt lgkmcnt(1)
	v_mul_f64 v[96:97], v[168:169], v[98:99]
	v_fma_f64 v[96:97], v[166:167], v[158:159], -v[96:97]
	v_mul_f64 v[166:167], v[166:167], v[98:99]
	v_fmac_f64_e32 v[166:167], v[168:169], v[158:159]
	s_waitcnt vmcnt(27)
	v_add_f64 v[112:113], v[112:113], -v[96:97]
	s_waitcnt lgkmcnt(0)
	v_mul_f64 v[96:97], v[150:151], v[98:99]
	v_add_f64 v[114:115], v[114:115], -v[166:167]
	v_fma_f64 v[96:97], v[148:149], v[158:159], -v[96:97]
	v_mul_f64 v[148:149], v[148:149], v[98:99]
	ds_read2_b64 v[166:169], v160 offset0:22 offset1:23
	v_fmac_f64_e32 v[148:149], v[150:151], v[158:159]
	s_waitcnt vmcnt(26)
	v_add_f64 v[110:111], v[110:111], -v[148:149]
	ds_read2_b64 v[148:151], v160 offset0:24 offset1:25
	v_add_f64 v[108:109], v[108:109], -v[96:97]
	s_waitcnt lgkmcnt(1)
	v_mul_f64 v[96:97], v[168:169], v[98:99]
	v_fma_f64 v[96:97], v[166:167], v[158:159], -v[96:97]
	v_mul_f64 v[166:167], v[166:167], v[98:99]
	v_fmac_f64_e32 v[166:167], v[168:169], v[158:159]
	s_waitcnt vmcnt(25)
	v_add_f64 v[100:101], v[100:101], -v[96:97]
	s_waitcnt lgkmcnt(0)
	v_mul_f64 v[96:97], v[150:151], v[98:99]
	v_add_f64 v[102:103], v[102:103], -v[166:167]
	v_fma_f64 v[96:97], v[148:149], v[158:159], -v[96:97]
	v_mul_f64 v[148:149], v[148:149], v[98:99]
	ds_read2_b64 v[166:169], v160 offset0:26 offset1:27
	v_fmac_f64_e32 v[148:149], v[150:151], v[158:159]
	s_waitcnt vmcnt(24)
	v_add_f64 v[106:107], v[106:107], -v[148:149]
	ds_read2_b64 v[148:151], v160 offset0:28 offset1:29
	v_add_f64 v[104:105], v[104:105], -v[96:97]
	s_waitcnt lgkmcnt(1)
	v_mul_f64 v[96:97], v[168:169], v[98:99]
	v_fma_f64 v[96:97], v[166:167], v[158:159], -v[96:97]
	v_mul_f64 v[166:167], v[166:167], v[98:99]
	v_fmac_f64_e32 v[166:167], v[168:169], v[158:159]
	s_waitcnt vmcnt(23)
	v_add_f64 v[88:89], v[88:89], -v[96:97]
	s_waitcnt lgkmcnt(0)
	v_mul_f64 v[96:97], v[150:151], v[98:99]
	v_add_f64 v[90:91], v[90:91], -v[166:167]
	v_fma_f64 v[96:97], v[148:149], v[158:159], -v[96:97]
	v_mul_f64 v[148:149], v[148:149], v[98:99]
	ds_read2_b64 v[166:169], v160 offset0:30 offset1:31
	v_fmac_f64_e32 v[148:149], v[150:151], v[158:159]
	s_waitcnt vmcnt(22)
	v_add_f64 v[86:87], v[86:87], -v[148:149]
	ds_read2_b64 v[148:151], v160 offset0:32 offset1:33
	v_add_f64 v[84:85], v[84:85], -v[96:97]
	s_waitcnt lgkmcnt(1)
	v_mul_f64 v[96:97], v[168:169], v[98:99]
	v_fma_f64 v[96:97], v[166:167], v[158:159], -v[96:97]
	v_mul_f64 v[166:167], v[166:167], v[98:99]
	v_fmac_f64_e32 v[166:167], v[168:169], v[158:159]
	s_waitcnt vmcnt(21)
	v_add_f64 v[80:81], v[80:81], -v[96:97]
	s_waitcnt lgkmcnt(0)
	v_mul_f64 v[96:97], v[150:151], v[98:99]
	v_add_f64 v[82:83], v[82:83], -v[166:167]
	v_fma_f64 v[96:97], v[148:149], v[158:159], -v[96:97]
	v_mul_f64 v[148:149], v[148:149], v[98:99]
	ds_read2_b64 v[166:169], v160 offset0:34 offset1:35
	v_fmac_f64_e32 v[148:149], v[150:151], v[158:159]
	s_waitcnt vmcnt(20)
	v_add_f64 v[78:79], v[78:79], -v[148:149]
	ds_read2_b64 v[148:151], v160 offset0:36 offset1:37
	v_add_f64 v[76:77], v[76:77], -v[96:97]
	s_waitcnt lgkmcnt(1)
	v_mul_f64 v[96:97], v[168:169], v[98:99]
	v_fma_f64 v[96:97], v[166:167], v[158:159], -v[96:97]
	v_mul_f64 v[166:167], v[166:167], v[98:99]
	v_fmac_f64_e32 v[166:167], v[168:169], v[158:159]
	s_waitcnt vmcnt(19)
	v_add_f64 v[72:73], v[72:73], -v[96:97]
	s_waitcnt lgkmcnt(0)
	v_mul_f64 v[96:97], v[150:151], v[98:99]
	v_add_f64 v[74:75], v[74:75], -v[166:167]
	v_fma_f64 v[96:97], v[148:149], v[158:159], -v[96:97]
	v_mul_f64 v[148:149], v[148:149], v[98:99]
	ds_read2_b64 v[166:169], v160 offset0:38 offset1:39
	v_fmac_f64_e32 v[148:149], v[150:151], v[158:159]
	s_waitcnt vmcnt(18)
	v_add_f64 v[70:71], v[70:71], -v[148:149]
	ds_read2_b64 v[148:151], v160 offset0:40 offset1:41
	v_add_f64 v[68:69], v[68:69], -v[96:97]
	s_waitcnt lgkmcnt(1)
	v_mul_f64 v[96:97], v[168:169], v[98:99]
	v_fma_f64 v[96:97], v[166:167], v[158:159], -v[96:97]
	v_mul_f64 v[166:167], v[166:167], v[98:99]
	v_fmac_f64_e32 v[166:167], v[168:169], v[158:159]
	s_waitcnt vmcnt(17)
	v_add_f64 v[64:65], v[64:65], -v[96:97]
	s_waitcnt lgkmcnt(0)
	v_mul_f64 v[96:97], v[150:151], v[98:99]
	v_add_f64 v[66:67], v[66:67], -v[166:167]
	v_fma_f64 v[96:97], v[148:149], v[158:159], -v[96:97]
	v_mul_f64 v[148:149], v[148:149], v[98:99]
	ds_read2_b64 v[166:169], v160 offset0:42 offset1:43
	v_fmac_f64_e32 v[148:149], v[150:151], v[158:159]
	s_waitcnt vmcnt(16)
	v_add_f64 v[62:63], v[62:63], -v[148:149]
	ds_read2_b64 v[148:151], v160 offset0:44 offset1:45
	v_add_f64 v[60:61], v[60:61], -v[96:97]
	s_waitcnt lgkmcnt(1)
	v_mul_f64 v[96:97], v[168:169], v[98:99]
	v_fma_f64 v[96:97], v[166:167], v[158:159], -v[96:97]
	v_mul_f64 v[166:167], v[166:167], v[98:99]
	v_fmac_f64_e32 v[166:167], v[168:169], v[158:159]
	s_waitcnt vmcnt(15)
	v_add_f64 v[56:57], v[56:57], -v[96:97]
	s_waitcnt lgkmcnt(0)
	v_mul_f64 v[96:97], v[150:151], v[98:99]
	v_add_f64 v[58:59], v[58:59], -v[166:167]
	v_fma_f64 v[96:97], v[148:149], v[158:159], -v[96:97]
	v_mul_f64 v[148:149], v[148:149], v[98:99]
	ds_read2_b64 v[166:169], v160 offset0:46 offset1:47
	v_fmac_f64_e32 v[148:149], v[150:151], v[158:159]
	s_waitcnt vmcnt(14)
	v_add_f64 v[54:55], v[54:55], -v[148:149]
	ds_read2_b64 v[148:151], v160 offset0:48 offset1:49
	v_add_f64 v[52:53], v[52:53], -v[96:97]
	s_waitcnt lgkmcnt(1)
	v_mul_f64 v[96:97], v[168:169], v[98:99]
	v_fma_f64 v[96:97], v[166:167], v[158:159], -v[96:97]
	v_mul_f64 v[166:167], v[166:167], v[98:99]
	v_fmac_f64_e32 v[166:167], v[168:169], v[158:159]
	s_waitcnt vmcnt(13)
	v_add_f64 v[48:49], v[48:49], -v[96:97]
	s_waitcnt lgkmcnt(0)
	v_mul_f64 v[96:97], v[150:151], v[98:99]
	v_add_f64 v[50:51], v[50:51], -v[166:167]
	v_fma_f64 v[96:97], v[148:149], v[158:159], -v[96:97]
	v_mul_f64 v[148:149], v[148:149], v[98:99]
	ds_read2_b64 v[166:169], v160 offset0:50 offset1:51
	v_fmac_f64_e32 v[148:149], v[150:151], v[158:159]
	s_waitcnt vmcnt(12)
	v_add_f64 v[46:47], v[46:47], -v[148:149]
	ds_read2_b64 v[148:151], v160 offset0:52 offset1:53
	v_add_f64 v[44:45], v[44:45], -v[96:97]
	s_waitcnt lgkmcnt(1)
	v_mul_f64 v[96:97], v[168:169], v[98:99]
	v_fma_f64 v[96:97], v[166:167], v[158:159], -v[96:97]
	v_mul_f64 v[166:167], v[166:167], v[98:99]
	v_fmac_f64_e32 v[166:167], v[168:169], v[158:159]
	s_waitcnt vmcnt(11)
	v_add_f64 v[40:41], v[40:41], -v[96:97]
	s_waitcnt lgkmcnt(0)
	v_mul_f64 v[96:97], v[150:151], v[98:99]
	v_add_f64 v[42:43], v[42:43], -v[166:167]
	v_fma_f64 v[96:97], v[148:149], v[158:159], -v[96:97]
	v_mul_f64 v[148:149], v[148:149], v[98:99]
	ds_read2_b64 v[166:169], v160 offset0:54 offset1:55
	v_fmac_f64_e32 v[148:149], v[150:151], v[158:159]
	s_waitcnt vmcnt(10)
	v_add_f64 v[38:39], v[38:39], -v[148:149]
	ds_read2_b64 v[148:151], v160 offset0:56 offset1:57
	v_add_f64 v[36:37], v[36:37], -v[96:97]
	s_waitcnt lgkmcnt(1)
	v_mul_f64 v[96:97], v[168:169], v[98:99]
	v_fma_f64 v[96:97], v[166:167], v[158:159], -v[96:97]
	v_mul_f64 v[166:167], v[166:167], v[98:99]
	v_fmac_f64_e32 v[166:167], v[168:169], v[158:159]
	s_waitcnt vmcnt(9)
	v_add_f64 v[32:33], v[32:33], -v[96:97]
	s_waitcnt lgkmcnt(0)
	v_mul_f64 v[96:97], v[150:151], v[98:99]
	v_add_f64 v[34:35], v[34:35], -v[166:167]
	v_fma_f64 v[96:97], v[148:149], v[158:159], -v[96:97]
	v_mul_f64 v[148:149], v[148:149], v[98:99]
	ds_read2_b64 v[166:169], v160 offset0:58 offset1:59
	v_fmac_f64_e32 v[148:149], v[150:151], v[158:159]
	s_waitcnt vmcnt(8)
	v_add_f64 v[30:31], v[30:31], -v[148:149]
	ds_read2_b64 v[148:151], v160 offset0:60 offset1:61
	v_add_f64 v[28:29], v[28:29], -v[96:97]
	s_waitcnt lgkmcnt(1)
	v_mul_f64 v[96:97], v[168:169], v[98:99]
	v_fma_f64 v[96:97], v[166:167], v[158:159], -v[96:97]
	v_mul_f64 v[166:167], v[166:167], v[98:99]
	v_fmac_f64_e32 v[166:167], v[168:169], v[158:159]
	s_waitcnt vmcnt(7)
	v_add_f64 v[24:25], v[24:25], -v[96:97]
	s_waitcnt lgkmcnt(0)
	v_mul_f64 v[96:97], v[150:151], v[98:99]
	v_add_f64 v[26:27], v[26:27], -v[166:167]
	v_fma_f64 v[96:97], v[148:149], v[158:159], -v[96:97]
	v_mul_f64 v[148:149], v[148:149], v[98:99]
	ds_read2_b64 v[166:169], v160 offset0:62 offset1:63
	v_fmac_f64_e32 v[148:149], v[150:151], v[158:159]
	s_waitcnt vmcnt(6)
	v_add_f64 v[22:23], v[22:23], -v[148:149]
	ds_read2_b64 v[148:151], v160 offset0:64 offset1:65
	v_add_f64 v[20:21], v[20:21], -v[96:97]
	s_waitcnt lgkmcnt(1)
	v_mul_f64 v[96:97], v[168:169], v[98:99]
	v_fma_f64 v[96:97], v[166:167], v[158:159], -v[96:97]
	v_mul_f64 v[166:167], v[166:167], v[98:99]
	v_fmac_f64_e32 v[166:167], v[168:169], v[158:159]
	s_waitcnt vmcnt(5)
	v_add_f64 v[16:17], v[16:17], -v[96:97]
	s_waitcnt lgkmcnt(0)
	v_mul_f64 v[96:97], v[150:151], v[98:99]
	v_add_f64 v[18:19], v[18:19], -v[166:167]
	v_fma_f64 v[96:97], v[148:149], v[158:159], -v[96:97]
	v_mul_f64 v[148:149], v[148:149], v[98:99]
	ds_read2_b64 v[166:169], v160 offset0:66 offset1:67
	v_fmac_f64_e32 v[148:149], v[150:151], v[158:159]
	s_waitcnt vmcnt(4)
	v_add_f64 v[14:15], v[14:15], -v[148:149]
	ds_read2_b64 v[148:151], v160 offset0:68 offset1:69
	v_add_f64 v[12:13], v[12:13], -v[96:97]
	s_waitcnt lgkmcnt(1)
	v_mul_f64 v[96:97], v[168:169], v[98:99]
	v_fma_f64 v[96:97], v[166:167], v[158:159], -v[96:97]
	v_mul_f64 v[166:167], v[166:167], v[98:99]
	v_fmac_f64_e32 v[166:167], v[168:169], v[158:159]
	s_waitcnt vmcnt(3)
	v_add_f64 v[8:9], v[8:9], -v[96:97]
	s_waitcnt lgkmcnt(0)
	v_mul_f64 v[96:97], v[150:151], v[98:99]
	v_add_f64 v[10:11], v[10:11], -v[166:167]
	v_fma_f64 v[96:97], v[148:149], v[158:159], -v[96:97]
	v_mul_f64 v[148:149], v[148:149], v[98:99]
	ds_read2_b64 v[166:169], v160 offset0:70 offset1:71
	v_fmac_f64_e32 v[148:149], v[150:151], v[158:159]
	s_waitcnt vmcnt(2)
	v_add_f64 v[6:7], v[6:7], -v[148:149]
	ds_read2_b64 v[148:151], v160 offset0:72 offset1:73
	v_add_f64 v[4:5], v[4:5], -v[96:97]
	s_waitcnt lgkmcnt(1)
	v_mul_f64 v[96:97], v[168:169], v[98:99]
	v_fma_f64 v[96:97], v[166:167], v[158:159], -v[96:97]
	s_waitcnt vmcnt(1)
	v_add_f64 v[0:1], v[0:1], -v[96:97]
	s_waitcnt lgkmcnt(0)
	v_mul_f64 v[96:97], v[150:151], v[98:99]
	v_mul_f64 v[166:167], v[166:167], v[98:99]
	v_fma_f64 v[96:97], v[148:149], v[158:159], -v[96:97]
	v_mul_f64 v[148:149], v[148:149], v[98:99]
	v_fmac_f64_e32 v[166:167], v[168:169], v[158:159]
	v_fmac_f64_e32 v[148:149], v[150:151], v[158:159]
	v_add_f64 v[2:3], v[2:3], -v[166:167]
	s_waitcnt vmcnt(0)
	v_add_f64 v[144:145], v[144:145], -v[96:97]
	v_add_f64 v[146:147], v[146:147], -v[148:149]
	v_mov_b64_e32 v[96:97], v[158:159]
.LBB72_22:
	s_or_b64 exec, exec, s[0:1]
	v_lshl_add_u32 v148, v161, 4, v160
	s_barrier
	s_waitcnt vmcnt(35)
	ds_write2_b64 v148, v[92:93], v[94:95] offset1:1
	s_waitcnt lgkmcnt(0)
	s_barrier
	ds_read2_b64 v[148:151], v160 offset0:2 offset1:3
	s_cmp_lt_i32 s20, 3
	v_mov_b32_e32 v158, 1
	s_cbranch_scc1 .LBB72_25
; %bb.23:
	v_add3_u32 v159, v164, 0, 32
	s_mov_b32 s16, 2
	v_mov_b32_e32 v158, 1
.LBB72_24:                              ; =>This Inner Loop Header: Depth=1
	ds_read2_b64 v[166:169], v159 offset1:1
	s_waitcnt lgkmcnt(1)
	v_xor_b32_e32 v171, 0x80000000, v149
	v_xor_b32_e32 v173, 0x80000000, v151
	v_cmp_gt_f64_e32 vcc, 0, v[150:151]
	v_cmp_gt_f64_e64 s[0:1], 0, v[148:149]
	v_mov_b32_e32 v170, v148
	v_mov_b32_e32 v172, v150
	v_cndmask_b32_e64 v171, v149, v171, s[0:1]
	v_cndmask_b32_e32 v173, v151, v173, vcc
	v_add_f64 v[170:171], v[170:171], v[172:173]
	s_waitcnt lgkmcnt(0)
	v_xor_b32_e32 v173, 0x80000000, v167
	v_xor_b32_e32 v175, 0x80000000, v169
	v_cmp_gt_f64_e32 vcc, 0, v[168:169]
	v_cmp_gt_f64_e64 s[0:1], 0, v[166:167]
	v_mov_b32_e32 v172, v166
	v_mov_b32_e32 v174, v168
	v_cndmask_b32_e64 v173, v167, v173, s[0:1]
	v_cndmask_b32_e32 v175, v169, v175, vcc
	v_add_f64 v[172:173], v[172:173], v[174:175]
	v_mov_b32_e32 v176, s16
	s_add_i32 s16, s16, 1
	v_cmp_lt_f64_e32 vcc, v[170:171], v[172:173]
	v_add_u32_e32 v159, 16, v159
	s_cmp_lg_u32 s20, s16
	v_cndmask_b32_e32 v149, v149, v167, vcc
	v_cndmask_b32_e32 v148, v148, v166, vcc
	;; [unrolled: 1-line block ×5, first 2 shown]
	s_cbranch_scc1 .LBB72_24
.LBB72_25:
	s_waitcnt lgkmcnt(0)
	v_cmp_neq_f64_e32 vcc, 0, v[148:149]
	v_cmp_neq_f64_e64 s[0:1], 0, v[150:151]
	s_or_b64 s[16:17], vcc, s[0:1]
	s_and_saveexec_b64 s[0:1], s[16:17]
	s_cbranch_execz .LBB72_31
; %bb.26:
	v_cmp_ngt_f64_e64 s[16:17], |v[148:149]|, |v[150:151]|
	s_and_saveexec_b64 s[18:19], s[16:17]
	s_xor_b64 s[16:17], exec, s[18:19]
	s_cbranch_execz .LBB72_28
; %bb.27:
	v_div_scale_f64 v[166:167], s[18:19], v[150:151], v[150:151], v[148:149]
	v_rcp_f64_e32 v[168:169], v[166:167]
	v_div_scale_f64 v[170:171], vcc, v[148:149], v[150:151], v[148:149]
	v_fma_f64 v[172:173], -v[166:167], v[168:169], 1.0
	v_fmac_f64_e32 v[168:169], v[168:169], v[172:173]
	v_fma_f64 v[172:173], -v[166:167], v[168:169], 1.0
	v_fmac_f64_e32 v[168:169], v[168:169], v[172:173]
	v_mul_f64 v[172:173], v[170:171], v[168:169]
	v_fma_f64 v[166:167], -v[166:167], v[172:173], v[170:171]
	v_div_fmas_f64 v[166:167], v[166:167], v[168:169], v[172:173]
	v_div_fixup_f64 v[166:167], v[166:167], v[150:151], v[148:149]
	v_fmac_f64_e32 v[150:151], v[148:149], v[166:167]
	v_div_scale_f64 v[148:149], s[18:19], v[150:151], v[150:151], 1.0
	v_rcp_f64_e32 v[168:169], v[148:149]
	s_nop 0
	v_fma_f64 v[170:171], -v[148:149], v[168:169], 1.0
	v_fmac_f64_e32 v[168:169], v[168:169], v[170:171]
	v_fma_f64 v[170:171], -v[148:149], v[168:169], 1.0
	v_fmac_f64_e32 v[168:169], v[168:169], v[170:171]
	v_div_scale_f64 v[170:171], vcc, 1.0, v[150:151], 1.0
	v_mul_f64 v[172:173], v[170:171], v[168:169]
	v_fma_f64 v[148:149], -v[148:149], v[172:173], v[170:171]
	s_nop 1
	v_div_fmas_f64 v[148:149], v[148:149], v[168:169], v[172:173]
	v_div_fixup_f64 v[150:151], v[148:149], v[150:151], 1.0
	v_mul_f64 v[148:149], v[166:167], v[150:151]
	v_xor_b32_e32 v151, 0x80000000, v151
.LBB72_28:
	s_andn2_saveexec_b64 s[16:17], s[16:17]
	s_cbranch_execz .LBB72_30
; %bb.29:
	v_div_scale_f64 v[166:167], s[18:19], v[148:149], v[148:149], v[150:151]
	v_rcp_f64_e32 v[168:169], v[166:167]
	v_div_scale_f64 v[170:171], vcc, v[150:151], v[148:149], v[150:151]
	v_fma_f64 v[172:173], -v[166:167], v[168:169], 1.0
	v_fmac_f64_e32 v[168:169], v[168:169], v[172:173]
	v_fma_f64 v[172:173], -v[166:167], v[168:169], 1.0
	v_fmac_f64_e32 v[168:169], v[168:169], v[172:173]
	v_mul_f64 v[172:173], v[170:171], v[168:169]
	v_fma_f64 v[166:167], -v[166:167], v[172:173], v[170:171]
	v_div_fmas_f64 v[166:167], v[166:167], v[168:169], v[172:173]
	v_div_fixup_f64 v[166:167], v[166:167], v[148:149], v[150:151]
	v_fmac_f64_e32 v[148:149], v[150:151], v[166:167]
	v_div_scale_f64 v[150:151], s[18:19], v[148:149], v[148:149], 1.0
	v_rcp_f64_e32 v[168:169], v[150:151]
	s_nop 0
	v_fma_f64 v[170:171], -v[150:151], v[168:169], 1.0
	v_fmac_f64_e32 v[168:169], v[168:169], v[170:171]
	v_fma_f64 v[170:171], -v[150:151], v[168:169], 1.0
	v_fmac_f64_e32 v[168:169], v[168:169], v[170:171]
	v_div_scale_f64 v[170:171], vcc, 1.0, v[148:149], 1.0
	v_mul_f64 v[172:173], v[170:171], v[168:169]
	v_fma_f64 v[150:151], -v[150:151], v[172:173], v[170:171]
	s_nop 1
	v_div_fmas_f64 v[150:151], v[150:151], v[168:169], v[172:173]
	v_div_fixup_f64 v[148:149], v[150:151], v[148:149], 1.0
	v_mul_f64 v[150:151], v[166:167], -v[148:149]
.LBB72_30:
	s_or_b64 exec, exec, s[16:17]
	v_mov_b32_e32 v162, v165
.LBB72_31:
	s_or_b64 exec, exec, s[0:1]
	v_cmp_ne_u32_e32 vcc, v161, v158
	s_and_saveexec_b64 s[0:1], vcc
	s_xor_b64 s[0:1], exec, s[0:1]
	s_cbranch_execz .LBB72_37
; %bb.32:
	v_cmp_eq_u32_e32 vcc, 1, v161
	s_and_saveexec_b64 s[16:17], vcc
	s_cbranch_execz .LBB72_36
; %bb.33:
	v_cmp_ne_u32_e32 vcc, 1, v158
	s_xor_b64 s[18:19], s[14:15], -1
	s_and_b64 s[22:23], s[18:19], vcc
	s_and_saveexec_b64 s[18:19], s[22:23]
	s_cbranch_execz .LBB72_35
; %bb.34:
	v_ashrrev_i32_e32 v159, 31, v158
	v_lshl_add_u64 v[166:167], v[158:159], 2, v[156:157]
	global_load_dword v159, v[166:167], off
	global_load_dword v161, v[156:157], off offset:4
	s_waitcnt vmcnt(1)
	global_store_dword v[156:157], v159, off offset:4
	s_waitcnt vmcnt(1)
	global_store_dword v[166:167], v161, off
.LBB72_35:
	s_or_b64 exec, exec, s[18:19]
	v_mov_b32_e32 v161, v158
	v_mov_b32_e32 v163, v158
.LBB72_36:
	s_or_b64 exec, exec, s[16:17]
.LBB72_37:
	s_andn2_saveexec_b64 s[0:1], s[0:1]
	s_cbranch_execz .LBB72_39
; %bb.38:
	v_mov_b32_e32 v161, 1
	s_waitcnt vmcnt(34)
	ds_write2_b64 v160, v[140:141], v[142:143] offset0:4 offset1:5
	s_waitcnt vmcnt(33)
	ds_write2_b64 v160, v[136:137], v[138:139] offset0:6 offset1:7
	;; [unrolled: 2-line block ×35, first 2 shown]
.LBB72_39:
	s_or_b64 exec, exec, s[0:1]
	v_cmp_lt_i32_e32 vcc, 1, v161
	s_waitcnt lgkmcnt(0)
	s_barrier
	s_and_saveexec_b64 s[0:1], vcc
	s_cbranch_execz .LBB72_41
; %bb.40:
	ds_read2_b64 v[166:169], v160 offset0:4 offset1:5
	v_mul_f64 v[158:159], v[150:151], v[94:95]
	v_mul_f64 v[94:95], v[148:149], v[94:95]
	v_fmac_f64_e32 v[94:95], v[150:151], v[92:93]
	v_fma_f64 v[158:159], v[148:149], v[92:93], -v[158:159]
	ds_read2_b64 v[148:151], v160 offset0:6 offset1:7
	s_waitcnt lgkmcnt(1)
	v_mul_f64 v[92:93], v[168:169], v[94:95]
	v_fma_f64 v[92:93], v[166:167], v[158:159], -v[92:93]
	v_mul_f64 v[166:167], v[166:167], v[94:95]
	v_fmac_f64_e32 v[166:167], v[168:169], v[158:159]
	s_waitcnt vmcnt(34)
	v_add_f64 v[142:143], v[142:143], -v[166:167]
	ds_read2_b64 v[166:169], v160 offset0:8 offset1:9
	v_add_f64 v[140:141], v[140:141], -v[92:93]
	s_waitcnt lgkmcnt(1)
	v_mul_f64 v[92:93], v[150:151], v[94:95]
	v_fma_f64 v[92:93], v[148:149], v[158:159], -v[92:93]
	v_mul_f64 v[148:149], v[148:149], v[94:95]
	v_fmac_f64_e32 v[148:149], v[150:151], v[158:159]
	s_waitcnt vmcnt(33)
	v_add_f64 v[136:137], v[136:137], -v[92:93]
	v_add_f64 v[138:139], v[138:139], -v[148:149]
	ds_read2_b64 v[148:151], v160 offset0:10 offset1:11
	s_waitcnt lgkmcnt(1)
	v_mul_f64 v[92:93], v[168:169], v[94:95]
	v_fma_f64 v[92:93], v[166:167], v[158:159], -v[92:93]
	v_mul_f64 v[166:167], v[166:167], v[94:95]
	v_fmac_f64_e32 v[166:167], v[168:169], v[158:159]
	s_waitcnt vmcnt(32)
	v_add_f64 v[134:135], v[134:135], -v[166:167]
	ds_read2_b64 v[166:169], v160 offset0:12 offset1:13
	v_add_f64 v[132:133], v[132:133], -v[92:93]
	s_waitcnt lgkmcnt(1)
	v_mul_f64 v[92:93], v[150:151], v[94:95]
	v_fma_f64 v[92:93], v[148:149], v[158:159], -v[92:93]
	v_mul_f64 v[148:149], v[148:149], v[94:95]
	v_fmac_f64_e32 v[148:149], v[150:151], v[158:159]
	s_waitcnt vmcnt(31)
	v_add_f64 v[128:129], v[128:129], -v[92:93]
	v_add_f64 v[130:131], v[130:131], -v[148:149]
	;; [unrolled: 18-line block ×17, first 2 shown]
	s_waitcnt lgkmcnt(0)
	v_mul_f64 v[92:93], v[168:169], v[94:95]
	v_mul_f64 v[148:149], v[166:167], v[94:95]
	v_fma_f64 v[92:93], v[166:167], v[158:159], -v[92:93]
	v_fmac_f64_e32 v[148:149], v[168:169], v[158:159]
	s_waitcnt vmcnt(0)
	v_add_f64 v[144:145], v[144:145], -v[92:93]
	v_add_f64 v[146:147], v[146:147], -v[148:149]
	v_mov_b64_e32 v[92:93], v[158:159]
.LBB72_41:
	s_or_b64 exec, exec, s[0:1]
	v_lshl_add_u32 v148, v161, 4, v160
	s_barrier
	s_waitcnt vmcnt(34)
	ds_write2_b64 v148, v[140:141], v[142:143] offset1:1
	s_waitcnt lgkmcnt(0)
	s_barrier
	ds_read2_b64 v[148:151], v160 offset0:4 offset1:5
	s_cmp_lt_i32 s20, 4
	v_mov_b32_e32 v158, 2
	s_cbranch_scc1 .LBB72_44
; %bb.42:
	v_add3_u32 v159, v164, 0, 48
	s_mov_b32 s16, 3
	v_mov_b32_e32 v158, 2
.LBB72_43:                              ; =>This Inner Loop Header: Depth=1
	ds_read2_b64 v[166:169], v159 offset1:1
	s_waitcnt lgkmcnt(1)
	v_xor_b32_e32 v165, 0x80000000, v149
	v_xor_b32_e32 v173, 0x80000000, v151
	v_cmp_gt_f64_e32 vcc, 0, v[150:151]
	v_cmp_gt_f64_e64 s[0:1], 0, v[148:149]
	v_mov_b32_e32 v170, v148
	v_mov_b32_e32 v172, v150
	v_cndmask_b32_e64 v171, v149, v165, s[0:1]
	v_cndmask_b32_e32 v173, v151, v173, vcc
	s_waitcnt lgkmcnt(0)
	v_xor_b32_e32 v165, 0x80000000, v167
	v_xor_b32_e32 v175, 0x80000000, v169
	v_cmp_gt_f64_e32 vcc, 0, v[168:169]
	v_cmp_gt_f64_e64 s[0:1], 0, v[166:167]
	v_add_f64 v[170:171], v[170:171], v[172:173]
	v_mov_b32_e32 v172, v166
	v_mov_b32_e32 v174, v168
	v_cndmask_b32_e64 v173, v167, v165, s[0:1]
	v_cndmask_b32_e32 v175, v169, v175, vcc
	v_add_f64 v[172:173], v[172:173], v[174:175]
	v_mov_b32_e32 v176, s16
	s_add_i32 s16, s16, 1
	v_cmp_lt_f64_e32 vcc, v[170:171], v[172:173]
	v_add_u32_e32 v159, 16, v159
	s_cmp_lg_u32 s20, s16
	v_cndmask_b32_e32 v149, v149, v167, vcc
	v_cndmask_b32_e32 v148, v148, v166, vcc
	;; [unrolled: 1-line block ×5, first 2 shown]
	s_cbranch_scc1 .LBB72_43
.LBB72_44:
	s_waitcnt lgkmcnt(0)
	v_cmp_eq_f64_e32 vcc, 0, v[148:149]
	v_cmp_eq_f64_e64 s[0:1], 0, v[150:151]
	s_and_b64 s[0:1], vcc, s[0:1]
	s_and_saveexec_b64 s[16:17], s[0:1]
	s_xor_b64 s[0:1], exec, s[16:17]
; %bb.45:
	v_cmp_ne_u32_e32 vcc, 0, v162
	s_nop 1
	v_cndmask_b32_e32 v162, 3, v162, vcc
; %bb.46:
	s_andn2_saveexec_b64 s[0:1], s[0:1]
	s_cbranch_execz .LBB72_52
; %bb.47:
	v_cmp_ngt_f64_e64 s[16:17], |v[148:149]|, |v[150:151]|
	s_and_saveexec_b64 s[18:19], s[16:17]
	s_xor_b64 s[16:17], exec, s[18:19]
	s_cbranch_execz .LBB72_49
; %bb.48:
	v_div_scale_f64 v[166:167], s[18:19], v[150:151], v[150:151], v[148:149]
	v_rcp_f64_e32 v[168:169], v[166:167]
	v_div_scale_f64 v[170:171], vcc, v[148:149], v[150:151], v[148:149]
	v_fma_f64 v[172:173], -v[166:167], v[168:169], 1.0
	v_fmac_f64_e32 v[168:169], v[168:169], v[172:173]
	v_fma_f64 v[172:173], -v[166:167], v[168:169], 1.0
	v_fmac_f64_e32 v[168:169], v[168:169], v[172:173]
	v_mul_f64 v[172:173], v[170:171], v[168:169]
	v_fma_f64 v[166:167], -v[166:167], v[172:173], v[170:171]
	v_div_fmas_f64 v[166:167], v[166:167], v[168:169], v[172:173]
	v_div_fixup_f64 v[166:167], v[166:167], v[150:151], v[148:149]
	v_fmac_f64_e32 v[150:151], v[148:149], v[166:167]
	v_div_scale_f64 v[148:149], s[18:19], v[150:151], v[150:151], 1.0
	v_rcp_f64_e32 v[168:169], v[148:149]
	s_nop 0
	v_fma_f64 v[170:171], -v[148:149], v[168:169], 1.0
	v_fmac_f64_e32 v[168:169], v[168:169], v[170:171]
	v_fma_f64 v[170:171], -v[148:149], v[168:169], 1.0
	v_fmac_f64_e32 v[168:169], v[168:169], v[170:171]
	v_div_scale_f64 v[170:171], vcc, 1.0, v[150:151], 1.0
	v_mul_f64 v[172:173], v[170:171], v[168:169]
	v_fma_f64 v[148:149], -v[148:149], v[172:173], v[170:171]
	s_nop 1
	v_div_fmas_f64 v[148:149], v[148:149], v[168:169], v[172:173]
	v_div_fixup_f64 v[150:151], v[148:149], v[150:151], 1.0
	v_mul_f64 v[148:149], v[166:167], v[150:151]
	v_xor_b32_e32 v151, 0x80000000, v151
.LBB72_49:
	s_andn2_saveexec_b64 s[16:17], s[16:17]
	s_cbranch_execz .LBB72_51
; %bb.50:
	v_div_scale_f64 v[166:167], s[18:19], v[148:149], v[148:149], v[150:151]
	v_rcp_f64_e32 v[168:169], v[166:167]
	v_div_scale_f64 v[170:171], vcc, v[150:151], v[148:149], v[150:151]
	v_fma_f64 v[172:173], -v[166:167], v[168:169], 1.0
	v_fmac_f64_e32 v[168:169], v[168:169], v[172:173]
	v_fma_f64 v[172:173], -v[166:167], v[168:169], 1.0
	v_fmac_f64_e32 v[168:169], v[168:169], v[172:173]
	v_mul_f64 v[172:173], v[170:171], v[168:169]
	v_fma_f64 v[166:167], -v[166:167], v[172:173], v[170:171]
	v_div_fmas_f64 v[166:167], v[166:167], v[168:169], v[172:173]
	v_div_fixup_f64 v[166:167], v[166:167], v[148:149], v[150:151]
	v_fmac_f64_e32 v[148:149], v[150:151], v[166:167]
	v_div_scale_f64 v[150:151], s[18:19], v[148:149], v[148:149], 1.0
	v_rcp_f64_e32 v[168:169], v[150:151]
	s_nop 0
	v_fma_f64 v[170:171], -v[150:151], v[168:169], 1.0
	v_fmac_f64_e32 v[168:169], v[168:169], v[170:171]
	v_fma_f64 v[170:171], -v[150:151], v[168:169], 1.0
	v_fmac_f64_e32 v[168:169], v[168:169], v[170:171]
	v_div_scale_f64 v[170:171], vcc, 1.0, v[148:149], 1.0
	v_mul_f64 v[172:173], v[170:171], v[168:169]
	v_fma_f64 v[150:151], -v[150:151], v[172:173], v[170:171]
	s_nop 1
	v_div_fmas_f64 v[150:151], v[150:151], v[168:169], v[172:173]
	v_div_fixup_f64 v[148:149], v[150:151], v[148:149], 1.0
	v_mul_f64 v[150:151], v[166:167], -v[148:149]
.LBB72_51:
	s_or_b64 exec, exec, s[16:17]
.LBB72_52:
	s_or_b64 exec, exec, s[0:1]
	v_cmp_ne_u32_e32 vcc, v161, v158
	s_and_saveexec_b64 s[0:1], vcc
	s_xor_b64 s[0:1], exec, s[0:1]
	s_cbranch_execz .LBB72_58
; %bb.53:
	v_cmp_eq_u32_e32 vcc, 2, v161
	s_and_saveexec_b64 s[16:17], vcc
	s_cbranch_execz .LBB72_57
; %bb.54:
	v_cmp_ne_u32_e32 vcc, 2, v158
	s_xor_b64 s[18:19], s[14:15], -1
	s_and_b64 s[22:23], s[18:19], vcc
	s_and_saveexec_b64 s[18:19], s[22:23]
	s_cbranch_execz .LBB72_56
; %bb.55:
	v_ashrrev_i32_e32 v159, 31, v158
	v_lshl_add_u64 v[166:167], v[158:159], 2, v[156:157]
	global_load_dword v159, v[166:167], off
	global_load_dword v161, v[156:157], off offset:8
	s_waitcnt vmcnt(1)
	global_store_dword v[156:157], v159, off offset:8
	s_waitcnt vmcnt(1)
	global_store_dword v[166:167], v161, off
.LBB72_56:
	s_or_b64 exec, exec, s[18:19]
	v_mov_b32_e32 v161, v158
	v_mov_b32_e32 v163, v158
.LBB72_57:
	s_or_b64 exec, exec, s[16:17]
.LBB72_58:
	s_andn2_saveexec_b64 s[0:1], s[0:1]
	s_cbranch_execz .LBB72_60
; %bb.59:
	v_mov_b32_e32 v161, 2
	s_waitcnt vmcnt(33)
	ds_write2_b64 v160, v[136:137], v[138:139] offset0:6 offset1:7
	s_waitcnt vmcnt(32)
	ds_write2_b64 v160, v[132:133], v[134:135] offset0:8 offset1:9
	;; [unrolled: 2-line block ×34, first 2 shown]
.LBB72_60:
	s_or_b64 exec, exec, s[0:1]
	v_cmp_lt_i32_e32 vcc, 2, v161
	s_waitcnt lgkmcnt(0)
	s_barrier
	s_and_saveexec_b64 s[0:1], vcc
	s_cbranch_execz .LBB72_62
; %bb.61:
	ds_read2_b64 v[166:169], v160 offset0:6 offset1:7
	v_mul_f64 v[158:159], v[150:151], v[142:143]
	v_mul_f64 v[142:143], v[148:149], v[142:143]
	v_fma_f64 v[158:159], v[148:149], v[140:141], -v[158:159]
	v_fmac_f64_e32 v[142:143], v[150:151], v[140:141]
	ds_read2_b64 v[148:151], v160 offset0:8 offset1:9
	s_waitcnt lgkmcnt(1)
	v_mul_f64 v[140:141], v[168:169], v[142:143]
	v_fma_f64 v[140:141], v[166:167], v[158:159], -v[140:141]
	v_mul_f64 v[166:167], v[166:167], v[142:143]
	v_fmac_f64_e32 v[166:167], v[168:169], v[158:159]
	s_waitcnt vmcnt(33)
	v_add_f64 v[136:137], v[136:137], -v[140:141]
	s_waitcnt lgkmcnt(0)
	v_mul_f64 v[140:141], v[150:151], v[142:143]
	v_add_f64 v[138:139], v[138:139], -v[166:167]
	v_fma_f64 v[140:141], v[148:149], v[158:159], -v[140:141]
	v_mul_f64 v[148:149], v[148:149], v[142:143]
	ds_read2_b64 v[166:169], v160 offset0:10 offset1:11
	v_fmac_f64_e32 v[148:149], v[150:151], v[158:159]
	s_waitcnt vmcnt(32)
	v_add_f64 v[134:135], v[134:135], -v[148:149]
	ds_read2_b64 v[148:151], v160 offset0:12 offset1:13
	v_add_f64 v[132:133], v[132:133], -v[140:141]
	s_waitcnt lgkmcnt(1)
	v_mul_f64 v[140:141], v[168:169], v[142:143]
	v_fma_f64 v[140:141], v[166:167], v[158:159], -v[140:141]
	v_mul_f64 v[166:167], v[166:167], v[142:143]
	v_fmac_f64_e32 v[166:167], v[168:169], v[158:159]
	s_waitcnt vmcnt(31)
	v_add_f64 v[128:129], v[128:129], -v[140:141]
	s_waitcnt lgkmcnt(0)
	v_mul_f64 v[140:141], v[150:151], v[142:143]
	v_add_f64 v[130:131], v[130:131], -v[166:167]
	v_fma_f64 v[140:141], v[148:149], v[158:159], -v[140:141]
	v_mul_f64 v[148:149], v[148:149], v[142:143]
	ds_read2_b64 v[166:169], v160 offset0:14 offset1:15
	v_fmac_f64_e32 v[148:149], v[150:151], v[158:159]
	s_waitcnt vmcnt(30)
	v_add_f64 v[126:127], v[126:127], -v[148:149]
	ds_read2_b64 v[148:151], v160 offset0:16 offset1:17
	v_add_f64 v[124:125], v[124:125], -v[140:141]
	;; [unrolled: 18-line block ×16, first 2 shown]
	s_waitcnt lgkmcnt(1)
	v_mul_f64 v[140:141], v[168:169], v[142:143]
	v_fma_f64 v[140:141], v[166:167], v[158:159], -v[140:141]
	s_waitcnt vmcnt(1)
	v_add_f64 v[0:1], v[0:1], -v[140:141]
	s_waitcnt lgkmcnt(0)
	v_mul_f64 v[140:141], v[150:151], v[142:143]
	v_mul_f64 v[166:167], v[166:167], v[142:143]
	v_fma_f64 v[140:141], v[148:149], v[158:159], -v[140:141]
	v_mul_f64 v[148:149], v[148:149], v[142:143]
	v_fmac_f64_e32 v[166:167], v[168:169], v[158:159]
	v_fmac_f64_e32 v[148:149], v[150:151], v[158:159]
	v_add_f64 v[2:3], v[2:3], -v[166:167]
	s_waitcnt vmcnt(0)
	v_add_f64 v[144:145], v[144:145], -v[140:141]
	v_add_f64 v[146:147], v[146:147], -v[148:149]
	v_mov_b64_e32 v[140:141], v[158:159]
.LBB72_62:
	s_or_b64 exec, exec, s[0:1]
	v_lshl_add_u32 v148, v161, 4, v160
	s_barrier
	s_waitcnt vmcnt(33)
	ds_write2_b64 v148, v[136:137], v[138:139] offset1:1
	s_waitcnt lgkmcnt(0)
	s_barrier
	ds_read2_b64 v[148:151], v160 offset0:6 offset1:7
	s_mov_b32 s16, 4
	s_cmp_lt_i32 s20, 5
	v_mov_b32_e32 v158, 3
	s_cbranch_scc1 .LBB72_65
; %bb.63:
	v_add3_u32 v159, v164, 0, 64
	v_mov_b32_e32 v158, 3
.LBB72_64:                              ; =>This Inner Loop Header: Depth=1
	ds_read2_b64 v[164:167], v159 offset1:1
	s_waitcnt lgkmcnt(1)
	v_xor_b32_e32 v169, 0x80000000, v149
	v_xor_b32_e32 v171, 0x80000000, v151
	v_cmp_gt_f64_e32 vcc, 0, v[150:151]
	v_cmp_gt_f64_e64 s[0:1], 0, v[148:149]
	v_mov_b32_e32 v168, v148
	v_mov_b32_e32 v170, v150
	v_cndmask_b32_e64 v169, v149, v169, s[0:1]
	v_cndmask_b32_e32 v171, v151, v171, vcc
	v_add_f64 v[168:169], v[168:169], v[170:171]
	s_waitcnt lgkmcnt(0)
	v_xor_b32_e32 v171, 0x80000000, v165
	v_xor_b32_e32 v173, 0x80000000, v167
	v_cmp_gt_f64_e32 vcc, 0, v[166:167]
	v_cmp_gt_f64_e64 s[0:1], 0, v[164:165]
	v_mov_b32_e32 v170, v164
	v_mov_b32_e32 v172, v166
	v_cndmask_b32_e64 v171, v165, v171, s[0:1]
	v_cndmask_b32_e32 v173, v167, v173, vcc
	v_add_f64 v[170:171], v[170:171], v[172:173]
	v_mov_b32_e32 v174, s16
	s_add_i32 s16, s16, 1
	v_cmp_lt_f64_e32 vcc, v[168:169], v[170:171]
	v_add_u32_e32 v159, 16, v159
	s_cmp_lg_u32 s20, s16
	v_cndmask_b32_e32 v149, v149, v165, vcc
	v_cndmask_b32_e32 v148, v148, v164, vcc
	;; [unrolled: 1-line block ×5, first 2 shown]
	s_cbranch_scc1 .LBB72_64
.LBB72_65:
	s_waitcnt lgkmcnt(0)
	v_cmp_eq_f64_e32 vcc, 0, v[148:149]
	v_cmp_eq_f64_e64 s[0:1], 0, v[150:151]
	s_and_b64 s[0:1], vcc, s[0:1]
	s_and_saveexec_b64 s[16:17], s[0:1]
	s_xor_b64 s[0:1], exec, s[16:17]
; %bb.66:
	v_cmp_ne_u32_e32 vcc, 0, v162
	s_nop 1
	v_cndmask_b32_e32 v162, 4, v162, vcc
; %bb.67:
	s_andn2_saveexec_b64 s[0:1], s[0:1]
	s_cbranch_execz .LBB72_73
; %bb.68:
	v_cmp_ngt_f64_e64 s[16:17], |v[148:149]|, |v[150:151]|
	s_and_saveexec_b64 s[18:19], s[16:17]
	s_xor_b64 s[16:17], exec, s[18:19]
	s_cbranch_execz .LBB72_70
; %bb.69:
	v_div_scale_f64 v[164:165], s[18:19], v[150:151], v[150:151], v[148:149]
	v_rcp_f64_e32 v[166:167], v[164:165]
	v_div_scale_f64 v[168:169], vcc, v[148:149], v[150:151], v[148:149]
	v_fma_f64 v[170:171], -v[164:165], v[166:167], 1.0
	v_fmac_f64_e32 v[166:167], v[166:167], v[170:171]
	v_fma_f64 v[170:171], -v[164:165], v[166:167], 1.0
	v_fmac_f64_e32 v[166:167], v[166:167], v[170:171]
	v_mul_f64 v[170:171], v[168:169], v[166:167]
	v_fma_f64 v[164:165], -v[164:165], v[170:171], v[168:169]
	v_div_fmas_f64 v[164:165], v[164:165], v[166:167], v[170:171]
	v_div_fixup_f64 v[164:165], v[164:165], v[150:151], v[148:149]
	v_fmac_f64_e32 v[150:151], v[148:149], v[164:165]
	v_div_scale_f64 v[148:149], s[18:19], v[150:151], v[150:151], 1.0
	v_rcp_f64_e32 v[166:167], v[148:149]
	s_nop 0
	v_fma_f64 v[168:169], -v[148:149], v[166:167], 1.0
	v_fmac_f64_e32 v[166:167], v[166:167], v[168:169]
	v_fma_f64 v[168:169], -v[148:149], v[166:167], 1.0
	v_fmac_f64_e32 v[166:167], v[166:167], v[168:169]
	v_div_scale_f64 v[168:169], vcc, 1.0, v[150:151], 1.0
	v_mul_f64 v[170:171], v[168:169], v[166:167]
	v_fma_f64 v[148:149], -v[148:149], v[170:171], v[168:169]
	s_nop 1
	v_div_fmas_f64 v[148:149], v[148:149], v[166:167], v[170:171]
	v_div_fixup_f64 v[150:151], v[148:149], v[150:151], 1.0
	v_mul_f64 v[148:149], v[164:165], v[150:151]
	v_xor_b32_e32 v151, 0x80000000, v151
.LBB72_70:
	s_andn2_saveexec_b64 s[16:17], s[16:17]
	s_cbranch_execz .LBB72_72
; %bb.71:
	v_div_scale_f64 v[164:165], s[18:19], v[148:149], v[148:149], v[150:151]
	v_rcp_f64_e32 v[166:167], v[164:165]
	v_div_scale_f64 v[168:169], vcc, v[150:151], v[148:149], v[150:151]
	v_fma_f64 v[170:171], -v[164:165], v[166:167], 1.0
	v_fmac_f64_e32 v[166:167], v[166:167], v[170:171]
	v_fma_f64 v[170:171], -v[164:165], v[166:167], 1.0
	v_fmac_f64_e32 v[166:167], v[166:167], v[170:171]
	v_mul_f64 v[170:171], v[168:169], v[166:167]
	v_fma_f64 v[164:165], -v[164:165], v[170:171], v[168:169]
	v_div_fmas_f64 v[164:165], v[164:165], v[166:167], v[170:171]
	v_div_fixup_f64 v[164:165], v[164:165], v[148:149], v[150:151]
	v_fmac_f64_e32 v[148:149], v[150:151], v[164:165]
	v_div_scale_f64 v[150:151], s[18:19], v[148:149], v[148:149], 1.0
	v_rcp_f64_e32 v[166:167], v[150:151]
	s_nop 0
	v_fma_f64 v[168:169], -v[150:151], v[166:167], 1.0
	v_fmac_f64_e32 v[166:167], v[166:167], v[168:169]
	v_fma_f64 v[168:169], -v[150:151], v[166:167], 1.0
	v_fmac_f64_e32 v[166:167], v[166:167], v[168:169]
	v_div_scale_f64 v[168:169], vcc, 1.0, v[148:149], 1.0
	v_mul_f64 v[170:171], v[168:169], v[166:167]
	v_fma_f64 v[150:151], -v[150:151], v[170:171], v[168:169]
	s_nop 1
	v_div_fmas_f64 v[150:151], v[150:151], v[166:167], v[170:171]
	v_div_fixup_f64 v[148:149], v[150:151], v[148:149], 1.0
	v_mul_f64 v[150:151], v[164:165], -v[148:149]
.LBB72_72:
	s_or_b64 exec, exec, s[16:17]
.LBB72_73:
	s_or_b64 exec, exec, s[0:1]
	v_cmp_ne_u32_e32 vcc, v161, v158
	s_and_saveexec_b64 s[0:1], vcc
	s_xor_b64 s[0:1], exec, s[0:1]
	s_cbranch_execz .LBB72_79
; %bb.74:
	v_cmp_eq_u32_e32 vcc, 3, v161
	s_and_saveexec_b64 s[16:17], vcc
	s_cbranch_execz .LBB72_78
; %bb.75:
	v_cmp_ne_u32_e32 vcc, 3, v158
	s_xor_b64 s[18:19], s[14:15], -1
	s_and_b64 s[22:23], s[18:19], vcc
	s_and_saveexec_b64 s[18:19], s[22:23]
	s_cbranch_execz .LBB72_77
; %bb.76:
	v_ashrrev_i32_e32 v159, 31, v158
	v_lshl_add_u64 v[164:165], v[158:159], 2, v[156:157]
	global_load_dword v159, v[164:165], off
	global_load_dword v161, v[156:157], off offset:12
	s_waitcnt vmcnt(1)
	global_store_dword v[156:157], v159, off offset:12
	s_waitcnt vmcnt(1)
	global_store_dword v[164:165], v161, off
.LBB72_77:
	s_or_b64 exec, exec, s[18:19]
	v_mov_b32_e32 v161, v158
	v_mov_b32_e32 v163, v158
.LBB72_78:
	s_or_b64 exec, exec, s[16:17]
.LBB72_79:
	s_andn2_saveexec_b64 s[0:1], s[0:1]
	s_cbranch_execz .LBB72_81
; %bb.80:
	v_mov_b32_e32 v161, 3
	s_waitcnt vmcnt(32)
	ds_write2_b64 v160, v[132:133], v[134:135] offset0:8 offset1:9
	s_waitcnt vmcnt(31)
	ds_write2_b64 v160, v[128:129], v[130:131] offset0:10 offset1:11
	;; [unrolled: 2-line block ×33, first 2 shown]
.LBB72_81:
	s_or_b64 exec, exec, s[0:1]
	v_cmp_lt_i32_e32 vcc, 3, v161
	s_waitcnt lgkmcnt(0)
	s_barrier
	s_and_saveexec_b64 s[0:1], vcc
	s_cbranch_execz .LBB72_83
; %bb.82:
	ds_read2_b64 v[164:167], v160 offset0:8 offset1:9
	v_mul_f64 v[158:159], v[150:151], v[138:139]
	v_mul_f64 v[138:139], v[148:149], v[138:139]
	v_fmac_f64_e32 v[138:139], v[150:151], v[136:137]
	v_fma_f64 v[158:159], v[148:149], v[136:137], -v[158:159]
	ds_read2_b64 v[148:151], v160 offset0:10 offset1:11
	s_waitcnt lgkmcnt(1)
	v_mul_f64 v[136:137], v[166:167], v[138:139]
	v_fma_f64 v[136:137], v[164:165], v[158:159], -v[136:137]
	v_mul_f64 v[164:165], v[164:165], v[138:139]
	v_fmac_f64_e32 v[164:165], v[166:167], v[158:159]
	s_waitcnt vmcnt(32)
	v_add_f64 v[134:135], v[134:135], -v[164:165]
	ds_read2_b64 v[164:167], v160 offset0:12 offset1:13
	v_add_f64 v[132:133], v[132:133], -v[136:137]
	s_waitcnt lgkmcnt(1)
	v_mul_f64 v[136:137], v[150:151], v[138:139]
	v_fma_f64 v[136:137], v[148:149], v[158:159], -v[136:137]
	v_mul_f64 v[148:149], v[148:149], v[138:139]
	v_fmac_f64_e32 v[148:149], v[150:151], v[158:159]
	s_waitcnt vmcnt(31)
	v_add_f64 v[128:129], v[128:129], -v[136:137]
	v_add_f64 v[130:131], v[130:131], -v[148:149]
	ds_read2_b64 v[148:151], v160 offset0:14 offset1:15
	s_waitcnt lgkmcnt(1)
	v_mul_f64 v[136:137], v[166:167], v[138:139]
	v_fma_f64 v[136:137], v[164:165], v[158:159], -v[136:137]
	v_mul_f64 v[164:165], v[164:165], v[138:139]
	v_fmac_f64_e32 v[164:165], v[166:167], v[158:159]
	s_waitcnt vmcnt(30)
	v_add_f64 v[126:127], v[126:127], -v[164:165]
	ds_read2_b64 v[164:167], v160 offset0:16 offset1:17
	v_add_f64 v[124:125], v[124:125], -v[136:137]
	s_waitcnt lgkmcnt(1)
	v_mul_f64 v[136:137], v[150:151], v[138:139]
	v_fma_f64 v[136:137], v[148:149], v[158:159], -v[136:137]
	v_mul_f64 v[148:149], v[148:149], v[138:139]
	v_fmac_f64_e32 v[148:149], v[150:151], v[158:159]
	s_waitcnt vmcnt(29)
	v_add_f64 v[120:121], v[120:121], -v[136:137]
	v_add_f64 v[122:123], v[122:123], -v[148:149]
	;; [unrolled: 18-line block ×16, first 2 shown]
	s_waitcnt lgkmcnt(0)
	v_mul_f64 v[136:137], v[166:167], v[138:139]
	v_mul_f64 v[148:149], v[164:165], v[138:139]
	v_fma_f64 v[136:137], v[164:165], v[158:159], -v[136:137]
	v_fmac_f64_e32 v[148:149], v[166:167], v[158:159]
	s_waitcnt vmcnt(0)
	v_add_f64 v[144:145], v[144:145], -v[136:137]
	v_add_f64 v[146:147], v[146:147], -v[148:149]
	v_mov_b64_e32 v[136:137], v[158:159]
.LBB72_83:
	s_or_b64 exec, exec, s[0:1]
	v_lshl_add_u32 v148, v161, 4, v160
	s_barrier
	s_waitcnt vmcnt(32)
	ds_write2_b64 v148, v[132:133], v[134:135] offset1:1
	s_waitcnt lgkmcnt(0)
	s_barrier
	ds_read2_b64 v[148:151], v160 offset0:8 offset1:9
	s_cmp_lt_i32 s20, 6
	v_mov_b32_e32 v158, 4
	s_cbranch_scc1 .LBB72_86
; %bb.84:
	v_mov_b32_e32 v158, 4
	v_add_u32_e32 v159, 0x50, v160
	s_mov_b32 s16, 5
.LBB72_85:                              ; =>This Inner Loop Header: Depth=1
	ds_read2_b64 v[164:167], v159 offset1:1
	s_waitcnt lgkmcnt(1)
	v_xor_b32_e32 v169, 0x80000000, v149
	v_xor_b32_e32 v171, 0x80000000, v151
	v_cmp_gt_f64_e32 vcc, 0, v[150:151]
	v_cmp_gt_f64_e64 s[0:1], 0, v[148:149]
	v_mov_b32_e32 v168, v148
	v_mov_b32_e32 v170, v150
	v_cndmask_b32_e64 v169, v149, v169, s[0:1]
	v_cndmask_b32_e32 v171, v151, v171, vcc
	v_add_f64 v[168:169], v[168:169], v[170:171]
	s_waitcnt lgkmcnt(0)
	v_xor_b32_e32 v171, 0x80000000, v165
	v_xor_b32_e32 v173, 0x80000000, v167
	v_cmp_gt_f64_e32 vcc, 0, v[166:167]
	v_cmp_gt_f64_e64 s[0:1], 0, v[164:165]
	v_mov_b32_e32 v170, v164
	v_mov_b32_e32 v172, v166
	v_cndmask_b32_e64 v171, v165, v171, s[0:1]
	v_cndmask_b32_e32 v173, v167, v173, vcc
	v_add_f64 v[170:171], v[170:171], v[172:173]
	v_mov_b32_e32 v174, s16
	s_add_i32 s16, s16, 1
	v_cmp_lt_f64_e32 vcc, v[168:169], v[170:171]
	v_add_u32_e32 v159, 16, v159
	s_cmp_lg_u32 s20, s16
	v_cndmask_b32_e32 v149, v149, v165, vcc
	v_cndmask_b32_e32 v148, v148, v164, vcc
	;; [unrolled: 1-line block ×5, first 2 shown]
	s_cbranch_scc1 .LBB72_85
.LBB72_86:
	s_waitcnt lgkmcnt(0)
	v_cmp_eq_f64_e32 vcc, 0, v[148:149]
	v_cmp_eq_f64_e64 s[0:1], 0, v[150:151]
	s_and_b64 s[0:1], vcc, s[0:1]
	s_and_saveexec_b64 s[16:17], s[0:1]
	s_xor_b64 s[0:1], exec, s[16:17]
; %bb.87:
	v_cmp_ne_u32_e32 vcc, 0, v162
	s_nop 1
	v_cndmask_b32_e32 v162, 5, v162, vcc
; %bb.88:
	s_andn2_saveexec_b64 s[0:1], s[0:1]
	s_cbranch_execz .LBB72_94
; %bb.89:
	v_cmp_ngt_f64_e64 s[16:17], |v[148:149]|, |v[150:151]|
	s_and_saveexec_b64 s[18:19], s[16:17]
	s_xor_b64 s[16:17], exec, s[18:19]
	s_cbranch_execz .LBB72_91
; %bb.90:
	v_div_scale_f64 v[164:165], s[18:19], v[150:151], v[150:151], v[148:149]
	v_rcp_f64_e32 v[166:167], v[164:165]
	v_div_scale_f64 v[168:169], vcc, v[148:149], v[150:151], v[148:149]
	v_fma_f64 v[170:171], -v[164:165], v[166:167], 1.0
	v_fmac_f64_e32 v[166:167], v[166:167], v[170:171]
	v_fma_f64 v[170:171], -v[164:165], v[166:167], 1.0
	v_fmac_f64_e32 v[166:167], v[166:167], v[170:171]
	v_mul_f64 v[170:171], v[168:169], v[166:167]
	v_fma_f64 v[164:165], -v[164:165], v[170:171], v[168:169]
	v_div_fmas_f64 v[164:165], v[164:165], v[166:167], v[170:171]
	v_div_fixup_f64 v[164:165], v[164:165], v[150:151], v[148:149]
	v_fmac_f64_e32 v[150:151], v[148:149], v[164:165]
	v_div_scale_f64 v[148:149], s[18:19], v[150:151], v[150:151], 1.0
	v_rcp_f64_e32 v[166:167], v[148:149]
	s_nop 0
	v_fma_f64 v[168:169], -v[148:149], v[166:167], 1.0
	v_fmac_f64_e32 v[166:167], v[166:167], v[168:169]
	v_fma_f64 v[168:169], -v[148:149], v[166:167], 1.0
	v_fmac_f64_e32 v[166:167], v[166:167], v[168:169]
	v_div_scale_f64 v[168:169], vcc, 1.0, v[150:151], 1.0
	v_mul_f64 v[170:171], v[168:169], v[166:167]
	v_fma_f64 v[148:149], -v[148:149], v[170:171], v[168:169]
	s_nop 1
	v_div_fmas_f64 v[148:149], v[148:149], v[166:167], v[170:171]
	v_div_fixup_f64 v[150:151], v[148:149], v[150:151], 1.0
	v_mul_f64 v[148:149], v[164:165], v[150:151]
	v_xor_b32_e32 v151, 0x80000000, v151
.LBB72_91:
	s_andn2_saveexec_b64 s[16:17], s[16:17]
	s_cbranch_execz .LBB72_93
; %bb.92:
	v_div_scale_f64 v[164:165], s[18:19], v[148:149], v[148:149], v[150:151]
	v_rcp_f64_e32 v[166:167], v[164:165]
	v_div_scale_f64 v[168:169], vcc, v[150:151], v[148:149], v[150:151]
	v_fma_f64 v[170:171], -v[164:165], v[166:167], 1.0
	v_fmac_f64_e32 v[166:167], v[166:167], v[170:171]
	v_fma_f64 v[170:171], -v[164:165], v[166:167], 1.0
	v_fmac_f64_e32 v[166:167], v[166:167], v[170:171]
	v_mul_f64 v[170:171], v[168:169], v[166:167]
	v_fma_f64 v[164:165], -v[164:165], v[170:171], v[168:169]
	v_div_fmas_f64 v[164:165], v[164:165], v[166:167], v[170:171]
	v_div_fixup_f64 v[164:165], v[164:165], v[148:149], v[150:151]
	v_fmac_f64_e32 v[148:149], v[150:151], v[164:165]
	v_div_scale_f64 v[150:151], s[18:19], v[148:149], v[148:149], 1.0
	v_rcp_f64_e32 v[166:167], v[150:151]
	s_nop 0
	v_fma_f64 v[168:169], -v[150:151], v[166:167], 1.0
	v_fmac_f64_e32 v[166:167], v[166:167], v[168:169]
	v_fma_f64 v[168:169], -v[150:151], v[166:167], 1.0
	v_fmac_f64_e32 v[166:167], v[166:167], v[168:169]
	v_div_scale_f64 v[168:169], vcc, 1.0, v[148:149], 1.0
	v_mul_f64 v[170:171], v[168:169], v[166:167]
	v_fma_f64 v[150:151], -v[150:151], v[170:171], v[168:169]
	s_nop 1
	v_div_fmas_f64 v[150:151], v[150:151], v[166:167], v[170:171]
	v_div_fixup_f64 v[148:149], v[150:151], v[148:149], 1.0
	v_mul_f64 v[150:151], v[164:165], -v[148:149]
.LBB72_93:
	s_or_b64 exec, exec, s[16:17]
.LBB72_94:
	s_or_b64 exec, exec, s[0:1]
	v_cmp_ne_u32_e32 vcc, v161, v158
	s_and_saveexec_b64 s[0:1], vcc
	s_xor_b64 s[0:1], exec, s[0:1]
	s_cbranch_execz .LBB72_100
; %bb.95:
	v_cmp_eq_u32_e32 vcc, 4, v161
	s_and_saveexec_b64 s[16:17], vcc
	s_cbranch_execz .LBB72_99
; %bb.96:
	v_cmp_ne_u32_e32 vcc, 4, v158
	s_xor_b64 s[18:19], s[14:15], -1
	s_and_b64 s[22:23], s[18:19], vcc
	s_and_saveexec_b64 s[18:19], s[22:23]
	s_cbranch_execz .LBB72_98
; %bb.97:
	v_ashrrev_i32_e32 v159, 31, v158
	v_lshl_add_u64 v[164:165], v[158:159], 2, v[156:157]
	global_load_dword v159, v[164:165], off
	global_load_dword v161, v[156:157], off offset:16
	s_waitcnt vmcnt(1)
	global_store_dword v[156:157], v159, off offset:16
	s_waitcnt vmcnt(1)
	global_store_dword v[164:165], v161, off
.LBB72_98:
	s_or_b64 exec, exec, s[18:19]
	v_mov_b32_e32 v161, v158
	v_mov_b32_e32 v163, v158
.LBB72_99:
	s_or_b64 exec, exec, s[16:17]
.LBB72_100:
	s_andn2_saveexec_b64 s[0:1], s[0:1]
	s_cbranch_execz .LBB72_102
; %bb.101:
	v_mov_b32_e32 v161, 4
	s_waitcnt vmcnt(31)
	ds_write2_b64 v160, v[128:129], v[130:131] offset0:10 offset1:11
	s_waitcnt vmcnt(30)
	ds_write2_b64 v160, v[124:125], v[126:127] offset0:12 offset1:13
	;; [unrolled: 2-line block ×32, first 2 shown]
.LBB72_102:
	s_or_b64 exec, exec, s[0:1]
	v_cmp_lt_i32_e32 vcc, 4, v161
	s_waitcnt lgkmcnt(0)
	s_barrier
	s_and_saveexec_b64 s[0:1], vcc
	s_cbranch_execz .LBB72_104
; %bb.103:
	ds_read2_b64 v[164:167], v160 offset0:10 offset1:11
	v_mul_f64 v[158:159], v[150:151], v[134:135]
	v_mul_f64 v[134:135], v[148:149], v[134:135]
	v_fma_f64 v[158:159], v[148:149], v[132:133], -v[158:159]
	v_fmac_f64_e32 v[134:135], v[150:151], v[132:133]
	ds_read2_b64 v[148:151], v160 offset0:12 offset1:13
	s_waitcnt lgkmcnt(1)
	v_mul_f64 v[132:133], v[166:167], v[134:135]
	v_fma_f64 v[132:133], v[164:165], v[158:159], -v[132:133]
	v_mul_f64 v[164:165], v[164:165], v[134:135]
	v_fmac_f64_e32 v[164:165], v[166:167], v[158:159]
	s_waitcnt vmcnt(31)
	v_add_f64 v[128:129], v[128:129], -v[132:133]
	s_waitcnt lgkmcnt(0)
	v_mul_f64 v[132:133], v[150:151], v[134:135]
	v_add_f64 v[130:131], v[130:131], -v[164:165]
	v_fma_f64 v[132:133], v[148:149], v[158:159], -v[132:133]
	v_mul_f64 v[148:149], v[148:149], v[134:135]
	ds_read2_b64 v[164:167], v160 offset0:14 offset1:15
	v_fmac_f64_e32 v[148:149], v[150:151], v[158:159]
	s_waitcnt vmcnt(30)
	v_add_f64 v[126:127], v[126:127], -v[148:149]
	ds_read2_b64 v[148:151], v160 offset0:16 offset1:17
	v_add_f64 v[124:125], v[124:125], -v[132:133]
	s_waitcnt lgkmcnt(1)
	v_mul_f64 v[132:133], v[166:167], v[134:135]
	v_fma_f64 v[132:133], v[164:165], v[158:159], -v[132:133]
	v_mul_f64 v[164:165], v[164:165], v[134:135]
	v_fmac_f64_e32 v[164:165], v[166:167], v[158:159]
	s_waitcnt vmcnt(29)
	v_add_f64 v[120:121], v[120:121], -v[132:133]
	s_waitcnt lgkmcnt(0)
	v_mul_f64 v[132:133], v[150:151], v[134:135]
	v_add_f64 v[122:123], v[122:123], -v[164:165]
	v_fma_f64 v[132:133], v[148:149], v[158:159], -v[132:133]
	v_mul_f64 v[148:149], v[148:149], v[134:135]
	ds_read2_b64 v[164:167], v160 offset0:18 offset1:19
	v_fmac_f64_e32 v[148:149], v[150:151], v[158:159]
	s_waitcnt vmcnt(28)
	v_add_f64 v[118:119], v[118:119], -v[148:149]
	ds_read2_b64 v[148:151], v160 offset0:20 offset1:21
	v_add_f64 v[116:117], v[116:117], -v[132:133]
	;; [unrolled: 18-line block ×15, first 2 shown]
	s_waitcnt lgkmcnt(1)
	v_mul_f64 v[132:133], v[166:167], v[134:135]
	v_fma_f64 v[132:133], v[164:165], v[158:159], -v[132:133]
	s_waitcnt vmcnt(1)
	v_add_f64 v[0:1], v[0:1], -v[132:133]
	s_waitcnt lgkmcnt(0)
	v_mul_f64 v[132:133], v[150:151], v[134:135]
	v_mul_f64 v[164:165], v[164:165], v[134:135]
	v_fma_f64 v[132:133], v[148:149], v[158:159], -v[132:133]
	v_mul_f64 v[148:149], v[148:149], v[134:135]
	v_fmac_f64_e32 v[164:165], v[166:167], v[158:159]
	v_fmac_f64_e32 v[148:149], v[150:151], v[158:159]
	v_add_f64 v[2:3], v[2:3], -v[164:165]
	s_waitcnt vmcnt(0)
	v_add_f64 v[144:145], v[144:145], -v[132:133]
	v_add_f64 v[146:147], v[146:147], -v[148:149]
	v_mov_b64_e32 v[132:133], v[158:159]
.LBB72_104:
	s_or_b64 exec, exec, s[0:1]
	v_lshl_add_u32 v148, v161, 4, v160
	s_barrier
	s_waitcnt vmcnt(31)
	ds_write2_b64 v148, v[128:129], v[130:131] offset1:1
	s_waitcnt lgkmcnt(0)
	s_barrier
	ds_read2_b64 v[148:151], v160 offset0:10 offset1:11
	s_cmp_lt_i32 s20, 7
	v_mov_b32_e32 v158, 5
	s_cbranch_scc1 .LBB72_107
; %bb.105:
	v_add_u32_e32 v159, 0x60, v160
	s_mov_b32 s16, 6
	v_mov_b32_e32 v158, 5
.LBB72_106:                             ; =>This Inner Loop Header: Depth=1
	ds_read2_b64 v[164:167], v159 offset1:1
	s_waitcnt lgkmcnt(1)
	v_xor_b32_e32 v169, 0x80000000, v149
	v_xor_b32_e32 v171, 0x80000000, v151
	v_cmp_gt_f64_e32 vcc, 0, v[150:151]
	v_cmp_gt_f64_e64 s[0:1], 0, v[148:149]
	v_mov_b32_e32 v168, v148
	v_mov_b32_e32 v170, v150
	v_cndmask_b32_e64 v169, v149, v169, s[0:1]
	v_cndmask_b32_e32 v171, v151, v171, vcc
	v_add_f64 v[168:169], v[168:169], v[170:171]
	s_waitcnt lgkmcnt(0)
	v_xor_b32_e32 v171, 0x80000000, v165
	v_xor_b32_e32 v173, 0x80000000, v167
	v_cmp_gt_f64_e32 vcc, 0, v[166:167]
	v_cmp_gt_f64_e64 s[0:1], 0, v[164:165]
	v_mov_b32_e32 v170, v164
	v_mov_b32_e32 v172, v166
	v_cndmask_b32_e64 v171, v165, v171, s[0:1]
	v_cndmask_b32_e32 v173, v167, v173, vcc
	v_add_f64 v[170:171], v[170:171], v[172:173]
	v_mov_b32_e32 v174, s16
	s_add_i32 s16, s16, 1
	v_cmp_lt_f64_e32 vcc, v[168:169], v[170:171]
	v_add_u32_e32 v159, 16, v159
	s_cmp_lg_u32 s20, s16
	v_cndmask_b32_e32 v149, v149, v165, vcc
	v_cndmask_b32_e32 v148, v148, v164, vcc
	;; [unrolled: 1-line block ×5, first 2 shown]
	s_cbranch_scc1 .LBB72_106
.LBB72_107:
	s_waitcnt lgkmcnt(0)
	v_cmp_eq_f64_e32 vcc, 0, v[148:149]
	v_cmp_eq_f64_e64 s[0:1], 0, v[150:151]
	s_and_b64 s[0:1], vcc, s[0:1]
	s_and_saveexec_b64 s[16:17], s[0:1]
	s_xor_b64 s[0:1], exec, s[16:17]
; %bb.108:
	v_cmp_ne_u32_e32 vcc, 0, v162
	s_nop 1
	v_cndmask_b32_e32 v162, 6, v162, vcc
; %bb.109:
	s_andn2_saveexec_b64 s[0:1], s[0:1]
	s_cbranch_execz .LBB72_115
; %bb.110:
	v_cmp_ngt_f64_e64 s[16:17], |v[148:149]|, |v[150:151]|
	s_and_saveexec_b64 s[18:19], s[16:17]
	s_xor_b64 s[16:17], exec, s[18:19]
	s_cbranch_execz .LBB72_112
; %bb.111:
	v_div_scale_f64 v[164:165], s[18:19], v[150:151], v[150:151], v[148:149]
	v_rcp_f64_e32 v[166:167], v[164:165]
	v_div_scale_f64 v[168:169], vcc, v[148:149], v[150:151], v[148:149]
	v_fma_f64 v[170:171], -v[164:165], v[166:167], 1.0
	v_fmac_f64_e32 v[166:167], v[166:167], v[170:171]
	v_fma_f64 v[170:171], -v[164:165], v[166:167], 1.0
	v_fmac_f64_e32 v[166:167], v[166:167], v[170:171]
	v_mul_f64 v[170:171], v[168:169], v[166:167]
	v_fma_f64 v[164:165], -v[164:165], v[170:171], v[168:169]
	v_div_fmas_f64 v[164:165], v[164:165], v[166:167], v[170:171]
	v_div_fixup_f64 v[164:165], v[164:165], v[150:151], v[148:149]
	v_fmac_f64_e32 v[150:151], v[148:149], v[164:165]
	v_div_scale_f64 v[148:149], s[18:19], v[150:151], v[150:151], 1.0
	v_rcp_f64_e32 v[166:167], v[148:149]
	s_nop 0
	v_fma_f64 v[168:169], -v[148:149], v[166:167], 1.0
	v_fmac_f64_e32 v[166:167], v[166:167], v[168:169]
	v_fma_f64 v[168:169], -v[148:149], v[166:167], 1.0
	v_fmac_f64_e32 v[166:167], v[166:167], v[168:169]
	v_div_scale_f64 v[168:169], vcc, 1.0, v[150:151], 1.0
	v_mul_f64 v[170:171], v[168:169], v[166:167]
	v_fma_f64 v[148:149], -v[148:149], v[170:171], v[168:169]
	s_nop 1
	v_div_fmas_f64 v[148:149], v[148:149], v[166:167], v[170:171]
	v_div_fixup_f64 v[150:151], v[148:149], v[150:151], 1.0
	v_mul_f64 v[148:149], v[164:165], v[150:151]
	v_xor_b32_e32 v151, 0x80000000, v151
.LBB72_112:
	s_andn2_saveexec_b64 s[16:17], s[16:17]
	s_cbranch_execz .LBB72_114
; %bb.113:
	v_div_scale_f64 v[164:165], s[18:19], v[148:149], v[148:149], v[150:151]
	v_rcp_f64_e32 v[166:167], v[164:165]
	v_div_scale_f64 v[168:169], vcc, v[150:151], v[148:149], v[150:151]
	v_fma_f64 v[170:171], -v[164:165], v[166:167], 1.0
	v_fmac_f64_e32 v[166:167], v[166:167], v[170:171]
	v_fma_f64 v[170:171], -v[164:165], v[166:167], 1.0
	v_fmac_f64_e32 v[166:167], v[166:167], v[170:171]
	v_mul_f64 v[170:171], v[168:169], v[166:167]
	v_fma_f64 v[164:165], -v[164:165], v[170:171], v[168:169]
	v_div_fmas_f64 v[164:165], v[164:165], v[166:167], v[170:171]
	v_div_fixup_f64 v[164:165], v[164:165], v[148:149], v[150:151]
	v_fmac_f64_e32 v[148:149], v[150:151], v[164:165]
	v_div_scale_f64 v[150:151], s[18:19], v[148:149], v[148:149], 1.0
	v_rcp_f64_e32 v[166:167], v[150:151]
	s_nop 0
	v_fma_f64 v[168:169], -v[150:151], v[166:167], 1.0
	v_fmac_f64_e32 v[166:167], v[166:167], v[168:169]
	v_fma_f64 v[168:169], -v[150:151], v[166:167], 1.0
	v_fmac_f64_e32 v[166:167], v[166:167], v[168:169]
	v_div_scale_f64 v[168:169], vcc, 1.0, v[148:149], 1.0
	v_mul_f64 v[170:171], v[168:169], v[166:167]
	v_fma_f64 v[150:151], -v[150:151], v[170:171], v[168:169]
	s_nop 1
	v_div_fmas_f64 v[150:151], v[150:151], v[166:167], v[170:171]
	v_div_fixup_f64 v[148:149], v[150:151], v[148:149], 1.0
	v_mul_f64 v[150:151], v[164:165], -v[148:149]
.LBB72_114:
	s_or_b64 exec, exec, s[16:17]
.LBB72_115:
	s_or_b64 exec, exec, s[0:1]
	v_cmp_ne_u32_e32 vcc, v161, v158
	s_and_saveexec_b64 s[0:1], vcc
	s_xor_b64 s[0:1], exec, s[0:1]
	s_cbranch_execz .LBB72_121
; %bb.116:
	v_cmp_eq_u32_e32 vcc, 5, v161
	s_and_saveexec_b64 s[16:17], vcc
	s_cbranch_execz .LBB72_120
; %bb.117:
	v_cmp_ne_u32_e32 vcc, 5, v158
	s_xor_b64 s[18:19], s[14:15], -1
	s_and_b64 s[22:23], s[18:19], vcc
	s_and_saveexec_b64 s[18:19], s[22:23]
	s_cbranch_execz .LBB72_119
; %bb.118:
	v_ashrrev_i32_e32 v159, 31, v158
	v_lshl_add_u64 v[164:165], v[158:159], 2, v[156:157]
	global_load_dword v159, v[164:165], off
	global_load_dword v161, v[156:157], off offset:20
	s_waitcnt vmcnt(1)
	global_store_dword v[156:157], v159, off offset:20
	s_waitcnt vmcnt(1)
	global_store_dword v[164:165], v161, off
.LBB72_119:
	s_or_b64 exec, exec, s[18:19]
	v_mov_b32_e32 v161, v158
	v_mov_b32_e32 v163, v158
.LBB72_120:
	s_or_b64 exec, exec, s[16:17]
.LBB72_121:
	s_andn2_saveexec_b64 s[0:1], s[0:1]
	s_cbranch_execz .LBB72_123
; %bb.122:
	v_mov_b32_e32 v161, 5
	s_waitcnt vmcnt(30)
	ds_write2_b64 v160, v[124:125], v[126:127] offset0:12 offset1:13
	s_waitcnt vmcnt(29)
	ds_write2_b64 v160, v[120:121], v[122:123] offset0:14 offset1:15
	;; [unrolled: 2-line block ×31, first 2 shown]
.LBB72_123:
	s_or_b64 exec, exec, s[0:1]
	v_cmp_lt_i32_e32 vcc, 5, v161
	s_waitcnt lgkmcnt(0)
	s_barrier
	s_and_saveexec_b64 s[0:1], vcc
	s_cbranch_execz .LBB72_125
; %bb.124:
	ds_read2_b64 v[164:167], v160 offset0:12 offset1:13
	v_mul_f64 v[158:159], v[150:151], v[130:131]
	v_mul_f64 v[130:131], v[148:149], v[130:131]
	v_fmac_f64_e32 v[130:131], v[150:151], v[128:129]
	v_fma_f64 v[158:159], v[148:149], v[128:129], -v[158:159]
	ds_read2_b64 v[148:151], v160 offset0:14 offset1:15
	s_waitcnt lgkmcnt(1)
	v_mul_f64 v[128:129], v[166:167], v[130:131]
	v_fma_f64 v[128:129], v[164:165], v[158:159], -v[128:129]
	v_mul_f64 v[164:165], v[164:165], v[130:131]
	v_fmac_f64_e32 v[164:165], v[166:167], v[158:159]
	s_waitcnt vmcnt(30)
	v_add_f64 v[126:127], v[126:127], -v[164:165]
	ds_read2_b64 v[164:167], v160 offset0:16 offset1:17
	v_add_f64 v[124:125], v[124:125], -v[128:129]
	s_waitcnt lgkmcnt(1)
	v_mul_f64 v[128:129], v[150:151], v[130:131]
	v_fma_f64 v[128:129], v[148:149], v[158:159], -v[128:129]
	v_mul_f64 v[148:149], v[148:149], v[130:131]
	v_fmac_f64_e32 v[148:149], v[150:151], v[158:159]
	s_waitcnt vmcnt(29)
	v_add_f64 v[120:121], v[120:121], -v[128:129]
	v_add_f64 v[122:123], v[122:123], -v[148:149]
	ds_read2_b64 v[148:151], v160 offset0:18 offset1:19
	s_waitcnt lgkmcnt(1)
	v_mul_f64 v[128:129], v[166:167], v[130:131]
	v_fma_f64 v[128:129], v[164:165], v[158:159], -v[128:129]
	v_mul_f64 v[164:165], v[164:165], v[130:131]
	v_fmac_f64_e32 v[164:165], v[166:167], v[158:159]
	s_waitcnt vmcnt(28)
	v_add_f64 v[118:119], v[118:119], -v[164:165]
	ds_read2_b64 v[164:167], v160 offset0:20 offset1:21
	v_add_f64 v[116:117], v[116:117], -v[128:129]
	s_waitcnt lgkmcnt(1)
	v_mul_f64 v[128:129], v[150:151], v[130:131]
	v_fma_f64 v[128:129], v[148:149], v[158:159], -v[128:129]
	v_mul_f64 v[148:149], v[148:149], v[130:131]
	v_fmac_f64_e32 v[148:149], v[150:151], v[158:159]
	s_waitcnt vmcnt(27)
	v_add_f64 v[112:113], v[112:113], -v[128:129]
	v_add_f64 v[114:115], v[114:115], -v[148:149]
	;; [unrolled: 18-line block ×15, first 2 shown]
	s_waitcnt lgkmcnt(0)
	v_mul_f64 v[128:129], v[166:167], v[130:131]
	v_mul_f64 v[148:149], v[164:165], v[130:131]
	v_fma_f64 v[128:129], v[164:165], v[158:159], -v[128:129]
	v_fmac_f64_e32 v[148:149], v[166:167], v[158:159]
	s_waitcnt vmcnt(0)
	v_add_f64 v[144:145], v[144:145], -v[128:129]
	v_add_f64 v[146:147], v[146:147], -v[148:149]
	v_mov_b64_e32 v[128:129], v[158:159]
.LBB72_125:
	s_or_b64 exec, exec, s[0:1]
	v_lshl_add_u32 v148, v161, 4, v160
	s_barrier
	s_waitcnt vmcnt(30)
	ds_write2_b64 v148, v[124:125], v[126:127] offset1:1
	s_waitcnt lgkmcnt(0)
	s_barrier
	ds_read2_b64 v[148:151], v160 offset0:12 offset1:13
	s_cmp_lt_i32 s20, 8
	v_mov_b32_e32 v158, 6
	s_cbranch_scc1 .LBB72_128
; %bb.126:
	v_add_u32_e32 v159, 0x70, v160
	s_mov_b32 s16, 7
	v_mov_b32_e32 v158, 6
.LBB72_127:                             ; =>This Inner Loop Header: Depth=1
	ds_read2_b64 v[164:167], v159 offset1:1
	s_waitcnt lgkmcnt(1)
	v_xor_b32_e32 v169, 0x80000000, v149
	v_xor_b32_e32 v171, 0x80000000, v151
	v_cmp_gt_f64_e32 vcc, 0, v[150:151]
	v_cmp_gt_f64_e64 s[0:1], 0, v[148:149]
	v_mov_b32_e32 v168, v148
	v_mov_b32_e32 v170, v150
	v_cndmask_b32_e64 v169, v149, v169, s[0:1]
	v_cndmask_b32_e32 v171, v151, v171, vcc
	v_add_f64 v[168:169], v[168:169], v[170:171]
	s_waitcnt lgkmcnt(0)
	v_xor_b32_e32 v171, 0x80000000, v165
	v_xor_b32_e32 v173, 0x80000000, v167
	v_cmp_gt_f64_e32 vcc, 0, v[166:167]
	v_cmp_gt_f64_e64 s[0:1], 0, v[164:165]
	v_mov_b32_e32 v170, v164
	v_mov_b32_e32 v172, v166
	v_cndmask_b32_e64 v171, v165, v171, s[0:1]
	v_cndmask_b32_e32 v173, v167, v173, vcc
	v_add_f64 v[170:171], v[170:171], v[172:173]
	v_mov_b32_e32 v174, s16
	s_add_i32 s16, s16, 1
	v_cmp_lt_f64_e32 vcc, v[168:169], v[170:171]
	v_add_u32_e32 v159, 16, v159
	s_cmp_lg_u32 s20, s16
	v_cndmask_b32_e32 v149, v149, v165, vcc
	v_cndmask_b32_e32 v148, v148, v164, vcc
	v_cndmask_b32_e32 v151, v151, v167, vcc
	v_cndmask_b32_e32 v150, v150, v166, vcc
	v_cndmask_b32_e32 v158, v158, v174, vcc
	s_cbranch_scc1 .LBB72_127
.LBB72_128:
	s_waitcnt lgkmcnt(0)
	v_cmp_eq_f64_e32 vcc, 0, v[148:149]
	v_cmp_eq_f64_e64 s[0:1], 0, v[150:151]
	s_and_b64 s[0:1], vcc, s[0:1]
	s_and_saveexec_b64 s[16:17], s[0:1]
	s_xor_b64 s[0:1], exec, s[16:17]
; %bb.129:
	v_cmp_ne_u32_e32 vcc, 0, v162
	s_nop 1
	v_cndmask_b32_e32 v162, 7, v162, vcc
; %bb.130:
	s_andn2_saveexec_b64 s[0:1], s[0:1]
	s_cbranch_execz .LBB72_136
; %bb.131:
	v_cmp_ngt_f64_e64 s[16:17], |v[148:149]|, |v[150:151]|
	s_and_saveexec_b64 s[18:19], s[16:17]
	s_xor_b64 s[16:17], exec, s[18:19]
	s_cbranch_execz .LBB72_133
; %bb.132:
	v_div_scale_f64 v[164:165], s[18:19], v[150:151], v[150:151], v[148:149]
	v_rcp_f64_e32 v[166:167], v[164:165]
	v_div_scale_f64 v[168:169], vcc, v[148:149], v[150:151], v[148:149]
	v_fma_f64 v[170:171], -v[164:165], v[166:167], 1.0
	v_fmac_f64_e32 v[166:167], v[166:167], v[170:171]
	v_fma_f64 v[170:171], -v[164:165], v[166:167], 1.0
	v_fmac_f64_e32 v[166:167], v[166:167], v[170:171]
	v_mul_f64 v[170:171], v[168:169], v[166:167]
	v_fma_f64 v[164:165], -v[164:165], v[170:171], v[168:169]
	v_div_fmas_f64 v[164:165], v[164:165], v[166:167], v[170:171]
	v_div_fixup_f64 v[164:165], v[164:165], v[150:151], v[148:149]
	v_fmac_f64_e32 v[150:151], v[148:149], v[164:165]
	v_div_scale_f64 v[148:149], s[18:19], v[150:151], v[150:151], 1.0
	v_rcp_f64_e32 v[166:167], v[148:149]
	s_nop 0
	v_fma_f64 v[168:169], -v[148:149], v[166:167], 1.0
	v_fmac_f64_e32 v[166:167], v[166:167], v[168:169]
	v_fma_f64 v[168:169], -v[148:149], v[166:167], 1.0
	v_fmac_f64_e32 v[166:167], v[166:167], v[168:169]
	v_div_scale_f64 v[168:169], vcc, 1.0, v[150:151], 1.0
	v_mul_f64 v[170:171], v[168:169], v[166:167]
	v_fma_f64 v[148:149], -v[148:149], v[170:171], v[168:169]
	s_nop 1
	v_div_fmas_f64 v[148:149], v[148:149], v[166:167], v[170:171]
	v_div_fixup_f64 v[150:151], v[148:149], v[150:151], 1.0
	v_mul_f64 v[148:149], v[164:165], v[150:151]
	v_xor_b32_e32 v151, 0x80000000, v151
.LBB72_133:
	s_andn2_saveexec_b64 s[16:17], s[16:17]
	s_cbranch_execz .LBB72_135
; %bb.134:
	v_div_scale_f64 v[164:165], s[18:19], v[148:149], v[148:149], v[150:151]
	v_rcp_f64_e32 v[166:167], v[164:165]
	v_div_scale_f64 v[168:169], vcc, v[150:151], v[148:149], v[150:151]
	v_fma_f64 v[170:171], -v[164:165], v[166:167], 1.0
	v_fmac_f64_e32 v[166:167], v[166:167], v[170:171]
	v_fma_f64 v[170:171], -v[164:165], v[166:167], 1.0
	v_fmac_f64_e32 v[166:167], v[166:167], v[170:171]
	v_mul_f64 v[170:171], v[168:169], v[166:167]
	v_fma_f64 v[164:165], -v[164:165], v[170:171], v[168:169]
	v_div_fmas_f64 v[164:165], v[164:165], v[166:167], v[170:171]
	v_div_fixup_f64 v[164:165], v[164:165], v[148:149], v[150:151]
	v_fmac_f64_e32 v[148:149], v[150:151], v[164:165]
	v_div_scale_f64 v[150:151], s[18:19], v[148:149], v[148:149], 1.0
	v_rcp_f64_e32 v[166:167], v[150:151]
	s_nop 0
	v_fma_f64 v[168:169], -v[150:151], v[166:167], 1.0
	v_fmac_f64_e32 v[166:167], v[166:167], v[168:169]
	v_fma_f64 v[168:169], -v[150:151], v[166:167], 1.0
	v_fmac_f64_e32 v[166:167], v[166:167], v[168:169]
	v_div_scale_f64 v[168:169], vcc, 1.0, v[148:149], 1.0
	v_mul_f64 v[170:171], v[168:169], v[166:167]
	v_fma_f64 v[150:151], -v[150:151], v[170:171], v[168:169]
	s_nop 1
	v_div_fmas_f64 v[150:151], v[150:151], v[166:167], v[170:171]
	v_div_fixup_f64 v[148:149], v[150:151], v[148:149], 1.0
	v_mul_f64 v[150:151], v[164:165], -v[148:149]
.LBB72_135:
	s_or_b64 exec, exec, s[16:17]
.LBB72_136:
	s_or_b64 exec, exec, s[0:1]
	v_cmp_ne_u32_e32 vcc, v161, v158
	s_and_saveexec_b64 s[0:1], vcc
	s_xor_b64 s[0:1], exec, s[0:1]
	s_cbranch_execz .LBB72_142
; %bb.137:
	v_cmp_eq_u32_e32 vcc, 6, v161
	s_and_saveexec_b64 s[16:17], vcc
	s_cbranch_execz .LBB72_141
; %bb.138:
	v_cmp_ne_u32_e32 vcc, 6, v158
	s_xor_b64 s[18:19], s[14:15], -1
	s_and_b64 s[22:23], s[18:19], vcc
	s_and_saveexec_b64 s[18:19], s[22:23]
	s_cbranch_execz .LBB72_140
; %bb.139:
	v_ashrrev_i32_e32 v159, 31, v158
	v_lshl_add_u64 v[164:165], v[158:159], 2, v[156:157]
	global_load_dword v159, v[164:165], off
	global_load_dword v161, v[156:157], off offset:24
	s_waitcnt vmcnt(1)
	global_store_dword v[156:157], v159, off offset:24
	s_waitcnt vmcnt(1)
	global_store_dword v[164:165], v161, off
.LBB72_140:
	s_or_b64 exec, exec, s[18:19]
	v_mov_b32_e32 v161, v158
	v_mov_b32_e32 v163, v158
.LBB72_141:
	s_or_b64 exec, exec, s[16:17]
.LBB72_142:
	s_andn2_saveexec_b64 s[0:1], s[0:1]
	s_cbranch_execz .LBB72_144
; %bb.143:
	v_mov_b32_e32 v161, 6
	s_waitcnt vmcnt(29)
	ds_write2_b64 v160, v[120:121], v[122:123] offset0:14 offset1:15
	s_waitcnt vmcnt(28)
	ds_write2_b64 v160, v[116:117], v[118:119] offset0:16 offset1:17
	;; [unrolled: 2-line block ×30, first 2 shown]
.LBB72_144:
	s_or_b64 exec, exec, s[0:1]
	v_cmp_lt_i32_e32 vcc, 6, v161
	s_waitcnt lgkmcnt(0)
	s_barrier
	s_and_saveexec_b64 s[0:1], vcc
	s_cbranch_execz .LBB72_146
; %bb.145:
	ds_read2_b64 v[164:167], v160 offset0:14 offset1:15
	v_mul_f64 v[158:159], v[150:151], v[126:127]
	v_mul_f64 v[126:127], v[148:149], v[126:127]
	v_fma_f64 v[158:159], v[148:149], v[124:125], -v[158:159]
	v_fmac_f64_e32 v[126:127], v[150:151], v[124:125]
	ds_read2_b64 v[148:151], v160 offset0:16 offset1:17
	s_waitcnt lgkmcnt(1)
	v_mul_f64 v[124:125], v[166:167], v[126:127]
	v_fma_f64 v[124:125], v[164:165], v[158:159], -v[124:125]
	v_mul_f64 v[164:165], v[164:165], v[126:127]
	v_fmac_f64_e32 v[164:165], v[166:167], v[158:159]
	s_waitcnt vmcnt(29)
	v_add_f64 v[120:121], v[120:121], -v[124:125]
	s_waitcnt lgkmcnt(0)
	v_mul_f64 v[124:125], v[150:151], v[126:127]
	v_add_f64 v[122:123], v[122:123], -v[164:165]
	v_fma_f64 v[124:125], v[148:149], v[158:159], -v[124:125]
	v_mul_f64 v[148:149], v[148:149], v[126:127]
	ds_read2_b64 v[164:167], v160 offset0:18 offset1:19
	v_fmac_f64_e32 v[148:149], v[150:151], v[158:159]
	s_waitcnt vmcnt(28)
	v_add_f64 v[118:119], v[118:119], -v[148:149]
	ds_read2_b64 v[148:151], v160 offset0:20 offset1:21
	v_add_f64 v[116:117], v[116:117], -v[124:125]
	s_waitcnt lgkmcnt(1)
	v_mul_f64 v[124:125], v[166:167], v[126:127]
	v_fma_f64 v[124:125], v[164:165], v[158:159], -v[124:125]
	v_mul_f64 v[164:165], v[164:165], v[126:127]
	v_fmac_f64_e32 v[164:165], v[166:167], v[158:159]
	s_waitcnt vmcnt(27)
	v_add_f64 v[112:113], v[112:113], -v[124:125]
	s_waitcnt lgkmcnt(0)
	v_mul_f64 v[124:125], v[150:151], v[126:127]
	v_add_f64 v[114:115], v[114:115], -v[164:165]
	v_fma_f64 v[124:125], v[148:149], v[158:159], -v[124:125]
	v_mul_f64 v[148:149], v[148:149], v[126:127]
	ds_read2_b64 v[164:167], v160 offset0:22 offset1:23
	v_fmac_f64_e32 v[148:149], v[150:151], v[158:159]
	s_waitcnt vmcnt(26)
	v_add_f64 v[110:111], v[110:111], -v[148:149]
	ds_read2_b64 v[148:151], v160 offset0:24 offset1:25
	v_add_f64 v[108:109], v[108:109], -v[124:125]
	;; [unrolled: 18-line block ×14, first 2 shown]
	s_waitcnt lgkmcnt(1)
	v_mul_f64 v[124:125], v[166:167], v[126:127]
	v_fma_f64 v[124:125], v[164:165], v[158:159], -v[124:125]
	s_waitcnt vmcnt(1)
	v_add_f64 v[0:1], v[0:1], -v[124:125]
	s_waitcnt lgkmcnt(0)
	v_mul_f64 v[124:125], v[150:151], v[126:127]
	v_mul_f64 v[164:165], v[164:165], v[126:127]
	v_fma_f64 v[124:125], v[148:149], v[158:159], -v[124:125]
	v_mul_f64 v[148:149], v[148:149], v[126:127]
	v_fmac_f64_e32 v[164:165], v[166:167], v[158:159]
	v_fmac_f64_e32 v[148:149], v[150:151], v[158:159]
	v_add_f64 v[2:3], v[2:3], -v[164:165]
	s_waitcnt vmcnt(0)
	v_add_f64 v[144:145], v[144:145], -v[124:125]
	v_add_f64 v[146:147], v[146:147], -v[148:149]
	v_mov_b64_e32 v[124:125], v[158:159]
.LBB72_146:
	s_or_b64 exec, exec, s[0:1]
	v_lshl_add_u32 v148, v161, 4, v160
	s_barrier
	s_waitcnt vmcnt(29)
	ds_write2_b64 v148, v[120:121], v[122:123] offset1:1
	s_waitcnt lgkmcnt(0)
	s_barrier
	ds_read2_b64 v[148:151], v160 offset0:14 offset1:15
	s_cmp_lt_i32 s20, 9
	v_mov_b32_e32 v158, 7
	s_cbranch_scc1 .LBB72_149
; %bb.147:
	v_add_u32_e32 v159, 0x80, v160
	s_mov_b32 s16, 8
	v_mov_b32_e32 v158, 7
.LBB72_148:                             ; =>This Inner Loop Header: Depth=1
	ds_read2_b64 v[164:167], v159 offset1:1
	s_waitcnt lgkmcnt(1)
	v_xor_b32_e32 v169, 0x80000000, v149
	v_xor_b32_e32 v171, 0x80000000, v151
	v_cmp_gt_f64_e32 vcc, 0, v[150:151]
	v_cmp_gt_f64_e64 s[0:1], 0, v[148:149]
	v_mov_b32_e32 v168, v148
	v_mov_b32_e32 v170, v150
	v_cndmask_b32_e64 v169, v149, v169, s[0:1]
	v_cndmask_b32_e32 v171, v151, v171, vcc
	v_add_f64 v[168:169], v[168:169], v[170:171]
	s_waitcnt lgkmcnt(0)
	v_xor_b32_e32 v171, 0x80000000, v165
	v_xor_b32_e32 v173, 0x80000000, v167
	v_cmp_gt_f64_e32 vcc, 0, v[166:167]
	v_cmp_gt_f64_e64 s[0:1], 0, v[164:165]
	v_mov_b32_e32 v170, v164
	v_mov_b32_e32 v172, v166
	v_cndmask_b32_e64 v171, v165, v171, s[0:1]
	v_cndmask_b32_e32 v173, v167, v173, vcc
	v_add_f64 v[170:171], v[170:171], v[172:173]
	v_mov_b32_e32 v174, s16
	s_add_i32 s16, s16, 1
	v_cmp_lt_f64_e32 vcc, v[168:169], v[170:171]
	v_add_u32_e32 v159, 16, v159
	s_cmp_lg_u32 s20, s16
	v_cndmask_b32_e32 v149, v149, v165, vcc
	v_cndmask_b32_e32 v148, v148, v164, vcc
	;; [unrolled: 1-line block ×5, first 2 shown]
	s_cbranch_scc1 .LBB72_148
.LBB72_149:
	s_waitcnt lgkmcnt(0)
	v_cmp_eq_f64_e32 vcc, 0, v[148:149]
	v_cmp_eq_f64_e64 s[0:1], 0, v[150:151]
	s_and_b64 s[0:1], vcc, s[0:1]
	s_and_saveexec_b64 s[16:17], s[0:1]
	s_xor_b64 s[0:1], exec, s[16:17]
; %bb.150:
	v_cmp_ne_u32_e32 vcc, 0, v162
	s_nop 1
	v_cndmask_b32_e32 v162, 8, v162, vcc
; %bb.151:
	s_andn2_saveexec_b64 s[0:1], s[0:1]
	s_cbranch_execz .LBB72_157
; %bb.152:
	v_cmp_ngt_f64_e64 s[16:17], |v[148:149]|, |v[150:151]|
	s_and_saveexec_b64 s[18:19], s[16:17]
	s_xor_b64 s[16:17], exec, s[18:19]
	s_cbranch_execz .LBB72_154
; %bb.153:
	v_div_scale_f64 v[164:165], s[18:19], v[150:151], v[150:151], v[148:149]
	v_rcp_f64_e32 v[166:167], v[164:165]
	v_div_scale_f64 v[168:169], vcc, v[148:149], v[150:151], v[148:149]
	v_fma_f64 v[170:171], -v[164:165], v[166:167], 1.0
	v_fmac_f64_e32 v[166:167], v[166:167], v[170:171]
	v_fma_f64 v[170:171], -v[164:165], v[166:167], 1.0
	v_fmac_f64_e32 v[166:167], v[166:167], v[170:171]
	v_mul_f64 v[170:171], v[168:169], v[166:167]
	v_fma_f64 v[164:165], -v[164:165], v[170:171], v[168:169]
	v_div_fmas_f64 v[164:165], v[164:165], v[166:167], v[170:171]
	v_div_fixup_f64 v[164:165], v[164:165], v[150:151], v[148:149]
	v_fmac_f64_e32 v[150:151], v[148:149], v[164:165]
	v_div_scale_f64 v[148:149], s[18:19], v[150:151], v[150:151], 1.0
	v_rcp_f64_e32 v[166:167], v[148:149]
	s_nop 0
	v_fma_f64 v[168:169], -v[148:149], v[166:167], 1.0
	v_fmac_f64_e32 v[166:167], v[166:167], v[168:169]
	v_fma_f64 v[168:169], -v[148:149], v[166:167], 1.0
	v_fmac_f64_e32 v[166:167], v[166:167], v[168:169]
	v_div_scale_f64 v[168:169], vcc, 1.0, v[150:151], 1.0
	v_mul_f64 v[170:171], v[168:169], v[166:167]
	v_fma_f64 v[148:149], -v[148:149], v[170:171], v[168:169]
	s_nop 1
	v_div_fmas_f64 v[148:149], v[148:149], v[166:167], v[170:171]
	v_div_fixup_f64 v[150:151], v[148:149], v[150:151], 1.0
	v_mul_f64 v[148:149], v[164:165], v[150:151]
	v_xor_b32_e32 v151, 0x80000000, v151
.LBB72_154:
	s_andn2_saveexec_b64 s[16:17], s[16:17]
	s_cbranch_execz .LBB72_156
; %bb.155:
	v_div_scale_f64 v[164:165], s[18:19], v[148:149], v[148:149], v[150:151]
	v_rcp_f64_e32 v[166:167], v[164:165]
	v_div_scale_f64 v[168:169], vcc, v[150:151], v[148:149], v[150:151]
	v_fma_f64 v[170:171], -v[164:165], v[166:167], 1.0
	v_fmac_f64_e32 v[166:167], v[166:167], v[170:171]
	v_fma_f64 v[170:171], -v[164:165], v[166:167], 1.0
	v_fmac_f64_e32 v[166:167], v[166:167], v[170:171]
	v_mul_f64 v[170:171], v[168:169], v[166:167]
	v_fma_f64 v[164:165], -v[164:165], v[170:171], v[168:169]
	v_div_fmas_f64 v[164:165], v[164:165], v[166:167], v[170:171]
	v_div_fixup_f64 v[164:165], v[164:165], v[148:149], v[150:151]
	v_fmac_f64_e32 v[148:149], v[150:151], v[164:165]
	v_div_scale_f64 v[150:151], s[18:19], v[148:149], v[148:149], 1.0
	v_rcp_f64_e32 v[166:167], v[150:151]
	s_nop 0
	v_fma_f64 v[168:169], -v[150:151], v[166:167], 1.0
	v_fmac_f64_e32 v[166:167], v[166:167], v[168:169]
	v_fma_f64 v[168:169], -v[150:151], v[166:167], 1.0
	v_fmac_f64_e32 v[166:167], v[166:167], v[168:169]
	v_div_scale_f64 v[168:169], vcc, 1.0, v[148:149], 1.0
	v_mul_f64 v[170:171], v[168:169], v[166:167]
	v_fma_f64 v[150:151], -v[150:151], v[170:171], v[168:169]
	s_nop 1
	v_div_fmas_f64 v[150:151], v[150:151], v[166:167], v[170:171]
	v_div_fixup_f64 v[148:149], v[150:151], v[148:149], 1.0
	v_mul_f64 v[150:151], v[164:165], -v[148:149]
.LBB72_156:
	s_or_b64 exec, exec, s[16:17]
.LBB72_157:
	s_or_b64 exec, exec, s[0:1]
	v_cmp_ne_u32_e32 vcc, v161, v158
	s_and_saveexec_b64 s[0:1], vcc
	s_xor_b64 s[0:1], exec, s[0:1]
	s_cbranch_execz .LBB72_163
; %bb.158:
	v_cmp_eq_u32_e32 vcc, 7, v161
	s_and_saveexec_b64 s[16:17], vcc
	s_cbranch_execz .LBB72_162
; %bb.159:
	v_cmp_ne_u32_e32 vcc, 7, v158
	s_xor_b64 s[18:19], s[14:15], -1
	s_and_b64 s[22:23], s[18:19], vcc
	s_and_saveexec_b64 s[18:19], s[22:23]
	s_cbranch_execz .LBB72_161
; %bb.160:
	v_ashrrev_i32_e32 v159, 31, v158
	v_lshl_add_u64 v[164:165], v[158:159], 2, v[156:157]
	global_load_dword v159, v[164:165], off
	global_load_dword v161, v[156:157], off offset:28
	s_waitcnt vmcnt(1)
	global_store_dword v[156:157], v159, off offset:28
	s_waitcnt vmcnt(1)
	global_store_dword v[164:165], v161, off
.LBB72_161:
	s_or_b64 exec, exec, s[18:19]
	v_mov_b32_e32 v161, v158
	v_mov_b32_e32 v163, v158
.LBB72_162:
	s_or_b64 exec, exec, s[16:17]
.LBB72_163:
	s_andn2_saveexec_b64 s[0:1], s[0:1]
	s_cbranch_execz .LBB72_165
; %bb.164:
	v_mov_b32_e32 v161, 7
	s_waitcnt vmcnt(28)
	ds_write2_b64 v160, v[116:117], v[118:119] offset0:16 offset1:17
	s_waitcnt vmcnt(27)
	ds_write2_b64 v160, v[112:113], v[114:115] offset0:18 offset1:19
	;; [unrolled: 2-line block ×29, first 2 shown]
.LBB72_165:
	s_or_b64 exec, exec, s[0:1]
	v_cmp_lt_i32_e32 vcc, 7, v161
	s_waitcnt lgkmcnt(0)
	s_barrier
	s_and_saveexec_b64 s[0:1], vcc
	s_cbranch_execz .LBB72_167
; %bb.166:
	ds_read2_b64 v[164:167], v160 offset0:16 offset1:17
	v_mul_f64 v[158:159], v[150:151], v[122:123]
	v_mul_f64 v[122:123], v[148:149], v[122:123]
	v_fmac_f64_e32 v[122:123], v[150:151], v[120:121]
	v_fma_f64 v[158:159], v[148:149], v[120:121], -v[158:159]
	ds_read2_b64 v[148:151], v160 offset0:18 offset1:19
	s_waitcnt lgkmcnt(1)
	v_mul_f64 v[120:121], v[166:167], v[122:123]
	v_fma_f64 v[120:121], v[164:165], v[158:159], -v[120:121]
	v_mul_f64 v[164:165], v[164:165], v[122:123]
	v_fmac_f64_e32 v[164:165], v[166:167], v[158:159]
	s_waitcnt vmcnt(28)
	v_add_f64 v[118:119], v[118:119], -v[164:165]
	ds_read2_b64 v[164:167], v160 offset0:20 offset1:21
	v_add_f64 v[116:117], v[116:117], -v[120:121]
	s_waitcnt lgkmcnt(1)
	v_mul_f64 v[120:121], v[150:151], v[122:123]
	v_fma_f64 v[120:121], v[148:149], v[158:159], -v[120:121]
	v_mul_f64 v[148:149], v[148:149], v[122:123]
	v_fmac_f64_e32 v[148:149], v[150:151], v[158:159]
	s_waitcnt vmcnt(27)
	v_add_f64 v[112:113], v[112:113], -v[120:121]
	v_add_f64 v[114:115], v[114:115], -v[148:149]
	ds_read2_b64 v[148:151], v160 offset0:22 offset1:23
	s_waitcnt lgkmcnt(1)
	v_mul_f64 v[120:121], v[166:167], v[122:123]
	v_fma_f64 v[120:121], v[164:165], v[158:159], -v[120:121]
	v_mul_f64 v[164:165], v[164:165], v[122:123]
	v_fmac_f64_e32 v[164:165], v[166:167], v[158:159]
	s_waitcnt vmcnt(26)
	v_add_f64 v[110:111], v[110:111], -v[164:165]
	ds_read2_b64 v[164:167], v160 offset0:24 offset1:25
	v_add_f64 v[108:109], v[108:109], -v[120:121]
	s_waitcnt lgkmcnt(1)
	v_mul_f64 v[120:121], v[150:151], v[122:123]
	v_fma_f64 v[120:121], v[148:149], v[158:159], -v[120:121]
	v_mul_f64 v[148:149], v[148:149], v[122:123]
	v_fmac_f64_e32 v[148:149], v[150:151], v[158:159]
	s_waitcnt vmcnt(25)
	v_add_f64 v[100:101], v[100:101], -v[120:121]
	v_add_f64 v[102:103], v[102:103], -v[148:149]
	ds_read2_b64 v[148:151], v160 offset0:26 offset1:27
	s_waitcnt lgkmcnt(1)
	v_mul_f64 v[120:121], v[166:167], v[122:123]
	v_fma_f64 v[120:121], v[164:165], v[158:159], -v[120:121]
	v_mul_f64 v[164:165], v[164:165], v[122:123]
	v_fmac_f64_e32 v[164:165], v[166:167], v[158:159]
	s_waitcnt vmcnt(24)
	v_add_f64 v[106:107], v[106:107], -v[164:165]
	ds_read2_b64 v[164:167], v160 offset0:28 offset1:29
	v_add_f64 v[104:105], v[104:105], -v[120:121]
	s_waitcnt lgkmcnt(1)
	v_mul_f64 v[120:121], v[150:151], v[122:123]
	v_fma_f64 v[120:121], v[148:149], v[158:159], -v[120:121]
	v_mul_f64 v[148:149], v[148:149], v[122:123]
	v_fmac_f64_e32 v[148:149], v[150:151], v[158:159]
	s_waitcnt vmcnt(23)
	v_add_f64 v[88:89], v[88:89], -v[120:121]
	v_add_f64 v[90:91], v[90:91], -v[148:149]
	ds_read2_b64 v[148:151], v160 offset0:30 offset1:31
	s_waitcnt lgkmcnt(1)
	v_mul_f64 v[120:121], v[166:167], v[122:123]
	v_fma_f64 v[120:121], v[164:165], v[158:159], -v[120:121]
	v_mul_f64 v[164:165], v[164:165], v[122:123]
	v_fmac_f64_e32 v[164:165], v[166:167], v[158:159]
	s_waitcnt vmcnt(22)
	v_add_f64 v[86:87], v[86:87], -v[164:165]
	ds_read2_b64 v[164:167], v160 offset0:32 offset1:33
	v_add_f64 v[84:85], v[84:85], -v[120:121]
	s_waitcnt lgkmcnt(1)
	v_mul_f64 v[120:121], v[150:151], v[122:123]
	v_fma_f64 v[120:121], v[148:149], v[158:159], -v[120:121]
	v_mul_f64 v[148:149], v[148:149], v[122:123]
	v_fmac_f64_e32 v[148:149], v[150:151], v[158:159]
	s_waitcnt vmcnt(21)
	v_add_f64 v[80:81], v[80:81], -v[120:121]
	v_add_f64 v[82:83], v[82:83], -v[148:149]
	ds_read2_b64 v[148:151], v160 offset0:34 offset1:35
	s_waitcnt lgkmcnt(1)
	v_mul_f64 v[120:121], v[166:167], v[122:123]
	v_fma_f64 v[120:121], v[164:165], v[158:159], -v[120:121]
	v_mul_f64 v[164:165], v[164:165], v[122:123]
	v_fmac_f64_e32 v[164:165], v[166:167], v[158:159]
	s_waitcnt vmcnt(20)
	v_add_f64 v[78:79], v[78:79], -v[164:165]
	ds_read2_b64 v[164:167], v160 offset0:36 offset1:37
	v_add_f64 v[76:77], v[76:77], -v[120:121]
	s_waitcnt lgkmcnt(1)
	v_mul_f64 v[120:121], v[150:151], v[122:123]
	v_fma_f64 v[120:121], v[148:149], v[158:159], -v[120:121]
	v_mul_f64 v[148:149], v[148:149], v[122:123]
	v_fmac_f64_e32 v[148:149], v[150:151], v[158:159]
	s_waitcnt vmcnt(19)
	v_add_f64 v[72:73], v[72:73], -v[120:121]
	v_add_f64 v[74:75], v[74:75], -v[148:149]
	ds_read2_b64 v[148:151], v160 offset0:38 offset1:39
	s_waitcnt lgkmcnt(1)
	v_mul_f64 v[120:121], v[166:167], v[122:123]
	v_fma_f64 v[120:121], v[164:165], v[158:159], -v[120:121]
	v_mul_f64 v[164:165], v[164:165], v[122:123]
	v_fmac_f64_e32 v[164:165], v[166:167], v[158:159]
	s_waitcnt vmcnt(18)
	v_add_f64 v[70:71], v[70:71], -v[164:165]
	ds_read2_b64 v[164:167], v160 offset0:40 offset1:41
	v_add_f64 v[68:69], v[68:69], -v[120:121]
	s_waitcnt lgkmcnt(1)
	v_mul_f64 v[120:121], v[150:151], v[122:123]
	v_fma_f64 v[120:121], v[148:149], v[158:159], -v[120:121]
	v_mul_f64 v[148:149], v[148:149], v[122:123]
	v_fmac_f64_e32 v[148:149], v[150:151], v[158:159]
	s_waitcnt vmcnt(17)
	v_add_f64 v[64:65], v[64:65], -v[120:121]
	v_add_f64 v[66:67], v[66:67], -v[148:149]
	ds_read2_b64 v[148:151], v160 offset0:42 offset1:43
	s_waitcnt lgkmcnt(1)
	v_mul_f64 v[120:121], v[166:167], v[122:123]
	v_fma_f64 v[120:121], v[164:165], v[158:159], -v[120:121]
	v_mul_f64 v[164:165], v[164:165], v[122:123]
	v_fmac_f64_e32 v[164:165], v[166:167], v[158:159]
	s_waitcnt vmcnt(16)
	v_add_f64 v[62:63], v[62:63], -v[164:165]
	ds_read2_b64 v[164:167], v160 offset0:44 offset1:45
	v_add_f64 v[60:61], v[60:61], -v[120:121]
	s_waitcnt lgkmcnt(1)
	v_mul_f64 v[120:121], v[150:151], v[122:123]
	v_fma_f64 v[120:121], v[148:149], v[158:159], -v[120:121]
	v_mul_f64 v[148:149], v[148:149], v[122:123]
	v_fmac_f64_e32 v[148:149], v[150:151], v[158:159]
	s_waitcnt vmcnt(15)
	v_add_f64 v[56:57], v[56:57], -v[120:121]
	v_add_f64 v[58:59], v[58:59], -v[148:149]
	ds_read2_b64 v[148:151], v160 offset0:46 offset1:47
	s_waitcnt lgkmcnt(1)
	v_mul_f64 v[120:121], v[166:167], v[122:123]
	v_fma_f64 v[120:121], v[164:165], v[158:159], -v[120:121]
	v_mul_f64 v[164:165], v[164:165], v[122:123]
	v_fmac_f64_e32 v[164:165], v[166:167], v[158:159]
	s_waitcnt vmcnt(14)
	v_add_f64 v[54:55], v[54:55], -v[164:165]
	ds_read2_b64 v[164:167], v160 offset0:48 offset1:49
	v_add_f64 v[52:53], v[52:53], -v[120:121]
	s_waitcnt lgkmcnt(1)
	v_mul_f64 v[120:121], v[150:151], v[122:123]
	v_fma_f64 v[120:121], v[148:149], v[158:159], -v[120:121]
	v_mul_f64 v[148:149], v[148:149], v[122:123]
	v_fmac_f64_e32 v[148:149], v[150:151], v[158:159]
	s_waitcnt vmcnt(13)
	v_add_f64 v[48:49], v[48:49], -v[120:121]
	v_add_f64 v[50:51], v[50:51], -v[148:149]
	ds_read2_b64 v[148:151], v160 offset0:50 offset1:51
	s_waitcnt lgkmcnt(1)
	v_mul_f64 v[120:121], v[166:167], v[122:123]
	v_fma_f64 v[120:121], v[164:165], v[158:159], -v[120:121]
	v_mul_f64 v[164:165], v[164:165], v[122:123]
	v_fmac_f64_e32 v[164:165], v[166:167], v[158:159]
	s_waitcnt vmcnt(12)
	v_add_f64 v[46:47], v[46:47], -v[164:165]
	ds_read2_b64 v[164:167], v160 offset0:52 offset1:53
	v_add_f64 v[44:45], v[44:45], -v[120:121]
	s_waitcnt lgkmcnt(1)
	v_mul_f64 v[120:121], v[150:151], v[122:123]
	v_fma_f64 v[120:121], v[148:149], v[158:159], -v[120:121]
	v_mul_f64 v[148:149], v[148:149], v[122:123]
	v_fmac_f64_e32 v[148:149], v[150:151], v[158:159]
	s_waitcnt vmcnt(11)
	v_add_f64 v[40:41], v[40:41], -v[120:121]
	v_add_f64 v[42:43], v[42:43], -v[148:149]
	ds_read2_b64 v[148:151], v160 offset0:54 offset1:55
	s_waitcnt lgkmcnt(1)
	v_mul_f64 v[120:121], v[166:167], v[122:123]
	v_fma_f64 v[120:121], v[164:165], v[158:159], -v[120:121]
	v_mul_f64 v[164:165], v[164:165], v[122:123]
	v_fmac_f64_e32 v[164:165], v[166:167], v[158:159]
	s_waitcnt vmcnt(10)
	v_add_f64 v[38:39], v[38:39], -v[164:165]
	ds_read2_b64 v[164:167], v160 offset0:56 offset1:57
	v_add_f64 v[36:37], v[36:37], -v[120:121]
	s_waitcnt lgkmcnt(1)
	v_mul_f64 v[120:121], v[150:151], v[122:123]
	v_fma_f64 v[120:121], v[148:149], v[158:159], -v[120:121]
	v_mul_f64 v[148:149], v[148:149], v[122:123]
	v_fmac_f64_e32 v[148:149], v[150:151], v[158:159]
	s_waitcnt vmcnt(9)
	v_add_f64 v[32:33], v[32:33], -v[120:121]
	v_add_f64 v[34:35], v[34:35], -v[148:149]
	ds_read2_b64 v[148:151], v160 offset0:58 offset1:59
	s_waitcnt lgkmcnt(1)
	v_mul_f64 v[120:121], v[166:167], v[122:123]
	v_fma_f64 v[120:121], v[164:165], v[158:159], -v[120:121]
	v_mul_f64 v[164:165], v[164:165], v[122:123]
	v_fmac_f64_e32 v[164:165], v[166:167], v[158:159]
	s_waitcnt vmcnt(8)
	v_add_f64 v[30:31], v[30:31], -v[164:165]
	ds_read2_b64 v[164:167], v160 offset0:60 offset1:61
	v_add_f64 v[28:29], v[28:29], -v[120:121]
	s_waitcnt lgkmcnt(1)
	v_mul_f64 v[120:121], v[150:151], v[122:123]
	v_fma_f64 v[120:121], v[148:149], v[158:159], -v[120:121]
	v_mul_f64 v[148:149], v[148:149], v[122:123]
	v_fmac_f64_e32 v[148:149], v[150:151], v[158:159]
	s_waitcnt vmcnt(7)
	v_add_f64 v[24:25], v[24:25], -v[120:121]
	v_add_f64 v[26:27], v[26:27], -v[148:149]
	ds_read2_b64 v[148:151], v160 offset0:62 offset1:63
	s_waitcnt lgkmcnt(1)
	v_mul_f64 v[120:121], v[166:167], v[122:123]
	v_fma_f64 v[120:121], v[164:165], v[158:159], -v[120:121]
	v_mul_f64 v[164:165], v[164:165], v[122:123]
	v_fmac_f64_e32 v[164:165], v[166:167], v[158:159]
	s_waitcnt vmcnt(6)
	v_add_f64 v[22:23], v[22:23], -v[164:165]
	ds_read2_b64 v[164:167], v160 offset0:64 offset1:65
	v_add_f64 v[20:21], v[20:21], -v[120:121]
	s_waitcnt lgkmcnt(1)
	v_mul_f64 v[120:121], v[150:151], v[122:123]
	v_fma_f64 v[120:121], v[148:149], v[158:159], -v[120:121]
	v_mul_f64 v[148:149], v[148:149], v[122:123]
	v_fmac_f64_e32 v[148:149], v[150:151], v[158:159]
	s_waitcnt vmcnt(5)
	v_add_f64 v[16:17], v[16:17], -v[120:121]
	v_add_f64 v[18:19], v[18:19], -v[148:149]
	ds_read2_b64 v[148:151], v160 offset0:66 offset1:67
	s_waitcnt lgkmcnt(1)
	v_mul_f64 v[120:121], v[166:167], v[122:123]
	v_fma_f64 v[120:121], v[164:165], v[158:159], -v[120:121]
	v_mul_f64 v[164:165], v[164:165], v[122:123]
	v_fmac_f64_e32 v[164:165], v[166:167], v[158:159]
	s_waitcnt vmcnt(4)
	v_add_f64 v[14:15], v[14:15], -v[164:165]
	ds_read2_b64 v[164:167], v160 offset0:68 offset1:69
	v_add_f64 v[12:13], v[12:13], -v[120:121]
	s_waitcnt lgkmcnt(1)
	v_mul_f64 v[120:121], v[150:151], v[122:123]
	v_fma_f64 v[120:121], v[148:149], v[158:159], -v[120:121]
	v_mul_f64 v[148:149], v[148:149], v[122:123]
	v_fmac_f64_e32 v[148:149], v[150:151], v[158:159]
	s_waitcnt vmcnt(3)
	v_add_f64 v[8:9], v[8:9], -v[120:121]
	v_add_f64 v[10:11], v[10:11], -v[148:149]
	ds_read2_b64 v[148:151], v160 offset0:70 offset1:71
	s_waitcnt lgkmcnt(1)
	v_mul_f64 v[120:121], v[166:167], v[122:123]
	v_fma_f64 v[120:121], v[164:165], v[158:159], -v[120:121]
	v_mul_f64 v[164:165], v[164:165], v[122:123]
	v_fmac_f64_e32 v[164:165], v[166:167], v[158:159]
	s_waitcnt vmcnt(2)
	v_add_f64 v[6:7], v[6:7], -v[164:165]
	ds_read2_b64 v[164:167], v160 offset0:72 offset1:73
	v_add_f64 v[4:5], v[4:5], -v[120:121]
	s_waitcnt lgkmcnt(1)
	v_mul_f64 v[120:121], v[150:151], v[122:123]
	v_fma_f64 v[120:121], v[148:149], v[158:159], -v[120:121]
	v_mul_f64 v[148:149], v[148:149], v[122:123]
	v_fmac_f64_e32 v[148:149], v[150:151], v[158:159]
	s_waitcnt vmcnt(1)
	v_add_f64 v[0:1], v[0:1], -v[120:121]
	v_add_f64 v[2:3], v[2:3], -v[148:149]
	s_waitcnt lgkmcnt(0)
	v_mul_f64 v[120:121], v[166:167], v[122:123]
	v_mul_f64 v[148:149], v[164:165], v[122:123]
	v_fma_f64 v[120:121], v[164:165], v[158:159], -v[120:121]
	v_fmac_f64_e32 v[148:149], v[166:167], v[158:159]
	s_waitcnt vmcnt(0)
	v_add_f64 v[144:145], v[144:145], -v[120:121]
	v_add_f64 v[146:147], v[146:147], -v[148:149]
	v_mov_b64_e32 v[120:121], v[158:159]
.LBB72_167:
	s_or_b64 exec, exec, s[0:1]
	v_lshl_add_u32 v148, v161, 4, v160
	s_barrier
	s_waitcnt vmcnt(28)
	ds_write2_b64 v148, v[116:117], v[118:119] offset1:1
	s_waitcnt lgkmcnt(0)
	s_barrier
	ds_read2_b64 v[148:151], v160 offset0:16 offset1:17
	s_cmp_lt_i32 s20, 10
	v_mov_b32_e32 v158, 8
	s_cbranch_scc1 .LBB72_170
; %bb.168:
	v_add_u32_e32 v159, 0x90, v160
	s_mov_b32 s16, 9
	v_mov_b32_e32 v158, 8
.LBB72_169:                             ; =>This Inner Loop Header: Depth=1
	ds_read2_b64 v[164:167], v159 offset1:1
	s_waitcnt lgkmcnt(1)
	v_xor_b32_e32 v169, 0x80000000, v149
	v_xor_b32_e32 v171, 0x80000000, v151
	v_cmp_gt_f64_e32 vcc, 0, v[150:151]
	v_cmp_gt_f64_e64 s[0:1], 0, v[148:149]
	v_mov_b32_e32 v168, v148
	v_mov_b32_e32 v170, v150
	v_cndmask_b32_e64 v169, v149, v169, s[0:1]
	v_cndmask_b32_e32 v171, v151, v171, vcc
	v_add_f64 v[168:169], v[168:169], v[170:171]
	s_waitcnt lgkmcnt(0)
	v_xor_b32_e32 v171, 0x80000000, v165
	v_xor_b32_e32 v173, 0x80000000, v167
	v_cmp_gt_f64_e32 vcc, 0, v[166:167]
	v_cmp_gt_f64_e64 s[0:1], 0, v[164:165]
	v_mov_b32_e32 v170, v164
	v_mov_b32_e32 v172, v166
	v_cndmask_b32_e64 v171, v165, v171, s[0:1]
	v_cndmask_b32_e32 v173, v167, v173, vcc
	v_add_f64 v[170:171], v[170:171], v[172:173]
	v_mov_b32_e32 v174, s16
	s_add_i32 s16, s16, 1
	v_cmp_lt_f64_e32 vcc, v[168:169], v[170:171]
	v_add_u32_e32 v159, 16, v159
	s_cmp_lg_u32 s20, s16
	v_cndmask_b32_e32 v149, v149, v165, vcc
	v_cndmask_b32_e32 v148, v148, v164, vcc
	;; [unrolled: 1-line block ×5, first 2 shown]
	s_cbranch_scc1 .LBB72_169
.LBB72_170:
	s_waitcnt lgkmcnt(0)
	v_cmp_eq_f64_e32 vcc, 0, v[148:149]
	v_cmp_eq_f64_e64 s[0:1], 0, v[150:151]
	s_and_b64 s[0:1], vcc, s[0:1]
	s_and_saveexec_b64 s[16:17], s[0:1]
	s_xor_b64 s[0:1], exec, s[16:17]
; %bb.171:
	v_cmp_ne_u32_e32 vcc, 0, v162
	s_nop 1
	v_cndmask_b32_e32 v162, 9, v162, vcc
; %bb.172:
	s_andn2_saveexec_b64 s[0:1], s[0:1]
	s_cbranch_execz .LBB72_178
; %bb.173:
	v_cmp_ngt_f64_e64 s[16:17], |v[148:149]|, |v[150:151]|
	s_and_saveexec_b64 s[18:19], s[16:17]
	s_xor_b64 s[16:17], exec, s[18:19]
	s_cbranch_execz .LBB72_175
; %bb.174:
	v_div_scale_f64 v[164:165], s[18:19], v[150:151], v[150:151], v[148:149]
	v_rcp_f64_e32 v[166:167], v[164:165]
	v_div_scale_f64 v[168:169], vcc, v[148:149], v[150:151], v[148:149]
	v_fma_f64 v[170:171], -v[164:165], v[166:167], 1.0
	v_fmac_f64_e32 v[166:167], v[166:167], v[170:171]
	v_fma_f64 v[170:171], -v[164:165], v[166:167], 1.0
	v_fmac_f64_e32 v[166:167], v[166:167], v[170:171]
	v_mul_f64 v[170:171], v[168:169], v[166:167]
	v_fma_f64 v[164:165], -v[164:165], v[170:171], v[168:169]
	v_div_fmas_f64 v[164:165], v[164:165], v[166:167], v[170:171]
	v_div_fixup_f64 v[164:165], v[164:165], v[150:151], v[148:149]
	v_fmac_f64_e32 v[150:151], v[148:149], v[164:165]
	v_div_scale_f64 v[148:149], s[18:19], v[150:151], v[150:151], 1.0
	v_rcp_f64_e32 v[166:167], v[148:149]
	s_nop 0
	v_fma_f64 v[168:169], -v[148:149], v[166:167], 1.0
	v_fmac_f64_e32 v[166:167], v[166:167], v[168:169]
	v_fma_f64 v[168:169], -v[148:149], v[166:167], 1.0
	v_fmac_f64_e32 v[166:167], v[166:167], v[168:169]
	v_div_scale_f64 v[168:169], vcc, 1.0, v[150:151], 1.0
	v_mul_f64 v[170:171], v[168:169], v[166:167]
	v_fma_f64 v[148:149], -v[148:149], v[170:171], v[168:169]
	s_nop 1
	v_div_fmas_f64 v[148:149], v[148:149], v[166:167], v[170:171]
	v_div_fixup_f64 v[150:151], v[148:149], v[150:151], 1.0
	v_mul_f64 v[148:149], v[164:165], v[150:151]
	v_xor_b32_e32 v151, 0x80000000, v151
.LBB72_175:
	s_andn2_saveexec_b64 s[16:17], s[16:17]
	s_cbranch_execz .LBB72_177
; %bb.176:
	v_div_scale_f64 v[164:165], s[18:19], v[148:149], v[148:149], v[150:151]
	v_rcp_f64_e32 v[166:167], v[164:165]
	v_div_scale_f64 v[168:169], vcc, v[150:151], v[148:149], v[150:151]
	v_fma_f64 v[170:171], -v[164:165], v[166:167], 1.0
	v_fmac_f64_e32 v[166:167], v[166:167], v[170:171]
	v_fma_f64 v[170:171], -v[164:165], v[166:167], 1.0
	v_fmac_f64_e32 v[166:167], v[166:167], v[170:171]
	v_mul_f64 v[170:171], v[168:169], v[166:167]
	v_fma_f64 v[164:165], -v[164:165], v[170:171], v[168:169]
	v_div_fmas_f64 v[164:165], v[164:165], v[166:167], v[170:171]
	v_div_fixup_f64 v[164:165], v[164:165], v[148:149], v[150:151]
	v_fmac_f64_e32 v[148:149], v[150:151], v[164:165]
	v_div_scale_f64 v[150:151], s[18:19], v[148:149], v[148:149], 1.0
	v_rcp_f64_e32 v[166:167], v[150:151]
	s_nop 0
	v_fma_f64 v[168:169], -v[150:151], v[166:167], 1.0
	v_fmac_f64_e32 v[166:167], v[166:167], v[168:169]
	v_fma_f64 v[168:169], -v[150:151], v[166:167], 1.0
	v_fmac_f64_e32 v[166:167], v[166:167], v[168:169]
	v_div_scale_f64 v[168:169], vcc, 1.0, v[148:149], 1.0
	v_mul_f64 v[170:171], v[168:169], v[166:167]
	v_fma_f64 v[150:151], -v[150:151], v[170:171], v[168:169]
	s_nop 1
	v_div_fmas_f64 v[150:151], v[150:151], v[166:167], v[170:171]
	v_div_fixup_f64 v[148:149], v[150:151], v[148:149], 1.0
	v_mul_f64 v[150:151], v[164:165], -v[148:149]
.LBB72_177:
	s_or_b64 exec, exec, s[16:17]
.LBB72_178:
	s_or_b64 exec, exec, s[0:1]
	v_cmp_ne_u32_e32 vcc, v161, v158
	s_and_saveexec_b64 s[0:1], vcc
	s_xor_b64 s[0:1], exec, s[0:1]
	s_cbranch_execz .LBB72_184
; %bb.179:
	v_cmp_eq_u32_e32 vcc, 8, v161
	s_and_saveexec_b64 s[16:17], vcc
	s_cbranch_execz .LBB72_183
; %bb.180:
	v_cmp_ne_u32_e32 vcc, 8, v158
	s_xor_b64 s[18:19], s[14:15], -1
	s_and_b64 s[22:23], s[18:19], vcc
	s_and_saveexec_b64 s[18:19], s[22:23]
	s_cbranch_execz .LBB72_182
; %bb.181:
	v_ashrrev_i32_e32 v159, 31, v158
	v_lshl_add_u64 v[164:165], v[158:159], 2, v[156:157]
	global_load_dword v159, v[164:165], off
	global_load_dword v161, v[156:157], off offset:32
	s_waitcnt vmcnt(1)
	global_store_dword v[156:157], v159, off offset:32
	s_waitcnt vmcnt(1)
	global_store_dword v[164:165], v161, off
.LBB72_182:
	s_or_b64 exec, exec, s[18:19]
	v_mov_b32_e32 v161, v158
	v_mov_b32_e32 v163, v158
.LBB72_183:
	s_or_b64 exec, exec, s[16:17]
.LBB72_184:
	s_andn2_saveexec_b64 s[0:1], s[0:1]
	s_cbranch_execz .LBB72_186
; %bb.185:
	v_mov_b32_e32 v161, 8
	s_waitcnt vmcnt(27)
	ds_write2_b64 v160, v[112:113], v[114:115] offset0:18 offset1:19
	s_waitcnt vmcnt(26)
	ds_write2_b64 v160, v[108:109], v[110:111] offset0:20 offset1:21
	;; [unrolled: 2-line block ×28, first 2 shown]
.LBB72_186:
	s_or_b64 exec, exec, s[0:1]
	v_cmp_lt_i32_e32 vcc, 8, v161
	s_waitcnt lgkmcnt(0)
	s_barrier
	s_and_saveexec_b64 s[0:1], vcc
	s_cbranch_execz .LBB72_188
; %bb.187:
	ds_read2_b64 v[164:167], v160 offset0:18 offset1:19
	v_mul_f64 v[158:159], v[150:151], v[118:119]
	v_mul_f64 v[118:119], v[148:149], v[118:119]
	v_fma_f64 v[158:159], v[148:149], v[116:117], -v[158:159]
	v_fmac_f64_e32 v[118:119], v[150:151], v[116:117]
	ds_read2_b64 v[148:151], v160 offset0:20 offset1:21
	s_waitcnt lgkmcnt(1)
	v_mul_f64 v[116:117], v[166:167], v[118:119]
	v_fma_f64 v[116:117], v[164:165], v[158:159], -v[116:117]
	v_mul_f64 v[164:165], v[164:165], v[118:119]
	v_fmac_f64_e32 v[164:165], v[166:167], v[158:159]
	s_waitcnt vmcnt(27)
	v_add_f64 v[112:113], v[112:113], -v[116:117]
	s_waitcnt lgkmcnt(0)
	v_mul_f64 v[116:117], v[150:151], v[118:119]
	v_add_f64 v[114:115], v[114:115], -v[164:165]
	v_fma_f64 v[116:117], v[148:149], v[158:159], -v[116:117]
	v_mul_f64 v[148:149], v[148:149], v[118:119]
	ds_read2_b64 v[164:167], v160 offset0:22 offset1:23
	v_fmac_f64_e32 v[148:149], v[150:151], v[158:159]
	s_waitcnt vmcnt(26)
	v_add_f64 v[110:111], v[110:111], -v[148:149]
	ds_read2_b64 v[148:151], v160 offset0:24 offset1:25
	v_add_f64 v[108:109], v[108:109], -v[116:117]
	s_waitcnt lgkmcnt(1)
	v_mul_f64 v[116:117], v[166:167], v[118:119]
	v_fma_f64 v[116:117], v[164:165], v[158:159], -v[116:117]
	v_mul_f64 v[164:165], v[164:165], v[118:119]
	v_fmac_f64_e32 v[164:165], v[166:167], v[158:159]
	s_waitcnt vmcnt(25)
	v_add_f64 v[100:101], v[100:101], -v[116:117]
	s_waitcnt lgkmcnt(0)
	v_mul_f64 v[116:117], v[150:151], v[118:119]
	v_add_f64 v[102:103], v[102:103], -v[164:165]
	v_fma_f64 v[116:117], v[148:149], v[158:159], -v[116:117]
	v_mul_f64 v[148:149], v[148:149], v[118:119]
	ds_read2_b64 v[164:167], v160 offset0:26 offset1:27
	v_fmac_f64_e32 v[148:149], v[150:151], v[158:159]
	s_waitcnt vmcnt(24)
	v_add_f64 v[106:107], v[106:107], -v[148:149]
	ds_read2_b64 v[148:151], v160 offset0:28 offset1:29
	v_add_f64 v[104:105], v[104:105], -v[116:117]
	;; [unrolled: 18-line block ×13, first 2 shown]
	s_waitcnt lgkmcnt(1)
	v_mul_f64 v[116:117], v[166:167], v[118:119]
	v_fma_f64 v[116:117], v[164:165], v[158:159], -v[116:117]
	s_waitcnt vmcnt(1)
	v_add_f64 v[0:1], v[0:1], -v[116:117]
	s_waitcnt lgkmcnt(0)
	v_mul_f64 v[116:117], v[150:151], v[118:119]
	v_mul_f64 v[164:165], v[164:165], v[118:119]
	v_fma_f64 v[116:117], v[148:149], v[158:159], -v[116:117]
	v_mul_f64 v[148:149], v[148:149], v[118:119]
	v_fmac_f64_e32 v[164:165], v[166:167], v[158:159]
	v_fmac_f64_e32 v[148:149], v[150:151], v[158:159]
	v_add_f64 v[2:3], v[2:3], -v[164:165]
	s_waitcnt vmcnt(0)
	v_add_f64 v[144:145], v[144:145], -v[116:117]
	v_add_f64 v[146:147], v[146:147], -v[148:149]
	v_mov_b64_e32 v[116:117], v[158:159]
.LBB72_188:
	s_or_b64 exec, exec, s[0:1]
	v_lshl_add_u32 v148, v161, 4, v160
	s_barrier
	s_waitcnt vmcnt(27)
	ds_write2_b64 v148, v[112:113], v[114:115] offset1:1
	s_waitcnt lgkmcnt(0)
	s_barrier
	ds_read2_b64 v[148:151], v160 offset0:18 offset1:19
	s_cmp_lt_i32 s20, 11
	v_mov_b32_e32 v158, 9
	s_cbranch_scc1 .LBB72_191
; %bb.189:
	v_add_u32_e32 v159, 0xa0, v160
	s_mov_b32 s16, 10
	v_mov_b32_e32 v158, 9
.LBB72_190:                             ; =>This Inner Loop Header: Depth=1
	ds_read2_b64 v[164:167], v159 offset1:1
	s_waitcnt lgkmcnt(1)
	v_xor_b32_e32 v169, 0x80000000, v149
	v_xor_b32_e32 v171, 0x80000000, v151
	v_cmp_gt_f64_e32 vcc, 0, v[150:151]
	v_cmp_gt_f64_e64 s[0:1], 0, v[148:149]
	v_mov_b32_e32 v168, v148
	v_mov_b32_e32 v170, v150
	v_cndmask_b32_e64 v169, v149, v169, s[0:1]
	v_cndmask_b32_e32 v171, v151, v171, vcc
	v_add_f64 v[168:169], v[168:169], v[170:171]
	s_waitcnt lgkmcnt(0)
	v_xor_b32_e32 v171, 0x80000000, v165
	v_xor_b32_e32 v173, 0x80000000, v167
	v_cmp_gt_f64_e32 vcc, 0, v[166:167]
	v_cmp_gt_f64_e64 s[0:1], 0, v[164:165]
	v_mov_b32_e32 v170, v164
	v_mov_b32_e32 v172, v166
	v_cndmask_b32_e64 v171, v165, v171, s[0:1]
	v_cndmask_b32_e32 v173, v167, v173, vcc
	v_add_f64 v[170:171], v[170:171], v[172:173]
	v_mov_b32_e32 v174, s16
	s_add_i32 s16, s16, 1
	v_cmp_lt_f64_e32 vcc, v[168:169], v[170:171]
	v_add_u32_e32 v159, 16, v159
	s_cmp_lg_u32 s20, s16
	v_cndmask_b32_e32 v149, v149, v165, vcc
	v_cndmask_b32_e32 v148, v148, v164, vcc
	;; [unrolled: 1-line block ×5, first 2 shown]
	s_cbranch_scc1 .LBB72_190
.LBB72_191:
	s_waitcnt lgkmcnt(0)
	v_cmp_eq_f64_e32 vcc, 0, v[148:149]
	v_cmp_eq_f64_e64 s[0:1], 0, v[150:151]
	s_and_b64 s[0:1], vcc, s[0:1]
	s_and_saveexec_b64 s[16:17], s[0:1]
	s_xor_b64 s[0:1], exec, s[16:17]
; %bb.192:
	v_cmp_ne_u32_e32 vcc, 0, v162
	s_nop 1
	v_cndmask_b32_e32 v162, 10, v162, vcc
; %bb.193:
	s_andn2_saveexec_b64 s[0:1], s[0:1]
	s_cbranch_execz .LBB72_199
; %bb.194:
	v_cmp_ngt_f64_e64 s[16:17], |v[148:149]|, |v[150:151]|
	s_and_saveexec_b64 s[18:19], s[16:17]
	s_xor_b64 s[16:17], exec, s[18:19]
	s_cbranch_execz .LBB72_196
; %bb.195:
	v_div_scale_f64 v[164:165], s[18:19], v[150:151], v[150:151], v[148:149]
	v_rcp_f64_e32 v[166:167], v[164:165]
	v_div_scale_f64 v[168:169], vcc, v[148:149], v[150:151], v[148:149]
	v_fma_f64 v[170:171], -v[164:165], v[166:167], 1.0
	v_fmac_f64_e32 v[166:167], v[166:167], v[170:171]
	v_fma_f64 v[170:171], -v[164:165], v[166:167], 1.0
	v_fmac_f64_e32 v[166:167], v[166:167], v[170:171]
	v_mul_f64 v[170:171], v[168:169], v[166:167]
	v_fma_f64 v[164:165], -v[164:165], v[170:171], v[168:169]
	v_div_fmas_f64 v[164:165], v[164:165], v[166:167], v[170:171]
	v_div_fixup_f64 v[164:165], v[164:165], v[150:151], v[148:149]
	v_fmac_f64_e32 v[150:151], v[148:149], v[164:165]
	v_div_scale_f64 v[148:149], s[18:19], v[150:151], v[150:151], 1.0
	v_rcp_f64_e32 v[166:167], v[148:149]
	s_nop 0
	v_fma_f64 v[168:169], -v[148:149], v[166:167], 1.0
	v_fmac_f64_e32 v[166:167], v[166:167], v[168:169]
	v_fma_f64 v[168:169], -v[148:149], v[166:167], 1.0
	v_fmac_f64_e32 v[166:167], v[166:167], v[168:169]
	v_div_scale_f64 v[168:169], vcc, 1.0, v[150:151], 1.0
	v_mul_f64 v[170:171], v[168:169], v[166:167]
	v_fma_f64 v[148:149], -v[148:149], v[170:171], v[168:169]
	s_nop 1
	v_div_fmas_f64 v[148:149], v[148:149], v[166:167], v[170:171]
	v_div_fixup_f64 v[150:151], v[148:149], v[150:151], 1.0
	v_mul_f64 v[148:149], v[164:165], v[150:151]
	v_xor_b32_e32 v151, 0x80000000, v151
.LBB72_196:
	s_andn2_saveexec_b64 s[16:17], s[16:17]
	s_cbranch_execz .LBB72_198
; %bb.197:
	v_div_scale_f64 v[164:165], s[18:19], v[148:149], v[148:149], v[150:151]
	v_rcp_f64_e32 v[166:167], v[164:165]
	v_div_scale_f64 v[168:169], vcc, v[150:151], v[148:149], v[150:151]
	v_fma_f64 v[170:171], -v[164:165], v[166:167], 1.0
	v_fmac_f64_e32 v[166:167], v[166:167], v[170:171]
	v_fma_f64 v[170:171], -v[164:165], v[166:167], 1.0
	v_fmac_f64_e32 v[166:167], v[166:167], v[170:171]
	v_mul_f64 v[170:171], v[168:169], v[166:167]
	v_fma_f64 v[164:165], -v[164:165], v[170:171], v[168:169]
	v_div_fmas_f64 v[164:165], v[164:165], v[166:167], v[170:171]
	v_div_fixup_f64 v[164:165], v[164:165], v[148:149], v[150:151]
	v_fmac_f64_e32 v[148:149], v[150:151], v[164:165]
	v_div_scale_f64 v[150:151], s[18:19], v[148:149], v[148:149], 1.0
	v_rcp_f64_e32 v[166:167], v[150:151]
	s_nop 0
	v_fma_f64 v[168:169], -v[150:151], v[166:167], 1.0
	v_fmac_f64_e32 v[166:167], v[166:167], v[168:169]
	v_fma_f64 v[168:169], -v[150:151], v[166:167], 1.0
	v_fmac_f64_e32 v[166:167], v[166:167], v[168:169]
	v_div_scale_f64 v[168:169], vcc, 1.0, v[148:149], 1.0
	v_mul_f64 v[170:171], v[168:169], v[166:167]
	v_fma_f64 v[150:151], -v[150:151], v[170:171], v[168:169]
	s_nop 1
	v_div_fmas_f64 v[150:151], v[150:151], v[166:167], v[170:171]
	v_div_fixup_f64 v[148:149], v[150:151], v[148:149], 1.0
	v_mul_f64 v[150:151], v[164:165], -v[148:149]
.LBB72_198:
	s_or_b64 exec, exec, s[16:17]
.LBB72_199:
	s_or_b64 exec, exec, s[0:1]
	v_cmp_ne_u32_e32 vcc, v161, v158
	s_and_saveexec_b64 s[0:1], vcc
	s_xor_b64 s[0:1], exec, s[0:1]
	s_cbranch_execz .LBB72_205
; %bb.200:
	v_cmp_eq_u32_e32 vcc, 9, v161
	s_and_saveexec_b64 s[16:17], vcc
	s_cbranch_execz .LBB72_204
; %bb.201:
	v_cmp_ne_u32_e32 vcc, 9, v158
	s_xor_b64 s[18:19], s[14:15], -1
	s_and_b64 s[22:23], s[18:19], vcc
	s_and_saveexec_b64 s[18:19], s[22:23]
	s_cbranch_execz .LBB72_203
; %bb.202:
	v_ashrrev_i32_e32 v159, 31, v158
	v_lshl_add_u64 v[164:165], v[158:159], 2, v[156:157]
	global_load_dword v159, v[164:165], off
	global_load_dword v161, v[156:157], off offset:36
	s_waitcnt vmcnt(1)
	global_store_dword v[156:157], v159, off offset:36
	s_waitcnt vmcnt(1)
	global_store_dword v[164:165], v161, off
.LBB72_203:
	s_or_b64 exec, exec, s[18:19]
	v_mov_b32_e32 v161, v158
	v_mov_b32_e32 v163, v158
.LBB72_204:
	s_or_b64 exec, exec, s[16:17]
.LBB72_205:
	s_andn2_saveexec_b64 s[0:1], s[0:1]
	s_cbranch_execz .LBB72_207
; %bb.206:
	v_mov_b32_e32 v161, 9
	s_waitcnt vmcnt(26)
	ds_write2_b64 v160, v[108:109], v[110:111] offset0:20 offset1:21
	s_waitcnt vmcnt(25)
	ds_write2_b64 v160, v[100:101], v[102:103] offset0:22 offset1:23
	s_waitcnt vmcnt(24)
	ds_write2_b64 v160, v[104:105], v[106:107] offset0:24 offset1:25
	s_waitcnt vmcnt(23)
	ds_write2_b64 v160, v[88:89], v[90:91] offset0:26 offset1:27
	s_waitcnt vmcnt(22)
	ds_write2_b64 v160, v[84:85], v[86:87] offset0:28 offset1:29
	s_waitcnt vmcnt(21)
	ds_write2_b64 v160, v[80:81], v[82:83] offset0:30 offset1:31
	s_waitcnt vmcnt(20)
	ds_write2_b64 v160, v[76:77], v[78:79] offset0:32 offset1:33
	s_waitcnt vmcnt(19)
	ds_write2_b64 v160, v[72:73], v[74:75] offset0:34 offset1:35
	s_waitcnt vmcnt(18)
	ds_write2_b64 v160, v[68:69], v[70:71] offset0:36 offset1:37
	s_waitcnt vmcnt(17)
	ds_write2_b64 v160, v[64:65], v[66:67] offset0:38 offset1:39
	s_waitcnt vmcnt(16)
	ds_write2_b64 v160, v[60:61], v[62:63] offset0:40 offset1:41
	s_waitcnt vmcnt(15)
	ds_write2_b64 v160, v[56:57], v[58:59] offset0:42 offset1:43
	s_waitcnt vmcnt(14)
	ds_write2_b64 v160, v[52:53], v[54:55] offset0:44 offset1:45
	s_waitcnt vmcnt(13)
	ds_write2_b64 v160, v[48:49], v[50:51] offset0:46 offset1:47
	s_waitcnt vmcnt(12)
	ds_write2_b64 v160, v[44:45], v[46:47] offset0:48 offset1:49
	s_waitcnt vmcnt(11)
	ds_write2_b64 v160, v[40:41], v[42:43] offset0:50 offset1:51
	s_waitcnt vmcnt(10)
	ds_write2_b64 v160, v[36:37], v[38:39] offset0:52 offset1:53
	s_waitcnt vmcnt(9)
	ds_write2_b64 v160, v[32:33], v[34:35] offset0:54 offset1:55
	s_waitcnt vmcnt(8)
	ds_write2_b64 v160, v[28:29], v[30:31] offset0:56 offset1:57
	s_waitcnt vmcnt(7)
	ds_write2_b64 v160, v[24:25], v[26:27] offset0:58 offset1:59
	s_waitcnt vmcnt(6)
	ds_write2_b64 v160, v[20:21], v[22:23] offset0:60 offset1:61
	s_waitcnt vmcnt(5)
	ds_write2_b64 v160, v[16:17], v[18:19] offset0:62 offset1:63
	s_waitcnt vmcnt(4)
	ds_write2_b64 v160, v[12:13], v[14:15] offset0:64 offset1:65
	s_waitcnt vmcnt(3)
	ds_write2_b64 v160, v[8:9], v[10:11] offset0:66 offset1:67
	s_waitcnt vmcnt(2)
	ds_write2_b64 v160, v[4:5], v[6:7] offset0:68 offset1:69
	s_waitcnt vmcnt(1)
	ds_write2_b64 v160, v[0:1], v[2:3] offset0:70 offset1:71
	s_waitcnt vmcnt(0)
	ds_write2_b64 v160, v[144:145], v[146:147] offset0:72 offset1:73
.LBB72_207:
	s_or_b64 exec, exec, s[0:1]
	v_cmp_lt_i32_e32 vcc, 9, v161
	s_waitcnt lgkmcnt(0)
	s_barrier
	s_and_saveexec_b64 s[0:1], vcc
	s_cbranch_execz .LBB72_209
; %bb.208:
	ds_read2_b64 v[164:167], v160 offset0:20 offset1:21
	v_mul_f64 v[158:159], v[150:151], v[114:115]
	v_mul_f64 v[114:115], v[148:149], v[114:115]
	v_fmac_f64_e32 v[114:115], v[150:151], v[112:113]
	v_fma_f64 v[158:159], v[148:149], v[112:113], -v[158:159]
	ds_read2_b64 v[148:151], v160 offset0:22 offset1:23
	s_waitcnt lgkmcnt(1)
	v_mul_f64 v[112:113], v[166:167], v[114:115]
	v_fma_f64 v[112:113], v[164:165], v[158:159], -v[112:113]
	v_mul_f64 v[164:165], v[164:165], v[114:115]
	v_fmac_f64_e32 v[164:165], v[166:167], v[158:159]
	s_waitcnt vmcnt(26)
	v_add_f64 v[110:111], v[110:111], -v[164:165]
	ds_read2_b64 v[164:167], v160 offset0:24 offset1:25
	v_add_f64 v[108:109], v[108:109], -v[112:113]
	s_waitcnt lgkmcnt(1)
	v_mul_f64 v[112:113], v[150:151], v[114:115]
	v_fma_f64 v[112:113], v[148:149], v[158:159], -v[112:113]
	v_mul_f64 v[148:149], v[148:149], v[114:115]
	v_fmac_f64_e32 v[148:149], v[150:151], v[158:159]
	s_waitcnt vmcnt(25)
	v_add_f64 v[100:101], v[100:101], -v[112:113]
	v_add_f64 v[102:103], v[102:103], -v[148:149]
	ds_read2_b64 v[148:151], v160 offset0:26 offset1:27
	s_waitcnt lgkmcnt(1)
	v_mul_f64 v[112:113], v[166:167], v[114:115]
	v_fma_f64 v[112:113], v[164:165], v[158:159], -v[112:113]
	v_mul_f64 v[164:165], v[164:165], v[114:115]
	v_fmac_f64_e32 v[164:165], v[166:167], v[158:159]
	s_waitcnt vmcnt(24)
	v_add_f64 v[106:107], v[106:107], -v[164:165]
	ds_read2_b64 v[164:167], v160 offset0:28 offset1:29
	v_add_f64 v[104:105], v[104:105], -v[112:113]
	s_waitcnt lgkmcnt(1)
	v_mul_f64 v[112:113], v[150:151], v[114:115]
	v_fma_f64 v[112:113], v[148:149], v[158:159], -v[112:113]
	v_mul_f64 v[148:149], v[148:149], v[114:115]
	v_fmac_f64_e32 v[148:149], v[150:151], v[158:159]
	s_waitcnt vmcnt(23)
	v_add_f64 v[88:89], v[88:89], -v[112:113]
	v_add_f64 v[90:91], v[90:91], -v[148:149]
	;; [unrolled: 18-line block ×13, first 2 shown]
	s_waitcnt lgkmcnt(0)
	v_mul_f64 v[112:113], v[166:167], v[114:115]
	v_mul_f64 v[148:149], v[164:165], v[114:115]
	v_fma_f64 v[112:113], v[164:165], v[158:159], -v[112:113]
	v_fmac_f64_e32 v[148:149], v[166:167], v[158:159]
	s_waitcnt vmcnt(0)
	v_add_f64 v[144:145], v[144:145], -v[112:113]
	v_add_f64 v[146:147], v[146:147], -v[148:149]
	v_mov_b64_e32 v[112:113], v[158:159]
.LBB72_209:
	s_or_b64 exec, exec, s[0:1]
	v_lshl_add_u32 v148, v161, 4, v160
	s_barrier
	s_waitcnt vmcnt(26)
	ds_write2_b64 v148, v[108:109], v[110:111] offset1:1
	s_waitcnt lgkmcnt(0)
	s_barrier
	ds_read2_b64 v[148:151], v160 offset0:20 offset1:21
	s_cmp_lt_i32 s20, 12
	v_mov_b32_e32 v158, 10
	s_cbranch_scc1 .LBB72_212
; %bb.210:
	v_add_u32_e32 v159, 0xb0, v160
	s_mov_b32 s16, 11
	v_mov_b32_e32 v158, 10
.LBB72_211:                             ; =>This Inner Loop Header: Depth=1
	ds_read2_b64 v[164:167], v159 offset1:1
	s_waitcnt lgkmcnt(1)
	v_xor_b32_e32 v169, 0x80000000, v149
	v_xor_b32_e32 v171, 0x80000000, v151
	v_cmp_gt_f64_e32 vcc, 0, v[150:151]
	v_cmp_gt_f64_e64 s[0:1], 0, v[148:149]
	v_mov_b32_e32 v168, v148
	v_mov_b32_e32 v170, v150
	v_cndmask_b32_e64 v169, v149, v169, s[0:1]
	v_cndmask_b32_e32 v171, v151, v171, vcc
	v_add_f64 v[168:169], v[168:169], v[170:171]
	s_waitcnt lgkmcnt(0)
	v_xor_b32_e32 v171, 0x80000000, v165
	v_xor_b32_e32 v173, 0x80000000, v167
	v_cmp_gt_f64_e32 vcc, 0, v[166:167]
	v_cmp_gt_f64_e64 s[0:1], 0, v[164:165]
	v_mov_b32_e32 v170, v164
	v_mov_b32_e32 v172, v166
	v_cndmask_b32_e64 v171, v165, v171, s[0:1]
	v_cndmask_b32_e32 v173, v167, v173, vcc
	v_add_f64 v[170:171], v[170:171], v[172:173]
	v_mov_b32_e32 v174, s16
	s_add_i32 s16, s16, 1
	v_cmp_lt_f64_e32 vcc, v[168:169], v[170:171]
	v_add_u32_e32 v159, 16, v159
	s_cmp_lg_u32 s20, s16
	v_cndmask_b32_e32 v149, v149, v165, vcc
	v_cndmask_b32_e32 v148, v148, v164, vcc
	;; [unrolled: 1-line block ×5, first 2 shown]
	s_cbranch_scc1 .LBB72_211
.LBB72_212:
	s_waitcnt lgkmcnt(0)
	v_cmp_eq_f64_e32 vcc, 0, v[148:149]
	v_cmp_eq_f64_e64 s[0:1], 0, v[150:151]
	s_and_b64 s[0:1], vcc, s[0:1]
	s_and_saveexec_b64 s[16:17], s[0:1]
	s_xor_b64 s[0:1], exec, s[16:17]
; %bb.213:
	v_cmp_ne_u32_e32 vcc, 0, v162
	s_nop 1
	v_cndmask_b32_e32 v162, 11, v162, vcc
; %bb.214:
	s_andn2_saveexec_b64 s[0:1], s[0:1]
	s_cbranch_execz .LBB72_220
; %bb.215:
	v_cmp_ngt_f64_e64 s[16:17], |v[148:149]|, |v[150:151]|
	s_and_saveexec_b64 s[18:19], s[16:17]
	s_xor_b64 s[16:17], exec, s[18:19]
	s_cbranch_execz .LBB72_217
; %bb.216:
	v_div_scale_f64 v[164:165], s[18:19], v[150:151], v[150:151], v[148:149]
	v_rcp_f64_e32 v[166:167], v[164:165]
	v_div_scale_f64 v[168:169], vcc, v[148:149], v[150:151], v[148:149]
	v_fma_f64 v[170:171], -v[164:165], v[166:167], 1.0
	v_fmac_f64_e32 v[166:167], v[166:167], v[170:171]
	v_fma_f64 v[170:171], -v[164:165], v[166:167], 1.0
	v_fmac_f64_e32 v[166:167], v[166:167], v[170:171]
	v_mul_f64 v[170:171], v[168:169], v[166:167]
	v_fma_f64 v[164:165], -v[164:165], v[170:171], v[168:169]
	v_div_fmas_f64 v[164:165], v[164:165], v[166:167], v[170:171]
	v_div_fixup_f64 v[164:165], v[164:165], v[150:151], v[148:149]
	v_fmac_f64_e32 v[150:151], v[148:149], v[164:165]
	v_div_scale_f64 v[148:149], s[18:19], v[150:151], v[150:151], 1.0
	v_rcp_f64_e32 v[166:167], v[148:149]
	s_nop 0
	v_fma_f64 v[168:169], -v[148:149], v[166:167], 1.0
	v_fmac_f64_e32 v[166:167], v[166:167], v[168:169]
	v_fma_f64 v[168:169], -v[148:149], v[166:167], 1.0
	v_fmac_f64_e32 v[166:167], v[166:167], v[168:169]
	v_div_scale_f64 v[168:169], vcc, 1.0, v[150:151], 1.0
	v_mul_f64 v[170:171], v[168:169], v[166:167]
	v_fma_f64 v[148:149], -v[148:149], v[170:171], v[168:169]
	s_nop 1
	v_div_fmas_f64 v[148:149], v[148:149], v[166:167], v[170:171]
	v_div_fixup_f64 v[150:151], v[148:149], v[150:151], 1.0
	v_mul_f64 v[148:149], v[164:165], v[150:151]
	v_xor_b32_e32 v151, 0x80000000, v151
.LBB72_217:
	s_andn2_saveexec_b64 s[16:17], s[16:17]
	s_cbranch_execz .LBB72_219
; %bb.218:
	v_div_scale_f64 v[164:165], s[18:19], v[148:149], v[148:149], v[150:151]
	v_rcp_f64_e32 v[166:167], v[164:165]
	v_div_scale_f64 v[168:169], vcc, v[150:151], v[148:149], v[150:151]
	v_fma_f64 v[170:171], -v[164:165], v[166:167], 1.0
	v_fmac_f64_e32 v[166:167], v[166:167], v[170:171]
	v_fma_f64 v[170:171], -v[164:165], v[166:167], 1.0
	v_fmac_f64_e32 v[166:167], v[166:167], v[170:171]
	v_mul_f64 v[170:171], v[168:169], v[166:167]
	v_fma_f64 v[164:165], -v[164:165], v[170:171], v[168:169]
	v_div_fmas_f64 v[164:165], v[164:165], v[166:167], v[170:171]
	v_div_fixup_f64 v[164:165], v[164:165], v[148:149], v[150:151]
	v_fmac_f64_e32 v[148:149], v[150:151], v[164:165]
	v_div_scale_f64 v[150:151], s[18:19], v[148:149], v[148:149], 1.0
	v_rcp_f64_e32 v[166:167], v[150:151]
	s_nop 0
	v_fma_f64 v[168:169], -v[150:151], v[166:167], 1.0
	v_fmac_f64_e32 v[166:167], v[166:167], v[168:169]
	v_fma_f64 v[168:169], -v[150:151], v[166:167], 1.0
	v_fmac_f64_e32 v[166:167], v[166:167], v[168:169]
	v_div_scale_f64 v[168:169], vcc, 1.0, v[148:149], 1.0
	v_mul_f64 v[170:171], v[168:169], v[166:167]
	v_fma_f64 v[150:151], -v[150:151], v[170:171], v[168:169]
	s_nop 1
	v_div_fmas_f64 v[150:151], v[150:151], v[166:167], v[170:171]
	v_div_fixup_f64 v[148:149], v[150:151], v[148:149], 1.0
	v_mul_f64 v[150:151], v[164:165], -v[148:149]
.LBB72_219:
	s_or_b64 exec, exec, s[16:17]
.LBB72_220:
	s_or_b64 exec, exec, s[0:1]
	v_cmp_ne_u32_e32 vcc, v161, v158
	s_and_saveexec_b64 s[0:1], vcc
	s_xor_b64 s[0:1], exec, s[0:1]
	s_cbranch_execz .LBB72_226
; %bb.221:
	v_cmp_eq_u32_e32 vcc, 10, v161
	s_and_saveexec_b64 s[16:17], vcc
	s_cbranch_execz .LBB72_225
; %bb.222:
	v_cmp_ne_u32_e32 vcc, 10, v158
	s_xor_b64 s[18:19], s[14:15], -1
	s_and_b64 s[22:23], s[18:19], vcc
	s_and_saveexec_b64 s[18:19], s[22:23]
	s_cbranch_execz .LBB72_224
; %bb.223:
	v_ashrrev_i32_e32 v159, 31, v158
	v_lshl_add_u64 v[164:165], v[158:159], 2, v[156:157]
	global_load_dword v159, v[164:165], off
	global_load_dword v161, v[156:157], off offset:40
	s_waitcnt vmcnt(1)
	global_store_dword v[156:157], v159, off offset:40
	s_waitcnt vmcnt(1)
	global_store_dword v[164:165], v161, off
.LBB72_224:
	s_or_b64 exec, exec, s[18:19]
	v_mov_b32_e32 v161, v158
	v_mov_b32_e32 v163, v158
.LBB72_225:
	s_or_b64 exec, exec, s[16:17]
.LBB72_226:
	s_andn2_saveexec_b64 s[0:1], s[0:1]
	s_cbranch_execz .LBB72_228
; %bb.227:
	v_mov_b32_e32 v161, 10
	s_waitcnt vmcnt(25)
	ds_write2_b64 v160, v[100:101], v[102:103] offset0:22 offset1:23
	s_waitcnt vmcnt(24)
	ds_write2_b64 v160, v[104:105], v[106:107] offset0:24 offset1:25
	;; [unrolled: 2-line block ×26, first 2 shown]
.LBB72_228:
	s_or_b64 exec, exec, s[0:1]
	v_cmp_lt_i32_e32 vcc, 10, v161
	s_waitcnt lgkmcnt(0)
	s_barrier
	s_and_saveexec_b64 s[0:1], vcc
	s_cbranch_execz .LBB72_230
; %bb.229:
	ds_read2_b64 v[164:167], v160 offset0:22 offset1:23
	v_mul_f64 v[158:159], v[150:151], v[110:111]
	v_mul_f64 v[110:111], v[148:149], v[110:111]
	v_fma_f64 v[158:159], v[148:149], v[108:109], -v[158:159]
	v_fmac_f64_e32 v[110:111], v[150:151], v[108:109]
	ds_read2_b64 v[148:151], v160 offset0:24 offset1:25
	s_waitcnt lgkmcnt(1)
	v_mul_f64 v[108:109], v[166:167], v[110:111]
	v_fma_f64 v[108:109], v[164:165], v[158:159], -v[108:109]
	v_mul_f64 v[164:165], v[164:165], v[110:111]
	v_fmac_f64_e32 v[164:165], v[166:167], v[158:159]
	s_waitcnt vmcnt(25)
	v_add_f64 v[100:101], v[100:101], -v[108:109]
	s_waitcnt lgkmcnt(0)
	v_mul_f64 v[108:109], v[150:151], v[110:111]
	v_add_f64 v[102:103], v[102:103], -v[164:165]
	v_fma_f64 v[108:109], v[148:149], v[158:159], -v[108:109]
	v_mul_f64 v[148:149], v[148:149], v[110:111]
	ds_read2_b64 v[164:167], v160 offset0:26 offset1:27
	v_fmac_f64_e32 v[148:149], v[150:151], v[158:159]
	s_waitcnt vmcnt(24)
	v_add_f64 v[106:107], v[106:107], -v[148:149]
	ds_read2_b64 v[148:151], v160 offset0:28 offset1:29
	v_add_f64 v[104:105], v[104:105], -v[108:109]
	s_waitcnt lgkmcnt(1)
	v_mul_f64 v[108:109], v[166:167], v[110:111]
	v_fma_f64 v[108:109], v[164:165], v[158:159], -v[108:109]
	v_mul_f64 v[164:165], v[164:165], v[110:111]
	v_fmac_f64_e32 v[164:165], v[166:167], v[158:159]
	s_waitcnt vmcnt(23)
	v_add_f64 v[88:89], v[88:89], -v[108:109]
	s_waitcnt lgkmcnt(0)
	v_mul_f64 v[108:109], v[150:151], v[110:111]
	v_add_f64 v[90:91], v[90:91], -v[164:165]
	v_fma_f64 v[108:109], v[148:149], v[158:159], -v[108:109]
	v_mul_f64 v[148:149], v[148:149], v[110:111]
	ds_read2_b64 v[164:167], v160 offset0:30 offset1:31
	v_fmac_f64_e32 v[148:149], v[150:151], v[158:159]
	s_waitcnt vmcnt(22)
	v_add_f64 v[86:87], v[86:87], -v[148:149]
	ds_read2_b64 v[148:151], v160 offset0:32 offset1:33
	v_add_f64 v[84:85], v[84:85], -v[108:109]
	;; [unrolled: 18-line block ×12, first 2 shown]
	s_waitcnt lgkmcnt(1)
	v_mul_f64 v[108:109], v[166:167], v[110:111]
	v_fma_f64 v[108:109], v[164:165], v[158:159], -v[108:109]
	s_waitcnt vmcnt(1)
	v_add_f64 v[0:1], v[0:1], -v[108:109]
	s_waitcnt lgkmcnt(0)
	v_mul_f64 v[108:109], v[150:151], v[110:111]
	v_mul_f64 v[164:165], v[164:165], v[110:111]
	v_fma_f64 v[108:109], v[148:149], v[158:159], -v[108:109]
	v_mul_f64 v[148:149], v[148:149], v[110:111]
	v_fmac_f64_e32 v[164:165], v[166:167], v[158:159]
	v_fmac_f64_e32 v[148:149], v[150:151], v[158:159]
	v_add_f64 v[2:3], v[2:3], -v[164:165]
	s_waitcnt vmcnt(0)
	v_add_f64 v[144:145], v[144:145], -v[108:109]
	v_add_f64 v[146:147], v[146:147], -v[148:149]
	v_mov_b64_e32 v[108:109], v[158:159]
.LBB72_230:
	s_or_b64 exec, exec, s[0:1]
	v_lshl_add_u32 v148, v161, 4, v160
	s_barrier
	s_waitcnt vmcnt(25)
	ds_write2_b64 v148, v[100:101], v[102:103] offset1:1
	s_waitcnt lgkmcnt(0)
	s_barrier
	ds_read2_b64 v[148:151], v160 offset0:22 offset1:23
	s_cmp_lt_i32 s20, 13
	v_mov_b32_e32 v158, 11
	s_cbranch_scc1 .LBB72_233
; %bb.231:
	v_add_u32_e32 v159, 0xc0, v160
	s_mov_b32 s16, 12
	v_mov_b32_e32 v158, 11
.LBB72_232:                             ; =>This Inner Loop Header: Depth=1
	ds_read2_b64 v[164:167], v159 offset1:1
	s_waitcnt lgkmcnt(1)
	v_xor_b32_e32 v169, 0x80000000, v149
	v_xor_b32_e32 v171, 0x80000000, v151
	v_cmp_gt_f64_e32 vcc, 0, v[150:151]
	v_cmp_gt_f64_e64 s[0:1], 0, v[148:149]
	v_mov_b32_e32 v168, v148
	v_mov_b32_e32 v170, v150
	v_cndmask_b32_e64 v169, v149, v169, s[0:1]
	v_cndmask_b32_e32 v171, v151, v171, vcc
	v_add_f64 v[168:169], v[168:169], v[170:171]
	s_waitcnt lgkmcnt(0)
	v_xor_b32_e32 v171, 0x80000000, v165
	v_xor_b32_e32 v173, 0x80000000, v167
	v_cmp_gt_f64_e32 vcc, 0, v[166:167]
	v_cmp_gt_f64_e64 s[0:1], 0, v[164:165]
	v_mov_b32_e32 v170, v164
	v_mov_b32_e32 v172, v166
	v_cndmask_b32_e64 v171, v165, v171, s[0:1]
	v_cndmask_b32_e32 v173, v167, v173, vcc
	v_add_f64 v[170:171], v[170:171], v[172:173]
	v_mov_b32_e32 v174, s16
	s_add_i32 s16, s16, 1
	v_cmp_lt_f64_e32 vcc, v[168:169], v[170:171]
	v_add_u32_e32 v159, 16, v159
	s_cmp_lg_u32 s20, s16
	v_cndmask_b32_e32 v149, v149, v165, vcc
	v_cndmask_b32_e32 v148, v148, v164, vcc
	;; [unrolled: 1-line block ×5, first 2 shown]
	s_cbranch_scc1 .LBB72_232
.LBB72_233:
	s_waitcnt lgkmcnt(0)
	v_cmp_eq_f64_e32 vcc, 0, v[148:149]
	v_cmp_eq_f64_e64 s[0:1], 0, v[150:151]
	s_and_b64 s[0:1], vcc, s[0:1]
	s_and_saveexec_b64 s[16:17], s[0:1]
	s_xor_b64 s[0:1], exec, s[16:17]
; %bb.234:
	v_cmp_ne_u32_e32 vcc, 0, v162
	s_nop 1
	v_cndmask_b32_e32 v162, 12, v162, vcc
; %bb.235:
	s_andn2_saveexec_b64 s[0:1], s[0:1]
	s_cbranch_execz .LBB72_241
; %bb.236:
	v_cmp_ngt_f64_e64 s[16:17], |v[148:149]|, |v[150:151]|
	s_and_saveexec_b64 s[18:19], s[16:17]
	s_xor_b64 s[16:17], exec, s[18:19]
	s_cbranch_execz .LBB72_238
; %bb.237:
	v_div_scale_f64 v[164:165], s[18:19], v[150:151], v[150:151], v[148:149]
	v_rcp_f64_e32 v[166:167], v[164:165]
	v_div_scale_f64 v[168:169], vcc, v[148:149], v[150:151], v[148:149]
	v_fma_f64 v[170:171], -v[164:165], v[166:167], 1.0
	v_fmac_f64_e32 v[166:167], v[166:167], v[170:171]
	v_fma_f64 v[170:171], -v[164:165], v[166:167], 1.0
	v_fmac_f64_e32 v[166:167], v[166:167], v[170:171]
	v_mul_f64 v[170:171], v[168:169], v[166:167]
	v_fma_f64 v[164:165], -v[164:165], v[170:171], v[168:169]
	v_div_fmas_f64 v[164:165], v[164:165], v[166:167], v[170:171]
	v_div_fixup_f64 v[164:165], v[164:165], v[150:151], v[148:149]
	v_fmac_f64_e32 v[150:151], v[148:149], v[164:165]
	v_div_scale_f64 v[148:149], s[18:19], v[150:151], v[150:151], 1.0
	v_rcp_f64_e32 v[166:167], v[148:149]
	s_nop 0
	v_fma_f64 v[168:169], -v[148:149], v[166:167], 1.0
	v_fmac_f64_e32 v[166:167], v[166:167], v[168:169]
	v_fma_f64 v[168:169], -v[148:149], v[166:167], 1.0
	v_fmac_f64_e32 v[166:167], v[166:167], v[168:169]
	v_div_scale_f64 v[168:169], vcc, 1.0, v[150:151], 1.0
	v_mul_f64 v[170:171], v[168:169], v[166:167]
	v_fma_f64 v[148:149], -v[148:149], v[170:171], v[168:169]
	s_nop 1
	v_div_fmas_f64 v[148:149], v[148:149], v[166:167], v[170:171]
	v_div_fixup_f64 v[150:151], v[148:149], v[150:151], 1.0
	v_mul_f64 v[148:149], v[164:165], v[150:151]
	v_xor_b32_e32 v151, 0x80000000, v151
.LBB72_238:
	s_andn2_saveexec_b64 s[16:17], s[16:17]
	s_cbranch_execz .LBB72_240
; %bb.239:
	v_div_scale_f64 v[164:165], s[18:19], v[148:149], v[148:149], v[150:151]
	v_rcp_f64_e32 v[166:167], v[164:165]
	v_div_scale_f64 v[168:169], vcc, v[150:151], v[148:149], v[150:151]
	v_fma_f64 v[170:171], -v[164:165], v[166:167], 1.0
	v_fmac_f64_e32 v[166:167], v[166:167], v[170:171]
	v_fma_f64 v[170:171], -v[164:165], v[166:167], 1.0
	v_fmac_f64_e32 v[166:167], v[166:167], v[170:171]
	v_mul_f64 v[170:171], v[168:169], v[166:167]
	v_fma_f64 v[164:165], -v[164:165], v[170:171], v[168:169]
	v_div_fmas_f64 v[164:165], v[164:165], v[166:167], v[170:171]
	v_div_fixup_f64 v[164:165], v[164:165], v[148:149], v[150:151]
	v_fmac_f64_e32 v[148:149], v[150:151], v[164:165]
	v_div_scale_f64 v[150:151], s[18:19], v[148:149], v[148:149], 1.0
	v_rcp_f64_e32 v[166:167], v[150:151]
	s_nop 0
	v_fma_f64 v[168:169], -v[150:151], v[166:167], 1.0
	v_fmac_f64_e32 v[166:167], v[166:167], v[168:169]
	v_fma_f64 v[168:169], -v[150:151], v[166:167], 1.0
	v_fmac_f64_e32 v[166:167], v[166:167], v[168:169]
	v_div_scale_f64 v[168:169], vcc, 1.0, v[148:149], 1.0
	v_mul_f64 v[170:171], v[168:169], v[166:167]
	v_fma_f64 v[150:151], -v[150:151], v[170:171], v[168:169]
	s_nop 1
	v_div_fmas_f64 v[150:151], v[150:151], v[166:167], v[170:171]
	v_div_fixup_f64 v[148:149], v[150:151], v[148:149], 1.0
	v_mul_f64 v[150:151], v[164:165], -v[148:149]
.LBB72_240:
	s_or_b64 exec, exec, s[16:17]
.LBB72_241:
	s_or_b64 exec, exec, s[0:1]
	v_cmp_ne_u32_e32 vcc, v161, v158
	s_and_saveexec_b64 s[0:1], vcc
	s_xor_b64 s[0:1], exec, s[0:1]
	s_cbranch_execz .LBB72_247
; %bb.242:
	v_cmp_eq_u32_e32 vcc, 11, v161
	s_and_saveexec_b64 s[16:17], vcc
	s_cbranch_execz .LBB72_246
; %bb.243:
	v_cmp_ne_u32_e32 vcc, 11, v158
	s_xor_b64 s[18:19], s[14:15], -1
	s_and_b64 s[22:23], s[18:19], vcc
	s_and_saveexec_b64 s[18:19], s[22:23]
	s_cbranch_execz .LBB72_245
; %bb.244:
	v_ashrrev_i32_e32 v159, 31, v158
	v_lshl_add_u64 v[164:165], v[158:159], 2, v[156:157]
	global_load_dword v159, v[164:165], off
	global_load_dword v161, v[156:157], off offset:44
	s_waitcnt vmcnt(1)
	global_store_dword v[156:157], v159, off offset:44
	s_waitcnt vmcnt(1)
	global_store_dword v[164:165], v161, off
.LBB72_245:
	s_or_b64 exec, exec, s[18:19]
	v_mov_b32_e32 v161, v158
	v_mov_b32_e32 v163, v158
.LBB72_246:
	s_or_b64 exec, exec, s[16:17]
.LBB72_247:
	s_andn2_saveexec_b64 s[0:1], s[0:1]
	s_cbranch_execz .LBB72_249
; %bb.248:
	v_mov_b32_e32 v161, 11
	s_waitcnt vmcnt(24)
	ds_write2_b64 v160, v[104:105], v[106:107] offset0:24 offset1:25
	s_waitcnt vmcnt(23)
	ds_write2_b64 v160, v[88:89], v[90:91] offset0:26 offset1:27
	;; [unrolled: 2-line block ×25, first 2 shown]
.LBB72_249:
	s_or_b64 exec, exec, s[0:1]
	v_cmp_lt_i32_e32 vcc, 11, v161
	s_waitcnt lgkmcnt(0)
	s_barrier
	s_and_saveexec_b64 s[0:1], vcc
	s_cbranch_execz .LBB72_251
; %bb.250:
	ds_read2_b64 v[164:167], v160 offset0:24 offset1:25
	v_mul_f64 v[158:159], v[150:151], v[102:103]
	v_mul_f64 v[102:103], v[148:149], v[102:103]
	v_fmac_f64_e32 v[102:103], v[150:151], v[100:101]
	v_fma_f64 v[158:159], v[148:149], v[100:101], -v[158:159]
	ds_read2_b64 v[148:151], v160 offset0:26 offset1:27
	s_waitcnt lgkmcnt(1)
	v_mul_f64 v[100:101], v[166:167], v[102:103]
	v_fma_f64 v[100:101], v[164:165], v[158:159], -v[100:101]
	v_mul_f64 v[164:165], v[164:165], v[102:103]
	v_fmac_f64_e32 v[164:165], v[166:167], v[158:159]
	s_waitcnt vmcnt(24)
	v_add_f64 v[106:107], v[106:107], -v[164:165]
	ds_read2_b64 v[164:167], v160 offset0:28 offset1:29
	v_add_f64 v[104:105], v[104:105], -v[100:101]
	s_waitcnt lgkmcnt(1)
	v_mul_f64 v[100:101], v[150:151], v[102:103]
	v_fma_f64 v[100:101], v[148:149], v[158:159], -v[100:101]
	v_mul_f64 v[148:149], v[148:149], v[102:103]
	v_fmac_f64_e32 v[148:149], v[150:151], v[158:159]
	s_waitcnt vmcnt(23)
	v_add_f64 v[88:89], v[88:89], -v[100:101]
	v_add_f64 v[90:91], v[90:91], -v[148:149]
	ds_read2_b64 v[148:151], v160 offset0:30 offset1:31
	s_waitcnt lgkmcnt(1)
	v_mul_f64 v[100:101], v[166:167], v[102:103]
	v_fma_f64 v[100:101], v[164:165], v[158:159], -v[100:101]
	v_mul_f64 v[164:165], v[164:165], v[102:103]
	v_fmac_f64_e32 v[164:165], v[166:167], v[158:159]
	s_waitcnt vmcnt(22)
	v_add_f64 v[86:87], v[86:87], -v[164:165]
	ds_read2_b64 v[164:167], v160 offset0:32 offset1:33
	v_add_f64 v[84:85], v[84:85], -v[100:101]
	s_waitcnt lgkmcnt(1)
	v_mul_f64 v[100:101], v[150:151], v[102:103]
	v_fma_f64 v[100:101], v[148:149], v[158:159], -v[100:101]
	v_mul_f64 v[148:149], v[148:149], v[102:103]
	v_fmac_f64_e32 v[148:149], v[150:151], v[158:159]
	s_waitcnt vmcnt(21)
	v_add_f64 v[80:81], v[80:81], -v[100:101]
	v_add_f64 v[82:83], v[82:83], -v[148:149]
	;; [unrolled: 18-line block ×12, first 2 shown]
	s_waitcnt lgkmcnt(0)
	v_mul_f64 v[100:101], v[166:167], v[102:103]
	v_mul_f64 v[148:149], v[164:165], v[102:103]
	v_fma_f64 v[100:101], v[164:165], v[158:159], -v[100:101]
	v_fmac_f64_e32 v[148:149], v[166:167], v[158:159]
	s_waitcnt vmcnt(0)
	v_add_f64 v[144:145], v[144:145], -v[100:101]
	v_add_f64 v[146:147], v[146:147], -v[148:149]
	v_mov_b64_e32 v[100:101], v[158:159]
.LBB72_251:
	s_or_b64 exec, exec, s[0:1]
	v_lshl_add_u32 v148, v161, 4, v160
	s_barrier
	s_waitcnt vmcnt(24)
	ds_write2_b64 v148, v[104:105], v[106:107] offset1:1
	s_waitcnt lgkmcnt(0)
	s_barrier
	ds_read2_b64 v[148:151], v160 offset0:24 offset1:25
	s_cmp_lt_i32 s20, 14
	v_mov_b32_e32 v158, 12
	s_cbranch_scc1 .LBB72_254
; %bb.252:
	v_add_u32_e32 v159, 0xd0, v160
	s_mov_b32 s16, 13
	v_mov_b32_e32 v158, 12
.LBB72_253:                             ; =>This Inner Loop Header: Depth=1
	ds_read2_b64 v[164:167], v159 offset1:1
	s_waitcnt lgkmcnt(1)
	v_xor_b32_e32 v169, 0x80000000, v149
	v_xor_b32_e32 v171, 0x80000000, v151
	v_cmp_gt_f64_e32 vcc, 0, v[150:151]
	v_cmp_gt_f64_e64 s[0:1], 0, v[148:149]
	v_mov_b32_e32 v168, v148
	v_mov_b32_e32 v170, v150
	v_cndmask_b32_e64 v169, v149, v169, s[0:1]
	v_cndmask_b32_e32 v171, v151, v171, vcc
	v_add_f64 v[168:169], v[168:169], v[170:171]
	s_waitcnt lgkmcnt(0)
	v_xor_b32_e32 v171, 0x80000000, v165
	v_xor_b32_e32 v173, 0x80000000, v167
	v_cmp_gt_f64_e32 vcc, 0, v[166:167]
	v_cmp_gt_f64_e64 s[0:1], 0, v[164:165]
	v_mov_b32_e32 v170, v164
	v_mov_b32_e32 v172, v166
	v_cndmask_b32_e64 v171, v165, v171, s[0:1]
	v_cndmask_b32_e32 v173, v167, v173, vcc
	v_add_f64 v[170:171], v[170:171], v[172:173]
	v_mov_b32_e32 v174, s16
	s_add_i32 s16, s16, 1
	v_cmp_lt_f64_e32 vcc, v[168:169], v[170:171]
	v_add_u32_e32 v159, 16, v159
	s_cmp_lg_u32 s20, s16
	v_cndmask_b32_e32 v149, v149, v165, vcc
	v_cndmask_b32_e32 v148, v148, v164, vcc
	;; [unrolled: 1-line block ×5, first 2 shown]
	s_cbranch_scc1 .LBB72_253
.LBB72_254:
	s_waitcnt lgkmcnt(0)
	v_cmp_eq_f64_e32 vcc, 0, v[148:149]
	v_cmp_eq_f64_e64 s[0:1], 0, v[150:151]
	s_and_b64 s[0:1], vcc, s[0:1]
	s_and_saveexec_b64 s[16:17], s[0:1]
	s_xor_b64 s[0:1], exec, s[16:17]
; %bb.255:
	v_cmp_ne_u32_e32 vcc, 0, v162
	s_nop 1
	v_cndmask_b32_e32 v162, 13, v162, vcc
; %bb.256:
	s_andn2_saveexec_b64 s[0:1], s[0:1]
	s_cbranch_execz .LBB72_262
; %bb.257:
	v_cmp_ngt_f64_e64 s[16:17], |v[148:149]|, |v[150:151]|
	s_and_saveexec_b64 s[18:19], s[16:17]
	s_xor_b64 s[16:17], exec, s[18:19]
	s_cbranch_execz .LBB72_259
; %bb.258:
	v_div_scale_f64 v[164:165], s[18:19], v[150:151], v[150:151], v[148:149]
	v_rcp_f64_e32 v[166:167], v[164:165]
	v_div_scale_f64 v[168:169], vcc, v[148:149], v[150:151], v[148:149]
	v_fma_f64 v[170:171], -v[164:165], v[166:167], 1.0
	v_fmac_f64_e32 v[166:167], v[166:167], v[170:171]
	v_fma_f64 v[170:171], -v[164:165], v[166:167], 1.0
	v_fmac_f64_e32 v[166:167], v[166:167], v[170:171]
	v_mul_f64 v[170:171], v[168:169], v[166:167]
	v_fma_f64 v[164:165], -v[164:165], v[170:171], v[168:169]
	v_div_fmas_f64 v[164:165], v[164:165], v[166:167], v[170:171]
	v_div_fixup_f64 v[164:165], v[164:165], v[150:151], v[148:149]
	v_fmac_f64_e32 v[150:151], v[148:149], v[164:165]
	v_div_scale_f64 v[148:149], s[18:19], v[150:151], v[150:151], 1.0
	v_rcp_f64_e32 v[166:167], v[148:149]
	s_nop 0
	v_fma_f64 v[168:169], -v[148:149], v[166:167], 1.0
	v_fmac_f64_e32 v[166:167], v[166:167], v[168:169]
	v_fma_f64 v[168:169], -v[148:149], v[166:167], 1.0
	v_fmac_f64_e32 v[166:167], v[166:167], v[168:169]
	v_div_scale_f64 v[168:169], vcc, 1.0, v[150:151], 1.0
	v_mul_f64 v[170:171], v[168:169], v[166:167]
	v_fma_f64 v[148:149], -v[148:149], v[170:171], v[168:169]
	s_nop 1
	v_div_fmas_f64 v[148:149], v[148:149], v[166:167], v[170:171]
	v_div_fixup_f64 v[150:151], v[148:149], v[150:151], 1.0
	v_mul_f64 v[148:149], v[164:165], v[150:151]
	v_xor_b32_e32 v151, 0x80000000, v151
.LBB72_259:
	s_andn2_saveexec_b64 s[16:17], s[16:17]
	s_cbranch_execz .LBB72_261
; %bb.260:
	v_div_scale_f64 v[164:165], s[18:19], v[148:149], v[148:149], v[150:151]
	v_rcp_f64_e32 v[166:167], v[164:165]
	v_div_scale_f64 v[168:169], vcc, v[150:151], v[148:149], v[150:151]
	v_fma_f64 v[170:171], -v[164:165], v[166:167], 1.0
	v_fmac_f64_e32 v[166:167], v[166:167], v[170:171]
	v_fma_f64 v[170:171], -v[164:165], v[166:167], 1.0
	v_fmac_f64_e32 v[166:167], v[166:167], v[170:171]
	v_mul_f64 v[170:171], v[168:169], v[166:167]
	v_fma_f64 v[164:165], -v[164:165], v[170:171], v[168:169]
	v_div_fmas_f64 v[164:165], v[164:165], v[166:167], v[170:171]
	v_div_fixup_f64 v[164:165], v[164:165], v[148:149], v[150:151]
	v_fmac_f64_e32 v[148:149], v[150:151], v[164:165]
	v_div_scale_f64 v[150:151], s[18:19], v[148:149], v[148:149], 1.0
	v_rcp_f64_e32 v[166:167], v[150:151]
	s_nop 0
	v_fma_f64 v[168:169], -v[150:151], v[166:167], 1.0
	v_fmac_f64_e32 v[166:167], v[166:167], v[168:169]
	v_fma_f64 v[168:169], -v[150:151], v[166:167], 1.0
	v_fmac_f64_e32 v[166:167], v[166:167], v[168:169]
	v_div_scale_f64 v[168:169], vcc, 1.0, v[148:149], 1.0
	v_mul_f64 v[170:171], v[168:169], v[166:167]
	v_fma_f64 v[150:151], -v[150:151], v[170:171], v[168:169]
	s_nop 1
	v_div_fmas_f64 v[150:151], v[150:151], v[166:167], v[170:171]
	v_div_fixup_f64 v[148:149], v[150:151], v[148:149], 1.0
	v_mul_f64 v[150:151], v[164:165], -v[148:149]
.LBB72_261:
	s_or_b64 exec, exec, s[16:17]
.LBB72_262:
	s_or_b64 exec, exec, s[0:1]
	v_cmp_ne_u32_e32 vcc, v161, v158
	s_and_saveexec_b64 s[0:1], vcc
	s_xor_b64 s[0:1], exec, s[0:1]
	s_cbranch_execz .LBB72_268
; %bb.263:
	v_cmp_eq_u32_e32 vcc, 12, v161
	s_and_saveexec_b64 s[16:17], vcc
	s_cbranch_execz .LBB72_267
; %bb.264:
	v_cmp_ne_u32_e32 vcc, 12, v158
	s_xor_b64 s[18:19], s[14:15], -1
	s_and_b64 s[22:23], s[18:19], vcc
	s_and_saveexec_b64 s[18:19], s[22:23]
	s_cbranch_execz .LBB72_266
; %bb.265:
	v_ashrrev_i32_e32 v159, 31, v158
	v_lshl_add_u64 v[164:165], v[158:159], 2, v[156:157]
	global_load_dword v159, v[164:165], off
	global_load_dword v161, v[156:157], off offset:48
	s_waitcnt vmcnt(1)
	global_store_dword v[156:157], v159, off offset:48
	s_waitcnt vmcnt(1)
	global_store_dword v[164:165], v161, off
.LBB72_266:
	s_or_b64 exec, exec, s[18:19]
	v_mov_b32_e32 v161, v158
	v_mov_b32_e32 v163, v158
.LBB72_267:
	s_or_b64 exec, exec, s[16:17]
.LBB72_268:
	s_andn2_saveexec_b64 s[0:1], s[0:1]
	s_cbranch_execz .LBB72_270
; %bb.269:
	v_mov_b32_e32 v161, 12
	s_waitcnt vmcnt(23)
	ds_write2_b64 v160, v[88:89], v[90:91] offset0:26 offset1:27
	s_waitcnt vmcnt(22)
	ds_write2_b64 v160, v[84:85], v[86:87] offset0:28 offset1:29
	;; [unrolled: 2-line block ×24, first 2 shown]
.LBB72_270:
	s_or_b64 exec, exec, s[0:1]
	v_cmp_lt_i32_e32 vcc, 12, v161
	s_waitcnt lgkmcnt(0)
	s_barrier
	s_and_saveexec_b64 s[0:1], vcc
	s_cbranch_execz .LBB72_272
; %bb.271:
	ds_read2_b64 v[164:167], v160 offset0:26 offset1:27
	v_mul_f64 v[158:159], v[150:151], v[106:107]
	v_mul_f64 v[106:107], v[148:149], v[106:107]
	v_fma_f64 v[158:159], v[148:149], v[104:105], -v[158:159]
	v_fmac_f64_e32 v[106:107], v[150:151], v[104:105]
	ds_read2_b64 v[148:151], v160 offset0:28 offset1:29
	s_waitcnt lgkmcnt(1)
	v_mul_f64 v[104:105], v[166:167], v[106:107]
	v_fma_f64 v[104:105], v[164:165], v[158:159], -v[104:105]
	v_mul_f64 v[164:165], v[164:165], v[106:107]
	v_fmac_f64_e32 v[164:165], v[166:167], v[158:159]
	s_waitcnt vmcnt(23)
	v_add_f64 v[88:89], v[88:89], -v[104:105]
	s_waitcnt lgkmcnt(0)
	v_mul_f64 v[104:105], v[150:151], v[106:107]
	v_add_f64 v[90:91], v[90:91], -v[164:165]
	v_fma_f64 v[104:105], v[148:149], v[158:159], -v[104:105]
	v_mul_f64 v[148:149], v[148:149], v[106:107]
	ds_read2_b64 v[164:167], v160 offset0:30 offset1:31
	v_fmac_f64_e32 v[148:149], v[150:151], v[158:159]
	s_waitcnt vmcnt(22)
	v_add_f64 v[86:87], v[86:87], -v[148:149]
	ds_read2_b64 v[148:151], v160 offset0:32 offset1:33
	v_add_f64 v[84:85], v[84:85], -v[104:105]
	s_waitcnt lgkmcnt(1)
	v_mul_f64 v[104:105], v[166:167], v[106:107]
	v_fma_f64 v[104:105], v[164:165], v[158:159], -v[104:105]
	v_mul_f64 v[164:165], v[164:165], v[106:107]
	v_fmac_f64_e32 v[164:165], v[166:167], v[158:159]
	s_waitcnt vmcnt(21)
	v_add_f64 v[80:81], v[80:81], -v[104:105]
	s_waitcnt lgkmcnt(0)
	v_mul_f64 v[104:105], v[150:151], v[106:107]
	v_add_f64 v[82:83], v[82:83], -v[164:165]
	v_fma_f64 v[104:105], v[148:149], v[158:159], -v[104:105]
	v_mul_f64 v[148:149], v[148:149], v[106:107]
	ds_read2_b64 v[164:167], v160 offset0:34 offset1:35
	v_fmac_f64_e32 v[148:149], v[150:151], v[158:159]
	s_waitcnt vmcnt(20)
	v_add_f64 v[78:79], v[78:79], -v[148:149]
	ds_read2_b64 v[148:151], v160 offset0:36 offset1:37
	v_add_f64 v[76:77], v[76:77], -v[104:105]
	;; [unrolled: 18-line block ×11, first 2 shown]
	s_waitcnt lgkmcnt(1)
	v_mul_f64 v[104:105], v[166:167], v[106:107]
	v_fma_f64 v[104:105], v[164:165], v[158:159], -v[104:105]
	s_waitcnt vmcnt(1)
	v_add_f64 v[0:1], v[0:1], -v[104:105]
	s_waitcnt lgkmcnt(0)
	v_mul_f64 v[104:105], v[150:151], v[106:107]
	v_mul_f64 v[164:165], v[164:165], v[106:107]
	v_fma_f64 v[104:105], v[148:149], v[158:159], -v[104:105]
	v_mul_f64 v[148:149], v[148:149], v[106:107]
	v_fmac_f64_e32 v[164:165], v[166:167], v[158:159]
	v_fmac_f64_e32 v[148:149], v[150:151], v[158:159]
	v_add_f64 v[2:3], v[2:3], -v[164:165]
	s_waitcnt vmcnt(0)
	v_add_f64 v[144:145], v[144:145], -v[104:105]
	v_add_f64 v[146:147], v[146:147], -v[148:149]
	v_mov_b64_e32 v[104:105], v[158:159]
.LBB72_272:
	s_or_b64 exec, exec, s[0:1]
	v_lshl_add_u32 v148, v161, 4, v160
	s_barrier
	s_waitcnt vmcnt(23)
	ds_write2_b64 v148, v[88:89], v[90:91] offset1:1
	s_waitcnt lgkmcnt(0)
	s_barrier
	ds_read2_b64 v[148:151], v160 offset0:26 offset1:27
	s_cmp_lt_i32 s20, 15
	v_mov_b32_e32 v158, 13
	s_cbranch_scc1 .LBB72_275
; %bb.273:
	v_add_u32_e32 v159, 0xe0, v160
	s_mov_b32 s16, 14
	v_mov_b32_e32 v158, 13
.LBB72_274:                             ; =>This Inner Loop Header: Depth=1
	ds_read2_b64 v[164:167], v159 offset1:1
	s_waitcnt lgkmcnt(1)
	v_xor_b32_e32 v169, 0x80000000, v149
	v_xor_b32_e32 v171, 0x80000000, v151
	v_cmp_gt_f64_e32 vcc, 0, v[150:151]
	v_cmp_gt_f64_e64 s[0:1], 0, v[148:149]
	v_mov_b32_e32 v168, v148
	v_mov_b32_e32 v170, v150
	v_cndmask_b32_e64 v169, v149, v169, s[0:1]
	v_cndmask_b32_e32 v171, v151, v171, vcc
	v_add_f64 v[168:169], v[168:169], v[170:171]
	s_waitcnt lgkmcnt(0)
	v_xor_b32_e32 v171, 0x80000000, v165
	v_xor_b32_e32 v173, 0x80000000, v167
	v_cmp_gt_f64_e32 vcc, 0, v[166:167]
	v_cmp_gt_f64_e64 s[0:1], 0, v[164:165]
	v_mov_b32_e32 v170, v164
	v_mov_b32_e32 v172, v166
	v_cndmask_b32_e64 v171, v165, v171, s[0:1]
	v_cndmask_b32_e32 v173, v167, v173, vcc
	v_add_f64 v[170:171], v[170:171], v[172:173]
	v_mov_b32_e32 v174, s16
	s_add_i32 s16, s16, 1
	v_cmp_lt_f64_e32 vcc, v[168:169], v[170:171]
	v_add_u32_e32 v159, 16, v159
	s_cmp_lg_u32 s20, s16
	v_cndmask_b32_e32 v149, v149, v165, vcc
	v_cndmask_b32_e32 v148, v148, v164, vcc
	;; [unrolled: 1-line block ×5, first 2 shown]
	s_cbranch_scc1 .LBB72_274
.LBB72_275:
	s_waitcnt lgkmcnt(0)
	v_cmp_eq_f64_e32 vcc, 0, v[148:149]
	v_cmp_eq_f64_e64 s[0:1], 0, v[150:151]
	s_and_b64 s[0:1], vcc, s[0:1]
	s_and_saveexec_b64 s[16:17], s[0:1]
	s_xor_b64 s[0:1], exec, s[16:17]
; %bb.276:
	v_cmp_ne_u32_e32 vcc, 0, v162
	s_nop 1
	v_cndmask_b32_e32 v162, 14, v162, vcc
; %bb.277:
	s_andn2_saveexec_b64 s[0:1], s[0:1]
	s_cbranch_execz .LBB72_283
; %bb.278:
	v_cmp_ngt_f64_e64 s[16:17], |v[148:149]|, |v[150:151]|
	s_and_saveexec_b64 s[18:19], s[16:17]
	s_xor_b64 s[16:17], exec, s[18:19]
	s_cbranch_execz .LBB72_280
; %bb.279:
	v_div_scale_f64 v[164:165], s[18:19], v[150:151], v[150:151], v[148:149]
	v_rcp_f64_e32 v[166:167], v[164:165]
	v_div_scale_f64 v[168:169], vcc, v[148:149], v[150:151], v[148:149]
	v_fma_f64 v[170:171], -v[164:165], v[166:167], 1.0
	v_fmac_f64_e32 v[166:167], v[166:167], v[170:171]
	v_fma_f64 v[170:171], -v[164:165], v[166:167], 1.0
	v_fmac_f64_e32 v[166:167], v[166:167], v[170:171]
	v_mul_f64 v[170:171], v[168:169], v[166:167]
	v_fma_f64 v[164:165], -v[164:165], v[170:171], v[168:169]
	v_div_fmas_f64 v[164:165], v[164:165], v[166:167], v[170:171]
	v_div_fixup_f64 v[164:165], v[164:165], v[150:151], v[148:149]
	v_fmac_f64_e32 v[150:151], v[148:149], v[164:165]
	v_div_scale_f64 v[148:149], s[18:19], v[150:151], v[150:151], 1.0
	v_rcp_f64_e32 v[166:167], v[148:149]
	s_nop 0
	v_fma_f64 v[168:169], -v[148:149], v[166:167], 1.0
	v_fmac_f64_e32 v[166:167], v[166:167], v[168:169]
	v_fma_f64 v[168:169], -v[148:149], v[166:167], 1.0
	v_fmac_f64_e32 v[166:167], v[166:167], v[168:169]
	v_div_scale_f64 v[168:169], vcc, 1.0, v[150:151], 1.0
	v_mul_f64 v[170:171], v[168:169], v[166:167]
	v_fma_f64 v[148:149], -v[148:149], v[170:171], v[168:169]
	s_nop 1
	v_div_fmas_f64 v[148:149], v[148:149], v[166:167], v[170:171]
	v_div_fixup_f64 v[150:151], v[148:149], v[150:151], 1.0
	v_mul_f64 v[148:149], v[164:165], v[150:151]
	v_xor_b32_e32 v151, 0x80000000, v151
.LBB72_280:
	s_andn2_saveexec_b64 s[16:17], s[16:17]
	s_cbranch_execz .LBB72_282
; %bb.281:
	v_div_scale_f64 v[164:165], s[18:19], v[148:149], v[148:149], v[150:151]
	v_rcp_f64_e32 v[166:167], v[164:165]
	v_div_scale_f64 v[168:169], vcc, v[150:151], v[148:149], v[150:151]
	v_fma_f64 v[170:171], -v[164:165], v[166:167], 1.0
	v_fmac_f64_e32 v[166:167], v[166:167], v[170:171]
	v_fma_f64 v[170:171], -v[164:165], v[166:167], 1.0
	v_fmac_f64_e32 v[166:167], v[166:167], v[170:171]
	v_mul_f64 v[170:171], v[168:169], v[166:167]
	v_fma_f64 v[164:165], -v[164:165], v[170:171], v[168:169]
	v_div_fmas_f64 v[164:165], v[164:165], v[166:167], v[170:171]
	v_div_fixup_f64 v[164:165], v[164:165], v[148:149], v[150:151]
	v_fmac_f64_e32 v[148:149], v[150:151], v[164:165]
	v_div_scale_f64 v[150:151], s[18:19], v[148:149], v[148:149], 1.0
	v_rcp_f64_e32 v[166:167], v[150:151]
	s_nop 0
	v_fma_f64 v[168:169], -v[150:151], v[166:167], 1.0
	v_fmac_f64_e32 v[166:167], v[166:167], v[168:169]
	v_fma_f64 v[168:169], -v[150:151], v[166:167], 1.0
	v_fmac_f64_e32 v[166:167], v[166:167], v[168:169]
	v_div_scale_f64 v[168:169], vcc, 1.0, v[148:149], 1.0
	v_mul_f64 v[170:171], v[168:169], v[166:167]
	v_fma_f64 v[150:151], -v[150:151], v[170:171], v[168:169]
	s_nop 1
	v_div_fmas_f64 v[150:151], v[150:151], v[166:167], v[170:171]
	v_div_fixup_f64 v[148:149], v[150:151], v[148:149], 1.0
	v_mul_f64 v[150:151], v[164:165], -v[148:149]
.LBB72_282:
	s_or_b64 exec, exec, s[16:17]
.LBB72_283:
	s_or_b64 exec, exec, s[0:1]
	v_cmp_ne_u32_e32 vcc, v161, v158
	s_and_saveexec_b64 s[0:1], vcc
	s_xor_b64 s[0:1], exec, s[0:1]
	s_cbranch_execz .LBB72_289
; %bb.284:
	v_cmp_eq_u32_e32 vcc, 13, v161
	s_and_saveexec_b64 s[16:17], vcc
	s_cbranch_execz .LBB72_288
; %bb.285:
	v_cmp_ne_u32_e32 vcc, 13, v158
	s_xor_b64 s[18:19], s[14:15], -1
	s_and_b64 s[22:23], s[18:19], vcc
	s_and_saveexec_b64 s[18:19], s[22:23]
	s_cbranch_execz .LBB72_287
; %bb.286:
	v_ashrrev_i32_e32 v159, 31, v158
	v_lshl_add_u64 v[164:165], v[158:159], 2, v[156:157]
	global_load_dword v159, v[164:165], off
	global_load_dword v161, v[156:157], off offset:52
	s_waitcnt vmcnt(1)
	global_store_dword v[156:157], v159, off offset:52
	s_waitcnt vmcnt(1)
	global_store_dword v[164:165], v161, off
.LBB72_287:
	s_or_b64 exec, exec, s[18:19]
	v_mov_b32_e32 v161, v158
	v_mov_b32_e32 v163, v158
.LBB72_288:
	s_or_b64 exec, exec, s[16:17]
.LBB72_289:
	s_andn2_saveexec_b64 s[0:1], s[0:1]
	s_cbranch_execz .LBB72_291
; %bb.290:
	v_mov_b32_e32 v161, 13
	s_waitcnt vmcnt(22)
	ds_write2_b64 v160, v[84:85], v[86:87] offset0:28 offset1:29
	s_waitcnt vmcnt(21)
	ds_write2_b64 v160, v[80:81], v[82:83] offset0:30 offset1:31
	;; [unrolled: 2-line block ×23, first 2 shown]
.LBB72_291:
	s_or_b64 exec, exec, s[0:1]
	v_cmp_lt_i32_e32 vcc, 13, v161
	s_waitcnt lgkmcnt(0)
	s_barrier
	s_and_saveexec_b64 s[0:1], vcc
	s_cbranch_execz .LBB72_293
; %bb.292:
	ds_read2_b64 v[164:167], v160 offset0:28 offset1:29
	v_mul_f64 v[158:159], v[150:151], v[90:91]
	v_mul_f64 v[90:91], v[148:149], v[90:91]
	v_fmac_f64_e32 v[90:91], v[150:151], v[88:89]
	v_fma_f64 v[158:159], v[148:149], v[88:89], -v[158:159]
	ds_read2_b64 v[148:151], v160 offset0:30 offset1:31
	s_waitcnt lgkmcnt(1)
	v_mul_f64 v[88:89], v[166:167], v[90:91]
	v_fma_f64 v[88:89], v[164:165], v[158:159], -v[88:89]
	v_mul_f64 v[164:165], v[164:165], v[90:91]
	v_fmac_f64_e32 v[164:165], v[166:167], v[158:159]
	s_waitcnt vmcnt(22)
	v_add_f64 v[86:87], v[86:87], -v[164:165]
	ds_read2_b64 v[164:167], v160 offset0:32 offset1:33
	v_add_f64 v[84:85], v[84:85], -v[88:89]
	s_waitcnt lgkmcnt(1)
	v_mul_f64 v[88:89], v[150:151], v[90:91]
	v_fma_f64 v[88:89], v[148:149], v[158:159], -v[88:89]
	v_mul_f64 v[148:149], v[148:149], v[90:91]
	v_fmac_f64_e32 v[148:149], v[150:151], v[158:159]
	s_waitcnt vmcnt(21)
	v_add_f64 v[80:81], v[80:81], -v[88:89]
	v_add_f64 v[82:83], v[82:83], -v[148:149]
	ds_read2_b64 v[148:151], v160 offset0:34 offset1:35
	s_waitcnt lgkmcnt(1)
	v_mul_f64 v[88:89], v[166:167], v[90:91]
	v_fma_f64 v[88:89], v[164:165], v[158:159], -v[88:89]
	v_mul_f64 v[164:165], v[164:165], v[90:91]
	v_fmac_f64_e32 v[164:165], v[166:167], v[158:159]
	s_waitcnt vmcnt(20)
	v_add_f64 v[78:79], v[78:79], -v[164:165]
	ds_read2_b64 v[164:167], v160 offset0:36 offset1:37
	v_add_f64 v[76:77], v[76:77], -v[88:89]
	s_waitcnt lgkmcnt(1)
	v_mul_f64 v[88:89], v[150:151], v[90:91]
	v_fma_f64 v[88:89], v[148:149], v[158:159], -v[88:89]
	v_mul_f64 v[148:149], v[148:149], v[90:91]
	v_fmac_f64_e32 v[148:149], v[150:151], v[158:159]
	s_waitcnt vmcnt(19)
	v_add_f64 v[72:73], v[72:73], -v[88:89]
	v_add_f64 v[74:75], v[74:75], -v[148:149]
	;; [unrolled: 18-line block ×11, first 2 shown]
	s_waitcnt lgkmcnt(0)
	v_mul_f64 v[88:89], v[166:167], v[90:91]
	v_mul_f64 v[148:149], v[164:165], v[90:91]
	v_fma_f64 v[88:89], v[164:165], v[158:159], -v[88:89]
	v_fmac_f64_e32 v[148:149], v[166:167], v[158:159]
	s_waitcnt vmcnt(0)
	v_add_f64 v[144:145], v[144:145], -v[88:89]
	v_add_f64 v[146:147], v[146:147], -v[148:149]
	v_mov_b64_e32 v[88:89], v[158:159]
.LBB72_293:
	s_or_b64 exec, exec, s[0:1]
	v_lshl_add_u32 v148, v161, 4, v160
	s_barrier
	s_waitcnt vmcnt(22)
	ds_write2_b64 v148, v[84:85], v[86:87] offset1:1
	s_waitcnt lgkmcnt(0)
	s_barrier
	ds_read2_b64 v[148:151], v160 offset0:28 offset1:29
	s_cmp_lt_i32 s20, 16
	v_mov_b32_e32 v158, 14
	s_cbranch_scc1 .LBB72_296
; %bb.294:
	v_add_u32_e32 v159, 0xf0, v160
	s_mov_b32 s16, 15
	v_mov_b32_e32 v158, 14
.LBB72_295:                             ; =>This Inner Loop Header: Depth=1
	ds_read2_b64 v[164:167], v159 offset1:1
	s_waitcnt lgkmcnt(1)
	v_xor_b32_e32 v169, 0x80000000, v149
	v_xor_b32_e32 v171, 0x80000000, v151
	v_cmp_gt_f64_e32 vcc, 0, v[150:151]
	v_cmp_gt_f64_e64 s[0:1], 0, v[148:149]
	v_mov_b32_e32 v168, v148
	v_mov_b32_e32 v170, v150
	v_cndmask_b32_e64 v169, v149, v169, s[0:1]
	v_cndmask_b32_e32 v171, v151, v171, vcc
	v_add_f64 v[168:169], v[168:169], v[170:171]
	s_waitcnt lgkmcnt(0)
	v_xor_b32_e32 v171, 0x80000000, v165
	v_xor_b32_e32 v173, 0x80000000, v167
	v_cmp_gt_f64_e32 vcc, 0, v[166:167]
	v_cmp_gt_f64_e64 s[0:1], 0, v[164:165]
	v_mov_b32_e32 v170, v164
	v_mov_b32_e32 v172, v166
	v_cndmask_b32_e64 v171, v165, v171, s[0:1]
	v_cndmask_b32_e32 v173, v167, v173, vcc
	v_add_f64 v[170:171], v[170:171], v[172:173]
	v_mov_b32_e32 v174, s16
	s_add_i32 s16, s16, 1
	v_cmp_lt_f64_e32 vcc, v[168:169], v[170:171]
	v_add_u32_e32 v159, 16, v159
	s_cmp_lg_u32 s20, s16
	v_cndmask_b32_e32 v149, v149, v165, vcc
	v_cndmask_b32_e32 v148, v148, v164, vcc
	;; [unrolled: 1-line block ×5, first 2 shown]
	s_cbranch_scc1 .LBB72_295
.LBB72_296:
	s_waitcnt lgkmcnt(0)
	v_cmp_eq_f64_e32 vcc, 0, v[148:149]
	v_cmp_eq_f64_e64 s[0:1], 0, v[150:151]
	s_and_b64 s[0:1], vcc, s[0:1]
	s_and_saveexec_b64 s[16:17], s[0:1]
	s_xor_b64 s[0:1], exec, s[16:17]
; %bb.297:
	v_cmp_ne_u32_e32 vcc, 0, v162
	s_nop 1
	v_cndmask_b32_e32 v162, 15, v162, vcc
; %bb.298:
	s_andn2_saveexec_b64 s[0:1], s[0:1]
	s_cbranch_execz .LBB72_304
; %bb.299:
	v_cmp_ngt_f64_e64 s[16:17], |v[148:149]|, |v[150:151]|
	s_and_saveexec_b64 s[18:19], s[16:17]
	s_xor_b64 s[16:17], exec, s[18:19]
	s_cbranch_execz .LBB72_301
; %bb.300:
	v_div_scale_f64 v[164:165], s[18:19], v[150:151], v[150:151], v[148:149]
	v_rcp_f64_e32 v[166:167], v[164:165]
	v_div_scale_f64 v[168:169], vcc, v[148:149], v[150:151], v[148:149]
	v_fma_f64 v[170:171], -v[164:165], v[166:167], 1.0
	v_fmac_f64_e32 v[166:167], v[166:167], v[170:171]
	v_fma_f64 v[170:171], -v[164:165], v[166:167], 1.0
	v_fmac_f64_e32 v[166:167], v[166:167], v[170:171]
	v_mul_f64 v[170:171], v[168:169], v[166:167]
	v_fma_f64 v[164:165], -v[164:165], v[170:171], v[168:169]
	v_div_fmas_f64 v[164:165], v[164:165], v[166:167], v[170:171]
	v_div_fixup_f64 v[164:165], v[164:165], v[150:151], v[148:149]
	v_fmac_f64_e32 v[150:151], v[148:149], v[164:165]
	v_div_scale_f64 v[148:149], s[18:19], v[150:151], v[150:151], 1.0
	v_rcp_f64_e32 v[166:167], v[148:149]
	s_nop 0
	v_fma_f64 v[168:169], -v[148:149], v[166:167], 1.0
	v_fmac_f64_e32 v[166:167], v[166:167], v[168:169]
	v_fma_f64 v[168:169], -v[148:149], v[166:167], 1.0
	v_fmac_f64_e32 v[166:167], v[166:167], v[168:169]
	v_div_scale_f64 v[168:169], vcc, 1.0, v[150:151], 1.0
	v_mul_f64 v[170:171], v[168:169], v[166:167]
	v_fma_f64 v[148:149], -v[148:149], v[170:171], v[168:169]
	s_nop 1
	v_div_fmas_f64 v[148:149], v[148:149], v[166:167], v[170:171]
	v_div_fixup_f64 v[150:151], v[148:149], v[150:151], 1.0
	v_mul_f64 v[148:149], v[164:165], v[150:151]
	v_xor_b32_e32 v151, 0x80000000, v151
.LBB72_301:
	s_andn2_saveexec_b64 s[16:17], s[16:17]
	s_cbranch_execz .LBB72_303
; %bb.302:
	v_div_scale_f64 v[164:165], s[18:19], v[148:149], v[148:149], v[150:151]
	v_rcp_f64_e32 v[166:167], v[164:165]
	v_div_scale_f64 v[168:169], vcc, v[150:151], v[148:149], v[150:151]
	v_fma_f64 v[170:171], -v[164:165], v[166:167], 1.0
	v_fmac_f64_e32 v[166:167], v[166:167], v[170:171]
	v_fma_f64 v[170:171], -v[164:165], v[166:167], 1.0
	v_fmac_f64_e32 v[166:167], v[166:167], v[170:171]
	v_mul_f64 v[170:171], v[168:169], v[166:167]
	v_fma_f64 v[164:165], -v[164:165], v[170:171], v[168:169]
	v_div_fmas_f64 v[164:165], v[164:165], v[166:167], v[170:171]
	v_div_fixup_f64 v[164:165], v[164:165], v[148:149], v[150:151]
	v_fmac_f64_e32 v[148:149], v[150:151], v[164:165]
	v_div_scale_f64 v[150:151], s[18:19], v[148:149], v[148:149], 1.0
	v_rcp_f64_e32 v[166:167], v[150:151]
	s_nop 0
	v_fma_f64 v[168:169], -v[150:151], v[166:167], 1.0
	v_fmac_f64_e32 v[166:167], v[166:167], v[168:169]
	v_fma_f64 v[168:169], -v[150:151], v[166:167], 1.0
	v_fmac_f64_e32 v[166:167], v[166:167], v[168:169]
	v_div_scale_f64 v[168:169], vcc, 1.0, v[148:149], 1.0
	v_mul_f64 v[170:171], v[168:169], v[166:167]
	v_fma_f64 v[150:151], -v[150:151], v[170:171], v[168:169]
	s_nop 1
	v_div_fmas_f64 v[150:151], v[150:151], v[166:167], v[170:171]
	v_div_fixup_f64 v[148:149], v[150:151], v[148:149], 1.0
	v_mul_f64 v[150:151], v[164:165], -v[148:149]
.LBB72_303:
	s_or_b64 exec, exec, s[16:17]
.LBB72_304:
	s_or_b64 exec, exec, s[0:1]
	v_cmp_ne_u32_e32 vcc, v161, v158
	s_and_saveexec_b64 s[0:1], vcc
	s_xor_b64 s[0:1], exec, s[0:1]
	s_cbranch_execz .LBB72_310
; %bb.305:
	v_cmp_eq_u32_e32 vcc, 14, v161
	s_and_saveexec_b64 s[16:17], vcc
	s_cbranch_execz .LBB72_309
; %bb.306:
	v_cmp_ne_u32_e32 vcc, 14, v158
	s_xor_b64 s[18:19], s[14:15], -1
	s_and_b64 s[22:23], s[18:19], vcc
	s_and_saveexec_b64 s[18:19], s[22:23]
	s_cbranch_execz .LBB72_308
; %bb.307:
	v_ashrrev_i32_e32 v159, 31, v158
	v_lshl_add_u64 v[164:165], v[158:159], 2, v[156:157]
	global_load_dword v159, v[164:165], off
	global_load_dword v161, v[156:157], off offset:56
	s_waitcnt vmcnt(1)
	global_store_dword v[156:157], v159, off offset:56
	s_waitcnt vmcnt(1)
	global_store_dword v[164:165], v161, off
.LBB72_308:
	s_or_b64 exec, exec, s[18:19]
	v_mov_b32_e32 v161, v158
	v_mov_b32_e32 v163, v158
.LBB72_309:
	s_or_b64 exec, exec, s[16:17]
.LBB72_310:
	s_andn2_saveexec_b64 s[0:1], s[0:1]
	s_cbranch_execz .LBB72_312
; %bb.311:
	v_mov_b32_e32 v161, 14
	s_waitcnt vmcnt(21)
	ds_write2_b64 v160, v[80:81], v[82:83] offset0:30 offset1:31
	s_waitcnt vmcnt(20)
	ds_write2_b64 v160, v[76:77], v[78:79] offset0:32 offset1:33
	s_waitcnt vmcnt(19)
	ds_write2_b64 v160, v[72:73], v[74:75] offset0:34 offset1:35
	s_waitcnt vmcnt(18)
	ds_write2_b64 v160, v[68:69], v[70:71] offset0:36 offset1:37
	s_waitcnt vmcnt(17)
	ds_write2_b64 v160, v[64:65], v[66:67] offset0:38 offset1:39
	s_waitcnt vmcnt(16)
	ds_write2_b64 v160, v[60:61], v[62:63] offset0:40 offset1:41
	s_waitcnt vmcnt(15)
	ds_write2_b64 v160, v[56:57], v[58:59] offset0:42 offset1:43
	s_waitcnt vmcnt(14)
	ds_write2_b64 v160, v[52:53], v[54:55] offset0:44 offset1:45
	s_waitcnt vmcnt(13)
	ds_write2_b64 v160, v[48:49], v[50:51] offset0:46 offset1:47
	s_waitcnt vmcnt(12)
	ds_write2_b64 v160, v[44:45], v[46:47] offset0:48 offset1:49
	s_waitcnt vmcnt(11)
	ds_write2_b64 v160, v[40:41], v[42:43] offset0:50 offset1:51
	s_waitcnt vmcnt(10)
	ds_write2_b64 v160, v[36:37], v[38:39] offset0:52 offset1:53
	s_waitcnt vmcnt(9)
	ds_write2_b64 v160, v[32:33], v[34:35] offset0:54 offset1:55
	s_waitcnt vmcnt(8)
	ds_write2_b64 v160, v[28:29], v[30:31] offset0:56 offset1:57
	s_waitcnt vmcnt(7)
	ds_write2_b64 v160, v[24:25], v[26:27] offset0:58 offset1:59
	s_waitcnt vmcnt(6)
	ds_write2_b64 v160, v[20:21], v[22:23] offset0:60 offset1:61
	s_waitcnt vmcnt(5)
	ds_write2_b64 v160, v[16:17], v[18:19] offset0:62 offset1:63
	s_waitcnt vmcnt(4)
	ds_write2_b64 v160, v[12:13], v[14:15] offset0:64 offset1:65
	s_waitcnt vmcnt(3)
	ds_write2_b64 v160, v[8:9], v[10:11] offset0:66 offset1:67
	s_waitcnt vmcnt(2)
	ds_write2_b64 v160, v[4:5], v[6:7] offset0:68 offset1:69
	s_waitcnt vmcnt(1)
	ds_write2_b64 v160, v[0:1], v[2:3] offset0:70 offset1:71
	s_waitcnt vmcnt(0)
	ds_write2_b64 v160, v[144:145], v[146:147] offset0:72 offset1:73
.LBB72_312:
	s_or_b64 exec, exec, s[0:1]
	v_cmp_lt_i32_e32 vcc, 14, v161
	s_waitcnt lgkmcnt(0)
	s_barrier
	s_and_saveexec_b64 s[0:1], vcc
	s_cbranch_execz .LBB72_314
; %bb.313:
	ds_read2_b64 v[164:167], v160 offset0:30 offset1:31
	v_mul_f64 v[158:159], v[150:151], v[86:87]
	v_mul_f64 v[86:87], v[148:149], v[86:87]
	v_fma_f64 v[158:159], v[148:149], v[84:85], -v[158:159]
	v_fmac_f64_e32 v[86:87], v[150:151], v[84:85]
	ds_read2_b64 v[148:151], v160 offset0:32 offset1:33
	s_waitcnt lgkmcnt(1)
	v_mul_f64 v[84:85], v[166:167], v[86:87]
	v_fma_f64 v[84:85], v[164:165], v[158:159], -v[84:85]
	v_mul_f64 v[164:165], v[164:165], v[86:87]
	v_fmac_f64_e32 v[164:165], v[166:167], v[158:159]
	s_waitcnt vmcnt(21)
	v_add_f64 v[80:81], v[80:81], -v[84:85]
	s_waitcnt lgkmcnt(0)
	v_mul_f64 v[84:85], v[150:151], v[86:87]
	v_add_f64 v[82:83], v[82:83], -v[164:165]
	v_fma_f64 v[84:85], v[148:149], v[158:159], -v[84:85]
	v_mul_f64 v[148:149], v[148:149], v[86:87]
	ds_read2_b64 v[164:167], v160 offset0:34 offset1:35
	v_fmac_f64_e32 v[148:149], v[150:151], v[158:159]
	s_waitcnt vmcnt(20)
	v_add_f64 v[78:79], v[78:79], -v[148:149]
	ds_read2_b64 v[148:151], v160 offset0:36 offset1:37
	v_add_f64 v[76:77], v[76:77], -v[84:85]
	s_waitcnt lgkmcnt(1)
	v_mul_f64 v[84:85], v[166:167], v[86:87]
	v_fma_f64 v[84:85], v[164:165], v[158:159], -v[84:85]
	v_mul_f64 v[164:165], v[164:165], v[86:87]
	v_fmac_f64_e32 v[164:165], v[166:167], v[158:159]
	s_waitcnt vmcnt(19)
	v_add_f64 v[72:73], v[72:73], -v[84:85]
	s_waitcnt lgkmcnt(0)
	v_mul_f64 v[84:85], v[150:151], v[86:87]
	v_add_f64 v[74:75], v[74:75], -v[164:165]
	v_fma_f64 v[84:85], v[148:149], v[158:159], -v[84:85]
	v_mul_f64 v[148:149], v[148:149], v[86:87]
	ds_read2_b64 v[164:167], v160 offset0:38 offset1:39
	v_fmac_f64_e32 v[148:149], v[150:151], v[158:159]
	s_waitcnt vmcnt(18)
	v_add_f64 v[70:71], v[70:71], -v[148:149]
	ds_read2_b64 v[148:151], v160 offset0:40 offset1:41
	v_add_f64 v[68:69], v[68:69], -v[84:85]
	;; [unrolled: 18-line block ×10, first 2 shown]
	s_waitcnt lgkmcnt(1)
	v_mul_f64 v[84:85], v[166:167], v[86:87]
	v_fma_f64 v[84:85], v[164:165], v[158:159], -v[84:85]
	s_waitcnt vmcnt(1)
	v_add_f64 v[0:1], v[0:1], -v[84:85]
	s_waitcnt lgkmcnt(0)
	v_mul_f64 v[84:85], v[150:151], v[86:87]
	v_mul_f64 v[164:165], v[164:165], v[86:87]
	v_fma_f64 v[84:85], v[148:149], v[158:159], -v[84:85]
	v_mul_f64 v[148:149], v[148:149], v[86:87]
	v_fmac_f64_e32 v[164:165], v[166:167], v[158:159]
	v_fmac_f64_e32 v[148:149], v[150:151], v[158:159]
	v_add_f64 v[2:3], v[2:3], -v[164:165]
	s_waitcnt vmcnt(0)
	v_add_f64 v[144:145], v[144:145], -v[84:85]
	v_add_f64 v[146:147], v[146:147], -v[148:149]
	v_mov_b64_e32 v[84:85], v[158:159]
.LBB72_314:
	s_or_b64 exec, exec, s[0:1]
	v_lshl_add_u32 v148, v161, 4, v160
	s_barrier
	s_waitcnt vmcnt(21)
	ds_write2_b64 v148, v[80:81], v[82:83] offset1:1
	s_waitcnt lgkmcnt(0)
	s_barrier
	ds_read2_b64 v[148:151], v160 offset0:30 offset1:31
	s_cmp_lt_i32 s20, 17
	v_mov_b32_e32 v158, 15
	s_cbranch_scc1 .LBB72_317
; %bb.315:
	v_add_u32_e32 v159, 0x100, v160
	s_mov_b32 s16, 16
	v_mov_b32_e32 v158, 15
.LBB72_316:                             ; =>This Inner Loop Header: Depth=1
	ds_read2_b64 v[164:167], v159 offset1:1
	s_waitcnt lgkmcnt(1)
	v_xor_b32_e32 v169, 0x80000000, v149
	v_xor_b32_e32 v171, 0x80000000, v151
	v_cmp_gt_f64_e32 vcc, 0, v[150:151]
	v_cmp_gt_f64_e64 s[0:1], 0, v[148:149]
	v_mov_b32_e32 v168, v148
	v_mov_b32_e32 v170, v150
	v_cndmask_b32_e64 v169, v149, v169, s[0:1]
	v_cndmask_b32_e32 v171, v151, v171, vcc
	v_add_f64 v[168:169], v[168:169], v[170:171]
	s_waitcnt lgkmcnt(0)
	v_xor_b32_e32 v171, 0x80000000, v165
	v_xor_b32_e32 v173, 0x80000000, v167
	v_cmp_gt_f64_e32 vcc, 0, v[166:167]
	v_cmp_gt_f64_e64 s[0:1], 0, v[164:165]
	v_mov_b32_e32 v170, v164
	v_mov_b32_e32 v172, v166
	v_cndmask_b32_e64 v171, v165, v171, s[0:1]
	v_cndmask_b32_e32 v173, v167, v173, vcc
	v_add_f64 v[170:171], v[170:171], v[172:173]
	v_mov_b32_e32 v174, s16
	s_add_i32 s16, s16, 1
	v_cmp_lt_f64_e32 vcc, v[168:169], v[170:171]
	v_add_u32_e32 v159, 16, v159
	s_cmp_lg_u32 s20, s16
	v_cndmask_b32_e32 v149, v149, v165, vcc
	v_cndmask_b32_e32 v148, v148, v164, vcc
	;; [unrolled: 1-line block ×5, first 2 shown]
	s_cbranch_scc1 .LBB72_316
.LBB72_317:
	s_waitcnt lgkmcnt(0)
	v_cmp_eq_f64_e32 vcc, 0, v[148:149]
	v_cmp_eq_f64_e64 s[0:1], 0, v[150:151]
	s_and_b64 s[0:1], vcc, s[0:1]
	s_and_saveexec_b64 s[16:17], s[0:1]
	s_xor_b64 s[0:1], exec, s[16:17]
; %bb.318:
	v_cmp_ne_u32_e32 vcc, 0, v162
	s_nop 1
	v_cndmask_b32_e32 v162, 16, v162, vcc
; %bb.319:
	s_andn2_saveexec_b64 s[0:1], s[0:1]
	s_cbranch_execz .LBB72_325
; %bb.320:
	v_cmp_ngt_f64_e64 s[16:17], |v[148:149]|, |v[150:151]|
	s_and_saveexec_b64 s[18:19], s[16:17]
	s_xor_b64 s[16:17], exec, s[18:19]
	s_cbranch_execz .LBB72_322
; %bb.321:
	v_div_scale_f64 v[164:165], s[18:19], v[150:151], v[150:151], v[148:149]
	v_rcp_f64_e32 v[166:167], v[164:165]
	v_div_scale_f64 v[168:169], vcc, v[148:149], v[150:151], v[148:149]
	v_fma_f64 v[170:171], -v[164:165], v[166:167], 1.0
	v_fmac_f64_e32 v[166:167], v[166:167], v[170:171]
	v_fma_f64 v[170:171], -v[164:165], v[166:167], 1.0
	v_fmac_f64_e32 v[166:167], v[166:167], v[170:171]
	v_mul_f64 v[170:171], v[168:169], v[166:167]
	v_fma_f64 v[164:165], -v[164:165], v[170:171], v[168:169]
	v_div_fmas_f64 v[164:165], v[164:165], v[166:167], v[170:171]
	v_div_fixup_f64 v[164:165], v[164:165], v[150:151], v[148:149]
	v_fmac_f64_e32 v[150:151], v[148:149], v[164:165]
	v_div_scale_f64 v[148:149], s[18:19], v[150:151], v[150:151], 1.0
	v_rcp_f64_e32 v[166:167], v[148:149]
	s_nop 0
	v_fma_f64 v[168:169], -v[148:149], v[166:167], 1.0
	v_fmac_f64_e32 v[166:167], v[166:167], v[168:169]
	v_fma_f64 v[168:169], -v[148:149], v[166:167], 1.0
	v_fmac_f64_e32 v[166:167], v[166:167], v[168:169]
	v_div_scale_f64 v[168:169], vcc, 1.0, v[150:151], 1.0
	v_mul_f64 v[170:171], v[168:169], v[166:167]
	v_fma_f64 v[148:149], -v[148:149], v[170:171], v[168:169]
	s_nop 1
	v_div_fmas_f64 v[148:149], v[148:149], v[166:167], v[170:171]
	v_div_fixup_f64 v[150:151], v[148:149], v[150:151], 1.0
	v_mul_f64 v[148:149], v[164:165], v[150:151]
	v_xor_b32_e32 v151, 0x80000000, v151
.LBB72_322:
	s_andn2_saveexec_b64 s[16:17], s[16:17]
	s_cbranch_execz .LBB72_324
; %bb.323:
	v_div_scale_f64 v[164:165], s[18:19], v[148:149], v[148:149], v[150:151]
	v_rcp_f64_e32 v[166:167], v[164:165]
	v_div_scale_f64 v[168:169], vcc, v[150:151], v[148:149], v[150:151]
	v_fma_f64 v[170:171], -v[164:165], v[166:167], 1.0
	v_fmac_f64_e32 v[166:167], v[166:167], v[170:171]
	v_fma_f64 v[170:171], -v[164:165], v[166:167], 1.0
	v_fmac_f64_e32 v[166:167], v[166:167], v[170:171]
	v_mul_f64 v[170:171], v[168:169], v[166:167]
	v_fma_f64 v[164:165], -v[164:165], v[170:171], v[168:169]
	v_div_fmas_f64 v[164:165], v[164:165], v[166:167], v[170:171]
	v_div_fixup_f64 v[164:165], v[164:165], v[148:149], v[150:151]
	v_fmac_f64_e32 v[148:149], v[150:151], v[164:165]
	v_div_scale_f64 v[150:151], s[18:19], v[148:149], v[148:149], 1.0
	v_rcp_f64_e32 v[166:167], v[150:151]
	s_nop 0
	v_fma_f64 v[168:169], -v[150:151], v[166:167], 1.0
	v_fmac_f64_e32 v[166:167], v[166:167], v[168:169]
	v_fma_f64 v[168:169], -v[150:151], v[166:167], 1.0
	v_fmac_f64_e32 v[166:167], v[166:167], v[168:169]
	v_div_scale_f64 v[168:169], vcc, 1.0, v[148:149], 1.0
	v_mul_f64 v[170:171], v[168:169], v[166:167]
	v_fma_f64 v[150:151], -v[150:151], v[170:171], v[168:169]
	s_nop 1
	v_div_fmas_f64 v[150:151], v[150:151], v[166:167], v[170:171]
	v_div_fixup_f64 v[148:149], v[150:151], v[148:149], 1.0
	v_mul_f64 v[150:151], v[164:165], -v[148:149]
.LBB72_324:
	s_or_b64 exec, exec, s[16:17]
.LBB72_325:
	s_or_b64 exec, exec, s[0:1]
	v_cmp_ne_u32_e32 vcc, v161, v158
	s_and_saveexec_b64 s[0:1], vcc
	s_xor_b64 s[0:1], exec, s[0:1]
	s_cbranch_execz .LBB72_331
; %bb.326:
	v_cmp_eq_u32_e32 vcc, 15, v161
	s_and_saveexec_b64 s[16:17], vcc
	s_cbranch_execz .LBB72_330
; %bb.327:
	v_cmp_ne_u32_e32 vcc, 15, v158
	s_xor_b64 s[18:19], s[14:15], -1
	s_and_b64 s[22:23], s[18:19], vcc
	s_and_saveexec_b64 s[18:19], s[22:23]
	s_cbranch_execz .LBB72_329
; %bb.328:
	v_ashrrev_i32_e32 v159, 31, v158
	v_lshl_add_u64 v[164:165], v[158:159], 2, v[156:157]
	global_load_dword v159, v[164:165], off
	global_load_dword v161, v[156:157], off offset:60
	s_waitcnt vmcnt(1)
	global_store_dword v[156:157], v159, off offset:60
	s_waitcnt vmcnt(1)
	global_store_dword v[164:165], v161, off
.LBB72_329:
	s_or_b64 exec, exec, s[18:19]
	v_mov_b32_e32 v161, v158
	v_mov_b32_e32 v163, v158
.LBB72_330:
	s_or_b64 exec, exec, s[16:17]
.LBB72_331:
	s_andn2_saveexec_b64 s[0:1], s[0:1]
	s_cbranch_execz .LBB72_333
; %bb.332:
	v_mov_b32_e32 v161, 15
	s_waitcnt vmcnt(20)
	ds_write2_b64 v160, v[76:77], v[78:79] offset0:32 offset1:33
	s_waitcnt vmcnt(19)
	ds_write2_b64 v160, v[72:73], v[74:75] offset0:34 offset1:35
	;; [unrolled: 2-line block ×21, first 2 shown]
.LBB72_333:
	s_or_b64 exec, exec, s[0:1]
	v_cmp_lt_i32_e32 vcc, 15, v161
	s_waitcnt lgkmcnt(0)
	s_barrier
	s_and_saveexec_b64 s[0:1], vcc
	s_cbranch_execz .LBB72_335
; %bb.334:
	ds_read2_b64 v[164:167], v160 offset0:32 offset1:33
	v_mul_f64 v[158:159], v[150:151], v[82:83]
	v_mul_f64 v[82:83], v[148:149], v[82:83]
	v_fmac_f64_e32 v[82:83], v[150:151], v[80:81]
	v_fma_f64 v[158:159], v[148:149], v[80:81], -v[158:159]
	ds_read2_b64 v[148:151], v160 offset0:34 offset1:35
	s_waitcnt lgkmcnt(1)
	v_mul_f64 v[80:81], v[166:167], v[82:83]
	v_fma_f64 v[80:81], v[164:165], v[158:159], -v[80:81]
	v_mul_f64 v[164:165], v[164:165], v[82:83]
	v_fmac_f64_e32 v[164:165], v[166:167], v[158:159]
	s_waitcnt vmcnt(20)
	v_add_f64 v[78:79], v[78:79], -v[164:165]
	ds_read2_b64 v[164:167], v160 offset0:36 offset1:37
	v_add_f64 v[76:77], v[76:77], -v[80:81]
	s_waitcnt lgkmcnt(1)
	v_mul_f64 v[80:81], v[150:151], v[82:83]
	v_fma_f64 v[80:81], v[148:149], v[158:159], -v[80:81]
	v_mul_f64 v[148:149], v[148:149], v[82:83]
	v_fmac_f64_e32 v[148:149], v[150:151], v[158:159]
	s_waitcnt vmcnt(19)
	v_add_f64 v[72:73], v[72:73], -v[80:81]
	v_add_f64 v[74:75], v[74:75], -v[148:149]
	ds_read2_b64 v[148:151], v160 offset0:38 offset1:39
	s_waitcnt lgkmcnt(1)
	v_mul_f64 v[80:81], v[166:167], v[82:83]
	v_fma_f64 v[80:81], v[164:165], v[158:159], -v[80:81]
	v_mul_f64 v[164:165], v[164:165], v[82:83]
	v_fmac_f64_e32 v[164:165], v[166:167], v[158:159]
	s_waitcnt vmcnt(18)
	v_add_f64 v[70:71], v[70:71], -v[164:165]
	ds_read2_b64 v[164:167], v160 offset0:40 offset1:41
	v_add_f64 v[68:69], v[68:69], -v[80:81]
	s_waitcnt lgkmcnt(1)
	v_mul_f64 v[80:81], v[150:151], v[82:83]
	v_fma_f64 v[80:81], v[148:149], v[158:159], -v[80:81]
	v_mul_f64 v[148:149], v[148:149], v[82:83]
	v_fmac_f64_e32 v[148:149], v[150:151], v[158:159]
	s_waitcnt vmcnt(17)
	v_add_f64 v[64:65], v[64:65], -v[80:81]
	v_add_f64 v[66:67], v[66:67], -v[148:149]
	;; [unrolled: 18-line block ×10, first 2 shown]
	s_waitcnt lgkmcnt(0)
	v_mul_f64 v[80:81], v[166:167], v[82:83]
	v_mul_f64 v[148:149], v[164:165], v[82:83]
	v_fma_f64 v[80:81], v[164:165], v[158:159], -v[80:81]
	v_fmac_f64_e32 v[148:149], v[166:167], v[158:159]
	s_waitcnt vmcnt(0)
	v_add_f64 v[144:145], v[144:145], -v[80:81]
	v_add_f64 v[146:147], v[146:147], -v[148:149]
	v_mov_b64_e32 v[80:81], v[158:159]
.LBB72_335:
	s_or_b64 exec, exec, s[0:1]
	v_lshl_add_u32 v148, v161, 4, v160
	s_barrier
	s_waitcnt vmcnt(20)
	ds_write2_b64 v148, v[76:77], v[78:79] offset1:1
	s_waitcnt lgkmcnt(0)
	s_barrier
	ds_read2_b64 v[148:151], v160 offset0:32 offset1:33
	s_cmp_lt_i32 s20, 18
	v_mov_b32_e32 v158, 16
	s_cbranch_scc1 .LBB72_338
; %bb.336:
	v_add_u32_e32 v159, 0x110, v160
	s_mov_b32 s16, 17
	v_mov_b32_e32 v158, 16
.LBB72_337:                             ; =>This Inner Loop Header: Depth=1
	ds_read2_b64 v[164:167], v159 offset1:1
	s_waitcnt lgkmcnt(1)
	v_xor_b32_e32 v169, 0x80000000, v149
	v_xor_b32_e32 v171, 0x80000000, v151
	v_cmp_gt_f64_e32 vcc, 0, v[150:151]
	v_cmp_gt_f64_e64 s[0:1], 0, v[148:149]
	v_mov_b32_e32 v168, v148
	v_mov_b32_e32 v170, v150
	v_cndmask_b32_e64 v169, v149, v169, s[0:1]
	v_cndmask_b32_e32 v171, v151, v171, vcc
	v_add_f64 v[168:169], v[168:169], v[170:171]
	s_waitcnt lgkmcnt(0)
	v_xor_b32_e32 v171, 0x80000000, v165
	v_xor_b32_e32 v173, 0x80000000, v167
	v_cmp_gt_f64_e32 vcc, 0, v[166:167]
	v_cmp_gt_f64_e64 s[0:1], 0, v[164:165]
	v_mov_b32_e32 v170, v164
	v_mov_b32_e32 v172, v166
	v_cndmask_b32_e64 v171, v165, v171, s[0:1]
	v_cndmask_b32_e32 v173, v167, v173, vcc
	v_add_f64 v[170:171], v[170:171], v[172:173]
	v_mov_b32_e32 v174, s16
	s_add_i32 s16, s16, 1
	v_cmp_lt_f64_e32 vcc, v[168:169], v[170:171]
	v_add_u32_e32 v159, 16, v159
	s_cmp_lg_u32 s20, s16
	v_cndmask_b32_e32 v149, v149, v165, vcc
	v_cndmask_b32_e32 v148, v148, v164, vcc
	;; [unrolled: 1-line block ×5, first 2 shown]
	s_cbranch_scc1 .LBB72_337
.LBB72_338:
	s_waitcnt lgkmcnt(0)
	v_cmp_eq_f64_e32 vcc, 0, v[148:149]
	v_cmp_eq_f64_e64 s[0:1], 0, v[150:151]
	s_and_b64 s[0:1], vcc, s[0:1]
	s_and_saveexec_b64 s[16:17], s[0:1]
	s_xor_b64 s[0:1], exec, s[16:17]
; %bb.339:
	v_cmp_ne_u32_e32 vcc, 0, v162
	s_nop 1
	v_cndmask_b32_e32 v162, 17, v162, vcc
; %bb.340:
	s_andn2_saveexec_b64 s[0:1], s[0:1]
	s_cbranch_execz .LBB72_346
; %bb.341:
	v_cmp_ngt_f64_e64 s[16:17], |v[148:149]|, |v[150:151]|
	s_and_saveexec_b64 s[18:19], s[16:17]
	s_xor_b64 s[16:17], exec, s[18:19]
	s_cbranch_execz .LBB72_343
; %bb.342:
	v_div_scale_f64 v[164:165], s[18:19], v[150:151], v[150:151], v[148:149]
	v_rcp_f64_e32 v[166:167], v[164:165]
	v_div_scale_f64 v[168:169], vcc, v[148:149], v[150:151], v[148:149]
	v_fma_f64 v[170:171], -v[164:165], v[166:167], 1.0
	v_fmac_f64_e32 v[166:167], v[166:167], v[170:171]
	v_fma_f64 v[170:171], -v[164:165], v[166:167], 1.0
	v_fmac_f64_e32 v[166:167], v[166:167], v[170:171]
	v_mul_f64 v[170:171], v[168:169], v[166:167]
	v_fma_f64 v[164:165], -v[164:165], v[170:171], v[168:169]
	v_div_fmas_f64 v[164:165], v[164:165], v[166:167], v[170:171]
	v_div_fixup_f64 v[164:165], v[164:165], v[150:151], v[148:149]
	v_fmac_f64_e32 v[150:151], v[148:149], v[164:165]
	v_div_scale_f64 v[148:149], s[18:19], v[150:151], v[150:151], 1.0
	v_rcp_f64_e32 v[166:167], v[148:149]
	s_nop 0
	v_fma_f64 v[168:169], -v[148:149], v[166:167], 1.0
	v_fmac_f64_e32 v[166:167], v[166:167], v[168:169]
	v_fma_f64 v[168:169], -v[148:149], v[166:167], 1.0
	v_fmac_f64_e32 v[166:167], v[166:167], v[168:169]
	v_div_scale_f64 v[168:169], vcc, 1.0, v[150:151], 1.0
	v_mul_f64 v[170:171], v[168:169], v[166:167]
	v_fma_f64 v[148:149], -v[148:149], v[170:171], v[168:169]
	s_nop 1
	v_div_fmas_f64 v[148:149], v[148:149], v[166:167], v[170:171]
	v_div_fixup_f64 v[150:151], v[148:149], v[150:151], 1.0
	v_mul_f64 v[148:149], v[164:165], v[150:151]
	v_xor_b32_e32 v151, 0x80000000, v151
.LBB72_343:
	s_andn2_saveexec_b64 s[16:17], s[16:17]
	s_cbranch_execz .LBB72_345
; %bb.344:
	v_div_scale_f64 v[164:165], s[18:19], v[148:149], v[148:149], v[150:151]
	v_rcp_f64_e32 v[166:167], v[164:165]
	v_div_scale_f64 v[168:169], vcc, v[150:151], v[148:149], v[150:151]
	v_fma_f64 v[170:171], -v[164:165], v[166:167], 1.0
	v_fmac_f64_e32 v[166:167], v[166:167], v[170:171]
	v_fma_f64 v[170:171], -v[164:165], v[166:167], 1.0
	v_fmac_f64_e32 v[166:167], v[166:167], v[170:171]
	v_mul_f64 v[170:171], v[168:169], v[166:167]
	v_fma_f64 v[164:165], -v[164:165], v[170:171], v[168:169]
	v_div_fmas_f64 v[164:165], v[164:165], v[166:167], v[170:171]
	v_div_fixup_f64 v[164:165], v[164:165], v[148:149], v[150:151]
	v_fmac_f64_e32 v[148:149], v[150:151], v[164:165]
	v_div_scale_f64 v[150:151], s[18:19], v[148:149], v[148:149], 1.0
	v_rcp_f64_e32 v[166:167], v[150:151]
	s_nop 0
	v_fma_f64 v[168:169], -v[150:151], v[166:167], 1.0
	v_fmac_f64_e32 v[166:167], v[166:167], v[168:169]
	v_fma_f64 v[168:169], -v[150:151], v[166:167], 1.0
	v_fmac_f64_e32 v[166:167], v[166:167], v[168:169]
	v_div_scale_f64 v[168:169], vcc, 1.0, v[148:149], 1.0
	v_mul_f64 v[170:171], v[168:169], v[166:167]
	v_fma_f64 v[150:151], -v[150:151], v[170:171], v[168:169]
	s_nop 1
	v_div_fmas_f64 v[150:151], v[150:151], v[166:167], v[170:171]
	v_div_fixup_f64 v[148:149], v[150:151], v[148:149], 1.0
	v_mul_f64 v[150:151], v[164:165], -v[148:149]
.LBB72_345:
	s_or_b64 exec, exec, s[16:17]
.LBB72_346:
	s_or_b64 exec, exec, s[0:1]
	v_cmp_ne_u32_e32 vcc, v161, v158
	s_and_saveexec_b64 s[0:1], vcc
	s_xor_b64 s[0:1], exec, s[0:1]
	s_cbranch_execz .LBB72_352
; %bb.347:
	v_cmp_eq_u32_e32 vcc, 16, v161
	s_and_saveexec_b64 s[16:17], vcc
	s_cbranch_execz .LBB72_351
; %bb.348:
	v_cmp_ne_u32_e32 vcc, 16, v158
	s_xor_b64 s[18:19], s[14:15], -1
	s_and_b64 s[22:23], s[18:19], vcc
	s_and_saveexec_b64 s[18:19], s[22:23]
	s_cbranch_execz .LBB72_350
; %bb.349:
	v_ashrrev_i32_e32 v159, 31, v158
	v_lshl_add_u64 v[164:165], v[158:159], 2, v[156:157]
	global_load_dword v159, v[164:165], off
	global_load_dword v161, v[156:157], off offset:64
	s_waitcnt vmcnt(1)
	global_store_dword v[156:157], v159, off offset:64
	s_waitcnt vmcnt(1)
	global_store_dword v[164:165], v161, off
.LBB72_350:
	s_or_b64 exec, exec, s[18:19]
	v_mov_b32_e32 v161, v158
	v_mov_b32_e32 v163, v158
.LBB72_351:
	s_or_b64 exec, exec, s[16:17]
.LBB72_352:
	s_andn2_saveexec_b64 s[0:1], s[0:1]
	s_cbranch_execz .LBB72_354
; %bb.353:
	v_mov_b32_e32 v161, 16
	s_waitcnt vmcnt(19)
	ds_write2_b64 v160, v[72:73], v[74:75] offset0:34 offset1:35
	s_waitcnt vmcnt(18)
	ds_write2_b64 v160, v[68:69], v[70:71] offset0:36 offset1:37
	;; [unrolled: 2-line block ×20, first 2 shown]
.LBB72_354:
	s_or_b64 exec, exec, s[0:1]
	v_cmp_lt_i32_e32 vcc, 16, v161
	s_waitcnt lgkmcnt(0)
	s_barrier
	s_and_saveexec_b64 s[0:1], vcc
	s_cbranch_execz .LBB72_356
; %bb.355:
	ds_read2_b64 v[164:167], v160 offset0:34 offset1:35
	v_mul_f64 v[158:159], v[150:151], v[78:79]
	v_mul_f64 v[78:79], v[148:149], v[78:79]
	v_fma_f64 v[158:159], v[148:149], v[76:77], -v[158:159]
	v_fmac_f64_e32 v[78:79], v[150:151], v[76:77]
	ds_read2_b64 v[148:151], v160 offset0:36 offset1:37
	s_waitcnt lgkmcnt(1)
	v_mul_f64 v[76:77], v[166:167], v[78:79]
	v_fma_f64 v[76:77], v[164:165], v[158:159], -v[76:77]
	v_mul_f64 v[164:165], v[164:165], v[78:79]
	v_fmac_f64_e32 v[164:165], v[166:167], v[158:159]
	s_waitcnt vmcnt(19)
	v_add_f64 v[72:73], v[72:73], -v[76:77]
	s_waitcnt lgkmcnt(0)
	v_mul_f64 v[76:77], v[150:151], v[78:79]
	v_add_f64 v[74:75], v[74:75], -v[164:165]
	v_fma_f64 v[76:77], v[148:149], v[158:159], -v[76:77]
	v_mul_f64 v[148:149], v[148:149], v[78:79]
	ds_read2_b64 v[164:167], v160 offset0:38 offset1:39
	v_fmac_f64_e32 v[148:149], v[150:151], v[158:159]
	s_waitcnt vmcnt(18)
	v_add_f64 v[70:71], v[70:71], -v[148:149]
	ds_read2_b64 v[148:151], v160 offset0:40 offset1:41
	v_add_f64 v[68:69], v[68:69], -v[76:77]
	s_waitcnt lgkmcnt(1)
	v_mul_f64 v[76:77], v[166:167], v[78:79]
	v_fma_f64 v[76:77], v[164:165], v[158:159], -v[76:77]
	v_mul_f64 v[164:165], v[164:165], v[78:79]
	v_fmac_f64_e32 v[164:165], v[166:167], v[158:159]
	s_waitcnt vmcnt(17)
	v_add_f64 v[64:65], v[64:65], -v[76:77]
	s_waitcnt lgkmcnt(0)
	v_mul_f64 v[76:77], v[150:151], v[78:79]
	v_add_f64 v[66:67], v[66:67], -v[164:165]
	v_fma_f64 v[76:77], v[148:149], v[158:159], -v[76:77]
	v_mul_f64 v[148:149], v[148:149], v[78:79]
	ds_read2_b64 v[164:167], v160 offset0:42 offset1:43
	v_fmac_f64_e32 v[148:149], v[150:151], v[158:159]
	s_waitcnt vmcnt(16)
	v_add_f64 v[62:63], v[62:63], -v[148:149]
	ds_read2_b64 v[148:151], v160 offset0:44 offset1:45
	v_add_f64 v[60:61], v[60:61], -v[76:77]
	;; [unrolled: 18-line block ×9, first 2 shown]
	s_waitcnt lgkmcnt(1)
	v_mul_f64 v[76:77], v[166:167], v[78:79]
	v_fma_f64 v[76:77], v[164:165], v[158:159], -v[76:77]
	s_waitcnt vmcnt(1)
	v_add_f64 v[0:1], v[0:1], -v[76:77]
	s_waitcnt lgkmcnt(0)
	v_mul_f64 v[76:77], v[150:151], v[78:79]
	v_mul_f64 v[164:165], v[164:165], v[78:79]
	v_fma_f64 v[76:77], v[148:149], v[158:159], -v[76:77]
	v_mul_f64 v[148:149], v[148:149], v[78:79]
	v_fmac_f64_e32 v[164:165], v[166:167], v[158:159]
	v_fmac_f64_e32 v[148:149], v[150:151], v[158:159]
	v_add_f64 v[2:3], v[2:3], -v[164:165]
	s_waitcnt vmcnt(0)
	v_add_f64 v[144:145], v[144:145], -v[76:77]
	v_add_f64 v[146:147], v[146:147], -v[148:149]
	v_mov_b64_e32 v[76:77], v[158:159]
.LBB72_356:
	s_or_b64 exec, exec, s[0:1]
	v_lshl_add_u32 v148, v161, 4, v160
	s_barrier
	s_waitcnt vmcnt(19)
	ds_write2_b64 v148, v[72:73], v[74:75] offset1:1
	s_waitcnt lgkmcnt(0)
	s_barrier
	ds_read2_b64 v[148:151], v160 offset0:34 offset1:35
	s_cmp_lt_i32 s20, 19
	v_mov_b32_e32 v158, 17
	s_cbranch_scc1 .LBB72_359
; %bb.357:
	v_add_u32_e32 v159, 0x120, v160
	s_mov_b32 s16, 18
	v_mov_b32_e32 v158, 17
.LBB72_358:                             ; =>This Inner Loop Header: Depth=1
	ds_read2_b64 v[164:167], v159 offset1:1
	s_waitcnt lgkmcnt(1)
	v_xor_b32_e32 v169, 0x80000000, v149
	v_xor_b32_e32 v171, 0x80000000, v151
	v_cmp_gt_f64_e32 vcc, 0, v[150:151]
	v_cmp_gt_f64_e64 s[0:1], 0, v[148:149]
	v_mov_b32_e32 v168, v148
	v_mov_b32_e32 v170, v150
	v_cndmask_b32_e64 v169, v149, v169, s[0:1]
	v_cndmask_b32_e32 v171, v151, v171, vcc
	v_add_f64 v[168:169], v[168:169], v[170:171]
	s_waitcnt lgkmcnt(0)
	v_xor_b32_e32 v171, 0x80000000, v165
	v_xor_b32_e32 v173, 0x80000000, v167
	v_cmp_gt_f64_e32 vcc, 0, v[166:167]
	v_cmp_gt_f64_e64 s[0:1], 0, v[164:165]
	v_mov_b32_e32 v170, v164
	v_mov_b32_e32 v172, v166
	v_cndmask_b32_e64 v171, v165, v171, s[0:1]
	v_cndmask_b32_e32 v173, v167, v173, vcc
	v_add_f64 v[170:171], v[170:171], v[172:173]
	v_mov_b32_e32 v174, s16
	s_add_i32 s16, s16, 1
	v_cmp_lt_f64_e32 vcc, v[168:169], v[170:171]
	v_add_u32_e32 v159, 16, v159
	s_cmp_lg_u32 s20, s16
	v_cndmask_b32_e32 v149, v149, v165, vcc
	v_cndmask_b32_e32 v148, v148, v164, vcc
	;; [unrolled: 1-line block ×5, first 2 shown]
	s_cbranch_scc1 .LBB72_358
.LBB72_359:
	s_waitcnt lgkmcnt(0)
	v_cmp_eq_f64_e32 vcc, 0, v[148:149]
	v_cmp_eq_f64_e64 s[0:1], 0, v[150:151]
	s_and_b64 s[0:1], vcc, s[0:1]
	s_and_saveexec_b64 s[16:17], s[0:1]
	s_xor_b64 s[0:1], exec, s[16:17]
; %bb.360:
	v_cmp_ne_u32_e32 vcc, 0, v162
	s_nop 1
	v_cndmask_b32_e32 v162, 18, v162, vcc
; %bb.361:
	s_andn2_saveexec_b64 s[0:1], s[0:1]
	s_cbranch_execz .LBB72_367
; %bb.362:
	v_cmp_ngt_f64_e64 s[16:17], |v[148:149]|, |v[150:151]|
	s_and_saveexec_b64 s[18:19], s[16:17]
	s_xor_b64 s[16:17], exec, s[18:19]
	s_cbranch_execz .LBB72_364
; %bb.363:
	v_div_scale_f64 v[164:165], s[18:19], v[150:151], v[150:151], v[148:149]
	v_rcp_f64_e32 v[166:167], v[164:165]
	v_div_scale_f64 v[168:169], vcc, v[148:149], v[150:151], v[148:149]
	v_fma_f64 v[170:171], -v[164:165], v[166:167], 1.0
	v_fmac_f64_e32 v[166:167], v[166:167], v[170:171]
	v_fma_f64 v[170:171], -v[164:165], v[166:167], 1.0
	v_fmac_f64_e32 v[166:167], v[166:167], v[170:171]
	v_mul_f64 v[170:171], v[168:169], v[166:167]
	v_fma_f64 v[164:165], -v[164:165], v[170:171], v[168:169]
	v_div_fmas_f64 v[164:165], v[164:165], v[166:167], v[170:171]
	v_div_fixup_f64 v[164:165], v[164:165], v[150:151], v[148:149]
	v_fmac_f64_e32 v[150:151], v[148:149], v[164:165]
	v_div_scale_f64 v[148:149], s[18:19], v[150:151], v[150:151], 1.0
	v_rcp_f64_e32 v[166:167], v[148:149]
	s_nop 0
	v_fma_f64 v[168:169], -v[148:149], v[166:167], 1.0
	v_fmac_f64_e32 v[166:167], v[166:167], v[168:169]
	v_fma_f64 v[168:169], -v[148:149], v[166:167], 1.0
	v_fmac_f64_e32 v[166:167], v[166:167], v[168:169]
	v_div_scale_f64 v[168:169], vcc, 1.0, v[150:151], 1.0
	v_mul_f64 v[170:171], v[168:169], v[166:167]
	v_fma_f64 v[148:149], -v[148:149], v[170:171], v[168:169]
	s_nop 1
	v_div_fmas_f64 v[148:149], v[148:149], v[166:167], v[170:171]
	v_div_fixup_f64 v[150:151], v[148:149], v[150:151], 1.0
	v_mul_f64 v[148:149], v[164:165], v[150:151]
	v_xor_b32_e32 v151, 0x80000000, v151
.LBB72_364:
	s_andn2_saveexec_b64 s[16:17], s[16:17]
	s_cbranch_execz .LBB72_366
; %bb.365:
	v_div_scale_f64 v[164:165], s[18:19], v[148:149], v[148:149], v[150:151]
	v_rcp_f64_e32 v[166:167], v[164:165]
	v_div_scale_f64 v[168:169], vcc, v[150:151], v[148:149], v[150:151]
	v_fma_f64 v[170:171], -v[164:165], v[166:167], 1.0
	v_fmac_f64_e32 v[166:167], v[166:167], v[170:171]
	v_fma_f64 v[170:171], -v[164:165], v[166:167], 1.0
	v_fmac_f64_e32 v[166:167], v[166:167], v[170:171]
	v_mul_f64 v[170:171], v[168:169], v[166:167]
	v_fma_f64 v[164:165], -v[164:165], v[170:171], v[168:169]
	v_div_fmas_f64 v[164:165], v[164:165], v[166:167], v[170:171]
	v_div_fixup_f64 v[164:165], v[164:165], v[148:149], v[150:151]
	v_fmac_f64_e32 v[148:149], v[150:151], v[164:165]
	v_div_scale_f64 v[150:151], s[18:19], v[148:149], v[148:149], 1.0
	v_rcp_f64_e32 v[166:167], v[150:151]
	s_nop 0
	v_fma_f64 v[168:169], -v[150:151], v[166:167], 1.0
	v_fmac_f64_e32 v[166:167], v[166:167], v[168:169]
	v_fma_f64 v[168:169], -v[150:151], v[166:167], 1.0
	v_fmac_f64_e32 v[166:167], v[166:167], v[168:169]
	v_div_scale_f64 v[168:169], vcc, 1.0, v[148:149], 1.0
	v_mul_f64 v[170:171], v[168:169], v[166:167]
	v_fma_f64 v[150:151], -v[150:151], v[170:171], v[168:169]
	s_nop 1
	v_div_fmas_f64 v[150:151], v[150:151], v[166:167], v[170:171]
	v_div_fixup_f64 v[148:149], v[150:151], v[148:149], 1.0
	v_mul_f64 v[150:151], v[164:165], -v[148:149]
.LBB72_366:
	s_or_b64 exec, exec, s[16:17]
.LBB72_367:
	s_or_b64 exec, exec, s[0:1]
	v_cmp_ne_u32_e32 vcc, v161, v158
	s_and_saveexec_b64 s[0:1], vcc
	s_xor_b64 s[0:1], exec, s[0:1]
	s_cbranch_execz .LBB72_373
; %bb.368:
	v_cmp_eq_u32_e32 vcc, 17, v161
	s_and_saveexec_b64 s[16:17], vcc
	s_cbranch_execz .LBB72_372
; %bb.369:
	v_cmp_ne_u32_e32 vcc, 17, v158
	s_xor_b64 s[18:19], s[14:15], -1
	s_and_b64 s[22:23], s[18:19], vcc
	s_and_saveexec_b64 s[18:19], s[22:23]
	s_cbranch_execz .LBB72_371
; %bb.370:
	v_ashrrev_i32_e32 v159, 31, v158
	v_lshl_add_u64 v[164:165], v[158:159], 2, v[156:157]
	global_load_dword v159, v[164:165], off
	global_load_dword v161, v[156:157], off offset:68
	s_waitcnt vmcnt(1)
	global_store_dword v[156:157], v159, off offset:68
	s_waitcnt vmcnt(1)
	global_store_dword v[164:165], v161, off
.LBB72_371:
	s_or_b64 exec, exec, s[18:19]
	v_mov_b32_e32 v161, v158
	v_mov_b32_e32 v163, v158
.LBB72_372:
	s_or_b64 exec, exec, s[16:17]
.LBB72_373:
	s_andn2_saveexec_b64 s[0:1], s[0:1]
	s_cbranch_execz .LBB72_375
; %bb.374:
	v_mov_b32_e32 v161, 17
	s_waitcnt vmcnt(18)
	ds_write2_b64 v160, v[68:69], v[70:71] offset0:36 offset1:37
	s_waitcnt vmcnt(17)
	ds_write2_b64 v160, v[64:65], v[66:67] offset0:38 offset1:39
	;; [unrolled: 2-line block ×19, first 2 shown]
.LBB72_375:
	s_or_b64 exec, exec, s[0:1]
	v_cmp_lt_i32_e32 vcc, 17, v161
	s_waitcnt lgkmcnt(0)
	s_barrier
	s_and_saveexec_b64 s[0:1], vcc
	s_cbranch_execz .LBB72_377
; %bb.376:
	ds_read2_b64 v[164:167], v160 offset0:36 offset1:37
	v_mul_f64 v[158:159], v[150:151], v[74:75]
	v_mul_f64 v[74:75], v[148:149], v[74:75]
	v_fmac_f64_e32 v[74:75], v[150:151], v[72:73]
	v_fma_f64 v[158:159], v[148:149], v[72:73], -v[158:159]
	ds_read2_b64 v[148:151], v160 offset0:38 offset1:39
	s_waitcnt lgkmcnt(1)
	v_mul_f64 v[72:73], v[166:167], v[74:75]
	v_fma_f64 v[72:73], v[164:165], v[158:159], -v[72:73]
	v_mul_f64 v[164:165], v[164:165], v[74:75]
	v_fmac_f64_e32 v[164:165], v[166:167], v[158:159]
	s_waitcnt vmcnt(18)
	v_add_f64 v[70:71], v[70:71], -v[164:165]
	ds_read2_b64 v[164:167], v160 offset0:40 offset1:41
	v_add_f64 v[68:69], v[68:69], -v[72:73]
	s_waitcnt lgkmcnt(1)
	v_mul_f64 v[72:73], v[150:151], v[74:75]
	v_fma_f64 v[72:73], v[148:149], v[158:159], -v[72:73]
	v_mul_f64 v[148:149], v[148:149], v[74:75]
	v_fmac_f64_e32 v[148:149], v[150:151], v[158:159]
	s_waitcnt vmcnt(17)
	v_add_f64 v[64:65], v[64:65], -v[72:73]
	v_add_f64 v[66:67], v[66:67], -v[148:149]
	ds_read2_b64 v[148:151], v160 offset0:42 offset1:43
	s_waitcnt lgkmcnt(1)
	v_mul_f64 v[72:73], v[166:167], v[74:75]
	v_fma_f64 v[72:73], v[164:165], v[158:159], -v[72:73]
	v_mul_f64 v[164:165], v[164:165], v[74:75]
	v_fmac_f64_e32 v[164:165], v[166:167], v[158:159]
	s_waitcnt vmcnt(16)
	v_add_f64 v[62:63], v[62:63], -v[164:165]
	ds_read2_b64 v[164:167], v160 offset0:44 offset1:45
	v_add_f64 v[60:61], v[60:61], -v[72:73]
	s_waitcnt lgkmcnt(1)
	v_mul_f64 v[72:73], v[150:151], v[74:75]
	v_fma_f64 v[72:73], v[148:149], v[158:159], -v[72:73]
	v_mul_f64 v[148:149], v[148:149], v[74:75]
	v_fmac_f64_e32 v[148:149], v[150:151], v[158:159]
	s_waitcnt vmcnt(15)
	v_add_f64 v[56:57], v[56:57], -v[72:73]
	v_add_f64 v[58:59], v[58:59], -v[148:149]
	;; [unrolled: 18-line block ×9, first 2 shown]
	s_waitcnt lgkmcnt(0)
	v_mul_f64 v[72:73], v[166:167], v[74:75]
	v_mul_f64 v[148:149], v[164:165], v[74:75]
	v_fma_f64 v[72:73], v[164:165], v[158:159], -v[72:73]
	v_fmac_f64_e32 v[148:149], v[166:167], v[158:159]
	s_waitcnt vmcnt(0)
	v_add_f64 v[144:145], v[144:145], -v[72:73]
	v_add_f64 v[146:147], v[146:147], -v[148:149]
	v_mov_b64_e32 v[72:73], v[158:159]
.LBB72_377:
	s_or_b64 exec, exec, s[0:1]
	v_lshl_add_u32 v148, v161, 4, v160
	s_barrier
	s_waitcnt vmcnt(18)
	ds_write2_b64 v148, v[68:69], v[70:71] offset1:1
	s_waitcnt lgkmcnt(0)
	s_barrier
	ds_read2_b64 v[148:151], v160 offset0:36 offset1:37
	s_cmp_lt_i32 s20, 20
	v_mov_b32_e32 v158, 18
	s_cbranch_scc1 .LBB72_380
; %bb.378:
	v_add_u32_e32 v159, 0x130, v160
	s_mov_b32 s16, 19
	v_mov_b32_e32 v158, 18
.LBB72_379:                             ; =>This Inner Loop Header: Depth=1
	ds_read2_b64 v[164:167], v159 offset1:1
	s_waitcnt lgkmcnt(1)
	v_xor_b32_e32 v169, 0x80000000, v149
	v_xor_b32_e32 v171, 0x80000000, v151
	v_cmp_gt_f64_e32 vcc, 0, v[150:151]
	v_cmp_gt_f64_e64 s[0:1], 0, v[148:149]
	v_mov_b32_e32 v168, v148
	v_mov_b32_e32 v170, v150
	v_cndmask_b32_e64 v169, v149, v169, s[0:1]
	v_cndmask_b32_e32 v171, v151, v171, vcc
	v_add_f64 v[168:169], v[168:169], v[170:171]
	s_waitcnt lgkmcnt(0)
	v_xor_b32_e32 v171, 0x80000000, v165
	v_xor_b32_e32 v173, 0x80000000, v167
	v_cmp_gt_f64_e32 vcc, 0, v[166:167]
	v_cmp_gt_f64_e64 s[0:1], 0, v[164:165]
	v_mov_b32_e32 v170, v164
	v_mov_b32_e32 v172, v166
	v_cndmask_b32_e64 v171, v165, v171, s[0:1]
	v_cndmask_b32_e32 v173, v167, v173, vcc
	v_add_f64 v[170:171], v[170:171], v[172:173]
	v_mov_b32_e32 v174, s16
	s_add_i32 s16, s16, 1
	v_cmp_lt_f64_e32 vcc, v[168:169], v[170:171]
	v_add_u32_e32 v159, 16, v159
	s_cmp_lg_u32 s20, s16
	v_cndmask_b32_e32 v149, v149, v165, vcc
	v_cndmask_b32_e32 v148, v148, v164, vcc
	;; [unrolled: 1-line block ×5, first 2 shown]
	s_cbranch_scc1 .LBB72_379
.LBB72_380:
	s_waitcnt lgkmcnt(0)
	v_cmp_eq_f64_e32 vcc, 0, v[148:149]
	v_cmp_eq_f64_e64 s[0:1], 0, v[150:151]
	s_and_b64 s[0:1], vcc, s[0:1]
	s_and_saveexec_b64 s[16:17], s[0:1]
	s_xor_b64 s[0:1], exec, s[16:17]
; %bb.381:
	v_cmp_ne_u32_e32 vcc, 0, v162
	s_nop 1
	v_cndmask_b32_e32 v162, 19, v162, vcc
; %bb.382:
	s_andn2_saveexec_b64 s[0:1], s[0:1]
	s_cbranch_execz .LBB72_388
; %bb.383:
	v_cmp_ngt_f64_e64 s[16:17], |v[148:149]|, |v[150:151]|
	s_and_saveexec_b64 s[18:19], s[16:17]
	s_xor_b64 s[16:17], exec, s[18:19]
	s_cbranch_execz .LBB72_385
; %bb.384:
	v_div_scale_f64 v[164:165], s[18:19], v[150:151], v[150:151], v[148:149]
	v_rcp_f64_e32 v[166:167], v[164:165]
	v_div_scale_f64 v[168:169], vcc, v[148:149], v[150:151], v[148:149]
	v_fma_f64 v[170:171], -v[164:165], v[166:167], 1.0
	v_fmac_f64_e32 v[166:167], v[166:167], v[170:171]
	v_fma_f64 v[170:171], -v[164:165], v[166:167], 1.0
	v_fmac_f64_e32 v[166:167], v[166:167], v[170:171]
	v_mul_f64 v[170:171], v[168:169], v[166:167]
	v_fma_f64 v[164:165], -v[164:165], v[170:171], v[168:169]
	v_div_fmas_f64 v[164:165], v[164:165], v[166:167], v[170:171]
	v_div_fixup_f64 v[164:165], v[164:165], v[150:151], v[148:149]
	v_fmac_f64_e32 v[150:151], v[148:149], v[164:165]
	v_div_scale_f64 v[148:149], s[18:19], v[150:151], v[150:151], 1.0
	v_rcp_f64_e32 v[166:167], v[148:149]
	s_nop 0
	v_fma_f64 v[168:169], -v[148:149], v[166:167], 1.0
	v_fmac_f64_e32 v[166:167], v[166:167], v[168:169]
	v_fma_f64 v[168:169], -v[148:149], v[166:167], 1.0
	v_fmac_f64_e32 v[166:167], v[166:167], v[168:169]
	v_div_scale_f64 v[168:169], vcc, 1.0, v[150:151], 1.0
	v_mul_f64 v[170:171], v[168:169], v[166:167]
	v_fma_f64 v[148:149], -v[148:149], v[170:171], v[168:169]
	s_nop 1
	v_div_fmas_f64 v[148:149], v[148:149], v[166:167], v[170:171]
	v_div_fixup_f64 v[150:151], v[148:149], v[150:151], 1.0
	v_mul_f64 v[148:149], v[164:165], v[150:151]
	v_xor_b32_e32 v151, 0x80000000, v151
.LBB72_385:
	s_andn2_saveexec_b64 s[16:17], s[16:17]
	s_cbranch_execz .LBB72_387
; %bb.386:
	v_div_scale_f64 v[164:165], s[18:19], v[148:149], v[148:149], v[150:151]
	v_rcp_f64_e32 v[166:167], v[164:165]
	v_div_scale_f64 v[168:169], vcc, v[150:151], v[148:149], v[150:151]
	v_fma_f64 v[170:171], -v[164:165], v[166:167], 1.0
	v_fmac_f64_e32 v[166:167], v[166:167], v[170:171]
	v_fma_f64 v[170:171], -v[164:165], v[166:167], 1.0
	v_fmac_f64_e32 v[166:167], v[166:167], v[170:171]
	v_mul_f64 v[170:171], v[168:169], v[166:167]
	v_fma_f64 v[164:165], -v[164:165], v[170:171], v[168:169]
	v_div_fmas_f64 v[164:165], v[164:165], v[166:167], v[170:171]
	v_div_fixup_f64 v[164:165], v[164:165], v[148:149], v[150:151]
	v_fmac_f64_e32 v[148:149], v[150:151], v[164:165]
	v_div_scale_f64 v[150:151], s[18:19], v[148:149], v[148:149], 1.0
	v_rcp_f64_e32 v[166:167], v[150:151]
	s_nop 0
	v_fma_f64 v[168:169], -v[150:151], v[166:167], 1.0
	v_fmac_f64_e32 v[166:167], v[166:167], v[168:169]
	v_fma_f64 v[168:169], -v[150:151], v[166:167], 1.0
	v_fmac_f64_e32 v[166:167], v[166:167], v[168:169]
	v_div_scale_f64 v[168:169], vcc, 1.0, v[148:149], 1.0
	v_mul_f64 v[170:171], v[168:169], v[166:167]
	v_fma_f64 v[150:151], -v[150:151], v[170:171], v[168:169]
	s_nop 1
	v_div_fmas_f64 v[150:151], v[150:151], v[166:167], v[170:171]
	v_div_fixup_f64 v[148:149], v[150:151], v[148:149], 1.0
	v_mul_f64 v[150:151], v[164:165], -v[148:149]
.LBB72_387:
	s_or_b64 exec, exec, s[16:17]
.LBB72_388:
	s_or_b64 exec, exec, s[0:1]
	v_cmp_ne_u32_e32 vcc, v161, v158
	s_and_saveexec_b64 s[0:1], vcc
	s_xor_b64 s[0:1], exec, s[0:1]
	s_cbranch_execz .LBB72_394
; %bb.389:
	v_cmp_eq_u32_e32 vcc, 18, v161
	s_and_saveexec_b64 s[16:17], vcc
	s_cbranch_execz .LBB72_393
; %bb.390:
	v_cmp_ne_u32_e32 vcc, 18, v158
	s_xor_b64 s[18:19], s[14:15], -1
	s_and_b64 s[22:23], s[18:19], vcc
	s_and_saveexec_b64 s[18:19], s[22:23]
	s_cbranch_execz .LBB72_392
; %bb.391:
	v_ashrrev_i32_e32 v159, 31, v158
	v_lshl_add_u64 v[164:165], v[158:159], 2, v[156:157]
	global_load_dword v159, v[164:165], off
	global_load_dword v161, v[156:157], off offset:72
	s_waitcnt vmcnt(1)
	global_store_dword v[156:157], v159, off offset:72
	s_waitcnt vmcnt(1)
	global_store_dword v[164:165], v161, off
.LBB72_392:
	s_or_b64 exec, exec, s[18:19]
	v_mov_b32_e32 v161, v158
	v_mov_b32_e32 v163, v158
.LBB72_393:
	s_or_b64 exec, exec, s[16:17]
.LBB72_394:
	s_andn2_saveexec_b64 s[0:1], s[0:1]
	s_cbranch_execz .LBB72_396
; %bb.395:
	v_mov_b32_e32 v161, 18
	s_waitcnt vmcnt(17)
	ds_write2_b64 v160, v[64:65], v[66:67] offset0:38 offset1:39
	s_waitcnt vmcnt(16)
	ds_write2_b64 v160, v[60:61], v[62:63] offset0:40 offset1:41
	;; [unrolled: 2-line block ×18, first 2 shown]
.LBB72_396:
	s_or_b64 exec, exec, s[0:1]
	v_cmp_lt_i32_e32 vcc, 18, v161
	s_waitcnt lgkmcnt(0)
	s_barrier
	s_and_saveexec_b64 s[0:1], vcc
	s_cbranch_execz .LBB72_398
; %bb.397:
	ds_read2_b64 v[164:167], v160 offset0:38 offset1:39
	v_mul_f64 v[158:159], v[150:151], v[70:71]
	v_mul_f64 v[70:71], v[148:149], v[70:71]
	v_fma_f64 v[158:159], v[148:149], v[68:69], -v[158:159]
	v_fmac_f64_e32 v[70:71], v[150:151], v[68:69]
	ds_read2_b64 v[148:151], v160 offset0:40 offset1:41
	s_waitcnt lgkmcnt(1)
	v_mul_f64 v[68:69], v[166:167], v[70:71]
	v_fma_f64 v[68:69], v[164:165], v[158:159], -v[68:69]
	v_mul_f64 v[164:165], v[164:165], v[70:71]
	v_fmac_f64_e32 v[164:165], v[166:167], v[158:159]
	s_waitcnt vmcnt(17)
	v_add_f64 v[64:65], v[64:65], -v[68:69]
	s_waitcnt lgkmcnt(0)
	v_mul_f64 v[68:69], v[150:151], v[70:71]
	v_add_f64 v[66:67], v[66:67], -v[164:165]
	v_fma_f64 v[68:69], v[148:149], v[158:159], -v[68:69]
	v_mul_f64 v[148:149], v[148:149], v[70:71]
	ds_read2_b64 v[164:167], v160 offset0:42 offset1:43
	v_fmac_f64_e32 v[148:149], v[150:151], v[158:159]
	s_waitcnt vmcnt(16)
	v_add_f64 v[62:63], v[62:63], -v[148:149]
	ds_read2_b64 v[148:151], v160 offset0:44 offset1:45
	v_add_f64 v[60:61], v[60:61], -v[68:69]
	s_waitcnt lgkmcnt(1)
	v_mul_f64 v[68:69], v[166:167], v[70:71]
	v_fma_f64 v[68:69], v[164:165], v[158:159], -v[68:69]
	v_mul_f64 v[164:165], v[164:165], v[70:71]
	v_fmac_f64_e32 v[164:165], v[166:167], v[158:159]
	s_waitcnt vmcnt(15)
	v_add_f64 v[56:57], v[56:57], -v[68:69]
	s_waitcnt lgkmcnt(0)
	v_mul_f64 v[68:69], v[150:151], v[70:71]
	v_add_f64 v[58:59], v[58:59], -v[164:165]
	v_fma_f64 v[68:69], v[148:149], v[158:159], -v[68:69]
	v_mul_f64 v[148:149], v[148:149], v[70:71]
	ds_read2_b64 v[164:167], v160 offset0:46 offset1:47
	v_fmac_f64_e32 v[148:149], v[150:151], v[158:159]
	s_waitcnt vmcnt(14)
	v_add_f64 v[54:55], v[54:55], -v[148:149]
	ds_read2_b64 v[148:151], v160 offset0:48 offset1:49
	v_add_f64 v[52:53], v[52:53], -v[68:69]
	;; [unrolled: 18-line block ×8, first 2 shown]
	s_waitcnt lgkmcnt(1)
	v_mul_f64 v[68:69], v[166:167], v[70:71]
	v_fma_f64 v[68:69], v[164:165], v[158:159], -v[68:69]
	s_waitcnt vmcnt(1)
	v_add_f64 v[0:1], v[0:1], -v[68:69]
	s_waitcnt lgkmcnt(0)
	v_mul_f64 v[68:69], v[150:151], v[70:71]
	v_mul_f64 v[164:165], v[164:165], v[70:71]
	v_fma_f64 v[68:69], v[148:149], v[158:159], -v[68:69]
	v_mul_f64 v[148:149], v[148:149], v[70:71]
	v_fmac_f64_e32 v[164:165], v[166:167], v[158:159]
	v_fmac_f64_e32 v[148:149], v[150:151], v[158:159]
	v_add_f64 v[2:3], v[2:3], -v[164:165]
	s_waitcnt vmcnt(0)
	v_add_f64 v[144:145], v[144:145], -v[68:69]
	v_add_f64 v[146:147], v[146:147], -v[148:149]
	v_mov_b64_e32 v[68:69], v[158:159]
.LBB72_398:
	s_or_b64 exec, exec, s[0:1]
	v_lshl_add_u32 v148, v161, 4, v160
	s_barrier
	s_waitcnt vmcnt(17)
	ds_write2_b64 v148, v[64:65], v[66:67] offset1:1
	s_waitcnt lgkmcnt(0)
	s_barrier
	ds_read2_b64 v[148:151], v160 offset0:38 offset1:39
	s_cmp_lt_i32 s20, 21
	v_mov_b32_e32 v158, 19
	s_cbranch_scc1 .LBB72_401
; %bb.399:
	v_add_u32_e32 v159, 0x140, v160
	s_mov_b32 s16, 20
	v_mov_b32_e32 v158, 19
.LBB72_400:                             ; =>This Inner Loop Header: Depth=1
	ds_read2_b64 v[164:167], v159 offset1:1
	s_waitcnt lgkmcnt(1)
	v_xor_b32_e32 v169, 0x80000000, v149
	v_xor_b32_e32 v171, 0x80000000, v151
	v_cmp_gt_f64_e32 vcc, 0, v[150:151]
	v_cmp_gt_f64_e64 s[0:1], 0, v[148:149]
	v_mov_b32_e32 v168, v148
	v_mov_b32_e32 v170, v150
	v_cndmask_b32_e64 v169, v149, v169, s[0:1]
	v_cndmask_b32_e32 v171, v151, v171, vcc
	v_add_f64 v[168:169], v[168:169], v[170:171]
	s_waitcnt lgkmcnt(0)
	v_xor_b32_e32 v171, 0x80000000, v165
	v_xor_b32_e32 v173, 0x80000000, v167
	v_cmp_gt_f64_e32 vcc, 0, v[166:167]
	v_cmp_gt_f64_e64 s[0:1], 0, v[164:165]
	v_mov_b32_e32 v170, v164
	v_mov_b32_e32 v172, v166
	v_cndmask_b32_e64 v171, v165, v171, s[0:1]
	v_cndmask_b32_e32 v173, v167, v173, vcc
	v_add_f64 v[170:171], v[170:171], v[172:173]
	v_mov_b32_e32 v174, s16
	s_add_i32 s16, s16, 1
	v_cmp_lt_f64_e32 vcc, v[168:169], v[170:171]
	v_add_u32_e32 v159, 16, v159
	s_cmp_lg_u32 s20, s16
	v_cndmask_b32_e32 v149, v149, v165, vcc
	v_cndmask_b32_e32 v148, v148, v164, vcc
	;; [unrolled: 1-line block ×5, first 2 shown]
	s_cbranch_scc1 .LBB72_400
.LBB72_401:
	s_waitcnt lgkmcnt(0)
	v_cmp_eq_f64_e32 vcc, 0, v[148:149]
	v_cmp_eq_f64_e64 s[0:1], 0, v[150:151]
	s_and_b64 s[0:1], vcc, s[0:1]
	s_and_saveexec_b64 s[16:17], s[0:1]
	s_xor_b64 s[0:1], exec, s[16:17]
; %bb.402:
	v_cmp_ne_u32_e32 vcc, 0, v162
	s_nop 1
	v_cndmask_b32_e32 v162, 20, v162, vcc
; %bb.403:
	s_andn2_saveexec_b64 s[0:1], s[0:1]
	s_cbranch_execz .LBB72_409
; %bb.404:
	v_cmp_ngt_f64_e64 s[16:17], |v[148:149]|, |v[150:151]|
	s_and_saveexec_b64 s[18:19], s[16:17]
	s_xor_b64 s[16:17], exec, s[18:19]
	s_cbranch_execz .LBB72_406
; %bb.405:
	v_div_scale_f64 v[164:165], s[18:19], v[150:151], v[150:151], v[148:149]
	v_rcp_f64_e32 v[166:167], v[164:165]
	v_div_scale_f64 v[168:169], vcc, v[148:149], v[150:151], v[148:149]
	v_fma_f64 v[170:171], -v[164:165], v[166:167], 1.0
	v_fmac_f64_e32 v[166:167], v[166:167], v[170:171]
	v_fma_f64 v[170:171], -v[164:165], v[166:167], 1.0
	v_fmac_f64_e32 v[166:167], v[166:167], v[170:171]
	v_mul_f64 v[170:171], v[168:169], v[166:167]
	v_fma_f64 v[164:165], -v[164:165], v[170:171], v[168:169]
	v_div_fmas_f64 v[164:165], v[164:165], v[166:167], v[170:171]
	v_div_fixup_f64 v[164:165], v[164:165], v[150:151], v[148:149]
	v_fmac_f64_e32 v[150:151], v[148:149], v[164:165]
	v_div_scale_f64 v[148:149], s[18:19], v[150:151], v[150:151], 1.0
	v_rcp_f64_e32 v[166:167], v[148:149]
	s_nop 0
	v_fma_f64 v[168:169], -v[148:149], v[166:167], 1.0
	v_fmac_f64_e32 v[166:167], v[166:167], v[168:169]
	v_fma_f64 v[168:169], -v[148:149], v[166:167], 1.0
	v_fmac_f64_e32 v[166:167], v[166:167], v[168:169]
	v_div_scale_f64 v[168:169], vcc, 1.0, v[150:151], 1.0
	v_mul_f64 v[170:171], v[168:169], v[166:167]
	v_fma_f64 v[148:149], -v[148:149], v[170:171], v[168:169]
	s_nop 1
	v_div_fmas_f64 v[148:149], v[148:149], v[166:167], v[170:171]
	v_div_fixup_f64 v[150:151], v[148:149], v[150:151], 1.0
	v_mul_f64 v[148:149], v[164:165], v[150:151]
	v_xor_b32_e32 v151, 0x80000000, v151
.LBB72_406:
	s_andn2_saveexec_b64 s[16:17], s[16:17]
	s_cbranch_execz .LBB72_408
; %bb.407:
	v_div_scale_f64 v[164:165], s[18:19], v[148:149], v[148:149], v[150:151]
	v_rcp_f64_e32 v[166:167], v[164:165]
	v_div_scale_f64 v[168:169], vcc, v[150:151], v[148:149], v[150:151]
	v_fma_f64 v[170:171], -v[164:165], v[166:167], 1.0
	v_fmac_f64_e32 v[166:167], v[166:167], v[170:171]
	v_fma_f64 v[170:171], -v[164:165], v[166:167], 1.0
	v_fmac_f64_e32 v[166:167], v[166:167], v[170:171]
	v_mul_f64 v[170:171], v[168:169], v[166:167]
	v_fma_f64 v[164:165], -v[164:165], v[170:171], v[168:169]
	v_div_fmas_f64 v[164:165], v[164:165], v[166:167], v[170:171]
	v_div_fixup_f64 v[164:165], v[164:165], v[148:149], v[150:151]
	v_fmac_f64_e32 v[148:149], v[150:151], v[164:165]
	v_div_scale_f64 v[150:151], s[18:19], v[148:149], v[148:149], 1.0
	v_rcp_f64_e32 v[166:167], v[150:151]
	s_nop 0
	v_fma_f64 v[168:169], -v[150:151], v[166:167], 1.0
	v_fmac_f64_e32 v[166:167], v[166:167], v[168:169]
	v_fma_f64 v[168:169], -v[150:151], v[166:167], 1.0
	v_fmac_f64_e32 v[166:167], v[166:167], v[168:169]
	v_div_scale_f64 v[168:169], vcc, 1.0, v[148:149], 1.0
	v_mul_f64 v[170:171], v[168:169], v[166:167]
	v_fma_f64 v[150:151], -v[150:151], v[170:171], v[168:169]
	s_nop 1
	v_div_fmas_f64 v[150:151], v[150:151], v[166:167], v[170:171]
	v_div_fixup_f64 v[148:149], v[150:151], v[148:149], 1.0
	v_mul_f64 v[150:151], v[164:165], -v[148:149]
.LBB72_408:
	s_or_b64 exec, exec, s[16:17]
.LBB72_409:
	s_or_b64 exec, exec, s[0:1]
	v_cmp_ne_u32_e32 vcc, v161, v158
	s_and_saveexec_b64 s[0:1], vcc
	s_xor_b64 s[0:1], exec, s[0:1]
	s_cbranch_execz .LBB72_415
; %bb.410:
	v_cmp_eq_u32_e32 vcc, 19, v161
	s_and_saveexec_b64 s[16:17], vcc
	s_cbranch_execz .LBB72_414
; %bb.411:
	v_cmp_ne_u32_e32 vcc, 19, v158
	s_xor_b64 s[18:19], s[14:15], -1
	s_and_b64 s[22:23], s[18:19], vcc
	s_and_saveexec_b64 s[18:19], s[22:23]
	s_cbranch_execz .LBB72_413
; %bb.412:
	v_ashrrev_i32_e32 v159, 31, v158
	v_lshl_add_u64 v[164:165], v[158:159], 2, v[156:157]
	global_load_dword v159, v[164:165], off
	global_load_dword v161, v[156:157], off offset:76
	s_waitcnt vmcnt(1)
	global_store_dword v[156:157], v159, off offset:76
	s_waitcnt vmcnt(1)
	global_store_dword v[164:165], v161, off
.LBB72_413:
	s_or_b64 exec, exec, s[18:19]
	v_mov_b32_e32 v161, v158
	v_mov_b32_e32 v163, v158
.LBB72_414:
	s_or_b64 exec, exec, s[16:17]
.LBB72_415:
	s_andn2_saveexec_b64 s[0:1], s[0:1]
	s_cbranch_execz .LBB72_417
; %bb.416:
	v_mov_b32_e32 v161, 19
	s_waitcnt vmcnt(16)
	ds_write2_b64 v160, v[60:61], v[62:63] offset0:40 offset1:41
	s_waitcnt vmcnt(15)
	ds_write2_b64 v160, v[56:57], v[58:59] offset0:42 offset1:43
	;; [unrolled: 2-line block ×17, first 2 shown]
.LBB72_417:
	s_or_b64 exec, exec, s[0:1]
	v_cmp_lt_i32_e32 vcc, 19, v161
	s_waitcnt lgkmcnt(0)
	s_barrier
	s_and_saveexec_b64 s[0:1], vcc
	s_cbranch_execz .LBB72_419
; %bb.418:
	ds_read2_b64 v[164:167], v160 offset0:40 offset1:41
	v_mul_f64 v[158:159], v[150:151], v[66:67]
	v_mul_f64 v[66:67], v[148:149], v[66:67]
	v_fmac_f64_e32 v[66:67], v[150:151], v[64:65]
	v_fma_f64 v[158:159], v[148:149], v[64:65], -v[158:159]
	ds_read2_b64 v[148:151], v160 offset0:42 offset1:43
	s_waitcnt lgkmcnt(1)
	v_mul_f64 v[64:65], v[166:167], v[66:67]
	v_fma_f64 v[64:65], v[164:165], v[158:159], -v[64:65]
	v_mul_f64 v[164:165], v[164:165], v[66:67]
	v_fmac_f64_e32 v[164:165], v[166:167], v[158:159]
	s_waitcnt vmcnt(16)
	v_add_f64 v[62:63], v[62:63], -v[164:165]
	ds_read2_b64 v[164:167], v160 offset0:44 offset1:45
	v_add_f64 v[60:61], v[60:61], -v[64:65]
	s_waitcnt lgkmcnt(1)
	v_mul_f64 v[64:65], v[150:151], v[66:67]
	v_fma_f64 v[64:65], v[148:149], v[158:159], -v[64:65]
	v_mul_f64 v[148:149], v[148:149], v[66:67]
	v_fmac_f64_e32 v[148:149], v[150:151], v[158:159]
	s_waitcnt vmcnt(15)
	v_add_f64 v[56:57], v[56:57], -v[64:65]
	v_add_f64 v[58:59], v[58:59], -v[148:149]
	ds_read2_b64 v[148:151], v160 offset0:46 offset1:47
	s_waitcnt lgkmcnt(1)
	v_mul_f64 v[64:65], v[166:167], v[66:67]
	v_fma_f64 v[64:65], v[164:165], v[158:159], -v[64:65]
	v_mul_f64 v[164:165], v[164:165], v[66:67]
	v_fmac_f64_e32 v[164:165], v[166:167], v[158:159]
	s_waitcnt vmcnt(14)
	v_add_f64 v[54:55], v[54:55], -v[164:165]
	ds_read2_b64 v[164:167], v160 offset0:48 offset1:49
	v_add_f64 v[52:53], v[52:53], -v[64:65]
	s_waitcnt lgkmcnt(1)
	v_mul_f64 v[64:65], v[150:151], v[66:67]
	v_fma_f64 v[64:65], v[148:149], v[158:159], -v[64:65]
	v_mul_f64 v[148:149], v[148:149], v[66:67]
	v_fmac_f64_e32 v[148:149], v[150:151], v[158:159]
	s_waitcnt vmcnt(13)
	v_add_f64 v[48:49], v[48:49], -v[64:65]
	v_add_f64 v[50:51], v[50:51], -v[148:149]
	;; [unrolled: 18-line block ×8, first 2 shown]
	s_waitcnt lgkmcnt(0)
	v_mul_f64 v[64:65], v[166:167], v[66:67]
	v_mul_f64 v[148:149], v[164:165], v[66:67]
	v_fma_f64 v[64:65], v[164:165], v[158:159], -v[64:65]
	v_fmac_f64_e32 v[148:149], v[166:167], v[158:159]
	s_waitcnt vmcnt(0)
	v_add_f64 v[144:145], v[144:145], -v[64:65]
	v_add_f64 v[146:147], v[146:147], -v[148:149]
	v_mov_b64_e32 v[64:65], v[158:159]
.LBB72_419:
	s_or_b64 exec, exec, s[0:1]
	v_lshl_add_u32 v148, v161, 4, v160
	s_barrier
	s_waitcnt vmcnt(16)
	ds_write2_b64 v148, v[60:61], v[62:63] offset1:1
	s_waitcnt lgkmcnt(0)
	s_barrier
	ds_read2_b64 v[148:151], v160 offset0:40 offset1:41
	s_cmp_lt_i32 s20, 22
	v_mov_b32_e32 v158, 20
	s_cbranch_scc1 .LBB72_422
; %bb.420:
	v_add_u32_e32 v159, 0x150, v160
	s_mov_b32 s16, 21
	v_mov_b32_e32 v158, 20
.LBB72_421:                             ; =>This Inner Loop Header: Depth=1
	ds_read2_b64 v[164:167], v159 offset1:1
	s_waitcnt lgkmcnt(1)
	v_xor_b32_e32 v169, 0x80000000, v149
	v_xor_b32_e32 v171, 0x80000000, v151
	v_cmp_gt_f64_e32 vcc, 0, v[150:151]
	v_cmp_gt_f64_e64 s[0:1], 0, v[148:149]
	v_mov_b32_e32 v168, v148
	v_mov_b32_e32 v170, v150
	v_cndmask_b32_e64 v169, v149, v169, s[0:1]
	v_cndmask_b32_e32 v171, v151, v171, vcc
	v_add_f64 v[168:169], v[168:169], v[170:171]
	s_waitcnt lgkmcnt(0)
	v_xor_b32_e32 v171, 0x80000000, v165
	v_xor_b32_e32 v173, 0x80000000, v167
	v_cmp_gt_f64_e32 vcc, 0, v[166:167]
	v_cmp_gt_f64_e64 s[0:1], 0, v[164:165]
	v_mov_b32_e32 v170, v164
	v_mov_b32_e32 v172, v166
	v_cndmask_b32_e64 v171, v165, v171, s[0:1]
	v_cndmask_b32_e32 v173, v167, v173, vcc
	v_add_f64 v[170:171], v[170:171], v[172:173]
	v_mov_b32_e32 v174, s16
	s_add_i32 s16, s16, 1
	v_cmp_lt_f64_e32 vcc, v[168:169], v[170:171]
	v_add_u32_e32 v159, 16, v159
	s_cmp_lg_u32 s20, s16
	v_cndmask_b32_e32 v149, v149, v165, vcc
	v_cndmask_b32_e32 v148, v148, v164, vcc
	;; [unrolled: 1-line block ×5, first 2 shown]
	s_cbranch_scc1 .LBB72_421
.LBB72_422:
	s_waitcnt lgkmcnt(0)
	v_cmp_eq_f64_e32 vcc, 0, v[148:149]
	v_cmp_eq_f64_e64 s[0:1], 0, v[150:151]
	s_and_b64 s[0:1], vcc, s[0:1]
	s_and_saveexec_b64 s[16:17], s[0:1]
	s_xor_b64 s[0:1], exec, s[16:17]
; %bb.423:
	v_cmp_ne_u32_e32 vcc, 0, v162
	s_nop 1
	v_cndmask_b32_e32 v162, 21, v162, vcc
; %bb.424:
	s_andn2_saveexec_b64 s[0:1], s[0:1]
	s_cbranch_execz .LBB72_430
; %bb.425:
	v_cmp_ngt_f64_e64 s[16:17], |v[148:149]|, |v[150:151]|
	s_and_saveexec_b64 s[18:19], s[16:17]
	s_xor_b64 s[16:17], exec, s[18:19]
	s_cbranch_execz .LBB72_427
; %bb.426:
	v_div_scale_f64 v[164:165], s[18:19], v[150:151], v[150:151], v[148:149]
	v_rcp_f64_e32 v[166:167], v[164:165]
	v_div_scale_f64 v[168:169], vcc, v[148:149], v[150:151], v[148:149]
	v_fma_f64 v[170:171], -v[164:165], v[166:167], 1.0
	v_fmac_f64_e32 v[166:167], v[166:167], v[170:171]
	v_fma_f64 v[170:171], -v[164:165], v[166:167], 1.0
	v_fmac_f64_e32 v[166:167], v[166:167], v[170:171]
	v_mul_f64 v[170:171], v[168:169], v[166:167]
	v_fma_f64 v[164:165], -v[164:165], v[170:171], v[168:169]
	v_div_fmas_f64 v[164:165], v[164:165], v[166:167], v[170:171]
	v_div_fixup_f64 v[164:165], v[164:165], v[150:151], v[148:149]
	v_fmac_f64_e32 v[150:151], v[148:149], v[164:165]
	v_div_scale_f64 v[148:149], s[18:19], v[150:151], v[150:151], 1.0
	v_rcp_f64_e32 v[166:167], v[148:149]
	s_nop 0
	v_fma_f64 v[168:169], -v[148:149], v[166:167], 1.0
	v_fmac_f64_e32 v[166:167], v[166:167], v[168:169]
	v_fma_f64 v[168:169], -v[148:149], v[166:167], 1.0
	v_fmac_f64_e32 v[166:167], v[166:167], v[168:169]
	v_div_scale_f64 v[168:169], vcc, 1.0, v[150:151], 1.0
	v_mul_f64 v[170:171], v[168:169], v[166:167]
	v_fma_f64 v[148:149], -v[148:149], v[170:171], v[168:169]
	s_nop 1
	v_div_fmas_f64 v[148:149], v[148:149], v[166:167], v[170:171]
	v_div_fixup_f64 v[150:151], v[148:149], v[150:151], 1.0
	v_mul_f64 v[148:149], v[164:165], v[150:151]
	v_xor_b32_e32 v151, 0x80000000, v151
.LBB72_427:
	s_andn2_saveexec_b64 s[16:17], s[16:17]
	s_cbranch_execz .LBB72_429
; %bb.428:
	v_div_scale_f64 v[164:165], s[18:19], v[148:149], v[148:149], v[150:151]
	v_rcp_f64_e32 v[166:167], v[164:165]
	v_div_scale_f64 v[168:169], vcc, v[150:151], v[148:149], v[150:151]
	v_fma_f64 v[170:171], -v[164:165], v[166:167], 1.0
	v_fmac_f64_e32 v[166:167], v[166:167], v[170:171]
	v_fma_f64 v[170:171], -v[164:165], v[166:167], 1.0
	v_fmac_f64_e32 v[166:167], v[166:167], v[170:171]
	v_mul_f64 v[170:171], v[168:169], v[166:167]
	v_fma_f64 v[164:165], -v[164:165], v[170:171], v[168:169]
	v_div_fmas_f64 v[164:165], v[164:165], v[166:167], v[170:171]
	v_div_fixup_f64 v[164:165], v[164:165], v[148:149], v[150:151]
	v_fmac_f64_e32 v[148:149], v[150:151], v[164:165]
	v_div_scale_f64 v[150:151], s[18:19], v[148:149], v[148:149], 1.0
	v_rcp_f64_e32 v[166:167], v[150:151]
	s_nop 0
	v_fma_f64 v[168:169], -v[150:151], v[166:167], 1.0
	v_fmac_f64_e32 v[166:167], v[166:167], v[168:169]
	v_fma_f64 v[168:169], -v[150:151], v[166:167], 1.0
	v_fmac_f64_e32 v[166:167], v[166:167], v[168:169]
	v_div_scale_f64 v[168:169], vcc, 1.0, v[148:149], 1.0
	v_mul_f64 v[170:171], v[168:169], v[166:167]
	v_fma_f64 v[150:151], -v[150:151], v[170:171], v[168:169]
	s_nop 1
	v_div_fmas_f64 v[150:151], v[150:151], v[166:167], v[170:171]
	v_div_fixup_f64 v[148:149], v[150:151], v[148:149], 1.0
	v_mul_f64 v[150:151], v[164:165], -v[148:149]
.LBB72_429:
	s_or_b64 exec, exec, s[16:17]
.LBB72_430:
	s_or_b64 exec, exec, s[0:1]
	v_cmp_ne_u32_e32 vcc, v161, v158
	s_and_saveexec_b64 s[0:1], vcc
	s_xor_b64 s[0:1], exec, s[0:1]
	s_cbranch_execz .LBB72_436
; %bb.431:
	v_cmp_eq_u32_e32 vcc, 20, v161
	s_and_saveexec_b64 s[16:17], vcc
	s_cbranch_execz .LBB72_435
; %bb.432:
	v_cmp_ne_u32_e32 vcc, 20, v158
	s_xor_b64 s[18:19], s[14:15], -1
	s_and_b64 s[22:23], s[18:19], vcc
	s_and_saveexec_b64 s[18:19], s[22:23]
	s_cbranch_execz .LBB72_434
; %bb.433:
	v_ashrrev_i32_e32 v159, 31, v158
	v_lshl_add_u64 v[164:165], v[158:159], 2, v[156:157]
	global_load_dword v159, v[164:165], off
	global_load_dword v161, v[156:157], off offset:80
	s_waitcnt vmcnt(1)
	global_store_dword v[156:157], v159, off offset:80
	s_waitcnt vmcnt(1)
	global_store_dword v[164:165], v161, off
.LBB72_434:
	s_or_b64 exec, exec, s[18:19]
	v_mov_b32_e32 v161, v158
	v_mov_b32_e32 v163, v158
.LBB72_435:
	s_or_b64 exec, exec, s[16:17]
.LBB72_436:
	s_andn2_saveexec_b64 s[0:1], s[0:1]
	s_cbranch_execz .LBB72_438
; %bb.437:
	v_mov_b32_e32 v161, 20
	s_waitcnt vmcnt(15)
	ds_write2_b64 v160, v[56:57], v[58:59] offset0:42 offset1:43
	s_waitcnt vmcnt(14)
	ds_write2_b64 v160, v[52:53], v[54:55] offset0:44 offset1:45
	;; [unrolled: 2-line block ×16, first 2 shown]
.LBB72_438:
	s_or_b64 exec, exec, s[0:1]
	v_cmp_lt_i32_e32 vcc, 20, v161
	s_waitcnt lgkmcnt(0)
	s_barrier
	s_and_saveexec_b64 s[0:1], vcc
	s_cbranch_execz .LBB72_440
; %bb.439:
	ds_read2_b64 v[164:167], v160 offset0:42 offset1:43
	v_mul_f64 v[158:159], v[148:149], v[62:63]
	v_mul_f64 v[62:63], v[150:151], v[62:63]
	v_fmac_f64_e32 v[158:159], v[150:151], v[60:61]
	v_fma_f64 v[60:61], v[148:149], v[60:61], -v[62:63]
	ds_read2_b64 v[148:151], v160 offset0:44 offset1:45
	s_waitcnt lgkmcnt(1)
	v_mul_f64 v[62:63], v[166:167], v[158:159]
	v_fma_f64 v[62:63], v[164:165], v[60:61], -v[62:63]
	v_mul_f64 v[164:165], v[164:165], v[158:159]
	v_fmac_f64_e32 v[164:165], v[166:167], v[60:61]
	s_waitcnt vmcnt(15)
	v_add_f64 v[56:57], v[56:57], -v[62:63]
	s_waitcnt lgkmcnt(0)
	v_mul_f64 v[62:63], v[150:151], v[158:159]
	v_add_f64 v[58:59], v[58:59], -v[164:165]
	v_fma_f64 v[62:63], v[148:149], v[60:61], -v[62:63]
	v_mul_f64 v[148:149], v[148:149], v[158:159]
	ds_read2_b64 v[164:167], v160 offset0:46 offset1:47
	v_fmac_f64_e32 v[148:149], v[150:151], v[60:61]
	s_waitcnt vmcnt(14)
	v_add_f64 v[54:55], v[54:55], -v[148:149]
	ds_read2_b64 v[148:151], v160 offset0:48 offset1:49
	v_add_f64 v[52:53], v[52:53], -v[62:63]
	s_waitcnt lgkmcnt(1)
	v_mul_f64 v[62:63], v[166:167], v[158:159]
	v_fma_f64 v[62:63], v[164:165], v[60:61], -v[62:63]
	v_mul_f64 v[164:165], v[164:165], v[158:159]
	v_fmac_f64_e32 v[164:165], v[166:167], v[60:61]
	s_waitcnt vmcnt(13)
	v_add_f64 v[48:49], v[48:49], -v[62:63]
	s_waitcnt lgkmcnt(0)
	v_mul_f64 v[62:63], v[150:151], v[158:159]
	v_add_f64 v[50:51], v[50:51], -v[164:165]
	v_fma_f64 v[62:63], v[148:149], v[60:61], -v[62:63]
	v_mul_f64 v[148:149], v[148:149], v[158:159]
	ds_read2_b64 v[164:167], v160 offset0:50 offset1:51
	v_fmac_f64_e32 v[148:149], v[150:151], v[60:61]
	s_waitcnt vmcnt(12)
	v_add_f64 v[46:47], v[46:47], -v[148:149]
	ds_read2_b64 v[148:151], v160 offset0:52 offset1:53
	v_add_f64 v[44:45], v[44:45], -v[62:63]
	;; [unrolled: 18-line block ×7, first 2 shown]
	s_waitcnt lgkmcnt(1)
	v_mul_f64 v[62:63], v[166:167], v[158:159]
	v_fma_f64 v[62:63], v[164:165], v[60:61], -v[62:63]
	s_waitcnt vmcnt(1)
	v_add_f64 v[0:1], v[0:1], -v[62:63]
	s_waitcnt lgkmcnt(0)
	v_mul_f64 v[62:63], v[150:151], v[158:159]
	v_mul_f64 v[164:165], v[164:165], v[158:159]
	v_fma_f64 v[62:63], v[148:149], v[60:61], -v[62:63]
	v_mul_f64 v[148:149], v[148:149], v[158:159]
	v_fmac_f64_e32 v[164:165], v[166:167], v[60:61]
	v_fmac_f64_e32 v[148:149], v[150:151], v[60:61]
	v_add_f64 v[2:3], v[2:3], -v[164:165]
	s_waitcnt vmcnt(0)
	v_add_f64 v[144:145], v[144:145], -v[62:63]
	v_add_f64 v[146:147], v[146:147], -v[148:149]
	v_mov_b64_e32 v[62:63], v[158:159]
.LBB72_440:
	s_or_b64 exec, exec, s[0:1]
	v_lshl_add_u32 v148, v161, 4, v160
	s_barrier
	s_waitcnt vmcnt(15)
	ds_write2_b64 v148, v[56:57], v[58:59] offset1:1
	s_waitcnt lgkmcnt(0)
	s_barrier
	ds_read2_b64 v[148:151], v160 offset0:42 offset1:43
	s_cmp_lt_i32 s20, 23
	v_mov_b32_e32 v158, 21
	s_cbranch_scc1 .LBB72_443
; %bb.441:
	v_add_u32_e32 v159, 0x160, v160
	s_mov_b32 s16, 22
	v_mov_b32_e32 v158, 21
.LBB72_442:                             ; =>This Inner Loop Header: Depth=1
	ds_read2_b64 v[164:167], v159 offset1:1
	s_waitcnt lgkmcnt(1)
	v_xor_b32_e32 v169, 0x80000000, v149
	v_xor_b32_e32 v171, 0x80000000, v151
	v_cmp_gt_f64_e32 vcc, 0, v[150:151]
	v_cmp_gt_f64_e64 s[0:1], 0, v[148:149]
	v_mov_b32_e32 v168, v148
	v_mov_b32_e32 v170, v150
	v_cndmask_b32_e64 v169, v149, v169, s[0:1]
	v_cndmask_b32_e32 v171, v151, v171, vcc
	v_add_f64 v[168:169], v[168:169], v[170:171]
	s_waitcnt lgkmcnt(0)
	v_xor_b32_e32 v171, 0x80000000, v165
	v_xor_b32_e32 v173, 0x80000000, v167
	v_cmp_gt_f64_e32 vcc, 0, v[166:167]
	v_cmp_gt_f64_e64 s[0:1], 0, v[164:165]
	v_mov_b32_e32 v170, v164
	v_mov_b32_e32 v172, v166
	v_cndmask_b32_e64 v171, v165, v171, s[0:1]
	v_cndmask_b32_e32 v173, v167, v173, vcc
	v_add_f64 v[170:171], v[170:171], v[172:173]
	v_mov_b32_e32 v174, s16
	s_add_i32 s16, s16, 1
	v_cmp_lt_f64_e32 vcc, v[168:169], v[170:171]
	v_add_u32_e32 v159, 16, v159
	s_cmp_lg_u32 s20, s16
	v_cndmask_b32_e32 v149, v149, v165, vcc
	v_cndmask_b32_e32 v148, v148, v164, vcc
	;; [unrolled: 1-line block ×5, first 2 shown]
	s_cbranch_scc1 .LBB72_442
.LBB72_443:
	s_waitcnt lgkmcnt(0)
	v_cmp_eq_f64_e32 vcc, 0, v[148:149]
	v_cmp_eq_f64_e64 s[0:1], 0, v[150:151]
	s_and_b64 s[0:1], vcc, s[0:1]
	s_and_saveexec_b64 s[16:17], s[0:1]
	s_xor_b64 s[0:1], exec, s[16:17]
; %bb.444:
	v_cmp_ne_u32_e32 vcc, 0, v162
	s_nop 1
	v_cndmask_b32_e32 v162, 22, v162, vcc
; %bb.445:
	s_andn2_saveexec_b64 s[0:1], s[0:1]
	s_cbranch_execz .LBB72_451
; %bb.446:
	v_cmp_ngt_f64_e64 s[16:17], |v[148:149]|, |v[150:151]|
	s_and_saveexec_b64 s[18:19], s[16:17]
	s_xor_b64 s[16:17], exec, s[18:19]
	s_cbranch_execz .LBB72_448
; %bb.447:
	v_div_scale_f64 v[164:165], s[18:19], v[150:151], v[150:151], v[148:149]
	v_rcp_f64_e32 v[166:167], v[164:165]
	v_div_scale_f64 v[168:169], vcc, v[148:149], v[150:151], v[148:149]
	v_fma_f64 v[170:171], -v[164:165], v[166:167], 1.0
	v_fmac_f64_e32 v[166:167], v[166:167], v[170:171]
	v_fma_f64 v[170:171], -v[164:165], v[166:167], 1.0
	v_fmac_f64_e32 v[166:167], v[166:167], v[170:171]
	v_mul_f64 v[170:171], v[168:169], v[166:167]
	v_fma_f64 v[164:165], -v[164:165], v[170:171], v[168:169]
	v_div_fmas_f64 v[164:165], v[164:165], v[166:167], v[170:171]
	v_div_fixup_f64 v[164:165], v[164:165], v[150:151], v[148:149]
	v_fmac_f64_e32 v[150:151], v[148:149], v[164:165]
	v_div_scale_f64 v[148:149], s[18:19], v[150:151], v[150:151], 1.0
	v_rcp_f64_e32 v[166:167], v[148:149]
	s_nop 0
	v_fma_f64 v[168:169], -v[148:149], v[166:167], 1.0
	v_fmac_f64_e32 v[166:167], v[166:167], v[168:169]
	v_fma_f64 v[168:169], -v[148:149], v[166:167], 1.0
	v_fmac_f64_e32 v[166:167], v[166:167], v[168:169]
	v_div_scale_f64 v[168:169], vcc, 1.0, v[150:151], 1.0
	v_mul_f64 v[170:171], v[168:169], v[166:167]
	v_fma_f64 v[148:149], -v[148:149], v[170:171], v[168:169]
	s_nop 1
	v_div_fmas_f64 v[148:149], v[148:149], v[166:167], v[170:171]
	v_div_fixup_f64 v[150:151], v[148:149], v[150:151], 1.0
	v_mul_f64 v[148:149], v[164:165], v[150:151]
	v_xor_b32_e32 v151, 0x80000000, v151
.LBB72_448:
	s_andn2_saveexec_b64 s[16:17], s[16:17]
	s_cbranch_execz .LBB72_450
; %bb.449:
	v_div_scale_f64 v[164:165], s[18:19], v[148:149], v[148:149], v[150:151]
	v_rcp_f64_e32 v[166:167], v[164:165]
	v_div_scale_f64 v[168:169], vcc, v[150:151], v[148:149], v[150:151]
	v_fma_f64 v[170:171], -v[164:165], v[166:167], 1.0
	v_fmac_f64_e32 v[166:167], v[166:167], v[170:171]
	v_fma_f64 v[170:171], -v[164:165], v[166:167], 1.0
	v_fmac_f64_e32 v[166:167], v[166:167], v[170:171]
	v_mul_f64 v[170:171], v[168:169], v[166:167]
	v_fma_f64 v[164:165], -v[164:165], v[170:171], v[168:169]
	v_div_fmas_f64 v[164:165], v[164:165], v[166:167], v[170:171]
	v_div_fixup_f64 v[164:165], v[164:165], v[148:149], v[150:151]
	v_fmac_f64_e32 v[148:149], v[150:151], v[164:165]
	v_div_scale_f64 v[150:151], s[18:19], v[148:149], v[148:149], 1.0
	v_rcp_f64_e32 v[166:167], v[150:151]
	s_nop 0
	v_fma_f64 v[168:169], -v[150:151], v[166:167], 1.0
	v_fmac_f64_e32 v[166:167], v[166:167], v[168:169]
	v_fma_f64 v[168:169], -v[150:151], v[166:167], 1.0
	v_fmac_f64_e32 v[166:167], v[166:167], v[168:169]
	v_div_scale_f64 v[168:169], vcc, 1.0, v[148:149], 1.0
	v_mul_f64 v[170:171], v[168:169], v[166:167]
	v_fma_f64 v[150:151], -v[150:151], v[170:171], v[168:169]
	s_nop 1
	v_div_fmas_f64 v[150:151], v[150:151], v[166:167], v[170:171]
	v_div_fixup_f64 v[148:149], v[150:151], v[148:149], 1.0
	v_mul_f64 v[150:151], v[164:165], -v[148:149]
.LBB72_450:
	s_or_b64 exec, exec, s[16:17]
.LBB72_451:
	s_or_b64 exec, exec, s[0:1]
	v_cmp_ne_u32_e32 vcc, v161, v158
	s_and_saveexec_b64 s[0:1], vcc
	s_xor_b64 s[0:1], exec, s[0:1]
	s_cbranch_execz .LBB72_457
; %bb.452:
	v_cmp_eq_u32_e32 vcc, 21, v161
	s_and_saveexec_b64 s[16:17], vcc
	s_cbranch_execz .LBB72_456
; %bb.453:
	v_cmp_ne_u32_e32 vcc, 21, v158
	s_xor_b64 s[18:19], s[14:15], -1
	s_and_b64 s[22:23], s[18:19], vcc
	s_and_saveexec_b64 s[18:19], s[22:23]
	s_cbranch_execz .LBB72_455
; %bb.454:
	v_ashrrev_i32_e32 v159, 31, v158
	v_lshl_add_u64 v[164:165], v[158:159], 2, v[156:157]
	global_load_dword v159, v[164:165], off
	global_load_dword v161, v[156:157], off offset:84
	s_waitcnt vmcnt(1)
	global_store_dword v[156:157], v159, off offset:84
	s_waitcnt vmcnt(1)
	global_store_dword v[164:165], v161, off
.LBB72_455:
	s_or_b64 exec, exec, s[18:19]
	v_mov_b32_e32 v161, v158
	v_mov_b32_e32 v163, v158
.LBB72_456:
	s_or_b64 exec, exec, s[16:17]
.LBB72_457:
	s_andn2_saveexec_b64 s[0:1], s[0:1]
	s_cbranch_execz .LBB72_459
; %bb.458:
	v_mov_b32_e32 v161, 21
	s_waitcnt vmcnt(14)
	ds_write2_b64 v160, v[52:53], v[54:55] offset0:44 offset1:45
	s_waitcnt vmcnt(13)
	ds_write2_b64 v160, v[48:49], v[50:51] offset0:46 offset1:47
	;; [unrolled: 2-line block ×15, first 2 shown]
.LBB72_459:
	s_or_b64 exec, exec, s[0:1]
	v_cmp_lt_i32_e32 vcc, 21, v161
	s_waitcnt lgkmcnt(0)
	s_barrier
	s_and_saveexec_b64 s[0:1], vcc
	s_cbranch_execz .LBB72_461
; %bb.460:
	ds_read2_b64 v[164:167], v160 offset0:44 offset1:45
	v_mul_f64 v[158:159], v[148:149], v[58:59]
	v_fmac_f64_e32 v[158:159], v[150:151], v[56:57]
	v_mul_f64 v[58:59], v[150:151], v[58:59]
	v_fma_f64 v[56:57], v[148:149], v[56:57], -v[58:59]
	ds_read2_b64 v[148:151], v160 offset0:46 offset1:47
	s_waitcnt lgkmcnt(1)
	v_mul_f64 v[58:59], v[166:167], v[158:159]
	v_fma_f64 v[58:59], v[164:165], v[56:57], -v[58:59]
	v_mul_f64 v[164:165], v[164:165], v[158:159]
	v_fmac_f64_e32 v[164:165], v[166:167], v[56:57]
	s_waitcnt vmcnt(14)
	v_add_f64 v[54:55], v[54:55], -v[164:165]
	ds_read2_b64 v[164:167], v160 offset0:48 offset1:49
	v_add_f64 v[52:53], v[52:53], -v[58:59]
	s_waitcnt lgkmcnt(1)
	v_mul_f64 v[58:59], v[150:151], v[158:159]
	v_fma_f64 v[58:59], v[148:149], v[56:57], -v[58:59]
	v_mul_f64 v[148:149], v[148:149], v[158:159]
	v_fmac_f64_e32 v[148:149], v[150:151], v[56:57]
	s_waitcnt vmcnt(13)
	v_add_f64 v[48:49], v[48:49], -v[58:59]
	v_add_f64 v[50:51], v[50:51], -v[148:149]
	ds_read2_b64 v[148:151], v160 offset0:50 offset1:51
	s_waitcnt lgkmcnt(1)
	v_mul_f64 v[58:59], v[166:167], v[158:159]
	v_fma_f64 v[58:59], v[164:165], v[56:57], -v[58:59]
	v_mul_f64 v[164:165], v[164:165], v[158:159]
	v_fmac_f64_e32 v[164:165], v[166:167], v[56:57]
	s_waitcnt vmcnt(12)
	v_add_f64 v[46:47], v[46:47], -v[164:165]
	ds_read2_b64 v[164:167], v160 offset0:52 offset1:53
	v_add_f64 v[44:45], v[44:45], -v[58:59]
	s_waitcnt lgkmcnt(1)
	v_mul_f64 v[58:59], v[150:151], v[158:159]
	v_fma_f64 v[58:59], v[148:149], v[56:57], -v[58:59]
	v_mul_f64 v[148:149], v[148:149], v[158:159]
	v_fmac_f64_e32 v[148:149], v[150:151], v[56:57]
	s_waitcnt vmcnt(11)
	v_add_f64 v[40:41], v[40:41], -v[58:59]
	v_add_f64 v[42:43], v[42:43], -v[148:149]
	ds_read2_b64 v[148:151], v160 offset0:54 offset1:55
	s_waitcnt lgkmcnt(1)
	v_mul_f64 v[58:59], v[166:167], v[158:159]
	v_fma_f64 v[58:59], v[164:165], v[56:57], -v[58:59]
	v_mul_f64 v[164:165], v[164:165], v[158:159]
	v_fmac_f64_e32 v[164:165], v[166:167], v[56:57]
	s_waitcnt vmcnt(10)
	v_add_f64 v[38:39], v[38:39], -v[164:165]
	ds_read2_b64 v[164:167], v160 offset0:56 offset1:57
	v_add_f64 v[36:37], v[36:37], -v[58:59]
	s_waitcnt lgkmcnt(1)
	v_mul_f64 v[58:59], v[150:151], v[158:159]
	v_fma_f64 v[58:59], v[148:149], v[56:57], -v[58:59]
	v_mul_f64 v[148:149], v[148:149], v[158:159]
	v_fmac_f64_e32 v[148:149], v[150:151], v[56:57]
	s_waitcnt vmcnt(9)
	v_add_f64 v[32:33], v[32:33], -v[58:59]
	v_add_f64 v[34:35], v[34:35], -v[148:149]
	ds_read2_b64 v[148:151], v160 offset0:58 offset1:59
	s_waitcnt lgkmcnt(1)
	v_mul_f64 v[58:59], v[166:167], v[158:159]
	v_fma_f64 v[58:59], v[164:165], v[56:57], -v[58:59]
	v_mul_f64 v[164:165], v[164:165], v[158:159]
	v_fmac_f64_e32 v[164:165], v[166:167], v[56:57]
	s_waitcnt vmcnt(8)
	v_add_f64 v[30:31], v[30:31], -v[164:165]
	ds_read2_b64 v[164:167], v160 offset0:60 offset1:61
	v_add_f64 v[28:29], v[28:29], -v[58:59]
	s_waitcnt lgkmcnt(1)
	v_mul_f64 v[58:59], v[150:151], v[158:159]
	v_fma_f64 v[58:59], v[148:149], v[56:57], -v[58:59]
	v_mul_f64 v[148:149], v[148:149], v[158:159]
	v_fmac_f64_e32 v[148:149], v[150:151], v[56:57]
	s_waitcnt vmcnt(7)
	v_add_f64 v[24:25], v[24:25], -v[58:59]
	v_add_f64 v[26:27], v[26:27], -v[148:149]
	ds_read2_b64 v[148:151], v160 offset0:62 offset1:63
	s_waitcnt lgkmcnt(1)
	v_mul_f64 v[58:59], v[166:167], v[158:159]
	v_fma_f64 v[58:59], v[164:165], v[56:57], -v[58:59]
	v_mul_f64 v[164:165], v[164:165], v[158:159]
	v_fmac_f64_e32 v[164:165], v[166:167], v[56:57]
	s_waitcnt vmcnt(6)
	v_add_f64 v[22:23], v[22:23], -v[164:165]
	ds_read2_b64 v[164:167], v160 offset0:64 offset1:65
	v_add_f64 v[20:21], v[20:21], -v[58:59]
	s_waitcnt lgkmcnt(1)
	v_mul_f64 v[58:59], v[150:151], v[158:159]
	v_fma_f64 v[58:59], v[148:149], v[56:57], -v[58:59]
	v_mul_f64 v[148:149], v[148:149], v[158:159]
	v_fmac_f64_e32 v[148:149], v[150:151], v[56:57]
	s_waitcnt vmcnt(5)
	v_add_f64 v[16:17], v[16:17], -v[58:59]
	v_add_f64 v[18:19], v[18:19], -v[148:149]
	ds_read2_b64 v[148:151], v160 offset0:66 offset1:67
	s_waitcnt lgkmcnt(1)
	v_mul_f64 v[58:59], v[166:167], v[158:159]
	v_fma_f64 v[58:59], v[164:165], v[56:57], -v[58:59]
	v_mul_f64 v[164:165], v[164:165], v[158:159]
	v_fmac_f64_e32 v[164:165], v[166:167], v[56:57]
	s_waitcnt vmcnt(4)
	v_add_f64 v[14:15], v[14:15], -v[164:165]
	ds_read2_b64 v[164:167], v160 offset0:68 offset1:69
	v_add_f64 v[12:13], v[12:13], -v[58:59]
	s_waitcnt lgkmcnt(1)
	v_mul_f64 v[58:59], v[150:151], v[158:159]
	v_fma_f64 v[58:59], v[148:149], v[56:57], -v[58:59]
	v_mul_f64 v[148:149], v[148:149], v[158:159]
	v_fmac_f64_e32 v[148:149], v[150:151], v[56:57]
	s_waitcnt vmcnt(3)
	v_add_f64 v[8:9], v[8:9], -v[58:59]
	v_add_f64 v[10:11], v[10:11], -v[148:149]
	ds_read2_b64 v[148:151], v160 offset0:70 offset1:71
	s_waitcnt lgkmcnt(1)
	v_mul_f64 v[58:59], v[166:167], v[158:159]
	v_fma_f64 v[58:59], v[164:165], v[56:57], -v[58:59]
	v_mul_f64 v[164:165], v[164:165], v[158:159]
	v_fmac_f64_e32 v[164:165], v[166:167], v[56:57]
	s_waitcnt vmcnt(2)
	v_add_f64 v[6:7], v[6:7], -v[164:165]
	ds_read2_b64 v[164:167], v160 offset0:72 offset1:73
	v_add_f64 v[4:5], v[4:5], -v[58:59]
	s_waitcnt lgkmcnt(1)
	v_mul_f64 v[58:59], v[150:151], v[158:159]
	v_fma_f64 v[58:59], v[148:149], v[56:57], -v[58:59]
	v_mul_f64 v[148:149], v[148:149], v[158:159]
	v_fmac_f64_e32 v[148:149], v[150:151], v[56:57]
	s_waitcnt vmcnt(1)
	v_add_f64 v[0:1], v[0:1], -v[58:59]
	v_add_f64 v[2:3], v[2:3], -v[148:149]
	s_waitcnt lgkmcnt(0)
	v_mul_f64 v[58:59], v[166:167], v[158:159]
	v_mul_f64 v[148:149], v[164:165], v[158:159]
	v_fma_f64 v[58:59], v[164:165], v[56:57], -v[58:59]
	v_fmac_f64_e32 v[148:149], v[166:167], v[56:57]
	s_waitcnt vmcnt(0)
	v_add_f64 v[144:145], v[144:145], -v[58:59]
	v_add_f64 v[146:147], v[146:147], -v[148:149]
	v_mov_b64_e32 v[58:59], v[158:159]
.LBB72_461:
	s_or_b64 exec, exec, s[0:1]
	v_lshl_add_u32 v148, v161, 4, v160
	s_barrier
	s_waitcnt vmcnt(14)
	ds_write2_b64 v148, v[52:53], v[54:55] offset1:1
	s_waitcnt lgkmcnt(0)
	s_barrier
	ds_read2_b64 v[148:151], v160 offset0:44 offset1:45
	s_cmp_lt_i32 s20, 24
	v_mov_b32_e32 v158, 22
	s_cbranch_scc1 .LBB72_464
; %bb.462:
	v_add_u32_e32 v159, 0x170, v160
	s_mov_b32 s16, 23
	v_mov_b32_e32 v158, 22
.LBB72_463:                             ; =>This Inner Loop Header: Depth=1
	ds_read2_b64 v[164:167], v159 offset1:1
	s_waitcnt lgkmcnt(1)
	v_xor_b32_e32 v169, 0x80000000, v149
	v_xor_b32_e32 v171, 0x80000000, v151
	v_cmp_gt_f64_e32 vcc, 0, v[150:151]
	v_cmp_gt_f64_e64 s[0:1], 0, v[148:149]
	v_mov_b32_e32 v168, v148
	v_mov_b32_e32 v170, v150
	v_cndmask_b32_e64 v169, v149, v169, s[0:1]
	v_cndmask_b32_e32 v171, v151, v171, vcc
	v_add_f64 v[168:169], v[168:169], v[170:171]
	s_waitcnt lgkmcnt(0)
	v_xor_b32_e32 v171, 0x80000000, v165
	v_xor_b32_e32 v173, 0x80000000, v167
	v_cmp_gt_f64_e32 vcc, 0, v[166:167]
	v_cmp_gt_f64_e64 s[0:1], 0, v[164:165]
	v_mov_b32_e32 v170, v164
	v_mov_b32_e32 v172, v166
	v_cndmask_b32_e64 v171, v165, v171, s[0:1]
	v_cndmask_b32_e32 v173, v167, v173, vcc
	v_add_f64 v[170:171], v[170:171], v[172:173]
	v_mov_b32_e32 v174, s16
	s_add_i32 s16, s16, 1
	v_cmp_lt_f64_e32 vcc, v[168:169], v[170:171]
	v_add_u32_e32 v159, 16, v159
	s_cmp_lg_u32 s20, s16
	v_cndmask_b32_e32 v149, v149, v165, vcc
	v_cndmask_b32_e32 v148, v148, v164, vcc
	;; [unrolled: 1-line block ×5, first 2 shown]
	s_cbranch_scc1 .LBB72_463
.LBB72_464:
	s_waitcnt lgkmcnt(0)
	v_cmp_eq_f64_e32 vcc, 0, v[148:149]
	v_cmp_eq_f64_e64 s[0:1], 0, v[150:151]
	s_and_b64 s[0:1], vcc, s[0:1]
	s_and_saveexec_b64 s[16:17], s[0:1]
	s_xor_b64 s[0:1], exec, s[16:17]
; %bb.465:
	v_cmp_ne_u32_e32 vcc, 0, v162
	s_nop 1
	v_cndmask_b32_e32 v162, 23, v162, vcc
; %bb.466:
	s_andn2_saveexec_b64 s[0:1], s[0:1]
	s_cbranch_execz .LBB72_472
; %bb.467:
	v_cmp_ngt_f64_e64 s[16:17], |v[148:149]|, |v[150:151]|
	s_and_saveexec_b64 s[18:19], s[16:17]
	s_xor_b64 s[16:17], exec, s[18:19]
	s_cbranch_execz .LBB72_469
; %bb.468:
	v_div_scale_f64 v[164:165], s[18:19], v[150:151], v[150:151], v[148:149]
	v_rcp_f64_e32 v[166:167], v[164:165]
	v_div_scale_f64 v[168:169], vcc, v[148:149], v[150:151], v[148:149]
	v_fma_f64 v[170:171], -v[164:165], v[166:167], 1.0
	v_fmac_f64_e32 v[166:167], v[166:167], v[170:171]
	v_fma_f64 v[170:171], -v[164:165], v[166:167], 1.0
	v_fmac_f64_e32 v[166:167], v[166:167], v[170:171]
	v_mul_f64 v[170:171], v[168:169], v[166:167]
	v_fma_f64 v[164:165], -v[164:165], v[170:171], v[168:169]
	v_div_fmas_f64 v[164:165], v[164:165], v[166:167], v[170:171]
	v_div_fixup_f64 v[164:165], v[164:165], v[150:151], v[148:149]
	v_fmac_f64_e32 v[150:151], v[148:149], v[164:165]
	v_div_scale_f64 v[148:149], s[18:19], v[150:151], v[150:151], 1.0
	v_rcp_f64_e32 v[166:167], v[148:149]
	s_nop 0
	v_fma_f64 v[168:169], -v[148:149], v[166:167], 1.0
	v_fmac_f64_e32 v[166:167], v[166:167], v[168:169]
	v_fma_f64 v[168:169], -v[148:149], v[166:167], 1.0
	v_fmac_f64_e32 v[166:167], v[166:167], v[168:169]
	v_div_scale_f64 v[168:169], vcc, 1.0, v[150:151], 1.0
	v_mul_f64 v[170:171], v[168:169], v[166:167]
	v_fma_f64 v[148:149], -v[148:149], v[170:171], v[168:169]
	s_nop 1
	v_div_fmas_f64 v[148:149], v[148:149], v[166:167], v[170:171]
	v_div_fixup_f64 v[150:151], v[148:149], v[150:151], 1.0
	v_mul_f64 v[148:149], v[164:165], v[150:151]
	v_xor_b32_e32 v151, 0x80000000, v151
.LBB72_469:
	s_andn2_saveexec_b64 s[16:17], s[16:17]
	s_cbranch_execz .LBB72_471
; %bb.470:
	v_div_scale_f64 v[164:165], s[18:19], v[148:149], v[148:149], v[150:151]
	v_rcp_f64_e32 v[166:167], v[164:165]
	v_div_scale_f64 v[168:169], vcc, v[150:151], v[148:149], v[150:151]
	v_fma_f64 v[170:171], -v[164:165], v[166:167], 1.0
	v_fmac_f64_e32 v[166:167], v[166:167], v[170:171]
	v_fma_f64 v[170:171], -v[164:165], v[166:167], 1.0
	v_fmac_f64_e32 v[166:167], v[166:167], v[170:171]
	v_mul_f64 v[170:171], v[168:169], v[166:167]
	v_fma_f64 v[164:165], -v[164:165], v[170:171], v[168:169]
	v_div_fmas_f64 v[164:165], v[164:165], v[166:167], v[170:171]
	v_div_fixup_f64 v[164:165], v[164:165], v[148:149], v[150:151]
	v_fmac_f64_e32 v[148:149], v[150:151], v[164:165]
	v_div_scale_f64 v[150:151], s[18:19], v[148:149], v[148:149], 1.0
	v_rcp_f64_e32 v[166:167], v[150:151]
	s_nop 0
	v_fma_f64 v[168:169], -v[150:151], v[166:167], 1.0
	v_fmac_f64_e32 v[166:167], v[166:167], v[168:169]
	v_fma_f64 v[168:169], -v[150:151], v[166:167], 1.0
	v_fmac_f64_e32 v[166:167], v[166:167], v[168:169]
	v_div_scale_f64 v[168:169], vcc, 1.0, v[148:149], 1.0
	v_mul_f64 v[170:171], v[168:169], v[166:167]
	v_fma_f64 v[150:151], -v[150:151], v[170:171], v[168:169]
	s_nop 1
	v_div_fmas_f64 v[150:151], v[150:151], v[166:167], v[170:171]
	v_div_fixup_f64 v[148:149], v[150:151], v[148:149], 1.0
	v_mul_f64 v[150:151], v[164:165], -v[148:149]
.LBB72_471:
	s_or_b64 exec, exec, s[16:17]
.LBB72_472:
	s_or_b64 exec, exec, s[0:1]
	v_cmp_ne_u32_e32 vcc, v161, v158
	s_and_saveexec_b64 s[0:1], vcc
	s_xor_b64 s[0:1], exec, s[0:1]
	s_cbranch_execz .LBB72_478
; %bb.473:
	v_cmp_eq_u32_e32 vcc, 22, v161
	s_and_saveexec_b64 s[16:17], vcc
	s_cbranch_execz .LBB72_477
; %bb.474:
	v_cmp_ne_u32_e32 vcc, 22, v158
	s_xor_b64 s[18:19], s[14:15], -1
	s_and_b64 s[22:23], s[18:19], vcc
	s_and_saveexec_b64 s[18:19], s[22:23]
	s_cbranch_execz .LBB72_476
; %bb.475:
	v_ashrrev_i32_e32 v159, 31, v158
	v_lshl_add_u64 v[164:165], v[158:159], 2, v[156:157]
	global_load_dword v159, v[164:165], off
	global_load_dword v161, v[156:157], off offset:88
	s_waitcnt vmcnt(1)
	global_store_dword v[156:157], v159, off offset:88
	s_waitcnt vmcnt(1)
	global_store_dword v[164:165], v161, off
.LBB72_476:
	s_or_b64 exec, exec, s[18:19]
	v_mov_b32_e32 v161, v158
	v_mov_b32_e32 v163, v158
.LBB72_477:
	s_or_b64 exec, exec, s[16:17]
.LBB72_478:
	s_andn2_saveexec_b64 s[0:1], s[0:1]
	s_cbranch_execz .LBB72_480
; %bb.479:
	v_mov_b32_e32 v161, 22
	s_waitcnt vmcnt(13)
	ds_write2_b64 v160, v[48:49], v[50:51] offset0:46 offset1:47
	s_waitcnt vmcnt(12)
	ds_write2_b64 v160, v[44:45], v[46:47] offset0:48 offset1:49
	;; [unrolled: 2-line block ×14, first 2 shown]
.LBB72_480:
	s_or_b64 exec, exec, s[0:1]
	v_cmp_lt_i32_e32 vcc, 22, v161
	s_waitcnt lgkmcnt(0)
	s_barrier
	s_and_saveexec_b64 s[0:1], vcc
	s_cbranch_execz .LBB72_482
; %bb.481:
	ds_read2_b64 v[164:167], v160 offset0:46 offset1:47
	v_mul_f64 v[158:159], v[148:149], v[54:55]
	v_mul_f64 v[54:55], v[150:151], v[54:55]
	v_fmac_f64_e32 v[158:159], v[150:151], v[52:53]
	v_fma_f64 v[52:53], v[148:149], v[52:53], -v[54:55]
	ds_read2_b64 v[148:151], v160 offset0:48 offset1:49
	s_waitcnt lgkmcnt(1)
	v_mul_f64 v[54:55], v[166:167], v[158:159]
	v_fma_f64 v[54:55], v[164:165], v[52:53], -v[54:55]
	v_mul_f64 v[164:165], v[164:165], v[158:159]
	v_fmac_f64_e32 v[164:165], v[166:167], v[52:53]
	s_waitcnt vmcnt(13)
	v_add_f64 v[48:49], v[48:49], -v[54:55]
	s_waitcnt lgkmcnt(0)
	v_mul_f64 v[54:55], v[150:151], v[158:159]
	v_add_f64 v[50:51], v[50:51], -v[164:165]
	v_fma_f64 v[54:55], v[148:149], v[52:53], -v[54:55]
	v_mul_f64 v[148:149], v[148:149], v[158:159]
	ds_read2_b64 v[164:167], v160 offset0:50 offset1:51
	v_fmac_f64_e32 v[148:149], v[150:151], v[52:53]
	s_waitcnt vmcnt(12)
	v_add_f64 v[46:47], v[46:47], -v[148:149]
	ds_read2_b64 v[148:151], v160 offset0:52 offset1:53
	v_add_f64 v[44:45], v[44:45], -v[54:55]
	s_waitcnt lgkmcnt(1)
	v_mul_f64 v[54:55], v[166:167], v[158:159]
	v_fma_f64 v[54:55], v[164:165], v[52:53], -v[54:55]
	v_mul_f64 v[164:165], v[164:165], v[158:159]
	v_fmac_f64_e32 v[164:165], v[166:167], v[52:53]
	s_waitcnt vmcnt(11)
	v_add_f64 v[40:41], v[40:41], -v[54:55]
	s_waitcnt lgkmcnt(0)
	v_mul_f64 v[54:55], v[150:151], v[158:159]
	v_add_f64 v[42:43], v[42:43], -v[164:165]
	v_fma_f64 v[54:55], v[148:149], v[52:53], -v[54:55]
	v_mul_f64 v[148:149], v[148:149], v[158:159]
	ds_read2_b64 v[164:167], v160 offset0:54 offset1:55
	v_fmac_f64_e32 v[148:149], v[150:151], v[52:53]
	s_waitcnt vmcnt(10)
	v_add_f64 v[38:39], v[38:39], -v[148:149]
	ds_read2_b64 v[148:151], v160 offset0:56 offset1:57
	v_add_f64 v[36:37], v[36:37], -v[54:55]
	;; [unrolled: 18-line block ×6, first 2 shown]
	s_waitcnt lgkmcnt(1)
	v_mul_f64 v[54:55], v[166:167], v[158:159]
	v_fma_f64 v[54:55], v[164:165], v[52:53], -v[54:55]
	s_waitcnt vmcnt(1)
	v_add_f64 v[0:1], v[0:1], -v[54:55]
	s_waitcnt lgkmcnt(0)
	v_mul_f64 v[54:55], v[150:151], v[158:159]
	v_mul_f64 v[164:165], v[164:165], v[158:159]
	v_fma_f64 v[54:55], v[148:149], v[52:53], -v[54:55]
	v_mul_f64 v[148:149], v[148:149], v[158:159]
	v_fmac_f64_e32 v[164:165], v[166:167], v[52:53]
	v_fmac_f64_e32 v[148:149], v[150:151], v[52:53]
	v_add_f64 v[2:3], v[2:3], -v[164:165]
	s_waitcnt vmcnt(0)
	v_add_f64 v[144:145], v[144:145], -v[54:55]
	v_add_f64 v[146:147], v[146:147], -v[148:149]
	v_mov_b64_e32 v[54:55], v[158:159]
.LBB72_482:
	s_or_b64 exec, exec, s[0:1]
	v_lshl_add_u32 v148, v161, 4, v160
	s_barrier
	s_waitcnt vmcnt(13)
	ds_write2_b64 v148, v[48:49], v[50:51] offset1:1
	s_waitcnt lgkmcnt(0)
	s_barrier
	ds_read2_b64 v[148:151], v160 offset0:46 offset1:47
	s_cmp_lt_i32 s20, 25
	v_mov_b32_e32 v158, 23
	s_cbranch_scc1 .LBB72_485
; %bb.483:
	v_add_u32_e32 v159, 0x180, v160
	s_mov_b32 s16, 24
	v_mov_b32_e32 v158, 23
.LBB72_484:                             ; =>This Inner Loop Header: Depth=1
	ds_read2_b64 v[164:167], v159 offset1:1
	s_waitcnt lgkmcnt(1)
	v_xor_b32_e32 v169, 0x80000000, v149
	v_xor_b32_e32 v171, 0x80000000, v151
	v_cmp_gt_f64_e32 vcc, 0, v[150:151]
	v_cmp_gt_f64_e64 s[0:1], 0, v[148:149]
	v_mov_b32_e32 v168, v148
	v_mov_b32_e32 v170, v150
	v_cndmask_b32_e64 v169, v149, v169, s[0:1]
	v_cndmask_b32_e32 v171, v151, v171, vcc
	v_add_f64 v[168:169], v[168:169], v[170:171]
	s_waitcnt lgkmcnt(0)
	v_xor_b32_e32 v171, 0x80000000, v165
	v_xor_b32_e32 v173, 0x80000000, v167
	v_cmp_gt_f64_e32 vcc, 0, v[166:167]
	v_cmp_gt_f64_e64 s[0:1], 0, v[164:165]
	v_mov_b32_e32 v170, v164
	v_mov_b32_e32 v172, v166
	v_cndmask_b32_e64 v171, v165, v171, s[0:1]
	v_cndmask_b32_e32 v173, v167, v173, vcc
	v_add_f64 v[170:171], v[170:171], v[172:173]
	v_mov_b32_e32 v174, s16
	s_add_i32 s16, s16, 1
	v_cmp_lt_f64_e32 vcc, v[168:169], v[170:171]
	v_add_u32_e32 v159, 16, v159
	s_cmp_lg_u32 s20, s16
	v_cndmask_b32_e32 v149, v149, v165, vcc
	v_cndmask_b32_e32 v148, v148, v164, vcc
	;; [unrolled: 1-line block ×5, first 2 shown]
	s_cbranch_scc1 .LBB72_484
.LBB72_485:
	s_waitcnt lgkmcnt(0)
	v_cmp_eq_f64_e32 vcc, 0, v[148:149]
	v_cmp_eq_f64_e64 s[0:1], 0, v[150:151]
	s_and_b64 s[0:1], vcc, s[0:1]
	s_and_saveexec_b64 s[16:17], s[0:1]
	s_xor_b64 s[0:1], exec, s[16:17]
; %bb.486:
	v_cmp_ne_u32_e32 vcc, 0, v162
	s_nop 1
	v_cndmask_b32_e32 v162, 24, v162, vcc
; %bb.487:
	s_andn2_saveexec_b64 s[0:1], s[0:1]
	s_cbranch_execz .LBB72_493
; %bb.488:
	v_cmp_ngt_f64_e64 s[16:17], |v[148:149]|, |v[150:151]|
	s_and_saveexec_b64 s[18:19], s[16:17]
	s_xor_b64 s[16:17], exec, s[18:19]
	s_cbranch_execz .LBB72_490
; %bb.489:
	v_div_scale_f64 v[164:165], s[18:19], v[150:151], v[150:151], v[148:149]
	v_rcp_f64_e32 v[166:167], v[164:165]
	v_div_scale_f64 v[168:169], vcc, v[148:149], v[150:151], v[148:149]
	v_fma_f64 v[170:171], -v[164:165], v[166:167], 1.0
	v_fmac_f64_e32 v[166:167], v[166:167], v[170:171]
	v_fma_f64 v[170:171], -v[164:165], v[166:167], 1.0
	v_fmac_f64_e32 v[166:167], v[166:167], v[170:171]
	v_mul_f64 v[170:171], v[168:169], v[166:167]
	v_fma_f64 v[164:165], -v[164:165], v[170:171], v[168:169]
	v_div_fmas_f64 v[164:165], v[164:165], v[166:167], v[170:171]
	v_div_fixup_f64 v[164:165], v[164:165], v[150:151], v[148:149]
	v_fmac_f64_e32 v[150:151], v[148:149], v[164:165]
	v_div_scale_f64 v[148:149], s[18:19], v[150:151], v[150:151], 1.0
	v_rcp_f64_e32 v[166:167], v[148:149]
	s_nop 0
	v_fma_f64 v[168:169], -v[148:149], v[166:167], 1.0
	v_fmac_f64_e32 v[166:167], v[166:167], v[168:169]
	v_fma_f64 v[168:169], -v[148:149], v[166:167], 1.0
	v_fmac_f64_e32 v[166:167], v[166:167], v[168:169]
	v_div_scale_f64 v[168:169], vcc, 1.0, v[150:151], 1.0
	v_mul_f64 v[170:171], v[168:169], v[166:167]
	v_fma_f64 v[148:149], -v[148:149], v[170:171], v[168:169]
	s_nop 1
	v_div_fmas_f64 v[148:149], v[148:149], v[166:167], v[170:171]
	v_div_fixup_f64 v[150:151], v[148:149], v[150:151], 1.0
	v_mul_f64 v[148:149], v[164:165], v[150:151]
	v_xor_b32_e32 v151, 0x80000000, v151
.LBB72_490:
	s_andn2_saveexec_b64 s[16:17], s[16:17]
	s_cbranch_execz .LBB72_492
; %bb.491:
	v_div_scale_f64 v[164:165], s[18:19], v[148:149], v[148:149], v[150:151]
	v_rcp_f64_e32 v[166:167], v[164:165]
	v_div_scale_f64 v[168:169], vcc, v[150:151], v[148:149], v[150:151]
	v_fma_f64 v[170:171], -v[164:165], v[166:167], 1.0
	v_fmac_f64_e32 v[166:167], v[166:167], v[170:171]
	v_fma_f64 v[170:171], -v[164:165], v[166:167], 1.0
	v_fmac_f64_e32 v[166:167], v[166:167], v[170:171]
	v_mul_f64 v[170:171], v[168:169], v[166:167]
	v_fma_f64 v[164:165], -v[164:165], v[170:171], v[168:169]
	v_div_fmas_f64 v[164:165], v[164:165], v[166:167], v[170:171]
	v_div_fixup_f64 v[164:165], v[164:165], v[148:149], v[150:151]
	v_fmac_f64_e32 v[148:149], v[150:151], v[164:165]
	v_div_scale_f64 v[150:151], s[18:19], v[148:149], v[148:149], 1.0
	v_rcp_f64_e32 v[166:167], v[150:151]
	s_nop 0
	v_fma_f64 v[168:169], -v[150:151], v[166:167], 1.0
	v_fmac_f64_e32 v[166:167], v[166:167], v[168:169]
	v_fma_f64 v[168:169], -v[150:151], v[166:167], 1.0
	v_fmac_f64_e32 v[166:167], v[166:167], v[168:169]
	v_div_scale_f64 v[168:169], vcc, 1.0, v[148:149], 1.0
	v_mul_f64 v[170:171], v[168:169], v[166:167]
	v_fma_f64 v[150:151], -v[150:151], v[170:171], v[168:169]
	s_nop 1
	v_div_fmas_f64 v[150:151], v[150:151], v[166:167], v[170:171]
	v_div_fixup_f64 v[148:149], v[150:151], v[148:149], 1.0
	v_mul_f64 v[150:151], v[164:165], -v[148:149]
.LBB72_492:
	s_or_b64 exec, exec, s[16:17]
.LBB72_493:
	s_or_b64 exec, exec, s[0:1]
	v_cmp_ne_u32_e32 vcc, v161, v158
	s_and_saveexec_b64 s[0:1], vcc
	s_xor_b64 s[0:1], exec, s[0:1]
	s_cbranch_execz .LBB72_499
; %bb.494:
	v_cmp_eq_u32_e32 vcc, 23, v161
	s_and_saveexec_b64 s[16:17], vcc
	s_cbranch_execz .LBB72_498
; %bb.495:
	v_cmp_ne_u32_e32 vcc, 23, v158
	s_xor_b64 s[18:19], s[14:15], -1
	s_and_b64 s[22:23], s[18:19], vcc
	s_and_saveexec_b64 s[18:19], s[22:23]
	s_cbranch_execz .LBB72_497
; %bb.496:
	v_ashrrev_i32_e32 v159, 31, v158
	v_lshl_add_u64 v[164:165], v[158:159], 2, v[156:157]
	global_load_dword v159, v[164:165], off
	global_load_dword v161, v[156:157], off offset:92
	s_waitcnt vmcnt(1)
	global_store_dword v[156:157], v159, off offset:92
	s_waitcnt vmcnt(1)
	global_store_dword v[164:165], v161, off
.LBB72_497:
	s_or_b64 exec, exec, s[18:19]
	v_mov_b32_e32 v161, v158
	v_mov_b32_e32 v163, v158
.LBB72_498:
	s_or_b64 exec, exec, s[16:17]
.LBB72_499:
	s_andn2_saveexec_b64 s[0:1], s[0:1]
	s_cbranch_execz .LBB72_501
; %bb.500:
	v_mov_b32_e32 v161, 23
	s_waitcnt vmcnt(12)
	ds_write2_b64 v160, v[44:45], v[46:47] offset0:48 offset1:49
	s_waitcnt vmcnt(11)
	ds_write2_b64 v160, v[40:41], v[42:43] offset0:50 offset1:51
	;; [unrolled: 2-line block ×13, first 2 shown]
.LBB72_501:
	s_or_b64 exec, exec, s[0:1]
	v_cmp_lt_i32_e32 vcc, 23, v161
	s_waitcnt lgkmcnt(0)
	s_barrier
	s_and_saveexec_b64 s[0:1], vcc
	s_cbranch_execz .LBB72_503
; %bb.502:
	ds_read2_b64 v[164:167], v160 offset0:48 offset1:49
	v_mul_f64 v[158:159], v[148:149], v[50:51]
	v_fmac_f64_e32 v[158:159], v[150:151], v[48:49]
	v_mul_f64 v[50:51], v[150:151], v[50:51]
	v_fma_f64 v[48:49], v[148:149], v[48:49], -v[50:51]
	ds_read2_b64 v[148:151], v160 offset0:50 offset1:51
	s_waitcnt lgkmcnt(1)
	v_mul_f64 v[50:51], v[166:167], v[158:159]
	v_fma_f64 v[50:51], v[164:165], v[48:49], -v[50:51]
	v_mul_f64 v[164:165], v[164:165], v[158:159]
	v_fmac_f64_e32 v[164:165], v[166:167], v[48:49]
	s_waitcnt vmcnt(12)
	v_add_f64 v[46:47], v[46:47], -v[164:165]
	ds_read2_b64 v[164:167], v160 offset0:52 offset1:53
	v_add_f64 v[44:45], v[44:45], -v[50:51]
	s_waitcnt lgkmcnt(1)
	v_mul_f64 v[50:51], v[150:151], v[158:159]
	v_fma_f64 v[50:51], v[148:149], v[48:49], -v[50:51]
	v_mul_f64 v[148:149], v[148:149], v[158:159]
	v_fmac_f64_e32 v[148:149], v[150:151], v[48:49]
	s_waitcnt vmcnt(11)
	v_add_f64 v[40:41], v[40:41], -v[50:51]
	v_add_f64 v[42:43], v[42:43], -v[148:149]
	ds_read2_b64 v[148:151], v160 offset0:54 offset1:55
	s_waitcnt lgkmcnt(1)
	v_mul_f64 v[50:51], v[166:167], v[158:159]
	v_fma_f64 v[50:51], v[164:165], v[48:49], -v[50:51]
	v_mul_f64 v[164:165], v[164:165], v[158:159]
	v_fmac_f64_e32 v[164:165], v[166:167], v[48:49]
	s_waitcnt vmcnt(10)
	v_add_f64 v[38:39], v[38:39], -v[164:165]
	ds_read2_b64 v[164:167], v160 offset0:56 offset1:57
	v_add_f64 v[36:37], v[36:37], -v[50:51]
	s_waitcnt lgkmcnt(1)
	v_mul_f64 v[50:51], v[150:151], v[158:159]
	v_fma_f64 v[50:51], v[148:149], v[48:49], -v[50:51]
	v_mul_f64 v[148:149], v[148:149], v[158:159]
	v_fmac_f64_e32 v[148:149], v[150:151], v[48:49]
	s_waitcnt vmcnt(9)
	v_add_f64 v[32:33], v[32:33], -v[50:51]
	v_add_f64 v[34:35], v[34:35], -v[148:149]
	ds_read2_b64 v[148:151], v160 offset0:58 offset1:59
	s_waitcnt lgkmcnt(1)
	v_mul_f64 v[50:51], v[166:167], v[158:159]
	v_fma_f64 v[50:51], v[164:165], v[48:49], -v[50:51]
	v_mul_f64 v[164:165], v[164:165], v[158:159]
	v_fmac_f64_e32 v[164:165], v[166:167], v[48:49]
	s_waitcnt vmcnt(8)
	v_add_f64 v[30:31], v[30:31], -v[164:165]
	ds_read2_b64 v[164:167], v160 offset0:60 offset1:61
	v_add_f64 v[28:29], v[28:29], -v[50:51]
	s_waitcnt lgkmcnt(1)
	v_mul_f64 v[50:51], v[150:151], v[158:159]
	v_fma_f64 v[50:51], v[148:149], v[48:49], -v[50:51]
	v_mul_f64 v[148:149], v[148:149], v[158:159]
	v_fmac_f64_e32 v[148:149], v[150:151], v[48:49]
	s_waitcnt vmcnt(7)
	v_add_f64 v[24:25], v[24:25], -v[50:51]
	v_add_f64 v[26:27], v[26:27], -v[148:149]
	ds_read2_b64 v[148:151], v160 offset0:62 offset1:63
	s_waitcnt lgkmcnt(1)
	v_mul_f64 v[50:51], v[166:167], v[158:159]
	v_fma_f64 v[50:51], v[164:165], v[48:49], -v[50:51]
	v_mul_f64 v[164:165], v[164:165], v[158:159]
	v_fmac_f64_e32 v[164:165], v[166:167], v[48:49]
	s_waitcnt vmcnt(6)
	v_add_f64 v[22:23], v[22:23], -v[164:165]
	ds_read2_b64 v[164:167], v160 offset0:64 offset1:65
	v_add_f64 v[20:21], v[20:21], -v[50:51]
	s_waitcnt lgkmcnt(1)
	v_mul_f64 v[50:51], v[150:151], v[158:159]
	v_fma_f64 v[50:51], v[148:149], v[48:49], -v[50:51]
	v_mul_f64 v[148:149], v[148:149], v[158:159]
	v_fmac_f64_e32 v[148:149], v[150:151], v[48:49]
	s_waitcnt vmcnt(5)
	v_add_f64 v[16:17], v[16:17], -v[50:51]
	v_add_f64 v[18:19], v[18:19], -v[148:149]
	ds_read2_b64 v[148:151], v160 offset0:66 offset1:67
	s_waitcnt lgkmcnt(1)
	v_mul_f64 v[50:51], v[166:167], v[158:159]
	v_fma_f64 v[50:51], v[164:165], v[48:49], -v[50:51]
	v_mul_f64 v[164:165], v[164:165], v[158:159]
	v_fmac_f64_e32 v[164:165], v[166:167], v[48:49]
	s_waitcnt vmcnt(4)
	v_add_f64 v[14:15], v[14:15], -v[164:165]
	ds_read2_b64 v[164:167], v160 offset0:68 offset1:69
	v_add_f64 v[12:13], v[12:13], -v[50:51]
	s_waitcnt lgkmcnt(1)
	v_mul_f64 v[50:51], v[150:151], v[158:159]
	v_fma_f64 v[50:51], v[148:149], v[48:49], -v[50:51]
	v_mul_f64 v[148:149], v[148:149], v[158:159]
	v_fmac_f64_e32 v[148:149], v[150:151], v[48:49]
	s_waitcnt vmcnt(3)
	v_add_f64 v[8:9], v[8:9], -v[50:51]
	v_add_f64 v[10:11], v[10:11], -v[148:149]
	ds_read2_b64 v[148:151], v160 offset0:70 offset1:71
	s_waitcnt lgkmcnt(1)
	v_mul_f64 v[50:51], v[166:167], v[158:159]
	v_fma_f64 v[50:51], v[164:165], v[48:49], -v[50:51]
	v_mul_f64 v[164:165], v[164:165], v[158:159]
	v_fmac_f64_e32 v[164:165], v[166:167], v[48:49]
	s_waitcnt vmcnt(2)
	v_add_f64 v[6:7], v[6:7], -v[164:165]
	ds_read2_b64 v[164:167], v160 offset0:72 offset1:73
	v_add_f64 v[4:5], v[4:5], -v[50:51]
	s_waitcnt lgkmcnt(1)
	v_mul_f64 v[50:51], v[150:151], v[158:159]
	v_fma_f64 v[50:51], v[148:149], v[48:49], -v[50:51]
	v_mul_f64 v[148:149], v[148:149], v[158:159]
	v_fmac_f64_e32 v[148:149], v[150:151], v[48:49]
	s_waitcnt vmcnt(1)
	v_add_f64 v[0:1], v[0:1], -v[50:51]
	v_add_f64 v[2:3], v[2:3], -v[148:149]
	s_waitcnt lgkmcnt(0)
	v_mul_f64 v[50:51], v[166:167], v[158:159]
	v_mul_f64 v[148:149], v[164:165], v[158:159]
	v_fma_f64 v[50:51], v[164:165], v[48:49], -v[50:51]
	v_fmac_f64_e32 v[148:149], v[166:167], v[48:49]
	s_waitcnt vmcnt(0)
	v_add_f64 v[144:145], v[144:145], -v[50:51]
	v_add_f64 v[146:147], v[146:147], -v[148:149]
	v_mov_b64_e32 v[50:51], v[158:159]
.LBB72_503:
	s_or_b64 exec, exec, s[0:1]
	v_lshl_add_u32 v148, v161, 4, v160
	s_barrier
	s_waitcnt vmcnt(12)
	ds_write2_b64 v148, v[44:45], v[46:47] offset1:1
	s_waitcnt lgkmcnt(0)
	s_barrier
	ds_read2_b64 v[148:151], v160 offset0:48 offset1:49
	s_cmp_lt_i32 s20, 26
	v_mov_b32_e32 v158, 24
	s_cbranch_scc1 .LBB72_506
; %bb.504:
	v_add_u32_e32 v159, 0x190, v160
	s_mov_b32 s16, 25
	v_mov_b32_e32 v158, 24
.LBB72_505:                             ; =>This Inner Loop Header: Depth=1
	ds_read2_b64 v[164:167], v159 offset1:1
	s_waitcnt lgkmcnt(1)
	v_xor_b32_e32 v169, 0x80000000, v149
	v_xor_b32_e32 v171, 0x80000000, v151
	v_cmp_gt_f64_e32 vcc, 0, v[150:151]
	v_cmp_gt_f64_e64 s[0:1], 0, v[148:149]
	v_mov_b32_e32 v168, v148
	v_mov_b32_e32 v170, v150
	v_cndmask_b32_e64 v169, v149, v169, s[0:1]
	v_cndmask_b32_e32 v171, v151, v171, vcc
	v_add_f64 v[168:169], v[168:169], v[170:171]
	s_waitcnt lgkmcnt(0)
	v_xor_b32_e32 v171, 0x80000000, v165
	v_xor_b32_e32 v173, 0x80000000, v167
	v_cmp_gt_f64_e32 vcc, 0, v[166:167]
	v_cmp_gt_f64_e64 s[0:1], 0, v[164:165]
	v_mov_b32_e32 v170, v164
	v_mov_b32_e32 v172, v166
	v_cndmask_b32_e64 v171, v165, v171, s[0:1]
	v_cndmask_b32_e32 v173, v167, v173, vcc
	v_add_f64 v[170:171], v[170:171], v[172:173]
	v_mov_b32_e32 v174, s16
	s_add_i32 s16, s16, 1
	v_cmp_lt_f64_e32 vcc, v[168:169], v[170:171]
	v_add_u32_e32 v159, 16, v159
	s_cmp_lg_u32 s20, s16
	v_cndmask_b32_e32 v149, v149, v165, vcc
	v_cndmask_b32_e32 v148, v148, v164, vcc
	;; [unrolled: 1-line block ×5, first 2 shown]
	s_cbranch_scc1 .LBB72_505
.LBB72_506:
	s_waitcnt lgkmcnt(0)
	v_cmp_eq_f64_e32 vcc, 0, v[148:149]
	v_cmp_eq_f64_e64 s[0:1], 0, v[150:151]
	s_and_b64 s[0:1], vcc, s[0:1]
	s_and_saveexec_b64 s[16:17], s[0:1]
	s_xor_b64 s[0:1], exec, s[16:17]
; %bb.507:
	v_cmp_ne_u32_e32 vcc, 0, v162
	s_nop 1
	v_cndmask_b32_e32 v162, 25, v162, vcc
; %bb.508:
	s_andn2_saveexec_b64 s[0:1], s[0:1]
	s_cbranch_execz .LBB72_514
; %bb.509:
	v_cmp_ngt_f64_e64 s[16:17], |v[148:149]|, |v[150:151]|
	s_and_saveexec_b64 s[18:19], s[16:17]
	s_xor_b64 s[16:17], exec, s[18:19]
	s_cbranch_execz .LBB72_511
; %bb.510:
	v_div_scale_f64 v[164:165], s[18:19], v[150:151], v[150:151], v[148:149]
	v_rcp_f64_e32 v[166:167], v[164:165]
	v_div_scale_f64 v[168:169], vcc, v[148:149], v[150:151], v[148:149]
	v_fma_f64 v[170:171], -v[164:165], v[166:167], 1.0
	v_fmac_f64_e32 v[166:167], v[166:167], v[170:171]
	v_fma_f64 v[170:171], -v[164:165], v[166:167], 1.0
	v_fmac_f64_e32 v[166:167], v[166:167], v[170:171]
	v_mul_f64 v[170:171], v[168:169], v[166:167]
	v_fma_f64 v[164:165], -v[164:165], v[170:171], v[168:169]
	v_div_fmas_f64 v[164:165], v[164:165], v[166:167], v[170:171]
	v_div_fixup_f64 v[164:165], v[164:165], v[150:151], v[148:149]
	v_fmac_f64_e32 v[150:151], v[148:149], v[164:165]
	v_div_scale_f64 v[148:149], s[18:19], v[150:151], v[150:151], 1.0
	v_rcp_f64_e32 v[166:167], v[148:149]
	s_nop 0
	v_fma_f64 v[168:169], -v[148:149], v[166:167], 1.0
	v_fmac_f64_e32 v[166:167], v[166:167], v[168:169]
	v_fma_f64 v[168:169], -v[148:149], v[166:167], 1.0
	v_fmac_f64_e32 v[166:167], v[166:167], v[168:169]
	v_div_scale_f64 v[168:169], vcc, 1.0, v[150:151], 1.0
	v_mul_f64 v[170:171], v[168:169], v[166:167]
	v_fma_f64 v[148:149], -v[148:149], v[170:171], v[168:169]
	s_nop 1
	v_div_fmas_f64 v[148:149], v[148:149], v[166:167], v[170:171]
	v_div_fixup_f64 v[150:151], v[148:149], v[150:151], 1.0
	v_mul_f64 v[148:149], v[164:165], v[150:151]
	v_xor_b32_e32 v151, 0x80000000, v151
.LBB72_511:
	s_andn2_saveexec_b64 s[16:17], s[16:17]
	s_cbranch_execz .LBB72_513
; %bb.512:
	v_div_scale_f64 v[164:165], s[18:19], v[148:149], v[148:149], v[150:151]
	v_rcp_f64_e32 v[166:167], v[164:165]
	v_div_scale_f64 v[168:169], vcc, v[150:151], v[148:149], v[150:151]
	v_fma_f64 v[170:171], -v[164:165], v[166:167], 1.0
	v_fmac_f64_e32 v[166:167], v[166:167], v[170:171]
	v_fma_f64 v[170:171], -v[164:165], v[166:167], 1.0
	v_fmac_f64_e32 v[166:167], v[166:167], v[170:171]
	v_mul_f64 v[170:171], v[168:169], v[166:167]
	v_fma_f64 v[164:165], -v[164:165], v[170:171], v[168:169]
	v_div_fmas_f64 v[164:165], v[164:165], v[166:167], v[170:171]
	v_div_fixup_f64 v[164:165], v[164:165], v[148:149], v[150:151]
	v_fmac_f64_e32 v[148:149], v[150:151], v[164:165]
	v_div_scale_f64 v[150:151], s[18:19], v[148:149], v[148:149], 1.0
	v_rcp_f64_e32 v[166:167], v[150:151]
	s_nop 0
	v_fma_f64 v[168:169], -v[150:151], v[166:167], 1.0
	v_fmac_f64_e32 v[166:167], v[166:167], v[168:169]
	v_fma_f64 v[168:169], -v[150:151], v[166:167], 1.0
	v_fmac_f64_e32 v[166:167], v[166:167], v[168:169]
	v_div_scale_f64 v[168:169], vcc, 1.0, v[148:149], 1.0
	v_mul_f64 v[170:171], v[168:169], v[166:167]
	v_fma_f64 v[150:151], -v[150:151], v[170:171], v[168:169]
	s_nop 1
	v_div_fmas_f64 v[150:151], v[150:151], v[166:167], v[170:171]
	v_div_fixup_f64 v[148:149], v[150:151], v[148:149], 1.0
	v_mul_f64 v[150:151], v[164:165], -v[148:149]
.LBB72_513:
	s_or_b64 exec, exec, s[16:17]
.LBB72_514:
	s_or_b64 exec, exec, s[0:1]
	v_cmp_ne_u32_e32 vcc, v161, v158
	s_and_saveexec_b64 s[0:1], vcc
	s_xor_b64 s[0:1], exec, s[0:1]
	s_cbranch_execz .LBB72_520
; %bb.515:
	v_cmp_eq_u32_e32 vcc, 24, v161
	s_and_saveexec_b64 s[16:17], vcc
	s_cbranch_execz .LBB72_519
; %bb.516:
	v_cmp_ne_u32_e32 vcc, 24, v158
	s_xor_b64 s[18:19], s[14:15], -1
	s_and_b64 s[22:23], s[18:19], vcc
	s_and_saveexec_b64 s[18:19], s[22:23]
	s_cbranch_execz .LBB72_518
; %bb.517:
	v_ashrrev_i32_e32 v159, 31, v158
	v_lshl_add_u64 v[164:165], v[158:159], 2, v[156:157]
	global_load_dword v159, v[164:165], off
	global_load_dword v161, v[156:157], off offset:96
	s_waitcnt vmcnt(1)
	global_store_dword v[156:157], v159, off offset:96
	s_waitcnt vmcnt(1)
	global_store_dword v[164:165], v161, off
.LBB72_518:
	s_or_b64 exec, exec, s[18:19]
	v_mov_b32_e32 v161, v158
	v_mov_b32_e32 v163, v158
.LBB72_519:
	s_or_b64 exec, exec, s[16:17]
.LBB72_520:
	s_andn2_saveexec_b64 s[0:1], s[0:1]
	s_cbranch_execz .LBB72_522
; %bb.521:
	v_mov_b32_e32 v161, 24
	s_waitcnt vmcnt(11)
	ds_write2_b64 v160, v[40:41], v[42:43] offset0:50 offset1:51
	s_waitcnt vmcnt(10)
	ds_write2_b64 v160, v[36:37], v[38:39] offset0:52 offset1:53
	s_waitcnt vmcnt(9)
	ds_write2_b64 v160, v[32:33], v[34:35] offset0:54 offset1:55
	s_waitcnt vmcnt(8)
	ds_write2_b64 v160, v[28:29], v[30:31] offset0:56 offset1:57
	s_waitcnt vmcnt(7)
	ds_write2_b64 v160, v[24:25], v[26:27] offset0:58 offset1:59
	s_waitcnt vmcnt(6)
	ds_write2_b64 v160, v[20:21], v[22:23] offset0:60 offset1:61
	s_waitcnt vmcnt(5)
	ds_write2_b64 v160, v[16:17], v[18:19] offset0:62 offset1:63
	s_waitcnt vmcnt(4)
	ds_write2_b64 v160, v[12:13], v[14:15] offset0:64 offset1:65
	s_waitcnt vmcnt(3)
	ds_write2_b64 v160, v[8:9], v[10:11] offset0:66 offset1:67
	s_waitcnt vmcnt(2)
	ds_write2_b64 v160, v[4:5], v[6:7] offset0:68 offset1:69
	s_waitcnt vmcnt(1)
	ds_write2_b64 v160, v[0:1], v[2:3] offset0:70 offset1:71
	s_waitcnt vmcnt(0)
	ds_write2_b64 v160, v[144:145], v[146:147] offset0:72 offset1:73
.LBB72_522:
	s_or_b64 exec, exec, s[0:1]
	v_cmp_lt_i32_e32 vcc, 24, v161
	s_waitcnt lgkmcnt(0)
	s_barrier
	s_and_saveexec_b64 s[0:1], vcc
	s_cbranch_execz .LBB72_524
; %bb.523:
	ds_read2_b64 v[164:167], v160 offset0:50 offset1:51
	v_mul_f64 v[158:159], v[148:149], v[46:47]
	v_mul_f64 v[46:47], v[150:151], v[46:47]
	v_fmac_f64_e32 v[158:159], v[150:151], v[44:45]
	v_fma_f64 v[44:45], v[148:149], v[44:45], -v[46:47]
	ds_read2_b64 v[148:151], v160 offset0:52 offset1:53
	s_waitcnt lgkmcnt(1)
	v_mul_f64 v[46:47], v[166:167], v[158:159]
	v_fma_f64 v[46:47], v[164:165], v[44:45], -v[46:47]
	v_mul_f64 v[164:165], v[164:165], v[158:159]
	v_fmac_f64_e32 v[164:165], v[166:167], v[44:45]
	s_waitcnt vmcnt(11)
	v_add_f64 v[40:41], v[40:41], -v[46:47]
	s_waitcnt lgkmcnt(0)
	v_mul_f64 v[46:47], v[150:151], v[158:159]
	v_add_f64 v[42:43], v[42:43], -v[164:165]
	v_fma_f64 v[46:47], v[148:149], v[44:45], -v[46:47]
	v_mul_f64 v[148:149], v[148:149], v[158:159]
	ds_read2_b64 v[164:167], v160 offset0:54 offset1:55
	v_fmac_f64_e32 v[148:149], v[150:151], v[44:45]
	s_waitcnt vmcnt(10)
	v_add_f64 v[38:39], v[38:39], -v[148:149]
	ds_read2_b64 v[148:151], v160 offset0:56 offset1:57
	v_add_f64 v[36:37], v[36:37], -v[46:47]
	s_waitcnt lgkmcnt(1)
	v_mul_f64 v[46:47], v[166:167], v[158:159]
	v_fma_f64 v[46:47], v[164:165], v[44:45], -v[46:47]
	v_mul_f64 v[164:165], v[164:165], v[158:159]
	v_fmac_f64_e32 v[164:165], v[166:167], v[44:45]
	s_waitcnt vmcnt(9)
	v_add_f64 v[32:33], v[32:33], -v[46:47]
	s_waitcnt lgkmcnt(0)
	v_mul_f64 v[46:47], v[150:151], v[158:159]
	v_add_f64 v[34:35], v[34:35], -v[164:165]
	v_fma_f64 v[46:47], v[148:149], v[44:45], -v[46:47]
	v_mul_f64 v[148:149], v[148:149], v[158:159]
	ds_read2_b64 v[164:167], v160 offset0:58 offset1:59
	v_fmac_f64_e32 v[148:149], v[150:151], v[44:45]
	s_waitcnt vmcnt(8)
	v_add_f64 v[30:31], v[30:31], -v[148:149]
	ds_read2_b64 v[148:151], v160 offset0:60 offset1:61
	v_add_f64 v[28:29], v[28:29], -v[46:47]
	;; [unrolled: 18-line block ×5, first 2 shown]
	s_waitcnt lgkmcnt(1)
	v_mul_f64 v[46:47], v[166:167], v[158:159]
	v_fma_f64 v[46:47], v[164:165], v[44:45], -v[46:47]
	s_waitcnt vmcnt(1)
	v_add_f64 v[0:1], v[0:1], -v[46:47]
	s_waitcnt lgkmcnt(0)
	v_mul_f64 v[46:47], v[150:151], v[158:159]
	v_mul_f64 v[164:165], v[164:165], v[158:159]
	v_fma_f64 v[46:47], v[148:149], v[44:45], -v[46:47]
	v_mul_f64 v[148:149], v[148:149], v[158:159]
	v_fmac_f64_e32 v[164:165], v[166:167], v[44:45]
	v_fmac_f64_e32 v[148:149], v[150:151], v[44:45]
	v_add_f64 v[2:3], v[2:3], -v[164:165]
	s_waitcnt vmcnt(0)
	v_add_f64 v[144:145], v[144:145], -v[46:47]
	v_add_f64 v[146:147], v[146:147], -v[148:149]
	v_mov_b64_e32 v[46:47], v[158:159]
.LBB72_524:
	s_or_b64 exec, exec, s[0:1]
	v_lshl_add_u32 v148, v161, 4, v160
	s_barrier
	s_waitcnt vmcnt(11)
	ds_write2_b64 v148, v[40:41], v[42:43] offset1:1
	s_waitcnt lgkmcnt(0)
	s_barrier
	ds_read2_b64 v[148:151], v160 offset0:50 offset1:51
	s_cmp_lt_i32 s20, 27
	v_mov_b32_e32 v158, 25
	s_cbranch_scc1 .LBB72_527
; %bb.525:
	v_add_u32_e32 v159, 0x1a0, v160
	s_mov_b32 s16, 26
	v_mov_b32_e32 v158, 25
.LBB72_526:                             ; =>This Inner Loop Header: Depth=1
	ds_read2_b64 v[164:167], v159 offset1:1
	s_waitcnt lgkmcnt(1)
	v_xor_b32_e32 v169, 0x80000000, v149
	v_xor_b32_e32 v171, 0x80000000, v151
	v_cmp_gt_f64_e32 vcc, 0, v[150:151]
	v_cmp_gt_f64_e64 s[0:1], 0, v[148:149]
	v_mov_b32_e32 v168, v148
	v_mov_b32_e32 v170, v150
	v_cndmask_b32_e64 v169, v149, v169, s[0:1]
	v_cndmask_b32_e32 v171, v151, v171, vcc
	v_add_f64 v[168:169], v[168:169], v[170:171]
	s_waitcnt lgkmcnt(0)
	v_xor_b32_e32 v171, 0x80000000, v165
	v_xor_b32_e32 v173, 0x80000000, v167
	v_cmp_gt_f64_e32 vcc, 0, v[166:167]
	v_cmp_gt_f64_e64 s[0:1], 0, v[164:165]
	v_mov_b32_e32 v170, v164
	v_mov_b32_e32 v172, v166
	v_cndmask_b32_e64 v171, v165, v171, s[0:1]
	v_cndmask_b32_e32 v173, v167, v173, vcc
	v_add_f64 v[170:171], v[170:171], v[172:173]
	v_mov_b32_e32 v174, s16
	s_add_i32 s16, s16, 1
	v_cmp_lt_f64_e32 vcc, v[168:169], v[170:171]
	v_add_u32_e32 v159, 16, v159
	s_cmp_lg_u32 s20, s16
	v_cndmask_b32_e32 v149, v149, v165, vcc
	v_cndmask_b32_e32 v148, v148, v164, vcc
	;; [unrolled: 1-line block ×5, first 2 shown]
	s_cbranch_scc1 .LBB72_526
.LBB72_527:
	s_waitcnt lgkmcnt(0)
	v_cmp_eq_f64_e32 vcc, 0, v[148:149]
	v_cmp_eq_f64_e64 s[0:1], 0, v[150:151]
	s_and_b64 s[0:1], vcc, s[0:1]
	s_and_saveexec_b64 s[16:17], s[0:1]
	s_xor_b64 s[0:1], exec, s[16:17]
; %bb.528:
	v_cmp_ne_u32_e32 vcc, 0, v162
	s_nop 1
	v_cndmask_b32_e32 v162, 26, v162, vcc
; %bb.529:
	s_andn2_saveexec_b64 s[0:1], s[0:1]
	s_cbranch_execz .LBB72_535
; %bb.530:
	v_cmp_ngt_f64_e64 s[16:17], |v[148:149]|, |v[150:151]|
	s_and_saveexec_b64 s[18:19], s[16:17]
	s_xor_b64 s[16:17], exec, s[18:19]
	s_cbranch_execz .LBB72_532
; %bb.531:
	v_div_scale_f64 v[164:165], s[18:19], v[150:151], v[150:151], v[148:149]
	v_rcp_f64_e32 v[166:167], v[164:165]
	v_div_scale_f64 v[168:169], vcc, v[148:149], v[150:151], v[148:149]
	v_fma_f64 v[170:171], -v[164:165], v[166:167], 1.0
	v_fmac_f64_e32 v[166:167], v[166:167], v[170:171]
	v_fma_f64 v[170:171], -v[164:165], v[166:167], 1.0
	v_fmac_f64_e32 v[166:167], v[166:167], v[170:171]
	v_mul_f64 v[170:171], v[168:169], v[166:167]
	v_fma_f64 v[164:165], -v[164:165], v[170:171], v[168:169]
	v_div_fmas_f64 v[164:165], v[164:165], v[166:167], v[170:171]
	v_div_fixup_f64 v[164:165], v[164:165], v[150:151], v[148:149]
	v_fmac_f64_e32 v[150:151], v[148:149], v[164:165]
	v_div_scale_f64 v[148:149], s[18:19], v[150:151], v[150:151], 1.0
	v_rcp_f64_e32 v[166:167], v[148:149]
	s_nop 0
	v_fma_f64 v[168:169], -v[148:149], v[166:167], 1.0
	v_fmac_f64_e32 v[166:167], v[166:167], v[168:169]
	v_fma_f64 v[168:169], -v[148:149], v[166:167], 1.0
	v_fmac_f64_e32 v[166:167], v[166:167], v[168:169]
	v_div_scale_f64 v[168:169], vcc, 1.0, v[150:151], 1.0
	v_mul_f64 v[170:171], v[168:169], v[166:167]
	v_fma_f64 v[148:149], -v[148:149], v[170:171], v[168:169]
	s_nop 1
	v_div_fmas_f64 v[148:149], v[148:149], v[166:167], v[170:171]
	v_div_fixup_f64 v[150:151], v[148:149], v[150:151], 1.0
	v_mul_f64 v[148:149], v[164:165], v[150:151]
	v_xor_b32_e32 v151, 0x80000000, v151
.LBB72_532:
	s_andn2_saveexec_b64 s[16:17], s[16:17]
	s_cbranch_execz .LBB72_534
; %bb.533:
	v_div_scale_f64 v[164:165], s[18:19], v[148:149], v[148:149], v[150:151]
	v_rcp_f64_e32 v[166:167], v[164:165]
	v_div_scale_f64 v[168:169], vcc, v[150:151], v[148:149], v[150:151]
	v_fma_f64 v[170:171], -v[164:165], v[166:167], 1.0
	v_fmac_f64_e32 v[166:167], v[166:167], v[170:171]
	v_fma_f64 v[170:171], -v[164:165], v[166:167], 1.0
	v_fmac_f64_e32 v[166:167], v[166:167], v[170:171]
	v_mul_f64 v[170:171], v[168:169], v[166:167]
	v_fma_f64 v[164:165], -v[164:165], v[170:171], v[168:169]
	v_div_fmas_f64 v[164:165], v[164:165], v[166:167], v[170:171]
	v_div_fixup_f64 v[164:165], v[164:165], v[148:149], v[150:151]
	v_fmac_f64_e32 v[148:149], v[150:151], v[164:165]
	v_div_scale_f64 v[150:151], s[18:19], v[148:149], v[148:149], 1.0
	v_rcp_f64_e32 v[166:167], v[150:151]
	s_nop 0
	v_fma_f64 v[168:169], -v[150:151], v[166:167], 1.0
	v_fmac_f64_e32 v[166:167], v[166:167], v[168:169]
	v_fma_f64 v[168:169], -v[150:151], v[166:167], 1.0
	v_fmac_f64_e32 v[166:167], v[166:167], v[168:169]
	v_div_scale_f64 v[168:169], vcc, 1.0, v[148:149], 1.0
	v_mul_f64 v[170:171], v[168:169], v[166:167]
	v_fma_f64 v[150:151], -v[150:151], v[170:171], v[168:169]
	s_nop 1
	v_div_fmas_f64 v[150:151], v[150:151], v[166:167], v[170:171]
	v_div_fixup_f64 v[148:149], v[150:151], v[148:149], 1.0
	v_mul_f64 v[150:151], v[164:165], -v[148:149]
.LBB72_534:
	s_or_b64 exec, exec, s[16:17]
.LBB72_535:
	s_or_b64 exec, exec, s[0:1]
	v_cmp_ne_u32_e32 vcc, v161, v158
	s_and_saveexec_b64 s[0:1], vcc
	s_xor_b64 s[0:1], exec, s[0:1]
	s_cbranch_execz .LBB72_541
; %bb.536:
	v_cmp_eq_u32_e32 vcc, 25, v161
	s_and_saveexec_b64 s[16:17], vcc
	s_cbranch_execz .LBB72_540
; %bb.537:
	v_cmp_ne_u32_e32 vcc, 25, v158
	s_xor_b64 s[18:19], s[14:15], -1
	s_and_b64 s[22:23], s[18:19], vcc
	s_and_saveexec_b64 s[18:19], s[22:23]
	s_cbranch_execz .LBB72_539
; %bb.538:
	v_ashrrev_i32_e32 v159, 31, v158
	v_lshl_add_u64 v[164:165], v[158:159], 2, v[156:157]
	global_load_dword v159, v[164:165], off
	global_load_dword v161, v[156:157], off offset:100
	s_waitcnt vmcnt(1)
	global_store_dword v[156:157], v159, off offset:100
	s_waitcnt vmcnt(1)
	global_store_dword v[164:165], v161, off
.LBB72_539:
	s_or_b64 exec, exec, s[18:19]
	v_mov_b32_e32 v161, v158
	v_mov_b32_e32 v163, v158
.LBB72_540:
	s_or_b64 exec, exec, s[16:17]
.LBB72_541:
	s_andn2_saveexec_b64 s[0:1], s[0:1]
	s_cbranch_execz .LBB72_543
; %bb.542:
	v_mov_b32_e32 v161, 25
	s_waitcnt vmcnt(10)
	ds_write2_b64 v160, v[36:37], v[38:39] offset0:52 offset1:53
	s_waitcnt vmcnt(9)
	ds_write2_b64 v160, v[32:33], v[34:35] offset0:54 offset1:55
	s_waitcnt vmcnt(8)
	ds_write2_b64 v160, v[28:29], v[30:31] offset0:56 offset1:57
	s_waitcnt vmcnt(7)
	ds_write2_b64 v160, v[24:25], v[26:27] offset0:58 offset1:59
	s_waitcnt vmcnt(6)
	ds_write2_b64 v160, v[20:21], v[22:23] offset0:60 offset1:61
	s_waitcnt vmcnt(5)
	ds_write2_b64 v160, v[16:17], v[18:19] offset0:62 offset1:63
	s_waitcnt vmcnt(4)
	ds_write2_b64 v160, v[12:13], v[14:15] offset0:64 offset1:65
	s_waitcnt vmcnt(3)
	ds_write2_b64 v160, v[8:9], v[10:11] offset0:66 offset1:67
	s_waitcnt vmcnt(2)
	ds_write2_b64 v160, v[4:5], v[6:7] offset0:68 offset1:69
	s_waitcnt vmcnt(1)
	ds_write2_b64 v160, v[0:1], v[2:3] offset0:70 offset1:71
	s_waitcnt vmcnt(0)
	ds_write2_b64 v160, v[144:145], v[146:147] offset0:72 offset1:73
.LBB72_543:
	s_or_b64 exec, exec, s[0:1]
	v_cmp_lt_i32_e32 vcc, 25, v161
	s_waitcnt lgkmcnt(0)
	s_barrier
	s_and_saveexec_b64 s[0:1], vcc
	s_cbranch_execz .LBB72_545
; %bb.544:
	ds_read2_b64 v[164:167], v160 offset0:52 offset1:53
	v_mul_f64 v[158:159], v[148:149], v[42:43]
	v_fmac_f64_e32 v[158:159], v[150:151], v[40:41]
	v_mul_f64 v[42:43], v[150:151], v[42:43]
	v_fma_f64 v[40:41], v[148:149], v[40:41], -v[42:43]
	ds_read2_b64 v[148:151], v160 offset0:54 offset1:55
	s_waitcnt lgkmcnt(1)
	v_mul_f64 v[42:43], v[166:167], v[158:159]
	v_fma_f64 v[42:43], v[164:165], v[40:41], -v[42:43]
	v_mul_f64 v[164:165], v[164:165], v[158:159]
	v_fmac_f64_e32 v[164:165], v[166:167], v[40:41]
	s_waitcnt vmcnt(10)
	v_add_f64 v[38:39], v[38:39], -v[164:165]
	ds_read2_b64 v[164:167], v160 offset0:56 offset1:57
	v_add_f64 v[36:37], v[36:37], -v[42:43]
	s_waitcnt lgkmcnt(1)
	v_mul_f64 v[42:43], v[150:151], v[158:159]
	v_fma_f64 v[42:43], v[148:149], v[40:41], -v[42:43]
	v_mul_f64 v[148:149], v[148:149], v[158:159]
	v_fmac_f64_e32 v[148:149], v[150:151], v[40:41]
	s_waitcnt vmcnt(9)
	v_add_f64 v[32:33], v[32:33], -v[42:43]
	v_add_f64 v[34:35], v[34:35], -v[148:149]
	ds_read2_b64 v[148:151], v160 offset0:58 offset1:59
	s_waitcnt lgkmcnt(1)
	v_mul_f64 v[42:43], v[166:167], v[158:159]
	v_fma_f64 v[42:43], v[164:165], v[40:41], -v[42:43]
	v_mul_f64 v[164:165], v[164:165], v[158:159]
	v_fmac_f64_e32 v[164:165], v[166:167], v[40:41]
	s_waitcnt vmcnt(8)
	v_add_f64 v[30:31], v[30:31], -v[164:165]
	ds_read2_b64 v[164:167], v160 offset0:60 offset1:61
	v_add_f64 v[28:29], v[28:29], -v[42:43]
	s_waitcnt lgkmcnt(1)
	v_mul_f64 v[42:43], v[150:151], v[158:159]
	v_fma_f64 v[42:43], v[148:149], v[40:41], -v[42:43]
	v_mul_f64 v[148:149], v[148:149], v[158:159]
	v_fmac_f64_e32 v[148:149], v[150:151], v[40:41]
	s_waitcnt vmcnt(7)
	v_add_f64 v[24:25], v[24:25], -v[42:43]
	v_add_f64 v[26:27], v[26:27], -v[148:149]
	;; [unrolled: 18-line block ×5, first 2 shown]
	s_waitcnt lgkmcnt(0)
	v_mul_f64 v[42:43], v[166:167], v[158:159]
	v_mul_f64 v[148:149], v[164:165], v[158:159]
	v_fma_f64 v[42:43], v[164:165], v[40:41], -v[42:43]
	v_fmac_f64_e32 v[148:149], v[166:167], v[40:41]
	s_waitcnt vmcnt(0)
	v_add_f64 v[144:145], v[144:145], -v[42:43]
	v_add_f64 v[146:147], v[146:147], -v[148:149]
	v_mov_b64_e32 v[42:43], v[158:159]
.LBB72_545:
	s_or_b64 exec, exec, s[0:1]
	v_lshl_add_u32 v148, v161, 4, v160
	s_barrier
	s_waitcnt vmcnt(10)
	ds_write2_b64 v148, v[36:37], v[38:39] offset1:1
	s_waitcnt lgkmcnt(0)
	s_barrier
	ds_read2_b64 v[148:151], v160 offset0:52 offset1:53
	s_cmp_lt_i32 s20, 28
	v_mov_b32_e32 v158, 26
	s_cbranch_scc1 .LBB72_548
; %bb.546:
	v_add_u32_e32 v159, 0x1b0, v160
	s_mov_b32 s16, 27
	v_mov_b32_e32 v158, 26
.LBB72_547:                             ; =>This Inner Loop Header: Depth=1
	ds_read2_b64 v[164:167], v159 offset1:1
	s_waitcnt lgkmcnt(1)
	v_xor_b32_e32 v169, 0x80000000, v149
	v_xor_b32_e32 v171, 0x80000000, v151
	v_cmp_gt_f64_e32 vcc, 0, v[150:151]
	v_cmp_gt_f64_e64 s[0:1], 0, v[148:149]
	v_mov_b32_e32 v168, v148
	v_mov_b32_e32 v170, v150
	v_cndmask_b32_e64 v169, v149, v169, s[0:1]
	v_cndmask_b32_e32 v171, v151, v171, vcc
	v_add_f64 v[168:169], v[168:169], v[170:171]
	s_waitcnt lgkmcnt(0)
	v_xor_b32_e32 v171, 0x80000000, v165
	v_xor_b32_e32 v173, 0x80000000, v167
	v_cmp_gt_f64_e32 vcc, 0, v[166:167]
	v_cmp_gt_f64_e64 s[0:1], 0, v[164:165]
	v_mov_b32_e32 v170, v164
	v_mov_b32_e32 v172, v166
	v_cndmask_b32_e64 v171, v165, v171, s[0:1]
	v_cndmask_b32_e32 v173, v167, v173, vcc
	v_add_f64 v[170:171], v[170:171], v[172:173]
	v_mov_b32_e32 v174, s16
	s_add_i32 s16, s16, 1
	v_cmp_lt_f64_e32 vcc, v[168:169], v[170:171]
	v_add_u32_e32 v159, 16, v159
	s_cmp_lg_u32 s20, s16
	v_cndmask_b32_e32 v149, v149, v165, vcc
	v_cndmask_b32_e32 v148, v148, v164, vcc
	;; [unrolled: 1-line block ×5, first 2 shown]
	s_cbranch_scc1 .LBB72_547
.LBB72_548:
	s_waitcnt lgkmcnt(0)
	v_cmp_eq_f64_e32 vcc, 0, v[148:149]
	v_cmp_eq_f64_e64 s[0:1], 0, v[150:151]
	s_and_b64 s[0:1], vcc, s[0:1]
	s_and_saveexec_b64 s[16:17], s[0:1]
	s_xor_b64 s[0:1], exec, s[16:17]
; %bb.549:
	v_cmp_ne_u32_e32 vcc, 0, v162
	s_nop 1
	v_cndmask_b32_e32 v162, 27, v162, vcc
; %bb.550:
	s_andn2_saveexec_b64 s[0:1], s[0:1]
	s_cbranch_execz .LBB72_556
; %bb.551:
	v_cmp_ngt_f64_e64 s[16:17], |v[148:149]|, |v[150:151]|
	s_and_saveexec_b64 s[18:19], s[16:17]
	s_xor_b64 s[16:17], exec, s[18:19]
	s_cbranch_execz .LBB72_553
; %bb.552:
	v_div_scale_f64 v[164:165], s[18:19], v[150:151], v[150:151], v[148:149]
	v_rcp_f64_e32 v[166:167], v[164:165]
	v_div_scale_f64 v[168:169], vcc, v[148:149], v[150:151], v[148:149]
	v_fma_f64 v[170:171], -v[164:165], v[166:167], 1.0
	v_fmac_f64_e32 v[166:167], v[166:167], v[170:171]
	v_fma_f64 v[170:171], -v[164:165], v[166:167], 1.0
	v_fmac_f64_e32 v[166:167], v[166:167], v[170:171]
	v_mul_f64 v[170:171], v[168:169], v[166:167]
	v_fma_f64 v[164:165], -v[164:165], v[170:171], v[168:169]
	v_div_fmas_f64 v[164:165], v[164:165], v[166:167], v[170:171]
	v_div_fixup_f64 v[164:165], v[164:165], v[150:151], v[148:149]
	v_fmac_f64_e32 v[150:151], v[148:149], v[164:165]
	v_div_scale_f64 v[148:149], s[18:19], v[150:151], v[150:151], 1.0
	v_rcp_f64_e32 v[166:167], v[148:149]
	s_nop 0
	v_fma_f64 v[168:169], -v[148:149], v[166:167], 1.0
	v_fmac_f64_e32 v[166:167], v[166:167], v[168:169]
	v_fma_f64 v[168:169], -v[148:149], v[166:167], 1.0
	v_fmac_f64_e32 v[166:167], v[166:167], v[168:169]
	v_div_scale_f64 v[168:169], vcc, 1.0, v[150:151], 1.0
	v_mul_f64 v[170:171], v[168:169], v[166:167]
	v_fma_f64 v[148:149], -v[148:149], v[170:171], v[168:169]
	s_nop 1
	v_div_fmas_f64 v[148:149], v[148:149], v[166:167], v[170:171]
	v_div_fixup_f64 v[150:151], v[148:149], v[150:151], 1.0
	v_mul_f64 v[148:149], v[164:165], v[150:151]
	v_xor_b32_e32 v151, 0x80000000, v151
.LBB72_553:
	s_andn2_saveexec_b64 s[16:17], s[16:17]
	s_cbranch_execz .LBB72_555
; %bb.554:
	v_div_scale_f64 v[164:165], s[18:19], v[148:149], v[148:149], v[150:151]
	v_rcp_f64_e32 v[166:167], v[164:165]
	v_div_scale_f64 v[168:169], vcc, v[150:151], v[148:149], v[150:151]
	v_fma_f64 v[170:171], -v[164:165], v[166:167], 1.0
	v_fmac_f64_e32 v[166:167], v[166:167], v[170:171]
	v_fma_f64 v[170:171], -v[164:165], v[166:167], 1.0
	v_fmac_f64_e32 v[166:167], v[166:167], v[170:171]
	v_mul_f64 v[170:171], v[168:169], v[166:167]
	v_fma_f64 v[164:165], -v[164:165], v[170:171], v[168:169]
	v_div_fmas_f64 v[164:165], v[164:165], v[166:167], v[170:171]
	v_div_fixup_f64 v[164:165], v[164:165], v[148:149], v[150:151]
	v_fmac_f64_e32 v[148:149], v[150:151], v[164:165]
	v_div_scale_f64 v[150:151], s[18:19], v[148:149], v[148:149], 1.0
	v_rcp_f64_e32 v[166:167], v[150:151]
	s_nop 0
	v_fma_f64 v[168:169], -v[150:151], v[166:167], 1.0
	v_fmac_f64_e32 v[166:167], v[166:167], v[168:169]
	v_fma_f64 v[168:169], -v[150:151], v[166:167], 1.0
	v_fmac_f64_e32 v[166:167], v[166:167], v[168:169]
	v_div_scale_f64 v[168:169], vcc, 1.0, v[148:149], 1.0
	v_mul_f64 v[170:171], v[168:169], v[166:167]
	v_fma_f64 v[150:151], -v[150:151], v[170:171], v[168:169]
	s_nop 1
	v_div_fmas_f64 v[150:151], v[150:151], v[166:167], v[170:171]
	v_div_fixup_f64 v[148:149], v[150:151], v[148:149], 1.0
	v_mul_f64 v[150:151], v[164:165], -v[148:149]
.LBB72_555:
	s_or_b64 exec, exec, s[16:17]
.LBB72_556:
	s_or_b64 exec, exec, s[0:1]
	v_cmp_ne_u32_e32 vcc, v161, v158
	s_and_saveexec_b64 s[0:1], vcc
	s_xor_b64 s[0:1], exec, s[0:1]
	s_cbranch_execz .LBB72_562
; %bb.557:
	v_cmp_eq_u32_e32 vcc, 26, v161
	s_and_saveexec_b64 s[16:17], vcc
	s_cbranch_execz .LBB72_561
; %bb.558:
	v_cmp_ne_u32_e32 vcc, 26, v158
	s_xor_b64 s[18:19], s[14:15], -1
	s_and_b64 s[22:23], s[18:19], vcc
	s_and_saveexec_b64 s[18:19], s[22:23]
	s_cbranch_execz .LBB72_560
; %bb.559:
	v_ashrrev_i32_e32 v159, 31, v158
	v_lshl_add_u64 v[164:165], v[158:159], 2, v[156:157]
	global_load_dword v159, v[164:165], off
	global_load_dword v161, v[156:157], off offset:104
	s_waitcnt vmcnt(1)
	global_store_dword v[156:157], v159, off offset:104
	s_waitcnt vmcnt(1)
	global_store_dword v[164:165], v161, off
.LBB72_560:
	s_or_b64 exec, exec, s[18:19]
	v_mov_b32_e32 v161, v158
	v_mov_b32_e32 v163, v158
.LBB72_561:
	s_or_b64 exec, exec, s[16:17]
.LBB72_562:
	s_andn2_saveexec_b64 s[0:1], s[0:1]
	s_cbranch_execz .LBB72_564
; %bb.563:
	v_mov_b32_e32 v161, 26
	s_waitcnt vmcnt(9)
	ds_write2_b64 v160, v[32:33], v[34:35] offset0:54 offset1:55
	s_waitcnt vmcnt(8)
	ds_write2_b64 v160, v[28:29], v[30:31] offset0:56 offset1:57
	;; [unrolled: 2-line block ×10, first 2 shown]
.LBB72_564:
	s_or_b64 exec, exec, s[0:1]
	v_cmp_lt_i32_e32 vcc, 26, v161
	s_waitcnt lgkmcnt(0)
	s_barrier
	s_and_saveexec_b64 s[0:1], vcc
	s_cbranch_execz .LBB72_566
; %bb.565:
	ds_read2_b64 v[164:167], v160 offset0:54 offset1:55
	v_mul_f64 v[158:159], v[148:149], v[38:39]
	v_mul_f64 v[38:39], v[150:151], v[38:39]
	v_fmac_f64_e32 v[158:159], v[150:151], v[36:37]
	v_fma_f64 v[36:37], v[148:149], v[36:37], -v[38:39]
	ds_read2_b64 v[148:151], v160 offset0:56 offset1:57
	s_waitcnt lgkmcnt(1)
	v_mul_f64 v[38:39], v[166:167], v[158:159]
	v_fma_f64 v[38:39], v[164:165], v[36:37], -v[38:39]
	v_mul_f64 v[164:165], v[164:165], v[158:159]
	v_fmac_f64_e32 v[164:165], v[166:167], v[36:37]
	s_waitcnt vmcnt(9)
	v_add_f64 v[32:33], v[32:33], -v[38:39]
	s_waitcnt lgkmcnt(0)
	v_mul_f64 v[38:39], v[150:151], v[158:159]
	v_add_f64 v[34:35], v[34:35], -v[164:165]
	v_fma_f64 v[38:39], v[148:149], v[36:37], -v[38:39]
	v_mul_f64 v[148:149], v[148:149], v[158:159]
	ds_read2_b64 v[164:167], v160 offset0:58 offset1:59
	v_fmac_f64_e32 v[148:149], v[150:151], v[36:37]
	s_waitcnt vmcnt(8)
	v_add_f64 v[30:31], v[30:31], -v[148:149]
	ds_read2_b64 v[148:151], v160 offset0:60 offset1:61
	v_add_f64 v[28:29], v[28:29], -v[38:39]
	s_waitcnt lgkmcnt(1)
	v_mul_f64 v[38:39], v[166:167], v[158:159]
	v_fma_f64 v[38:39], v[164:165], v[36:37], -v[38:39]
	v_mul_f64 v[164:165], v[164:165], v[158:159]
	v_fmac_f64_e32 v[164:165], v[166:167], v[36:37]
	s_waitcnt vmcnt(7)
	v_add_f64 v[24:25], v[24:25], -v[38:39]
	s_waitcnt lgkmcnt(0)
	v_mul_f64 v[38:39], v[150:151], v[158:159]
	v_add_f64 v[26:27], v[26:27], -v[164:165]
	v_fma_f64 v[38:39], v[148:149], v[36:37], -v[38:39]
	v_mul_f64 v[148:149], v[148:149], v[158:159]
	ds_read2_b64 v[164:167], v160 offset0:62 offset1:63
	v_fmac_f64_e32 v[148:149], v[150:151], v[36:37]
	s_waitcnt vmcnt(6)
	v_add_f64 v[22:23], v[22:23], -v[148:149]
	ds_read2_b64 v[148:151], v160 offset0:64 offset1:65
	v_add_f64 v[20:21], v[20:21], -v[38:39]
	;; [unrolled: 18-line block ×4, first 2 shown]
	s_waitcnt lgkmcnt(1)
	v_mul_f64 v[38:39], v[166:167], v[158:159]
	v_fma_f64 v[38:39], v[164:165], v[36:37], -v[38:39]
	s_waitcnt vmcnt(1)
	v_add_f64 v[0:1], v[0:1], -v[38:39]
	s_waitcnt lgkmcnt(0)
	v_mul_f64 v[38:39], v[150:151], v[158:159]
	v_mul_f64 v[164:165], v[164:165], v[158:159]
	v_fma_f64 v[38:39], v[148:149], v[36:37], -v[38:39]
	v_mul_f64 v[148:149], v[148:149], v[158:159]
	v_fmac_f64_e32 v[164:165], v[166:167], v[36:37]
	v_fmac_f64_e32 v[148:149], v[150:151], v[36:37]
	v_add_f64 v[2:3], v[2:3], -v[164:165]
	s_waitcnt vmcnt(0)
	v_add_f64 v[144:145], v[144:145], -v[38:39]
	v_add_f64 v[146:147], v[146:147], -v[148:149]
	v_mov_b64_e32 v[38:39], v[158:159]
.LBB72_566:
	s_or_b64 exec, exec, s[0:1]
	v_lshl_add_u32 v148, v161, 4, v160
	s_barrier
	s_waitcnt vmcnt(9)
	ds_write2_b64 v148, v[32:33], v[34:35] offset1:1
	s_waitcnt lgkmcnt(0)
	s_barrier
	ds_read2_b64 v[148:151], v160 offset0:54 offset1:55
	s_cmp_lt_i32 s20, 29
	v_mov_b32_e32 v158, 27
	s_cbranch_scc1 .LBB72_569
; %bb.567:
	v_add_u32_e32 v159, 0x1c0, v160
	s_mov_b32 s16, 28
	v_mov_b32_e32 v158, 27
.LBB72_568:                             ; =>This Inner Loop Header: Depth=1
	ds_read2_b64 v[164:167], v159 offset1:1
	s_waitcnt lgkmcnt(1)
	v_xor_b32_e32 v169, 0x80000000, v149
	v_xor_b32_e32 v171, 0x80000000, v151
	v_cmp_gt_f64_e32 vcc, 0, v[150:151]
	v_cmp_gt_f64_e64 s[0:1], 0, v[148:149]
	v_mov_b32_e32 v168, v148
	v_mov_b32_e32 v170, v150
	v_cndmask_b32_e64 v169, v149, v169, s[0:1]
	v_cndmask_b32_e32 v171, v151, v171, vcc
	v_add_f64 v[168:169], v[168:169], v[170:171]
	s_waitcnt lgkmcnt(0)
	v_xor_b32_e32 v171, 0x80000000, v165
	v_xor_b32_e32 v173, 0x80000000, v167
	v_cmp_gt_f64_e32 vcc, 0, v[166:167]
	v_cmp_gt_f64_e64 s[0:1], 0, v[164:165]
	v_mov_b32_e32 v170, v164
	v_mov_b32_e32 v172, v166
	v_cndmask_b32_e64 v171, v165, v171, s[0:1]
	v_cndmask_b32_e32 v173, v167, v173, vcc
	v_add_f64 v[170:171], v[170:171], v[172:173]
	v_mov_b32_e32 v174, s16
	s_add_i32 s16, s16, 1
	v_cmp_lt_f64_e32 vcc, v[168:169], v[170:171]
	v_add_u32_e32 v159, 16, v159
	s_cmp_lg_u32 s20, s16
	v_cndmask_b32_e32 v149, v149, v165, vcc
	v_cndmask_b32_e32 v148, v148, v164, vcc
	;; [unrolled: 1-line block ×5, first 2 shown]
	s_cbranch_scc1 .LBB72_568
.LBB72_569:
	s_waitcnt lgkmcnt(0)
	v_cmp_eq_f64_e32 vcc, 0, v[148:149]
	v_cmp_eq_f64_e64 s[0:1], 0, v[150:151]
	s_and_b64 s[0:1], vcc, s[0:1]
	s_and_saveexec_b64 s[16:17], s[0:1]
	s_xor_b64 s[0:1], exec, s[16:17]
; %bb.570:
	v_cmp_ne_u32_e32 vcc, 0, v162
	s_nop 1
	v_cndmask_b32_e32 v162, 28, v162, vcc
; %bb.571:
	s_andn2_saveexec_b64 s[0:1], s[0:1]
	s_cbranch_execz .LBB72_577
; %bb.572:
	v_cmp_ngt_f64_e64 s[16:17], |v[148:149]|, |v[150:151]|
	s_and_saveexec_b64 s[18:19], s[16:17]
	s_xor_b64 s[16:17], exec, s[18:19]
	s_cbranch_execz .LBB72_574
; %bb.573:
	v_div_scale_f64 v[164:165], s[18:19], v[150:151], v[150:151], v[148:149]
	v_rcp_f64_e32 v[166:167], v[164:165]
	v_div_scale_f64 v[168:169], vcc, v[148:149], v[150:151], v[148:149]
	v_fma_f64 v[170:171], -v[164:165], v[166:167], 1.0
	v_fmac_f64_e32 v[166:167], v[166:167], v[170:171]
	v_fma_f64 v[170:171], -v[164:165], v[166:167], 1.0
	v_fmac_f64_e32 v[166:167], v[166:167], v[170:171]
	v_mul_f64 v[170:171], v[168:169], v[166:167]
	v_fma_f64 v[164:165], -v[164:165], v[170:171], v[168:169]
	v_div_fmas_f64 v[164:165], v[164:165], v[166:167], v[170:171]
	v_div_fixup_f64 v[164:165], v[164:165], v[150:151], v[148:149]
	v_fmac_f64_e32 v[150:151], v[148:149], v[164:165]
	v_div_scale_f64 v[148:149], s[18:19], v[150:151], v[150:151], 1.0
	v_rcp_f64_e32 v[166:167], v[148:149]
	s_nop 0
	v_fma_f64 v[168:169], -v[148:149], v[166:167], 1.0
	v_fmac_f64_e32 v[166:167], v[166:167], v[168:169]
	v_fma_f64 v[168:169], -v[148:149], v[166:167], 1.0
	v_fmac_f64_e32 v[166:167], v[166:167], v[168:169]
	v_div_scale_f64 v[168:169], vcc, 1.0, v[150:151], 1.0
	v_mul_f64 v[170:171], v[168:169], v[166:167]
	v_fma_f64 v[148:149], -v[148:149], v[170:171], v[168:169]
	s_nop 1
	v_div_fmas_f64 v[148:149], v[148:149], v[166:167], v[170:171]
	v_div_fixup_f64 v[150:151], v[148:149], v[150:151], 1.0
	v_mul_f64 v[148:149], v[164:165], v[150:151]
	v_xor_b32_e32 v151, 0x80000000, v151
.LBB72_574:
	s_andn2_saveexec_b64 s[16:17], s[16:17]
	s_cbranch_execz .LBB72_576
; %bb.575:
	v_div_scale_f64 v[164:165], s[18:19], v[148:149], v[148:149], v[150:151]
	v_rcp_f64_e32 v[166:167], v[164:165]
	v_div_scale_f64 v[168:169], vcc, v[150:151], v[148:149], v[150:151]
	v_fma_f64 v[170:171], -v[164:165], v[166:167], 1.0
	v_fmac_f64_e32 v[166:167], v[166:167], v[170:171]
	v_fma_f64 v[170:171], -v[164:165], v[166:167], 1.0
	v_fmac_f64_e32 v[166:167], v[166:167], v[170:171]
	v_mul_f64 v[170:171], v[168:169], v[166:167]
	v_fma_f64 v[164:165], -v[164:165], v[170:171], v[168:169]
	v_div_fmas_f64 v[164:165], v[164:165], v[166:167], v[170:171]
	v_div_fixup_f64 v[164:165], v[164:165], v[148:149], v[150:151]
	v_fmac_f64_e32 v[148:149], v[150:151], v[164:165]
	v_div_scale_f64 v[150:151], s[18:19], v[148:149], v[148:149], 1.0
	v_rcp_f64_e32 v[166:167], v[150:151]
	s_nop 0
	v_fma_f64 v[168:169], -v[150:151], v[166:167], 1.0
	v_fmac_f64_e32 v[166:167], v[166:167], v[168:169]
	v_fma_f64 v[168:169], -v[150:151], v[166:167], 1.0
	v_fmac_f64_e32 v[166:167], v[166:167], v[168:169]
	v_div_scale_f64 v[168:169], vcc, 1.0, v[148:149], 1.0
	v_mul_f64 v[170:171], v[168:169], v[166:167]
	v_fma_f64 v[150:151], -v[150:151], v[170:171], v[168:169]
	s_nop 1
	v_div_fmas_f64 v[150:151], v[150:151], v[166:167], v[170:171]
	v_div_fixup_f64 v[148:149], v[150:151], v[148:149], 1.0
	v_mul_f64 v[150:151], v[164:165], -v[148:149]
.LBB72_576:
	s_or_b64 exec, exec, s[16:17]
.LBB72_577:
	s_or_b64 exec, exec, s[0:1]
	v_cmp_ne_u32_e32 vcc, v161, v158
	s_and_saveexec_b64 s[0:1], vcc
	s_xor_b64 s[0:1], exec, s[0:1]
	s_cbranch_execz .LBB72_583
; %bb.578:
	v_cmp_eq_u32_e32 vcc, 27, v161
	s_and_saveexec_b64 s[16:17], vcc
	s_cbranch_execz .LBB72_582
; %bb.579:
	v_cmp_ne_u32_e32 vcc, 27, v158
	s_xor_b64 s[18:19], s[14:15], -1
	s_and_b64 s[22:23], s[18:19], vcc
	s_and_saveexec_b64 s[18:19], s[22:23]
	s_cbranch_execz .LBB72_581
; %bb.580:
	v_ashrrev_i32_e32 v159, 31, v158
	v_lshl_add_u64 v[164:165], v[158:159], 2, v[156:157]
	global_load_dword v159, v[164:165], off
	global_load_dword v161, v[156:157], off offset:108
	s_waitcnt vmcnt(1)
	global_store_dword v[156:157], v159, off offset:108
	s_waitcnt vmcnt(1)
	global_store_dword v[164:165], v161, off
.LBB72_581:
	s_or_b64 exec, exec, s[18:19]
	v_mov_b32_e32 v161, v158
	v_mov_b32_e32 v163, v158
.LBB72_582:
	s_or_b64 exec, exec, s[16:17]
.LBB72_583:
	s_andn2_saveexec_b64 s[0:1], s[0:1]
	s_cbranch_execz .LBB72_585
; %bb.584:
	v_mov_b32_e32 v161, 27
	s_waitcnt vmcnt(8)
	ds_write2_b64 v160, v[28:29], v[30:31] offset0:56 offset1:57
	s_waitcnt vmcnt(7)
	ds_write2_b64 v160, v[24:25], v[26:27] offset0:58 offset1:59
	;; [unrolled: 2-line block ×9, first 2 shown]
.LBB72_585:
	s_or_b64 exec, exec, s[0:1]
	v_cmp_lt_i32_e32 vcc, 27, v161
	s_waitcnt lgkmcnt(0)
	s_barrier
	s_and_saveexec_b64 s[0:1], vcc
	s_cbranch_execz .LBB72_587
; %bb.586:
	ds_read2_b64 v[164:167], v160 offset0:56 offset1:57
	v_mul_f64 v[158:159], v[148:149], v[34:35]
	v_fmac_f64_e32 v[158:159], v[150:151], v[32:33]
	v_mul_f64 v[34:35], v[150:151], v[34:35]
	v_fma_f64 v[32:33], v[148:149], v[32:33], -v[34:35]
	ds_read2_b64 v[148:151], v160 offset0:58 offset1:59
	s_waitcnt lgkmcnt(1)
	v_mul_f64 v[34:35], v[166:167], v[158:159]
	v_fma_f64 v[34:35], v[164:165], v[32:33], -v[34:35]
	v_mul_f64 v[164:165], v[164:165], v[158:159]
	v_fmac_f64_e32 v[164:165], v[166:167], v[32:33]
	s_waitcnt vmcnt(8)
	v_add_f64 v[30:31], v[30:31], -v[164:165]
	ds_read2_b64 v[164:167], v160 offset0:60 offset1:61
	v_add_f64 v[28:29], v[28:29], -v[34:35]
	s_waitcnt lgkmcnt(1)
	v_mul_f64 v[34:35], v[150:151], v[158:159]
	v_fma_f64 v[34:35], v[148:149], v[32:33], -v[34:35]
	v_mul_f64 v[148:149], v[148:149], v[158:159]
	v_fmac_f64_e32 v[148:149], v[150:151], v[32:33]
	s_waitcnt vmcnt(7)
	v_add_f64 v[24:25], v[24:25], -v[34:35]
	v_add_f64 v[26:27], v[26:27], -v[148:149]
	ds_read2_b64 v[148:151], v160 offset0:62 offset1:63
	s_waitcnt lgkmcnt(1)
	v_mul_f64 v[34:35], v[166:167], v[158:159]
	v_fma_f64 v[34:35], v[164:165], v[32:33], -v[34:35]
	v_mul_f64 v[164:165], v[164:165], v[158:159]
	v_fmac_f64_e32 v[164:165], v[166:167], v[32:33]
	s_waitcnt vmcnt(6)
	v_add_f64 v[22:23], v[22:23], -v[164:165]
	ds_read2_b64 v[164:167], v160 offset0:64 offset1:65
	v_add_f64 v[20:21], v[20:21], -v[34:35]
	s_waitcnt lgkmcnt(1)
	v_mul_f64 v[34:35], v[150:151], v[158:159]
	v_fma_f64 v[34:35], v[148:149], v[32:33], -v[34:35]
	v_mul_f64 v[148:149], v[148:149], v[158:159]
	v_fmac_f64_e32 v[148:149], v[150:151], v[32:33]
	s_waitcnt vmcnt(5)
	v_add_f64 v[16:17], v[16:17], -v[34:35]
	v_add_f64 v[18:19], v[18:19], -v[148:149]
	;; [unrolled: 18-line block ×4, first 2 shown]
	s_waitcnt lgkmcnt(0)
	v_mul_f64 v[34:35], v[166:167], v[158:159]
	v_mul_f64 v[148:149], v[164:165], v[158:159]
	v_fma_f64 v[34:35], v[164:165], v[32:33], -v[34:35]
	v_fmac_f64_e32 v[148:149], v[166:167], v[32:33]
	s_waitcnt vmcnt(0)
	v_add_f64 v[144:145], v[144:145], -v[34:35]
	v_add_f64 v[146:147], v[146:147], -v[148:149]
	v_mov_b64_e32 v[34:35], v[158:159]
.LBB72_587:
	s_or_b64 exec, exec, s[0:1]
	v_lshl_add_u32 v148, v161, 4, v160
	s_barrier
	s_waitcnt vmcnt(8)
	ds_write2_b64 v148, v[28:29], v[30:31] offset1:1
	s_waitcnt lgkmcnt(0)
	s_barrier
	ds_read2_b64 v[148:151], v160 offset0:56 offset1:57
	s_cmp_lt_i32 s20, 30
	v_mov_b32_e32 v158, 28
	s_cbranch_scc1 .LBB72_590
; %bb.588:
	v_add_u32_e32 v159, 0x1d0, v160
	s_mov_b32 s16, 29
	v_mov_b32_e32 v158, 28
.LBB72_589:                             ; =>This Inner Loop Header: Depth=1
	ds_read2_b64 v[164:167], v159 offset1:1
	s_waitcnt lgkmcnt(1)
	v_xor_b32_e32 v169, 0x80000000, v149
	v_xor_b32_e32 v171, 0x80000000, v151
	v_cmp_gt_f64_e32 vcc, 0, v[150:151]
	v_cmp_gt_f64_e64 s[0:1], 0, v[148:149]
	v_mov_b32_e32 v168, v148
	v_mov_b32_e32 v170, v150
	v_cndmask_b32_e64 v169, v149, v169, s[0:1]
	v_cndmask_b32_e32 v171, v151, v171, vcc
	v_add_f64 v[168:169], v[168:169], v[170:171]
	s_waitcnt lgkmcnt(0)
	v_xor_b32_e32 v171, 0x80000000, v165
	v_xor_b32_e32 v173, 0x80000000, v167
	v_cmp_gt_f64_e32 vcc, 0, v[166:167]
	v_cmp_gt_f64_e64 s[0:1], 0, v[164:165]
	v_mov_b32_e32 v170, v164
	v_mov_b32_e32 v172, v166
	v_cndmask_b32_e64 v171, v165, v171, s[0:1]
	v_cndmask_b32_e32 v173, v167, v173, vcc
	v_add_f64 v[170:171], v[170:171], v[172:173]
	v_mov_b32_e32 v174, s16
	s_add_i32 s16, s16, 1
	v_cmp_lt_f64_e32 vcc, v[168:169], v[170:171]
	v_add_u32_e32 v159, 16, v159
	s_cmp_lg_u32 s20, s16
	v_cndmask_b32_e32 v149, v149, v165, vcc
	v_cndmask_b32_e32 v148, v148, v164, vcc
	;; [unrolled: 1-line block ×5, first 2 shown]
	s_cbranch_scc1 .LBB72_589
.LBB72_590:
	s_waitcnt lgkmcnt(0)
	v_cmp_eq_f64_e32 vcc, 0, v[148:149]
	v_cmp_eq_f64_e64 s[0:1], 0, v[150:151]
	s_and_b64 s[0:1], vcc, s[0:1]
	s_and_saveexec_b64 s[16:17], s[0:1]
	s_xor_b64 s[0:1], exec, s[16:17]
; %bb.591:
	v_cmp_ne_u32_e32 vcc, 0, v162
	s_nop 1
	v_cndmask_b32_e32 v162, 29, v162, vcc
; %bb.592:
	s_andn2_saveexec_b64 s[0:1], s[0:1]
	s_cbranch_execz .LBB72_598
; %bb.593:
	v_cmp_ngt_f64_e64 s[16:17], |v[148:149]|, |v[150:151]|
	s_and_saveexec_b64 s[18:19], s[16:17]
	s_xor_b64 s[16:17], exec, s[18:19]
	s_cbranch_execz .LBB72_595
; %bb.594:
	v_div_scale_f64 v[164:165], s[18:19], v[150:151], v[150:151], v[148:149]
	v_rcp_f64_e32 v[166:167], v[164:165]
	v_div_scale_f64 v[168:169], vcc, v[148:149], v[150:151], v[148:149]
	v_fma_f64 v[170:171], -v[164:165], v[166:167], 1.0
	v_fmac_f64_e32 v[166:167], v[166:167], v[170:171]
	v_fma_f64 v[170:171], -v[164:165], v[166:167], 1.0
	v_fmac_f64_e32 v[166:167], v[166:167], v[170:171]
	v_mul_f64 v[170:171], v[168:169], v[166:167]
	v_fma_f64 v[164:165], -v[164:165], v[170:171], v[168:169]
	v_div_fmas_f64 v[164:165], v[164:165], v[166:167], v[170:171]
	v_div_fixup_f64 v[164:165], v[164:165], v[150:151], v[148:149]
	v_fmac_f64_e32 v[150:151], v[148:149], v[164:165]
	v_div_scale_f64 v[148:149], s[18:19], v[150:151], v[150:151], 1.0
	v_rcp_f64_e32 v[166:167], v[148:149]
	s_nop 0
	v_fma_f64 v[168:169], -v[148:149], v[166:167], 1.0
	v_fmac_f64_e32 v[166:167], v[166:167], v[168:169]
	v_fma_f64 v[168:169], -v[148:149], v[166:167], 1.0
	v_fmac_f64_e32 v[166:167], v[166:167], v[168:169]
	v_div_scale_f64 v[168:169], vcc, 1.0, v[150:151], 1.0
	v_mul_f64 v[170:171], v[168:169], v[166:167]
	v_fma_f64 v[148:149], -v[148:149], v[170:171], v[168:169]
	s_nop 1
	v_div_fmas_f64 v[148:149], v[148:149], v[166:167], v[170:171]
	v_div_fixup_f64 v[150:151], v[148:149], v[150:151], 1.0
	v_mul_f64 v[148:149], v[164:165], v[150:151]
	v_xor_b32_e32 v151, 0x80000000, v151
.LBB72_595:
	s_andn2_saveexec_b64 s[16:17], s[16:17]
	s_cbranch_execz .LBB72_597
; %bb.596:
	v_div_scale_f64 v[164:165], s[18:19], v[148:149], v[148:149], v[150:151]
	v_rcp_f64_e32 v[166:167], v[164:165]
	v_div_scale_f64 v[168:169], vcc, v[150:151], v[148:149], v[150:151]
	v_fma_f64 v[170:171], -v[164:165], v[166:167], 1.0
	v_fmac_f64_e32 v[166:167], v[166:167], v[170:171]
	v_fma_f64 v[170:171], -v[164:165], v[166:167], 1.0
	v_fmac_f64_e32 v[166:167], v[166:167], v[170:171]
	v_mul_f64 v[170:171], v[168:169], v[166:167]
	v_fma_f64 v[164:165], -v[164:165], v[170:171], v[168:169]
	v_div_fmas_f64 v[164:165], v[164:165], v[166:167], v[170:171]
	v_div_fixup_f64 v[164:165], v[164:165], v[148:149], v[150:151]
	v_fmac_f64_e32 v[148:149], v[150:151], v[164:165]
	v_div_scale_f64 v[150:151], s[18:19], v[148:149], v[148:149], 1.0
	v_rcp_f64_e32 v[166:167], v[150:151]
	s_nop 0
	v_fma_f64 v[168:169], -v[150:151], v[166:167], 1.0
	v_fmac_f64_e32 v[166:167], v[166:167], v[168:169]
	v_fma_f64 v[168:169], -v[150:151], v[166:167], 1.0
	v_fmac_f64_e32 v[166:167], v[166:167], v[168:169]
	v_div_scale_f64 v[168:169], vcc, 1.0, v[148:149], 1.0
	v_mul_f64 v[170:171], v[168:169], v[166:167]
	v_fma_f64 v[150:151], -v[150:151], v[170:171], v[168:169]
	s_nop 1
	v_div_fmas_f64 v[150:151], v[150:151], v[166:167], v[170:171]
	v_div_fixup_f64 v[148:149], v[150:151], v[148:149], 1.0
	v_mul_f64 v[150:151], v[164:165], -v[148:149]
.LBB72_597:
	s_or_b64 exec, exec, s[16:17]
.LBB72_598:
	s_or_b64 exec, exec, s[0:1]
	v_cmp_ne_u32_e32 vcc, v161, v158
	s_and_saveexec_b64 s[0:1], vcc
	s_xor_b64 s[0:1], exec, s[0:1]
	s_cbranch_execz .LBB72_604
; %bb.599:
	v_cmp_eq_u32_e32 vcc, 28, v161
	s_and_saveexec_b64 s[16:17], vcc
	s_cbranch_execz .LBB72_603
; %bb.600:
	v_cmp_ne_u32_e32 vcc, 28, v158
	s_xor_b64 s[18:19], s[14:15], -1
	s_and_b64 s[22:23], s[18:19], vcc
	s_and_saveexec_b64 s[18:19], s[22:23]
	s_cbranch_execz .LBB72_602
; %bb.601:
	v_ashrrev_i32_e32 v159, 31, v158
	v_lshl_add_u64 v[164:165], v[158:159], 2, v[156:157]
	global_load_dword v159, v[164:165], off
	global_load_dword v161, v[156:157], off offset:112
	s_waitcnt vmcnt(1)
	global_store_dword v[156:157], v159, off offset:112
	s_waitcnt vmcnt(1)
	global_store_dword v[164:165], v161, off
.LBB72_602:
	s_or_b64 exec, exec, s[18:19]
	v_mov_b32_e32 v161, v158
	v_mov_b32_e32 v163, v158
.LBB72_603:
	s_or_b64 exec, exec, s[16:17]
.LBB72_604:
	s_andn2_saveexec_b64 s[0:1], s[0:1]
	s_cbranch_execz .LBB72_606
; %bb.605:
	v_mov_b32_e32 v161, 28
	s_waitcnt vmcnt(7)
	ds_write2_b64 v160, v[24:25], v[26:27] offset0:58 offset1:59
	s_waitcnt vmcnt(6)
	ds_write2_b64 v160, v[20:21], v[22:23] offset0:60 offset1:61
	;; [unrolled: 2-line block ×8, first 2 shown]
.LBB72_606:
	s_or_b64 exec, exec, s[0:1]
	v_cmp_lt_i32_e32 vcc, 28, v161
	s_waitcnt lgkmcnt(0)
	s_barrier
	s_and_saveexec_b64 s[0:1], vcc
	s_cbranch_execz .LBB72_608
; %bb.607:
	ds_read2_b64 v[164:167], v160 offset0:58 offset1:59
	v_mul_f64 v[158:159], v[148:149], v[30:31]
	v_mul_f64 v[30:31], v[150:151], v[30:31]
	v_fmac_f64_e32 v[158:159], v[150:151], v[28:29]
	v_fma_f64 v[28:29], v[148:149], v[28:29], -v[30:31]
	ds_read2_b64 v[148:151], v160 offset0:60 offset1:61
	s_waitcnt lgkmcnt(1)
	v_mul_f64 v[30:31], v[166:167], v[158:159]
	v_fma_f64 v[30:31], v[164:165], v[28:29], -v[30:31]
	v_mul_f64 v[164:165], v[164:165], v[158:159]
	v_fmac_f64_e32 v[164:165], v[166:167], v[28:29]
	s_waitcnt vmcnt(7)
	v_add_f64 v[24:25], v[24:25], -v[30:31]
	s_waitcnt lgkmcnt(0)
	v_mul_f64 v[30:31], v[150:151], v[158:159]
	v_add_f64 v[26:27], v[26:27], -v[164:165]
	v_fma_f64 v[30:31], v[148:149], v[28:29], -v[30:31]
	v_mul_f64 v[148:149], v[148:149], v[158:159]
	ds_read2_b64 v[164:167], v160 offset0:62 offset1:63
	v_fmac_f64_e32 v[148:149], v[150:151], v[28:29]
	s_waitcnt vmcnt(6)
	v_add_f64 v[22:23], v[22:23], -v[148:149]
	ds_read2_b64 v[148:151], v160 offset0:64 offset1:65
	v_add_f64 v[20:21], v[20:21], -v[30:31]
	s_waitcnt lgkmcnt(1)
	v_mul_f64 v[30:31], v[166:167], v[158:159]
	v_fma_f64 v[30:31], v[164:165], v[28:29], -v[30:31]
	v_mul_f64 v[164:165], v[164:165], v[158:159]
	v_fmac_f64_e32 v[164:165], v[166:167], v[28:29]
	s_waitcnt vmcnt(5)
	v_add_f64 v[16:17], v[16:17], -v[30:31]
	s_waitcnt lgkmcnt(0)
	v_mul_f64 v[30:31], v[150:151], v[158:159]
	v_add_f64 v[18:19], v[18:19], -v[164:165]
	v_fma_f64 v[30:31], v[148:149], v[28:29], -v[30:31]
	v_mul_f64 v[148:149], v[148:149], v[158:159]
	ds_read2_b64 v[164:167], v160 offset0:66 offset1:67
	v_fmac_f64_e32 v[148:149], v[150:151], v[28:29]
	s_waitcnt vmcnt(4)
	v_add_f64 v[14:15], v[14:15], -v[148:149]
	ds_read2_b64 v[148:151], v160 offset0:68 offset1:69
	v_add_f64 v[12:13], v[12:13], -v[30:31]
	;; [unrolled: 18-line block ×3, first 2 shown]
	s_waitcnt lgkmcnt(1)
	v_mul_f64 v[30:31], v[166:167], v[158:159]
	v_fma_f64 v[30:31], v[164:165], v[28:29], -v[30:31]
	s_waitcnt vmcnt(1)
	v_add_f64 v[0:1], v[0:1], -v[30:31]
	s_waitcnt lgkmcnt(0)
	v_mul_f64 v[30:31], v[150:151], v[158:159]
	v_mul_f64 v[164:165], v[164:165], v[158:159]
	v_fma_f64 v[30:31], v[148:149], v[28:29], -v[30:31]
	v_mul_f64 v[148:149], v[148:149], v[158:159]
	v_fmac_f64_e32 v[164:165], v[166:167], v[28:29]
	v_fmac_f64_e32 v[148:149], v[150:151], v[28:29]
	v_add_f64 v[2:3], v[2:3], -v[164:165]
	s_waitcnt vmcnt(0)
	v_add_f64 v[144:145], v[144:145], -v[30:31]
	v_add_f64 v[146:147], v[146:147], -v[148:149]
	v_mov_b64_e32 v[30:31], v[158:159]
.LBB72_608:
	s_or_b64 exec, exec, s[0:1]
	v_lshl_add_u32 v148, v161, 4, v160
	s_barrier
	s_waitcnt vmcnt(7)
	ds_write2_b64 v148, v[24:25], v[26:27] offset1:1
	s_waitcnt lgkmcnt(0)
	s_barrier
	ds_read2_b64 v[148:151], v160 offset0:58 offset1:59
	s_cmp_lt_i32 s20, 31
	v_mov_b32_e32 v158, 29
	s_cbranch_scc1 .LBB72_611
; %bb.609:
	v_add_u32_e32 v159, 0x1e0, v160
	s_mov_b32 s16, 30
	v_mov_b32_e32 v158, 29
.LBB72_610:                             ; =>This Inner Loop Header: Depth=1
	ds_read2_b64 v[164:167], v159 offset1:1
	s_waitcnt lgkmcnt(1)
	v_xor_b32_e32 v169, 0x80000000, v149
	v_xor_b32_e32 v171, 0x80000000, v151
	v_cmp_gt_f64_e32 vcc, 0, v[150:151]
	v_cmp_gt_f64_e64 s[0:1], 0, v[148:149]
	v_mov_b32_e32 v168, v148
	v_mov_b32_e32 v170, v150
	v_cndmask_b32_e64 v169, v149, v169, s[0:1]
	v_cndmask_b32_e32 v171, v151, v171, vcc
	v_add_f64 v[168:169], v[168:169], v[170:171]
	s_waitcnt lgkmcnt(0)
	v_xor_b32_e32 v171, 0x80000000, v165
	v_xor_b32_e32 v173, 0x80000000, v167
	v_cmp_gt_f64_e32 vcc, 0, v[166:167]
	v_cmp_gt_f64_e64 s[0:1], 0, v[164:165]
	v_mov_b32_e32 v170, v164
	v_mov_b32_e32 v172, v166
	v_cndmask_b32_e64 v171, v165, v171, s[0:1]
	v_cndmask_b32_e32 v173, v167, v173, vcc
	v_add_f64 v[170:171], v[170:171], v[172:173]
	v_mov_b32_e32 v174, s16
	s_add_i32 s16, s16, 1
	v_cmp_lt_f64_e32 vcc, v[168:169], v[170:171]
	v_add_u32_e32 v159, 16, v159
	s_cmp_lg_u32 s20, s16
	v_cndmask_b32_e32 v149, v149, v165, vcc
	v_cndmask_b32_e32 v148, v148, v164, vcc
	;; [unrolled: 1-line block ×5, first 2 shown]
	s_cbranch_scc1 .LBB72_610
.LBB72_611:
	s_waitcnt lgkmcnt(0)
	v_cmp_eq_f64_e32 vcc, 0, v[148:149]
	v_cmp_eq_f64_e64 s[0:1], 0, v[150:151]
	s_and_b64 s[0:1], vcc, s[0:1]
	s_and_saveexec_b64 s[16:17], s[0:1]
	s_xor_b64 s[0:1], exec, s[16:17]
; %bb.612:
	v_cmp_ne_u32_e32 vcc, 0, v162
	s_nop 1
	v_cndmask_b32_e32 v162, 30, v162, vcc
; %bb.613:
	s_andn2_saveexec_b64 s[0:1], s[0:1]
	s_cbranch_execz .LBB72_619
; %bb.614:
	v_cmp_ngt_f64_e64 s[16:17], |v[148:149]|, |v[150:151]|
	s_and_saveexec_b64 s[18:19], s[16:17]
	s_xor_b64 s[16:17], exec, s[18:19]
	s_cbranch_execz .LBB72_616
; %bb.615:
	v_div_scale_f64 v[164:165], s[18:19], v[150:151], v[150:151], v[148:149]
	v_rcp_f64_e32 v[166:167], v[164:165]
	v_div_scale_f64 v[168:169], vcc, v[148:149], v[150:151], v[148:149]
	v_fma_f64 v[170:171], -v[164:165], v[166:167], 1.0
	v_fmac_f64_e32 v[166:167], v[166:167], v[170:171]
	v_fma_f64 v[170:171], -v[164:165], v[166:167], 1.0
	v_fmac_f64_e32 v[166:167], v[166:167], v[170:171]
	v_mul_f64 v[170:171], v[168:169], v[166:167]
	v_fma_f64 v[164:165], -v[164:165], v[170:171], v[168:169]
	v_div_fmas_f64 v[164:165], v[164:165], v[166:167], v[170:171]
	v_div_fixup_f64 v[164:165], v[164:165], v[150:151], v[148:149]
	v_fmac_f64_e32 v[150:151], v[148:149], v[164:165]
	v_div_scale_f64 v[148:149], s[18:19], v[150:151], v[150:151], 1.0
	v_rcp_f64_e32 v[166:167], v[148:149]
	s_nop 0
	v_fma_f64 v[168:169], -v[148:149], v[166:167], 1.0
	v_fmac_f64_e32 v[166:167], v[166:167], v[168:169]
	v_fma_f64 v[168:169], -v[148:149], v[166:167], 1.0
	v_fmac_f64_e32 v[166:167], v[166:167], v[168:169]
	v_div_scale_f64 v[168:169], vcc, 1.0, v[150:151], 1.0
	v_mul_f64 v[170:171], v[168:169], v[166:167]
	v_fma_f64 v[148:149], -v[148:149], v[170:171], v[168:169]
	s_nop 1
	v_div_fmas_f64 v[148:149], v[148:149], v[166:167], v[170:171]
	v_div_fixup_f64 v[150:151], v[148:149], v[150:151], 1.0
	v_mul_f64 v[148:149], v[164:165], v[150:151]
	v_xor_b32_e32 v151, 0x80000000, v151
.LBB72_616:
	s_andn2_saveexec_b64 s[16:17], s[16:17]
	s_cbranch_execz .LBB72_618
; %bb.617:
	v_div_scale_f64 v[164:165], s[18:19], v[148:149], v[148:149], v[150:151]
	v_rcp_f64_e32 v[166:167], v[164:165]
	v_div_scale_f64 v[168:169], vcc, v[150:151], v[148:149], v[150:151]
	v_fma_f64 v[170:171], -v[164:165], v[166:167], 1.0
	v_fmac_f64_e32 v[166:167], v[166:167], v[170:171]
	v_fma_f64 v[170:171], -v[164:165], v[166:167], 1.0
	v_fmac_f64_e32 v[166:167], v[166:167], v[170:171]
	v_mul_f64 v[170:171], v[168:169], v[166:167]
	v_fma_f64 v[164:165], -v[164:165], v[170:171], v[168:169]
	v_div_fmas_f64 v[164:165], v[164:165], v[166:167], v[170:171]
	v_div_fixup_f64 v[164:165], v[164:165], v[148:149], v[150:151]
	v_fmac_f64_e32 v[148:149], v[150:151], v[164:165]
	v_div_scale_f64 v[150:151], s[18:19], v[148:149], v[148:149], 1.0
	v_rcp_f64_e32 v[166:167], v[150:151]
	s_nop 0
	v_fma_f64 v[168:169], -v[150:151], v[166:167], 1.0
	v_fmac_f64_e32 v[166:167], v[166:167], v[168:169]
	v_fma_f64 v[168:169], -v[150:151], v[166:167], 1.0
	v_fmac_f64_e32 v[166:167], v[166:167], v[168:169]
	v_div_scale_f64 v[168:169], vcc, 1.0, v[148:149], 1.0
	v_mul_f64 v[170:171], v[168:169], v[166:167]
	v_fma_f64 v[150:151], -v[150:151], v[170:171], v[168:169]
	s_nop 1
	v_div_fmas_f64 v[150:151], v[150:151], v[166:167], v[170:171]
	v_div_fixup_f64 v[148:149], v[150:151], v[148:149], 1.0
	v_mul_f64 v[150:151], v[164:165], -v[148:149]
.LBB72_618:
	s_or_b64 exec, exec, s[16:17]
.LBB72_619:
	s_or_b64 exec, exec, s[0:1]
	v_cmp_ne_u32_e32 vcc, v161, v158
	s_and_saveexec_b64 s[0:1], vcc
	s_xor_b64 s[0:1], exec, s[0:1]
	s_cbranch_execz .LBB72_625
; %bb.620:
	v_cmp_eq_u32_e32 vcc, 29, v161
	s_and_saveexec_b64 s[16:17], vcc
	s_cbranch_execz .LBB72_624
; %bb.621:
	v_cmp_ne_u32_e32 vcc, 29, v158
	s_xor_b64 s[18:19], s[14:15], -1
	s_and_b64 s[22:23], s[18:19], vcc
	s_and_saveexec_b64 s[18:19], s[22:23]
	s_cbranch_execz .LBB72_623
; %bb.622:
	v_ashrrev_i32_e32 v159, 31, v158
	v_lshl_add_u64 v[164:165], v[158:159], 2, v[156:157]
	global_load_dword v159, v[164:165], off
	global_load_dword v161, v[156:157], off offset:116
	s_waitcnt vmcnt(1)
	global_store_dword v[156:157], v159, off offset:116
	s_waitcnt vmcnt(1)
	global_store_dword v[164:165], v161, off
.LBB72_623:
	s_or_b64 exec, exec, s[18:19]
	v_mov_b32_e32 v161, v158
	v_mov_b32_e32 v163, v158
.LBB72_624:
	s_or_b64 exec, exec, s[16:17]
.LBB72_625:
	s_andn2_saveexec_b64 s[0:1], s[0:1]
	s_cbranch_execz .LBB72_627
; %bb.626:
	v_mov_b32_e32 v161, 29
	s_waitcnt vmcnt(6)
	ds_write2_b64 v160, v[20:21], v[22:23] offset0:60 offset1:61
	s_waitcnt vmcnt(5)
	ds_write2_b64 v160, v[16:17], v[18:19] offset0:62 offset1:63
	;; [unrolled: 2-line block ×7, first 2 shown]
.LBB72_627:
	s_or_b64 exec, exec, s[0:1]
	v_cmp_lt_i32_e32 vcc, 29, v161
	s_waitcnt lgkmcnt(0)
	s_barrier
	s_and_saveexec_b64 s[0:1], vcc
	s_cbranch_execz .LBB72_629
; %bb.628:
	ds_read2_b64 v[164:167], v160 offset0:60 offset1:61
	v_mul_f64 v[158:159], v[148:149], v[26:27]
	v_fmac_f64_e32 v[158:159], v[150:151], v[24:25]
	v_mul_f64 v[26:27], v[150:151], v[26:27]
	v_fma_f64 v[24:25], v[148:149], v[24:25], -v[26:27]
	ds_read2_b64 v[148:151], v160 offset0:62 offset1:63
	s_waitcnt lgkmcnt(1)
	v_mul_f64 v[26:27], v[166:167], v[158:159]
	v_fma_f64 v[26:27], v[164:165], v[24:25], -v[26:27]
	v_mul_f64 v[164:165], v[164:165], v[158:159]
	v_fmac_f64_e32 v[164:165], v[166:167], v[24:25]
	s_waitcnt vmcnt(6)
	v_add_f64 v[22:23], v[22:23], -v[164:165]
	ds_read2_b64 v[164:167], v160 offset0:64 offset1:65
	v_add_f64 v[20:21], v[20:21], -v[26:27]
	s_waitcnt lgkmcnt(1)
	v_mul_f64 v[26:27], v[150:151], v[158:159]
	v_fma_f64 v[26:27], v[148:149], v[24:25], -v[26:27]
	v_mul_f64 v[148:149], v[148:149], v[158:159]
	v_fmac_f64_e32 v[148:149], v[150:151], v[24:25]
	s_waitcnt vmcnt(5)
	v_add_f64 v[16:17], v[16:17], -v[26:27]
	v_add_f64 v[18:19], v[18:19], -v[148:149]
	ds_read2_b64 v[148:151], v160 offset0:66 offset1:67
	s_waitcnt lgkmcnt(1)
	v_mul_f64 v[26:27], v[166:167], v[158:159]
	v_fma_f64 v[26:27], v[164:165], v[24:25], -v[26:27]
	v_mul_f64 v[164:165], v[164:165], v[158:159]
	v_fmac_f64_e32 v[164:165], v[166:167], v[24:25]
	s_waitcnt vmcnt(4)
	v_add_f64 v[14:15], v[14:15], -v[164:165]
	ds_read2_b64 v[164:167], v160 offset0:68 offset1:69
	v_add_f64 v[12:13], v[12:13], -v[26:27]
	s_waitcnt lgkmcnt(1)
	v_mul_f64 v[26:27], v[150:151], v[158:159]
	v_fma_f64 v[26:27], v[148:149], v[24:25], -v[26:27]
	v_mul_f64 v[148:149], v[148:149], v[158:159]
	v_fmac_f64_e32 v[148:149], v[150:151], v[24:25]
	s_waitcnt vmcnt(3)
	v_add_f64 v[8:9], v[8:9], -v[26:27]
	v_add_f64 v[10:11], v[10:11], -v[148:149]
	;; [unrolled: 18-line block ×3, first 2 shown]
	s_waitcnt lgkmcnt(0)
	v_mul_f64 v[26:27], v[166:167], v[158:159]
	v_mul_f64 v[148:149], v[164:165], v[158:159]
	v_fma_f64 v[26:27], v[164:165], v[24:25], -v[26:27]
	v_fmac_f64_e32 v[148:149], v[166:167], v[24:25]
	s_waitcnt vmcnt(0)
	v_add_f64 v[144:145], v[144:145], -v[26:27]
	v_add_f64 v[146:147], v[146:147], -v[148:149]
	v_mov_b64_e32 v[26:27], v[158:159]
.LBB72_629:
	s_or_b64 exec, exec, s[0:1]
	v_lshl_add_u32 v148, v161, 4, v160
	s_barrier
	s_waitcnt vmcnt(6)
	ds_write2_b64 v148, v[20:21], v[22:23] offset1:1
	s_waitcnt lgkmcnt(0)
	s_barrier
	ds_read2_b64 v[148:151], v160 offset0:60 offset1:61
	s_cmp_lt_i32 s20, 32
	v_mov_b32_e32 v158, 30
	s_cbranch_scc1 .LBB72_632
; %bb.630:
	v_add_u32_e32 v159, 0x1f0, v160
	s_mov_b32 s16, 31
	v_mov_b32_e32 v158, 30
.LBB72_631:                             ; =>This Inner Loop Header: Depth=1
	ds_read2_b64 v[164:167], v159 offset1:1
	s_waitcnt lgkmcnt(1)
	v_xor_b32_e32 v169, 0x80000000, v149
	v_xor_b32_e32 v171, 0x80000000, v151
	v_cmp_gt_f64_e32 vcc, 0, v[150:151]
	v_cmp_gt_f64_e64 s[0:1], 0, v[148:149]
	v_mov_b32_e32 v168, v148
	v_mov_b32_e32 v170, v150
	v_cndmask_b32_e64 v169, v149, v169, s[0:1]
	v_cndmask_b32_e32 v171, v151, v171, vcc
	v_add_f64 v[168:169], v[168:169], v[170:171]
	s_waitcnt lgkmcnt(0)
	v_xor_b32_e32 v171, 0x80000000, v165
	v_xor_b32_e32 v173, 0x80000000, v167
	v_cmp_gt_f64_e32 vcc, 0, v[166:167]
	v_cmp_gt_f64_e64 s[0:1], 0, v[164:165]
	v_mov_b32_e32 v170, v164
	v_mov_b32_e32 v172, v166
	v_cndmask_b32_e64 v171, v165, v171, s[0:1]
	v_cndmask_b32_e32 v173, v167, v173, vcc
	v_add_f64 v[170:171], v[170:171], v[172:173]
	v_mov_b32_e32 v174, s16
	s_add_i32 s16, s16, 1
	v_cmp_lt_f64_e32 vcc, v[168:169], v[170:171]
	v_add_u32_e32 v159, 16, v159
	s_cmp_lg_u32 s20, s16
	v_cndmask_b32_e32 v149, v149, v165, vcc
	v_cndmask_b32_e32 v148, v148, v164, vcc
	;; [unrolled: 1-line block ×5, first 2 shown]
	s_cbranch_scc1 .LBB72_631
.LBB72_632:
	s_waitcnt lgkmcnt(0)
	v_cmp_eq_f64_e32 vcc, 0, v[148:149]
	v_cmp_eq_f64_e64 s[0:1], 0, v[150:151]
	s_and_b64 s[0:1], vcc, s[0:1]
	s_and_saveexec_b64 s[16:17], s[0:1]
	s_xor_b64 s[0:1], exec, s[16:17]
; %bb.633:
	v_cmp_ne_u32_e32 vcc, 0, v162
	s_nop 1
	v_cndmask_b32_e32 v162, 31, v162, vcc
; %bb.634:
	s_andn2_saveexec_b64 s[0:1], s[0:1]
	s_cbranch_execz .LBB72_640
; %bb.635:
	v_cmp_ngt_f64_e64 s[16:17], |v[148:149]|, |v[150:151]|
	s_and_saveexec_b64 s[18:19], s[16:17]
	s_xor_b64 s[16:17], exec, s[18:19]
	s_cbranch_execz .LBB72_637
; %bb.636:
	v_div_scale_f64 v[164:165], s[18:19], v[150:151], v[150:151], v[148:149]
	v_rcp_f64_e32 v[166:167], v[164:165]
	v_div_scale_f64 v[168:169], vcc, v[148:149], v[150:151], v[148:149]
	v_fma_f64 v[170:171], -v[164:165], v[166:167], 1.0
	v_fmac_f64_e32 v[166:167], v[166:167], v[170:171]
	v_fma_f64 v[170:171], -v[164:165], v[166:167], 1.0
	v_fmac_f64_e32 v[166:167], v[166:167], v[170:171]
	v_mul_f64 v[170:171], v[168:169], v[166:167]
	v_fma_f64 v[164:165], -v[164:165], v[170:171], v[168:169]
	v_div_fmas_f64 v[164:165], v[164:165], v[166:167], v[170:171]
	v_div_fixup_f64 v[164:165], v[164:165], v[150:151], v[148:149]
	v_fmac_f64_e32 v[150:151], v[148:149], v[164:165]
	v_div_scale_f64 v[148:149], s[18:19], v[150:151], v[150:151], 1.0
	v_rcp_f64_e32 v[166:167], v[148:149]
	s_nop 0
	v_fma_f64 v[168:169], -v[148:149], v[166:167], 1.0
	v_fmac_f64_e32 v[166:167], v[166:167], v[168:169]
	v_fma_f64 v[168:169], -v[148:149], v[166:167], 1.0
	v_fmac_f64_e32 v[166:167], v[166:167], v[168:169]
	v_div_scale_f64 v[168:169], vcc, 1.0, v[150:151], 1.0
	v_mul_f64 v[170:171], v[168:169], v[166:167]
	v_fma_f64 v[148:149], -v[148:149], v[170:171], v[168:169]
	s_nop 1
	v_div_fmas_f64 v[148:149], v[148:149], v[166:167], v[170:171]
	v_div_fixup_f64 v[150:151], v[148:149], v[150:151], 1.0
	v_mul_f64 v[148:149], v[164:165], v[150:151]
	v_xor_b32_e32 v151, 0x80000000, v151
.LBB72_637:
	s_andn2_saveexec_b64 s[16:17], s[16:17]
	s_cbranch_execz .LBB72_639
; %bb.638:
	v_div_scale_f64 v[164:165], s[18:19], v[148:149], v[148:149], v[150:151]
	v_rcp_f64_e32 v[166:167], v[164:165]
	v_div_scale_f64 v[168:169], vcc, v[150:151], v[148:149], v[150:151]
	v_fma_f64 v[170:171], -v[164:165], v[166:167], 1.0
	v_fmac_f64_e32 v[166:167], v[166:167], v[170:171]
	v_fma_f64 v[170:171], -v[164:165], v[166:167], 1.0
	v_fmac_f64_e32 v[166:167], v[166:167], v[170:171]
	v_mul_f64 v[170:171], v[168:169], v[166:167]
	v_fma_f64 v[164:165], -v[164:165], v[170:171], v[168:169]
	v_div_fmas_f64 v[164:165], v[164:165], v[166:167], v[170:171]
	v_div_fixup_f64 v[164:165], v[164:165], v[148:149], v[150:151]
	v_fmac_f64_e32 v[148:149], v[150:151], v[164:165]
	v_div_scale_f64 v[150:151], s[18:19], v[148:149], v[148:149], 1.0
	v_rcp_f64_e32 v[166:167], v[150:151]
	s_nop 0
	v_fma_f64 v[168:169], -v[150:151], v[166:167], 1.0
	v_fmac_f64_e32 v[166:167], v[166:167], v[168:169]
	v_fma_f64 v[168:169], -v[150:151], v[166:167], 1.0
	v_fmac_f64_e32 v[166:167], v[166:167], v[168:169]
	v_div_scale_f64 v[168:169], vcc, 1.0, v[148:149], 1.0
	v_mul_f64 v[170:171], v[168:169], v[166:167]
	v_fma_f64 v[150:151], -v[150:151], v[170:171], v[168:169]
	s_nop 1
	v_div_fmas_f64 v[150:151], v[150:151], v[166:167], v[170:171]
	v_div_fixup_f64 v[148:149], v[150:151], v[148:149], 1.0
	v_mul_f64 v[150:151], v[164:165], -v[148:149]
.LBB72_639:
	s_or_b64 exec, exec, s[16:17]
.LBB72_640:
	s_or_b64 exec, exec, s[0:1]
	v_cmp_ne_u32_e32 vcc, v161, v158
	s_and_saveexec_b64 s[0:1], vcc
	s_xor_b64 s[0:1], exec, s[0:1]
	s_cbranch_execz .LBB72_646
; %bb.641:
	v_cmp_eq_u32_e32 vcc, 30, v161
	s_and_saveexec_b64 s[16:17], vcc
	s_cbranch_execz .LBB72_645
; %bb.642:
	v_cmp_ne_u32_e32 vcc, 30, v158
	s_xor_b64 s[18:19], s[14:15], -1
	s_and_b64 s[22:23], s[18:19], vcc
	s_and_saveexec_b64 s[18:19], s[22:23]
	s_cbranch_execz .LBB72_644
; %bb.643:
	v_ashrrev_i32_e32 v159, 31, v158
	v_lshl_add_u64 v[164:165], v[158:159], 2, v[156:157]
	global_load_dword v159, v[164:165], off
	global_load_dword v161, v[156:157], off offset:120
	s_waitcnt vmcnt(1)
	global_store_dword v[156:157], v159, off offset:120
	s_waitcnt vmcnt(1)
	global_store_dword v[164:165], v161, off
.LBB72_644:
	s_or_b64 exec, exec, s[18:19]
	v_mov_b32_e32 v161, v158
	v_mov_b32_e32 v163, v158
.LBB72_645:
	s_or_b64 exec, exec, s[16:17]
.LBB72_646:
	s_andn2_saveexec_b64 s[0:1], s[0:1]
	s_cbranch_execz .LBB72_648
; %bb.647:
	v_mov_b32_e32 v161, 30
	s_waitcnt vmcnt(5)
	ds_write2_b64 v160, v[16:17], v[18:19] offset0:62 offset1:63
	s_waitcnt vmcnt(4)
	ds_write2_b64 v160, v[12:13], v[14:15] offset0:64 offset1:65
	;; [unrolled: 2-line block ×6, first 2 shown]
.LBB72_648:
	s_or_b64 exec, exec, s[0:1]
	v_cmp_lt_i32_e32 vcc, 30, v161
	s_waitcnt lgkmcnt(0)
	s_barrier
	s_and_saveexec_b64 s[0:1], vcc
	s_cbranch_execz .LBB72_650
; %bb.649:
	ds_read2_b64 v[164:167], v160 offset0:62 offset1:63
	v_mul_f64 v[158:159], v[148:149], v[22:23]
	v_mul_f64 v[22:23], v[150:151], v[22:23]
	v_fmac_f64_e32 v[158:159], v[150:151], v[20:21]
	v_fma_f64 v[20:21], v[148:149], v[20:21], -v[22:23]
	ds_read2_b64 v[148:151], v160 offset0:64 offset1:65
	s_waitcnt lgkmcnt(1)
	v_mul_f64 v[22:23], v[166:167], v[158:159]
	v_fma_f64 v[22:23], v[164:165], v[20:21], -v[22:23]
	v_mul_f64 v[164:165], v[164:165], v[158:159]
	v_fmac_f64_e32 v[164:165], v[166:167], v[20:21]
	s_waitcnt vmcnt(5)
	v_add_f64 v[16:17], v[16:17], -v[22:23]
	s_waitcnt lgkmcnt(0)
	v_mul_f64 v[22:23], v[150:151], v[158:159]
	v_add_f64 v[18:19], v[18:19], -v[164:165]
	v_fma_f64 v[22:23], v[148:149], v[20:21], -v[22:23]
	v_mul_f64 v[148:149], v[148:149], v[158:159]
	ds_read2_b64 v[164:167], v160 offset0:66 offset1:67
	v_fmac_f64_e32 v[148:149], v[150:151], v[20:21]
	s_waitcnt vmcnt(4)
	v_add_f64 v[14:15], v[14:15], -v[148:149]
	ds_read2_b64 v[148:151], v160 offset0:68 offset1:69
	v_add_f64 v[12:13], v[12:13], -v[22:23]
	s_waitcnt lgkmcnt(1)
	v_mul_f64 v[22:23], v[166:167], v[158:159]
	v_fma_f64 v[22:23], v[164:165], v[20:21], -v[22:23]
	v_mul_f64 v[164:165], v[164:165], v[158:159]
	v_fmac_f64_e32 v[164:165], v[166:167], v[20:21]
	s_waitcnt vmcnt(3)
	v_add_f64 v[8:9], v[8:9], -v[22:23]
	s_waitcnt lgkmcnt(0)
	v_mul_f64 v[22:23], v[150:151], v[158:159]
	v_add_f64 v[10:11], v[10:11], -v[164:165]
	v_fma_f64 v[22:23], v[148:149], v[20:21], -v[22:23]
	v_mul_f64 v[148:149], v[148:149], v[158:159]
	ds_read2_b64 v[164:167], v160 offset0:70 offset1:71
	v_fmac_f64_e32 v[148:149], v[150:151], v[20:21]
	s_waitcnt vmcnt(2)
	v_add_f64 v[6:7], v[6:7], -v[148:149]
	ds_read2_b64 v[148:151], v160 offset0:72 offset1:73
	v_add_f64 v[4:5], v[4:5], -v[22:23]
	s_waitcnt lgkmcnt(1)
	v_mul_f64 v[22:23], v[166:167], v[158:159]
	v_fma_f64 v[22:23], v[164:165], v[20:21], -v[22:23]
	s_waitcnt vmcnt(1)
	v_add_f64 v[0:1], v[0:1], -v[22:23]
	s_waitcnt lgkmcnt(0)
	v_mul_f64 v[22:23], v[150:151], v[158:159]
	v_mul_f64 v[164:165], v[164:165], v[158:159]
	v_fma_f64 v[22:23], v[148:149], v[20:21], -v[22:23]
	v_mul_f64 v[148:149], v[148:149], v[158:159]
	v_fmac_f64_e32 v[164:165], v[166:167], v[20:21]
	v_fmac_f64_e32 v[148:149], v[150:151], v[20:21]
	v_add_f64 v[2:3], v[2:3], -v[164:165]
	s_waitcnt vmcnt(0)
	v_add_f64 v[144:145], v[144:145], -v[22:23]
	v_add_f64 v[146:147], v[146:147], -v[148:149]
	v_mov_b64_e32 v[22:23], v[158:159]
.LBB72_650:
	s_or_b64 exec, exec, s[0:1]
	v_lshl_add_u32 v148, v161, 4, v160
	s_barrier
	s_waitcnt vmcnt(5)
	ds_write2_b64 v148, v[16:17], v[18:19] offset1:1
	s_waitcnt lgkmcnt(0)
	s_barrier
	ds_read2_b64 v[148:151], v160 offset0:62 offset1:63
	s_cmp_lt_i32 s20, 33
	v_mov_b32_e32 v158, 31
	s_cbranch_scc1 .LBB72_653
; %bb.651:
	v_add_u32_e32 v159, 0x200, v160
	s_mov_b32 s16, 32
	v_mov_b32_e32 v158, 31
.LBB72_652:                             ; =>This Inner Loop Header: Depth=1
	ds_read2_b64 v[164:167], v159 offset1:1
	s_waitcnt lgkmcnt(1)
	v_xor_b32_e32 v169, 0x80000000, v149
	v_xor_b32_e32 v171, 0x80000000, v151
	v_cmp_gt_f64_e32 vcc, 0, v[150:151]
	v_cmp_gt_f64_e64 s[0:1], 0, v[148:149]
	v_mov_b32_e32 v168, v148
	v_mov_b32_e32 v170, v150
	v_cndmask_b32_e64 v169, v149, v169, s[0:1]
	v_cndmask_b32_e32 v171, v151, v171, vcc
	v_add_f64 v[168:169], v[168:169], v[170:171]
	s_waitcnt lgkmcnt(0)
	v_xor_b32_e32 v171, 0x80000000, v165
	v_xor_b32_e32 v173, 0x80000000, v167
	v_cmp_gt_f64_e32 vcc, 0, v[166:167]
	v_cmp_gt_f64_e64 s[0:1], 0, v[164:165]
	v_mov_b32_e32 v170, v164
	v_mov_b32_e32 v172, v166
	v_cndmask_b32_e64 v171, v165, v171, s[0:1]
	v_cndmask_b32_e32 v173, v167, v173, vcc
	v_add_f64 v[170:171], v[170:171], v[172:173]
	v_mov_b32_e32 v174, s16
	s_add_i32 s16, s16, 1
	v_cmp_lt_f64_e32 vcc, v[168:169], v[170:171]
	v_add_u32_e32 v159, 16, v159
	s_cmp_lg_u32 s20, s16
	v_cndmask_b32_e32 v149, v149, v165, vcc
	v_cndmask_b32_e32 v148, v148, v164, vcc
	;; [unrolled: 1-line block ×5, first 2 shown]
	s_cbranch_scc1 .LBB72_652
.LBB72_653:
	s_waitcnt lgkmcnt(0)
	v_cmp_eq_f64_e32 vcc, 0, v[148:149]
	v_cmp_eq_f64_e64 s[0:1], 0, v[150:151]
	s_and_b64 s[0:1], vcc, s[0:1]
	s_and_saveexec_b64 s[16:17], s[0:1]
	s_xor_b64 s[0:1], exec, s[16:17]
; %bb.654:
	v_cmp_ne_u32_e32 vcc, 0, v162
	s_nop 1
	v_cndmask_b32_e32 v162, 32, v162, vcc
; %bb.655:
	s_andn2_saveexec_b64 s[0:1], s[0:1]
	s_cbranch_execz .LBB72_661
; %bb.656:
	v_cmp_ngt_f64_e64 s[16:17], |v[148:149]|, |v[150:151]|
	s_and_saveexec_b64 s[18:19], s[16:17]
	s_xor_b64 s[16:17], exec, s[18:19]
	s_cbranch_execz .LBB72_658
; %bb.657:
	v_div_scale_f64 v[164:165], s[18:19], v[150:151], v[150:151], v[148:149]
	v_rcp_f64_e32 v[166:167], v[164:165]
	v_div_scale_f64 v[168:169], vcc, v[148:149], v[150:151], v[148:149]
	v_fma_f64 v[170:171], -v[164:165], v[166:167], 1.0
	v_fmac_f64_e32 v[166:167], v[166:167], v[170:171]
	v_fma_f64 v[170:171], -v[164:165], v[166:167], 1.0
	v_fmac_f64_e32 v[166:167], v[166:167], v[170:171]
	v_mul_f64 v[170:171], v[168:169], v[166:167]
	v_fma_f64 v[164:165], -v[164:165], v[170:171], v[168:169]
	v_div_fmas_f64 v[164:165], v[164:165], v[166:167], v[170:171]
	v_div_fixup_f64 v[164:165], v[164:165], v[150:151], v[148:149]
	v_fmac_f64_e32 v[150:151], v[148:149], v[164:165]
	v_div_scale_f64 v[148:149], s[18:19], v[150:151], v[150:151], 1.0
	v_rcp_f64_e32 v[166:167], v[148:149]
	s_nop 0
	v_fma_f64 v[168:169], -v[148:149], v[166:167], 1.0
	v_fmac_f64_e32 v[166:167], v[166:167], v[168:169]
	v_fma_f64 v[168:169], -v[148:149], v[166:167], 1.0
	v_fmac_f64_e32 v[166:167], v[166:167], v[168:169]
	v_div_scale_f64 v[168:169], vcc, 1.0, v[150:151], 1.0
	v_mul_f64 v[170:171], v[168:169], v[166:167]
	v_fma_f64 v[148:149], -v[148:149], v[170:171], v[168:169]
	s_nop 1
	v_div_fmas_f64 v[148:149], v[148:149], v[166:167], v[170:171]
	v_div_fixup_f64 v[150:151], v[148:149], v[150:151], 1.0
	v_mul_f64 v[148:149], v[164:165], v[150:151]
	v_xor_b32_e32 v151, 0x80000000, v151
.LBB72_658:
	s_andn2_saveexec_b64 s[16:17], s[16:17]
	s_cbranch_execz .LBB72_660
; %bb.659:
	v_div_scale_f64 v[164:165], s[18:19], v[148:149], v[148:149], v[150:151]
	v_rcp_f64_e32 v[166:167], v[164:165]
	v_div_scale_f64 v[168:169], vcc, v[150:151], v[148:149], v[150:151]
	v_fma_f64 v[170:171], -v[164:165], v[166:167], 1.0
	v_fmac_f64_e32 v[166:167], v[166:167], v[170:171]
	v_fma_f64 v[170:171], -v[164:165], v[166:167], 1.0
	v_fmac_f64_e32 v[166:167], v[166:167], v[170:171]
	v_mul_f64 v[170:171], v[168:169], v[166:167]
	v_fma_f64 v[164:165], -v[164:165], v[170:171], v[168:169]
	v_div_fmas_f64 v[164:165], v[164:165], v[166:167], v[170:171]
	v_div_fixup_f64 v[164:165], v[164:165], v[148:149], v[150:151]
	v_fmac_f64_e32 v[148:149], v[150:151], v[164:165]
	v_div_scale_f64 v[150:151], s[18:19], v[148:149], v[148:149], 1.0
	v_rcp_f64_e32 v[166:167], v[150:151]
	s_nop 0
	v_fma_f64 v[168:169], -v[150:151], v[166:167], 1.0
	v_fmac_f64_e32 v[166:167], v[166:167], v[168:169]
	v_fma_f64 v[168:169], -v[150:151], v[166:167], 1.0
	v_fmac_f64_e32 v[166:167], v[166:167], v[168:169]
	v_div_scale_f64 v[168:169], vcc, 1.0, v[148:149], 1.0
	v_mul_f64 v[170:171], v[168:169], v[166:167]
	v_fma_f64 v[150:151], -v[150:151], v[170:171], v[168:169]
	s_nop 1
	v_div_fmas_f64 v[150:151], v[150:151], v[166:167], v[170:171]
	v_div_fixup_f64 v[148:149], v[150:151], v[148:149], 1.0
	v_mul_f64 v[150:151], v[164:165], -v[148:149]
.LBB72_660:
	s_or_b64 exec, exec, s[16:17]
.LBB72_661:
	s_or_b64 exec, exec, s[0:1]
	v_cmp_ne_u32_e32 vcc, v161, v158
	s_and_saveexec_b64 s[0:1], vcc
	s_xor_b64 s[0:1], exec, s[0:1]
	s_cbranch_execz .LBB72_667
; %bb.662:
	v_cmp_eq_u32_e32 vcc, 31, v161
	s_and_saveexec_b64 s[16:17], vcc
	s_cbranch_execz .LBB72_666
; %bb.663:
	v_cmp_ne_u32_e32 vcc, 31, v158
	s_xor_b64 s[18:19], s[14:15], -1
	s_and_b64 s[22:23], s[18:19], vcc
	s_and_saveexec_b64 s[18:19], s[22:23]
	s_cbranch_execz .LBB72_665
; %bb.664:
	v_ashrrev_i32_e32 v159, 31, v158
	v_lshl_add_u64 v[164:165], v[158:159], 2, v[156:157]
	global_load_dword v159, v[164:165], off
	global_load_dword v161, v[156:157], off offset:124
	s_waitcnt vmcnt(1)
	global_store_dword v[156:157], v159, off offset:124
	s_waitcnt vmcnt(1)
	global_store_dword v[164:165], v161, off
.LBB72_665:
	s_or_b64 exec, exec, s[18:19]
	v_mov_b32_e32 v161, v158
	v_mov_b32_e32 v163, v158
.LBB72_666:
	s_or_b64 exec, exec, s[16:17]
.LBB72_667:
	s_andn2_saveexec_b64 s[0:1], s[0:1]
	s_cbranch_execz .LBB72_669
; %bb.668:
	v_mov_b32_e32 v161, 31
	s_waitcnt vmcnt(4)
	ds_write2_b64 v160, v[12:13], v[14:15] offset0:64 offset1:65
	s_waitcnt vmcnt(3)
	ds_write2_b64 v160, v[8:9], v[10:11] offset0:66 offset1:67
	s_waitcnt vmcnt(2)
	ds_write2_b64 v160, v[4:5], v[6:7] offset0:68 offset1:69
	s_waitcnt vmcnt(1)
	ds_write2_b64 v160, v[0:1], v[2:3] offset0:70 offset1:71
	s_waitcnt vmcnt(0)
	ds_write2_b64 v160, v[144:145], v[146:147] offset0:72 offset1:73
.LBB72_669:
	s_or_b64 exec, exec, s[0:1]
	v_cmp_lt_i32_e32 vcc, 31, v161
	s_waitcnt lgkmcnt(0)
	s_barrier
	s_and_saveexec_b64 s[0:1], vcc
	s_cbranch_execz .LBB72_671
; %bb.670:
	ds_read2_b64 v[164:167], v160 offset0:64 offset1:65
	v_mul_f64 v[158:159], v[148:149], v[18:19]
	v_fmac_f64_e32 v[158:159], v[150:151], v[16:17]
	v_mul_f64 v[18:19], v[150:151], v[18:19]
	v_fma_f64 v[16:17], v[148:149], v[16:17], -v[18:19]
	ds_read2_b64 v[148:151], v160 offset0:66 offset1:67
	s_waitcnt lgkmcnt(1)
	v_mul_f64 v[18:19], v[166:167], v[158:159]
	v_fma_f64 v[18:19], v[164:165], v[16:17], -v[18:19]
	v_mul_f64 v[164:165], v[164:165], v[158:159]
	v_fmac_f64_e32 v[164:165], v[166:167], v[16:17]
	s_waitcnt vmcnt(4)
	v_add_f64 v[14:15], v[14:15], -v[164:165]
	ds_read2_b64 v[164:167], v160 offset0:68 offset1:69
	v_add_f64 v[12:13], v[12:13], -v[18:19]
	s_waitcnt lgkmcnt(1)
	v_mul_f64 v[18:19], v[150:151], v[158:159]
	v_fma_f64 v[18:19], v[148:149], v[16:17], -v[18:19]
	v_mul_f64 v[148:149], v[148:149], v[158:159]
	v_fmac_f64_e32 v[148:149], v[150:151], v[16:17]
	s_waitcnt vmcnt(3)
	v_add_f64 v[8:9], v[8:9], -v[18:19]
	v_add_f64 v[10:11], v[10:11], -v[148:149]
	ds_read2_b64 v[148:151], v160 offset0:70 offset1:71
	s_waitcnt lgkmcnt(1)
	v_mul_f64 v[18:19], v[166:167], v[158:159]
	v_fma_f64 v[18:19], v[164:165], v[16:17], -v[18:19]
	v_mul_f64 v[164:165], v[164:165], v[158:159]
	v_fmac_f64_e32 v[164:165], v[166:167], v[16:17]
	s_waitcnt vmcnt(2)
	v_add_f64 v[6:7], v[6:7], -v[164:165]
	ds_read2_b64 v[164:167], v160 offset0:72 offset1:73
	v_add_f64 v[4:5], v[4:5], -v[18:19]
	s_waitcnt lgkmcnt(1)
	v_mul_f64 v[18:19], v[150:151], v[158:159]
	v_fma_f64 v[18:19], v[148:149], v[16:17], -v[18:19]
	v_mul_f64 v[148:149], v[148:149], v[158:159]
	v_fmac_f64_e32 v[148:149], v[150:151], v[16:17]
	s_waitcnt vmcnt(1)
	v_add_f64 v[0:1], v[0:1], -v[18:19]
	v_add_f64 v[2:3], v[2:3], -v[148:149]
	s_waitcnt lgkmcnt(0)
	v_mul_f64 v[18:19], v[166:167], v[158:159]
	v_mul_f64 v[148:149], v[164:165], v[158:159]
	v_fma_f64 v[18:19], v[164:165], v[16:17], -v[18:19]
	v_fmac_f64_e32 v[148:149], v[166:167], v[16:17]
	s_waitcnt vmcnt(0)
	v_add_f64 v[144:145], v[144:145], -v[18:19]
	v_add_f64 v[146:147], v[146:147], -v[148:149]
	v_mov_b64_e32 v[18:19], v[158:159]
.LBB72_671:
	s_or_b64 exec, exec, s[0:1]
	v_lshl_add_u32 v148, v161, 4, v160
	s_barrier
	s_waitcnt vmcnt(4)
	ds_write2_b64 v148, v[12:13], v[14:15] offset1:1
	s_waitcnt lgkmcnt(0)
	s_barrier
	ds_read2_b64 v[148:151], v160 offset0:64 offset1:65
	s_cmp_lt_i32 s20, 34
	v_mov_b32_e32 v158, 32
	s_cbranch_scc1 .LBB72_674
; %bb.672:
	v_add_u32_e32 v159, 0x210, v160
	s_mov_b32 s16, 33
	v_mov_b32_e32 v158, 32
.LBB72_673:                             ; =>This Inner Loop Header: Depth=1
	ds_read2_b64 v[164:167], v159 offset1:1
	s_waitcnt lgkmcnt(1)
	v_xor_b32_e32 v169, 0x80000000, v149
	v_xor_b32_e32 v171, 0x80000000, v151
	v_cmp_gt_f64_e32 vcc, 0, v[150:151]
	v_cmp_gt_f64_e64 s[0:1], 0, v[148:149]
	v_mov_b32_e32 v168, v148
	v_mov_b32_e32 v170, v150
	v_cndmask_b32_e64 v169, v149, v169, s[0:1]
	v_cndmask_b32_e32 v171, v151, v171, vcc
	v_add_f64 v[168:169], v[168:169], v[170:171]
	s_waitcnt lgkmcnt(0)
	v_xor_b32_e32 v171, 0x80000000, v165
	v_xor_b32_e32 v173, 0x80000000, v167
	v_cmp_gt_f64_e32 vcc, 0, v[166:167]
	v_cmp_gt_f64_e64 s[0:1], 0, v[164:165]
	v_mov_b32_e32 v170, v164
	v_mov_b32_e32 v172, v166
	v_cndmask_b32_e64 v171, v165, v171, s[0:1]
	v_cndmask_b32_e32 v173, v167, v173, vcc
	v_add_f64 v[170:171], v[170:171], v[172:173]
	v_mov_b32_e32 v174, s16
	s_add_i32 s16, s16, 1
	v_cmp_lt_f64_e32 vcc, v[168:169], v[170:171]
	v_add_u32_e32 v159, 16, v159
	s_cmp_lg_u32 s20, s16
	v_cndmask_b32_e32 v149, v149, v165, vcc
	v_cndmask_b32_e32 v148, v148, v164, vcc
	;; [unrolled: 1-line block ×5, first 2 shown]
	s_cbranch_scc1 .LBB72_673
.LBB72_674:
	s_waitcnt lgkmcnt(0)
	v_cmp_eq_f64_e32 vcc, 0, v[148:149]
	v_cmp_eq_f64_e64 s[0:1], 0, v[150:151]
	s_and_b64 s[0:1], vcc, s[0:1]
	s_and_saveexec_b64 s[16:17], s[0:1]
	s_xor_b64 s[0:1], exec, s[16:17]
; %bb.675:
	v_cmp_ne_u32_e32 vcc, 0, v162
	s_nop 1
	v_cndmask_b32_e32 v162, 33, v162, vcc
; %bb.676:
	s_andn2_saveexec_b64 s[0:1], s[0:1]
	s_cbranch_execz .LBB72_682
; %bb.677:
	v_cmp_ngt_f64_e64 s[16:17], |v[148:149]|, |v[150:151]|
	s_and_saveexec_b64 s[18:19], s[16:17]
	s_xor_b64 s[16:17], exec, s[18:19]
	s_cbranch_execz .LBB72_679
; %bb.678:
	v_div_scale_f64 v[164:165], s[18:19], v[150:151], v[150:151], v[148:149]
	v_rcp_f64_e32 v[166:167], v[164:165]
	v_div_scale_f64 v[168:169], vcc, v[148:149], v[150:151], v[148:149]
	v_fma_f64 v[170:171], -v[164:165], v[166:167], 1.0
	v_fmac_f64_e32 v[166:167], v[166:167], v[170:171]
	v_fma_f64 v[170:171], -v[164:165], v[166:167], 1.0
	v_fmac_f64_e32 v[166:167], v[166:167], v[170:171]
	v_mul_f64 v[170:171], v[168:169], v[166:167]
	v_fma_f64 v[164:165], -v[164:165], v[170:171], v[168:169]
	v_div_fmas_f64 v[164:165], v[164:165], v[166:167], v[170:171]
	v_div_fixup_f64 v[164:165], v[164:165], v[150:151], v[148:149]
	v_fmac_f64_e32 v[150:151], v[148:149], v[164:165]
	v_div_scale_f64 v[148:149], s[18:19], v[150:151], v[150:151], 1.0
	v_rcp_f64_e32 v[166:167], v[148:149]
	s_nop 0
	v_fma_f64 v[168:169], -v[148:149], v[166:167], 1.0
	v_fmac_f64_e32 v[166:167], v[166:167], v[168:169]
	v_fma_f64 v[168:169], -v[148:149], v[166:167], 1.0
	v_fmac_f64_e32 v[166:167], v[166:167], v[168:169]
	v_div_scale_f64 v[168:169], vcc, 1.0, v[150:151], 1.0
	v_mul_f64 v[170:171], v[168:169], v[166:167]
	v_fma_f64 v[148:149], -v[148:149], v[170:171], v[168:169]
	s_nop 1
	v_div_fmas_f64 v[148:149], v[148:149], v[166:167], v[170:171]
	v_div_fixup_f64 v[150:151], v[148:149], v[150:151], 1.0
	v_mul_f64 v[148:149], v[164:165], v[150:151]
	v_xor_b32_e32 v151, 0x80000000, v151
.LBB72_679:
	s_andn2_saveexec_b64 s[16:17], s[16:17]
	s_cbranch_execz .LBB72_681
; %bb.680:
	v_div_scale_f64 v[164:165], s[18:19], v[148:149], v[148:149], v[150:151]
	v_rcp_f64_e32 v[166:167], v[164:165]
	v_div_scale_f64 v[168:169], vcc, v[150:151], v[148:149], v[150:151]
	v_fma_f64 v[170:171], -v[164:165], v[166:167], 1.0
	v_fmac_f64_e32 v[166:167], v[166:167], v[170:171]
	v_fma_f64 v[170:171], -v[164:165], v[166:167], 1.0
	v_fmac_f64_e32 v[166:167], v[166:167], v[170:171]
	v_mul_f64 v[170:171], v[168:169], v[166:167]
	v_fma_f64 v[164:165], -v[164:165], v[170:171], v[168:169]
	v_div_fmas_f64 v[164:165], v[164:165], v[166:167], v[170:171]
	v_div_fixup_f64 v[164:165], v[164:165], v[148:149], v[150:151]
	v_fmac_f64_e32 v[148:149], v[150:151], v[164:165]
	v_div_scale_f64 v[150:151], s[18:19], v[148:149], v[148:149], 1.0
	v_rcp_f64_e32 v[166:167], v[150:151]
	s_nop 0
	v_fma_f64 v[168:169], -v[150:151], v[166:167], 1.0
	v_fmac_f64_e32 v[166:167], v[166:167], v[168:169]
	v_fma_f64 v[168:169], -v[150:151], v[166:167], 1.0
	v_fmac_f64_e32 v[166:167], v[166:167], v[168:169]
	v_div_scale_f64 v[168:169], vcc, 1.0, v[148:149], 1.0
	v_mul_f64 v[170:171], v[168:169], v[166:167]
	v_fma_f64 v[150:151], -v[150:151], v[170:171], v[168:169]
	s_nop 1
	v_div_fmas_f64 v[150:151], v[150:151], v[166:167], v[170:171]
	v_div_fixup_f64 v[148:149], v[150:151], v[148:149], 1.0
	v_mul_f64 v[150:151], v[164:165], -v[148:149]
.LBB72_681:
	s_or_b64 exec, exec, s[16:17]
.LBB72_682:
	s_or_b64 exec, exec, s[0:1]
	v_cmp_ne_u32_e32 vcc, v161, v158
	s_and_saveexec_b64 s[0:1], vcc
	s_xor_b64 s[0:1], exec, s[0:1]
	s_cbranch_execz .LBB72_688
; %bb.683:
	v_cmp_eq_u32_e32 vcc, 32, v161
	s_and_saveexec_b64 s[16:17], vcc
	s_cbranch_execz .LBB72_687
; %bb.684:
	v_cmp_ne_u32_e32 vcc, 32, v158
	s_xor_b64 s[18:19], s[14:15], -1
	s_and_b64 s[22:23], s[18:19], vcc
	s_and_saveexec_b64 s[18:19], s[22:23]
	s_cbranch_execz .LBB72_686
; %bb.685:
	v_ashrrev_i32_e32 v159, 31, v158
	v_lshl_add_u64 v[164:165], v[158:159], 2, v[156:157]
	global_load_dword v159, v[164:165], off
	global_load_dword v161, v[156:157], off offset:128
	s_waitcnt vmcnt(1)
	global_store_dword v[156:157], v159, off offset:128
	s_waitcnt vmcnt(1)
	global_store_dword v[164:165], v161, off
.LBB72_686:
	s_or_b64 exec, exec, s[18:19]
	v_mov_b32_e32 v161, v158
	v_mov_b32_e32 v163, v158
.LBB72_687:
	s_or_b64 exec, exec, s[16:17]
.LBB72_688:
	s_andn2_saveexec_b64 s[0:1], s[0:1]
	s_cbranch_execz .LBB72_690
; %bb.689:
	v_mov_b32_e32 v161, 32
	s_waitcnt vmcnt(3)
	ds_write2_b64 v160, v[8:9], v[10:11] offset0:66 offset1:67
	s_waitcnt vmcnt(2)
	ds_write2_b64 v160, v[4:5], v[6:7] offset0:68 offset1:69
	;; [unrolled: 2-line block ×4, first 2 shown]
.LBB72_690:
	s_or_b64 exec, exec, s[0:1]
	v_cmp_lt_i32_e32 vcc, 32, v161
	s_waitcnt lgkmcnt(0)
	s_barrier
	s_and_saveexec_b64 s[0:1], vcc
	s_cbranch_execz .LBB72_692
; %bb.691:
	ds_read2_b64 v[164:167], v160 offset0:66 offset1:67
	v_mul_f64 v[158:159], v[148:149], v[14:15]
	v_mul_f64 v[14:15], v[150:151], v[14:15]
	v_fmac_f64_e32 v[158:159], v[150:151], v[12:13]
	v_fma_f64 v[12:13], v[148:149], v[12:13], -v[14:15]
	ds_read2_b64 v[148:151], v160 offset0:68 offset1:69
	s_waitcnt lgkmcnt(1)
	v_mul_f64 v[14:15], v[166:167], v[158:159]
	v_fma_f64 v[14:15], v[164:165], v[12:13], -v[14:15]
	v_mul_f64 v[164:165], v[164:165], v[158:159]
	v_fmac_f64_e32 v[164:165], v[166:167], v[12:13]
	s_waitcnt vmcnt(3)
	v_add_f64 v[8:9], v[8:9], -v[14:15]
	s_waitcnt lgkmcnt(0)
	v_mul_f64 v[14:15], v[150:151], v[158:159]
	v_add_f64 v[10:11], v[10:11], -v[164:165]
	v_fma_f64 v[14:15], v[148:149], v[12:13], -v[14:15]
	v_mul_f64 v[148:149], v[148:149], v[158:159]
	ds_read2_b64 v[164:167], v160 offset0:70 offset1:71
	v_fmac_f64_e32 v[148:149], v[150:151], v[12:13]
	s_waitcnt vmcnt(2)
	v_add_f64 v[6:7], v[6:7], -v[148:149]
	ds_read2_b64 v[148:151], v160 offset0:72 offset1:73
	v_add_f64 v[4:5], v[4:5], -v[14:15]
	s_waitcnt lgkmcnt(1)
	v_mul_f64 v[14:15], v[166:167], v[158:159]
	v_fma_f64 v[14:15], v[164:165], v[12:13], -v[14:15]
	s_waitcnt vmcnt(1)
	v_add_f64 v[0:1], v[0:1], -v[14:15]
	s_waitcnt lgkmcnt(0)
	v_mul_f64 v[14:15], v[150:151], v[158:159]
	v_mul_f64 v[164:165], v[164:165], v[158:159]
	v_fma_f64 v[14:15], v[148:149], v[12:13], -v[14:15]
	v_mul_f64 v[148:149], v[148:149], v[158:159]
	v_fmac_f64_e32 v[164:165], v[166:167], v[12:13]
	v_fmac_f64_e32 v[148:149], v[150:151], v[12:13]
	v_add_f64 v[2:3], v[2:3], -v[164:165]
	s_waitcnt vmcnt(0)
	v_add_f64 v[144:145], v[144:145], -v[14:15]
	v_add_f64 v[146:147], v[146:147], -v[148:149]
	v_mov_b64_e32 v[14:15], v[158:159]
.LBB72_692:
	s_or_b64 exec, exec, s[0:1]
	v_lshl_add_u32 v148, v161, 4, v160
	s_barrier
	s_waitcnt vmcnt(3)
	ds_write2_b64 v148, v[8:9], v[10:11] offset1:1
	s_waitcnt lgkmcnt(0)
	s_barrier
	ds_read2_b64 v[148:151], v160 offset0:66 offset1:67
	s_cmp_lt_i32 s20, 35
	v_mov_b32_e32 v158, 33
	s_cbranch_scc1 .LBB72_695
; %bb.693:
	v_add_u32_e32 v159, 0x220, v160
	s_mov_b32 s16, 34
	v_mov_b32_e32 v158, 33
.LBB72_694:                             ; =>This Inner Loop Header: Depth=1
	ds_read2_b64 v[164:167], v159 offset1:1
	s_waitcnt lgkmcnt(1)
	v_xor_b32_e32 v169, 0x80000000, v149
	v_xor_b32_e32 v171, 0x80000000, v151
	v_cmp_gt_f64_e32 vcc, 0, v[150:151]
	v_cmp_gt_f64_e64 s[0:1], 0, v[148:149]
	v_mov_b32_e32 v168, v148
	v_mov_b32_e32 v170, v150
	v_cndmask_b32_e64 v169, v149, v169, s[0:1]
	v_cndmask_b32_e32 v171, v151, v171, vcc
	v_add_f64 v[168:169], v[168:169], v[170:171]
	s_waitcnt lgkmcnt(0)
	v_xor_b32_e32 v171, 0x80000000, v165
	v_xor_b32_e32 v173, 0x80000000, v167
	v_cmp_gt_f64_e32 vcc, 0, v[166:167]
	v_cmp_gt_f64_e64 s[0:1], 0, v[164:165]
	v_mov_b32_e32 v170, v164
	v_mov_b32_e32 v172, v166
	v_cndmask_b32_e64 v171, v165, v171, s[0:1]
	v_cndmask_b32_e32 v173, v167, v173, vcc
	v_add_f64 v[170:171], v[170:171], v[172:173]
	v_mov_b32_e32 v174, s16
	s_add_i32 s16, s16, 1
	v_cmp_lt_f64_e32 vcc, v[168:169], v[170:171]
	v_add_u32_e32 v159, 16, v159
	s_cmp_lg_u32 s20, s16
	v_cndmask_b32_e32 v149, v149, v165, vcc
	v_cndmask_b32_e32 v148, v148, v164, vcc
	;; [unrolled: 1-line block ×5, first 2 shown]
	s_cbranch_scc1 .LBB72_694
.LBB72_695:
	s_waitcnt lgkmcnt(0)
	v_cmp_eq_f64_e32 vcc, 0, v[148:149]
	v_cmp_eq_f64_e64 s[0:1], 0, v[150:151]
	s_and_b64 s[0:1], vcc, s[0:1]
	s_and_saveexec_b64 s[16:17], s[0:1]
	s_xor_b64 s[0:1], exec, s[16:17]
; %bb.696:
	v_cmp_ne_u32_e32 vcc, 0, v162
	s_nop 1
	v_cndmask_b32_e32 v162, 34, v162, vcc
; %bb.697:
	s_andn2_saveexec_b64 s[0:1], s[0:1]
	s_cbranch_execz .LBB72_703
; %bb.698:
	v_cmp_ngt_f64_e64 s[16:17], |v[148:149]|, |v[150:151]|
	s_and_saveexec_b64 s[18:19], s[16:17]
	s_xor_b64 s[16:17], exec, s[18:19]
	s_cbranch_execz .LBB72_700
; %bb.699:
	v_div_scale_f64 v[164:165], s[18:19], v[150:151], v[150:151], v[148:149]
	v_rcp_f64_e32 v[166:167], v[164:165]
	v_div_scale_f64 v[168:169], vcc, v[148:149], v[150:151], v[148:149]
	v_fma_f64 v[170:171], -v[164:165], v[166:167], 1.0
	v_fmac_f64_e32 v[166:167], v[166:167], v[170:171]
	v_fma_f64 v[170:171], -v[164:165], v[166:167], 1.0
	v_fmac_f64_e32 v[166:167], v[166:167], v[170:171]
	v_mul_f64 v[170:171], v[168:169], v[166:167]
	v_fma_f64 v[164:165], -v[164:165], v[170:171], v[168:169]
	v_div_fmas_f64 v[164:165], v[164:165], v[166:167], v[170:171]
	v_div_fixup_f64 v[164:165], v[164:165], v[150:151], v[148:149]
	v_fmac_f64_e32 v[150:151], v[148:149], v[164:165]
	v_div_scale_f64 v[148:149], s[18:19], v[150:151], v[150:151], 1.0
	v_rcp_f64_e32 v[166:167], v[148:149]
	s_nop 0
	v_fma_f64 v[168:169], -v[148:149], v[166:167], 1.0
	v_fmac_f64_e32 v[166:167], v[166:167], v[168:169]
	v_fma_f64 v[168:169], -v[148:149], v[166:167], 1.0
	v_fmac_f64_e32 v[166:167], v[166:167], v[168:169]
	v_div_scale_f64 v[168:169], vcc, 1.0, v[150:151], 1.0
	v_mul_f64 v[170:171], v[168:169], v[166:167]
	v_fma_f64 v[148:149], -v[148:149], v[170:171], v[168:169]
	s_nop 1
	v_div_fmas_f64 v[148:149], v[148:149], v[166:167], v[170:171]
	v_div_fixup_f64 v[150:151], v[148:149], v[150:151], 1.0
	v_mul_f64 v[148:149], v[164:165], v[150:151]
	v_xor_b32_e32 v151, 0x80000000, v151
.LBB72_700:
	s_andn2_saveexec_b64 s[16:17], s[16:17]
	s_cbranch_execz .LBB72_702
; %bb.701:
	v_div_scale_f64 v[164:165], s[18:19], v[148:149], v[148:149], v[150:151]
	v_rcp_f64_e32 v[166:167], v[164:165]
	v_div_scale_f64 v[168:169], vcc, v[150:151], v[148:149], v[150:151]
	v_fma_f64 v[170:171], -v[164:165], v[166:167], 1.0
	v_fmac_f64_e32 v[166:167], v[166:167], v[170:171]
	v_fma_f64 v[170:171], -v[164:165], v[166:167], 1.0
	v_fmac_f64_e32 v[166:167], v[166:167], v[170:171]
	v_mul_f64 v[170:171], v[168:169], v[166:167]
	v_fma_f64 v[164:165], -v[164:165], v[170:171], v[168:169]
	v_div_fmas_f64 v[164:165], v[164:165], v[166:167], v[170:171]
	v_div_fixup_f64 v[164:165], v[164:165], v[148:149], v[150:151]
	v_fmac_f64_e32 v[148:149], v[150:151], v[164:165]
	v_div_scale_f64 v[150:151], s[18:19], v[148:149], v[148:149], 1.0
	v_rcp_f64_e32 v[166:167], v[150:151]
	s_nop 0
	v_fma_f64 v[168:169], -v[150:151], v[166:167], 1.0
	v_fmac_f64_e32 v[166:167], v[166:167], v[168:169]
	v_fma_f64 v[168:169], -v[150:151], v[166:167], 1.0
	v_fmac_f64_e32 v[166:167], v[166:167], v[168:169]
	v_div_scale_f64 v[168:169], vcc, 1.0, v[148:149], 1.0
	v_mul_f64 v[170:171], v[168:169], v[166:167]
	v_fma_f64 v[150:151], -v[150:151], v[170:171], v[168:169]
	s_nop 1
	v_div_fmas_f64 v[150:151], v[150:151], v[166:167], v[170:171]
	v_div_fixup_f64 v[148:149], v[150:151], v[148:149], 1.0
	v_mul_f64 v[150:151], v[164:165], -v[148:149]
.LBB72_702:
	s_or_b64 exec, exec, s[16:17]
.LBB72_703:
	s_or_b64 exec, exec, s[0:1]
	v_cmp_ne_u32_e32 vcc, v161, v158
	s_and_saveexec_b64 s[0:1], vcc
	s_xor_b64 s[0:1], exec, s[0:1]
	s_cbranch_execz .LBB72_709
; %bb.704:
	v_cmp_eq_u32_e32 vcc, 33, v161
	s_and_saveexec_b64 s[16:17], vcc
	s_cbranch_execz .LBB72_708
; %bb.705:
	v_cmp_ne_u32_e32 vcc, 33, v158
	s_xor_b64 s[18:19], s[14:15], -1
	s_and_b64 s[22:23], s[18:19], vcc
	s_and_saveexec_b64 s[18:19], s[22:23]
	s_cbranch_execz .LBB72_707
; %bb.706:
	v_ashrrev_i32_e32 v159, 31, v158
	v_lshl_add_u64 v[164:165], v[158:159], 2, v[156:157]
	global_load_dword v159, v[164:165], off
	global_load_dword v161, v[156:157], off offset:132
	s_waitcnt vmcnt(1)
	global_store_dword v[156:157], v159, off offset:132
	s_waitcnt vmcnt(1)
	global_store_dword v[164:165], v161, off
.LBB72_707:
	s_or_b64 exec, exec, s[18:19]
	v_mov_b32_e32 v161, v158
	v_mov_b32_e32 v163, v158
.LBB72_708:
	s_or_b64 exec, exec, s[16:17]
.LBB72_709:
	s_andn2_saveexec_b64 s[0:1], s[0:1]
	s_cbranch_execz .LBB72_711
; %bb.710:
	v_mov_b32_e32 v161, 33
	s_waitcnt vmcnt(2)
	ds_write2_b64 v160, v[4:5], v[6:7] offset0:68 offset1:69
	s_waitcnt vmcnt(1)
	ds_write2_b64 v160, v[0:1], v[2:3] offset0:70 offset1:71
	;; [unrolled: 2-line block ×3, first 2 shown]
.LBB72_711:
	s_or_b64 exec, exec, s[0:1]
	v_cmp_lt_i32_e32 vcc, 33, v161
	s_waitcnt lgkmcnt(0)
	s_barrier
	s_and_saveexec_b64 s[0:1], vcc
	s_cbranch_execz .LBB72_713
; %bb.712:
	ds_read2_b64 v[164:167], v160 offset0:68 offset1:69
	v_mul_f64 v[158:159], v[148:149], v[10:11]
	v_fmac_f64_e32 v[158:159], v[150:151], v[8:9]
	v_mul_f64 v[10:11], v[150:151], v[10:11]
	v_fma_f64 v[8:9], v[148:149], v[8:9], -v[10:11]
	ds_read2_b64 v[148:151], v160 offset0:70 offset1:71
	s_waitcnt lgkmcnt(1)
	v_mul_f64 v[10:11], v[166:167], v[158:159]
	v_fma_f64 v[10:11], v[164:165], v[8:9], -v[10:11]
	v_mul_f64 v[164:165], v[164:165], v[158:159]
	v_fmac_f64_e32 v[164:165], v[166:167], v[8:9]
	s_waitcnt vmcnt(2)
	v_add_f64 v[6:7], v[6:7], -v[164:165]
	ds_read2_b64 v[164:167], v160 offset0:72 offset1:73
	v_add_f64 v[4:5], v[4:5], -v[10:11]
	s_waitcnt lgkmcnt(1)
	v_mul_f64 v[10:11], v[150:151], v[158:159]
	v_fma_f64 v[10:11], v[148:149], v[8:9], -v[10:11]
	v_mul_f64 v[148:149], v[148:149], v[158:159]
	v_fmac_f64_e32 v[148:149], v[150:151], v[8:9]
	s_waitcnt vmcnt(1)
	v_add_f64 v[0:1], v[0:1], -v[10:11]
	v_add_f64 v[2:3], v[2:3], -v[148:149]
	s_waitcnt lgkmcnt(0)
	v_mul_f64 v[10:11], v[166:167], v[158:159]
	v_mul_f64 v[148:149], v[164:165], v[158:159]
	v_fma_f64 v[10:11], v[164:165], v[8:9], -v[10:11]
	v_fmac_f64_e32 v[148:149], v[166:167], v[8:9]
	s_waitcnt vmcnt(0)
	v_add_f64 v[144:145], v[144:145], -v[10:11]
	v_add_f64 v[146:147], v[146:147], -v[148:149]
	v_mov_b64_e32 v[10:11], v[158:159]
.LBB72_713:
	s_or_b64 exec, exec, s[0:1]
	v_lshl_add_u32 v148, v161, 4, v160
	s_barrier
	s_waitcnt vmcnt(2)
	ds_write2_b64 v148, v[4:5], v[6:7] offset1:1
	s_waitcnt lgkmcnt(0)
	s_barrier
	ds_read2_b64 v[148:151], v160 offset0:68 offset1:69
	s_cmp_lt_i32 s20, 36
	v_mov_b32_e32 v158, 34
	s_cbranch_scc1 .LBB72_716
; %bb.714:
	v_add_u32_e32 v159, 0x230, v160
	s_mov_b32 s16, 35
	v_mov_b32_e32 v158, 34
.LBB72_715:                             ; =>This Inner Loop Header: Depth=1
	ds_read2_b64 v[164:167], v159 offset1:1
	s_waitcnt lgkmcnt(1)
	v_xor_b32_e32 v169, 0x80000000, v149
	v_xor_b32_e32 v171, 0x80000000, v151
	v_cmp_gt_f64_e32 vcc, 0, v[150:151]
	v_cmp_gt_f64_e64 s[0:1], 0, v[148:149]
	v_mov_b32_e32 v168, v148
	v_mov_b32_e32 v170, v150
	v_cndmask_b32_e64 v169, v149, v169, s[0:1]
	v_cndmask_b32_e32 v171, v151, v171, vcc
	v_add_f64 v[168:169], v[168:169], v[170:171]
	s_waitcnt lgkmcnt(0)
	v_xor_b32_e32 v171, 0x80000000, v165
	v_xor_b32_e32 v173, 0x80000000, v167
	v_cmp_gt_f64_e32 vcc, 0, v[166:167]
	v_cmp_gt_f64_e64 s[0:1], 0, v[164:165]
	v_mov_b32_e32 v170, v164
	v_mov_b32_e32 v172, v166
	v_cndmask_b32_e64 v171, v165, v171, s[0:1]
	v_cndmask_b32_e32 v173, v167, v173, vcc
	v_add_f64 v[170:171], v[170:171], v[172:173]
	v_mov_b32_e32 v174, s16
	s_add_i32 s16, s16, 1
	v_cmp_lt_f64_e32 vcc, v[168:169], v[170:171]
	v_add_u32_e32 v159, 16, v159
	s_cmp_lg_u32 s20, s16
	v_cndmask_b32_e32 v149, v149, v165, vcc
	v_cndmask_b32_e32 v148, v148, v164, vcc
	;; [unrolled: 1-line block ×5, first 2 shown]
	s_cbranch_scc1 .LBB72_715
.LBB72_716:
	s_waitcnt lgkmcnt(0)
	v_cmp_eq_f64_e32 vcc, 0, v[148:149]
	v_cmp_eq_f64_e64 s[0:1], 0, v[150:151]
	s_and_b64 s[0:1], vcc, s[0:1]
	s_and_saveexec_b64 s[16:17], s[0:1]
	s_xor_b64 s[0:1], exec, s[16:17]
; %bb.717:
	v_cmp_ne_u32_e32 vcc, 0, v162
	s_nop 1
	v_cndmask_b32_e32 v162, 35, v162, vcc
; %bb.718:
	s_andn2_saveexec_b64 s[0:1], s[0:1]
	s_cbranch_execz .LBB72_724
; %bb.719:
	v_cmp_ngt_f64_e64 s[16:17], |v[148:149]|, |v[150:151]|
	s_and_saveexec_b64 s[18:19], s[16:17]
	s_xor_b64 s[16:17], exec, s[18:19]
	s_cbranch_execz .LBB72_721
; %bb.720:
	v_div_scale_f64 v[164:165], s[18:19], v[150:151], v[150:151], v[148:149]
	v_rcp_f64_e32 v[166:167], v[164:165]
	v_div_scale_f64 v[168:169], vcc, v[148:149], v[150:151], v[148:149]
	v_fma_f64 v[170:171], -v[164:165], v[166:167], 1.0
	v_fmac_f64_e32 v[166:167], v[166:167], v[170:171]
	v_fma_f64 v[170:171], -v[164:165], v[166:167], 1.0
	v_fmac_f64_e32 v[166:167], v[166:167], v[170:171]
	v_mul_f64 v[170:171], v[168:169], v[166:167]
	v_fma_f64 v[164:165], -v[164:165], v[170:171], v[168:169]
	v_div_fmas_f64 v[164:165], v[164:165], v[166:167], v[170:171]
	v_div_fixup_f64 v[164:165], v[164:165], v[150:151], v[148:149]
	v_fmac_f64_e32 v[150:151], v[148:149], v[164:165]
	v_div_scale_f64 v[148:149], s[18:19], v[150:151], v[150:151], 1.0
	v_rcp_f64_e32 v[166:167], v[148:149]
	s_nop 0
	v_fma_f64 v[168:169], -v[148:149], v[166:167], 1.0
	v_fmac_f64_e32 v[166:167], v[166:167], v[168:169]
	v_fma_f64 v[168:169], -v[148:149], v[166:167], 1.0
	v_fmac_f64_e32 v[166:167], v[166:167], v[168:169]
	v_div_scale_f64 v[168:169], vcc, 1.0, v[150:151], 1.0
	v_mul_f64 v[170:171], v[168:169], v[166:167]
	v_fma_f64 v[148:149], -v[148:149], v[170:171], v[168:169]
	s_nop 1
	v_div_fmas_f64 v[148:149], v[148:149], v[166:167], v[170:171]
	v_div_fixup_f64 v[150:151], v[148:149], v[150:151], 1.0
	v_mul_f64 v[148:149], v[164:165], v[150:151]
	v_xor_b32_e32 v151, 0x80000000, v151
.LBB72_721:
	s_andn2_saveexec_b64 s[16:17], s[16:17]
	s_cbranch_execz .LBB72_723
; %bb.722:
	v_div_scale_f64 v[164:165], s[18:19], v[148:149], v[148:149], v[150:151]
	v_rcp_f64_e32 v[166:167], v[164:165]
	v_div_scale_f64 v[168:169], vcc, v[150:151], v[148:149], v[150:151]
	v_fma_f64 v[170:171], -v[164:165], v[166:167], 1.0
	v_fmac_f64_e32 v[166:167], v[166:167], v[170:171]
	v_fma_f64 v[170:171], -v[164:165], v[166:167], 1.0
	v_fmac_f64_e32 v[166:167], v[166:167], v[170:171]
	v_mul_f64 v[170:171], v[168:169], v[166:167]
	v_fma_f64 v[164:165], -v[164:165], v[170:171], v[168:169]
	v_div_fmas_f64 v[164:165], v[164:165], v[166:167], v[170:171]
	v_div_fixup_f64 v[164:165], v[164:165], v[148:149], v[150:151]
	v_fmac_f64_e32 v[148:149], v[150:151], v[164:165]
	v_div_scale_f64 v[150:151], s[18:19], v[148:149], v[148:149], 1.0
	v_rcp_f64_e32 v[166:167], v[150:151]
	s_nop 0
	v_fma_f64 v[168:169], -v[150:151], v[166:167], 1.0
	v_fmac_f64_e32 v[166:167], v[166:167], v[168:169]
	v_fma_f64 v[168:169], -v[150:151], v[166:167], 1.0
	v_fmac_f64_e32 v[166:167], v[166:167], v[168:169]
	v_div_scale_f64 v[168:169], vcc, 1.0, v[148:149], 1.0
	v_mul_f64 v[170:171], v[168:169], v[166:167]
	v_fma_f64 v[150:151], -v[150:151], v[170:171], v[168:169]
	s_nop 1
	v_div_fmas_f64 v[150:151], v[150:151], v[166:167], v[170:171]
	v_div_fixup_f64 v[148:149], v[150:151], v[148:149], 1.0
	v_mul_f64 v[150:151], v[164:165], -v[148:149]
.LBB72_723:
	s_or_b64 exec, exec, s[16:17]
.LBB72_724:
	s_or_b64 exec, exec, s[0:1]
	v_cmp_ne_u32_e32 vcc, v161, v158
	s_and_saveexec_b64 s[0:1], vcc
	s_xor_b64 s[0:1], exec, s[0:1]
	s_cbranch_execz .LBB72_730
; %bb.725:
	v_cmp_eq_u32_e32 vcc, 34, v161
	s_and_saveexec_b64 s[16:17], vcc
	s_cbranch_execz .LBB72_729
; %bb.726:
	v_cmp_ne_u32_e32 vcc, 34, v158
	s_xor_b64 s[18:19], s[14:15], -1
	s_and_b64 s[22:23], s[18:19], vcc
	s_and_saveexec_b64 s[18:19], s[22:23]
	s_cbranch_execz .LBB72_728
; %bb.727:
	v_ashrrev_i32_e32 v159, 31, v158
	v_lshl_add_u64 v[164:165], v[158:159], 2, v[156:157]
	global_load_dword v159, v[164:165], off
	global_load_dword v161, v[156:157], off offset:136
	s_waitcnt vmcnt(1)
	global_store_dword v[156:157], v159, off offset:136
	s_waitcnt vmcnt(1)
	global_store_dword v[164:165], v161, off
.LBB72_728:
	s_or_b64 exec, exec, s[18:19]
	v_mov_b32_e32 v161, v158
	v_mov_b32_e32 v163, v158
.LBB72_729:
	s_or_b64 exec, exec, s[16:17]
.LBB72_730:
	s_andn2_saveexec_b64 s[0:1], s[0:1]
	s_cbranch_execz .LBB72_732
; %bb.731:
	v_mov_b32_e32 v161, 34
	s_waitcnt vmcnt(1)
	ds_write2_b64 v160, v[0:1], v[2:3] offset0:70 offset1:71
	s_waitcnt vmcnt(0)
	ds_write2_b64 v160, v[144:145], v[146:147] offset0:72 offset1:73
.LBB72_732:
	s_or_b64 exec, exec, s[0:1]
	v_cmp_lt_i32_e32 vcc, 34, v161
	s_waitcnt lgkmcnt(0)
	s_barrier
	s_and_saveexec_b64 s[0:1], vcc
	s_cbranch_execz .LBB72_734
; %bb.733:
	ds_read2_b64 v[164:167], v160 offset0:70 offset1:71
	v_mul_f64 v[158:159], v[148:149], v[6:7]
	v_mul_f64 v[6:7], v[150:151], v[6:7]
	v_fmac_f64_e32 v[158:159], v[150:151], v[4:5]
	v_fma_f64 v[4:5], v[148:149], v[4:5], -v[6:7]
	ds_read2_b64 v[148:151], v160 offset0:72 offset1:73
	s_waitcnt lgkmcnt(1)
	v_mul_f64 v[6:7], v[166:167], v[158:159]
	v_fma_f64 v[6:7], v[164:165], v[4:5], -v[6:7]
	s_waitcnt vmcnt(1)
	v_add_f64 v[0:1], v[0:1], -v[6:7]
	v_mul_f64 v[164:165], v[164:165], v[158:159]
	s_waitcnt lgkmcnt(0)
	v_mul_f64 v[6:7], v[150:151], v[158:159]
	v_fma_f64 v[6:7], v[148:149], v[4:5], -v[6:7]
	v_mul_f64 v[148:149], v[148:149], v[158:159]
	v_fmac_f64_e32 v[164:165], v[166:167], v[4:5]
	v_fmac_f64_e32 v[148:149], v[150:151], v[4:5]
	v_add_f64 v[2:3], v[2:3], -v[164:165]
	s_waitcnt vmcnt(0)
	v_add_f64 v[144:145], v[144:145], -v[6:7]
	v_add_f64 v[146:147], v[146:147], -v[148:149]
	v_mov_b64_e32 v[6:7], v[158:159]
.LBB72_734:
	s_or_b64 exec, exec, s[0:1]
	v_lshl_add_u32 v148, v161, 4, v160
	s_barrier
	s_waitcnt vmcnt(1)
	ds_write2_b64 v148, v[0:1], v[2:3] offset1:1
	s_waitcnt lgkmcnt(0)
	s_barrier
	ds_read2_b64 v[148:151], v160 offset0:70 offset1:71
	s_cmp_lt_i32 s20, 37
	v_mov_b32_e32 v158, 35
	s_cbranch_scc1 .LBB72_737
; %bb.735:
	v_add_u32_e32 v159, 0x240, v160
	s_mov_b32 s16, 36
	v_mov_b32_e32 v158, 35
.LBB72_736:                             ; =>This Inner Loop Header: Depth=1
	ds_read2_b64 v[164:167], v159 offset1:1
	s_waitcnt lgkmcnt(1)
	v_xor_b32_e32 v169, 0x80000000, v149
	v_xor_b32_e32 v171, 0x80000000, v151
	v_cmp_gt_f64_e32 vcc, 0, v[150:151]
	v_cmp_gt_f64_e64 s[0:1], 0, v[148:149]
	v_mov_b32_e32 v168, v148
	v_mov_b32_e32 v170, v150
	v_cndmask_b32_e64 v169, v149, v169, s[0:1]
	v_cndmask_b32_e32 v171, v151, v171, vcc
	v_add_f64 v[168:169], v[168:169], v[170:171]
	s_waitcnt lgkmcnt(0)
	v_xor_b32_e32 v171, 0x80000000, v165
	v_xor_b32_e32 v173, 0x80000000, v167
	v_cmp_gt_f64_e32 vcc, 0, v[166:167]
	v_cmp_gt_f64_e64 s[0:1], 0, v[164:165]
	v_mov_b32_e32 v170, v164
	v_mov_b32_e32 v172, v166
	v_cndmask_b32_e64 v171, v165, v171, s[0:1]
	v_cndmask_b32_e32 v173, v167, v173, vcc
	v_add_f64 v[170:171], v[170:171], v[172:173]
	v_mov_b32_e32 v174, s16
	s_add_i32 s16, s16, 1
	v_cmp_lt_f64_e32 vcc, v[168:169], v[170:171]
	v_add_u32_e32 v159, 16, v159
	s_cmp_lg_u32 s20, s16
	v_cndmask_b32_e32 v149, v149, v165, vcc
	v_cndmask_b32_e32 v148, v148, v164, vcc
	;; [unrolled: 1-line block ×5, first 2 shown]
	s_cbranch_scc1 .LBB72_736
.LBB72_737:
	s_waitcnt lgkmcnt(0)
	v_cmp_eq_f64_e32 vcc, 0, v[148:149]
	v_cmp_eq_f64_e64 s[0:1], 0, v[150:151]
	s_and_b64 s[0:1], vcc, s[0:1]
	s_and_saveexec_b64 s[16:17], s[0:1]
	s_xor_b64 s[0:1], exec, s[16:17]
; %bb.738:
	v_cmp_ne_u32_e32 vcc, 0, v162
	s_nop 1
	v_cndmask_b32_e32 v162, 36, v162, vcc
; %bb.739:
	s_andn2_saveexec_b64 s[0:1], s[0:1]
	s_cbranch_execz .LBB72_745
; %bb.740:
	v_cmp_ngt_f64_e64 s[16:17], |v[148:149]|, |v[150:151]|
	s_and_saveexec_b64 s[18:19], s[16:17]
	s_xor_b64 s[16:17], exec, s[18:19]
	s_cbranch_execz .LBB72_742
; %bb.741:
	v_div_scale_f64 v[164:165], s[18:19], v[150:151], v[150:151], v[148:149]
	v_rcp_f64_e32 v[166:167], v[164:165]
	v_div_scale_f64 v[168:169], vcc, v[148:149], v[150:151], v[148:149]
	v_fma_f64 v[170:171], -v[164:165], v[166:167], 1.0
	v_fmac_f64_e32 v[166:167], v[166:167], v[170:171]
	v_fma_f64 v[170:171], -v[164:165], v[166:167], 1.0
	v_fmac_f64_e32 v[166:167], v[166:167], v[170:171]
	v_mul_f64 v[170:171], v[168:169], v[166:167]
	v_fma_f64 v[164:165], -v[164:165], v[170:171], v[168:169]
	v_div_fmas_f64 v[164:165], v[164:165], v[166:167], v[170:171]
	v_div_fixup_f64 v[164:165], v[164:165], v[150:151], v[148:149]
	v_fmac_f64_e32 v[150:151], v[148:149], v[164:165]
	v_div_scale_f64 v[148:149], s[18:19], v[150:151], v[150:151], 1.0
	v_rcp_f64_e32 v[166:167], v[148:149]
	s_nop 0
	v_fma_f64 v[168:169], -v[148:149], v[166:167], 1.0
	v_fmac_f64_e32 v[166:167], v[166:167], v[168:169]
	v_fma_f64 v[168:169], -v[148:149], v[166:167], 1.0
	v_fmac_f64_e32 v[166:167], v[166:167], v[168:169]
	v_div_scale_f64 v[168:169], vcc, 1.0, v[150:151], 1.0
	v_mul_f64 v[170:171], v[168:169], v[166:167]
	v_fma_f64 v[148:149], -v[148:149], v[170:171], v[168:169]
	s_nop 1
	v_div_fmas_f64 v[148:149], v[148:149], v[166:167], v[170:171]
	v_div_fixup_f64 v[150:151], v[148:149], v[150:151], 1.0
	v_mul_f64 v[148:149], v[164:165], v[150:151]
	v_xor_b32_e32 v151, 0x80000000, v151
.LBB72_742:
	s_andn2_saveexec_b64 s[16:17], s[16:17]
	s_cbranch_execz .LBB72_744
; %bb.743:
	v_div_scale_f64 v[164:165], s[18:19], v[148:149], v[148:149], v[150:151]
	v_rcp_f64_e32 v[166:167], v[164:165]
	v_div_scale_f64 v[168:169], vcc, v[150:151], v[148:149], v[150:151]
	v_fma_f64 v[170:171], -v[164:165], v[166:167], 1.0
	v_fmac_f64_e32 v[166:167], v[166:167], v[170:171]
	v_fma_f64 v[170:171], -v[164:165], v[166:167], 1.0
	v_fmac_f64_e32 v[166:167], v[166:167], v[170:171]
	v_mul_f64 v[170:171], v[168:169], v[166:167]
	v_fma_f64 v[164:165], -v[164:165], v[170:171], v[168:169]
	v_div_fmas_f64 v[164:165], v[164:165], v[166:167], v[170:171]
	v_div_fixup_f64 v[164:165], v[164:165], v[148:149], v[150:151]
	v_fmac_f64_e32 v[148:149], v[150:151], v[164:165]
	v_div_scale_f64 v[150:151], s[18:19], v[148:149], v[148:149], 1.0
	v_rcp_f64_e32 v[166:167], v[150:151]
	s_nop 0
	v_fma_f64 v[168:169], -v[150:151], v[166:167], 1.0
	v_fmac_f64_e32 v[166:167], v[166:167], v[168:169]
	v_fma_f64 v[168:169], -v[150:151], v[166:167], 1.0
	v_fmac_f64_e32 v[166:167], v[166:167], v[168:169]
	v_div_scale_f64 v[168:169], vcc, 1.0, v[148:149], 1.0
	v_mul_f64 v[170:171], v[168:169], v[166:167]
	v_fma_f64 v[150:151], -v[150:151], v[170:171], v[168:169]
	s_nop 1
	v_div_fmas_f64 v[150:151], v[150:151], v[166:167], v[170:171]
	v_div_fixup_f64 v[148:149], v[150:151], v[148:149], 1.0
	v_mul_f64 v[150:151], v[164:165], -v[148:149]
.LBB72_744:
	s_or_b64 exec, exec, s[16:17]
.LBB72_745:
	s_or_b64 exec, exec, s[0:1]
	v_cmp_ne_u32_e32 vcc, v161, v158
	s_and_saveexec_b64 s[0:1], vcc
	s_xor_b64 s[0:1], exec, s[0:1]
	s_cbranch_execz .LBB72_751
; %bb.746:
	v_cmp_eq_u32_e32 vcc, 35, v161
	s_and_saveexec_b64 s[16:17], vcc
	s_cbranch_execz .LBB72_750
; %bb.747:
	v_cmp_ne_u32_e32 vcc, 35, v158
	s_xor_b64 s[18:19], s[14:15], -1
	s_and_b64 s[22:23], s[18:19], vcc
	s_and_saveexec_b64 s[18:19], s[22:23]
	s_cbranch_execz .LBB72_749
; %bb.748:
	v_ashrrev_i32_e32 v159, 31, v158
	v_lshl_add_u64 v[164:165], v[158:159], 2, v[156:157]
	global_load_dword v159, v[164:165], off
	global_load_dword v161, v[156:157], off offset:140
	s_waitcnt vmcnt(1)
	global_store_dword v[156:157], v159, off offset:140
	s_waitcnt vmcnt(1)
	global_store_dword v[164:165], v161, off
.LBB72_749:
	s_or_b64 exec, exec, s[18:19]
	v_mov_b32_e32 v161, v158
	v_mov_b32_e32 v163, v158
.LBB72_750:
	s_or_b64 exec, exec, s[16:17]
.LBB72_751:
	s_andn2_saveexec_b64 s[0:1], s[0:1]
	s_cbranch_execz .LBB72_753
; %bb.752:
	v_mov_b32_e32 v161, 35
	s_waitcnt vmcnt(0)
	ds_write2_b64 v160, v[144:145], v[146:147] offset0:72 offset1:73
.LBB72_753:
	s_or_b64 exec, exec, s[0:1]
	v_cmp_lt_i32_e32 vcc, 35, v161
	s_waitcnt lgkmcnt(0)
	s_barrier
	s_and_saveexec_b64 s[0:1], vcc
	s_cbranch_execz .LBB72_755
; %bb.754:
	ds_read2_b64 v[164:167], v160 offset0:72 offset1:73
	v_mul_f64 v[158:159], v[148:149], v[2:3]
	v_mul_f64 v[2:3], v[150:151], v[2:3]
	v_fmac_f64_e32 v[158:159], v[150:151], v[0:1]
	v_fma_f64 v[0:1], v[148:149], v[0:1], -v[2:3]
	s_waitcnt lgkmcnt(0)
	v_mul_f64 v[2:3], v[166:167], v[158:159]
	v_mul_f64 v[148:149], v[164:165], v[158:159]
	v_fma_f64 v[2:3], v[164:165], v[0:1], -v[2:3]
	v_fmac_f64_e32 v[148:149], v[166:167], v[0:1]
	s_waitcnt vmcnt(0)
	v_add_f64 v[144:145], v[144:145], -v[2:3]
	v_add_f64 v[146:147], v[146:147], -v[148:149]
	v_mov_b64_e32 v[2:3], v[158:159]
.LBB72_755:
	s_or_b64 exec, exec, s[0:1]
	v_lshl_add_u32 v148, v161, 4, v160
	s_barrier
	s_waitcnt vmcnt(0)
	ds_write2_b64 v148, v[144:145], v[146:147] offset1:1
	s_waitcnt lgkmcnt(0)
	s_barrier
	ds_read2_b64 v[148:151], v160 offset0:72 offset1:73
	s_cmp_lt_i32 s20, 38
	v_mov_b32_e32 v158, 36
	s_cbranch_scc1 .LBB72_758
; %bb.756:
	v_add_u32_e32 v159, 0x250, v160
	s_mov_b32 s16, 37
	v_mov_b32_e32 v158, 36
.LBB72_757:                             ; =>This Inner Loop Header: Depth=1
	ds_read2_b64 v[164:167], v159 offset1:1
	s_waitcnt lgkmcnt(1)
	v_xor_b32_e32 v160, 0x80000000, v149
	v_xor_b32_e32 v171, 0x80000000, v151
	v_cmp_gt_f64_e32 vcc, 0, v[150:151]
	v_cmp_gt_f64_e64 s[0:1], 0, v[148:149]
	v_mov_b32_e32 v168, v148
	v_mov_b32_e32 v170, v150
	v_cndmask_b32_e64 v169, v149, v160, s[0:1]
	v_cndmask_b32_e32 v171, v151, v171, vcc
	s_waitcnt lgkmcnt(0)
	v_xor_b32_e32 v160, 0x80000000, v165
	v_xor_b32_e32 v173, 0x80000000, v167
	v_cmp_gt_f64_e32 vcc, 0, v[166:167]
	v_cmp_gt_f64_e64 s[0:1], 0, v[164:165]
	v_add_f64 v[168:169], v[168:169], v[170:171]
	v_mov_b32_e32 v170, v164
	v_mov_b32_e32 v172, v166
	v_cndmask_b32_e64 v171, v165, v160, s[0:1]
	v_cndmask_b32_e32 v173, v167, v173, vcc
	v_add_f64 v[170:171], v[170:171], v[172:173]
	v_mov_b32_e32 v174, s16
	s_add_i32 s16, s16, 1
	v_cmp_lt_f64_e32 vcc, v[168:169], v[170:171]
	v_add_u32_e32 v159, 16, v159
	s_cmp_lg_u32 s20, s16
	v_cndmask_b32_e32 v149, v149, v165, vcc
	v_cndmask_b32_e32 v148, v148, v164, vcc
	;; [unrolled: 1-line block ×5, first 2 shown]
	s_cbranch_scc1 .LBB72_757
.LBB72_758:
	s_waitcnt lgkmcnt(0)
	v_cmp_eq_f64_e32 vcc, 0, v[148:149]
	v_cmp_eq_f64_e64 s[0:1], 0, v[150:151]
	s_and_b64 s[0:1], vcc, s[0:1]
	s_and_saveexec_b64 s[16:17], s[0:1]
	s_xor_b64 s[0:1], exec, s[16:17]
; %bb.759:
	v_cmp_ne_u32_e32 vcc, 0, v162
	s_nop 1
	v_cndmask_b32_e32 v162, 37, v162, vcc
; %bb.760:
	s_andn2_saveexec_b64 s[0:1], s[0:1]
	s_cbranch_execz .LBB72_766
; %bb.761:
	v_cmp_ngt_f64_e64 s[16:17], |v[148:149]|, |v[150:151]|
	s_and_saveexec_b64 s[18:19], s[16:17]
	s_xor_b64 s[16:17], exec, s[18:19]
	s_cbranch_execz .LBB72_763
; %bb.762:
	v_div_scale_f64 v[164:165], s[18:19], v[150:151], v[150:151], v[148:149]
	v_rcp_f64_e32 v[166:167], v[164:165]
	v_div_scale_f64 v[168:169], vcc, v[148:149], v[150:151], v[148:149]
	v_fma_f64 v[170:171], -v[164:165], v[166:167], 1.0
	v_fmac_f64_e32 v[166:167], v[166:167], v[170:171]
	v_fma_f64 v[170:171], -v[164:165], v[166:167], 1.0
	v_fmac_f64_e32 v[166:167], v[166:167], v[170:171]
	v_mul_f64 v[170:171], v[168:169], v[166:167]
	v_fma_f64 v[164:165], -v[164:165], v[170:171], v[168:169]
	v_div_fmas_f64 v[164:165], v[164:165], v[166:167], v[170:171]
	v_div_fixup_f64 v[164:165], v[164:165], v[150:151], v[148:149]
	v_fmac_f64_e32 v[150:151], v[148:149], v[164:165]
	v_div_scale_f64 v[148:149], s[18:19], v[150:151], v[150:151], 1.0
	v_rcp_f64_e32 v[166:167], v[148:149]
	s_nop 0
	v_fma_f64 v[168:169], -v[148:149], v[166:167], 1.0
	v_fmac_f64_e32 v[166:167], v[166:167], v[168:169]
	v_fma_f64 v[168:169], -v[148:149], v[166:167], 1.0
	v_fmac_f64_e32 v[166:167], v[166:167], v[168:169]
	v_div_scale_f64 v[168:169], vcc, 1.0, v[150:151], 1.0
	v_mul_f64 v[170:171], v[168:169], v[166:167]
	v_fma_f64 v[148:149], -v[148:149], v[170:171], v[168:169]
	s_nop 1
	v_div_fmas_f64 v[148:149], v[148:149], v[166:167], v[170:171]
	v_div_fixup_f64 v[150:151], v[148:149], v[150:151], 1.0
	v_mul_f64 v[148:149], v[164:165], v[150:151]
	v_xor_b32_e32 v151, 0x80000000, v151
.LBB72_763:
	s_andn2_saveexec_b64 s[16:17], s[16:17]
	s_cbranch_execz .LBB72_765
; %bb.764:
	v_div_scale_f64 v[164:165], s[18:19], v[148:149], v[148:149], v[150:151]
	v_rcp_f64_e32 v[166:167], v[164:165]
	v_div_scale_f64 v[168:169], vcc, v[150:151], v[148:149], v[150:151]
	v_fma_f64 v[170:171], -v[164:165], v[166:167], 1.0
	v_fmac_f64_e32 v[166:167], v[166:167], v[170:171]
	v_fma_f64 v[170:171], -v[164:165], v[166:167], 1.0
	v_fmac_f64_e32 v[166:167], v[166:167], v[170:171]
	v_mul_f64 v[170:171], v[168:169], v[166:167]
	v_fma_f64 v[164:165], -v[164:165], v[170:171], v[168:169]
	v_div_fmas_f64 v[164:165], v[164:165], v[166:167], v[170:171]
	v_div_fixup_f64 v[164:165], v[164:165], v[148:149], v[150:151]
	v_fmac_f64_e32 v[148:149], v[150:151], v[164:165]
	v_div_scale_f64 v[150:151], s[18:19], v[148:149], v[148:149], 1.0
	v_rcp_f64_e32 v[166:167], v[150:151]
	s_nop 0
	v_fma_f64 v[168:169], -v[150:151], v[166:167], 1.0
	v_fmac_f64_e32 v[166:167], v[166:167], v[168:169]
	v_fma_f64 v[168:169], -v[150:151], v[166:167], 1.0
	v_fmac_f64_e32 v[166:167], v[166:167], v[168:169]
	v_div_scale_f64 v[168:169], vcc, 1.0, v[148:149], 1.0
	v_mul_f64 v[170:171], v[168:169], v[166:167]
	v_fma_f64 v[150:151], -v[150:151], v[170:171], v[168:169]
	s_nop 1
	v_div_fmas_f64 v[150:151], v[150:151], v[166:167], v[170:171]
	v_div_fixup_f64 v[148:149], v[150:151], v[148:149], 1.0
	v_mul_f64 v[150:151], v[164:165], -v[148:149]
.LBB72_765:
	s_or_b64 exec, exec, s[16:17]
.LBB72_766:
	s_or_b64 exec, exec, s[0:1]
	v_cmp_ne_u32_e32 vcc, v161, v158
	v_mov_b32_e32 v160, 36
	s_and_saveexec_b64 s[0:1], vcc
	s_cbranch_execz .LBB72_772
; %bb.767:
	v_cmp_eq_u32_e32 vcc, 36, v161
	s_and_saveexec_b64 s[16:17], vcc
	s_cbranch_execz .LBB72_771
; %bb.768:
	v_cmp_ne_u32_e32 vcc, 36, v158
	s_xor_b64 s[14:15], s[14:15], -1
	s_and_b64 s[18:19], s[14:15], vcc
	s_and_saveexec_b64 s[14:15], s[18:19]
	s_cbranch_execz .LBB72_770
; %bb.769:
	v_ashrrev_i32_e32 v159, 31, v158
	v_lshl_add_u64 v[160:161], v[158:159], 2, v[156:157]
	global_load_dword v159, v[160:161], off
	global_load_dword v163, v[156:157], off offset:144
	s_waitcnt vmcnt(1)
	global_store_dword v[156:157], v159, off offset:144
	s_waitcnt vmcnt(1)
	global_store_dword v[160:161], v163, off
.LBB72_770:
	s_or_b64 exec, exec, s[14:15]
	v_mov_b32_e32 v161, v158
	v_mov_b32_e32 v163, v158
.LBB72_771:
	s_or_b64 exec, exec, s[16:17]
	v_mov_b32_e32 v160, v161
.LBB72_772:
	s_or_b64 exec, exec, s[0:1]
	v_cmp_gt_i32_e32 vcc, 37, v160
	v_ashrrev_i32_e32 v161, 31, v160
	s_barrier
	s_barrier
	s_and_saveexec_b64 s[0:1], vcc
	s_cbranch_execz .LBB72_774
; %bb.773:
	v_mov_b32_e32 v156, s6
	v_mov_b32_e32 v157, s7
	v_mul_lo_u32 v164, s11, v154
	v_mul_lo_u32 v165, s10, v155
	v_mad_u64_u32 v[158:159], s[6:7], s10, v154, 0
	v_add3_u32 v159, v159, v165, v164
	v_lshl_add_u64 v[156:157], v[158:159], 2, v[156:157]
	v_lshl_add_u64 v[156:157], s[8:9], 2, v[156:157]
	;; [unrolled: 1-line block ×3, first 2 shown]
	v_add3_u32 v158, v163, s13, 1
	global_store_dword v[156:157], v158, off
.LBB72_774:
	s_or_b64 exec, exec, s[0:1]
	v_cmp_eq_u32_e32 vcc, 0, v160
	s_and_saveexec_b64 s[6:7], vcc
	s_cbranch_execz .LBB72_777
; %bb.775:
	v_mov_b32_e32 v156, s4
	v_mov_b32_e32 v157, s5
	v_lshl_add_u64 v[154:155], v[154:155], 2, v[156:157]
	global_load_dword v156, v[154:155], off
	v_cmp_ne_u32_e64 s[0:1], 0, v162
	s_waitcnt vmcnt(0)
	v_cmp_eq_u32_e32 vcc, 0, v156
	s_and_b64 s[0:1], vcc, s[0:1]
	s_and_b64 exec, exec, s[0:1]
	s_cbranch_execz .LBB72_777
; %bb.776:
	v_add_u32_e32 v156, s13, v162
	global_store_dword v[154:155], v156, off
.LBB72_777:
	s_or_b64 exec, exec, s[6:7]
	v_mul_f64 v[154:155], v[150:151], v[146:147]
	v_fma_f64 v[154:155], v[148:149], v[144:145], -v[154:155]
	v_mul_f64 v[148:149], v[148:149], v[146:147]
	v_fmac_f64_e32 v[148:149], v[150:151], v[144:145]
	v_cmp_lt_i32_e32 vcc, 36, v160
	s_nop 1
	v_cndmask_b32_e32 v147, v147, v149, vcc
	v_cndmask_b32_e32 v146, v146, v148, vcc
	v_lshl_add_u64 v[148:149], v[160:161], 4, v[152:153]
	global_store_dwordx4 v[148:149], v[96:99], off
	v_cndmask_b32_e32 v145, v145, v155, vcc
	v_cndmask_b32_e32 v144, v144, v154, vcc
	v_lshl_add_u64 v[96:97], s[2:3], 4, v[148:149]
	global_store_dwordx4 v[96:97], v[92:95], off
	s_nop 1
	v_add_u32_e32 v92, s12, v160
	v_ashrrev_i32_e32 v93, 31, v92
	v_lshl_add_u64 v[94:95], v[92:93], 4, v[152:153]
	v_add_u32_e32 v92, s2, v92
	v_ashrrev_i32_e32 v93, 31, v92
	global_store_dwordx4 v[94:95], v[140:143], off
	v_lshl_add_u64 v[94:95], v[92:93], 4, v[152:153]
	v_add_u32_e32 v92, s2, v92
	v_ashrrev_i32_e32 v93, 31, v92
	global_store_dwordx4 v[94:95], v[136:139], off
	;; [unrolled: 4-line block ×11, first 2 shown]
	v_lshl_add_u64 v[94:95], v[92:93], 4, v[152:153]
	global_store_dwordx4 v[94:95], v[88:91], off
	s_nop 1
	v_add_u32_e32 v88, s2, v92
	v_ashrrev_i32_e32 v89, 31, v88
	v_lshl_add_u64 v[90:91], v[88:89], 4, v[152:153]
	global_store_dwordx4 v[90:91], v[84:87], off
	s_nop 1
	v_add_u32_e32 v84, s2, v88
	v_ashrrev_i32_e32 v85, 31, v84
	;; [unrolled: 5-line block ×23, first 2 shown]
	v_lshl_add_u64 v[0:1], v[0:1], 4, v[152:153]
	global_store_dwordx4 v[0:1], v[144:147], off
.LBB72_778:
	s_endpgm
	.section	.rodata,"a",@progbits
	.p2align	6, 0x0
	.amdhsa_kernel _ZN9rocsolver6v33100L18getf2_small_kernelILi37E19rocblas_complex_numIdEiiPS3_EEvT1_T3_lS5_lPS5_llPT2_S5_S5_S7_l
		.amdhsa_group_segment_fixed_size 0
		.amdhsa_private_segment_fixed_size 0
		.amdhsa_kernarg_size 352
		.amdhsa_user_sgpr_count 2
		.amdhsa_user_sgpr_dispatch_ptr 0
		.amdhsa_user_sgpr_queue_ptr 0
		.amdhsa_user_sgpr_kernarg_segment_ptr 1
		.amdhsa_user_sgpr_dispatch_id 0
		.amdhsa_user_sgpr_kernarg_preload_length 0
		.amdhsa_user_sgpr_kernarg_preload_offset 0
		.amdhsa_user_sgpr_private_segment_size 0
		.amdhsa_uses_dynamic_stack 0
		.amdhsa_enable_private_segment 0
		.amdhsa_system_sgpr_workgroup_id_x 1
		.amdhsa_system_sgpr_workgroup_id_y 1
		.amdhsa_system_sgpr_workgroup_id_z 0
		.amdhsa_system_sgpr_workgroup_info 0
		.amdhsa_system_vgpr_workitem_id 1
		.amdhsa_next_free_vgpr 180
		.amdhsa_next_free_sgpr 24
		.amdhsa_accum_offset 180
		.amdhsa_reserve_vcc 1
		.amdhsa_float_round_mode_32 0
		.amdhsa_float_round_mode_16_64 0
		.amdhsa_float_denorm_mode_32 3
		.amdhsa_float_denorm_mode_16_64 3
		.amdhsa_dx10_clamp 1
		.amdhsa_ieee_mode 1
		.amdhsa_fp16_overflow 0
		.amdhsa_tg_split 0
		.amdhsa_exception_fp_ieee_invalid_op 0
		.amdhsa_exception_fp_denorm_src 0
		.amdhsa_exception_fp_ieee_div_zero 0
		.amdhsa_exception_fp_ieee_overflow 0
		.amdhsa_exception_fp_ieee_underflow 0
		.amdhsa_exception_fp_ieee_inexact 0
		.amdhsa_exception_int_div_zero 0
	.end_amdhsa_kernel
	.section	.text._ZN9rocsolver6v33100L18getf2_small_kernelILi37E19rocblas_complex_numIdEiiPS3_EEvT1_T3_lS5_lPS5_llPT2_S5_S5_S7_l,"axG",@progbits,_ZN9rocsolver6v33100L18getf2_small_kernelILi37E19rocblas_complex_numIdEiiPS3_EEvT1_T3_lS5_lPS5_llPT2_S5_S5_S7_l,comdat
.Lfunc_end72:
	.size	_ZN9rocsolver6v33100L18getf2_small_kernelILi37E19rocblas_complex_numIdEiiPS3_EEvT1_T3_lS5_lPS5_llPT2_S5_S5_S7_l, .Lfunc_end72-_ZN9rocsolver6v33100L18getf2_small_kernelILi37E19rocblas_complex_numIdEiiPS3_EEvT1_T3_lS5_lPS5_llPT2_S5_S5_S7_l
                                        ; -- End function
	.set _ZN9rocsolver6v33100L18getf2_small_kernelILi37E19rocblas_complex_numIdEiiPS3_EEvT1_T3_lS5_lPS5_llPT2_S5_S5_S7_l.num_vgpr, 180
	.set _ZN9rocsolver6v33100L18getf2_small_kernelILi37E19rocblas_complex_numIdEiiPS3_EEvT1_T3_lS5_lPS5_llPT2_S5_S5_S7_l.num_agpr, 0
	.set _ZN9rocsolver6v33100L18getf2_small_kernelILi37E19rocblas_complex_numIdEiiPS3_EEvT1_T3_lS5_lPS5_llPT2_S5_S5_S7_l.numbered_sgpr, 24
	.set _ZN9rocsolver6v33100L18getf2_small_kernelILi37E19rocblas_complex_numIdEiiPS3_EEvT1_T3_lS5_lPS5_llPT2_S5_S5_S7_l.num_named_barrier, 0
	.set _ZN9rocsolver6v33100L18getf2_small_kernelILi37E19rocblas_complex_numIdEiiPS3_EEvT1_T3_lS5_lPS5_llPT2_S5_S5_S7_l.private_seg_size, 0
	.set _ZN9rocsolver6v33100L18getf2_small_kernelILi37E19rocblas_complex_numIdEiiPS3_EEvT1_T3_lS5_lPS5_llPT2_S5_S5_S7_l.uses_vcc, 1
	.set _ZN9rocsolver6v33100L18getf2_small_kernelILi37E19rocblas_complex_numIdEiiPS3_EEvT1_T3_lS5_lPS5_llPT2_S5_S5_S7_l.uses_flat_scratch, 0
	.set _ZN9rocsolver6v33100L18getf2_small_kernelILi37E19rocblas_complex_numIdEiiPS3_EEvT1_T3_lS5_lPS5_llPT2_S5_S5_S7_l.has_dyn_sized_stack, 0
	.set _ZN9rocsolver6v33100L18getf2_small_kernelILi37E19rocblas_complex_numIdEiiPS3_EEvT1_T3_lS5_lPS5_llPT2_S5_S5_S7_l.has_recursion, 0
	.set _ZN9rocsolver6v33100L18getf2_small_kernelILi37E19rocblas_complex_numIdEiiPS3_EEvT1_T3_lS5_lPS5_llPT2_S5_S5_S7_l.has_indirect_call, 0
	.section	.AMDGPU.csdata,"",@progbits
; Kernel info:
; codeLenInByte = 82200
; TotalNumSgprs: 30
; NumVgprs: 180
; NumAgprs: 0
; TotalNumVgprs: 180
; ScratchSize: 0
; MemoryBound: 0
; FloatMode: 240
; IeeeMode: 1
; LDSByteSize: 0 bytes/workgroup (compile time only)
; SGPRBlocks: 3
; VGPRBlocks: 22
; NumSGPRsForWavesPerEU: 30
; NumVGPRsForWavesPerEU: 180
; AccumOffset: 180
; Occupancy: 2
; WaveLimiterHint : 0
; COMPUTE_PGM_RSRC2:SCRATCH_EN: 0
; COMPUTE_PGM_RSRC2:USER_SGPR: 2
; COMPUTE_PGM_RSRC2:TRAP_HANDLER: 0
; COMPUTE_PGM_RSRC2:TGID_X_EN: 1
; COMPUTE_PGM_RSRC2:TGID_Y_EN: 1
; COMPUTE_PGM_RSRC2:TGID_Z_EN: 0
; COMPUTE_PGM_RSRC2:TIDIG_COMP_CNT: 1
; COMPUTE_PGM_RSRC3_GFX90A:ACCUM_OFFSET: 44
; COMPUTE_PGM_RSRC3_GFX90A:TG_SPLIT: 0
	.section	.text._ZN9rocsolver6v33100L23getf2_npvt_small_kernelILi37E19rocblas_complex_numIdEiiPS3_EEvT1_T3_lS5_lPT2_S5_S5_,"axG",@progbits,_ZN9rocsolver6v33100L23getf2_npvt_small_kernelILi37E19rocblas_complex_numIdEiiPS3_EEvT1_T3_lS5_lPT2_S5_S5_,comdat
	.globl	_ZN9rocsolver6v33100L23getf2_npvt_small_kernelILi37E19rocblas_complex_numIdEiiPS3_EEvT1_T3_lS5_lPT2_S5_S5_ ; -- Begin function _ZN9rocsolver6v33100L23getf2_npvt_small_kernelILi37E19rocblas_complex_numIdEiiPS3_EEvT1_T3_lS5_lPT2_S5_S5_
	.p2align	8
	.type	_ZN9rocsolver6v33100L23getf2_npvt_small_kernelILi37E19rocblas_complex_numIdEiiPS3_EEvT1_T3_lS5_lPT2_S5_S5_,@function
_ZN9rocsolver6v33100L23getf2_npvt_small_kernelILi37E19rocblas_complex_numIdEiiPS3_EEvT1_T3_lS5_lPT2_S5_S5_: ; @_ZN9rocsolver6v33100L23getf2_npvt_small_kernelILi37E19rocblas_complex_numIdEiiPS3_EEvT1_T3_lS5_lPT2_S5_S5_
; %bb.0:
	s_load_dword s2, s[0:1], 0x44
	s_load_dwordx2 s[8:9], s[0:1], 0x30
	v_bfe_u32 v148, v0, 10, 10
	s_waitcnt lgkmcnt(0)
	s_lshr_b32 s10, s2, 16
	s_mul_i32 s3, s3, s10
	v_add_u32_e32 v218, s3, v148
	v_cmp_gt_i32_e32 vcc, s8, v218
	s_and_saveexec_b64 s[2:3], vcc
	s_cbranch_execz .LBB73_336
; %bb.1:
	s_load_dwordx4 s[12:15], s[0:1], 0x8
	s_load_dword s2, s[0:1], 0x18
	s_load_dwordx4 s[4:7], s[0:1], 0x20
	v_ashrrev_i32_e32 v219, 31, v218
	v_and_b32_e32 v190, 0x3ff, v0
	s_waitcnt lgkmcnt(0)
	v_mov_b32_e32 v0, s12
	v_mov_b32_e32 v1, s13
	v_mul_lo_u32 v4, s5, v218
	v_mul_lo_u32 v5, s4, v219
	v_mad_u64_u32 v[2:3], s[0:1], s4, v218, 0
	v_add3_u32 v3, v3, v5, v4
	v_lshl_add_u64 v[0:1], v[2:3], 4, v[0:1]
	v_lshl_add_u64 v[0:1], s[14:15], 4, v[0:1]
	v_lshlrev_b32_e32 v2, 4, v190
	v_mov_b32_e32 v3, 0
	s_add_i32 s0, s2, s2
	v_lshl_add_u64 v[198:199], v[0:1], 0, v[2:3]
	v_add_u32_e32 v2, s0, v190
	v_ashrrev_i32_e32 v3, 31, v2
	v_lshl_add_u64 v[202:203], v[2:3], 4, v[0:1]
	v_add_u32_e32 v2, s2, v2
	v_ashrrev_i32_e32 v3, 31, v2
	;; [unrolled: 3-line block ×35, first 2 shown]
	s_ashr_i32 s3, s2, 31
	v_lshl_add_u64 v[150:151], v[2:3], 4, v[0:1]
	v_lshl_add_u64 v[0:1], s[2:3], 4, v[198:199]
	scratch_store_dwordx2 off, v[0:1], off offset:48 ; 8-byte Folded Spill
	global_load_dwordx4 v[140:143], v[198:199], off
	global_load_dwordx4 v[136:139], v[0:1], off
	;; [unrolled: 1-line block ×34, first 2 shown]
	s_mulk_i32 s10, 0x250
	scratch_store_dwordx2 off, v[4:5], off  ; 8-byte Folded Spill
	scratch_store_dwordx2 off, v[6:7], off offset:8 ; 8-byte Folded Spill
	scratch_store_dwordx2 off, v[8:9], off offset:16 ; 8-byte Folded Spill
	global_load_dwordx4 v[8:11], v[8:9], off
	s_movk_i32 s0, 0x250
	scratch_store_dwordx2 off, v[144:145], off offset:24 ; 8-byte Folded Spill
	global_load_dwordx4 v[4:7], v[144:145], off
	s_add_i32 s1, s10, 0
	scratch_store_dwordx2 off, v[146:147], off offset:32 ; 8-byte Folded Spill
	global_load_dwordx4 v[144:147], v[150:151], off
	v_mad_u32_u24 v192, v148, s0, 0
	v_lshl_add_u32 v191, v148, 4, s1
	v_cmp_ne_u32_e64 s[2:3], 0, v190
	v_cmp_eq_u32_e64 s[0:1], 0, v190
	scratch_store_dwordx2 off, v[150:151], off offset:40 ; 8-byte Folded Spill
	s_and_saveexec_b64 s[10:11], s[0:1]
	s_cbranch_execz .LBB73_8
; %bb.2:
	s_waitcnt vmcnt(42)
	ds_write2_b64 v191, v[140:141], v[142:143] offset1:1
	s_waitcnt vmcnt(41)
	ds_write2_b64 v192, v[136:137], v[138:139] offset0:2 offset1:3
	s_waitcnt vmcnt(40)
	ds_write2_b64 v192, v[132:133], v[134:135] offset0:4 offset1:5
	;; [unrolled: 2-line block ×34, first 2 shown]
	ds_write2_b64 v192, v[0:1], v[2:3] offset0:70 offset1:71
	s_waitcnt vmcnt(1)
	ds_write2_b64 v192, v[144:145], v[146:147] offset0:72 offset1:73
	ds_read2_b64 v[148:151], v191 offset1:1
	s_waitcnt lgkmcnt(0)
	v_cmp_neq_f64_e32 vcc, 0, v[148:149]
	v_cmp_neq_f64_e64 s[4:5], 0, v[150:151]
	s_or_b64 s[4:5], vcc, s[4:5]
	s_and_b64 exec, exec, s[4:5]
	s_cbranch_execz .LBB73_8
; %bb.3:
	v_cmp_ngt_f64_e64 s[4:5], |v[148:149]|, |v[150:151]|
                                        ; implicit-def: $vgpr152_vgpr153
	s_and_saveexec_b64 s[12:13], s[4:5]
	s_xor_b64 s[4:5], exec, s[12:13]
                                        ; implicit-def: $vgpr154_vgpr155
	s_cbranch_execz .LBB73_5
; %bb.4:
	v_div_scale_f64 v[152:153], s[12:13], v[150:151], v[150:151], v[148:149]
	v_rcp_f64_e32 v[154:155], v[152:153]
	v_div_scale_f64 v[156:157], vcc, v[148:149], v[150:151], v[148:149]
	v_fma_f64 v[158:159], -v[152:153], v[154:155], 1.0
	v_fmac_f64_e32 v[154:155], v[154:155], v[158:159]
	v_fma_f64 v[158:159], -v[152:153], v[154:155], 1.0
	v_fmac_f64_e32 v[154:155], v[154:155], v[158:159]
	v_mul_f64 v[158:159], v[156:157], v[154:155]
	v_fma_f64 v[152:153], -v[152:153], v[158:159], v[156:157]
	v_div_fmas_f64 v[152:153], v[152:153], v[154:155], v[158:159]
	v_div_fixup_f64 v[152:153], v[152:153], v[150:151], v[148:149]
	v_fmac_f64_e32 v[150:151], v[148:149], v[152:153]
	v_div_scale_f64 v[148:149], s[12:13], v[150:151], v[150:151], 1.0
	v_rcp_f64_e32 v[154:155], v[148:149]
	s_nop 0
	v_fma_f64 v[156:157], -v[148:149], v[154:155], 1.0
	v_fmac_f64_e32 v[154:155], v[154:155], v[156:157]
	v_fma_f64 v[156:157], -v[148:149], v[154:155], 1.0
	v_fmac_f64_e32 v[154:155], v[154:155], v[156:157]
	v_div_scale_f64 v[156:157], vcc, 1.0, v[150:151], 1.0
	v_mul_f64 v[158:159], v[156:157], v[154:155]
	v_fma_f64 v[148:149], -v[148:149], v[158:159], v[156:157]
	s_nop 1
	v_div_fmas_f64 v[148:149], v[148:149], v[154:155], v[158:159]
	v_div_fixup_f64 v[154:155], v[148:149], v[150:151], 1.0
	v_mul_f64 v[152:153], v[152:153], v[154:155]
	v_xor_b32_e32 v155, 0x80000000, v155
                                        ; implicit-def: $vgpr148_vgpr149
.LBB73_5:
	s_andn2_saveexec_b64 s[4:5], s[4:5]
	s_cbranch_execz .LBB73_7
; %bb.6:
	v_div_scale_f64 v[152:153], s[12:13], v[148:149], v[148:149], v[150:151]
	v_rcp_f64_e32 v[154:155], v[152:153]
	v_div_scale_f64 v[156:157], vcc, v[150:151], v[148:149], v[150:151]
	v_fma_f64 v[158:159], -v[152:153], v[154:155], 1.0
	v_fmac_f64_e32 v[154:155], v[154:155], v[158:159]
	v_fma_f64 v[158:159], -v[152:153], v[154:155], 1.0
	v_fmac_f64_e32 v[154:155], v[154:155], v[158:159]
	v_mul_f64 v[158:159], v[156:157], v[154:155]
	v_fma_f64 v[152:153], -v[152:153], v[158:159], v[156:157]
	v_div_fmas_f64 v[152:153], v[152:153], v[154:155], v[158:159]
	v_div_fixup_f64 v[154:155], v[152:153], v[148:149], v[150:151]
	v_fmac_f64_e32 v[148:149], v[150:151], v[154:155]
	v_div_scale_f64 v[150:151], s[12:13], v[148:149], v[148:149], 1.0
	v_rcp_f64_e32 v[152:153], v[150:151]
	s_nop 0
	v_fma_f64 v[156:157], -v[150:151], v[152:153], 1.0
	v_fmac_f64_e32 v[152:153], v[152:153], v[156:157]
	v_fma_f64 v[156:157], -v[150:151], v[152:153], 1.0
	v_fmac_f64_e32 v[152:153], v[152:153], v[156:157]
	v_div_scale_f64 v[156:157], vcc, 1.0, v[148:149], 1.0
	v_mul_f64 v[158:159], v[156:157], v[152:153]
	v_fma_f64 v[150:151], -v[150:151], v[158:159], v[156:157]
	s_nop 1
	v_div_fmas_f64 v[150:151], v[150:151], v[152:153], v[158:159]
	v_div_fixup_f64 v[152:153], v[150:151], v[148:149], 1.0
	v_mul_f64 v[154:155], v[154:155], -v[152:153]
.LBB73_7:
	s_or_b64 exec, exec, s[4:5]
	ds_write2_b64 v191, v[152:153], v[154:155] offset1:1
.LBB73_8:
	s_or_b64 exec, exec, s[10:11]
	s_waitcnt lgkmcnt(0)
	s_barrier
	ds_read2_b64 v[148:151], v191 offset1:1
	s_waitcnt lgkmcnt(0)
	scratch_store_dwordx4 off, v[148:151], off offset:56 ; 16-byte Folded Spill
	s_and_saveexec_b64 s[4:5], s[2:3]
	s_cbranch_execz .LBB73_10
; %bb.9:
	scratch_load_dwordx4 v[154:157], off, off offset:56 ; 16-byte Folded Reload
	ds_read2_b64 v[150:153], v192 offset0:2 offset1:3
	s_waitcnt vmcnt(0)
	v_mul_f64 v[148:149], v[156:157], v[142:143]
	v_mul_f64 v[142:143], v[154:155], v[142:143]
	v_fma_f64 v[148:149], v[154:155], v[140:141], -v[148:149]
	v_fmac_f64_e32 v[142:143], v[156:157], v[140:141]
	ds_read2_b64 v[154:157], v192 offset0:4 offset1:5
	s_waitcnt lgkmcnt(1)
	v_mul_f64 v[140:141], v[152:153], v[142:143]
	v_fma_f64 v[140:141], v[150:151], v[148:149], -v[140:141]
	v_mul_f64 v[150:151], v[150:151], v[142:143]
	v_fmac_f64_e32 v[150:151], v[152:153], v[148:149]
	v_add_f64 v[136:137], v[136:137], -v[140:141]
	v_add_f64 v[138:139], v[138:139], -v[150:151]
	s_waitcnt lgkmcnt(0)
	v_mul_f64 v[140:141], v[156:157], v[142:143]
	ds_read2_b64 v[150:153], v192 offset0:6 offset1:7
	v_fma_f64 v[140:141], v[154:155], v[148:149], -v[140:141]
	v_mul_f64 v[154:155], v[154:155], v[142:143]
	v_fmac_f64_e32 v[154:155], v[156:157], v[148:149]
	v_add_f64 v[134:135], v[134:135], -v[154:155]
	ds_read2_b64 v[154:157], v192 offset0:8 offset1:9
	v_add_f64 v[132:133], v[132:133], -v[140:141]
	s_waitcnt lgkmcnt(1)
	v_mul_f64 v[140:141], v[152:153], v[142:143]
	v_fma_f64 v[140:141], v[150:151], v[148:149], -v[140:141]
	v_mul_f64 v[150:151], v[150:151], v[142:143]
	v_fmac_f64_e32 v[150:151], v[152:153], v[148:149]
	v_add_f64 v[128:129], v[128:129], -v[140:141]
	v_add_f64 v[130:131], v[130:131], -v[150:151]
	s_waitcnt lgkmcnt(0)
	v_mul_f64 v[140:141], v[156:157], v[142:143]
	ds_read2_b64 v[150:153], v192 offset0:10 offset1:11
	v_fma_f64 v[140:141], v[154:155], v[148:149], -v[140:141]
	v_mul_f64 v[154:155], v[154:155], v[142:143]
	v_fmac_f64_e32 v[154:155], v[156:157], v[148:149]
	v_add_f64 v[126:127], v[126:127], -v[154:155]
	ds_read2_b64 v[154:157], v192 offset0:12 offset1:13
	v_add_f64 v[124:125], v[124:125], -v[140:141]
	;; [unrolled: 16-line block ×17, first 2 shown]
	s_waitcnt lgkmcnt(1)
	v_mul_f64 v[140:141], v[152:153], v[142:143]
	v_fma_f64 v[140:141], v[150:151], v[148:149], -v[140:141]
	v_mul_f64 v[150:151], v[150:151], v[142:143]
	v_fmac_f64_e32 v[150:151], v[152:153], v[148:149]
	v_add_f64 v[0:1], v[0:1], -v[140:141]
	v_add_f64 v[2:3], v[2:3], -v[150:151]
	s_waitcnt lgkmcnt(0)
	v_mul_f64 v[140:141], v[156:157], v[142:143]
	v_mul_f64 v[150:151], v[154:155], v[142:143]
	v_fma_f64 v[140:141], v[154:155], v[148:149], -v[140:141]
	v_fmac_f64_e32 v[150:151], v[156:157], v[148:149]
	v_add_f64 v[144:145], v[144:145], -v[140:141]
	v_add_f64 v[146:147], v[146:147], -v[150:151]
	v_mov_b64_e32 v[140:141], v[148:149]
.LBB73_10:
	s_or_b64 exec, exec, s[4:5]
	v_cmp_eq_u32_e32 vcc, 1, v190
	s_barrier
	s_and_saveexec_b64 s[4:5], vcc
	s_cbranch_execz .LBB73_17
; %bb.11:
	s_waitcnt vmcnt(42)
	ds_write2_b64 v191, v[136:137], v[138:139] offset1:1
	s_waitcnt vmcnt(41)
	ds_write2_b64 v192, v[132:133], v[134:135] offset0:4 offset1:5
	s_waitcnt vmcnt(40)
	ds_write2_b64 v192, v[128:129], v[130:131] offset0:6 offset1:7
	;; [unrolled: 2-line block ×33, first 2 shown]
	ds_write2_b64 v192, v[0:1], v[2:3] offset0:70 offset1:71
	s_waitcnt vmcnt(2)
	ds_write2_b64 v192, v[144:145], v[146:147] offset0:72 offset1:73
	ds_read2_b64 v[148:151], v191 offset1:1
	s_waitcnt lgkmcnt(0)
	v_cmp_neq_f64_e32 vcc, 0, v[148:149]
	v_cmp_neq_f64_e64 s[2:3], 0, v[150:151]
	s_or_b64 s[2:3], vcc, s[2:3]
	s_and_b64 exec, exec, s[2:3]
	s_cbranch_execz .LBB73_17
; %bb.12:
	v_cmp_ngt_f64_e64 s[2:3], |v[148:149]|, |v[150:151]|
                                        ; implicit-def: $vgpr152_vgpr153
	s_and_saveexec_b64 s[10:11], s[2:3]
	s_xor_b64 s[2:3], exec, s[10:11]
                                        ; implicit-def: $vgpr154_vgpr155
	s_cbranch_execz .LBB73_14
; %bb.13:
	v_div_scale_f64 v[152:153], s[10:11], v[150:151], v[150:151], v[148:149]
	v_rcp_f64_e32 v[154:155], v[152:153]
	v_div_scale_f64 v[156:157], vcc, v[148:149], v[150:151], v[148:149]
	v_fma_f64 v[158:159], -v[152:153], v[154:155], 1.0
	v_fmac_f64_e32 v[154:155], v[154:155], v[158:159]
	v_fma_f64 v[158:159], -v[152:153], v[154:155], 1.0
	v_fmac_f64_e32 v[154:155], v[154:155], v[158:159]
	v_mul_f64 v[158:159], v[156:157], v[154:155]
	v_fma_f64 v[152:153], -v[152:153], v[158:159], v[156:157]
	v_div_fmas_f64 v[152:153], v[152:153], v[154:155], v[158:159]
	v_div_fixup_f64 v[152:153], v[152:153], v[150:151], v[148:149]
	v_fmac_f64_e32 v[150:151], v[148:149], v[152:153]
	v_div_scale_f64 v[148:149], s[10:11], v[150:151], v[150:151], 1.0
	v_rcp_f64_e32 v[154:155], v[148:149]
	s_nop 0
	v_fma_f64 v[156:157], -v[148:149], v[154:155], 1.0
	v_fmac_f64_e32 v[154:155], v[154:155], v[156:157]
	v_fma_f64 v[156:157], -v[148:149], v[154:155], 1.0
	v_fmac_f64_e32 v[154:155], v[154:155], v[156:157]
	v_div_scale_f64 v[156:157], vcc, 1.0, v[150:151], 1.0
	v_mul_f64 v[158:159], v[156:157], v[154:155]
	v_fma_f64 v[148:149], -v[148:149], v[158:159], v[156:157]
	s_nop 1
	v_div_fmas_f64 v[148:149], v[148:149], v[154:155], v[158:159]
	v_div_fixup_f64 v[154:155], v[148:149], v[150:151], 1.0
	v_mul_f64 v[152:153], v[152:153], v[154:155]
	v_xor_b32_e32 v155, 0x80000000, v155
                                        ; implicit-def: $vgpr148_vgpr149
.LBB73_14:
	s_andn2_saveexec_b64 s[2:3], s[2:3]
	s_cbranch_execz .LBB73_16
; %bb.15:
	v_div_scale_f64 v[152:153], s[10:11], v[148:149], v[148:149], v[150:151]
	v_rcp_f64_e32 v[154:155], v[152:153]
	v_div_scale_f64 v[156:157], vcc, v[150:151], v[148:149], v[150:151]
	v_fma_f64 v[158:159], -v[152:153], v[154:155], 1.0
	v_fmac_f64_e32 v[154:155], v[154:155], v[158:159]
	v_fma_f64 v[158:159], -v[152:153], v[154:155], 1.0
	v_fmac_f64_e32 v[154:155], v[154:155], v[158:159]
	v_mul_f64 v[158:159], v[156:157], v[154:155]
	v_fma_f64 v[152:153], -v[152:153], v[158:159], v[156:157]
	v_div_fmas_f64 v[152:153], v[152:153], v[154:155], v[158:159]
	v_div_fixup_f64 v[154:155], v[152:153], v[148:149], v[150:151]
	v_fmac_f64_e32 v[148:149], v[150:151], v[154:155]
	v_div_scale_f64 v[150:151], s[10:11], v[148:149], v[148:149], 1.0
	v_rcp_f64_e32 v[152:153], v[150:151]
	s_nop 0
	v_fma_f64 v[156:157], -v[150:151], v[152:153], 1.0
	v_fmac_f64_e32 v[152:153], v[152:153], v[156:157]
	v_fma_f64 v[156:157], -v[150:151], v[152:153], 1.0
	v_fmac_f64_e32 v[152:153], v[152:153], v[156:157]
	v_div_scale_f64 v[156:157], vcc, 1.0, v[148:149], 1.0
	v_mul_f64 v[158:159], v[156:157], v[152:153]
	v_fma_f64 v[150:151], -v[150:151], v[158:159], v[156:157]
	s_nop 1
	v_div_fmas_f64 v[150:151], v[150:151], v[152:153], v[158:159]
	v_div_fixup_f64 v[152:153], v[150:151], v[148:149], 1.0
	v_mul_f64 v[154:155], v[154:155], -v[152:153]
.LBB73_16:
	s_or_b64 exec, exec, s[2:3]
	ds_write2_b64 v191, v[152:153], v[154:155] offset1:1
.LBB73_17:
	s_or_b64 exec, exec, s[4:5]
	s_waitcnt lgkmcnt(0)
	s_barrier
	ds_read2_b64 v[148:151], v191 offset1:1
	v_cmp_lt_u32_e32 vcc, 1, v190
	s_waitcnt lgkmcnt(0)
	scratch_store_dwordx4 off, v[148:151], off offset:72 ; 16-byte Folded Spill
	s_and_saveexec_b64 s[2:3], vcc
	s_cbranch_execz .LBB73_19
; %bb.18:
	scratch_load_dwordx4 v[154:157], off, off offset:72 ; 16-byte Folded Reload
	ds_read2_b64 v[150:153], v192 offset0:4 offset1:5
	s_waitcnt vmcnt(0)
	v_mul_f64 v[148:149], v[156:157], v[138:139]
	v_mul_f64 v[138:139], v[154:155], v[138:139]
	v_fmac_f64_e32 v[138:139], v[156:157], v[136:137]
	v_fma_f64 v[148:149], v[154:155], v[136:137], -v[148:149]
	ds_read2_b64 v[154:157], v192 offset0:6 offset1:7
	s_waitcnt lgkmcnt(1)
	v_mul_f64 v[136:137], v[152:153], v[138:139]
	v_fma_f64 v[136:137], v[150:151], v[148:149], -v[136:137]
	v_mul_f64 v[150:151], v[150:151], v[138:139]
	v_fmac_f64_e32 v[150:151], v[152:153], v[148:149]
	v_add_f64 v[134:135], v[134:135], -v[150:151]
	ds_read2_b64 v[150:153], v192 offset0:8 offset1:9
	v_add_f64 v[132:133], v[132:133], -v[136:137]
	s_waitcnt lgkmcnt(1)
	v_mul_f64 v[136:137], v[156:157], v[138:139]
	v_fma_f64 v[136:137], v[154:155], v[148:149], -v[136:137]
	v_mul_f64 v[154:155], v[154:155], v[138:139]
	v_fmac_f64_e32 v[154:155], v[156:157], v[148:149]
	v_add_f64 v[128:129], v[128:129], -v[136:137]
	v_add_f64 v[130:131], v[130:131], -v[154:155]
	ds_read2_b64 v[154:157], v192 offset0:10 offset1:11
	s_waitcnt lgkmcnt(1)
	v_mul_f64 v[136:137], v[152:153], v[138:139]
	v_fma_f64 v[136:137], v[150:151], v[148:149], -v[136:137]
	v_mul_f64 v[150:151], v[150:151], v[138:139]
	v_fmac_f64_e32 v[150:151], v[152:153], v[148:149]
	v_add_f64 v[126:127], v[126:127], -v[150:151]
	ds_read2_b64 v[150:153], v192 offset0:12 offset1:13
	v_add_f64 v[124:125], v[124:125], -v[136:137]
	s_waitcnt lgkmcnt(1)
	v_mul_f64 v[136:137], v[156:157], v[138:139]
	v_fma_f64 v[136:137], v[154:155], v[148:149], -v[136:137]
	v_mul_f64 v[154:155], v[154:155], v[138:139]
	v_fmac_f64_e32 v[154:155], v[156:157], v[148:149]
	v_add_f64 v[120:121], v[120:121], -v[136:137]
	v_add_f64 v[122:123], v[122:123], -v[154:155]
	;; [unrolled: 16-line block ×16, first 2 shown]
	ds_read2_b64 v[154:157], v192 offset0:70 offset1:71
	s_waitcnt lgkmcnt(1)
	v_mul_f64 v[136:137], v[152:153], v[138:139]
	v_fma_f64 v[136:137], v[150:151], v[148:149], -v[136:137]
	v_mul_f64 v[150:151], v[150:151], v[138:139]
	v_fmac_f64_e32 v[150:151], v[152:153], v[148:149]
	v_add_f64 v[6:7], v[6:7], -v[150:151]
	ds_read2_b64 v[150:153], v192 offset0:72 offset1:73
	v_add_f64 v[4:5], v[4:5], -v[136:137]
	s_waitcnt lgkmcnt(1)
	v_mul_f64 v[136:137], v[156:157], v[138:139]
	v_fma_f64 v[136:137], v[154:155], v[148:149], -v[136:137]
	v_add_f64 v[0:1], v[0:1], -v[136:137]
	s_waitcnt lgkmcnt(0)
	v_mul_f64 v[136:137], v[152:153], v[138:139]
	v_mul_f64 v[154:155], v[154:155], v[138:139]
	v_fma_f64 v[136:137], v[150:151], v[148:149], -v[136:137]
	v_mul_f64 v[150:151], v[150:151], v[138:139]
	v_fmac_f64_e32 v[154:155], v[156:157], v[148:149]
	v_fmac_f64_e32 v[150:151], v[152:153], v[148:149]
	v_add_f64 v[2:3], v[2:3], -v[154:155]
	v_add_f64 v[144:145], v[144:145], -v[136:137]
	;; [unrolled: 1-line block ×3, first 2 shown]
	v_mov_b64_e32 v[136:137], v[148:149]
.LBB73_19:
	s_or_b64 exec, exec, s[2:3]
	v_cmp_eq_u32_e32 vcc, 2, v190
	s_barrier
	s_and_saveexec_b64 s[4:5], vcc
	s_cbranch_execz .LBB73_26
; %bb.20:
	s_waitcnt vmcnt(42)
	ds_write2_b64 v191, v[132:133], v[134:135] offset1:1
	s_waitcnt vmcnt(41)
	ds_write2_b64 v192, v[128:129], v[130:131] offset0:6 offset1:7
	s_waitcnt vmcnt(40)
	ds_write2_b64 v192, v[124:125], v[126:127] offset0:8 offset1:9
	;; [unrolled: 2-line block ×32, first 2 shown]
	ds_write2_b64 v192, v[0:1], v[2:3] offset0:70 offset1:71
	s_waitcnt vmcnt(3)
	ds_write2_b64 v192, v[144:145], v[146:147] offset0:72 offset1:73
	ds_read2_b64 v[148:151], v191 offset1:1
	s_waitcnt lgkmcnt(0)
	v_cmp_neq_f64_e32 vcc, 0, v[148:149]
	v_cmp_neq_f64_e64 s[2:3], 0, v[150:151]
	s_or_b64 s[2:3], vcc, s[2:3]
	s_and_b64 exec, exec, s[2:3]
	s_cbranch_execz .LBB73_26
; %bb.21:
	v_cmp_ngt_f64_e64 s[2:3], |v[148:149]|, |v[150:151]|
                                        ; implicit-def: $vgpr152_vgpr153
	s_and_saveexec_b64 s[10:11], s[2:3]
	s_xor_b64 s[2:3], exec, s[10:11]
                                        ; implicit-def: $vgpr154_vgpr155
	s_cbranch_execz .LBB73_23
; %bb.22:
	v_div_scale_f64 v[152:153], s[10:11], v[150:151], v[150:151], v[148:149]
	v_rcp_f64_e32 v[154:155], v[152:153]
	v_div_scale_f64 v[156:157], vcc, v[148:149], v[150:151], v[148:149]
	v_fma_f64 v[158:159], -v[152:153], v[154:155], 1.0
	v_fmac_f64_e32 v[154:155], v[154:155], v[158:159]
	v_fma_f64 v[158:159], -v[152:153], v[154:155], 1.0
	v_fmac_f64_e32 v[154:155], v[154:155], v[158:159]
	v_mul_f64 v[158:159], v[156:157], v[154:155]
	v_fma_f64 v[152:153], -v[152:153], v[158:159], v[156:157]
	v_div_fmas_f64 v[152:153], v[152:153], v[154:155], v[158:159]
	v_div_fixup_f64 v[152:153], v[152:153], v[150:151], v[148:149]
	v_fmac_f64_e32 v[150:151], v[148:149], v[152:153]
	v_div_scale_f64 v[148:149], s[10:11], v[150:151], v[150:151], 1.0
	v_rcp_f64_e32 v[154:155], v[148:149]
	s_nop 0
	v_fma_f64 v[156:157], -v[148:149], v[154:155], 1.0
	v_fmac_f64_e32 v[154:155], v[154:155], v[156:157]
	v_fma_f64 v[156:157], -v[148:149], v[154:155], 1.0
	v_fmac_f64_e32 v[154:155], v[154:155], v[156:157]
	v_div_scale_f64 v[156:157], vcc, 1.0, v[150:151], 1.0
	v_mul_f64 v[158:159], v[156:157], v[154:155]
	v_fma_f64 v[148:149], -v[148:149], v[158:159], v[156:157]
	s_nop 1
	v_div_fmas_f64 v[148:149], v[148:149], v[154:155], v[158:159]
	v_div_fixup_f64 v[154:155], v[148:149], v[150:151], 1.0
	v_mul_f64 v[152:153], v[152:153], v[154:155]
	v_xor_b32_e32 v155, 0x80000000, v155
                                        ; implicit-def: $vgpr148_vgpr149
.LBB73_23:
	s_andn2_saveexec_b64 s[2:3], s[2:3]
	s_cbranch_execz .LBB73_25
; %bb.24:
	v_div_scale_f64 v[152:153], s[10:11], v[148:149], v[148:149], v[150:151]
	v_rcp_f64_e32 v[154:155], v[152:153]
	v_div_scale_f64 v[156:157], vcc, v[150:151], v[148:149], v[150:151]
	v_fma_f64 v[158:159], -v[152:153], v[154:155], 1.0
	v_fmac_f64_e32 v[154:155], v[154:155], v[158:159]
	v_fma_f64 v[158:159], -v[152:153], v[154:155], 1.0
	v_fmac_f64_e32 v[154:155], v[154:155], v[158:159]
	v_mul_f64 v[158:159], v[156:157], v[154:155]
	v_fma_f64 v[152:153], -v[152:153], v[158:159], v[156:157]
	v_div_fmas_f64 v[152:153], v[152:153], v[154:155], v[158:159]
	v_div_fixup_f64 v[154:155], v[152:153], v[148:149], v[150:151]
	v_fmac_f64_e32 v[148:149], v[150:151], v[154:155]
	v_div_scale_f64 v[150:151], s[10:11], v[148:149], v[148:149], 1.0
	v_rcp_f64_e32 v[152:153], v[150:151]
	s_nop 0
	v_fma_f64 v[156:157], -v[150:151], v[152:153], 1.0
	v_fmac_f64_e32 v[152:153], v[152:153], v[156:157]
	v_fma_f64 v[156:157], -v[150:151], v[152:153], 1.0
	v_fmac_f64_e32 v[152:153], v[152:153], v[156:157]
	v_div_scale_f64 v[156:157], vcc, 1.0, v[148:149], 1.0
	v_mul_f64 v[158:159], v[156:157], v[152:153]
	v_fma_f64 v[150:151], -v[150:151], v[158:159], v[156:157]
	s_nop 1
	v_div_fmas_f64 v[150:151], v[150:151], v[152:153], v[158:159]
	v_div_fixup_f64 v[152:153], v[150:151], v[148:149], 1.0
	v_mul_f64 v[154:155], v[154:155], -v[152:153]
.LBB73_25:
	s_or_b64 exec, exec, s[2:3]
	ds_write2_b64 v191, v[152:153], v[154:155] offset1:1
.LBB73_26:
	s_or_b64 exec, exec, s[4:5]
	s_waitcnt lgkmcnt(0)
	s_barrier
	ds_read2_b64 v[148:151], v191 offset1:1
	v_cmp_lt_u32_e32 vcc, 2, v190
	s_waitcnt lgkmcnt(0)
	scratch_store_dwordx4 off, v[148:151], off offset:88 ; 16-byte Folded Spill
	s_and_saveexec_b64 s[2:3], vcc
	s_cbranch_execz .LBB73_28
; %bb.27:
	scratch_load_dwordx4 v[154:157], off, off offset:88 ; 16-byte Folded Reload
	ds_read2_b64 v[150:153], v192 offset0:6 offset1:7
	s_waitcnt vmcnt(0)
	v_mul_f64 v[148:149], v[156:157], v[134:135]
	v_mul_f64 v[134:135], v[154:155], v[134:135]
	v_fma_f64 v[148:149], v[154:155], v[132:133], -v[148:149]
	v_fmac_f64_e32 v[134:135], v[156:157], v[132:133]
	ds_read2_b64 v[154:157], v192 offset0:8 offset1:9
	s_waitcnt lgkmcnt(1)
	v_mul_f64 v[132:133], v[152:153], v[134:135]
	v_fma_f64 v[132:133], v[150:151], v[148:149], -v[132:133]
	v_mul_f64 v[150:151], v[150:151], v[134:135]
	v_fmac_f64_e32 v[150:151], v[152:153], v[148:149]
	v_add_f64 v[128:129], v[128:129], -v[132:133]
	v_add_f64 v[130:131], v[130:131], -v[150:151]
	s_waitcnt lgkmcnt(0)
	v_mul_f64 v[132:133], v[156:157], v[134:135]
	ds_read2_b64 v[150:153], v192 offset0:10 offset1:11
	v_fma_f64 v[132:133], v[154:155], v[148:149], -v[132:133]
	v_mul_f64 v[154:155], v[154:155], v[134:135]
	v_fmac_f64_e32 v[154:155], v[156:157], v[148:149]
	v_add_f64 v[126:127], v[126:127], -v[154:155]
	ds_read2_b64 v[154:157], v192 offset0:12 offset1:13
	v_add_f64 v[124:125], v[124:125], -v[132:133]
	s_waitcnt lgkmcnt(1)
	v_mul_f64 v[132:133], v[152:153], v[134:135]
	v_fma_f64 v[132:133], v[150:151], v[148:149], -v[132:133]
	v_mul_f64 v[150:151], v[150:151], v[134:135]
	v_fmac_f64_e32 v[150:151], v[152:153], v[148:149]
	v_add_f64 v[120:121], v[120:121], -v[132:133]
	v_add_f64 v[122:123], v[122:123], -v[150:151]
	s_waitcnt lgkmcnt(0)
	v_mul_f64 v[132:133], v[156:157], v[134:135]
	ds_read2_b64 v[150:153], v192 offset0:14 offset1:15
	v_fma_f64 v[132:133], v[154:155], v[148:149], -v[132:133]
	v_mul_f64 v[154:155], v[154:155], v[134:135]
	v_fmac_f64_e32 v[154:155], v[156:157], v[148:149]
	v_add_f64 v[118:119], v[118:119], -v[154:155]
	ds_read2_b64 v[154:157], v192 offset0:16 offset1:17
	v_add_f64 v[116:117], v[116:117], -v[132:133]
	;; [unrolled: 16-line block ×16, first 2 shown]
	s_waitcnt lgkmcnt(1)
	v_mul_f64 v[132:133], v[152:153], v[134:135]
	v_fma_f64 v[132:133], v[150:151], v[148:149], -v[132:133]
	v_mul_f64 v[150:151], v[150:151], v[134:135]
	v_fmac_f64_e32 v[150:151], v[152:153], v[148:149]
	v_add_f64 v[0:1], v[0:1], -v[132:133]
	v_add_f64 v[2:3], v[2:3], -v[150:151]
	s_waitcnt lgkmcnt(0)
	v_mul_f64 v[132:133], v[156:157], v[134:135]
	v_mul_f64 v[150:151], v[154:155], v[134:135]
	v_fma_f64 v[132:133], v[154:155], v[148:149], -v[132:133]
	v_fmac_f64_e32 v[150:151], v[156:157], v[148:149]
	v_add_f64 v[144:145], v[144:145], -v[132:133]
	v_add_f64 v[146:147], v[146:147], -v[150:151]
	v_mov_b64_e32 v[132:133], v[148:149]
.LBB73_28:
	s_or_b64 exec, exec, s[2:3]
	v_cmp_eq_u32_e32 vcc, 3, v190
	s_barrier
	s_and_saveexec_b64 s[4:5], vcc
	s_cbranch_execz .LBB73_35
; %bb.29:
	s_waitcnt vmcnt(42)
	ds_write2_b64 v191, v[128:129], v[130:131] offset1:1
	s_waitcnt vmcnt(41)
	ds_write2_b64 v192, v[124:125], v[126:127] offset0:8 offset1:9
	s_waitcnt vmcnt(40)
	ds_write2_b64 v192, v[120:121], v[122:123] offset0:10 offset1:11
	;; [unrolled: 2-line block ×31, first 2 shown]
	ds_write2_b64 v192, v[0:1], v[2:3] offset0:70 offset1:71
	s_waitcnt vmcnt(4)
	ds_write2_b64 v192, v[144:145], v[146:147] offset0:72 offset1:73
	ds_read2_b64 v[148:151], v191 offset1:1
	s_waitcnt lgkmcnt(0)
	v_cmp_neq_f64_e32 vcc, 0, v[148:149]
	v_cmp_neq_f64_e64 s[2:3], 0, v[150:151]
	s_or_b64 s[2:3], vcc, s[2:3]
	s_and_b64 exec, exec, s[2:3]
	s_cbranch_execz .LBB73_35
; %bb.30:
	v_cmp_ngt_f64_e64 s[2:3], |v[148:149]|, |v[150:151]|
                                        ; implicit-def: $vgpr152_vgpr153
	s_and_saveexec_b64 s[10:11], s[2:3]
	s_xor_b64 s[2:3], exec, s[10:11]
                                        ; implicit-def: $vgpr154_vgpr155
	s_cbranch_execz .LBB73_32
; %bb.31:
	v_div_scale_f64 v[152:153], s[10:11], v[150:151], v[150:151], v[148:149]
	v_rcp_f64_e32 v[154:155], v[152:153]
	v_div_scale_f64 v[156:157], vcc, v[148:149], v[150:151], v[148:149]
	v_fma_f64 v[158:159], -v[152:153], v[154:155], 1.0
	v_fmac_f64_e32 v[154:155], v[154:155], v[158:159]
	v_fma_f64 v[158:159], -v[152:153], v[154:155], 1.0
	v_fmac_f64_e32 v[154:155], v[154:155], v[158:159]
	v_mul_f64 v[158:159], v[156:157], v[154:155]
	v_fma_f64 v[152:153], -v[152:153], v[158:159], v[156:157]
	v_div_fmas_f64 v[152:153], v[152:153], v[154:155], v[158:159]
	v_div_fixup_f64 v[152:153], v[152:153], v[150:151], v[148:149]
	v_fmac_f64_e32 v[150:151], v[148:149], v[152:153]
	v_div_scale_f64 v[148:149], s[10:11], v[150:151], v[150:151], 1.0
	v_rcp_f64_e32 v[154:155], v[148:149]
	s_nop 0
	v_fma_f64 v[156:157], -v[148:149], v[154:155], 1.0
	v_fmac_f64_e32 v[154:155], v[154:155], v[156:157]
	v_fma_f64 v[156:157], -v[148:149], v[154:155], 1.0
	v_fmac_f64_e32 v[154:155], v[154:155], v[156:157]
	v_div_scale_f64 v[156:157], vcc, 1.0, v[150:151], 1.0
	v_mul_f64 v[158:159], v[156:157], v[154:155]
	v_fma_f64 v[148:149], -v[148:149], v[158:159], v[156:157]
	s_nop 1
	v_div_fmas_f64 v[148:149], v[148:149], v[154:155], v[158:159]
	v_div_fixup_f64 v[154:155], v[148:149], v[150:151], 1.0
	v_mul_f64 v[152:153], v[152:153], v[154:155]
	v_xor_b32_e32 v155, 0x80000000, v155
                                        ; implicit-def: $vgpr148_vgpr149
.LBB73_32:
	s_andn2_saveexec_b64 s[2:3], s[2:3]
	s_cbranch_execz .LBB73_34
; %bb.33:
	v_div_scale_f64 v[152:153], s[10:11], v[148:149], v[148:149], v[150:151]
	v_rcp_f64_e32 v[154:155], v[152:153]
	v_div_scale_f64 v[156:157], vcc, v[150:151], v[148:149], v[150:151]
	v_fma_f64 v[158:159], -v[152:153], v[154:155], 1.0
	v_fmac_f64_e32 v[154:155], v[154:155], v[158:159]
	v_fma_f64 v[158:159], -v[152:153], v[154:155], 1.0
	v_fmac_f64_e32 v[154:155], v[154:155], v[158:159]
	v_mul_f64 v[158:159], v[156:157], v[154:155]
	v_fma_f64 v[152:153], -v[152:153], v[158:159], v[156:157]
	v_div_fmas_f64 v[152:153], v[152:153], v[154:155], v[158:159]
	v_div_fixup_f64 v[154:155], v[152:153], v[148:149], v[150:151]
	v_fmac_f64_e32 v[148:149], v[150:151], v[154:155]
	v_div_scale_f64 v[150:151], s[10:11], v[148:149], v[148:149], 1.0
	v_rcp_f64_e32 v[152:153], v[150:151]
	s_nop 0
	v_fma_f64 v[156:157], -v[150:151], v[152:153], 1.0
	v_fmac_f64_e32 v[152:153], v[152:153], v[156:157]
	v_fma_f64 v[156:157], -v[150:151], v[152:153], 1.0
	v_fmac_f64_e32 v[152:153], v[152:153], v[156:157]
	v_div_scale_f64 v[156:157], vcc, 1.0, v[148:149], 1.0
	v_mul_f64 v[158:159], v[156:157], v[152:153]
	v_fma_f64 v[150:151], -v[150:151], v[158:159], v[156:157]
	s_nop 1
	v_div_fmas_f64 v[150:151], v[150:151], v[152:153], v[158:159]
	v_div_fixup_f64 v[152:153], v[150:151], v[148:149], 1.0
	v_mul_f64 v[154:155], v[154:155], -v[152:153]
.LBB73_34:
	s_or_b64 exec, exec, s[2:3]
	ds_write2_b64 v191, v[152:153], v[154:155] offset1:1
.LBB73_35:
	s_or_b64 exec, exec, s[4:5]
	s_waitcnt lgkmcnt(0)
	s_barrier
	ds_read2_b64 v[148:151], v191 offset1:1
	v_cmp_lt_u32_e32 vcc, 3, v190
	s_waitcnt lgkmcnt(0)
	scratch_store_dwordx4 off, v[148:151], off offset:104 ; 16-byte Folded Spill
	s_and_saveexec_b64 s[2:3], vcc
	s_cbranch_execz .LBB73_37
; %bb.36:
	scratch_load_dwordx4 v[154:157], off, off offset:104 ; 16-byte Folded Reload
	ds_read2_b64 v[150:153], v192 offset0:8 offset1:9
	s_waitcnt vmcnt(0)
	v_mul_f64 v[148:149], v[156:157], v[130:131]
	v_mul_f64 v[130:131], v[154:155], v[130:131]
	v_fmac_f64_e32 v[130:131], v[156:157], v[128:129]
	v_fma_f64 v[148:149], v[154:155], v[128:129], -v[148:149]
	ds_read2_b64 v[154:157], v192 offset0:10 offset1:11
	s_waitcnt lgkmcnt(1)
	v_mul_f64 v[128:129], v[152:153], v[130:131]
	v_fma_f64 v[128:129], v[150:151], v[148:149], -v[128:129]
	v_mul_f64 v[150:151], v[150:151], v[130:131]
	v_fmac_f64_e32 v[150:151], v[152:153], v[148:149]
	v_add_f64 v[126:127], v[126:127], -v[150:151]
	ds_read2_b64 v[150:153], v192 offset0:12 offset1:13
	v_add_f64 v[124:125], v[124:125], -v[128:129]
	s_waitcnt lgkmcnt(1)
	v_mul_f64 v[128:129], v[156:157], v[130:131]
	v_fma_f64 v[128:129], v[154:155], v[148:149], -v[128:129]
	v_mul_f64 v[154:155], v[154:155], v[130:131]
	v_fmac_f64_e32 v[154:155], v[156:157], v[148:149]
	v_add_f64 v[120:121], v[120:121], -v[128:129]
	v_add_f64 v[122:123], v[122:123], -v[154:155]
	ds_read2_b64 v[154:157], v192 offset0:14 offset1:15
	s_waitcnt lgkmcnt(1)
	v_mul_f64 v[128:129], v[152:153], v[130:131]
	v_fma_f64 v[128:129], v[150:151], v[148:149], -v[128:129]
	v_mul_f64 v[150:151], v[150:151], v[130:131]
	v_fmac_f64_e32 v[150:151], v[152:153], v[148:149]
	v_add_f64 v[118:119], v[118:119], -v[150:151]
	ds_read2_b64 v[150:153], v192 offset0:16 offset1:17
	v_add_f64 v[116:117], v[116:117], -v[128:129]
	s_waitcnt lgkmcnt(1)
	v_mul_f64 v[128:129], v[156:157], v[130:131]
	v_fma_f64 v[128:129], v[154:155], v[148:149], -v[128:129]
	v_mul_f64 v[154:155], v[154:155], v[130:131]
	v_fmac_f64_e32 v[154:155], v[156:157], v[148:149]
	v_add_f64 v[112:113], v[112:113], -v[128:129]
	v_add_f64 v[114:115], v[114:115], -v[154:155]
	;; [unrolled: 16-line block ×15, first 2 shown]
	ds_read2_b64 v[154:157], v192 offset0:70 offset1:71
	s_waitcnt lgkmcnt(1)
	v_mul_f64 v[128:129], v[152:153], v[130:131]
	v_fma_f64 v[128:129], v[150:151], v[148:149], -v[128:129]
	v_mul_f64 v[150:151], v[150:151], v[130:131]
	v_fmac_f64_e32 v[150:151], v[152:153], v[148:149]
	v_add_f64 v[6:7], v[6:7], -v[150:151]
	ds_read2_b64 v[150:153], v192 offset0:72 offset1:73
	v_add_f64 v[4:5], v[4:5], -v[128:129]
	s_waitcnt lgkmcnt(1)
	v_mul_f64 v[128:129], v[156:157], v[130:131]
	v_fma_f64 v[128:129], v[154:155], v[148:149], -v[128:129]
	v_add_f64 v[0:1], v[0:1], -v[128:129]
	s_waitcnt lgkmcnt(0)
	v_mul_f64 v[128:129], v[152:153], v[130:131]
	v_mul_f64 v[154:155], v[154:155], v[130:131]
	v_fma_f64 v[128:129], v[150:151], v[148:149], -v[128:129]
	v_mul_f64 v[150:151], v[150:151], v[130:131]
	v_fmac_f64_e32 v[154:155], v[156:157], v[148:149]
	v_fmac_f64_e32 v[150:151], v[152:153], v[148:149]
	v_add_f64 v[2:3], v[2:3], -v[154:155]
	v_add_f64 v[144:145], v[144:145], -v[128:129]
	;; [unrolled: 1-line block ×3, first 2 shown]
	v_mov_b64_e32 v[128:129], v[148:149]
.LBB73_37:
	s_or_b64 exec, exec, s[2:3]
	v_cmp_eq_u32_e32 vcc, 4, v190
	s_barrier
	s_and_saveexec_b64 s[4:5], vcc
	s_cbranch_execz .LBB73_44
; %bb.38:
	s_waitcnt vmcnt(42)
	ds_write2_b64 v191, v[124:125], v[126:127] offset1:1
	s_waitcnt vmcnt(41)
	ds_write2_b64 v192, v[120:121], v[122:123] offset0:10 offset1:11
	s_waitcnt vmcnt(40)
	ds_write2_b64 v192, v[116:117], v[118:119] offset0:12 offset1:13
	s_waitcnt vmcnt(39)
	ds_write2_b64 v192, v[112:113], v[114:115] offset0:14 offset1:15
	s_waitcnt vmcnt(38)
	ds_write2_b64 v192, v[108:109], v[110:111] offset0:16 offset1:17
	s_waitcnt vmcnt(37)
	ds_write2_b64 v192, v[104:105], v[106:107] offset0:18 offset1:19
	s_waitcnt vmcnt(36)
	ds_write2_b64 v192, v[100:101], v[102:103] offset0:20 offset1:21
	s_waitcnt vmcnt(35)
	ds_write2_b64 v192, v[96:97], v[98:99] offset0:22 offset1:23
	s_waitcnt vmcnt(34)
	ds_write2_b64 v192, v[92:93], v[94:95] offset0:24 offset1:25
	s_waitcnt vmcnt(33)
	ds_write2_b64 v192, v[88:89], v[90:91] offset0:26 offset1:27
	s_waitcnt vmcnt(32)
	ds_write2_b64 v192, v[84:85], v[86:87] offset0:28 offset1:29
	s_waitcnt vmcnt(31)
	ds_write2_b64 v192, v[80:81], v[82:83] offset0:30 offset1:31
	s_waitcnt vmcnt(30)
	ds_write2_b64 v192, v[76:77], v[78:79] offset0:32 offset1:33
	s_waitcnt vmcnt(29)
	ds_write2_b64 v192, v[72:73], v[74:75] offset0:34 offset1:35
	s_waitcnt vmcnt(28)
	ds_write2_b64 v192, v[68:69], v[70:71] offset0:36 offset1:37
	s_waitcnt vmcnt(27)
	ds_write2_b64 v192, v[64:65], v[66:67] offset0:38 offset1:39
	s_waitcnt vmcnt(26)
	ds_write2_b64 v192, v[60:61], v[62:63] offset0:40 offset1:41
	s_waitcnt vmcnt(25)
	ds_write2_b64 v192, v[56:57], v[58:59] offset0:42 offset1:43
	s_waitcnt vmcnt(24)
	ds_write2_b64 v192, v[52:53], v[54:55] offset0:44 offset1:45
	s_waitcnt vmcnt(23)
	ds_write2_b64 v192, v[48:49], v[50:51] offset0:46 offset1:47
	s_waitcnt vmcnt(22)
	ds_write2_b64 v192, v[44:45], v[46:47] offset0:48 offset1:49
	s_waitcnt vmcnt(21)
	ds_write2_b64 v192, v[40:41], v[42:43] offset0:50 offset1:51
	s_waitcnt vmcnt(20)
	ds_write2_b64 v192, v[36:37], v[38:39] offset0:52 offset1:53
	s_waitcnt vmcnt(19)
	ds_write2_b64 v192, v[32:33], v[34:35] offset0:54 offset1:55
	s_waitcnt vmcnt(18)
	ds_write2_b64 v192, v[28:29], v[30:31] offset0:56 offset1:57
	s_waitcnt vmcnt(17)
	ds_write2_b64 v192, v[24:25], v[26:27] offset0:58 offset1:59
	s_waitcnt vmcnt(16)
	ds_write2_b64 v192, v[20:21], v[22:23] offset0:60 offset1:61
	s_waitcnt vmcnt(15)
	ds_write2_b64 v192, v[16:17], v[18:19] offset0:62 offset1:63
	s_waitcnt vmcnt(14)
	ds_write2_b64 v192, v[12:13], v[14:15] offset0:64 offset1:65
	s_waitcnt vmcnt(9)
	ds_write2_b64 v192, v[8:9], v[10:11] offset0:66 offset1:67
	s_waitcnt vmcnt(7)
	ds_write2_b64 v192, v[4:5], v[6:7] offset0:68 offset1:69
	ds_write2_b64 v192, v[0:1], v[2:3] offset0:70 offset1:71
	s_waitcnt vmcnt(5)
	ds_write2_b64 v192, v[144:145], v[146:147] offset0:72 offset1:73
	ds_read2_b64 v[148:151], v191 offset1:1
	s_waitcnt lgkmcnt(0)
	v_cmp_neq_f64_e32 vcc, 0, v[148:149]
	v_cmp_neq_f64_e64 s[2:3], 0, v[150:151]
	s_or_b64 s[2:3], vcc, s[2:3]
	s_and_b64 exec, exec, s[2:3]
	s_cbranch_execz .LBB73_44
; %bb.39:
	v_cmp_ngt_f64_e64 s[2:3], |v[148:149]|, |v[150:151]|
                                        ; implicit-def: $vgpr152_vgpr153
	s_and_saveexec_b64 s[10:11], s[2:3]
	s_xor_b64 s[2:3], exec, s[10:11]
                                        ; implicit-def: $vgpr154_vgpr155
	s_cbranch_execz .LBB73_41
; %bb.40:
	v_div_scale_f64 v[152:153], s[10:11], v[150:151], v[150:151], v[148:149]
	v_rcp_f64_e32 v[154:155], v[152:153]
	v_div_scale_f64 v[156:157], vcc, v[148:149], v[150:151], v[148:149]
	v_fma_f64 v[158:159], -v[152:153], v[154:155], 1.0
	v_fmac_f64_e32 v[154:155], v[154:155], v[158:159]
	v_fma_f64 v[158:159], -v[152:153], v[154:155], 1.0
	v_fmac_f64_e32 v[154:155], v[154:155], v[158:159]
	v_mul_f64 v[158:159], v[156:157], v[154:155]
	v_fma_f64 v[152:153], -v[152:153], v[158:159], v[156:157]
	v_div_fmas_f64 v[152:153], v[152:153], v[154:155], v[158:159]
	v_div_fixup_f64 v[152:153], v[152:153], v[150:151], v[148:149]
	v_fmac_f64_e32 v[150:151], v[148:149], v[152:153]
	v_div_scale_f64 v[148:149], s[10:11], v[150:151], v[150:151], 1.0
	v_rcp_f64_e32 v[154:155], v[148:149]
	s_nop 0
	v_fma_f64 v[156:157], -v[148:149], v[154:155], 1.0
	v_fmac_f64_e32 v[154:155], v[154:155], v[156:157]
	v_fma_f64 v[156:157], -v[148:149], v[154:155], 1.0
	v_fmac_f64_e32 v[154:155], v[154:155], v[156:157]
	v_div_scale_f64 v[156:157], vcc, 1.0, v[150:151], 1.0
	v_mul_f64 v[158:159], v[156:157], v[154:155]
	v_fma_f64 v[148:149], -v[148:149], v[158:159], v[156:157]
	s_nop 1
	v_div_fmas_f64 v[148:149], v[148:149], v[154:155], v[158:159]
	v_div_fixup_f64 v[154:155], v[148:149], v[150:151], 1.0
	v_mul_f64 v[152:153], v[152:153], v[154:155]
	v_xor_b32_e32 v155, 0x80000000, v155
                                        ; implicit-def: $vgpr148_vgpr149
.LBB73_41:
	s_andn2_saveexec_b64 s[2:3], s[2:3]
	s_cbranch_execz .LBB73_43
; %bb.42:
	v_div_scale_f64 v[152:153], s[10:11], v[148:149], v[148:149], v[150:151]
	v_rcp_f64_e32 v[154:155], v[152:153]
	v_div_scale_f64 v[156:157], vcc, v[150:151], v[148:149], v[150:151]
	v_fma_f64 v[158:159], -v[152:153], v[154:155], 1.0
	v_fmac_f64_e32 v[154:155], v[154:155], v[158:159]
	v_fma_f64 v[158:159], -v[152:153], v[154:155], 1.0
	v_fmac_f64_e32 v[154:155], v[154:155], v[158:159]
	v_mul_f64 v[158:159], v[156:157], v[154:155]
	v_fma_f64 v[152:153], -v[152:153], v[158:159], v[156:157]
	v_div_fmas_f64 v[152:153], v[152:153], v[154:155], v[158:159]
	v_div_fixup_f64 v[154:155], v[152:153], v[148:149], v[150:151]
	v_fmac_f64_e32 v[148:149], v[150:151], v[154:155]
	v_div_scale_f64 v[150:151], s[10:11], v[148:149], v[148:149], 1.0
	v_rcp_f64_e32 v[152:153], v[150:151]
	s_nop 0
	v_fma_f64 v[156:157], -v[150:151], v[152:153], 1.0
	v_fmac_f64_e32 v[152:153], v[152:153], v[156:157]
	v_fma_f64 v[156:157], -v[150:151], v[152:153], 1.0
	v_fmac_f64_e32 v[152:153], v[152:153], v[156:157]
	v_div_scale_f64 v[156:157], vcc, 1.0, v[148:149], 1.0
	v_mul_f64 v[158:159], v[156:157], v[152:153]
	v_fma_f64 v[150:151], -v[150:151], v[158:159], v[156:157]
	s_nop 1
	v_div_fmas_f64 v[150:151], v[150:151], v[152:153], v[158:159]
	v_div_fixup_f64 v[152:153], v[150:151], v[148:149], 1.0
	v_mul_f64 v[154:155], v[154:155], -v[152:153]
.LBB73_43:
	s_or_b64 exec, exec, s[2:3]
	ds_write2_b64 v191, v[152:153], v[154:155] offset1:1
.LBB73_44:
	s_or_b64 exec, exec, s[4:5]
	s_waitcnt lgkmcnt(0)
	s_barrier
	ds_read2_b64 v[148:151], v191 offset1:1
	v_cmp_lt_u32_e32 vcc, 4, v190
	s_waitcnt lgkmcnt(0)
	scratch_store_dwordx4 off, v[148:151], off offset:120 ; 16-byte Folded Spill
	s_and_saveexec_b64 s[2:3], vcc
	s_cbranch_execz .LBB73_46
; %bb.45:
	scratch_load_dwordx4 v[150:153], off, off offset:120 ; 16-byte Folded Reload
	s_waitcnt vmcnt(0)
	v_mul_f64 v[148:149], v[152:153], v[126:127]
	v_mul_f64 v[126:127], v[150:151], v[126:127]
	v_fma_f64 v[148:149], v[150:151], v[124:125], -v[148:149]
	v_fmac_f64_e32 v[126:127], v[152:153], v[124:125]
	ds_read2_b64 v[150:153], v192 offset0:10 offset1:11
	s_waitcnt lgkmcnt(0)
	v_mul_f64 v[124:125], v[152:153], v[126:127]
	v_fma_f64 v[124:125], v[150:151], v[148:149], -v[124:125]
	v_mul_f64 v[150:151], v[150:151], v[126:127]
	v_fmac_f64_e32 v[150:151], v[152:153], v[148:149]
	v_add_f64 v[122:123], v[122:123], -v[150:151]
	ds_read2_b64 v[150:153], v192 offset0:12 offset1:13
	v_add_f64 v[120:121], v[120:121], -v[124:125]
	s_waitcnt lgkmcnt(0)
	v_mul_f64 v[124:125], v[152:153], v[126:127]
	v_fma_f64 v[124:125], v[150:151], v[148:149], -v[124:125]
	v_mul_f64 v[150:151], v[150:151], v[126:127]
	v_fmac_f64_e32 v[150:151], v[152:153], v[148:149]
	v_add_f64 v[118:119], v[118:119], -v[150:151]
	ds_read2_b64 v[150:153], v192 offset0:14 offset1:15
	v_add_f64 v[116:117], v[116:117], -v[124:125]
	;; [unrolled: 8-line block ×31, first 2 shown]
	s_waitcnt lgkmcnt(0)
	v_mul_f64 v[124:125], v[152:153], v[126:127]
	v_fma_f64 v[124:125], v[150:151], v[148:149], -v[124:125]
	v_mul_f64 v[150:151], v[150:151], v[126:127]
	v_fmac_f64_e32 v[150:151], v[152:153], v[148:149]
	v_add_f64 v[144:145], v[144:145], -v[124:125]
	v_add_f64 v[146:147], v[146:147], -v[150:151]
	v_mov_b64_e32 v[124:125], v[148:149]
.LBB73_46:
	s_or_b64 exec, exec, s[2:3]
	v_cmp_eq_u32_e32 vcc, 5, v190
	s_barrier
	s_and_saveexec_b64 s[4:5], vcc
	s_cbranch_execz .LBB73_53
; %bb.47:
	s_waitcnt vmcnt(42)
	ds_write2_b64 v191, v[120:121], v[122:123] offset1:1
	s_waitcnt vmcnt(41)
	ds_write2_b64 v192, v[116:117], v[118:119] offset0:12 offset1:13
	s_waitcnt vmcnt(40)
	ds_write2_b64 v192, v[112:113], v[114:115] offset0:14 offset1:15
	;; [unrolled: 2-line block ×29, first 2 shown]
	ds_write2_b64 v192, v[0:1], v[2:3] offset0:70 offset1:71
	s_waitcnt vmcnt(6)
	ds_write2_b64 v192, v[144:145], v[146:147] offset0:72 offset1:73
	ds_read2_b64 v[148:151], v191 offset1:1
	s_waitcnt lgkmcnt(0)
	v_cmp_neq_f64_e32 vcc, 0, v[148:149]
	v_cmp_neq_f64_e64 s[2:3], 0, v[150:151]
	s_or_b64 s[2:3], vcc, s[2:3]
	s_and_b64 exec, exec, s[2:3]
	s_cbranch_execz .LBB73_53
; %bb.48:
	v_cmp_ngt_f64_e64 s[2:3], |v[148:149]|, |v[150:151]|
                                        ; implicit-def: $vgpr152_vgpr153
	s_and_saveexec_b64 s[10:11], s[2:3]
	s_xor_b64 s[2:3], exec, s[10:11]
                                        ; implicit-def: $vgpr154_vgpr155
	s_cbranch_execz .LBB73_50
; %bb.49:
	v_div_scale_f64 v[152:153], s[10:11], v[150:151], v[150:151], v[148:149]
	v_rcp_f64_e32 v[154:155], v[152:153]
	v_div_scale_f64 v[156:157], vcc, v[148:149], v[150:151], v[148:149]
	v_fma_f64 v[158:159], -v[152:153], v[154:155], 1.0
	v_fmac_f64_e32 v[154:155], v[154:155], v[158:159]
	v_fma_f64 v[158:159], -v[152:153], v[154:155], 1.0
	v_fmac_f64_e32 v[154:155], v[154:155], v[158:159]
	v_mul_f64 v[158:159], v[156:157], v[154:155]
	v_fma_f64 v[152:153], -v[152:153], v[158:159], v[156:157]
	v_div_fmas_f64 v[152:153], v[152:153], v[154:155], v[158:159]
	v_div_fixup_f64 v[152:153], v[152:153], v[150:151], v[148:149]
	v_fmac_f64_e32 v[150:151], v[148:149], v[152:153]
	v_div_scale_f64 v[148:149], s[10:11], v[150:151], v[150:151], 1.0
	v_rcp_f64_e32 v[154:155], v[148:149]
	s_nop 0
	v_fma_f64 v[156:157], -v[148:149], v[154:155], 1.0
	v_fmac_f64_e32 v[154:155], v[154:155], v[156:157]
	v_fma_f64 v[156:157], -v[148:149], v[154:155], 1.0
	v_fmac_f64_e32 v[154:155], v[154:155], v[156:157]
	v_div_scale_f64 v[156:157], vcc, 1.0, v[150:151], 1.0
	v_mul_f64 v[158:159], v[156:157], v[154:155]
	v_fma_f64 v[148:149], -v[148:149], v[158:159], v[156:157]
	s_nop 1
	v_div_fmas_f64 v[148:149], v[148:149], v[154:155], v[158:159]
	v_div_fixup_f64 v[154:155], v[148:149], v[150:151], 1.0
	v_mul_f64 v[152:153], v[152:153], v[154:155]
	v_xor_b32_e32 v155, 0x80000000, v155
                                        ; implicit-def: $vgpr148_vgpr149
.LBB73_50:
	s_andn2_saveexec_b64 s[2:3], s[2:3]
	s_cbranch_execz .LBB73_52
; %bb.51:
	v_div_scale_f64 v[152:153], s[10:11], v[148:149], v[148:149], v[150:151]
	v_rcp_f64_e32 v[154:155], v[152:153]
	v_div_scale_f64 v[156:157], vcc, v[150:151], v[148:149], v[150:151]
	v_fma_f64 v[158:159], -v[152:153], v[154:155], 1.0
	v_fmac_f64_e32 v[154:155], v[154:155], v[158:159]
	v_fma_f64 v[158:159], -v[152:153], v[154:155], 1.0
	v_fmac_f64_e32 v[154:155], v[154:155], v[158:159]
	v_mul_f64 v[158:159], v[156:157], v[154:155]
	v_fma_f64 v[152:153], -v[152:153], v[158:159], v[156:157]
	v_div_fmas_f64 v[152:153], v[152:153], v[154:155], v[158:159]
	v_div_fixup_f64 v[154:155], v[152:153], v[148:149], v[150:151]
	v_fmac_f64_e32 v[148:149], v[150:151], v[154:155]
	v_div_scale_f64 v[150:151], s[10:11], v[148:149], v[148:149], 1.0
	v_rcp_f64_e32 v[152:153], v[150:151]
	s_nop 0
	v_fma_f64 v[156:157], -v[150:151], v[152:153], 1.0
	v_fmac_f64_e32 v[152:153], v[152:153], v[156:157]
	v_fma_f64 v[156:157], -v[150:151], v[152:153], 1.0
	v_fmac_f64_e32 v[152:153], v[152:153], v[156:157]
	v_div_scale_f64 v[156:157], vcc, 1.0, v[148:149], 1.0
	v_mul_f64 v[158:159], v[156:157], v[152:153]
	v_fma_f64 v[150:151], -v[150:151], v[158:159], v[156:157]
	s_nop 1
	v_div_fmas_f64 v[150:151], v[150:151], v[152:153], v[158:159]
	v_div_fixup_f64 v[152:153], v[150:151], v[148:149], 1.0
	v_mul_f64 v[154:155], v[154:155], -v[152:153]
.LBB73_52:
	s_or_b64 exec, exec, s[2:3]
	ds_write2_b64 v191, v[152:153], v[154:155] offset1:1
.LBB73_53:
	s_or_b64 exec, exec, s[4:5]
	s_waitcnt lgkmcnt(0)
	s_barrier
	ds_read2_b64 v[148:151], v191 offset1:1
	v_cmp_lt_u32_e32 vcc, 5, v190
	s_waitcnt lgkmcnt(0)
	scratch_store_dwordx4 off, v[148:151], off offset:136 ; 16-byte Folded Spill
	s_and_saveexec_b64 s[2:3], vcc
	s_cbranch_execz .LBB73_55
; %bb.54:
	scratch_load_dwordx4 v[150:153], off, off offset:136 ; 16-byte Folded Reload
	s_waitcnt vmcnt(0)
	v_mul_f64 v[148:149], v[152:153], v[122:123]
	v_mul_f64 v[122:123], v[150:151], v[122:123]
	v_fma_f64 v[148:149], v[150:151], v[120:121], -v[148:149]
	v_fmac_f64_e32 v[122:123], v[152:153], v[120:121]
	ds_read2_b64 v[150:153], v192 offset0:12 offset1:13
	s_waitcnt lgkmcnt(0)
	v_mul_f64 v[120:121], v[152:153], v[122:123]
	v_fma_f64 v[120:121], v[150:151], v[148:149], -v[120:121]
	v_mul_f64 v[150:151], v[150:151], v[122:123]
	v_fmac_f64_e32 v[150:151], v[152:153], v[148:149]
	v_add_f64 v[118:119], v[118:119], -v[150:151]
	ds_read2_b64 v[150:153], v192 offset0:14 offset1:15
	v_add_f64 v[116:117], v[116:117], -v[120:121]
	s_waitcnt lgkmcnt(0)
	v_mul_f64 v[120:121], v[152:153], v[122:123]
	v_fma_f64 v[120:121], v[150:151], v[148:149], -v[120:121]
	v_mul_f64 v[150:151], v[150:151], v[122:123]
	v_fmac_f64_e32 v[150:151], v[152:153], v[148:149]
	v_add_f64 v[114:115], v[114:115], -v[150:151]
	ds_read2_b64 v[150:153], v192 offset0:16 offset1:17
	v_add_f64 v[112:113], v[112:113], -v[120:121]
	;; [unrolled: 8-line block ×30, first 2 shown]
	s_waitcnt lgkmcnt(0)
	v_mul_f64 v[120:121], v[152:153], v[122:123]
	v_fma_f64 v[120:121], v[150:151], v[148:149], -v[120:121]
	v_mul_f64 v[150:151], v[150:151], v[122:123]
	v_fmac_f64_e32 v[150:151], v[152:153], v[148:149]
	v_add_f64 v[144:145], v[144:145], -v[120:121]
	v_add_f64 v[146:147], v[146:147], -v[150:151]
	v_mov_b64_e32 v[120:121], v[148:149]
.LBB73_55:
	s_or_b64 exec, exec, s[2:3]
	v_cmp_eq_u32_e32 vcc, 6, v190
	s_barrier
	s_and_saveexec_b64 s[4:5], vcc
	s_cbranch_execz .LBB73_62
; %bb.56:
	s_waitcnt vmcnt(42)
	ds_write2_b64 v191, v[116:117], v[118:119] offset1:1
	s_waitcnt vmcnt(41)
	ds_write2_b64 v192, v[112:113], v[114:115] offset0:14 offset1:15
	s_waitcnt vmcnt(40)
	ds_write2_b64 v192, v[108:109], v[110:111] offset0:16 offset1:17
	;; [unrolled: 2-line block ×28, first 2 shown]
	ds_write2_b64 v192, v[0:1], v[2:3] offset0:70 offset1:71
	s_waitcnt vmcnt(7)
	ds_write2_b64 v192, v[144:145], v[146:147] offset0:72 offset1:73
	ds_read2_b64 v[148:151], v191 offset1:1
	s_waitcnt lgkmcnt(0)
	v_cmp_neq_f64_e32 vcc, 0, v[148:149]
	v_cmp_neq_f64_e64 s[2:3], 0, v[150:151]
	s_or_b64 s[2:3], vcc, s[2:3]
	s_and_b64 exec, exec, s[2:3]
	s_cbranch_execz .LBB73_62
; %bb.57:
	v_cmp_ngt_f64_e64 s[2:3], |v[148:149]|, |v[150:151]|
                                        ; implicit-def: $vgpr152_vgpr153
	s_and_saveexec_b64 s[10:11], s[2:3]
	s_xor_b64 s[2:3], exec, s[10:11]
                                        ; implicit-def: $vgpr154_vgpr155
	s_cbranch_execz .LBB73_59
; %bb.58:
	v_div_scale_f64 v[152:153], s[10:11], v[150:151], v[150:151], v[148:149]
	v_rcp_f64_e32 v[154:155], v[152:153]
	v_div_scale_f64 v[156:157], vcc, v[148:149], v[150:151], v[148:149]
	v_fma_f64 v[158:159], -v[152:153], v[154:155], 1.0
	v_fmac_f64_e32 v[154:155], v[154:155], v[158:159]
	v_fma_f64 v[158:159], -v[152:153], v[154:155], 1.0
	v_fmac_f64_e32 v[154:155], v[154:155], v[158:159]
	v_mul_f64 v[158:159], v[156:157], v[154:155]
	v_fma_f64 v[152:153], -v[152:153], v[158:159], v[156:157]
	v_div_fmas_f64 v[152:153], v[152:153], v[154:155], v[158:159]
	v_div_fixup_f64 v[152:153], v[152:153], v[150:151], v[148:149]
	v_fmac_f64_e32 v[150:151], v[148:149], v[152:153]
	v_div_scale_f64 v[148:149], s[10:11], v[150:151], v[150:151], 1.0
	v_rcp_f64_e32 v[154:155], v[148:149]
	s_nop 0
	v_fma_f64 v[156:157], -v[148:149], v[154:155], 1.0
	v_fmac_f64_e32 v[154:155], v[154:155], v[156:157]
	v_fma_f64 v[156:157], -v[148:149], v[154:155], 1.0
	v_fmac_f64_e32 v[154:155], v[154:155], v[156:157]
	v_div_scale_f64 v[156:157], vcc, 1.0, v[150:151], 1.0
	v_mul_f64 v[158:159], v[156:157], v[154:155]
	v_fma_f64 v[148:149], -v[148:149], v[158:159], v[156:157]
	s_nop 1
	v_div_fmas_f64 v[148:149], v[148:149], v[154:155], v[158:159]
	v_div_fixup_f64 v[154:155], v[148:149], v[150:151], 1.0
	v_mul_f64 v[152:153], v[152:153], v[154:155]
	v_xor_b32_e32 v155, 0x80000000, v155
                                        ; implicit-def: $vgpr148_vgpr149
.LBB73_59:
	s_andn2_saveexec_b64 s[2:3], s[2:3]
	s_cbranch_execz .LBB73_61
; %bb.60:
	v_div_scale_f64 v[152:153], s[10:11], v[148:149], v[148:149], v[150:151]
	v_rcp_f64_e32 v[154:155], v[152:153]
	v_div_scale_f64 v[156:157], vcc, v[150:151], v[148:149], v[150:151]
	v_fma_f64 v[158:159], -v[152:153], v[154:155], 1.0
	v_fmac_f64_e32 v[154:155], v[154:155], v[158:159]
	v_fma_f64 v[158:159], -v[152:153], v[154:155], 1.0
	v_fmac_f64_e32 v[154:155], v[154:155], v[158:159]
	v_mul_f64 v[158:159], v[156:157], v[154:155]
	v_fma_f64 v[152:153], -v[152:153], v[158:159], v[156:157]
	v_div_fmas_f64 v[152:153], v[152:153], v[154:155], v[158:159]
	v_div_fixup_f64 v[154:155], v[152:153], v[148:149], v[150:151]
	v_fmac_f64_e32 v[148:149], v[150:151], v[154:155]
	v_div_scale_f64 v[150:151], s[10:11], v[148:149], v[148:149], 1.0
	v_rcp_f64_e32 v[152:153], v[150:151]
	s_nop 0
	v_fma_f64 v[156:157], -v[150:151], v[152:153], 1.0
	v_fmac_f64_e32 v[152:153], v[152:153], v[156:157]
	v_fma_f64 v[156:157], -v[150:151], v[152:153], 1.0
	v_fmac_f64_e32 v[152:153], v[152:153], v[156:157]
	v_div_scale_f64 v[156:157], vcc, 1.0, v[148:149], 1.0
	v_mul_f64 v[158:159], v[156:157], v[152:153]
	v_fma_f64 v[150:151], -v[150:151], v[158:159], v[156:157]
	s_nop 1
	v_div_fmas_f64 v[150:151], v[150:151], v[152:153], v[158:159]
	v_div_fixup_f64 v[152:153], v[150:151], v[148:149], 1.0
	v_mul_f64 v[154:155], v[154:155], -v[152:153]
.LBB73_61:
	s_or_b64 exec, exec, s[2:3]
	ds_write2_b64 v191, v[152:153], v[154:155] offset1:1
.LBB73_62:
	s_or_b64 exec, exec, s[4:5]
	s_waitcnt lgkmcnt(0)
	s_barrier
	ds_read2_b64 v[148:151], v191 offset1:1
	v_cmp_lt_u32_e32 vcc, 6, v190
	s_waitcnt lgkmcnt(0)
	scratch_store_dwordx4 off, v[148:151], off offset:152 ; 16-byte Folded Spill
	s_and_saveexec_b64 s[2:3], vcc
	s_cbranch_execz .LBB73_64
; %bb.63:
	scratch_load_dwordx4 v[150:153], off, off offset:152 ; 16-byte Folded Reload
	s_waitcnt vmcnt(0)
	v_mul_f64 v[148:149], v[152:153], v[118:119]
	v_mul_f64 v[118:119], v[150:151], v[118:119]
	v_fma_f64 v[148:149], v[150:151], v[116:117], -v[148:149]
	v_fmac_f64_e32 v[118:119], v[152:153], v[116:117]
	ds_read2_b64 v[150:153], v192 offset0:14 offset1:15
	s_waitcnt lgkmcnt(0)
	v_mul_f64 v[116:117], v[152:153], v[118:119]
	v_fma_f64 v[116:117], v[150:151], v[148:149], -v[116:117]
	v_mul_f64 v[150:151], v[150:151], v[118:119]
	v_fmac_f64_e32 v[150:151], v[152:153], v[148:149]
	v_add_f64 v[114:115], v[114:115], -v[150:151]
	ds_read2_b64 v[150:153], v192 offset0:16 offset1:17
	v_add_f64 v[112:113], v[112:113], -v[116:117]
	s_waitcnt lgkmcnt(0)
	v_mul_f64 v[116:117], v[152:153], v[118:119]
	v_fma_f64 v[116:117], v[150:151], v[148:149], -v[116:117]
	v_mul_f64 v[150:151], v[150:151], v[118:119]
	v_fmac_f64_e32 v[150:151], v[152:153], v[148:149]
	v_add_f64 v[110:111], v[110:111], -v[150:151]
	ds_read2_b64 v[150:153], v192 offset0:18 offset1:19
	v_add_f64 v[108:109], v[108:109], -v[116:117]
	;; [unrolled: 8-line block ×29, first 2 shown]
	s_waitcnt lgkmcnt(0)
	v_mul_f64 v[116:117], v[152:153], v[118:119]
	v_fma_f64 v[116:117], v[150:151], v[148:149], -v[116:117]
	v_mul_f64 v[150:151], v[150:151], v[118:119]
	v_fmac_f64_e32 v[150:151], v[152:153], v[148:149]
	v_add_f64 v[144:145], v[144:145], -v[116:117]
	v_add_f64 v[146:147], v[146:147], -v[150:151]
	v_mov_b64_e32 v[116:117], v[148:149]
.LBB73_64:
	s_or_b64 exec, exec, s[2:3]
	v_cmp_eq_u32_e32 vcc, 7, v190
	s_barrier
	s_and_saveexec_b64 s[4:5], vcc
	s_cbranch_execz .LBB73_71
; %bb.65:
	s_waitcnt vmcnt(42)
	ds_write2_b64 v191, v[112:113], v[114:115] offset1:1
	s_waitcnt vmcnt(41)
	ds_write2_b64 v192, v[108:109], v[110:111] offset0:16 offset1:17
	s_waitcnt vmcnt(40)
	ds_write2_b64 v192, v[104:105], v[106:107] offset0:18 offset1:19
	s_waitcnt vmcnt(39)
	ds_write2_b64 v192, v[100:101], v[102:103] offset0:20 offset1:21
	s_waitcnt vmcnt(38)
	ds_write2_b64 v192, v[96:97], v[98:99] offset0:22 offset1:23
	s_waitcnt vmcnt(37)
	ds_write2_b64 v192, v[92:93], v[94:95] offset0:24 offset1:25
	s_waitcnt vmcnt(36)
	ds_write2_b64 v192, v[88:89], v[90:91] offset0:26 offset1:27
	s_waitcnt vmcnt(35)
	ds_write2_b64 v192, v[84:85], v[86:87] offset0:28 offset1:29
	s_waitcnt vmcnt(34)
	ds_write2_b64 v192, v[80:81], v[82:83] offset0:30 offset1:31
	s_waitcnt vmcnt(33)
	ds_write2_b64 v192, v[76:77], v[78:79] offset0:32 offset1:33
	s_waitcnt vmcnt(32)
	ds_write2_b64 v192, v[72:73], v[74:75] offset0:34 offset1:35
	s_waitcnt vmcnt(31)
	ds_write2_b64 v192, v[68:69], v[70:71] offset0:36 offset1:37
	s_waitcnt vmcnt(30)
	ds_write2_b64 v192, v[64:65], v[66:67] offset0:38 offset1:39
	s_waitcnt vmcnt(29)
	ds_write2_b64 v192, v[60:61], v[62:63] offset0:40 offset1:41
	s_waitcnt vmcnt(28)
	ds_write2_b64 v192, v[56:57], v[58:59] offset0:42 offset1:43
	s_waitcnt vmcnt(27)
	ds_write2_b64 v192, v[52:53], v[54:55] offset0:44 offset1:45
	s_waitcnt vmcnt(26)
	ds_write2_b64 v192, v[48:49], v[50:51] offset0:46 offset1:47
	s_waitcnt vmcnt(25)
	ds_write2_b64 v192, v[44:45], v[46:47] offset0:48 offset1:49
	s_waitcnt vmcnt(24)
	ds_write2_b64 v192, v[40:41], v[42:43] offset0:50 offset1:51
	s_waitcnt vmcnt(23)
	ds_write2_b64 v192, v[36:37], v[38:39] offset0:52 offset1:53
	s_waitcnt vmcnt(22)
	ds_write2_b64 v192, v[32:33], v[34:35] offset0:54 offset1:55
	s_waitcnt vmcnt(21)
	ds_write2_b64 v192, v[28:29], v[30:31] offset0:56 offset1:57
	s_waitcnt vmcnt(20)
	ds_write2_b64 v192, v[24:25], v[26:27] offset0:58 offset1:59
	s_waitcnt vmcnt(19)
	ds_write2_b64 v192, v[20:21], v[22:23] offset0:60 offset1:61
	s_waitcnt vmcnt(18)
	ds_write2_b64 v192, v[16:17], v[18:19] offset0:62 offset1:63
	s_waitcnt vmcnt(17)
	ds_write2_b64 v192, v[12:13], v[14:15] offset0:64 offset1:65
	s_waitcnt vmcnt(12)
	ds_write2_b64 v192, v[8:9], v[10:11] offset0:66 offset1:67
	s_waitcnt vmcnt(10)
	ds_write2_b64 v192, v[4:5], v[6:7] offset0:68 offset1:69
	ds_write2_b64 v192, v[0:1], v[2:3] offset0:70 offset1:71
	s_waitcnt vmcnt(8)
	ds_write2_b64 v192, v[144:145], v[146:147] offset0:72 offset1:73
	ds_read2_b64 v[148:151], v191 offset1:1
	s_waitcnt lgkmcnt(0)
	v_cmp_neq_f64_e32 vcc, 0, v[148:149]
	v_cmp_neq_f64_e64 s[2:3], 0, v[150:151]
	s_or_b64 s[2:3], vcc, s[2:3]
	s_and_b64 exec, exec, s[2:3]
	s_cbranch_execz .LBB73_71
; %bb.66:
	v_cmp_ngt_f64_e64 s[2:3], |v[148:149]|, |v[150:151]|
                                        ; implicit-def: $vgpr152_vgpr153
	s_and_saveexec_b64 s[10:11], s[2:3]
	s_xor_b64 s[2:3], exec, s[10:11]
                                        ; implicit-def: $vgpr154_vgpr155
	s_cbranch_execz .LBB73_68
; %bb.67:
	v_div_scale_f64 v[152:153], s[10:11], v[150:151], v[150:151], v[148:149]
	v_rcp_f64_e32 v[154:155], v[152:153]
	v_div_scale_f64 v[156:157], vcc, v[148:149], v[150:151], v[148:149]
	v_fma_f64 v[158:159], -v[152:153], v[154:155], 1.0
	v_fmac_f64_e32 v[154:155], v[154:155], v[158:159]
	v_fma_f64 v[158:159], -v[152:153], v[154:155], 1.0
	v_fmac_f64_e32 v[154:155], v[154:155], v[158:159]
	v_mul_f64 v[158:159], v[156:157], v[154:155]
	v_fma_f64 v[152:153], -v[152:153], v[158:159], v[156:157]
	v_div_fmas_f64 v[152:153], v[152:153], v[154:155], v[158:159]
	v_div_fixup_f64 v[152:153], v[152:153], v[150:151], v[148:149]
	v_fmac_f64_e32 v[150:151], v[148:149], v[152:153]
	v_div_scale_f64 v[148:149], s[10:11], v[150:151], v[150:151], 1.0
	v_rcp_f64_e32 v[154:155], v[148:149]
	s_nop 0
	v_fma_f64 v[156:157], -v[148:149], v[154:155], 1.0
	v_fmac_f64_e32 v[154:155], v[154:155], v[156:157]
	v_fma_f64 v[156:157], -v[148:149], v[154:155], 1.0
	v_fmac_f64_e32 v[154:155], v[154:155], v[156:157]
	v_div_scale_f64 v[156:157], vcc, 1.0, v[150:151], 1.0
	v_mul_f64 v[158:159], v[156:157], v[154:155]
	v_fma_f64 v[148:149], -v[148:149], v[158:159], v[156:157]
	s_nop 1
	v_div_fmas_f64 v[148:149], v[148:149], v[154:155], v[158:159]
	v_div_fixup_f64 v[154:155], v[148:149], v[150:151], 1.0
	v_mul_f64 v[152:153], v[152:153], v[154:155]
	v_xor_b32_e32 v155, 0x80000000, v155
                                        ; implicit-def: $vgpr148_vgpr149
.LBB73_68:
	s_andn2_saveexec_b64 s[2:3], s[2:3]
	s_cbranch_execz .LBB73_70
; %bb.69:
	v_div_scale_f64 v[152:153], s[10:11], v[148:149], v[148:149], v[150:151]
	v_rcp_f64_e32 v[154:155], v[152:153]
	v_div_scale_f64 v[156:157], vcc, v[150:151], v[148:149], v[150:151]
	v_fma_f64 v[158:159], -v[152:153], v[154:155], 1.0
	v_fmac_f64_e32 v[154:155], v[154:155], v[158:159]
	v_fma_f64 v[158:159], -v[152:153], v[154:155], 1.0
	v_fmac_f64_e32 v[154:155], v[154:155], v[158:159]
	v_mul_f64 v[158:159], v[156:157], v[154:155]
	v_fma_f64 v[152:153], -v[152:153], v[158:159], v[156:157]
	v_div_fmas_f64 v[152:153], v[152:153], v[154:155], v[158:159]
	v_div_fixup_f64 v[154:155], v[152:153], v[148:149], v[150:151]
	v_fmac_f64_e32 v[148:149], v[150:151], v[154:155]
	v_div_scale_f64 v[150:151], s[10:11], v[148:149], v[148:149], 1.0
	v_rcp_f64_e32 v[152:153], v[150:151]
	s_nop 0
	v_fma_f64 v[156:157], -v[150:151], v[152:153], 1.0
	v_fmac_f64_e32 v[152:153], v[152:153], v[156:157]
	v_fma_f64 v[156:157], -v[150:151], v[152:153], 1.0
	v_fmac_f64_e32 v[152:153], v[152:153], v[156:157]
	v_div_scale_f64 v[156:157], vcc, 1.0, v[148:149], 1.0
	v_mul_f64 v[158:159], v[156:157], v[152:153]
	v_fma_f64 v[150:151], -v[150:151], v[158:159], v[156:157]
	s_nop 1
	v_div_fmas_f64 v[150:151], v[150:151], v[152:153], v[158:159]
	v_div_fixup_f64 v[152:153], v[150:151], v[148:149], 1.0
	v_mul_f64 v[154:155], v[154:155], -v[152:153]
.LBB73_70:
	s_or_b64 exec, exec, s[2:3]
	ds_write2_b64 v191, v[152:153], v[154:155] offset1:1
.LBB73_71:
	s_or_b64 exec, exec, s[4:5]
	s_waitcnt lgkmcnt(0)
	s_barrier
	ds_read2_b64 v[148:151], v191 offset1:1
	v_cmp_lt_u32_e32 vcc, 7, v190
	s_waitcnt lgkmcnt(0)
	scratch_store_dwordx4 off, v[148:151], off offset:168 ; 16-byte Folded Spill
	s_and_saveexec_b64 s[2:3], vcc
	s_cbranch_execz .LBB73_73
; %bb.72:
	scratch_load_dwordx4 v[150:153], off, off offset:168 ; 16-byte Folded Reload
	s_waitcnt vmcnt(0)
	v_mul_f64 v[148:149], v[152:153], v[114:115]
	v_mul_f64 v[114:115], v[150:151], v[114:115]
	v_fma_f64 v[148:149], v[150:151], v[112:113], -v[148:149]
	v_fmac_f64_e32 v[114:115], v[152:153], v[112:113]
	ds_read2_b64 v[150:153], v192 offset0:16 offset1:17
	s_waitcnt lgkmcnt(0)
	v_mul_f64 v[112:113], v[152:153], v[114:115]
	v_fma_f64 v[112:113], v[150:151], v[148:149], -v[112:113]
	v_mul_f64 v[150:151], v[150:151], v[114:115]
	v_fmac_f64_e32 v[150:151], v[152:153], v[148:149]
	v_add_f64 v[110:111], v[110:111], -v[150:151]
	ds_read2_b64 v[150:153], v192 offset0:18 offset1:19
	v_add_f64 v[108:109], v[108:109], -v[112:113]
	s_waitcnt lgkmcnt(0)
	v_mul_f64 v[112:113], v[152:153], v[114:115]
	v_fma_f64 v[112:113], v[150:151], v[148:149], -v[112:113]
	v_mul_f64 v[150:151], v[150:151], v[114:115]
	v_fmac_f64_e32 v[150:151], v[152:153], v[148:149]
	v_add_f64 v[106:107], v[106:107], -v[150:151]
	ds_read2_b64 v[150:153], v192 offset0:20 offset1:21
	v_add_f64 v[104:105], v[104:105], -v[112:113]
	;; [unrolled: 8-line block ×28, first 2 shown]
	s_waitcnt lgkmcnt(0)
	v_mul_f64 v[112:113], v[152:153], v[114:115]
	v_fma_f64 v[112:113], v[150:151], v[148:149], -v[112:113]
	v_mul_f64 v[150:151], v[150:151], v[114:115]
	v_fmac_f64_e32 v[150:151], v[152:153], v[148:149]
	v_add_f64 v[144:145], v[144:145], -v[112:113]
	v_add_f64 v[146:147], v[146:147], -v[150:151]
	v_mov_b64_e32 v[112:113], v[148:149]
.LBB73_73:
	s_or_b64 exec, exec, s[2:3]
	v_cmp_eq_u32_e32 vcc, 8, v190
	s_barrier
	s_and_saveexec_b64 s[4:5], vcc
	s_cbranch_execz .LBB73_80
; %bb.74:
	s_waitcnt vmcnt(42)
	ds_write2_b64 v191, v[108:109], v[110:111] offset1:1
	s_waitcnt vmcnt(41)
	ds_write2_b64 v192, v[104:105], v[106:107] offset0:18 offset1:19
	s_waitcnt vmcnt(40)
	ds_write2_b64 v192, v[100:101], v[102:103] offset0:20 offset1:21
	;; [unrolled: 2-line block ×26, first 2 shown]
	ds_write2_b64 v192, v[0:1], v[2:3] offset0:70 offset1:71
	s_waitcnt vmcnt(9)
	ds_write2_b64 v192, v[144:145], v[146:147] offset0:72 offset1:73
	ds_read2_b64 v[148:151], v191 offset1:1
	s_waitcnt lgkmcnt(0)
	v_cmp_neq_f64_e32 vcc, 0, v[148:149]
	v_cmp_neq_f64_e64 s[2:3], 0, v[150:151]
	s_or_b64 s[2:3], vcc, s[2:3]
	s_and_b64 exec, exec, s[2:3]
	s_cbranch_execz .LBB73_80
; %bb.75:
	v_cmp_ngt_f64_e64 s[2:3], |v[148:149]|, |v[150:151]|
                                        ; implicit-def: $vgpr152_vgpr153
	s_and_saveexec_b64 s[10:11], s[2:3]
	s_xor_b64 s[2:3], exec, s[10:11]
                                        ; implicit-def: $vgpr154_vgpr155
	s_cbranch_execz .LBB73_77
; %bb.76:
	v_div_scale_f64 v[152:153], s[10:11], v[150:151], v[150:151], v[148:149]
	v_rcp_f64_e32 v[154:155], v[152:153]
	v_div_scale_f64 v[156:157], vcc, v[148:149], v[150:151], v[148:149]
	v_fma_f64 v[158:159], -v[152:153], v[154:155], 1.0
	v_fmac_f64_e32 v[154:155], v[154:155], v[158:159]
	v_fma_f64 v[158:159], -v[152:153], v[154:155], 1.0
	v_fmac_f64_e32 v[154:155], v[154:155], v[158:159]
	v_mul_f64 v[158:159], v[156:157], v[154:155]
	v_fma_f64 v[152:153], -v[152:153], v[158:159], v[156:157]
	v_div_fmas_f64 v[152:153], v[152:153], v[154:155], v[158:159]
	v_div_fixup_f64 v[152:153], v[152:153], v[150:151], v[148:149]
	v_fmac_f64_e32 v[150:151], v[148:149], v[152:153]
	v_div_scale_f64 v[148:149], s[10:11], v[150:151], v[150:151], 1.0
	v_rcp_f64_e32 v[154:155], v[148:149]
	s_nop 0
	v_fma_f64 v[156:157], -v[148:149], v[154:155], 1.0
	v_fmac_f64_e32 v[154:155], v[154:155], v[156:157]
	v_fma_f64 v[156:157], -v[148:149], v[154:155], 1.0
	v_fmac_f64_e32 v[154:155], v[154:155], v[156:157]
	v_div_scale_f64 v[156:157], vcc, 1.0, v[150:151], 1.0
	v_mul_f64 v[158:159], v[156:157], v[154:155]
	v_fma_f64 v[148:149], -v[148:149], v[158:159], v[156:157]
	s_nop 1
	v_div_fmas_f64 v[148:149], v[148:149], v[154:155], v[158:159]
	v_div_fixup_f64 v[154:155], v[148:149], v[150:151], 1.0
	v_mul_f64 v[152:153], v[152:153], v[154:155]
	v_xor_b32_e32 v155, 0x80000000, v155
                                        ; implicit-def: $vgpr148_vgpr149
.LBB73_77:
	s_andn2_saveexec_b64 s[2:3], s[2:3]
	s_cbranch_execz .LBB73_79
; %bb.78:
	v_div_scale_f64 v[152:153], s[10:11], v[148:149], v[148:149], v[150:151]
	v_rcp_f64_e32 v[154:155], v[152:153]
	v_div_scale_f64 v[156:157], vcc, v[150:151], v[148:149], v[150:151]
	v_fma_f64 v[158:159], -v[152:153], v[154:155], 1.0
	v_fmac_f64_e32 v[154:155], v[154:155], v[158:159]
	v_fma_f64 v[158:159], -v[152:153], v[154:155], 1.0
	v_fmac_f64_e32 v[154:155], v[154:155], v[158:159]
	v_mul_f64 v[158:159], v[156:157], v[154:155]
	v_fma_f64 v[152:153], -v[152:153], v[158:159], v[156:157]
	v_div_fmas_f64 v[152:153], v[152:153], v[154:155], v[158:159]
	v_div_fixup_f64 v[154:155], v[152:153], v[148:149], v[150:151]
	v_fmac_f64_e32 v[148:149], v[150:151], v[154:155]
	v_div_scale_f64 v[150:151], s[10:11], v[148:149], v[148:149], 1.0
	v_rcp_f64_e32 v[152:153], v[150:151]
	s_nop 0
	v_fma_f64 v[156:157], -v[150:151], v[152:153], 1.0
	v_fmac_f64_e32 v[152:153], v[152:153], v[156:157]
	v_fma_f64 v[156:157], -v[150:151], v[152:153], 1.0
	v_fmac_f64_e32 v[152:153], v[152:153], v[156:157]
	v_div_scale_f64 v[156:157], vcc, 1.0, v[148:149], 1.0
	v_mul_f64 v[158:159], v[156:157], v[152:153]
	v_fma_f64 v[150:151], -v[150:151], v[158:159], v[156:157]
	s_nop 1
	v_div_fmas_f64 v[150:151], v[150:151], v[152:153], v[158:159]
	v_div_fixup_f64 v[152:153], v[150:151], v[148:149], 1.0
	v_mul_f64 v[154:155], v[154:155], -v[152:153]
.LBB73_79:
	s_or_b64 exec, exec, s[2:3]
	ds_write2_b64 v191, v[152:153], v[154:155] offset1:1
.LBB73_80:
	s_or_b64 exec, exec, s[4:5]
	s_waitcnt lgkmcnt(0)
	s_barrier
	ds_read2_b64 v[148:151], v191 offset1:1
	v_cmp_lt_u32_e32 vcc, 8, v190
	s_waitcnt lgkmcnt(0)
	scratch_store_dwordx4 off, v[148:151], off offset:184 ; 16-byte Folded Spill
	s_and_saveexec_b64 s[2:3], vcc
	s_cbranch_execz .LBB73_82
; %bb.81:
	scratch_load_dwordx4 v[150:153], off, off offset:184 ; 16-byte Folded Reload
	s_waitcnt vmcnt(0)
	v_mul_f64 v[148:149], v[152:153], v[110:111]
	v_mul_f64 v[110:111], v[150:151], v[110:111]
	v_fma_f64 v[148:149], v[150:151], v[108:109], -v[148:149]
	v_fmac_f64_e32 v[110:111], v[152:153], v[108:109]
	ds_read2_b64 v[150:153], v192 offset0:18 offset1:19
	s_waitcnt lgkmcnt(0)
	v_mul_f64 v[108:109], v[152:153], v[110:111]
	v_fma_f64 v[108:109], v[150:151], v[148:149], -v[108:109]
	v_mul_f64 v[150:151], v[150:151], v[110:111]
	v_fmac_f64_e32 v[150:151], v[152:153], v[148:149]
	v_add_f64 v[106:107], v[106:107], -v[150:151]
	ds_read2_b64 v[150:153], v192 offset0:20 offset1:21
	v_add_f64 v[104:105], v[104:105], -v[108:109]
	s_waitcnt lgkmcnt(0)
	v_mul_f64 v[108:109], v[152:153], v[110:111]
	v_fma_f64 v[108:109], v[150:151], v[148:149], -v[108:109]
	v_mul_f64 v[150:151], v[150:151], v[110:111]
	v_fmac_f64_e32 v[150:151], v[152:153], v[148:149]
	v_add_f64 v[102:103], v[102:103], -v[150:151]
	ds_read2_b64 v[150:153], v192 offset0:22 offset1:23
	v_add_f64 v[100:101], v[100:101], -v[108:109]
	;; [unrolled: 8-line block ×27, first 2 shown]
	s_waitcnt lgkmcnt(0)
	v_mul_f64 v[108:109], v[152:153], v[110:111]
	v_fma_f64 v[108:109], v[150:151], v[148:149], -v[108:109]
	v_mul_f64 v[150:151], v[150:151], v[110:111]
	v_fmac_f64_e32 v[150:151], v[152:153], v[148:149]
	v_add_f64 v[144:145], v[144:145], -v[108:109]
	v_add_f64 v[146:147], v[146:147], -v[150:151]
	v_mov_b64_e32 v[108:109], v[148:149]
.LBB73_82:
	s_or_b64 exec, exec, s[2:3]
	v_cmp_eq_u32_e32 vcc, 9, v190
	s_barrier
	s_and_saveexec_b64 s[4:5], vcc
	s_cbranch_execz .LBB73_89
; %bb.83:
	s_waitcnt vmcnt(42)
	ds_write2_b64 v191, v[104:105], v[106:107] offset1:1
	s_waitcnt vmcnt(41)
	ds_write2_b64 v192, v[100:101], v[102:103] offset0:20 offset1:21
	s_waitcnt vmcnt(40)
	ds_write2_b64 v192, v[96:97], v[98:99] offset0:22 offset1:23
	;; [unrolled: 2-line block ×25, first 2 shown]
	ds_write2_b64 v192, v[0:1], v[2:3] offset0:70 offset1:71
	s_waitcnt vmcnt(10)
	ds_write2_b64 v192, v[144:145], v[146:147] offset0:72 offset1:73
	ds_read2_b64 v[148:151], v191 offset1:1
	s_waitcnt lgkmcnt(0)
	v_cmp_neq_f64_e32 vcc, 0, v[148:149]
	v_cmp_neq_f64_e64 s[2:3], 0, v[150:151]
	s_or_b64 s[2:3], vcc, s[2:3]
	s_and_b64 exec, exec, s[2:3]
	s_cbranch_execz .LBB73_89
; %bb.84:
	v_cmp_ngt_f64_e64 s[2:3], |v[148:149]|, |v[150:151]|
                                        ; implicit-def: $vgpr152_vgpr153
	s_and_saveexec_b64 s[10:11], s[2:3]
	s_xor_b64 s[2:3], exec, s[10:11]
                                        ; implicit-def: $vgpr154_vgpr155
	s_cbranch_execz .LBB73_86
; %bb.85:
	v_div_scale_f64 v[152:153], s[10:11], v[150:151], v[150:151], v[148:149]
	v_rcp_f64_e32 v[154:155], v[152:153]
	v_div_scale_f64 v[156:157], vcc, v[148:149], v[150:151], v[148:149]
	v_fma_f64 v[158:159], -v[152:153], v[154:155], 1.0
	v_fmac_f64_e32 v[154:155], v[154:155], v[158:159]
	v_fma_f64 v[158:159], -v[152:153], v[154:155], 1.0
	v_fmac_f64_e32 v[154:155], v[154:155], v[158:159]
	v_mul_f64 v[158:159], v[156:157], v[154:155]
	v_fma_f64 v[152:153], -v[152:153], v[158:159], v[156:157]
	v_div_fmas_f64 v[152:153], v[152:153], v[154:155], v[158:159]
	v_div_fixup_f64 v[152:153], v[152:153], v[150:151], v[148:149]
	v_fmac_f64_e32 v[150:151], v[148:149], v[152:153]
	v_div_scale_f64 v[148:149], s[10:11], v[150:151], v[150:151], 1.0
	v_rcp_f64_e32 v[154:155], v[148:149]
	s_nop 0
	v_fma_f64 v[156:157], -v[148:149], v[154:155], 1.0
	v_fmac_f64_e32 v[154:155], v[154:155], v[156:157]
	v_fma_f64 v[156:157], -v[148:149], v[154:155], 1.0
	v_fmac_f64_e32 v[154:155], v[154:155], v[156:157]
	v_div_scale_f64 v[156:157], vcc, 1.0, v[150:151], 1.0
	v_mul_f64 v[158:159], v[156:157], v[154:155]
	v_fma_f64 v[148:149], -v[148:149], v[158:159], v[156:157]
	s_nop 1
	v_div_fmas_f64 v[148:149], v[148:149], v[154:155], v[158:159]
	v_div_fixup_f64 v[154:155], v[148:149], v[150:151], 1.0
	v_mul_f64 v[152:153], v[152:153], v[154:155]
	v_xor_b32_e32 v155, 0x80000000, v155
                                        ; implicit-def: $vgpr148_vgpr149
.LBB73_86:
	s_andn2_saveexec_b64 s[2:3], s[2:3]
	s_cbranch_execz .LBB73_88
; %bb.87:
	v_div_scale_f64 v[152:153], s[10:11], v[148:149], v[148:149], v[150:151]
	v_rcp_f64_e32 v[154:155], v[152:153]
	v_div_scale_f64 v[156:157], vcc, v[150:151], v[148:149], v[150:151]
	v_fma_f64 v[158:159], -v[152:153], v[154:155], 1.0
	v_fmac_f64_e32 v[154:155], v[154:155], v[158:159]
	v_fma_f64 v[158:159], -v[152:153], v[154:155], 1.0
	v_fmac_f64_e32 v[154:155], v[154:155], v[158:159]
	v_mul_f64 v[158:159], v[156:157], v[154:155]
	v_fma_f64 v[152:153], -v[152:153], v[158:159], v[156:157]
	v_div_fmas_f64 v[152:153], v[152:153], v[154:155], v[158:159]
	v_div_fixup_f64 v[154:155], v[152:153], v[148:149], v[150:151]
	v_fmac_f64_e32 v[148:149], v[150:151], v[154:155]
	v_div_scale_f64 v[150:151], s[10:11], v[148:149], v[148:149], 1.0
	v_rcp_f64_e32 v[152:153], v[150:151]
	s_nop 0
	v_fma_f64 v[156:157], -v[150:151], v[152:153], 1.0
	v_fmac_f64_e32 v[152:153], v[152:153], v[156:157]
	v_fma_f64 v[156:157], -v[150:151], v[152:153], 1.0
	v_fmac_f64_e32 v[152:153], v[152:153], v[156:157]
	v_div_scale_f64 v[156:157], vcc, 1.0, v[148:149], 1.0
	v_mul_f64 v[158:159], v[156:157], v[152:153]
	v_fma_f64 v[150:151], -v[150:151], v[158:159], v[156:157]
	s_nop 1
	v_div_fmas_f64 v[150:151], v[150:151], v[152:153], v[158:159]
	v_div_fixup_f64 v[152:153], v[150:151], v[148:149], 1.0
	v_mul_f64 v[154:155], v[154:155], -v[152:153]
.LBB73_88:
	s_or_b64 exec, exec, s[2:3]
	ds_write2_b64 v191, v[152:153], v[154:155] offset1:1
.LBB73_89:
	s_or_b64 exec, exec, s[4:5]
	s_waitcnt lgkmcnt(0)
	s_barrier
	ds_read2_b64 v[148:151], v191 offset1:1
	v_cmp_lt_u32_e32 vcc, 9, v190
	s_waitcnt lgkmcnt(0)
	scratch_store_dwordx4 off, v[148:151], off offset:200 ; 16-byte Folded Spill
	s_and_saveexec_b64 s[2:3], vcc
	s_cbranch_execz .LBB73_91
; %bb.90:
	scratch_load_dwordx4 v[150:153], off, off offset:200 ; 16-byte Folded Reload
	s_waitcnt vmcnt(0)
	v_mul_f64 v[148:149], v[152:153], v[106:107]
	v_mul_f64 v[106:107], v[150:151], v[106:107]
	v_fma_f64 v[148:149], v[150:151], v[104:105], -v[148:149]
	v_fmac_f64_e32 v[106:107], v[152:153], v[104:105]
	ds_read2_b64 v[150:153], v192 offset0:20 offset1:21
	s_waitcnt lgkmcnt(0)
	v_mul_f64 v[104:105], v[152:153], v[106:107]
	v_fma_f64 v[104:105], v[150:151], v[148:149], -v[104:105]
	v_mul_f64 v[150:151], v[150:151], v[106:107]
	v_fmac_f64_e32 v[150:151], v[152:153], v[148:149]
	v_add_f64 v[102:103], v[102:103], -v[150:151]
	ds_read2_b64 v[150:153], v192 offset0:22 offset1:23
	v_add_f64 v[100:101], v[100:101], -v[104:105]
	s_waitcnt lgkmcnt(0)
	v_mul_f64 v[104:105], v[152:153], v[106:107]
	v_fma_f64 v[104:105], v[150:151], v[148:149], -v[104:105]
	v_mul_f64 v[150:151], v[150:151], v[106:107]
	v_fmac_f64_e32 v[150:151], v[152:153], v[148:149]
	v_add_f64 v[98:99], v[98:99], -v[150:151]
	ds_read2_b64 v[150:153], v192 offset0:24 offset1:25
	v_add_f64 v[96:97], v[96:97], -v[104:105]
	;; [unrolled: 8-line block ×26, first 2 shown]
	s_waitcnt lgkmcnt(0)
	v_mul_f64 v[104:105], v[152:153], v[106:107]
	v_fma_f64 v[104:105], v[150:151], v[148:149], -v[104:105]
	v_mul_f64 v[150:151], v[150:151], v[106:107]
	v_fmac_f64_e32 v[150:151], v[152:153], v[148:149]
	v_add_f64 v[144:145], v[144:145], -v[104:105]
	v_add_f64 v[146:147], v[146:147], -v[150:151]
	v_mov_b64_e32 v[104:105], v[148:149]
.LBB73_91:
	s_or_b64 exec, exec, s[2:3]
	v_cmp_eq_u32_e32 vcc, 10, v190
	s_barrier
	s_and_saveexec_b64 s[4:5], vcc
	s_cbranch_execz .LBB73_98
; %bb.92:
	s_waitcnt vmcnt(42)
	ds_write2_b64 v191, v[100:101], v[102:103] offset1:1
	s_waitcnt vmcnt(41)
	ds_write2_b64 v192, v[96:97], v[98:99] offset0:22 offset1:23
	s_waitcnt vmcnt(40)
	ds_write2_b64 v192, v[92:93], v[94:95] offset0:24 offset1:25
	;; [unrolled: 2-line block ×24, first 2 shown]
	ds_write2_b64 v192, v[0:1], v[2:3] offset0:70 offset1:71
	s_waitcnt vmcnt(11)
	ds_write2_b64 v192, v[144:145], v[146:147] offset0:72 offset1:73
	ds_read2_b64 v[148:151], v191 offset1:1
	s_waitcnt lgkmcnt(0)
	v_cmp_neq_f64_e32 vcc, 0, v[148:149]
	v_cmp_neq_f64_e64 s[2:3], 0, v[150:151]
	s_or_b64 s[2:3], vcc, s[2:3]
	s_and_b64 exec, exec, s[2:3]
	s_cbranch_execz .LBB73_98
; %bb.93:
	v_cmp_ngt_f64_e64 s[2:3], |v[148:149]|, |v[150:151]|
                                        ; implicit-def: $vgpr152_vgpr153
	s_and_saveexec_b64 s[10:11], s[2:3]
	s_xor_b64 s[2:3], exec, s[10:11]
                                        ; implicit-def: $vgpr154_vgpr155
	s_cbranch_execz .LBB73_95
; %bb.94:
	v_div_scale_f64 v[152:153], s[10:11], v[150:151], v[150:151], v[148:149]
	v_rcp_f64_e32 v[154:155], v[152:153]
	v_div_scale_f64 v[156:157], vcc, v[148:149], v[150:151], v[148:149]
	v_fma_f64 v[158:159], -v[152:153], v[154:155], 1.0
	v_fmac_f64_e32 v[154:155], v[154:155], v[158:159]
	v_fma_f64 v[158:159], -v[152:153], v[154:155], 1.0
	v_fmac_f64_e32 v[154:155], v[154:155], v[158:159]
	v_mul_f64 v[158:159], v[156:157], v[154:155]
	v_fma_f64 v[152:153], -v[152:153], v[158:159], v[156:157]
	v_div_fmas_f64 v[152:153], v[152:153], v[154:155], v[158:159]
	v_div_fixup_f64 v[152:153], v[152:153], v[150:151], v[148:149]
	v_fmac_f64_e32 v[150:151], v[148:149], v[152:153]
	v_div_scale_f64 v[148:149], s[10:11], v[150:151], v[150:151], 1.0
	v_rcp_f64_e32 v[154:155], v[148:149]
	s_nop 0
	v_fma_f64 v[156:157], -v[148:149], v[154:155], 1.0
	v_fmac_f64_e32 v[154:155], v[154:155], v[156:157]
	v_fma_f64 v[156:157], -v[148:149], v[154:155], 1.0
	v_fmac_f64_e32 v[154:155], v[154:155], v[156:157]
	v_div_scale_f64 v[156:157], vcc, 1.0, v[150:151], 1.0
	v_mul_f64 v[158:159], v[156:157], v[154:155]
	v_fma_f64 v[148:149], -v[148:149], v[158:159], v[156:157]
	s_nop 1
	v_div_fmas_f64 v[148:149], v[148:149], v[154:155], v[158:159]
	v_div_fixup_f64 v[154:155], v[148:149], v[150:151], 1.0
	v_mul_f64 v[152:153], v[152:153], v[154:155]
	v_xor_b32_e32 v155, 0x80000000, v155
                                        ; implicit-def: $vgpr148_vgpr149
.LBB73_95:
	s_andn2_saveexec_b64 s[2:3], s[2:3]
	s_cbranch_execz .LBB73_97
; %bb.96:
	v_div_scale_f64 v[152:153], s[10:11], v[148:149], v[148:149], v[150:151]
	v_rcp_f64_e32 v[154:155], v[152:153]
	v_div_scale_f64 v[156:157], vcc, v[150:151], v[148:149], v[150:151]
	v_fma_f64 v[158:159], -v[152:153], v[154:155], 1.0
	v_fmac_f64_e32 v[154:155], v[154:155], v[158:159]
	v_fma_f64 v[158:159], -v[152:153], v[154:155], 1.0
	v_fmac_f64_e32 v[154:155], v[154:155], v[158:159]
	v_mul_f64 v[158:159], v[156:157], v[154:155]
	v_fma_f64 v[152:153], -v[152:153], v[158:159], v[156:157]
	v_div_fmas_f64 v[152:153], v[152:153], v[154:155], v[158:159]
	v_div_fixup_f64 v[154:155], v[152:153], v[148:149], v[150:151]
	v_fmac_f64_e32 v[148:149], v[150:151], v[154:155]
	v_div_scale_f64 v[150:151], s[10:11], v[148:149], v[148:149], 1.0
	v_rcp_f64_e32 v[152:153], v[150:151]
	s_nop 0
	v_fma_f64 v[156:157], -v[150:151], v[152:153], 1.0
	v_fmac_f64_e32 v[152:153], v[152:153], v[156:157]
	v_fma_f64 v[156:157], -v[150:151], v[152:153], 1.0
	v_fmac_f64_e32 v[152:153], v[152:153], v[156:157]
	v_div_scale_f64 v[156:157], vcc, 1.0, v[148:149], 1.0
	v_mul_f64 v[158:159], v[156:157], v[152:153]
	v_fma_f64 v[150:151], -v[150:151], v[158:159], v[156:157]
	s_nop 1
	v_div_fmas_f64 v[150:151], v[150:151], v[152:153], v[158:159]
	v_div_fixup_f64 v[152:153], v[150:151], v[148:149], 1.0
	v_mul_f64 v[154:155], v[154:155], -v[152:153]
.LBB73_97:
	s_or_b64 exec, exec, s[2:3]
	ds_write2_b64 v191, v[152:153], v[154:155] offset1:1
.LBB73_98:
	s_or_b64 exec, exec, s[4:5]
	s_waitcnt lgkmcnt(0)
	s_barrier
	ds_read2_b64 v[148:151], v191 offset1:1
	v_cmp_lt_u32_e32 vcc, 10, v190
	s_waitcnt lgkmcnt(0)
	scratch_store_dwordx4 off, v[148:151], off offset:216 ; 16-byte Folded Spill
	s_and_saveexec_b64 s[2:3], vcc
	s_cbranch_execz .LBB73_100
; %bb.99:
	scratch_load_dwordx4 v[150:153], off, off offset:216 ; 16-byte Folded Reload
	s_waitcnt vmcnt(0)
	v_mul_f64 v[148:149], v[152:153], v[102:103]
	v_mul_f64 v[102:103], v[150:151], v[102:103]
	v_fma_f64 v[148:149], v[150:151], v[100:101], -v[148:149]
	v_fmac_f64_e32 v[102:103], v[152:153], v[100:101]
	ds_read2_b64 v[150:153], v192 offset0:22 offset1:23
	s_waitcnt lgkmcnt(0)
	v_mul_f64 v[100:101], v[152:153], v[102:103]
	v_fma_f64 v[100:101], v[150:151], v[148:149], -v[100:101]
	v_mul_f64 v[150:151], v[150:151], v[102:103]
	v_fmac_f64_e32 v[150:151], v[152:153], v[148:149]
	v_add_f64 v[98:99], v[98:99], -v[150:151]
	ds_read2_b64 v[150:153], v192 offset0:24 offset1:25
	v_add_f64 v[96:97], v[96:97], -v[100:101]
	s_waitcnt lgkmcnt(0)
	v_mul_f64 v[100:101], v[152:153], v[102:103]
	v_fma_f64 v[100:101], v[150:151], v[148:149], -v[100:101]
	v_mul_f64 v[150:151], v[150:151], v[102:103]
	v_fmac_f64_e32 v[150:151], v[152:153], v[148:149]
	v_add_f64 v[94:95], v[94:95], -v[150:151]
	ds_read2_b64 v[150:153], v192 offset0:26 offset1:27
	v_add_f64 v[92:93], v[92:93], -v[100:101]
	;; [unrolled: 8-line block ×25, first 2 shown]
	s_waitcnt lgkmcnt(0)
	v_mul_f64 v[100:101], v[152:153], v[102:103]
	v_fma_f64 v[100:101], v[150:151], v[148:149], -v[100:101]
	v_mul_f64 v[150:151], v[150:151], v[102:103]
	v_fmac_f64_e32 v[150:151], v[152:153], v[148:149]
	v_add_f64 v[144:145], v[144:145], -v[100:101]
	v_add_f64 v[146:147], v[146:147], -v[150:151]
	v_mov_b64_e32 v[100:101], v[148:149]
.LBB73_100:
	s_or_b64 exec, exec, s[2:3]
	v_cmp_eq_u32_e32 vcc, 11, v190
	s_barrier
	s_and_saveexec_b64 s[4:5], vcc
	s_cbranch_execz .LBB73_107
; %bb.101:
	s_waitcnt vmcnt(42)
	ds_write2_b64 v191, v[96:97], v[98:99] offset1:1
	s_waitcnt vmcnt(41)
	ds_write2_b64 v192, v[92:93], v[94:95] offset0:24 offset1:25
	s_waitcnt vmcnt(40)
	ds_write2_b64 v192, v[88:89], v[90:91] offset0:26 offset1:27
	;; [unrolled: 2-line block ×23, first 2 shown]
	ds_write2_b64 v192, v[0:1], v[2:3] offset0:70 offset1:71
	s_waitcnt vmcnt(12)
	ds_write2_b64 v192, v[144:145], v[146:147] offset0:72 offset1:73
	ds_read2_b64 v[148:151], v191 offset1:1
	s_waitcnt lgkmcnt(0)
	v_cmp_neq_f64_e32 vcc, 0, v[148:149]
	v_cmp_neq_f64_e64 s[2:3], 0, v[150:151]
	s_or_b64 s[2:3], vcc, s[2:3]
	s_and_b64 exec, exec, s[2:3]
	s_cbranch_execz .LBB73_107
; %bb.102:
	v_cmp_ngt_f64_e64 s[2:3], |v[148:149]|, |v[150:151]|
                                        ; implicit-def: $vgpr152_vgpr153
	s_and_saveexec_b64 s[10:11], s[2:3]
	s_xor_b64 s[2:3], exec, s[10:11]
                                        ; implicit-def: $vgpr154_vgpr155
	s_cbranch_execz .LBB73_104
; %bb.103:
	v_div_scale_f64 v[152:153], s[10:11], v[150:151], v[150:151], v[148:149]
	v_rcp_f64_e32 v[154:155], v[152:153]
	v_div_scale_f64 v[156:157], vcc, v[148:149], v[150:151], v[148:149]
	v_fma_f64 v[158:159], -v[152:153], v[154:155], 1.0
	v_fmac_f64_e32 v[154:155], v[154:155], v[158:159]
	v_fma_f64 v[158:159], -v[152:153], v[154:155], 1.0
	v_fmac_f64_e32 v[154:155], v[154:155], v[158:159]
	v_mul_f64 v[158:159], v[156:157], v[154:155]
	v_fma_f64 v[152:153], -v[152:153], v[158:159], v[156:157]
	v_div_fmas_f64 v[152:153], v[152:153], v[154:155], v[158:159]
	v_div_fixup_f64 v[152:153], v[152:153], v[150:151], v[148:149]
	v_fmac_f64_e32 v[150:151], v[148:149], v[152:153]
	v_div_scale_f64 v[148:149], s[10:11], v[150:151], v[150:151], 1.0
	v_rcp_f64_e32 v[154:155], v[148:149]
	s_nop 0
	v_fma_f64 v[156:157], -v[148:149], v[154:155], 1.0
	v_fmac_f64_e32 v[154:155], v[154:155], v[156:157]
	v_fma_f64 v[156:157], -v[148:149], v[154:155], 1.0
	v_fmac_f64_e32 v[154:155], v[154:155], v[156:157]
	v_div_scale_f64 v[156:157], vcc, 1.0, v[150:151], 1.0
	v_mul_f64 v[158:159], v[156:157], v[154:155]
	v_fma_f64 v[148:149], -v[148:149], v[158:159], v[156:157]
	s_nop 1
	v_div_fmas_f64 v[148:149], v[148:149], v[154:155], v[158:159]
	v_div_fixup_f64 v[154:155], v[148:149], v[150:151], 1.0
	v_mul_f64 v[152:153], v[152:153], v[154:155]
	v_xor_b32_e32 v155, 0x80000000, v155
                                        ; implicit-def: $vgpr148_vgpr149
.LBB73_104:
	s_andn2_saveexec_b64 s[2:3], s[2:3]
	s_cbranch_execz .LBB73_106
; %bb.105:
	v_div_scale_f64 v[152:153], s[10:11], v[148:149], v[148:149], v[150:151]
	v_rcp_f64_e32 v[154:155], v[152:153]
	v_div_scale_f64 v[156:157], vcc, v[150:151], v[148:149], v[150:151]
	v_fma_f64 v[158:159], -v[152:153], v[154:155], 1.0
	v_fmac_f64_e32 v[154:155], v[154:155], v[158:159]
	v_fma_f64 v[158:159], -v[152:153], v[154:155], 1.0
	v_fmac_f64_e32 v[154:155], v[154:155], v[158:159]
	v_mul_f64 v[158:159], v[156:157], v[154:155]
	v_fma_f64 v[152:153], -v[152:153], v[158:159], v[156:157]
	v_div_fmas_f64 v[152:153], v[152:153], v[154:155], v[158:159]
	v_div_fixup_f64 v[154:155], v[152:153], v[148:149], v[150:151]
	v_fmac_f64_e32 v[148:149], v[150:151], v[154:155]
	v_div_scale_f64 v[150:151], s[10:11], v[148:149], v[148:149], 1.0
	v_rcp_f64_e32 v[152:153], v[150:151]
	s_nop 0
	v_fma_f64 v[156:157], -v[150:151], v[152:153], 1.0
	v_fmac_f64_e32 v[152:153], v[152:153], v[156:157]
	v_fma_f64 v[156:157], -v[150:151], v[152:153], 1.0
	v_fmac_f64_e32 v[152:153], v[152:153], v[156:157]
	v_div_scale_f64 v[156:157], vcc, 1.0, v[148:149], 1.0
	v_mul_f64 v[158:159], v[156:157], v[152:153]
	v_fma_f64 v[150:151], -v[150:151], v[158:159], v[156:157]
	s_nop 1
	v_div_fmas_f64 v[150:151], v[150:151], v[152:153], v[158:159]
	v_div_fixup_f64 v[152:153], v[150:151], v[148:149], 1.0
	v_mul_f64 v[154:155], v[154:155], -v[152:153]
.LBB73_106:
	s_or_b64 exec, exec, s[2:3]
	ds_write2_b64 v191, v[152:153], v[154:155] offset1:1
.LBB73_107:
	s_or_b64 exec, exec, s[4:5]
	s_waitcnt lgkmcnt(0)
	s_barrier
	ds_read2_b64 v[148:151], v191 offset1:1
	v_cmp_lt_u32_e32 vcc, 11, v190
	s_waitcnt lgkmcnt(0)
	scratch_store_dwordx4 off, v[148:151], off offset:232 ; 16-byte Folded Spill
	s_and_saveexec_b64 s[2:3], vcc
	s_cbranch_execz .LBB73_109
; %bb.108:
	scratch_load_dwordx4 v[150:153], off, off offset:232 ; 16-byte Folded Reload
	s_waitcnt vmcnt(0)
	v_mul_f64 v[148:149], v[152:153], v[98:99]
	v_mul_f64 v[98:99], v[150:151], v[98:99]
	v_fma_f64 v[148:149], v[150:151], v[96:97], -v[148:149]
	v_fmac_f64_e32 v[98:99], v[152:153], v[96:97]
	ds_read2_b64 v[150:153], v192 offset0:24 offset1:25
	s_waitcnt lgkmcnt(0)
	v_mul_f64 v[96:97], v[152:153], v[98:99]
	v_fma_f64 v[96:97], v[150:151], v[148:149], -v[96:97]
	v_mul_f64 v[150:151], v[150:151], v[98:99]
	v_fmac_f64_e32 v[150:151], v[152:153], v[148:149]
	v_add_f64 v[94:95], v[94:95], -v[150:151]
	ds_read2_b64 v[150:153], v192 offset0:26 offset1:27
	v_add_f64 v[92:93], v[92:93], -v[96:97]
	s_waitcnt lgkmcnt(0)
	v_mul_f64 v[96:97], v[152:153], v[98:99]
	v_fma_f64 v[96:97], v[150:151], v[148:149], -v[96:97]
	v_mul_f64 v[150:151], v[150:151], v[98:99]
	v_fmac_f64_e32 v[150:151], v[152:153], v[148:149]
	v_add_f64 v[90:91], v[90:91], -v[150:151]
	ds_read2_b64 v[150:153], v192 offset0:28 offset1:29
	v_add_f64 v[88:89], v[88:89], -v[96:97]
	;; [unrolled: 8-line block ×24, first 2 shown]
	s_waitcnt lgkmcnt(0)
	v_mul_f64 v[96:97], v[152:153], v[98:99]
	v_fma_f64 v[96:97], v[150:151], v[148:149], -v[96:97]
	v_mul_f64 v[150:151], v[150:151], v[98:99]
	v_fmac_f64_e32 v[150:151], v[152:153], v[148:149]
	v_add_f64 v[144:145], v[144:145], -v[96:97]
	v_add_f64 v[146:147], v[146:147], -v[150:151]
	v_mov_b64_e32 v[96:97], v[148:149]
.LBB73_109:
	s_or_b64 exec, exec, s[2:3]
	v_cmp_eq_u32_e32 vcc, 12, v190
	s_barrier
	s_and_saveexec_b64 s[4:5], vcc
	s_cbranch_execz .LBB73_116
; %bb.110:
	s_waitcnt vmcnt(42)
	ds_write2_b64 v191, v[92:93], v[94:95] offset1:1
	s_waitcnt vmcnt(41)
	ds_write2_b64 v192, v[88:89], v[90:91] offset0:26 offset1:27
	s_waitcnt vmcnt(40)
	ds_write2_b64 v192, v[84:85], v[86:87] offset0:28 offset1:29
	;; [unrolled: 2-line block ×22, first 2 shown]
	ds_write2_b64 v192, v[0:1], v[2:3] offset0:70 offset1:71
	s_waitcnt vmcnt(13)
	ds_write2_b64 v192, v[144:145], v[146:147] offset0:72 offset1:73
	ds_read2_b64 v[148:151], v191 offset1:1
	s_waitcnt lgkmcnt(0)
	v_cmp_neq_f64_e32 vcc, 0, v[148:149]
	v_cmp_neq_f64_e64 s[2:3], 0, v[150:151]
	s_or_b64 s[2:3], vcc, s[2:3]
	s_and_b64 exec, exec, s[2:3]
	s_cbranch_execz .LBB73_116
; %bb.111:
	v_cmp_ngt_f64_e64 s[2:3], |v[148:149]|, |v[150:151]|
                                        ; implicit-def: $vgpr152_vgpr153
	s_and_saveexec_b64 s[10:11], s[2:3]
	s_xor_b64 s[2:3], exec, s[10:11]
                                        ; implicit-def: $vgpr154_vgpr155
	s_cbranch_execz .LBB73_113
; %bb.112:
	v_div_scale_f64 v[152:153], s[10:11], v[150:151], v[150:151], v[148:149]
	v_rcp_f64_e32 v[154:155], v[152:153]
	v_div_scale_f64 v[156:157], vcc, v[148:149], v[150:151], v[148:149]
	v_fma_f64 v[158:159], -v[152:153], v[154:155], 1.0
	v_fmac_f64_e32 v[154:155], v[154:155], v[158:159]
	v_fma_f64 v[158:159], -v[152:153], v[154:155], 1.0
	v_fmac_f64_e32 v[154:155], v[154:155], v[158:159]
	v_mul_f64 v[158:159], v[156:157], v[154:155]
	v_fma_f64 v[152:153], -v[152:153], v[158:159], v[156:157]
	v_div_fmas_f64 v[152:153], v[152:153], v[154:155], v[158:159]
	v_div_fixup_f64 v[152:153], v[152:153], v[150:151], v[148:149]
	v_fmac_f64_e32 v[150:151], v[148:149], v[152:153]
	v_div_scale_f64 v[148:149], s[10:11], v[150:151], v[150:151], 1.0
	v_rcp_f64_e32 v[154:155], v[148:149]
	s_nop 0
	v_fma_f64 v[156:157], -v[148:149], v[154:155], 1.0
	v_fmac_f64_e32 v[154:155], v[154:155], v[156:157]
	v_fma_f64 v[156:157], -v[148:149], v[154:155], 1.0
	v_fmac_f64_e32 v[154:155], v[154:155], v[156:157]
	v_div_scale_f64 v[156:157], vcc, 1.0, v[150:151], 1.0
	v_mul_f64 v[158:159], v[156:157], v[154:155]
	v_fma_f64 v[148:149], -v[148:149], v[158:159], v[156:157]
	s_nop 1
	v_div_fmas_f64 v[148:149], v[148:149], v[154:155], v[158:159]
	v_div_fixup_f64 v[154:155], v[148:149], v[150:151], 1.0
	v_mul_f64 v[152:153], v[152:153], v[154:155]
	v_xor_b32_e32 v155, 0x80000000, v155
                                        ; implicit-def: $vgpr148_vgpr149
.LBB73_113:
	s_andn2_saveexec_b64 s[2:3], s[2:3]
	s_cbranch_execz .LBB73_115
; %bb.114:
	v_div_scale_f64 v[152:153], s[10:11], v[148:149], v[148:149], v[150:151]
	v_rcp_f64_e32 v[154:155], v[152:153]
	v_div_scale_f64 v[156:157], vcc, v[150:151], v[148:149], v[150:151]
	v_fma_f64 v[158:159], -v[152:153], v[154:155], 1.0
	v_fmac_f64_e32 v[154:155], v[154:155], v[158:159]
	v_fma_f64 v[158:159], -v[152:153], v[154:155], 1.0
	v_fmac_f64_e32 v[154:155], v[154:155], v[158:159]
	v_mul_f64 v[158:159], v[156:157], v[154:155]
	v_fma_f64 v[152:153], -v[152:153], v[158:159], v[156:157]
	v_div_fmas_f64 v[152:153], v[152:153], v[154:155], v[158:159]
	v_div_fixup_f64 v[154:155], v[152:153], v[148:149], v[150:151]
	v_fmac_f64_e32 v[148:149], v[150:151], v[154:155]
	v_div_scale_f64 v[150:151], s[10:11], v[148:149], v[148:149], 1.0
	v_rcp_f64_e32 v[152:153], v[150:151]
	s_nop 0
	v_fma_f64 v[156:157], -v[150:151], v[152:153], 1.0
	v_fmac_f64_e32 v[152:153], v[152:153], v[156:157]
	v_fma_f64 v[156:157], -v[150:151], v[152:153], 1.0
	v_fmac_f64_e32 v[152:153], v[152:153], v[156:157]
	v_div_scale_f64 v[156:157], vcc, 1.0, v[148:149], 1.0
	v_mul_f64 v[158:159], v[156:157], v[152:153]
	v_fma_f64 v[150:151], -v[150:151], v[158:159], v[156:157]
	s_nop 1
	v_div_fmas_f64 v[150:151], v[150:151], v[152:153], v[158:159]
	v_div_fixup_f64 v[152:153], v[150:151], v[148:149], 1.0
	v_mul_f64 v[154:155], v[154:155], -v[152:153]
.LBB73_115:
	s_or_b64 exec, exec, s[2:3]
	ds_write2_b64 v191, v[152:153], v[154:155] offset1:1
.LBB73_116:
	s_or_b64 exec, exec, s[4:5]
	s_waitcnt lgkmcnt(0)
	s_barrier
	ds_read2_b64 v[148:151], v191 offset1:1
	v_cmp_lt_u32_e32 vcc, 12, v190
	s_waitcnt lgkmcnt(0)
	scratch_store_dwordx4 off, v[148:151], off offset:248 ; 16-byte Folded Spill
	s_and_saveexec_b64 s[2:3], vcc
	s_cbranch_execz .LBB73_118
; %bb.117:
	scratch_load_dwordx4 v[150:153], off, off offset:248 ; 16-byte Folded Reload
	s_waitcnt vmcnt(0)
	v_mul_f64 v[148:149], v[152:153], v[94:95]
	v_mul_f64 v[94:95], v[150:151], v[94:95]
	v_fma_f64 v[148:149], v[150:151], v[92:93], -v[148:149]
	v_fmac_f64_e32 v[94:95], v[152:153], v[92:93]
	ds_read2_b64 v[150:153], v192 offset0:26 offset1:27
	s_waitcnt lgkmcnt(0)
	v_mul_f64 v[92:93], v[152:153], v[94:95]
	v_fma_f64 v[92:93], v[150:151], v[148:149], -v[92:93]
	v_mul_f64 v[150:151], v[150:151], v[94:95]
	v_fmac_f64_e32 v[150:151], v[152:153], v[148:149]
	v_add_f64 v[90:91], v[90:91], -v[150:151]
	ds_read2_b64 v[150:153], v192 offset0:28 offset1:29
	v_add_f64 v[88:89], v[88:89], -v[92:93]
	s_waitcnt lgkmcnt(0)
	v_mul_f64 v[92:93], v[152:153], v[94:95]
	v_fma_f64 v[92:93], v[150:151], v[148:149], -v[92:93]
	v_mul_f64 v[150:151], v[150:151], v[94:95]
	v_fmac_f64_e32 v[150:151], v[152:153], v[148:149]
	v_add_f64 v[86:87], v[86:87], -v[150:151]
	ds_read2_b64 v[150:153], v192 offset0:30 offset1:31
	v_add_f64 v[84:85], v[84:85], -v[92:93]
	;; [unrolled: 8-line block ×23, first 2 shown]
	s_waitcnt lgkmcnt(0)
	v_mul_f64 v[92:93], v[152:153], v[94:95]
	v_fma_f64 v[92:93], v[150:151], v[148:149], -v[92:93]
	v_mul_f64 v[150:151], v[150:151], v[94:95]
	v_fmac_f64_e32 v[150:151], v[152:153], v[148:149]
	v_add_f64 v[144:145], v[144:145], -v[92:93]
	v_add_f64 v[146:147], v[146:147], -v[150:151]
	v_mov_b64_e32 v[92:93], v[148:149]
.LBB73_118:
	s_or_b64 exec, exec, s[2:3]
	v_cmp_eq_u32_e32 vcc, 13, v190
	s_barrier
	s_and_saveexec_b64 s[4:5], vcc
	s_cbranch_execz .LBB73_125
; %bb.119:
	s_waitcnt vmcnt(42)
	ds_write2_b64 v191, v[88:89], v[90:91] offset1:1
	s_waitcnt vmcnt(41)
	ds_write2_b64 v192, v[84:85], v[86:87] offset0:28 offset1:29
	s_waitcnt vmcnt(40)
	ds_write2_b64 v192, v[80:81], v[82:83] offset0:30 offset1:31
	;; [unrolled: 2-line block ×21, first 2 shown]
	ds_write2_b64 v192, v[0:1], v[2:3] offset0:70 offset1:71
	s_waitcnt vmcnt(14)
	ds_write2_b64 v192, v[144:145], v[146:147] offset0:72 offset1:73
	ds_read2_b64 v[148:151], v191 offset1:1
	s_waitcnt lgkmcnt(0)
	v_cmp_neq_f64_e32 vcc, 0, v[148:149]
	v_cmp_neq_f64_e64 s[2:3], 0, v[150:151]
	s_or_b64 s[2:3], vcc, s[2:3]
	s_and_b64 exec, exec, s[2:3]
	s_cbranch_execz .LBB73_125
; %bb.120:
	v_cmp_ngt_f64_e64 s[2:3], |v[148:149]|, |v[150:151]|
                                        ; implicit-def: $vgpr152_vgpr153
	s_and_saveexec_b64 s[10:11], s[2:3]
	s_xor_b64 s[2:3], exec, s[10:11]
                                        ; implicit-def: $vgpr154_vgpr155
	s_cbranch_execz .LBB73_122
; %bb.121:
	v_div_scale_f64 v[152:153], s[10:11], v[150:151], v[150:151], v[148:149]
	v_rcp_f64_e32 v[154:155], v[152:153]
	v_div_scale_f64 v[156:157], vcc, v[148:149], v[150:151], v[148:149]
	v_fma_f64 v[158:159], -v[152:153], v[154:155], 1.0
	v_fmac_f64_e32 v[154:155], v[154:155], v[158:159]
	v_fma_f64 v[158:159], -v[152:153], v[154:155], 1.0
	v_fmac_f64_e32 v[154:155], v[154:155], v[158:159]
	v_mul_f64 v[158:159], v[156:157], v[154:155]
	v_fma_f64 v[152:153], -v[152:153], v[158:159], v[156:157]
	v_div_fmas_f64 v[152:153], v[152:153], v[154:155], v[158:159]
	v_div_fixup_f64 v[152:153], v[152:153], v[150:151], v[148:149]
	v_fmac_f64_e32 v[150:151], v[148:149], v[152:153]
	v_div_scale_f64 v[148:149], s[10:11], v[150:151], v[150:151], 1.0
	v_rcp_f64_e32 v[154:155], v[148:149]
	s_nop 0
	v_fma_f64 v[156:157], -v[148:149], v[154:155], 1.0
	v_fmac_f64_e32 v[154:155], v[154:155], v[156:157]
	v_fma_f64 v[156:157], -v[148:149], v[154:155], 1.0
	v_fmac_f64_e32 v[154:155], v[154:155], v[156:157]
	v_div_scale_f64 v[156:157], vcc, 1.0, v[150:151], 1.0
	v_mul_f64 v[158:159], v[156:157], v[154:155]
	v_fma_f64 v[148:149], -v[148:149], v[158:159], v[156:157]
	s_nop 1
	v_div_fmas_f64 v[148:149], v[148:149], v[154:155], v[158:159]
	v_div_fixup_f64 v[154:155], v[148:149], v[150:151], 1.0
	v_mul_f64 v[152:153], v[152:153], v[154:155]
	v_xor_b32_e32 v155, 0x80000000, v155
                                        ; implicit-def: $vgpr148_vgpr149
.LBB73_122:
	s_andn2_saveexec_b64 s[2:3], s[2:3]
	s_cbranch_execz .LBB73_124
; %bb.123:
	v_div_scale_f64 v[152:153], s[10:11], v[148:149], v[148:149], v[150:151]
	v_rcp_f64_e32 v[154:155], v[152:153]
	v_div_scale_f64 v[156:157], vcc, v[150:151], v[148:149], v[150:151]
	v_fma_f64 v[158:159], -v[152:153], v[154:155], 1.0
	v_fmac_f64_e32 v[154:155], v[154:155], v[158:159]
	v_fma_f64 v[158:159], -v[152:153], v[154:155], 1.0
	v_fmac_f64_e32 v[154:155], v[154:155], v[158:159]
	v_mul_f64 v[158:159], v[156:157], v[154:155]
	v_fma_f64 v[152:153], -v[152:153], v[158:159], v[156:157]
	v_div_fmas_f64 v[152:153], v[152:153], v[154:155], v[158:159]
	v_div_fixup_f64 v[154:155], v[152:153], v[148:149], v[150:151]
	v_fmac_f64_e32 v[148:149], v[150:151], v[154:155]
	v_div_scale_f64 v[150:151], s[10:11], v[148:149], v[148:149], 1.0
	v_rcp_f64_e32 v[152:153], v[150:151]
	s_nop 0
	v_fma_f64 v[156:157], -v[150:151], v[152:153], 1.0
	v_fmac_f64_e32 v[152:153], v[152:153], v[156:157]
	v_fma_f64 v[156:157], -v[150:151], v[152:153], 1.0
	v_fmac_f64_e32 v[152:153], v[152:153], v[156:157]
	v_div_scale_f64 v[156:157], vcc, 1.0, v[148:149], 1.0
	v_mul_f64 v[158:159], v[156:157], v[152:153]
	v_fma_f64 v[150:151], -v[150:151], v[158:159], v[156:157]
	s_nop 1
	v_div_fmas_f64 v[150:151], v[150:151], v[152:153], v[158:159]
	v_div_fixup_f64 v[152:153], v[150:151], v[148:149], 1.0
	v_mul_f64 v[154:155], v[154:155], -v[152:153]
.LBB73_124:
	s_or_b64 exec, exec, s[2:3]
	ds_write2_b64 v191, v[152:153], v[154:155] offset1:1
.LBB73_125:
	s_or_b64 exec, exec, s[4:5]
	s_waitcnt lgkmcnt(0)
	s_barrier
	ds_read2_b64 v[148:151], v191 offset1:1
	v_cmp_lt_u32_e32 vcc, 13, v190
	s_waitcnt lgkmcnt(0)
	scratch_store_dwordx4 off, v[148:151], off offset:264 ; 16-byte Folded Spill
	s_and_saveexec_b64 s[2:3], vcc
	s_cbranch_execz .LBB73_127
; %bb.126:
	scratch_load_dwordx4 v[150:153], off, off offset:264 ; 16-byte Folded Reload
	s_waitcnt vmcnt(0)
	v_mul_f64 v[148:149], v[152:153], v[90:91]
	v_mul_f64 v[90:91], v[150:151], v[90:91]
	v_fma_f64 v[148:149], v[150:151], v[88:89], -v[148:149]
	v_fmac_f64_e32 v[90:91], v[152:153], v[88:89]
	ds_read2_b64 v[150:153], v192 offset0:28 offset1:29
	s_waitcnt lgkmcnt(0)
	v_mul_f64 v[88:89], v[152:153], v[90:91]
	v_fma_f64 v[88:89], v[150:151], v[148:149], -v[88:89]
	v_mul_f64 v[150:151], v[150:151], v[90:91]
	v_fmac_f64_e32 v[150:151], v[152:153], v[148:149]
	v_add_f64 v[86:87], v[86:87], -v[150:151]
	ds_read2_b64 v[150:153], v192 offset0:30 offset1:31
	v_add_f64 v[84:85], v[84:85], -v[88:89]
	s_waitcnt lgkmcnt(0)
	v_mul_f64 v[88:89], v[152:153], v[90:91]
	v_fma_f64 v[88:89], v[150:151], v[148:149], -v[88:89]
	v_mul_f64 v[150:151], v[150:151], v[90:91]
	v_fmac_f64_e32 v[150:151], v[152:153], v[148:149]
	v_add_f64 v[82:83], v[82:83], -v[150:151]
	ds_read2_b64 v[150:153], v192 offset0:32 offset1:33
	v_add_f64 v[80:81], v[80:81], -v[88:89]
	s_waitcnt lgkmcnt(0)
	v_mul_f64 v[88:89], v[152:153], v[90:91]
	v_fma_f64 v[88:89], v[150:151], v[148:149], -v[88:89]
	v_mul_f64 v[150:151], v[150:151], v[90:91]
	v_fmac_f64_e32 v[150:151], v[152:153], v[148:149]
	v_add_f64 v[78:79], v[78:79], -v[150:151]
	ds_read2_b64 v[150:153], v192 offset0:34 offset1:35
	v_add_f64 v[76:77], v[76:77], -v[88:89]
	s_waitcnt lgkmcnt(0)
	v_mul_f64 v[88:89], v[152:153], v[90:91]
	v_fma_f64 v[88:89], v[150:151], v[148:149], -v[88:89]
	v_mul_f64 v[150:151], v[150:151], v[90:91]
	v_fmac_f64_e32 v[150:151], v[152:153], v[148:149]
	v_add_f64 v[74:75], v[74:75], -v[150:151]
	ds_read2_b64 v[150:153], v192 offset0:36 offset1:37
	v_add_f64 v[72:73], v[72:73], -v[88:89]
	s_waitcnt lgkmcnt(0)
	v_mul_f64 v[88:89], v[152:153], v[90:91]
	v_fma_f64 v[88:89], v[150:151], v[148:149], -v[88:89]
	v_mul_f64 v[150:151], v[150:151], v[90:91]
	v_fmac_f64_e32 v[150:151], v[152:153], v[148:149]
	v_add_f64 v[70:71], v[70:71], -v[150:151]
	ds_read2_b64 v[150:153], v192 offset0:38 offset1:39
	v_add_f64 v[68:69], v[68:69], -v[88:89]
	s_waitcnt lgkmcnt(0)
	v_mul_f64 v[88:89], v[152:153], v[90:91]
	v_fma_f64 v[88:89], v[150:151], v[148:149], -v[88:89]
	v_mul_f64 v[150:151], v[150:151], v[90:91]
	v_fmac_f64_e32 v[150:151], v[152:153], v[148:149]
	v_add_f64 v[66:67], v[66:67], -v[150:151]
	ds_read2_b64 v[150:153], v192 offset0:40 offset1:41
	v_add_f64 v[64:65], v[64:65], -v[88:89]
	s_waitcnt lgkmcnt(0)
	v_mul_f64 v[88:89], v[152:153], v[90:91]
	v_fma_f64 v[88:89], v[150:151], v[148:149], -v[88:89]
	v_mul_f64 v[150:151], v[150:151], v[90:91]
	v_fmac_f64_e32 v[150:151], v[152:153], v[148:149]
	v_add_f64 v[62:63], v[62:63], -v[150:151]
	ds_read2_b64 v[150:153], v192 offset0:42 offset1:43
	v_add_f64 v[60:61], v[60:61], -v[88:89]
	s_waitcnt lgkmcnt(0)
	v_mul_f64 v[88:89], v[152:153], v[90:91]
	v_fma_f64 v[88:89], v[150:151], v[148:149], -v[88:89]
	v_mul_f64 v[150:151], v[150:151], v[90:91]
	v_fmac_f64_e32 v[150:151], v[152:153], v[148:149]
	v_add_f64 v[58:59], v[58:59], -v[150:151]
	ds_read2_b64 v[150:153], v192 offset0:44 offset1:45
	v_add_f64 v[56:57], v[56:57], -v[88:89]
	s_waitcnt lgkmcnt(0)
	v_mul_f64 v[88:89], v[152:153], v[90:91]
	v_fma_f64 v[88:89], v[150:151], v[148:149], -v[88:89]
	v_mul_f64 v[150:151], v[150:151], v[90:91]
	v_fmac_f64_e32 v[150:151], v[152:153], v[148:149]
	v_add_f64 v[54:55], v[54:55], -v[150:151]
	ds_read2_b64 v[150:153], v192 offset0:46 offset1:47
	v_add_f64 v[52:53], v[52:53], -v[88:89]
	s_waitcnt lgkmcnt(0)
	v_mul_f64 v[88:89], v[152:153], v[90:91]
	v_fma_f64 v[88:89], v[150:151], v[148:149], -v[88:89]
	v_mul_f64 v[150:151], v[150:151], v[90:91]
	v_fmac_f64_e32 v[150:151], v[152:153], v[148:149]
	v_add_f64 v[50:51], v[50:51], -v[150:151]
	ds_read2_b64 v[150:153], v192 offset0:48 offset1:49
	v_add_f64 v[48:49], v[48:49], -v[88:89]
	s_waitcnt lgkmcnt(0)
	v_mul_f64 v[88:89], v[152:153], v[90:91]
	v_fma_f64 v[88:89], v[150:151], v[148:149], -v[88:89]
	v_mul_f64 v[150:151], v[150:151], v[90:91]
	v_fmac_f64_e32 v[150:151], v[152:153], v[148:149]
	v_add_f64 v[46:47], v[46:47], -v[150:151]
	ds_read2_b64 v[150:153], v192 offset0:50 offset1:51
	v_add_f64 v[44:45], v[44:45], -v[88:89]
	s_waitcnt lgkmcnt(0)
	v_mul_f64 v[88:89], v[152:153], v[90:91]
	v_fma_f64 v[88:89], v[150:151], v[148:149], -v[88:89]
	v_mul_f64 v[150:151], v[150:151], v[90:91]
	v_fmac_f64_e32 v[150:151], v[152:153], v[148:149]
	v_add_f64 v[42:43], v[42:43], -v[150:151]
	ds_read2_b64 v[150:153], v192 offset0:52 offset1:53
	v_add_f64 v[40:41], v[40:41], -v[88:89]
	s_waitcnt lgkmcnt(0)
	v_mul_f64 v[88:89], v[152:153], v[90:91]
	v_fma_f64 v[88:89], v[150:151], v[148:149], -v[88:89]
	v_mul_f64 v[150:151], v[150:151], v[90:91]
	v_fmac_f64_e32 v[150:151], v[152:153], v[148:149]
	v_add_f64 v[38:39], v[38:39], -v[150:151]
	ds_read2_b64 v[150:153], v192 offset0:54 offset1:55
	v_add_f64 v[36:37], v[36:37], -v[88:89]
	s_waitcnt lgkmcnt(0)
	v_mul_f64 v[88:89], v[152:153], v[90:91]
	v_fma_f64 v[88:89], v[150:151], v[148:149], -v[88:89]
	v_mul_f64 v[150:151], v[150:151], v[90:91]
	v_fmac_f64_e32 v[150:151], v[152:153], v[148:149]
	v_add_f64 v[34:35], v[34:35], -v[150:151]
	ds_read2_b64 v[150:153], v192 offset0:56 offset1:57
	v_add_f64 v[32:33], v[32:33], -v[88:89]
	s_waitcnt lgkmcnt(0)
	v_mul_f64 v[88:89], v[152:153], v[90:91]
	v_fma_f64 v[88:89], v[150:151], v[148:149], -v[88:89]
	v_mul_f64 v[150:151], v[150:151], v[90:91]
	v_fmac_f64_e32 v[150:151], v[152:153], v[148:149]
	v_add_f64 v[30:31], v[30:31], -v[150:151]
	ds_read2_b64 v[150:153], v192 offset0:58 offset1:59
	v_add_f64 v[28:29], v[28:29], -v[88:89]
	s_waitcnt lgkmcnt(0)
	v_mul_f64 v[88:89], v[152:153], v[90:91]
	v_fma_f64 v[88:89], v[150:151], v[148:149], -v[88:89]
	v_mul_f64 v[150:151], v[150:151], v[90:91]
	v_fmac_f64_e32 v[150:151], v[152:153], v[148:149]
	v_add_f64 v[26:27], v[26:27], -v[150:151]
	ds_read2_b64 v[150:153], v192 offset0:60 offset1:61
	v_add_f64 v[24:25], v[24:25], -v[88:89]
	s_waitcnt lgkmcnt(0)
	v_mul_f64 v[88:89], v[152:153], v[90:91]
	v_fma_f64 v[88:89], v[150:151], v[148:149], -v[88:89]
	v_mul_f64 v[150:151], v[150:151], v[90:91]
	v_fmac_f64_e32 v[150:151], v[152:153], v[148:149]
	v_add_f64 v[22:23], v[22:23], -v[150:151]
	ds_read2_b64 v[150:153], v192 offset0:62 offset1:63
	v_add_f64 v[20:21], v[20:21], -v[88:89]
	s_waitcnt lgkmcnt(0)
	v_mul_f64 v[88:89], v[152:153], v[90:91]
	v_fma_f64 v[88:89], v[150:151], v[148:149], -v[88:89]
	v_mul_f64 v[150:151], v[150:151], v[90:91]
	v_fmac_f64_e32 v[150:151], v[152:153], v[148:149]
	v_add_f64 v[18:19], v[18:19], -v[150:151]
	ds_read2_b64 v[150:153], v192 offset0:64 offset1:65
	v_add_f64 v[16:17], v[16:17], -v[88:89]
	s_waitcnt lgkmcnt(0)
	v_mul_f64 v[88:89], v[152:153], v[90:91]
	v_fma_f64 v[88:89], v[150:151], v[148:149], -v[88:89]
	v_mul_f64 v[150:151], v[150:151], v[90:91]
	v_fmac_f64_e32 v[150:151], v[152:153], v[148:149]
	v_add_f64 v[14:15], v[14:15], -v[150:151]
	ds_read2_b64 v[150:153], v192 offset0:66 offset1:67
	v_add_f64 v[12:13], v[12:13], -v[88:89]
	s_waitcnt lgkmcnt(0)
	v_mul_f64 v[88:89], v[152:153], v[90:91]
	v_fma_f64 v[88:89], v[150:151], v[148:149], -v[88:89]
	v_mul_f64 v[150:151], v[150:151], v[90:91]
	v_fmac_f64_e32 v[150:151], v[152:153], v[148:149]
	v_add_f64 v[10:11], v[10:11], -v[150:151]
	ds_read2_b64 v[150:153], v192 offset0:68 offset1:69
	v_add_f64 v[8:9], v[8:9], -v[88:89]
	s_waitcnt lgkmcnt(0)
	v_mul_f64 v[88:89], v[152:153], v[90:91]
	v_fma_f64 v[88:89], v[150:151], v[148:149], -v[88:89]
	v_mul_f64 v[150:151], v[150:151], v[90:91]
	v_fmac_f64_e32 v[150:151], v[152:153], v[148:149]
	v_add_f64 v[6:7], v[6:7], -v[150:151]
	ds_read2_b64 v[150:153], v192 offset0:70 offset1:71
	v_add_f64 v[4:5], v[4:5], -v[88:89]
	s_waitcnt lgkmcnt(0)
	v_mul_f64 v[88:89], v[152:153], v[90:91]
	v_fma_f64 v[88:89], v[150:151], v[148:149], -v[88:89]
	v_mul_f64 v[150:151], v[150:151], v[90:91]
	v_fmac_f64_e32 v[150:151], v[152:153], v[148:149]
	v_add_f64 v[2:3], v[2:3], -v[150:151]
	ds_read2_b64 v[150:153], v192 offset0:72 offset1:73
	v_add_f64 v[0:1], v[0:1], -v[88:89]
	s_waitcnt lgkmcnt(0)
	v_mul_f64 v[88:89], v[152:153], v[90:91]
	v_fma_f64 v[88:89], v[150:151], v[148:149], -v[88:89]
	v_mul_f64 v[150:151], v[150:151], v[90:91]
	v_fmac_f64_e32 v[150:151], v[152:153], v[148:149]
	v_add_f64 v[144:145], v[144:145], -v[88:89]
	v_add_f64 v[146:147], v[146:147], -v[150:151]
	v_mov_b64_e32 v[88:89], v[148:149]
.LBB73_127:
	s_or_b64 exec, exec, s[2:3]
	v_cmp_eq_u32_e32 vcc, 14, v190
	s_barrier
	s_and_saveexec_b64 s[4:5], vcc
	s_cbranch_execz .LBB73_134
; %bb.128:
	s_waitcnt vmcnt(42)
	ds_write2_b64 v191, v[84:85], v[86:87] offset1:1
	s_waitcnt vmcnt(41)
	ds_write2_b64 v192, v[80:81], v[82:83] offset0:30 offset1:31
	s_waitcnt vmcnt(40)
	ds_write2_b64 v192, v[76:77], v[78:79] offset0:32 offset1:33
	;; [unrolled: 2-line block ×20, first 2 shown]
	ds_write2_b64 v192, v[0:1], v[2:3] offset0:70 offset1:71
	s_waitcnt vmcnt(15)
	ds_write2_b64 v192, v[144:145], v[146:147] offset0:72 offset1:73
	ds_read2_b64 v[148:151], v191 offset1:1
	s_waitcnt lgkmcnt(0)
	v_cmp_neq_f64_e32 vcc, 0, v[148:149]
	v_cmp_neq_f64_e64 s[2:3], 0, v[150:151]
	s_or_b64 s[2:3], vcc, s[2:3]
	s_and_b64 exec, exec, s[2:3]
	s_cbranch_execz .LBB73_134
; %bb.129:
	v_cmp_ngt_f64_e64 s[2:3], |v[148:149]|, |v[150:151]|
                                        ; implicit-def: $vgpr152_vgpr153
	s_and_saveexec_b64 s[10:11], s[2:3]
	s_xor_b64 s[2:3], exec, s[10:11]
                                        ; implicit-def: $vgpr154_vgpr155
	s_cbranch_execz .LBB73_131
; %bb.130:
	v_div_scale_f64 v[152:153], s[10:11], v[150:151], v[150:151], v[148:149]
	v_rcp_f64_e32 v[154:155], v[152:153]
	v_div_scale_f64 v[156:157], vcc, v[148:149], v[150:151], v[148:149]
	v_fma_f64 v[158:159], -v[152:153], v[154:155], 1.0
	v_fmac_f64_e32 v[154:155], v[154:155], v[158:159]
	v_fma_f64 v[158:159], -v[152:153], v[154:155], 1.0
	v_fmac_f64_e32 v[154:155], v[154:155], v[158:159]
	v_mul_f64 v[158:159], v[156:157], v[154:155]
	v_fma_f64 v[152:153], -v[152:153], v[158:159], v[156:157]
	v_div_fmas_f64 v[152:153], v[152:153], v[154:155], v[158:159]
	v_div_fixup_f64 v[152:153], v[152:153], v[150:151], v[148:149]
	v_fmac_f64_e32 v[150:151], v[148:149], v[152:153]
	v_div_scale_f64 v[148:149], s[10:11], v[150:151], v[150:151], 1.0
	v_rcp_f64_e32 v[154:155], v[148:149]
	s_nop 0
	v_fma_f64 v[156:157], -v[148:149], v[154:155], 1.0
	v_fmac_f64_e32 v[154:155], v[154:155], v[156:157]
	v_fma_f64 v[156:157], -v[148:149], v[154:155], 1.0
	v_fmac_f64_e32 v[154:155], v[154:155], v[156:157]
	v_div_scale_f64 v[156:157], vcc, 1.0, v[150:151], 1.0
	v_mul_f64 v[158:159], v[156:157], v[154:155]
	v_fma_f64 v[148:149], -v[148:149], v[158:159], v[156:157]
	s_nop 1
	v_div_fmas_f64 v[148:149], v[148:149], v[154:155], v[158:159]
	v_div_fixup_f64 v[154:155], v[148:149], v[150:151], 1.0
	v_mul_f64 v[152:153], v[152:153], v[154:155]
	v_xor_b32_e32 v155, 0x80000000, v155
                                        ; implicit-def: $vgpr148_vgpr149
.LBB73_131:
	s_andn2_saveexec_b64 s[2:3], s[2:3]
	s_cbranch_execz .LBB73_133
; %bb.132:
	v_div_scale_f64 v[152:153], s[10:11], v[148:149], v[148:149], v[150:151]
	v_rcp_f64_e32 v[154:155], v[152:153]
	v_div_scale_f64 v[156:157], vcc, v[150:151], v[148:149], v[150:151]
	v_fma_f64 v[158:159], -v[152:153], v[154:155], 1.0
	v_fmac_f64_e32 v[154:155], v[154:155], v[158:159]
	v_fma_f64 v[158:159], -v[152:153], v[154:155], 1.0
	v_fmac_f64_e32 v[154:155], v[154:155], v[158:159]
	v_mul_f64 v[158:159], v[156:157], v[154:155]
	v_fma_f64 v[152:153], -v[152:153], v[158:159], v[156:157]
	v_div_fmas_f64 v[152:153], v[152:153], v[154:155], v[158:159]
	v_div_fixup_f64 v[154:155], v[152:153], v[148:149], v[150:151]
	v_fmac_f64_e32 v[148:149], v[150:151], v[154:155]
	v_div_scale_f64 v[150:151], s[10:11], v[148:149], v[148:149], 1.0
	v_rcp_f64_e32 v[152:153], v[150:151]
	s_nop 0
	v_fma_f64 v[156:157], -v[150:151], v[152:153], 1.0
	v_fmac_f64_e32 v[152:153], v[152:153], v[156:157]
	v_fma_f64 v[156:157], -v[150:151], v[152:153], 1.0
	v_fmac_f64_e32 v[152:153], v[152:153], v[156:157]
	v_div_scale_f64 v[156:157], vcc, 1.0, v[148:149], 1.0
	v_mul_f64 v[158:159], v[156:157], v[152:153]
	v_fma_f64 v[150:151], -v[150:151], v[158:159], v[156:157]
	s_nop 1
	v_div_fmas_f64 v[150:151], v[150:151], v[152:153], v[158:159]
	v_div_fixup_f64 v[152:153], v[150:151], v[148:149], 1.0
	v_mul_f64 v[154:155], v[154:155], -v[152:153]
.LBB73_133:
	s_or_b64 exec, exec, s[2:3]
	ds_write2_b64 v191, v[152:153], v[154:155] offset1:1
.LBB73_134:
	s_or_b64 exec, exec, s[4:5]
	s_waitcnt lgkmcnt(0)
	s_barrier
	ds_read2_b64 v[148:151], v191 offset1:1
	v_cmp_lt_u32_e32 vcc, 14, v190
	s_waitcnt lgkmcnt(0)
	scratch_store_dwordx4 off, v[148:151], off offset:280 ; 16-byte Folded Spill
	s_and_saveexec_b64 s[2:3], vcc
	s_cbranch_execz .LBB73_136
; %bb.135:
	scratch_load_dwordx4 v[150:153], off, off offset:280 ; 16-byte Folded Reload
	s_waitcnt vmcnt(0)
	v_mul_f64 v[148:149], v[152:153], v[86:87]
	v_mul_f64 v[86:87], v[150:151], v[86:87]
	v_fma_f64 v[148:149], v[150:151], v[84:85], -v[148:149]
	v_fmac_f64_e32 v[86:87], v[152:153], v[84:85]
	ds_read2_b64 v[150:153], v192 offset0:30 offset1:31
	s_waitcnt lgkmcnt(0)
	v_mul_f64 v[84:85], v[152:153], v[86:87]
	v_fma_f64 v[84:85], v[150:151], v[148:149], -v[84:85]
	v_mul_f64 v[150:151], v[150:151], v[86:87]
	v_fmac_f64_e32 v[150:151], v[152:153], v[148:149]
	v_add_f64 v[82:83], v[82:83], -v[150:151]
	ds_read2_b64 v[150:153], v192 offset0:32 offset1:33
	v_add_f64 v[80:81], v[80:81], -v[84:85]
	s_waitcnt lgkmcnt(0)
	v_mul_f64 v[84:85], v[152:153], v[86:87]
	v_fma_f64 v[84:85], v[150:151], v[148:149], -v[84:85]
	v_mul_f64 v[150:151], v[150:151], v[86:87]
	v_fmac_f64_e32 v[150:151], v[152:153], v[148:149]
	v_add_f64 v[78:79], v[78:79], -v[150:151]
	ds_read2_b64 v[150:153], v192 offset0:34 offset1:35
	v_add_f64 v[76:77], v[76:77], -v[84:85]
	;; [unrolled: 8-line block ×21, first 2 shown]
	s_waitcnt lgkmcnt(0)
	v_mul_f64 v[84:85], v[152:153], v[86:87]
	v_fma_f64 v[84:85], v[150:151], v[148:149], -v[84:85]
	v_mul_f64 v[150:151], v[150:151], v[86:87]
	v_fmac_f64_e32 v[150:151], v[152:153], v[148:149]
	v_add_f64 v[144:145], v[144:145], -v[84:85]
	v_add_f64 v[146:147], v[146:147], -v[150:151]
	v_mov_b64_e32 v[84:85], v[148:149]
.LBB73_136:
	s_or_b64 exec, exec, s[2:3]
	v_cmp_eq_u32_e32 vcc, 15, v190
	s_barrier
	s_and_saveexec_b64 s[4:5], vcc
	s_cbranch_execz .LBB73_143
; %bb.137:
	s_waitcnt vmcnt(42)
	ds_write2_b64 v191, v[80:81], v[82:83] offset1:1
	s_waitcnt vmcnt(41)
	ds_write2_b64 v192, v[76:77], v[78:79] offset0:32 offset1:33
	s_waitcnt vmcnt(40)
	ds_write2_b64 v192, v[72:73], v[74:75] offset0:34 offset1:35
	;; [unrolled: 2-line block ×19, first 2 shown]
	ds_write2_b64 v192, v[0:1], v[2:3] offset0:70 offset1:71
	s_waitcnt vmcnt(16)
	ds_write2_b64 v192, v[144:145], v[146:147] offset0:72 offset1:73
	ds_read2_b64 v[148:151], v191 offset1:1
	s_waitcnt lgkmcnt(0)
	v_cmp_neq_f64_e32 vcc, 0, v[148:149]
	v_cmp_neq_f64_e64 s[2:3], 0, v[150:151]
	s_or_b64 s[2:3], vcc, s[2:3]
	s_and_b64 exec, exec, s[2:3]
	s_cbranch_execz .LBB73_143
; %bb.138:
	v_cmp_ngt_f64_e64 s[2:3], |v[148:149]|, |v[150:151]|
                                        ; implicit-def: $vgpr152_vgpr153
	s_and_saveexec_b64 s[10:11], s[2:3]
	s_xor_b64 s[2:3], exec, s[10:11]
                                        ; implicit-def: $vgpr154_vgpr155
	s_cbranch_execz .LBB73_140
; %bb.139:
	v_div_scale_f64 v[152:153], s[10:11], v[150:151], v[150:151], v[148:149]
	v_rcp_f64_e32 v[154:155], v[152:153]
	v_div_scale_f64 v[156:157], vcc, v[148:149], v[150:151], v[148:149]
	v_fma_f64 v[158:159], -v[152:153], v[154:155], 1.0
	v_fmac_f64_e32 v[154:155], v[154:155], v[158:159]
	v_fma_f64 v[158:159], -v[152:153], v[154:155], 1.0
	v_fmac_f64_e32 v[154:155], v[154:155], v[158:159]
	v_mul_f64 v[158:159], v[156:157], v[154:155]
	v_fma_f64 v[152:153], -v[152:153], v[158:159], v[156:157]
	v_div_fmas_f64 v[152:153], v[152:153], v[154:155], v[158:159]
	v_div_fixup_f64 v[152:153], v[152:153], v[150:151], v[148:149]
	v_fmac_f64_e32 v[150:151], v[148:149], v[152:153]
	v_div_scale_f64 v[148:149], s[10:11], v[150:151], v[150:151], 1.0
	v_rcp_f64_e32 v[154:155], v[148:149]
	s_nop 0
	v_fma_f64 v[156:157], -v[148:149], v[154:155], 1.0
	v_fmac_f64_e32 v[154:155], v[154:155], v[156:157]
	v_fma_f64 v[156:157], -v[148:149], v[154:155], 1.0
	v_fmac_f64_e32 v[154:155], v[154:155], v[156:157]
	v_div_scale_f64 v[156:157], vcc, 1.0, v[150:151], 1.0
	v_mul_f64 v[158:159], v[156:157], v[154:155]
	v_fma_f64 v[148:149], -v[148:149], v[158:159], v[156:157]
	s_nop 1
	v_div_fmas_f64 v[148:149], v[148:149], v[154:155], v[158:159]
	v_div_fixup_f64 v[154:155], v[148:149], v[150:151], 1.0
	v_mul_f64 v[152:153], v[152:153], v[154:155]
	v_xor_b32_e32 v155, 0x80000000, v155
                                        ; implicit-def: $vgpr148_vgpr149
.LBB73_140:
	s_andn2_saveexec_b64 s[2:3], s[2:3]
	s_cbranch_execz .LBB73_142
; %bb.141:
	v_div_scale_f64 v[152:153], s[10:11], v[148:149], v[148:149], v[150:151]
	v_rcp_f64_e32 v[154:155], v[152:153]
	v_div_scale_f64 v[156:157], vcc, v[150:151], v[148:149], v[150:151]
	v_fma_f64 v[158:159], -v[152:153], v[154:155], 1.0
	v_fmac_f64_e32 v[154:155], v[154:155], v[158:159]
	v_fma_f64 v[158:159], -v[152:153], v[154:155], 1.0
	v_fmac_f64_e32 v[154:155], v[154:155], v[158:159]
	v_mul_f64 v[158:159], v[156:157], v[154:155]
	v_fma_f64 v[152:153], -v[152:153], v[158:159], v[156:157]
	v_div_fmas_f64 v[152:153], v[152:153], v[154:155], v[158:159]
	v_div_fixup_f64 v[154:155], v[152:153], v[148:149], v[150:151]
	v_fmac_f64_e32 v[148:149], v[150:151], v[154:155]
	v_div_scale_f64 v[150:151], s[10:11], v[148:149], v[148:149], 1.0
	v_rcp_f64_e32 v[152:153], v[150:151]
	s_nop 0
	v_fma_f64 v[156:157], -v[150:151], v[152:153], 1.0
	v_fmac_f64_e32 v[152:153], v[152:153], v[156:157]
	v_fma_f64 v[156:157], -v[150:151], v[152:153], 1.0
	v_fmac_f64_e32 v[152:153], v[152:153], v[156:157]
	v_div_scale_f64 v[156:157], vcc, 1.0, v[148:149], 1.0
	v_mul_f64 v[158:159], v[156:157], v[152:153]
	v_fma_f64 v[150:151], -v[150:151], v[158:159], v[156:157]
	s_nop 1
	v_div_fmas_f64 v[150:151], v[150:151], v[152:153], v[158:159]
	v_div_fixup_f64 v[152:153], v[150:151], v[148:149], 1.0
	v_mul_f64 v[154:155], v[154:155], -v[152:153]
.LBB73_142:
	s_or_b64 exec, exec, s[2:3]
	ds_write2_b64 v191, v[152:153], v[154:155] offset1:1
.LBB73_143:
	s_or_b64 exec, exec, s[4:5]
	s_waitcnt lgkmcnt(0)
	s_barrier
	ds_read2_b64 v[148:151], v191 offset1:1
	v_cmp_lt_u32_e32 vcc, 15, v190
	s_waitcnt lgkmcnt(0)
	scratch_store_dwordx4 off, v[148:151], off offset:296 ; 16-byte Folded Spill
	s_and_saveexec_b64 s[2:3], vcc
	s_cbranch_execz .LBB73_145
; %bb.144:
	scratch_load_dwordx4 v[150:153], off, off offset:296 ; 16-byte Folded Reload
	s_waitcnt vmcnt(0)
	v_mul_f64 v[148:149], v[152:153], v[82:83]
	v_mul_f64 v[82:83], v[150:151], v[82:83]
	v_fma_f64 v[148:149], v[150:151], v[80:81], -v[148:149]
	v_fmac_f64_e32 v[82:83], v[152:153], v[80:81]
	ds_read2_b64 v[150:153], v192 offset0:32 offset1:33
	s_waitcnt lgkmcnt(0)
	v_mul_f64 v[80:81], v[152:153], v[82:83]
	v_fma_f64 v[80:81], v[150:151], v[148:149], -v[80:81]
	v_mul_f64 v[150:151], v[150:151], v[82:83]
	v_fmac_f64_e32 v[150:151], v[152:153], v[148:149]
	v_add_f64 v[78:79], v[78:79], -v[150:151]
	ds_read2_b64 v[150:153], v192 offset0:34 offset1:35
	v_add_f64 v[76:77], v[76:77], -v[80:81]
	s_waitcnt lgkmcnt(0)
	v_mul_f64 v[80:81], v[152:153], v[82:83]
	v_fma_f64 v[80:81], v[150:151], v[148:149], -v[80:81]
	v_mul_f64 v[150:151], v[150:151], v[82:83]
	v_fmac_f64_e32 v[150:151], v[152:153], v[148:149]
	v_add_f64 v[74:75], v[74:75], -v[150:151]
	ds_read2_b64 v[150:153], v192 offset0:36 offset1:37
	v_add_f64 v[72:73], v[72:73], -v[80:81]
	;; [unrolled: 8-line block ×20, first 2 shown]
	s_waitcnt lgkmcnt(0)
	v_mul_f64 v[80:81], v[152:153], v[82:83]
	v_fma_f64 v[80:81], v[150:151], v[148:149], -v[80:81]
	v_mul_f64 v[150:151], v[150:151], v[82:83]
	v_fmac_f64_e32 v[150:151], v[152:153], v[148:149]
	v_add_f64 v[144:145], v[144:145], -v[80:81]
	v_add_f64 v[146:147], v[146:147], -v[150:151]
	v_mov_b64_e32 v[80:81], v[148:149]
.LBB73_145:
	s_or_b64 exec, exec, s[2:3]
	v_cmp_eq_u32_e32 vcc, 16, v190
	s_barrier
	s_and_saveexec_b64 s[4:5], vcc
	s_cbranch_execz .LBB73_152
; %bb.146:
	s_waitcnt vmcnt(42)
	ds_write2_b64 v191, v[76:77], v[78:79] offset1:1
	s_waitcnt vmcnt(41)
	ds_write2_b64 v192, v[72:73], v[74:75] offset0:34 offset1:35
	s_waitcnt vmcnt(40)
	ds_write2_b64 v192, v[68:69], v[70:71] offset0:36 offset1:37
	;; [unrolled: 2-line block ×18, first 2 shown]
	ds_write2_b64 v192, v[0:1], v[2:3] offset0:70 offset1:71
	s_waitcnt vmcnt(17)
	ds_write2_b64 v192, v[144:145], v[146:147] offset0:72 offset1:73
	ds_read2_b64 v[148:151], v191 offset1:1
	s_waitcnt lgkmcnt(0)
	v_cmp_neq_f64_e32 vcc, 0, v[148:149]
	v_cmp_neq_f64_e64 s[2:3], 0, v[150:151]
	s_or_b64 s[2:3], vcc, s[2:3]
	s_and_b64 exec, exec, s[2:3]
	s_cbranch_execz .LBB73_152
; %bb.147:
	v_cmp_ngt_f64_e64 s[2:3], |v[148:149]|, |v[150:151]|
                                        ; implicit-def: $vgpr152_vgpr153
	s_and_saveexec_b64 s[10:11], s[2:3]
	s_xor_b64 s[2:3], exec, s[10:11]
                                        ; implicit-def: $vgpr154_vgpr155
	s_cbranch_execz .LBB73_149
; %bb.148:
	v_div_scale_f64 v[152:153], s[10:11], v[150:151], v[150:151], v[148:149]
	v_rcp_f64_e32 v[154:155], v[152:153]
	v_div_scale_f64 v[156:157], vcc, v[148:149], v[150:151], v[148:149]
	v_fma_f64 v[158:159], -v[152:153], v[154:155], 1.0
	v_fmac_f64_e32 v[154:155], v[154:155], v[158:159]
	v_fma_f64 v[158:159], -v[152:153], v[154:155], 1.0
	v_fmac_f64_e32 v[154:155], v[154:155], v[158:159]
	v_mul_f64 v[158:159], v[156:157], v[154:155]
	v_fma_f64 v[152:153], -v[152:153], v[158:159], v[156:157]
	v_div_fmas_f64 v[152:153], v[152:153], v[154:155], v[158:159]
	v_div_fixup_f64 v[152:153], v[152:153], v[150:151], v[148:149]
	v_fmac_f64_e32 v[150:151], v[148:149], v[152:153]
	v_div_scale_f64 v[148:149], s[10:11], v[150:151], v[150:151], 1.0
	v_rcp_f64_e32 v[154:155], v[148:149]
	s_nop 0
	v_fma_f64 v[156:157], -v[148:149], v[154:155], 1.0
	v_fmac_f64_e32 v[154:155], v[154:155], v[156:157]
	v_fma_f64 v[156:157], -v[148:149], v[154:155], 1.0
	v_fmac_f64_e32 v[154:155], v[154:155], v[156:157]
	v_div_scale_f64 v[156:157], vcc, 1.0, v[150:151], 1.0
	v_mul_f64 v[158:159], v[156:157], v[154:155]
	v_fma_f64 v[148:149], -v[148:149], v[158:159], v[156:157]
	s_nop 1
	v_div_fmas_f64 v[148:149], v[148:149], v[154:155], v[158:159]
	v_div_fixup_f64 v[154:155], v[148:149], v[150:151], 1.0
	v_mul_f64 v[152:153], v[152:153], v[154:155]
	v_xor_b32_e32 v155, 0x80000000, v155
                                        ; implicit-def: $vgpr148_vgpr149
.LBB73_149:
	s_andn2_saveexec_b64 s[2:3], s[2:3]
	s_cbranch_execz .LBB73_151
; %bb.150:
	v_div_scale_f64 v[152:153], s[10:11], v[148:149], v[148:149], v[150:151]
	v_rcp_f64_e32 v[154:155], v[152:153]
	v_div_scale_f64 v[156:157], vcc, v[150:151], v[148:149], v[150:151]
	v_fma_f64 v[158:159], -v[152:153], v[154:155], 1.0
	v_fmac_f64_e32 v[154:155], v[154:155], v[158:159]
	v_fma_f64 v[158:159], -v[152:153], v[154:155], 1.0
	v_fmac_f64_e32 v[154:155], v[154:155], v[158:159]
	v_mul_f64 v[158:159], v[156:157], v[154:155]
	v_fma_f64 v[152:153], -v[152:153], v[158:159], v[156:157]
	v_div_fmas_f64 v[152:153], v[152:153], v[154:155], v[158:159]
	v_div_fixup_f64 v[154:155], v[152:153], v[148:149], v[150:151]
	v_fmac_f64_e32 v[148:149], v[150:151], v[154:155]
	v_div_scale_f64 v[150:151], s[10:11], v[148:149], v[148:149], 1.0
	v_rcp_f64_e32 v[152:153], v[150:151]
	s_nop 0
	v_fma_f64 v[156:157], -v[150:151], v[152:153], 1.0
	v_fmac_f64_e32 v[152:153], v[152:153], v[156:157]
	v_fma_f64 v[156:157], -v[150:151], v[152:153], 1.0
	v_fmac_f64_e32 v[152:153], v[152:153], v[156:157]
	v_div_scale_f64 v[156:157], vcc, 1.0, v[148:149], 1.0
	v_mul_f64 v[158:159], v[156:157], v[152:153]
	v_fma_f64 v[150:151], -v[150:151], v[158:159], v[156:157]
	s_nop 1
	v_div_fmas_f64 v[150:151], v[150:151], v[152:153], v[158:159]
	v_div_fixup_f64 v[152:153], v[150:151], v[148:149], 1.0
	v_mul_f64 v[154:155], v[154:155], -v[152:153]
.LBB73_151:
	s_or_b64 exec, exec, s[2:3]
	ds_write2_b64 v191, v[152:153], v[154:155] offset1:1
.LBB73_152:
	s_or_b64 exec, exec, s[4:5]
	s_waitcnt lgkmcnt(0)
	s_barrier
	ds_read2_b64 v[148:151], v191 offset1:1
	v_cmp_lt_u32_e32 vcc, 16, v190
	s_waitcnt lgkmcnt(0)
	scratch_store_dwordx4 off, v[148:151], off offset:312 ; 16-byte Folded Spill
	s_and_saveexec_b64 s[2:3], vcc
	s_cbranch_execz .LBB73_154
; %bb.153:
	scratch_load_dwordx4 v[150:153], off, off offset:312 ; 16-byte Folded Reload
	s_waitcnt vmcnt(0)
	v_mul_f64 v[148:149], v[152:153], v[78:79]
	v_mul_f64 v[78:79], v[150:151], v[78:79]
	v_fma_f64 v[148:149], v[150:151], v[76:77], -v[148:149]
	v_fmac_f64_e32 v[78:79], v[152:153], v[76:77]
	ds_read2_b64 v[150:153], v192 offset0:34 offset1:35
	s_waitcnt lgkmcnt(0)
	v_mul_f64 v[76:77], v[152:153], v[78:79]
	v_fma_f64 v[76:77], v[150:151], v[148:149], -v[76:77]
	v_mul_f64 v[150:151], v[150:151], v[78:79]
	v_fmac_f64_e32 v[150:151], v[152:153], v[148:149]
	v_add_f64 v[74:75], v[74:75], -v[150:151]
	ds_read2_b64 v[150:153], v192 offset0:36 offset1:37
	v_add_f64 v[72:73], v[72:73], -v[76:77]
	s_waitcnt lgkmcnt(0)
	v_mul_f64 v[76:77], v[152:153], v[78:79]
	v_fma_f64 v[76:77], v[150:151], v[148:149], -v[76:77]
	v_mul_f64 v[150:151], v[150:151], v[78:79]
	v_fmac_f64_e32 v[150:151], v[152:153], v[148:149]
	v_add_f64 v[70:71], v[70:71], -v[150:151]
	ds_read2_b64 v[150:153], v192 offset0:38 offset1:39
	v_add_f64 v[68:69], v[68:69], -v[76:77]
	;; [unrolled: 8-line block ×19, first 2 shown]
	s_waitcnt lgkmcnt(0)
	v_mul_f64 v[76:77], v[152:153], v[78:79]
	v_fma_f64 v[76:77], v[150:151], v[148:149], -v[76:77]
	v_mul_f64 v[150:151], v[150:151], v[78:79]
	v_fmac_f64_e32 v[150:151], v[152:153], v[148:149]
	v_add_f64 v[144:145], v[144:145], -v[76:77]
	v_add_f64 v[146:147], v[146:147], -v[150:151]
	v_mov_b64_e32 v[76:77], v[148:149]
.LBB73_154:
	s_or_b64 exec, exec, s[2:3]
	v_cmp_eq_u32_e32 vcc, 17, v190
	s_barrier
	s_and_saveexec_b64 s[4:5], vcc
	s_cbranch_execz .LBB73_161
; %bb.155:
	s_waitcnt vmcnt(42)
	ds_write2_b64 v191, v[72:73], v[74:75] offset1:1
	s_waitcnt vmcnt(41)
	ds_write2_b64 v192, v[68:69], v[70:71] offset0:36 offset1:37
	s_waitcnt vmcnt(40)
	ds_write2_b64 v192, v[64:65], v[66:67] offset0:38 offset1:39
	;; [unrolled: 2-line block ×17, first 2 shown]
	ds_write2_b64 v192, v[0:1], v[2:3] offset0:70 offset1:71
	s_waitcnt vmcnt(18)
	ds_write2_b64 v192, v[144:145], v[146:147] offset0:72 offset1:73
	ds_read2_b64 v[148:151], v191 offset1:1
	s_waitcnt lgkmcnt(0)
	v_cmp_neq_f64_e32 vcc, 0, v[148:149]
	v_cmp_neq_f64_e64 s[2:3], 0, v[150:151]
	s_or_b64 s[2:3], vcc, s[2:3]
	s_and_b64 exec, exec, s[2:3]
	s_cbranch_execz .LBB73_161
; %bb.156:
	v_cmp_ngt_f64_e64 s[2:3], |v[148:149]|, |v[150:151]|
                                        ; implicit-def: $vgpr152_vgpr153
	s_and_saveexec_b64 s[10:11], s[2:3]
	s_xor_b64 s[2:3], exec, s[10:11]
                                        ; implicit-def: $vgpr154_vgpr155
	s_cbranch_execz .LBB73_158
; %bb.157:
	v_div_scale_f64 v[152:153], s[10:11], v[150:151], v[150:151], v[148:149]
	v_rcp_f64_e32 v[154:155], v[152:153]
	v_div_scale_f64 v[156:157], vcc, v[148:149], v[150:151], v[148:149]
	v_fma_f64 v[158:159], -v[152:153], v[154:155], 1.0
	v_fmac_f64_e32 v[154:155], v[154:155], v[158:159]
	v_fma_f64 v[158:159], -v[152:153], v[154:155], 1.0
	v_fmac_f64_e32 v[154:155], v[154:155], v[158:159]
	v_mul_f64 v[158:159], v[156:157], v[154:155]
	v_fma_f64 v[152:153], -v[152:153], v[158:159], v[156:157]
	v_div_fmas_f64 v[152:153], v[152:153], v[154:155], v[158:159]
	v_div_fixup_f64 v[152:153], v[152:153], v[150:151], v[148:149]
	v_fmac_f64_e32 v[150:151], v[148:149], v[152:153]
	v_div_scale_f64 v[148:149], s[10:11], v[150:151], v[150:151], 1.0
	v_rcp_f64_e32 v[154:155], v[148:149]
	s_nop 0
	v_fma_f64 v[156:157], -v[148:149], v[154:155], 1.0
	v_fmac_f64_e32 v[154:155], v[154:155], v[156:157]
	v_fma_f64 v[156:157], -v[148:149], v[154:155], 1.0
	v_fmac_f64_e32 v[154:155], v[154:155], v[156:157]
	v_div_scale_f64 v[156:157], vcc, 1.0, v[150:151], 1.0
	v_mul_f64 v[158:159], v[156:157], v[154:155]
	v_fma_f64 v[148:149], -v[148:149], v[158:159], v[156:157]
	s_nop 1
	v_div_fmas_f64 v[148:149], v[148:149], v[154:155], v[158:159]
	v_div_fixup_f64 v[154:155], v[148:149], v[150:151], 1.0
	v_mul_f64 v[152:153], v[152:153], v[154:155]
	v_xor_b32_e32 v155, 0x80000000, v155
                                        ; implicit-def: $vgpr148_vgpr149
.LBB73_158:
	s_andn2_saveexec_b64 s[2:3], s[2:3]
	s_cbranch_execz .LBB73_160
; %bb.159:
	v_div_scale_f64 v[152:153], s[10:11], v[148:149], v[148:149], v[150:151]
	v_rcp_f64_e32 v[154:155], v[152:153]
	v_div_scale_f64 v[156:157], vcc, v[150:151], v[148:149], v[150:151]
	v_fma_f64 v[158:159], -v[152:153], v[154:155], 1.0
	v_fmac_f64_e32 v[154:155], v[154:155], v[158:159]
	v_fma_f64 v[158:159], -v[152:153], v[154:155], 1.0
	v_fmac_f64_e32 v[154:155], v[154:155], v[158:159]
	v_mul_f64 v[158:159], v[156:157], v[154:155]
	v_fma_f64 v[152:153], -v[152:153], v[158:159], v[156:157]
	v_div_fmas_f64 v[152:153], v[152:153], v[154:155], v[158:159]
	v_div_fixup_f64 v[154:155], v[152:153], v[148:149], v[150:151]
	v_fmac_f64_e32 v[148:149], v[150:151], v[154:155]
	v_div_scale_f64 v[150:151], s[10:11], v[148:149], v[148:149], 1.0
	v_rcp_f64_e32 v[152:153], v[150:151]
	s_nop 0
	v_fma_f64 v[156:157], -v[150:151], v[152:153], 1.0
	v_fmac_f64_e32 v[152:153], v[152:153], v[156:157]
	v_fma_f64 v[156:157], -v[150:151], v[152:153], 1.0
	v_fmac_f64_e32 v[152:153], v[152:153], v[156:157]
	v_div_scale_f64 v[156:157], vcc, 1.0, v[148:149], 1.0
	v_mul_f64 v[158:159], v[156:157], v[152:153]
	v_fma_f64 v[150:151], -v[150:151], v[158:159], v[156:157]
	s_nop 1
	v_div_fmas_f64 v[150:151], v[150:151], v[152:153], v[158:159]
	v_div_fixup_f64 v[152:153], v[150:151], v[148:149], 1.0
	v_mul_f64 v[154:155], v[154:155], -v[152:153]
.LBB73_160:
	s_or_b64 exec, exec, s[2:3]
	ds_write2_b64 v191, v[152:153], v[154:155] offset1:1
.LBB73_161:
	s_or_b64 exec, exec, s[4:5]
	s_waitcnt lgkmcnt(0)
	s_barrier
	ds_read2_b64 v[148:151], v191 offset1:1
	v_cmp_lt_u32_e32 vcc, 17, v190
	s_waitcnt lgkmcnt(0)
	scratch_store_dwordx4 off, v[148:151], off offset:328 ; 16-byte Folded Spill
	s_and_saveexec_b64 s[2:3], vcc
	s_cbranch_execz .LBB73_163
; %bb.162:
	scratch_load_dwordx4 v[150:153], off, off offset:328 ; 16-byte Folded Reload
	s_waitcnt vmcnt(0)
	v_mul_f64 v[148:149], v[152:153], v[74:75]
	v_mul_f64 v[74:75], v[150:151], v[74:75]
	v_fma_f64 v[148:149], v[150:151], v[72:73], -v[148:149]
	v_fmac_f64_e32 v[74:75], v[152:153], v[72:73]
	ds_read2_b64 v[150:153], v192 offset0:36 offset1:37
	s_waitcnt lgkmcnt(0)
	v_mul_f64 v[72:73], v[152:153], v[74:75]
	v_fma_f64 v[72:73], v[150:151], v[148:149], -v[72:73]
	v_mul_f64 v[150:151], v[150:151], v[74:75]
	v_fmac_f64_e32 v[150:151], v[152:153], v[148:149]
	v_add_f64 v[70:71], v[70:71], -v[150:151]
	ds_read2_b64 v[150:153], v192 offset0:38 offset1:39
	v_add_f64 v[68:69], v[68:69], -v[72:73]
	s_waitcnt lgkmcnt(0)
	v_mul_f64 v[72:73], v[152:153], v[74:75]
	v_fma_f64 v[72:73], v[150:151], v[148:149], -v[72:73]
	v_mul_f64 v[150:151], v[150:151], v[74:75]
	v_fmac_f64_e32 v[150:151], v[152:153], v[148:149]
	v_add_f64 v[66:67], v[66:67], -v[150:151]
	ds_read2_b64 v[150:153], v192 offset0:40 offset1:41
	v_add_f64 v[64:65], v[64:65], -v[72:73]
	;; [unrolled: 8-line block ×18, first 2 shown]
	s_waitcnt lgkmcnt(0)
	v_mul_f64 v[72:73], v[152:153], v[74:75]
	v_fma_f64 v[72:73], v[150:151], v[148:149], -v[72:73]
	v_mul_f64 v[150:151], v[150:151], v[74:75]
	v_fmac_f64_e32 v[150:151], v[152:153], v[148:149]
	v_add_f64 v[144:145], v[144:145], -v[72:73]
	v_add_f64 v[146:147], v[146:147], -v[150:151]
	v_mov_b64_e32 v[72:73], v[148:149]
.LBB73_163:
	s_or_b64 exec, exec, s[2:3]
	v_cmp_eq_u32_e32 vcc, 18, v190
	s_barrier
	s_and_saveexec_b64 s[4:5], vcc
	s_cbranch_execz .LBB73_170
; %bb.164:
	s_waitcnt vmcnt(42)
	ds_write2_b64 v191, v[68:69], v[70:71] offset1:1
	s_waitcnt vmcnt(41)
	ds_write2_b64 v192, v[64:65], v[66:67] offset0:38 offset1:39
	s_waitcnt vmcnt(40)
	ds_write2_b64 v192, v[60:61], v[62:63] offset0:40 offset1:41
	;; [unrolled: 2-line block ×16, first 2 shown]
	ds_write2_b64 v192, v[0:1], v[2:3] offset0:70 offset1:71
	s_waitcnt vmcnt(19)
	ds_write2_b64 v192, v[144:145], v[146:147] offset0:72 offset1:73
	ds_read2_b64 v[148:151], v191 offset1:1
	s_waitcnt lgkmcnt(0)
	v_cmp_neq_f64_e32 vcc, 0, v[148:149]
	v_cmp_neq_f64_e64 s[2:3], 0, v[150:151]
	s_or_b64 s[2:3], vcc, s[2:3]
	s_and_b64 exec, exec, s[2:3]
	s_cbranch_execz .LBB73_170
; %bb.165:
	v_cmp_ngt_f64_e64 s[2:3], |v[148:149]|, |v[150:151]|
                                        ; implicit-def: $vgpr152_vgpr153
	s_and_saveexec_b64 s[10:11], s[2:3]
	s_xor_b64 s[2:3], exec, s[10:11]
                                        ; implicit-def: $vgpr154_vgpr155
	s_cbranch_execz .LBB73_167
; %bb.166:
	v_div_scale_f64 v[152:153], s[10:11], v[150:151], v[150:151], v[148:149]
	v_rcp_f64_e32 v[154:155], v[152:153]
	v_div_scale_f64 v[156:157], vcc, v[148:149], v[150:151], v[148:149]
	v_fma_f64 v[158:159], -v[152:153], v[154:155], 1.0
	v_fmac_f64_e32 v[154:155], v[154:155], v[158:159]
	v_fma_f64 v[158:159], -v[152:153], v[154:155], 1.0
	v_fmac_f64_e32 v[154:155], v[154:155], v[158:159]
	v_mul_f64 v[158:159], v[156:157], v[154:155]
	v_fma_f64 v[152:153], -v[152:153], v[158:159], v[156:157]
	v_div_fmas_f64 v[152:153], v[152:153], v[154:155], v[158:159]
	v_div_fixup_f64 v[152:153], v[152:153], v[150:151], v[148:149]
	v_fmac_f64_e32 v[150:151], v[148:149], v[152:153]
	v_div_scale_f64 v[148:149], s[10:11], v[150:151], v[150:151], 1.0
	v_rcp_f64_e32 v[154:155], v[148:149]
	s_nop 0
	v_fma_f64 v[156:157], -v[148:149], v[154:155], 1.0
	v_fmac_f64_e32 v[154:155], v[154:155], v[156:157]
	v_fma_f64 v[156:157], -v[148:149], v[154:155], 1.0
	v_fmac_f64_e32 v[154:155], v[154:155], v[156:157]
	v_div_scale_f64 v[156:157], vcc, 1.0, v[150:151], 1.0
	v_mul_f64 v[158:159], v[156:157], v[154:155]
	v_fma_f64 v[148:149], -v[148:149], v[158:159], v[156:157]
	s_nop 1
	v_div_fmas_f64 v[148:149], v[148:149], v[154:155], v[158:159]
	v_div_fixup_f64 v[154:155], v[148:149], v[150:151], 1.0
	v_mul_f64 v[152:153], v[152:153], v[154:155]
	v_xor_b32_e32 v155, 0x80000000, v155
                                        ; implicit-def: $vgpr148_vgpr149
.LBB73_167:
	s_andn2_saveexec_b64 s[2:3], s[2:3]
	s_cbranch_execz .LBB73_169
; %bb.168:
	v_div_scale_f64 v[152:153], s[10:11], v[148:149], v[148:149], v[150:151]
	v_rcp_f64_e32 v[154:155], v[152:153]
	v_div_scale_f64 v[156:157], vcc, v[150:151], v[148:149], v[150:151]
	v_fma_f64 v[158:159], -v[152:153], v[154:155], 1.0
	v_fmac_f64_e32 v[154:155], v[154:155], v[158:159]
	v_fma_f64 v[158:159], -v[152:153], v[154:155], 1.0
	v_fmac_f64_e32 v[154:155], v[154:155], v[158:159]
	v_mul_f64 v[158:159], v[156:157], v[154:155]
	v_fma_f64 v[152:153], -v[152:153], v[158:159], v[156:157]
	v_div_fmas_f64 v[152:153], v[152:153], v[154:155], v[158:159]
	v_div_fixup_f64 v[154:155], v[152:153], v[148:149], v[150:151]
	v_fmac_f64_e32 v[148:149], v[150:151], v[154:155]
	v_div_scale_f64 v[150:151], s[10:11], v[148:149], v[148:149], 1.0
	v_rcp_f64_e32 v[152:153], v[150:151]
	s_nop 0
	v_fma_f64 v[156:157], -v[150:151], v[152:153], 1.0
	v_fmac_f64_e32 v[152:153], v[152:153], v[156:157]
	v_fma_f64 v[156:157], -v[150:151], v[152:153], 1.0
	v_fmac_f64_e32 v[152:153], v[152:153], v[156:157]
	v_div_scale_f64 v[156:157], vcc, 1.0, v[148:149], 1.0
	v_mul_f64 v[158:159], v[156:157], v[152:153]
	v_fma_f64 v[150:151], -v[150:151], v[158:159], v[156:157]
	s_nop 1
	v_div_fmas_f64 v[150:151], v[150:151], v[152:153], v[158:159]
	v_div_fixup_f64 v[152:153], v[150:151], v[148:149], 1.0
	v_mul_f64 v[154:155], v[154:155], -v[152:153]
.LBB73_169:
	s_or_b64 exec, exec, s[2:3]
	ds_write2_b64 v191, v[152:153], v[154:155] offset1:1
.LBB73_170:
	s_or_b64 exec, exec, s[4:5]
	s_waitcnt lgkmcnt(0)
	s_barrier
	ds_read2_b64 v[148:151], v191 offset1:1
	v_cmp_lt_u32_e32 vcc, 18, v190
	s_waitcnt lgkmcnt(0)
	scratch_store_dwordx4 off, v[148:151], off offset:344 ; 16-byte Folded Spill
	s_and_saveexec_b64 s[2:3], vcc
	s_cbranch_execz .LBB73_172
; %bb.171:
	scratch_load_dwordx4 v[150:153], off, off offset:344 ; 16-byte Folded Reload
	s_waitcnt vmcnt(0)
	v_mul_f64 v[148:149], v[152:153], v[70:71]
	v_mul_f64 v[70:71], v[150:151], v[70:71]
	v_fma_f64 v[148:149], v[150:151], v[68:69], -v[148:149]
	v_fmac_f64_e32 v[70:71], v[152:153], v[68:69]
	ds_read2_b64 v[150:153], v192 offset0:38 offset1:39
	s_waitcnt lgkmcnt(0)
	v_mul_f64 v[68:69], v[152:153], v[70:71]
	v_fma_f64 v[68:69], v[150:151], v[148:149], -v[68:69]
	v_mul_f64 v[150:151], v[150:151], v[70:71]
	v_fmac_f64_e32 v[150:151], v[152:153], v[148:149]
	v_add_f64 v[66:67], v[66:67], -v[150:151]
	ds_read2_b64 v[150:153], v192 offset0:40 offset1:41
	v_add_f64 v[64:65], v[64:65], -v[68:69]
	s_waitcnt lgkmcnt(0)
	v_mul_f64 v[68:69], v[152:153], v[70:71]
	v_fma_f64 v[68:69], v[150:151], v[148:149], -v[68:69]
	v_mul_f64 v[150:151], v[150:151], v[70:71]
	v_fmac_f64_e32 v[150:151], v[152:153], v[148:149]
	v_add_f64 v[62:63], v[62:63], -v[150:151]
	ds_read2_b64 v[150:153], v192 offset0:42 offset1:43
	v_add_f64 v[60:61], v[60:61], -v[68:69]
	;; [unrolled: 8-line block ×17, first 2 shown]
	s_waitcnt lgkmcnt(0)
	v_mul_f64 v[68:69], v[152:153], v[70:71]
	v_fma_f64 v[68:69], v[150:151], v[148:149], -v[68:69]
	v_mul_f64 v[150:151], v[150:151], v[70:71]
	v_fmac_f64_e32 v[150:151], v[152:153], v[148:149]
	v_add_f64 v[144:145], v[144:145], -v[68:69]
	v_add_f64 v[146:147], v[146:147], -v[150:151]
	v_mov_b64_e32 v[68:69], v[148:149]
.LBB73_172:
	s_or_b64 exec, exec, s[2:3]
	v_cmp_eq_u32_e32 vcc, 19, v190
	s_barrier
	s_and_saveexec_b64 s[4:5], vcc
	s_cbranch_execz .LBB73_179
; %bb.173:
	s_waitcnt vmcnt(42)
	ds_write2_b64 v191, v[64:65], v[66:67] offset1:1
	s_waitcnt vmcnt(41)
	ds_write2_b64 v192, v[60:61], v[62:63] offset0:40 offset1:41
	s_waitcnt vmcnt(40)
	ds_write2_b64 v192, v[56:57], v[58:59] offset0:42 offset1:43
	;; [unrolled: 2-line block ×15, first 2 shown]
	ds_write2_b64 v192, v[0:1], v[2:3] offset0:70 offset1:71
	s_waitcnt vmcnt(20)
	ds_write2_b64 v192, v[144:145], v[146:147] offset0:72 offset1:73
	ds_read2_b64 v[148:151], v191 offset1:1
	s_waitcnt lgkmcnt(0)
	v_cmp_neq_f64_e32 vcc, 0, v[148:149]
	v_cmp_neq_f64_e64 s[2:3], 0, v[150:151]
	s_or_b64 s[2:3], vcc, s[2:3]
	s_and_b64 exec, exec, s[2:3]
	s_cbranch_execz .LBB73_179
; %bb.174:
	v_cmp_ngt_f64_e64 s[2:3], |v[148:149]|, |v[150:151]|
                                        ; implicit-def: $vgpr152_vgpr153
	s_and_saveexec_b64 s[10:11], s[2:3]
	s_xor_b64 s[2:3], exec, s[10:11]
                                        ; implicit-def: $vgpr154_vgpr155
	s_cbranch_execz .LBB73_176
; %bb.175:
	v_div_scale_f64 v[152:153], s[10:11], v[150:151], v[150:151], v[148:149]
	v_rcp_f64_e32 v[154:155], v[152:153]
	v_div_scale_f64 v[156:157], vcc, v[148:149], v[150:151], v[148:149]
	v_fma_f64 v[158:159], -v[152:153], v[154:155], 1.0
	v_fmac_f64_e32 v[154:155], v[154:155], v[158:159]
	v_fma_f64 v[158:159], -v[152:153], v[154:155], 1.0
	v_fmac_f64_e32 v[154:155], v[154:155], v[158:159]
	v_mul_f64 v[158:159], v[156:157], v[154:155]
	v_fma_f64 v[152:153], -v[152:153], v[158:159], v[156:157]
	v_div_fmas_f64 v[152:153], v[152:153], v[154:155], v[158:159]
	v_div_fixup_f64 v[152:153], v[152:153], v[150:151], v[148:149]
	v_fmac_f64_e32 v[150:151], v[148:149], v[152:153]
	v_div_scale_f64 v[148:149], s[10:11], v[150:151], v[150:151], 1.0
	v_rcp_f64_e32 v[154:155], v[148:149]
	s_nop 0
	v_fma_f64 v[156:157], -v[148:149], v[154:155], 1.0
	v_fmac_f64_e32 v[154:155], v[154:155], v[156:157]
	v_fma_f64 v[156:157], -v[148:149], v[154:155], 1.0
	v_fmac_f64_e32 v[154:155], v[154:155], v[156:157]
	v_div_scale_f64 v[156:157], vcc, 1.0, v[150:151], 1.0
	v_mul_f64 v[158:159], v[156:157], v[154:155]
	v_fma_f64 v[148:149], -v[148:149], v[158:159], v[156:157]
	s_nop 1
	v_div_fmas_f64 v[148:149], v[148:149], v[154:155], v[158:159]
	v_div_fixup_f64 v[154:155], v[148:149], v[150:151], 1.0
	v_mul_f64 v[152:153], v[152:153], v[154:155]
	v_xor_b32_e32 v155, 0x80000000, v155
                                        ; implicit-def: $vgpr148_vgpr149
.LBB73_176:
	s_andn2_saveexec_b64 s[2:3], s[2:3]
	s_cbranch_execz .LBB73_178
; %bb.177:
	v_div_scale_f64 v[152:153], s[10:11], v[148:149], v[148:149], v[150:151]
	v_rcp_f64_e32 v[154:155], v[152:153]
	v_div_scale_f64 v[156:157], vcc, v[150:151], v[148:149], v[150:151]
	v_fma_f64 v[158:159], -v[152:153], v[154:155], 1.0
	v_fmac_f64_e32 v[154:155], v[154:155], v[158:159]
	v_fma_f64 v[158:159], -v[152:153], v[154:155], 1.0
	v_fmac_f64_e32 v[154:155], v[154:155], v[158:159]
	v_mul_f64 v[158:159], v[156:157], v[154:155]
	v_fma_f64 v[152:153], -v[152:153], v[158:159], v[156:157]
	v_div_fmas_f64 v[152:153], v[152:153], v[154:155], v[158:159]
	v_div_fixup_f64 v[154:155], v[152:153], v[148:149], v[150:151]
	v_fmac_f64_e32 v[148:149], v[150:151], v[154:155]
	v_div_scale_f64 v[150:151], s[10:11], v[148:149], v[148:149], 1.0
	v_rcp_f64_e32 v[152:153], v[150:151]
	s_nop 0
	v_fma_f64 v[156:157], -v[150:151], v[152:153], 1.0
	v_fmac_f64_e32 v[152:153], v[152:153], v[156:157]
	v_fma_f64 v[156:157], -v[150:151], v[152:153], 1.0
	v_fmac_f64_e32 v[152:153], v[152:153], v[156:157]
	v_div_scale_f64 v[156:157], vcc, 1.0, v[148:149], 1.0
	v_mul_f64 v[158:159], v[156:157], v[152:153]
	v_fma_f64 v[150:151], -v[150:151], v[158:159], v[156:157]
	s_nop 1
	v_div_fmas_f64 v[150:151], v[150:151], v[152:153], v[158:159]
	v_div_fixup_f64 v[152:153], v[150:151], v[148:149], 1.0
	v_mul_f64 v[154:155], v[154:155], -v[152:153]
.LBB73_178:
	s_or_b64 exec, exec, s[2:3]
	ds_write2_b64 v191, v[152:153], v[154:155] offset1:1
.LBB73_179:
	s_or_b64 exec, exec, s[4:5]
	s_waitcnt lgkmcnt(0)
	s_barrier
	ds_read2_b64 v[148:151], v191 offset1:1
	v_cmp_lt_u32_e32 vcc, 19, v190
	s_waitcnt lgkmcnt(0)
	scratch_store_dwordx4 off, v[148:151], off offset:360 ; 16-byte Folded Spill
	s_and_saveexec_b64 s[2:3], vcc
	s_cbranch_execz .LBB73_181
; %bb.180:
	scratch_load_dwordx4 v[150:153], off, off offset:360 ; 16-byte Folded Reload
	s_waitcnt vmcnt(0)
	v_mul_f64 v[148:149], v[152:153], v[66:67]
	v_mul_f64 v[66:67], v[150:151], v[66:67]
	v_fma_f64 v[148:149], v[150:151], v[64:65], -v[148:149]
	v_fmac_f64_e32 v[66:67], v[152:153], v[64:65]
	ds_read2_b64 v[150:153], v192 offset0:40 offset1:41
	s_waitcnt lgkmcnt(0)
	v_mul_f64 v[64:65], v[152:153], v[66:67]
	v_fma_f64 v[64:65], v[150:151], v[148:149], -v[64:65]
	v_mul_f64 v[150:151], v[150:151], v[66:67]
	v_fmac_f64_e32 v[150:151], v[152:153], v[148:149]
	v_add_f64 v[62:63], v[62:63], -v[150:151]
	ds_read2_b64 v[150:153], v192 offset0:42 offset1:43
	v_add_f64 v[60:61], v[60:61], -v[64:65]
	s_waitcnt lgkmcnt(0)
	v_mul_f64 v[64:65], v[152:153], v[66:67]
	v_fma_f64 v[64:65], v[150:151], v[148:149], -v[64:65]
	v_mul_f64 v[150:151], v[150:151], v[66:67]
	v_fmac_f64_e32 v[150:151], v[152:153], v[148:149]
	v_add_f64 v[58:59], v[58:59], -v[150:151]
	ds_read2_b64 v[150:153], v192 offset0:44 offset1:45
	v_add_f64 v[56:57], v[56:57], -v[64:65]
	;; [unrolled: 8-line block ×16, first 2 shown]
	s_waitcnt lgkmcnt(0)
	v_mul_f64 v[64:65], v[152:153], v[66:67]
	v_fma_f64 v[64:65], v[150:151], v[148:149], -v[64:65]
	v_mul_f64 v[150:151], v[150:151], v[66:67]
	v_fmac_f64_e32 v[150:151], v[152:153], v[148:149]
	v_add_f64 v[144:145], v[144:145], -v[64:65]
	v_add_f64 v[146:147], v[146:147], -v[150:151]
	v_mov_b64_e32 v[64:65], v[148:149]
.LBB73_181:
	s_or_b64 exec, exec, s[2:3]
	v_cmp_eq_u32_e32 vcc, 20, v190
	s_waitcnt vmcnt(63) expcnt(7) lgkmcnt(15)
	s_barrier
	s_and_saveexec_b64 s[4:5], vcc
	s_cbranch_execz .LBB73_188
; %bb.182:
	s_waitcnt vmcnt(42)
	ds_write2_b64 v191, v[60:61], v[62:63] offset1:1
	s_waitcnt vmcnt(41)
	ds_write2_b64 v192, v[56:57], v[58:59] offset0:42 offset1:43
	s_waitcnt vmcnt(40)
	ds_write2_b64 v192, v[52:53], v[54:55] offset0:44 offset1:45
	;; [unrolled: 2-line block ×14, first 2 shown]
	ds_write2_b64 v192, v[0:1], v[2:3] offset0:70 offset1:71
	s_waitcnt vmcnt(21)
	ds_write2_b64 v192, v[144:145], v[146:147] offset0:72 offset1:73
	ds_read2_b64 v[148:151], v191 offset1:1
	s_waitcnt lgkmcnt(0)
	v_cmp_neq_f64_e32 vcc, 0, v[148:149]
	v_cmp_neq_f64_e64 s[2:3], 0, v[150:151]
	s_or_b64 s[2:3], vcc, s[2:3]
	s_and_b64 exec, exec, s[2:3]
	s_cbranch_execz .LBB73_188
; %bb.183:
	v_cmp_ngt_f64_e64 s[2:3], |v[148:149]|, |v[150:151]|
                                        ; implicit-def: $vgpr152_vgpr153
	s_and_saveexec_b64 s[10:11], s[2:3]
	s_xor_b64 s[2:3], exec, s[10:11]
                                        ; implicit-def: $vgpr154_vgpr155
	s_cbranch_execz .LBB73_185
; %bb.184:
	v_div_scale_f64 v[152:153], s[10:11], v[150:151], v[150:151], v[148:149]
	v_rcp_f64_e32 v[154:155], v[152:153]
	v_div_scale_f64 v[156:157], vcc, v[148:149], v[150:151], v[148:149]
	v_fma_f64 v[158:159], -v[152:153], v[154:155], 1.0
	v_fmac_f64_e32 v[154:155], v[154:155], v[158:159]
	v_fma_f64 v[158:159], -v[152:153], v[154:155], 1.0
	v_fmac_f64_e32 v[154:155], v[154:155], v[158:159]
	v_mul_f64 v[158:159], v[156:157], v[154:155]
	v_fma_f64 v[152:153], -v[152:153], v[158:159], v[156:157]
	v_div_fmas_f64 v[152:153], v[152:153], v[154:155], v[158:159]
	v_div_fixup_f64 v[152:153], v[152:153], v[150:151], v[148:149]
	v_fmac_f64_e32 v[150:151], v[148:149], v[152:153]
	v_div_scale_f64 v[148:149], s[10:11], v[150:151], v[150:151], 1.0
	v_rcp_f64_e32 v[154:155], v[148:149]
	s_nop 0
	v_fma_f64 v[156:157], -v[148:149], v[154:155], 1.0
	v_fmac_f64_e32 v[154:155], v[154:155], v[156:157]
	v_fma_f64 v[156:157], -v[148:149], v[154:155], 1.0
	v_fmac_f64_e32 v[154:155], v[154:155], v[156:157]
	v_div_scale_f64 v[156:157], vcc, 1.0, v[150:151], 1.0
	v_mul_f64 v[158:159], v[156:157], v[154:155]
	v_fma_f64 v[148:149], -v[148:149], v[158:159], v[156:157]
	s_nop 1
	v_div_fmas_f64 v[148:149], v[148:149], v[154:155], v[158:159]
	v_div_fixup_f64 v[154:155], v[148:149], v[150:151], 1.0
	v_mul_f64 v[152:153], v[152:153], v[154:155]
	v_xor_b32_e32 v155, 0x80000000, v155
                                        ; implicit-def: $vgpr148_vgpr149
.LBB73_185:
	s_andn2_saveexec_b64 s[2:3], s[2:3]
	s_cbranch_execz .LBB73_187
; %bb.186:
	v_div_scale_f64 v[152:153], s[10:11], v[148:149], v[148:149], v[150:151]
	v_rcp_f64_e32 v[154:155], v[152:153]
	v_div_scale_f64 v[156:157], vcc, v[150:151], v[148:149], v[150:151]
	v_fma_f64 v[158:159], -v[152:153], v[154:155], 1.0
	v_fmac_f64_e32 v[154:155], v[154:155], v[158:159]
	v_fma_f64 v[158:159], -v[152:153], v[154:155], 1.0
	v_fmac_f64_e32 v[154:155], v[154:155], v[158:159]
	v_mul_f64 v[158:159], v[156:157], v[154:155]
	v_fma_f64 v[152:153], -v[152:153], v[158:159], v[156:157]
	v_div_fmas_f64 v[152:153], v[152:153], v[154:155], v[158:159]
	v_div_fixup_f64 v[154:155], v[152:153], v[148:149], v[150:151]
	v_fmac_f64_e32 v[148:149], v[150:151], v[154:155]
	v_div_scale_f64 v[150:151], s[10:11], v[148:149], v[148:149], 1.0
	v_rcp_f64_e32 v[152:153], v[150:151]
	s_nop 0
	v_fma_f64 v[156:157], -v[150:151], v[152:153], 1.0
	v_fmac_f64_e32 v[152:153], v[152:153], v[156:157]
	v_fma_f64 v[156:157], -v[150:151], v[152:153], 1.0
	v_fmac_f64_e32 v[152:153], v[152:153], v[156:157]
	v_div_scale_f64 v[156:157], vcc, 1.0, v[148:149], 1.0
	v_mul_f64 v[158:159], v[156:157], v[152:153]
	v_fma_f64 v[150:151], -v[150:151], v[158:159], v[156:157]
	s_nop 1
	v_div_fmas_f64 v[150:151], v[150:151], v[152:153], v[158:159]
	v_div_fixup_f64 v[152:153], v[150:151], v[148:149], 1.0
	v_mul_f64 v[154:155], v[154:155], -v[152:153]
.LBB73_187:
	s_or_b64 exec, exec, s[2:3]
	ds_write2_b64 v191, v[152:153], v[154:155] offset1:1
.LBB73_188:
	s_or_b64 exec, exec, s[4:5]
	s_waitcnt lgkmcnt(0)
	s_barrier
	ds_read2_b64 v[148:151], v191 offset1:1
	v_cmp_lt_u32_e32 vcc, 20, v190
	s_waitcnt lgkmcnt(0)
	scratch_store_dwordx4 off, v[148:151], off offset:376 ; 16-byte Folded Spill
	s_and_saveexec_b64 s[2:3], vcc
	s_cbranch_execz .LBB73_190
; %bb.189:
	scratch_load_dwordx4 v[150:153], off, off offset:376 ; 16-byte Folded Reload
	s_waitcnt vmcnt(0)
	v_mul_f64 v[148:149], v[150:151], v[62:63]
	v_mul_f64 v[62:63], v[152:153], v[62:63]
	v_fmac_f64_e32 v[148:149], v[152:153], v[60:61]
	v_fma_f64 v[60:61], v[150:151], v[60:61], -v[62:63]
	ds_read2_b64 v[150:153], v192 offset0:42 offset1:43
	s_waitcnt lgkmcnt(0)
	v_mul_f64 v[62:63], v[152:153], v[148:149]
	v_fma_f64 v[62:63], v[150:151], v[60:61], -v[62:63]
	v_mul_f64 v[150:151], v[150:151], v[148:149]
	v_fmac_f64_e32 v[150:151], v[152:153], v[60:61]
	v_add_f64 v[58:59], v[58:59], -v[150:151]
	ds_read2_b64 v[150:153], v192 offset0:44 offset1:45
	v_add_f64 v[56:57], v[56:57], -v[62:63]
	s_waitcnt lgkmcnt(0)
	v_mul_f64 v[62:63], v[152:153], v[148:149]
	v_fma_f64 v[62:63], v[150:151], v[60:61], -v[62:63]
	v_mul_f64 v[150:151], v[150:151], v[148:149]
	v_fmac_f64_e32 v[150:151], v[152:153], v[60:61]
	v_add_f64 v[54:55], v[54:55], -v[150:151]
	ds_read2_b64 v[150:153], v192 offset0:46 offset1:47
	v_add_f64 v[52:53], v[52:53], -v[62:63]
	;; [unrolled: 8-line block ×15, first 2 shown]
	s_waitcnt lgkmcnt(0)
	v_mul_f64 v[62:63], v[152:153], v[148:149]
	v_fma_f64 v[62:63], v[150:151], v[60:61], -v[62:63]
	v_mul_f64 v[150:151], v[150:151], v[148:149]
	v_fmac_f64_e32 v[150:151], v[152:153], v[60:61]
	v_add_f64 v[144:145], v[144:145], -v[62:63]
	v_add_f64 v[146:147], v[146:147], -v[150:151]
	v_mov_b64_e32 v[62:63], v[148:149]
.LBB73_190:
	s_or_b64 exec, exec, s[2:3]
	v_cmp_eq_u32_e32 vcc, 21, v190
	s_waitcnt vmcnt(63) expcnt(7) lgkmcnt(15)
	s_barrier
	s_and_saveexec_b64 s[4:5], vcc
	s_cbranch_execz .LBB73_197
; %bb.191:
	s_waitcnt vmcnt(42)
	ds_write2_b64 v191, v[56:57], v[58:59] offset1:1
	s_waitcnt vmcnt(41)
	ds_write2_b64 v192, v[52:53], v[54:55] offset0:44 offset1:45
	s_waitcnt vmcnt(40)
	ds_write2_b64 v192, v[48:49], v[50:51] offset0:46 offset1:47
	;; [unrolled: 2-line block ×13, first 2 shown]
	ds_write2_b64 v192, v[0:1], v[2:3] offset0:70 offset1:71
	s_waitcnt vmcnt(22)
	ds_write2_b64 v192, v[144:145], v[146:147] offset0:72 offset1:73
	ds_read2_b64 v[148:151], v191 offset1:1
	s_waitcnt lgkmcnt(0)
	v_cmp_neq_f64_e32 vcc, 0, v[148:149]
	v_cmp_neq_f64_e64 s[2:3], 0, v[150:151]
	s_or_b64 s[2:3], vcc, s[2:3]
	s_and_b64 exec, exec, s[2:3]
	s_cbranch_execz .LBB73_197
; %bb.192:
	v_cmp_ngt_f64_e64 s[2:3], |v[148:149]|, |v[150:151]|
                                        ; implicit-def: $vgpr152_vgpr153
	s_and_saveexec_b64 s[10:11], s[2:3]
	s_xor_b64 s[2:3], exec, s[10:11]
                                        ; implicit-def: $vgpr154_vgpr155
	s_cbranch_execz .LBB73_194
; %bb.193:
	v_div_scale_f64 v[152:153], s[10:11], v[150:151], v[150:151], v[148:149]
	v_rcp_f64_e32 v[154:155], v[152:153]
	v_div_scale_f64 v[156:157], vcc, v[148:149], v[150:151], v[148:149]
	v_fma_f64 v[158:159], -v[152:153], v[154:155], 1.0
	v_fmac_f64_e32 v[154:155], v[154:155], v[158:159]
	v_fma_f64 v[158:159], -v[152:153], v[154:155], 1.0
	v_fmac_f64_e32 v[154:155], v[154:155], v[158:159]
	v_mul_f64 v[158:159], v[156:157], v[154:155]
	v_fma_f64 v[152:153], -v[152:153], v[158:159], v[156:157]
	v_div_fmas_f64 v[152:153], v[152:153], v[154:155], v[158:159]
	v_div_fixup_f64 v[152:153], v[152:153], v[150:151], v[148:149]
	v_fmac_f64_e32 v[150:151], v[148:149], v[152:153]
	v_div_scale_f64 v[148:149], s[10:11], v[150:151], v[150:151], 1.0
	v_rcp_f64_e32 v[154:155], v[148:149]
	s_nop 0
	v_fma_f64 v[156:157], -v[148:149], v[154:155], 1.0
	v_fmac_f64_e32 v[154:155], v[154:155], v[156:157]
	v_fma_f64 v[156:157], -v[148:149], v[154:155], 1.0
	v_fmac_f64_e32 v[154:155], v[154:155], v[156:157]
	v_div_scale_f64 v[156:157], vcc, 1.0, v[150:151], 1.0
	v_mul_f64 v[158:159], v[156:157], v[154:155]
	v_fma_f64 v[148:149], -v[148:149], v[158:159], v[156:157]
	s_nop 1
	v_div_fmas_f64 v[148:149], v[148:149], v[154:155], v[158:159]
	v_div_fixup_f64 v[154:155], v[148:149], v[150:151], 1.0
	v_mul_f64 v[152:153], v[152:153], v[154:155]
	v_xor_b32_e32 v155, 0x80000000, v155
                                        ; implicit-def: $vgpr148_vgpr149
.LBB73_194:
	s_andn2_saveexec_b64 s[2:3], s[2:3]
	s_cbranch_execz .LBB73_196
; %bb.195:
	v_div_scale_f64 v[152:153], s[10:11], v[148:149], v[148:149], v[150:151]
	v_rcp_f64_e32 v[154:155], v[152:153]
	v_div_scale_f64 v[156:157], vcc, v[150:151], v[148:149], v[150:151]
	v_fma_f64 v[158:159], -v[152:153], v[154:155], 1.0
	v_fmac_f64_e32 v[154:155], v[154:155], v[158:159]
	v_fma_f64 v[158:159], -v[152:153], v[154:155], 1.0
	v_fmac_f64_e32 v[154:155], v[154:155], v[158:159]
	v_mul_f64 v[158:159], v[156:157], v[154:155]
	v_fma_f64 v[152:153], -v[152:153], v[158:159], v[156:157]
	v_div_fmas_f64 v[152:153], v[152:153], v[154:155], v[158:159]
	v_div_fixup_f64 v[154:155], v[152:153], v[148:149], v[150:151]
	v_fmac_f64_e32 v[148:149], v[150:151], v[154:155]
	v_div_scale_f64 v[150:151], s[10:11], v[148:149], v[148:149], 1.0
	v_rcp_f64_e32 v[152:153], v[150:151]
	s_nop 0
	v_fma_f64 v[156:157], -v[150:151], v[152:153], 1.0
	v_fmac_f64_e32 v[152:153], v[152:153], v[156:157]
	v_fma_f64 v[156:157], -v[150:151], v[152:153], 1.0
	v_fmac_f64_e32 v[152:153], v[152:153], v[156:157]
	v_div_scale_f64 v[156:157], vcc, 1.0, v[148:149], 1.0
	v_mul_f64 v[158:159], v[156:157], v[152:153]
	v_fma_f64 v[150:151], -v[150:151], v[158:159], v[156:157]
	s_nop 1
	v_div_fmas_f64 v[150:151], v[150:151], v[152:153], v[158:159]
	v_div_fixup_f64 v[152:153], v[150:151], v[148:149], 1.0
	v_mul_f64 v[154:155], v[154:155], -v[152:153]
.LBB73_196:
	s_or_b64 exec, exec, s[2:3]
	ds_write2_b64 v191, v[152:153], v[154:155] offset1:1
.LBB73_197:
	s_or_b64 exec, exec, s[4:5]
	s_waitcnt lgkmcnt(0)
	s_barrier
	ds_read2_b64 v[148:151], v191 offset1:1
	v_cmp_lt_u32_e32 vcc, 21, v190
	s_waitcnt lgkmcnt(0)
	scratch_store_dwordx4 off, v[148:151], off offset:392 ; 16-byte Folded Spill
	s_and_saveexec_b64 s[2:3], vcc
	s_cbranch_execz .LBB73_199
; %bb.198:
	scratch_load_dwordx4 v[150:153], off, off offset:392 ; 16-byte Folded Reload
	s_waitcnt vmcnt(0)
	v_mul_f64 v[148:149], v[150:151], v[58:59]
	v_mul_f64 v[58:59], v[152:153], v[58:59]
	v_fmac_f64_e32 v[148:149], v[152:153], v[56:57]
	v_fma_f64 v[56:57], v[150:151], v[56:57], -v[58:59]
	ds_read2_b64 v[150:153], v192 offset0:44 offset1:45
	s_waitcnt lgkmcnt(0)
	v_mul_f64 v[58:59], v[152:153], v[148:149]
	v_fma_f64 v[58:59], v[150:151], v[56:57], -v[58:59]
	v_mul_f64 v[150:151], v[150:151], v[148:149]
	v_fmac_f64_e32 v[150:151], v[152:153], v[56:57]
	v_add_f64 v[54:55], v[54:55], -v[150:151]
	ds_read2_b64 v[150:153], v192 offset0:46 offset1:47
	v_add_f64 v[52:53], v[52:53], -v[58:59]
	s_waitcnt lgkmcnt(0)
	v_mul_f64 v[58:59], v[152:153], v[148:149]
	v_fma_f64 v[58:59], v[150:151], v[56:57], -v[58:59]
	v_mul_f64 v[150:151], v[150:151], v[148:149]
	v_fmac_f64_e32 v[150:151], v[152:153], v[56:57]
	v_add_f64 v[50:51], v[50:51], -v[150:151]
	ds_read2_b64 v[150:153], v192 offset0:48 offset1:49
	v_add_f64 v[48:49], v[48:49], -v[58:59]
	;; [unrolled: 8-line block ×14, first 2 shown]
	s_waitcnt lgkmcnt(0)
	v_mul_f64 v[58:59], v[152:153], v[148:149]
	v_fma_f64 v[58:59], v[150:151], v[56:57], -v[58:59]
	v_mul_f64 v[150:151], v[150:151], v[148:149]
	v_fmac_f64_e32 v[150:151], v[152:153], v[56:57]
	v_add_f64 v[144:145], v[144:145], -v[58:59]
	v_add_f64 v[146:147], v[146:147], -v[150:151]
	v_mov_b64_e32 v[58:59], v[148:149]
.LBB73_199:
	s_or_b64 exec, exec, s[2:3]
	v_cmp_eq_u32_e32 vcc, 22, v190
	s_waitcnt vmcnt(63) expcnt(7) lgkmcnt(15)
	s_barrier
	s_and_saveexec_b64 s[4:5], vcc
	s_cbranch_execz .LBB73_206
; %bb.200:
	s_waitcnt vmcnt(42)
	ds_write2_b64 v191, v[52:53], v[54:55] offset1:1
	s_waitcnt vmcnt(41)
	ds_write2_b64 v192, v[48:49], v[50:51] offset0:46 offset1:47
	s_waitcnt vmcnt(40)
	ds_write2_b64 v192, v[44:45], v[46:47] offset0:48 offset1:49
	;; [unrolled: 2-line block ×12, first 2 shown]
	ds_write2_b64 v192, v[0:1], v[2:3] offset0:70 offset1:71
	s_waitcnt vmcnt(23)
	ds_write2_b64 v192, v[144:145], v[146:147] offset0:72 offset1:73
	ds_read2_b64 v[148:151], v191 offset1:1
	s_waitcnt lgkmcnt(0)
	v_cmp_neq_f64_e32 vcc, 0, v[148:149]
	v_cmp_neq_f64_e64 s[2:3], 0, v[150:151]
	s_or_b64 s[2:3], vcc, s[2:3]
	s_and_b64 exec, exec, s[2:3]
	s_cbranch_execz .LBB73_206
; %bb.201:
	v_cmp_ngt_f64_e64 s[2:3], |v[148:149]|, |v[150:151]|
                                        ; implicit-def: $vgpr152_vgpr153
	s_and_saveexec_b64 s[10:11], s[2:3]
	s_xor_b64 s[2:3], exec, s[10:11]
                                        ; implicit-def: $vgpr154_vgpr155
	s_cbranch_execz .LBB73_203
; %bb.202:
	v_div_scale_f64 v[152:153], s[10:11], v[150:151], v[150:151], v[148:149]
	v_rcp_f64_e32 v[154:155], v[152:153]
	v_div_scale_f64 v[156:157], vcc, v[148:149], v[150:151], v[148:149]
	v_fma_f64 v[158:159], -v[152:153], v[154:155], 1.0
	v_fmac_f64_e32 v[154:155], v[154:155], v[158:159]
	v_fma_f64 v[158:159], -v[152:153], v[154:155], 1.0
	v_fmac_f64_e32 v[154:155], v[154:155], v[158:159]
	v_mul_f64 v[158:159], v[156:157], v[154:155]
	v_fma_f64 v[152:153], -v[152:153], v[158:159], v[156:157]
	v_div_fmas_f64 v[152:153], v[152:153], v[154:155], v[158:159]
	v_div_fixup_f64 v[152:153], v[152:153], v[150:151], v[148:149]
	v_fmac_f64_e32 v[150:151], v[148:149], v[152:153]
	v_div_scale_f64 v[148:149], s[10:11], v[150:151], v[150:151], 1.0
	v_rcp_f64_e32 v[154:155], v[148:149]
	s_nop 0
	v_fma_f64 v[156:157], -v[148:149], v[154:155], 1.0
	v_fmac_f64_e32 v[154:155], v[154:155], v[156:157]
	v_fma_f64 v[156:157], -v[148:149], v[154:155], 1.0
	v_fmac_f64_e32 v[154:155], v[154:155], v[156:157]
	v_div_scale_f64 v[156:157], vcc, 1.0, v[150:151], 1.0
	v_mul_f64 v[158:159], v[156:157], v[154:155]
	v_fma_f64 v[148:149], -v[148:149], v[158:159], v[156:157]
	s_nop 1
	v_div_fmas_f64 v[148:149], v[148:149], v[154:155], v[158:159]
	v_div_fixup_f64 v[154:155], v[148:149], v[150:151], 1.0
	v_mul_f64 v[152:153], v[152:153], v[154:155]
	v_xor_b32_e32 v155, 0x80000000, v155
                                        ; implicit-def: $vgpr148_vgpr149
.LBB73_203:
	s_andn2_saveexec_b64 s[2:3], s[2:3]
	s_cbranch_execz .LBB73_205
; %bb.204:
	v_div_scale_f64 v[152:153], s[10:11], v[148:149], v[148:149], v[150:151]
	v_rcp_f64_e32 v[154:155], v[152:153]
	v_div_scale_f64 v[156:157], vcc, v[150:151], v[148:149], v[150:151]
	v_fma_f64 v[158:159], -v[152:153], v[154:155], 1.0
	v_fmac_f64_e32 v[154:155], v[154:155], v[158:159]
	v_fma_f64 v[158:159], -v[152:153], v[154:155], 1.0
	v_fmac_f64_e32 v[154:155], v[154:155], v[158:159]
	v_mul_f64 v[158:159], v[156:157], v[154:155]
	v_fma_f64 v[152:153], -v[152:153], v[158:159], v[156:157]
	v_div_fmas_f64 v[152:153], v[152:153], v[154:155], v[158:159]
	v_div_fixup_f64 v[154:155], v[152:153], v[148:149], v[150:151]
	v_fmac_f64_e32 v[148:149], v[150:151], v[154:155]
	v_div_scale_f64 v[150:151], s[10:11], v[148:149], v[148:149], 1.0
	v_rcp_f64_e32 v[152:153], v[150:151]
	s_nop 0
	v_fma_f64 v[156:157], -v[150:151], v[152:153], 1.0
	v_fmac_f64_e32 v[152:153], v[152:153], v[156:157]
	v_fma_f64 v[156:157], -v[150:151], v[152:153], 1.0
	v_fmac_f64_e32 v[152:153], v[152:153], v[156:157]
	v_div_scale_f64 v[156:157], vcc, 1.0, v[148:149], 1.0
	v_mul_f64 v[158:159], v[156:157], v[152:153]
	v_fma_f64 v[150:151], -v[150:151], v[158:159], v[156:157]
	s_nop 1
	v_div_fmas_f64 v[150:151], v[150:151], v[152:153], v[158:159]
	v_div_fixup_f64 v[152:153], v[150:151], v[148:149], 1.0
	v_mul_f64 v[154:155], v[154:155], -v[152:153]
.LBB73_205:
	s_or_b64 exec, exec, s[2:3]
	ds_write2_b64 v191, v[152:153], v[154:155] offset1:1
.LBB73_206:
	s_or_b64 exec, exec, s[4:5]
	s_waitcnt lgkmcnt(0)
	s_barrier
	ds_read2_b64 v[148:151], v191 offset1:1
	v_cmp_lt_u32_e32 vcc, 22, v190
	s_waitcnt lgkmcnt(0)
	scratch_store_dwordx4 off, v[148:151], off offset:408 ; 16-byte Folded Spill
	s_and_saveexec_b64 s[2:3], vcc
	s_cbranch_execz .LBB73_208
; %bb.207:
	scratch_load_dwordx4 v[150:153], off, off offset:408 ; 16-byte Folded Reload
	s_waitcnt vmcnt(0)
	v_mul_f64 v[148:149], v[150:151], v[54:55]
	v_mul_f64 v[54:55], v[152:153], v[54:55]
	v_fmac_f64_e32 v[148:149], v[152:153], v[52:53]
	v_fma_f64 v[52:53], v[150:151], v[52:53], -v[54:55]
	ds_read2_b64 v[150:153], v192 offset0:46 offset1:47
	s_waitcnt lgkmcnt(0)
	v_mul_f64 v[54:55], v[152:153], v[148:149]
	v_fma_f64 v[54:55], v[150:151], v[52:53], -v[54:55]
	v_mul_f64 v[150:151], v[150:151], v[148:149]
	v_fmac_f64_e32 v[150:151], v[152:153], v[52:53]
	v_add_f64 v[50:51], v[50:51], -v[150:151]
	ds_read2_b64 v[150:153], v192 offset0:48 offset1:49
	v_add_f64 v[48:49], v[48:49], -v[54:55]
	s_waitcnt lgkmcnt(0)
	v_mul_f64 v[54:55], v[152:153], v[148:149]
	v_fma_f64 v[54:55], v[150:151], v[52:53], -v[54:55]
	v_mul_f64 v[150:151], v[150:151], v[148:149]
	v_fmac_f64_e32 v[150:151], v[152:153], v[52:53]
	v_add_f64 v[46:47], v[46:47], -v[150:151]
	ds_read2_b64 v[150:153], v192 offset0:50 offset1:51
	v_add_f64 v[44:45], v[44:45], -v[54:55]
	;; [unrolled: 8-line block ×13, first 2 shown]
	s_waitcnt lgkmcnt(0)
	v_mul_f64 v[54:55], v[152:153], v[148:149]
	v_fma_f64 v[54:55], v[150:151], v[52:53], -v[54:55]
	v_mul_f64 v[150:151], v[150:151], v[148:149]
	v_fmac_f64_e32 v[150:151], v[152:153], v[52:53]
	v_add_f64 v[144:145], v[144:145], -v[54:55]
	v_add_f64 v[146:147], v[146:147], -v[150:151]
	v_mov_b64_e32 v[54:55], v[148:149]
.LBB73_208:
	s_or_b64 exec, exec, s[2:3]
	v_cmp_eq_u32_e32 vcc, 23, v190
	s_waitcnt vmcnt(63) expcnt(7) lgkmcnt(15)
	s_barrier
	s_and_saveexec_b64 s[4:5], vcc
	s_cbranch_execz .LBB73_215
; %bb.209:
	s_waitcnt vmcnt(42)
	ds_write2_b64 v191, v[48:49], v[50:51] offset1:1
	s_waitcnt vmcnt(41)
	ds_write2_b64 v192, v[44:45], v[46:47] offset0:48 offset1:49
	s_waitcnt vmcnt(40)
	ds_write2_b64 v192, v[40:41], v[42:43] offset0:50 offset1:51
	;; [unrolled: 2-line block ×11, first 2 shown]
	ds_write2_b64 v192, v[0:1], v[2:3] offset0:70 offset1:71
	s_waitcnt vmcnt(24)
	ds_write2_b64 v192, v[144:145], v[146:147] offset0:72 offset1:73
	ds_read2_b64 v[148:151], v191 offset1:1
	s_waitcnt lgkmcnt(0)
	v_cmp_neq_f64_e32 vcc, 0, v[148:149]
	v_cmp_neq_f64_e64 s[2:3], 0, v[150:151]
	s_or_b64 s[2:3], vcc, s[2:3]
	s_and_b64 exec, exec, s[2:3]
	s_cbranch_execz .LBB73_215
; %bb.210:
	v_cmp_ngt_f64_e64 s[2:3], |v[148:149]|, |v[150:151]|
                                        ; implicit-def: $vgpr152_vgpr153
	s_and_saveexec_b64 s[10:11], s[2:3]
	s_xor_b64 s[2:3], exec, s[10:11]
                                        ; implicit-def: $vgpr154_vgpr155
	s_cbranch_execz .LBB73_212
; %bb.211:
	v_div_scale_f64 v[152:153], s[10:11], v[150:151], v[150:151], v[148:149]
	v_rcp_f64_e32 v[154:155], v[152:153]
	v_div_scale_f64 v[156:157], vcc, v[148:149], v[150:151], v[148:149]
	v_fma_f64 v[158:159], -v[152:153], v[154:155], 1.0
	v_fmac_f64_e32 v[154:155], v[154:155], v[158:159]
	v_fma_f64 v[158:159], -v[152:153], v[154:155], 1.0
	v_fmac_f64_e32 v[154:155], v[154:155], v[158:159]
	v_mul_f64 v[158:159], v[156:157], v[154:155]
	v_fma_f64 v[152:153], -v[152:153], v[158:159], v[156:157]
	v_div_fmas_f64 v[152:153], v[152:153], v[154:155], v[158:159]
	v_div_fixup_f64 v[152:153], v[152:153], v[150:151], v[148:149]
	v_fmac_f64_e32 v[150:151], v[148:149], v[152:153]
	v_div_scale_f64 v[148:149], s[10:11], v[150:151], v[150:151], 1.0
	v_rcp_f64_e32 v[154:155], v[148:149]
	s_nop 0
	v_fma_f64 v[156:157], -v[148:149], v[154:155], 1.0
	v_fmac_f64_e32 v[154:155], v[154:155], v[156:157]
	v_fma_f64 v[156:157], -v[148:149], v[154:155], 1.0
	v_fmac_f64_e32 v[154:155], v[154:155], v[156:157]
	v_div_scale_f64 v[156:157], vcc, 1.0, v[150:151], 1.0
	v_mul_f64 v[158:159], v[156:157], v[154:155]
	v_fma_f64 v[148:149], -v[148:149], v[158:159], v[156:157]
	s_nop 1
	v_div_fmas_f64 v[148:149], v[148:149], v[154:155], v[158:159]
	v_div_fixup_f64 v[154:155], v[148:149], v[150:151], 1.0
	v_mul_f64 v[152:153], v[152:153], v[154:155]
	v_xor_b32_e32 v155, 0x80000000, v155
                                        ; implicit-def: $vgpr148_vgpr149
.LBB73_212:
	s_andn2_saveexec_b64 s[2:3], s[2:3]
	s_cbranch_execz .LBB73_214
; %bb.213:
	v_div_scale_f64 v[152:153], s[10:11], v[148:149], v[148:149], v[150:151]
	v_rcp_f64_e32 v[154:155], v[152:153]
	v_div_scale_f64 v[156:157], vcc, v[150:151], v[148:149], v[150:151]
	v_fma_f64 v[158:159], -v[152:153], v[154:155], 1.0
	v_fmac_f64_e32 v[154:155], v[154:155], v[158:159]
	v_fma_f64 v[158:159], -v[152:153], v[154:155], 1.0
	v_fmac_f64_e32 v[154:155], v[154:155], v[158:159]
	v_mul_f64 v[158:159], v[156:157], v[154:155]
	v_fma_f64 v[152:153], -v[152:153], v[158:159], v[156:157]
	v_div_fmas_f64 v[152:153], v[152:153], v[154:155], v[158:159]
	v_div_fixup_f64 v[154:155], v[152:153], v[148:149], v[150:151]
	v_fmac_f64_e32 v[148:149], v[150:151], v[154:155]
	v_div_scale_f64 v[150:151], s[10:11], v[148:149], v[148:149], 1.0
	v_rcp_f64_e32 v[152:153], v[150:151]
	s_nop 0
	v_fma_f64 v[156:157], -v[150:151], v[152:153], 1.0
	v_fmac_f64_e32 v[152:153], v[152:153], v[156:157]
	v_fma_f64 v[156:157], -v[150:151], v[152:153], 1.0
	v_fmac_f64_e32 v[152:153], v[152:153], v[156:157]
	v_div_scale_f64 v[156:157], vcc, 1.0, v[148:149], 1.0
	v_mul_f64 v[158:159], v[156:157], v[152:153]
	v_fma_f64 v[150:151], -v[150:151], v[158:159], v[156:157]
	s_nop 1
	v_div_fmas_f64 v[150:151], v[150:151], v[152:153], v[158:159]
	v_div_fixup_f64 v[152:153], v[150:151], v[148:149], 1.0
	v_mul_f64 v[154:155], v[154:155], -v[152:153]
.LBB73_214:
	s_or_b64 exec, exec, s[2:3]
	ds_write2_b64 v191, v[152:153], v[154:155] offset1:1
.LBB73_215:
	s_or_b64 exec, exec, s[4:5]
	s_waitcnt lgkmcnt(0)
	s_barrier
	ds_read2_b64 v[148:151], v191 offset1:1
	v_cmp_lt_u32_e32 vcc, 23, v190
	s_waitcnt lgkmcnt(0)
	scratch_store_dwordx4 off, v[148:151], off offset:424 ; 16-byte Folded Spill
	s_and_saveexec_b64 s[2:3], vcc
	s_cbranch_execz .LBB73_217
; %bb.216:
	scratch_load_dwordx4 v[150:153], off, off offset:424 ; 16-byte Folded Reload
	s_waitcnt vmcnt(0)
	v_mul_f64 v[148:149], v[150:151], v[50:51]
	v_mul_f64 v[50:51], v[152:153], v[50:51]
	v_fmac_f64_e32 v[148:149], v[152:153], v[48:49]
	v_fma_f64 v[48:49], v[150:151], v[48:49], -v[50:51]
	ds_read2_b64 v[150:153], v192 offset0:48 offset1:49
	s_waitcnt lgkmcnt(0)
	v_mul_f64 v[50:51], v[152:153], v[148:149]
	v_fma_f64 v[50:51], v[150:151], v[48:49], -v[50:51]
	v_mul_f64 v[150:151], v[150:151], v[148:149]
	v_fmac_f64_e32 v[150:151], v[152:153], v[48:49]
	v_add_f64 v[46:47], v[46:47], -v[150:151]
	ds_read2_b64 v[150:153], v192 offset0:50 offset1:51
	v_add_f64 v[44:45], v[44:45], -v[50:51]
	s_waitcnt lgkmcnt(0)
	v_mul_f64 v[50:51], v[152:153], v[148:149]
	v_fma_f64 v[50:51], v[150:151], v[48:49], -v[50:51]
	v_mul_f64 v[150:151], v[150:151], v[148:149]
	v_fmac_f64_e32 v[150:151], v[152:153], v[48:49]
	v_add_f64 v[42:43], v[42:43], -v[150:151]
	ds_read2_b64 v[150:153], v192 offset0:52 offset1:53
	v_add_f64 v[40:41], v[40:41], -v[50:51]
	;; [unrolled: 8-line block ×12, first 2 shown]
	s_waitcnt lgkmcnt(0)
	v_mul_f64 v[50:51], v[152:153], v[148:149]
	v_fma_f64 v[50:51], v[150:151], v[48:49], -v[50:51]
	v_mul_f64 v[150:151], v[150:151], v[148:149]
	v_fmac_f64_e32 v[150:151], v[152:153], v[48:49]
	v_add_f64 v[144:145], v[144:145], -v[50:51]
	v_add_f64 v[146:147], v[146:147], -v[150:151]
	v_mov_b64_e32 v[50:51], v[148:149]
.LBB73_217:
	s_or_b64 exec, exec, s[2:3]
	v_cmp_eq_u32_e32 vcc, 24, v190
	s_waitcnt vmcnt(63) expcnt(7) lgkmcnt(15)
	s_barrier
	s_and_saveexec_b64 s[4:5], vcc
	s_cbranch_execz .LBB73_224
; %bb.218:
	s_waitcnt vmcnt(42)
	ds_write2_b64 v191, v[44:45], v[46:47] offset1:1
	s_waitcnt vmcnt(41)
	ds_write2_b64 v192, v[40:41], v[42:43] offset0:50 offset1:51
	s_waitcnt vmcnt(40)
	ds_write2_b64 v192, v[36:37], v[38:39] offset0:52 offset1:53
	;; [unrolled: 2-line block ×10, first 2 shown]
	ds_write2_b64 v192, v[0:1], v[2:3] offset0:70 offset1:71
	s_waitcnt vmcnt(25)
	ds_write2_b64 v192, v[144:145], v[146:147] offset0:72 offset1:73
	ds_read2_b64 v[148:151], v191 offset1:1
	s_waitcnt lgkmcnt(0)
	v_cmp_neq_f64_e32 vcc, 0, v[148:149]
	v_cmp_neq_f64_e64 s[2:3], 0, v[150:151]
	s_or_b64 s[2:3], vcc, s[2:3]
	s_and_b64 exec, exec, s[2:3]
	s_cbranch_execz .LBB73_224
; %bb.219:
	v_cmp_ngt_f64_e64 s[2:3], |v[148:149]|, |v[150:151]|
                                        ; implicit-def: $vgpr152_vgpr153
	s_and_saveexec_b64 s[10:11], s[2:3]
	s_xor_b64 s[2:3], exec, s[10:11]
                                        ; implicit-def: $vgpr154_vgpr155
	s_cbranch_execz .LBB73_221
; %bb.220:
	v_div_scale_f64 v[152:153], s[10:11], v[150:151], v[150:151], v[148:149]
	v_rcp_f64_e32 v[154:155], v[152:153]
	v_div_scale_f64 v[156:157], vcc, v[148:149], v[150:151], v[148:149]
	v_fma_f64 v[158:159], -v[152:153], v[154:155], 1.0
	v_fmac_f64_e32 v[154:155], v[154:155], v[158:159]
	v_fma_f64 v[158:159], -v[152:153], v[154:155], 1.0
	v_fmac_f64_e32 v[154:155], v[154:155], v[158:159]
	v_mul_f64 v[158:159], v[156:157], v[154:155]
	v_fma_f64 v[152:153], -v[152:153], v[158:159], v[156:157]
	v_div_fmas_f64 v[152:153], v[152:153], v[154:155], v[158:159]
	v_div_fixup_f64 v[152:153], v[152:153], v[150:151], v[148:149]
	v_fmac_f64_e32 v[150:151], v[148:149], v[152:153]
	v_div_scale_f64 v[148:149], s[10:11], v[150:151], v[150:151], 1.0
	v_rcp_f64_e32 v[154:155], v[148:149]
	s_nop 0
	v_fma_f64 v[156:157], -v[148:149], v[154:155], 1.0
	v_fmac_f64_e32 v[154:155], v[154:155], v[156:157]
	v_fma_f64 v[156:157], -v[148:149], v[154:155], 1.0
	v_fmac_f64_e32 v[154:155], v[154:155], v[156:157]
	v_div_scale_f64 v[156:157], vcc, 1.0, v[150:151], 1.0
	v_mul_f64 v[158:159], v[156:157], v[154:155]
	v_fma_f64 v[148:149], -v[148:149], v[158:159], v[156:157]
	s_nop 1
	v_div_fmas_f64 v[148:149], v[148:149], v[154:155], v[158:159]
	v_div_fixup_f64 v[154:155], v[148:149], v[150:151], 1.0
	v_mul_f64 v[152:153], v[152:153], v[154:155]
	v_xor_b32_e32 v155, 0x80000000, v155
                                        ; implicit-def: $vgpr148_vgpr149
.LBB73_221:
	s_andn2_saveexec_b64 s[2:3], s[2:3]
	s_cbranch_execz .LBB73_223
; %bb.222:
	v_div_scale_f64 v[152:153], s[10:11], v[148:149], v[148:149], v[150:151]
	v_rcp_f64_e32 v[154:155], v[152:153]
	v_div_scale_f64 v[156:157], vcc, v[150:151], v[148:149], v[150:151]
	v_fma_f64 v[158:159], -v[152:153], v[154:155], 1.0
	v_fmac_f64_e32 v[154:155], v[154:155], v[158:159]
	v_fma_f64 v[158:159], -v[152:153], v[154:155], 1.0
	v_fmac_f64_e32 v[154:155], v[154:155], v[158:159]
	v_mul_f64 v[158:159], v[156:157], v[154:155]
	v_fma_f64 v[152:153], -v[152:153], v[158:159], v[156:157]
	v_div_fmas_f64 v[152:153], v[152:153], v[154:155], v[158:159]
	v_div_fixup_f64 v[154:155], v[152:153], v[148:149], v[150:151]
	v_fmac_f64_e32 v[148:149], v[150:151], v[154:155]
	v_div_scale_f64 v[150:151], s[10:11], v[148:149], v[148:149], 1.0
	v_rcp_f64_e32 v[152:153], v[150:151]
	s_nop 0
	v_fma_f64 v[156:157], -v[150:151], v[152:153], 1.0
	v_fmac_f64_e32 v[152:153], v[152:153], v[156:157]
	v_fma_f64 v[156:157], -v[150:151], v[152:153], 1.0
	v_fmac_f64_e32 v[152:153], v[152:153], v[156:157]
	v_div_scale_f64 v[156:157], vcc, 1.0, v[148:149], 1.0
	v_mul_f64 v[158:159], v[156:157], v[152:153]
	v_fma_f64 v[150:151], -v[150:151], v[158:159], v[156:157]
	s_nop 1
	v_div_fmas_f64 v[150:151], v[150:151], v[152:153], v[158:159]
	v_div_fixup_f64 v[152:153], v[150:151], v[148:149], 1.0
	v_mul_f64 v[154:155], v[154:155], -v[152:153]
.LBB73_223:
	s_or_b64 exec, exec, s[2:3]
	ds_write2_b64 v191, v[152:153], v[154:155] offset1:1
.LBB73_224:
	s_or_b64 exec, exec, s[4:5]
	s_waitcnt lgkmcnt(0)
	s_barrier
	ds_read2_b64 v[148:151], v191 offset1:1
	v_cmp_lt_u32_e32 vcc, 24, v190
	s_waitcnt lgkmcnt(0)
	scratch_store_dwordx4 off, v[148:151], off offset:440 ; 16-byte Folded Spill
	s_and_saveexec_b64 s[2:3], vcc
	s_cbranch_execz .LBB73_226
; %bb.225:
	scratch_load_dwordx4 v[150:153], off, off offset:440 ; 16-byte Folded Reload
	s_waitcnt vmcnt(0)
	v_mul_f64 v[148:149], v[150:151], v[46:47]
	v_mul_f64 v[46:47], v[152:153], v[46:47]
	v_fmac_f64_e32 v[148:149], v[152:153], v[44:45]
	v_fma_f64 v[44:45], v[150:151], v[44:45], -v[46:47]
	ds_read2_b64 v[150:153], v192 offset0:50 offset1:51
	s_waitcnt lgkmcnt(0)
	v_mul_f64 v[46:47], v[152:153], v[148:149]
	v_fma_f64 v[46:47], v[150:151], v[44:45], -v[46:47]
	v_mul_f64 v[150:151], v[150:151], v[148:149]
	v_fmac_f64_e32 v[150:151], v[152:153], v[44:45]
	v_add_f64 v[42:43], v[42:43], -v[150:151]
	ds_read2_b64 v[150:153], v192 offset0:52 offset1:53
	v_add_f64 v[40:41], v[40:41], -v[46:47]
	s_waitcnt lgkmcnt(0)
	v_mul_f64 v[46:47], v[152:153], v[148:149]
	v_fma_f64 v[46:47], v[150:151], v[44:45], -v[46:47]
	v_mul_f64 v[150:151], v[150:151], v[148:149]
	v_fmac_f64_e32 v[150:151], v[152:153], v[44:45]
	v_add_f64 v[38:39], v[38:39], -v[150:151]
	ds_read2_b64 v[150:153], v192 offset0:54 offset1:55
	v_add_f64 v[36:37], v[36:37], -v[46:47]
	;; [unrolled: 8-line block ×11, first 2 shown]
	s_waitcnt lgkmcnt(0)
	v_mul_f64 v[46:47], v[152:153], v[148:149]
	v_fma_f64 v[46:47], v[150:151], v[44:45], -v[46:47]
	v_mul_f64 v[150:151], v[150:151], v[148:149]
	v_fmac_f64_e32 v[150:151], v[152:153], v[44:45]
	v_add_f64 v[144:145], v[144:145], -v[46:47]
	v_add_f64 v[146:147], v[146:147], -v[150:151]
	v_mov_b64_e32 v[46:47], v[148:149]
.LBB73_226:
	s_or_b64 exec, exec, s[2:3]
	v_cmp_eq_u32_e32 vcc, 25, v190
	s_waitcnt vmcnt(63) expcnt(7) lgkmcnt(15)
	s_barrier
	s_and_saveexec_b64 s[4:5], vcc
	s_cbranch_execz .LBB73_233
; %bb.227:
	s_waitcnt vmcnt(42)
	ds_write2_b64 v191, v[40:41], v[42:43] offset1:1
	s_waitcnt vmcnt(41)
	ds_write2_b64 v192, v[36:37], v[38:39] offset0:52 offset1:53
	s_waitcnt vmcnt(40)
	ds_write2_b64 v192, v[32:33], v[34:35] offset0:54 offset1:55
	;; [unrolled: 2-line block ×9, first 2 shown]
	ds_write2_b64 v192, v[0:1], v[2:3] offset0:70 offset1:71
	s_waitcnt vmcnt(26)
	ds_write2_b64 v192, v[144:145], v[146:147] offset0:72 offset1:73
	ds_read2_b64 v[148:151], v191 offset1:1
	s_waitcnt lgkmcnt(0)
	v_cmp_neq_f64_e32 vcc, 0, v[148:149]
	v_cmp_neq_f64_e64 s[2:3], 0, v[150:151]
	s_or_b64 s[2:3], vcc, s[2:3]
	s_and_b64 exec, exec, s[2:3]
	s_cbranch_execz .LBB73_233
; %bb.228:
	v_cmp_ngt_f64_e64 s[2:3], |v[148:149]|, |v[150:151]|
                                        ; implicit-def: $vgpr152_vgpr153
	s_and_saveexec_b64 s[10:11], s[2:3]
	s_xor_b64 s[2:3], exec, s[10:11]
                                        ; implicit-def: $vgpr154_vgpr155
	s_cbranch_execz .LBB73_230
; %bb.229:
	v_div_scale_f64 v[152:153], s[10:11], v[150:151], v[150:151], v[148:149]
	v_rcp_f64_e32 v[154:155], v[152:153]
	v_div_scale_f64 v[156:157], vcc, v[148:149], v[150:151], v[148:149]
	v_fma_f64 v[158:159], -v[152:153], v[154:155], 1.0
	v_fmac_f64_e32 v[154:155], v[154:155], v[158:159]
	v_fma_f64 v[158:159], -v[152:153], v[154:155], 1.0
	v_fmac_f64_e32 v[154:155], v[154:155], v[158:159]
	v_mul_f64 v[158:159], v[156:157], v[154:155]
	v_fma_f64 v[152:153], -v[152:153], v[158:159], v[156:157]
	v_div_fmas_f64 v[152:153], v[152:153], v[154:155], v[158:159]
	v_div_fixup_f64 v[152:153], v[152:153], v[150:151], v[148:149]
	v_fmac_f64_e32 v[150:151], v[148:149], v[152:153]
	v_div_scale_f64 v[148:149], s[10:11], v[150:151], v[150:151], 1.0
	v_rcp_f64_e32 v[154:155], v[148:149]
	s_nop 0
	v_fma_f64 v[156:157], -v[148:149], v[154:155], 1.0
	v_fmac_f64_e32 v[154:155], v[154:155], v[156:157]
	v_fma_f64 v[156:157], -v[148:149], v[154:155], 1.0
	v_fmac_f64_e32 v[154:155], v[154:155], v[156:157]
	v_div_scale_f64 v[156:157], vcc, 1.0, v[150:151], 1.0
	v_mul_f64 v[158:159], v[156:157], v[154:155]
	v_fma_f64 v[148:149], -v[148:149], v[158:159], v[156:157]
	s_nop 1
	v_div_fmas_f64 v[148:149], v[148:149], v[154:155], v[158:159]
	v_div_fixup_f64 v[154:155], v[148:149], v[150:151], 1.0
	v_mul_f64 v[152:153], v[152:153], v[154:155]
	v_xor_b32_e32 v155, 0x80000000, v155
                                        ; implicit-def: $vgpr148_vgpr149
.LBB73_230:
	s_andn2_saveexec_b64 s[2:3], s[2:3]
	s_cbranch_execz .LBB73_232
; %bb.231:
	v_div_scale_f64 v[152:153], s[10:11], v[148:149], v[148:149], v[150:151]
	v_rcp_f64_e32 v[154:155], v[152:153]
	v_div_scale_f64 v[156:157], vcc, v[150:151], v[148:149], v[150:151]
	v_fma_f64 v[158:159], -v[152:153], v[154:155], 1.0
	v_fmac_f64_e32 v[154:155], v[154:155], v[158:159]
	v_fma_f64 v[158:159], -v[152:153], v[154:155], 1.0
	v_fmac_f64_e32 v[154:155], v[154:155], v[158:159]
	v_mul_f64 v[158:159], v[156:157], v[154:155]
	v_fma_f64 v[152:153], -v[152:153], v[158:159], v[156:157]
	v_div_fmas_f64 v[152:153], v[152:153], v[154:155], v[158:159]
	v_div_fixup_f64 v[154:155], v[152:153], v[148:149], v[150:151]
	v_fmac_f64_e32 v[148:149], v[150:151], v[154:155]
	v_div_scale_f64 v[150:151], s[10:11], v[148:149], v[148:149], 1.0
	v_rcp_f64_e32 v[152:153], v[150:151]
	s_nop 0
	v_fma_f64 v[156:157], -v[150:151], v[152:153], 1.0
	v_fmac_f64_e32 v[152:153], v[152:153], v[156:157]
	v_fma_f64 v[156:157], -v[150:151], v[152:153], 1.0
	v_fmac_f64_e32 v[152:153], v[152:153], v[156:157]
	v_div_scale_f64 v[156:157], vcc, 1.0, v[148:149], 1.0
	v_mul_f64 v[158:159], v[156:157], v[152:153]
	v_fma_f64 v[150:151], -v[150:151], v[158:159], v[156:157]
	s_nop 1
	v_div_fmas_f64 v[150:151], v[150:151], v[152:153], v[158:159]
	v_div_fixup_f64 v[152:153], v[150:151], v[148:149], 1.0
	v_mul_f64 v[154:155], v[154:155], -v[152:153]
.LBB73_232:
	s_or_b64 exec, exec, s[2:3]
	ds_write2_b64 v191, v[152:153], v[154:155] offset1:1
.LBB73_233:
	s_or_b64 exec, exec, s[4:5]
	s_waitcnt lgkmcnt(0)
	s_barrier
	ds_read2_b64 v[148:151], v191 offset1:1
	v_cmp_lt_u32_e32 vcc, 25, v190
	s_waitcnt lgkmcnt(0)
	scratch_store_dwordx4 off, v[148:151], off offset:456 ; 16-byte Folded Spill
	s_and_saveexec_b64 s[2:3], vcc
	s_cbranch_execz .LBB73_235
; %bb.234:
	scratch_load_dwordx4 v[150:153], off, off offset:456 ; 16-byte Folded Reload
	s_waitcnt vmcnt(0)
	v_mul_f64 v[148:149], v[150:151], v[42:43]
	v_mul_f64 v[42:43], v[152:153], v[42:43]
	v_fmac_f64_e32 v[148:149], v[152:153], v[40:41]
	v_fma_f64 v[40:41], v[150:151], v[40:41], -v[42:43]
	ds_read2_b64 v[150:153], v192 offset0:52 offset1:53
	s_waitcnt lgkmcnt(0)
	v_mul_f64 v[42:43], v[152:153], v[148:149]
	v_fma_f64 v[42:43], v[150:151], v[40:41], -v[42:43]
	v_mul_f64 v[150:151], v[150:151], v[148:149]
	v_fmac_f64_e32 v[150:151], v[152:153], v[40:41]
	v_add_f64 v[38:39], v[38:39], -v[150:151]
	ds_read2_b64 v[150:153], v192 offset0:54 offset1:55
	v_add_f64 v[36:37], v[36:37], -v[42:43]
	s_waitcnt lgkmcnt(0)
	v_mul_f64 v[42:43], v[152:153], v[148:149]
	v_fma_f64 v[42:43], v[150:151], v[40:41], -v[42:43]
	v_mul_f64 v[150:151], v[150:151], v[148:149]
	v_fmac_f64_e32 v[150:151], v[152:153], v[40:41]
	v_add_f64 v[34:35], v[34:35], -v[150:151]
	ds_read2_b64 v[150:153], v192 offset0:56 offset1:57
	v_add_f64 v[32:33], v[32:33], -v[42:43]
	;; [unrolled: 8-line block ×10, first 2 shown]
	s_waitcnt lgkmcnt(0)
	v_mul_f64 v[42:43], v[152:153], v[148:149]
	v_fma_f64 v[42:43], v[150:151], v[40:41], -v[42:43]
	v_mul_f64 v[150:151], v[150:151], v[148:149]
	v_fmac_f64_e32 v[150:151], v[152:153], v[40:41]
	v_add_f64 v[144:145], v[144:145], -v[42:43]
	v_add_f64 v[146:147], v[146:147], -v[150:151]
	v_mov_b64_e32 v[42:43], v[148:149]
.LBB73_235:
	s_or_b64 exec, exec, s[2:3]
	v_cmp_eq_u32_e32 vcc, 26, v190
	s_waitcnt vmcnt(63) expcnt(7) lgkmcnt(15)
	s_barrier
	s_and_saveexec_b64 s[4:5], vcc
	s_cbranch_execz .LBB73_242
; %bb.236:
	s_waitcnt vmcnt(42)
	ds_write2_b64 v191, v[36:37], v[38:39] offset1:1
	s_waitcnt vmcnt(41)
	ds_write2_b64 v192, v[32:33], v[34:35] offset0:54 offset1:55
	s_waitcnt vmcnt(40)
	ds_write2_b64 v192, v[28:29], v[30:31] offset0:56 offset1:57
	;; [unrolled: 2-line block ×8, first 2 shown]
	ds_write2_b64 v192, v[0:1], v[2:3] offset0:70 offset1:71
	s_waitcnt vmcnt(27)
	ds_write2_b64 v192, v[144:145], v[146:147] offset0:72 offset1:73
	ds_read2_b64 v[148:151], v191 offset1:1
	s_waitcnt lgkmcnt(0)
	v_cmp_neq_f64_e32 vcc, 0, v[148:149]
	v_cmp_neq_f64_e64 s[2:3], 0, v[150:151]
	s_or_b64 s[2:3], vcc, s[2:3]
	s_and_b64 exec, exec, s[2:3]
	s_cbranch_execz .LBB73_242
; %bb.237:
	v_cmp_ngt_f64_e64 s[2:3], |v[148:149]|, |v[150:151]|
                                        ; implicit-def: $vgpr152_vgpr153
	s_and_saveexec_b64 s[10:11], s[2:3]
	s_xor_b64 s[2:3], exec, s[10:11]
                                        ; implicit-def: $vgpr154_vgpr155
	s_cbranch_execz .LBB73_239
; %bb.238:
	v_div_scale_f64 v[152:153], s[10:11], v[150:151], v[150:151], v[148:149]
	v_rcp_f64_e32 v[154:155], v[152:153]
	v_div_scale_f64 v[156:157], vcc, v[148:149], v[150:151], v[148:149]
	v_fma_f64 v[158:159], -v[152:153], v[154:155], 1.0
	v_fmac_f64_e32 v[154:155], v[154:155], v[158:159]
	v_fma_f64 v[158:159], -v[152:153], v[154:155], 1.0
	v_fmac_f64_e32 v[154:155], v[154:155], v[158:159]
	v_mul_f64 v[158:159], v[156:157], v[154:155]
	v_fma_f64 v[152:153], -v[152:153], v[158:159], v[156:157]
	v_div_fmas_f64 v[152:153], v[152:153], v[154:155], v[158:159]
	v_div_fixup_f64 v[152:153], v[152:153], v[150:151], v[148:149]
	v_fmac_f64_e32 v[150:151], v[148:149], v[152:153]
	v_div_scale_f64 v[148:149], s[10:11], v[150:151], v[150:151], 1.0
	v_rcp_f64_e32 v[154:155], v[148:149]
	s_nop 0
	v_fma_f64 v[156:157], -v[148:149], v[154:155], 1.0
	v_fmac_f64_e32 v[154:155], v[154:155], v[156:157]
	v_fma_f64 v[156:157], -v[148:149], v[154:155], 1.0
	v_fmac_f64_e32 v[154:155], v[154:155], v[156:157]
	v_div_scale_f64 v[156:157], vcc, 1.0, v[150:151], 1.0
	v_mul_f64 v[158:159], v[156:157], v[154:155]
	v_fma_f64 v[148:149], -v[148:149], v[158:159], v[156:157]
	s_nop 1
	v_div_fmas_f64 v[148:149], v[148:149], v[154:155], v[158:159]
	v_div_fixup_f64 v[154:155], v[148:149], v[150:151], 1.0
	v_mul_f64 v[152:153], v[152:153], v[154:155]
	v_xor_b32_e32 v155, 0x80000000, v155
                                        ; implicit-def: $vgpr148_vgpr149
.LBB73_239:
	s_andn2_saveexec_b64 s[2:3], s[2:3]
	s_cbranch_execz .LBB73_241
; %bb.240:
	v_div_scale_f64 v[152:153], s[10:11], v[148:149], v[148:149], v[150:151]
	v_rcp_f64_e32 v[154:155], v[152:153]
	v_div_scale_f64 v[156:157], vcc, v[150:151], v[148:149], v[150:151]
	v_fma_f64 v[158:159], -v[152:153], v[154:155], 1.0
	v_fmac_f64_e32 v[154:155], v[154:155], v[158:159]
	v_fma_f64 v[158:159], -v[152:153], v[154:155], 1.0
	v_fmac_f64_e32 v[154:155], v[154:155], v[158:159]
	v_mul_f64 v[158:159], v[156:157], v[154:155]
	v_fma_f64 v[152:153], -v[152:153], v[158:159], v[156:157]
	v_div_fmas_f64 v[152:153], v[152:153], v[154:155], v[158:159]
	v_div_fixup_f64 v[154:155], v[152:153], v[148:149], v[150:151]
	v_fmac_f64_e32 v[148:149], v[150:151], v[154:155]
	v_div_scale_f64 v[150:151], s[10:11], v[148:149], v[148:149], 1.0
	v_rcp_f64_e32 v[152:153], v[150:151]
	s_nop 0
	v_fma_f64 v[156:157], -v[150:151], v[152:153], 1.0
	v_fmac_f64_e32 v[152:153], v[152:153], v[156:157]
	v_fma_f64 v[156:157], -v[150:151], v[152:153], 1.0
	v_fmac_f64_e32 v[152:153], v[152:153], v[156:157]
	v_div_scale_f64 v[156:157], vcc, 1.0, v[148:149], 1.0
	v_mul_f64 v[158:159], v[156:157], v[152:153]
	v_fma_f64 v[150:151], -v[150:151], v[158:159], v[156:157]
	s_nop 1
	v_div_fmas_f64 v[150:151], v[150:151], v[152:153], v[158:159]
	v_div_fixup_f64 v[152:153], v[150:151], v[148:149], 1.0
	v_mul_f64 v[154:155], v[154:155], -v[152:153]
.LBB73_241:
	s_or_b64 exec, exec, s[2:3]
	ds_write2_b64 v191, v[152:153], v[154:155] offset1:1
.LBB73_242:
	s_or_b64 exec, exec, s[4:5]
	s_waitcnt lgkmcnt(0)
	s_barrier
	ds_read2_b64 v[148:151], v191 offset1:1
	v_cmp_lt_u32_e32 vcc, 26, v190
	s_waitcnt lgkmcnt(0)
	scratch_store_dwordx4 off, v[148:151], off offset:472 ; 16-byte Folded Spill
	s_and_saveexec_b64 s[2:3], vcc
	s_cbranch_execz .LBB73_244
; %bb.243:
	scratch_load_dwordx4 v[150:153], off, off offset:472 ; 16-byte Folded Reload
	s_waitcnt vmcnt(0)
	v_mul_f64 v[148:149], v[150:151], v[38:39]
	v_mul_f64 v[38:39], v[152:153], v[38:39]
	v_fmac_f64_e32 v[148:149], v[152:153], v[36:37]
	v_fma_f64 v[36:37], v[150:151], v[36:37], -v[38:39]
	ds_read2_b64 v[150:153], v192 offset0:54 offset1:55
	s_waitcnt lgkmcnt(0)
	v_mul_f64 v[38:39], v[152:153], v[148:149]
	v_fma_f64 v[38:39], v[150:151], v[36:37], -v[38:39]
	v_mul_f64 v[150:151], v[150:151], v[148:149]
	v_fmac_f64_e32 v[150:151], v[152:153], v[36:37]
	v_add_f64 v[34:35], v[34:35], -v[150:151]
	ds_read2_b64 v[150:153], v192 offset0:56 offset1:57
	v_add_f64 v[32:33], v[32:33], -v[38:39]
	s_waitcnt lgkmcnt(0)
	v_mul_f64 v[38:39], v[152:153], v[148:149]
	v_fma_f64 v[38:39], v[150:151], v[36:37], -v[38:39]
	v_mul_f64 v[150:151], v[150:151], v[148:149]
	v_fmac_f64_e32 v[150:151], v[152:153], v[36:37]
	v_add_f64 v[30:31], v[30:31], -v[150:151]
	ds_read2_b64 v[150:153], v192 offset0:58 offset1:59
	v_add_f64 v[28:29], v[28:29], -v[38:39]
	;; [unrolled: 8-line block ×9, first 2 shown]
	s_waitcnt lgkmcnt(0)
	v_mul_f64 v[38:39], v[152:153], v[148:149]
	v_fma_f64 v[38:39], v[150:151], v[36:37], -v[38:39]
	v_mul_f64 v[150:151], v[150:151], v[148:149]
	v_fmac_f64_e32 v[150:151], v[152:153], v[36:37]
	v_add_f64 v[144:145], v[144:145], -v[38:39]
	v_add_f64 v[146:147], v[146:147], -v[150:151]
	v_mov_b64_e32 v[38:39], v[148:149]
.LBB73_244:
	s_or_b64 exec, exec, s[2:3]
	v_cmp_eq_u32_e32 vcc, 27, v190
	s_waitcnt vmcnt(63) expcnt(7) lgkmcnt(15)
	s_barrier
	s_and_saveexec_b64 s[4:5], vcc
	s_cbranch_execz .LBB73_251
; %bb.245:
	s_waitcnt vmcnt(42)
	ds_write2_b64 v191, v[32:33], v[34:35] offset1:1
	s_waitcnt vmcnt(41)
	ds_write2_b64 v192, v[28:29], v[30:31] offset0:56 offset1:57
	s_waitcnt vmcnt(40)
	ds_write2_b64 v192, v[24:25], v[26:27] offset0:58 offset1:59
	;; [unrolled: 2-line block ×7, first 2 shown]
	ds_write2_b64 v192, v[0:1], v[2:3] offset0:70 offset1:71
	s_waitcnt vmcnt(28)
	ds_write2_b64 v192, v[144:145], v[146:147] offset0:72 offset1:73
	ds_read2_b64 v[148:151], v191 offset1:1
	s_waitcnt lgkmcnt(0)
	v_cmp_neq_f64_e32 vcc, 0, v[148:149]
	v_cmp_neq_f64_e64 s[2:3], 0, v[150:151]
	s_or_b64 s[2:3], vcc, s[2:3]
	s_and_b64 exec, exec, s[2:3]
	s_cbranch_execz .LBB73_251
; %bb.246:
	v_cmp_ngt_f64_e64 s[2:3], |v[148:149]|, |v[150:151]|
                                        ; implicit-def: $vgpr152_vgpr153
	s_and_saveexec_b64 s[10:11], s[2:3]
	s_xor_b64 s[2:3], exec, s[10:11]
                                        ; implicit-def: $vgpr154_vgpr155
	s_cbranch_execz .LBB73_248
; %bb.247:
	v_div_scale_f64 v[152:153], s[10:11], v[150:151], v[150:151], v[148:149]
	v_rcp_f64_e32 v[154:155], v[152:153]
	v_div_scale_f64 v[156:157], vcc, v[148:149], v[150:151], v[148:149]
	v_fma_f64 v[158:159], -v[152:153], v[154:155], 1.0
	v_fmac_f64_e32 v[154:155], v[154:155], v[158:159]
	v_fma_f64 v[158:159], -v[152:153], v[154:155], 1.0
	v_fmac_f64_e32 v[154:155], v[154:155], v[158:159]
	v_mul_f64 v[158:159], v[156:157], v[154:155]
	v_fma_f64 v[152:153], -v[152:153], v[158:159], v[156:157]
	v_div_fmas_f64 v[152:153], v[152:153], v[154:155], v[158:159]
	v_div_fixup_f64 v[152:153], v[152:153], v[150:151], v[148:149]
	v_fmac_f64_e32 v[150:151], v[148:149], v[152:153]
	v_div_scale_f64 v[148:149], s[10:11], v[150:151], v[150:151], 1.0
	v_rcp_f64_e32 v[154:155], v[148:149]
	s_nop 0
	v_fma_f64 v[156:157], -v[148:149], v[154:155], 1.0
	v_fmac_f64_e32 v[154:155], v[154:155], v[156:157]
	v_fma_f64 v[156:157], -v[148:149], v[154:155], 1.0
	v_fmac_f64_e32 v[154:155], v[154:155], v[156:157]
	v_div_scale_f64 v[156:157], vcc, 1.0, v[150:151], 1.0
	v_mul_f64 v[158:159], v[156:157], v[154:155]
	v_fma_f64 v[148:149], -v[148:149], v[158:159], v[156:157]
	s_nop 1
	v_div_fmas_f64 v[148:149], v[148:149], v[154:155], v[158:159]
	v_div_fixup_f64 v[154:155], v[148:149], v[150:151], 1.0
	v_mul_f64 v[152:153], v[152:153], v[154:155]
	v_xor_b32_e32 v155, 0x80000000, v155
                                        ; implicit-def: $vgpr148_vgpr149
.LBB73_248:
	s_andn2_saveexec_b64 s[2:3], s[2:3]
	s_cbranch_execz .LBB73_250
; %bb.249:
	v_div_scale_f64 v[152:153], s[10:11], v[148:149], v[148:149], v[150:151]
	v_rcp_f64_e32 v[154:155], v[152:153]
	v_div_scale_f64 v[156:157], vcc, v[150:151], v[148:149], v[150:151]
	v_fma_f64 v[158:159], -v[152:153], v[154:155], 1.0
	v_fmac_f64_e32 v[154:155], v[154:155], v[158:159]
	v_fma_f64 v[158:159], -v[152:153], v[154:155], 1.0
	v_fmac_f64_e32 v[154:155], v[154:155], v[158:159]
	v_mul_f64 v[158:159], v[156:157], v[154:155]
	v_fma_f64 v[152:153], -v[152:153], v[158:159], v[156:157]
	v_div_fmas_f64 v[152:153], v[152:153], v[154:155], v[158:159]
	v_div_fixup_f64 v[154:155], v[152:153], v[148:149], v[150:151]
	v_fmac_f64_e32 v[148:149], v[150:151], v[154:155]
	v_div_scale_f64 v[150:151], s[10:11], v[148:149], v[148:149], 1.0
	v_rcp_f64_e32 v[152:153], v[150:151]
	s_nop 0
	v_fma_f64 v[156:157], -v[150:151], v[152:153], 1.0
	v_fmac_f64_e32 v[152:153], v[152:153], v[156:157]
	v_fma_f64 v[156:157], -v[150:151], v[152:153], 1.0
	v_fmac_f64_e32 v[152:153], v[152:153], v[156:157]
	v_div_scale_f64 v[156:157], vcc, 1.0, v[148:149], 1.0
	v_mul_f64 v[158:159], v[156:157], v[152:153]
	v_fma_f64 v[150:151], -v[150:151], v[158:159], v[156:157]
	s_nop 1
	v_div_fmas_f64 v[150:151], v[150:151], v[152:153], v[158:159]
	v_div_fixup_f64 v[152:153], v[150:151], v[148:149], 1.0
	v_mul_f64 v[154:155], v[154:155], -v[152:153]
.LBB73_250:
	s_or_b64 exec, exec, s[2:3]
	ds_write2_b64 v191, v[152:153], v[154:155] offset1:1
.LBB73_251:
	s_or_b64 exec, exec, s[4:5]
	s_waitcnt lgkmcnt(0)
	s_barrier
	ds_read2_b64 v[148:151], v191 offset1:1
	v_cmp_lt_u32_e32 vcc, 27, v190
	s_waitcnt lgkmcnt(0)
	scratch_store_dwordx4 off, v[148:151], off offset:488 ; 16-byte Folded Spill
	s_and_saveexec_b64 s[2:3], vcc
	s_cbranch_execz .LBB73_253
; %bb.252:
	scratch_load_dwordx4 v[148:151], off, off offset:488 ; 16-byte Folded Reload
	ds_read2_b64 v[154:157], v192 offset0:56 offset1:57
	s_waitcnt vmcnt(0)
	v_mul_f64 v[152:153], v[148:149], v[34:35]
	v_fmac_f64_e32 v[152:153], v[150:151], v[32:33]
	v_mul_f64 v[34:35], v[150:151], v[34:35]
	v_fma_f64 v[32:33], v[148:149], v[32:33], -v[34:35]
	s_waitcnt lgkmcnt(0)
	v_mul_f64 v[34:35], v[156:157], v[152:153]
	v_fma_f64 v[34:35], v[154:155], v[32:33], -v[34:35]
	v_mul_f64 v[154:155], v[154:155], v[152:153]
	v_fmac_f64_e32 v[154:155], v[156:157], v[32:33]
	v_add_f64 v[30:31], v[30:31], -v[154:155]
	ds_read2_b64 v[154:157], v192 offset0:58 offset1:59
	v_add_f64 v[28:29], v[28:29], -v[34:35]
	s_waitcnt lgkmcnt(0)
	v_mul_f64 v[34:35], v[156:157], v[152:153]
	v_fma_f64 v[34:35], v[154:155], v[32:33], -v[34:35]
	v_mul_f64 v[154:155], v[154:155], v[152:153]
	v_fmac_f64_e32 v[154:155], v[156:157], v[32:33]
	v_add_f64 v[26:27], v[26:27], -v[154:155]
	ds_read2_b64 v[154:157], v192 offset0:60 offset1:61
	v_add_f64 v[24:25], v[24:25], -v[34:35]
	;; [unrolled: 8-line block ×8, first 2 shown]
	s_waitcnt lgkmcnt(0)
	v_mul_f64 v[34:35], v[156:157], v[152:153]
	v_fma_f64 v[34:35], v[154:155], v[32:33], -v[34:35]
	v_mul_f64 v[154:155], v[154:155], v[152:153]
	v_fmac_f64_e32 v[154:155], v[156:157], v[32:33]
	v_add_f64 v[144:145], v[144:145], -v[34:35]
	v_add_f64 v[146:147], v[146:147], -v[154:155]
	v_mov_b64_e32 v[34:35], v[152:153]
.LBB73_253:
	s_or_b64 exec, exec, s[2:3]
	v_cmp_eq_u32_e32 vcc, 28, v190
	s_waitcnt vmcnt(63) expcnt(7) lgkmcnt(15)
	s_barrier
	s_and_saveexec_b64 s[4:5], vcc
	s_cbranch_execz .LBB73_260
; %bb.254:
	s_waitcnt vmcnt(42)
	ds_write2_b64 v191, v[28:29], v[30:31] offset1:1
	s_waitcnt vmcnt(41)
	ds_write2_b64 v192, v[24:25], v[26:27] offset0:58 offset1:59
	s_waitcnt vmcnt(40)
	ds_write2_b64 v192, v[20:21], v[22:23] offset0:60 offset1:61
	;; [unrolled: 2-line block ×6, first 2 shown]
	ds_write2_b64 v192, v[0:1], v[2:3] offset0:70 offset1:71
	s_waitcnt vmcnt(29)
	ds_write2_b64 v192, v[144:145], v[146:147] offset0:72 offset1:73
	ds_read2_b64 v[152:155], v191 offset1:1
	s_waitcnt lgkmcnt(0)
	v_cmp_neq_f64_e32 vcc, 0, v[152:153]
	v_cmp_neq_f64_e64 s[2:3], 0, v[154:155]
	s_or_b64 s[2:3], vcc, s[2:3]
	s_and_b64 exec, exec, s[2:3]
	s_cbranch_execz .LBB73_260
; %bb.255:
	v_cmp_ngt_f64_e64 s[2:3], |v[152:153]|, |v[154:155]|
                                        ; implicit-def: $vgpr156_vgpr157
	s_and_saveexec_b64 s[10:11], s[2:3]
	s_xor_b64 s[2:3], exec, s[10:11]
                                        ; implicit-def: $vgpr158_vgpr159
	s_cbranch_execz .LBB73_257
; %bb.256:
	v_div_scale_f64 v[156:157], s[10:11], v[154:155], v[154:155], v[152:153]
	v_rcp_f64_e32 v[158:159], v[156:157]
	v_div_scale_f64 v[160:161], vcc, v[152:153], v[154:155], v[152:153]
	v_fma_f64 v[162:163], -v[156:157], v[158:159], 1.0
	v_fmac_f64_e32 v[158:159], v[158:159], v[162:163]
	v_fma_f64 v[162:163], -v[156:157], v[158:159], 1.0
	v_fmac_f64_e32 v[158:159], v[158:159], v[162:163]
	v_mul_f64 v[162:163], v[160:161], v[158:159]
	v_fma_f64 v[156:157], -v[156:157], v[162:163], v[160:161]
	v_div_fmas_f64 v[156:157], v[156:157], v[158:159], v[162:163]
	v_div_fixup_f64 v[156:157], v[156:157], v[154:155], v[152:153]
	v_fmac_f64_e32 v[154:155], v[152:153], v[156:157]
	v_div_scale_f64 v[152:153], s[10:11], v[154:155], v[154:155], 1.0
	v_rcp_f64_e32 v[158:159], v[152:153]
	s_nop 0
	v_fma_f64 v[160:161], -v[152:153], v[158:159], 1.0
	v_fmac_f64_e32 v[158:159], v[158:159], v[160:161]
	v_fma_f64 v[160:161], -v[152:153], v[158:159], 1.0
	v_fmac_f64_e32 v[158:159], v[158:159], v[160:161]
	v_div_scale_f64 v[160:161], vcc, 1.0, v[154:155], 1.0
	v_mul_f64 v[162:163], v[160:161], v[158:159]
	v_fma_f64 v[152:153], -v[152:153], v[162:163], v[160:161]
	s_nop 1
	v_div_fmas_f64 v[152:153], v[152:153], v[158:159], v[162:163]
	v_div_fixup_f64 v[158:159], v[152:153], v[154:155], 1.0
	v_mul_f64 v[156:157], v[156:157], v[158:159]
	v_xor_b32_e32 v159, 0x80000000, v159
                                        ; implicit-def: $vgpr152_vgpr153
.LBB73_257:
	s_andn2_saveexec_b64 s[2:3], s[2:3]
	s_cbranch_execz .LBB73_259
; %bb.258:
	v_div_scale_f64 v[156:157], s[10:11], v[152:153], v[152:153], v[154:155]
	v_rcp_f64_e32 v[158:159], v[156:157]
	v_div_scale_f64 v[160:161], vcc, v[154:155], v[152:153], v[154:155]
	v_fma_f64 v[162:163], -v[156:157], v[158:159], 1.0
	v_fmac_f64_e32 v[158:159], v[158:159], v[162:163]
	v_fma_f64 v[162:163], -v[156:157], v[158:159], 1.0
	v_fmac_f64_e32 v[158:159], v[158:159], v[162:163]
	v_mul_f64 v[162:163], v[160:161], v[158:159]
	v_fma_f64 v[156:157], -v[156:157], v[162:163], v[160:161]
	v_div_fmas_f64 v[156:157], v[156:157], v[158:159], v[162:163]
	v_div_fixup_f64 v[158:159], v[156:157], v[152:153], v[154:155]
	v_fmac_f64_e32 v[152:153], v[154:155], v[158:159]
	v_div_scale_f64 v[154:155], s[10:11], v[152:153], v[152:153], 1.0
	v_rcp_f64_e32 v[156:157], v[154:155]
	s_nop 0
	v_fma_f64 v[160:161], -v[154:155], v[156:157], 1.0
	v_fmac_f64_e32 v[156:157], v[156:157], v[160:161]
	v_fma_f64 v[160:161], -v[154:155], v[156:157], 1.0
	v_fmac_f64_e32 v[156:157], v[156:157], v[160:161]
	v_div_scale_f64 v[160:161], vcc, 1.0, v[152:153], 1.0
	v_mul_f64 v[162:163], v[160:161], v[156:157]
	v_fma_f64 v[154:155], -v[154:155], v[162:163], v[160:161]
	s_nop 1
	v_div_fmas_f64 v[154:155], v[154:155], v[156:157], v[162:163]
	v_div_fixup_f64 v[156:157], v[154:155], v[152:153], 1.0
	v_mul_f64 v[158:159], v[158:159], -v[156:157]
.LBB73_259:
	s_or_b64 exec, exec, s[2:3]
	ds_write2_b64 v191, v[156:157], v[158:159] offset1:1
.LBB73_260:
	s_or_b64 exec, exec, s[4:5]
	s_waitcnt lgkmcnt(0)
	s_barrier
	ds_read2_b64 v[152:155], v191 offset1:1
	v_cmp_lt_u32_e32 vcc, 28, v190
	s_and_saveexec_b64 s[2:3], vcc
	s_cbranch_execz .LBB73_262
; %bb.261:
	ds_read2_b64 v[158:161], v192 offset0:58 offset1:59
	s_waitcnt vmcnt(42) lgkmcnt(1)
	v_mul_f64 v[156:157], v[152:153], v[30:31]
	v_fmac_f64_e32 v[156:157], v[154:155], v[28:29]
	v_mul_f64 v[30:31], v[154:155], v[30:31]
	v_fma_f64 v[28:29], v[152:153], v[28:29], -v[30:31]
	s_waitcnt lgkmcnt(0)
	v_mul_f64 v[30:31], v[160:161], v[156:157]
	v_fma_f64 v[30:31], v[158:159], v[28:29], -v[30:31]
	v_mul_f64 v[158:159], v[158:159], v[156:157]
	v_fmac_f64_e32 v[158:159], v[160:161], v[28:29]
	s_waitcnt vmcnt(41)
	v_add_f64 v[26:27], v[26:27], -v[158:159]
	ds_read2_b64 v[158:161], v192 offset0:60 offset1:61
	v_add_f64 v[24:25], v[24:25], -v[30:31]
	s_waitcnt lgkmcnt(0)
	v_mul_f64 v[30:31], v[160:161], v[156:157]
	v_fma_f64 v[30:31], v[158:159], v[28:29], -v[30:31]
	v_mul_f64 v[158:159], v[158:159], v[156:157]
	v_fmac_f64_e32 v[158:159], v[160:161], v[28:29]
	s_waitcnt vmcnt(40)
	v_add_f64 v[22:23], v[22:23], -v[158:159]
	ds_read2_b64 v[158:161], v192 offset0:62 offset1:63
	v_add_f64 v[20:21], v[20:21], -v[30:31]
	;; [unrolled: 9-line block ×6, first 2 shown]
	s_waitcnt lgkmcnt(0)
	v_mul_f64 v[30:31], v[160:161], v[156:157]
	v_fma_f64 v[30:31], v[158:159], v[28:29], -v[30:31]
	v_mul_f64 v[158:159], v[158:159], v[156:157]
	v_fmac_f64_e32 v[158:159], v[160:161], v[28:29]
	v_add_f64 v[2:3], v[2:3], -v[158:159]
	ds_read2_b64 v[158:161], v192 offset0:72 offset1:73
	v_add_f64 v[0:1], v[0:1], -v[30:31]
	s_waitcnt lgkmcnt(0)
	v_mul_f64 v[30:31], v[160:161], v[156:157]
	v_fma_f64 v[30:31], v[158:159], v[28:29], -v[30:31]
	v_mul_f64 v[158:159], v[158:159], v[156:157]
	v_fmac_f64_e32 v[158:159], v[160:161], v[28:29]
	s_waitcnt vmcnt(29)
	v_add_f64 v[144:145], v[144:145], -v[30:31]
	v_add_f64 v[146:147], v[146:147], -v[158:159]
	v_mov_b64_e32 v[30:31], v[156:157]
.LBB73_262:
	s_or_b64 exec, exec, s[2:3]
	v_cmp_eq_u32_e32 vcc, 29, v190
	s_waitcnt lgkmcnt(0)
	s_barrier
	s_and_saveexec_b64 s[4:5], vcc
	s_cbranch_execz .LBB73_269
; %bb.263:
	s_waitcnt vmcnt(41)
	ds_write2_b64 v191, v[24:25], v[26:27] offset1:1
	s_waitcnt vmcnt(40)
	ds_write2_b64 v192, v[20:21], v[22:23] offset0:60 offset1:61
	s_waitcnt vmcnt(39)
	ds_write2_b64 v192, v[16:17], v[18:19] offset0:62 offset1:63
	;; [unrolled: 2-line block ×5, first 2 shown]
	ds_write2_b64 v192, v[0:1], v[2:3] offset0:70 offset1:71
	s_waitcnt vmcnt(29)
	ds_write2_b64 v192, v[144:145], v[146:147] offset0:72 offset1:73
	ds_read2_b64 v[156:159], v191 offset1:1
	s_waitcnt lgkmcnt(0)
	v_cmp_neq_f64_e32 vcc, 0, v[156:157]
	v_cmp_neq_f64_e64 s[2:3], 0, v[158:159]
	s_or_b64 s[2:3], vcc, s[2:3]
	s_and_b64 exec, exec, s[2:3]
	s_cbranch_execz .LBB73_269
; %bb.264:
	v_cmp_ngt_f64_e64 s[2:3], |v[156:157]|, |v[158:159]|
                                        ; implicit-def: $vgpr160_vgpr161
	s_and_saveexec_b64 s[10:11], s[2:3]
	s_xor_b64 s[2:3], exec, s[10:11]
                                        ; implicit-def: $vgpr162_vgpr163
	s_cbranch_execz .LBB73_266
; %bb.265:
	v_div_scale_f64 v[160:161], s[10:11], v[158:159], v[158:159], v[156:157]
	v_rcp_f64_e32 v[162:163], v[160:161]
	v_div_scale_f64 v[164:165], vcc, v[156:157], v[158:159], v[156:157]
	v_fma_f64 v[166:167], -v[160:161], v[162:163], 1.0
	v_fmac_f64_e32 v[162:163], v[162:163], v[166:167]
	v_fma_f64 v[166:167], -v[160:161], v[162:163], 1.0
	v_fmac_f64_e32 v[162:163], v[162:163], v[166:167]
	v_mul_f64 v[166:167], v[164:165], v[162:163]
	v_fma_f64 v[160:161], -v[160:161], v[166:167], v[164:165]
	v_div_fmas_f64 v[160:161], v[160:161], v[162:163], v[166:167]
	v_div_fixup_f64 v[160:161], v[160:161], v[158:159], v[156:157]
	v_fmac_f64_e32 v[158:159], v[156:157], v[160:161]
	v_div_scale_f64 v[156:157], s[10:11], v[158:159], v[158:159], 1.0
	v_rcp_f64_e32 v[162:163], v[156:157]
	s_nop 0
	v_fma_f64 v[164:165], -v[156:157], v[162:163], 1.0
	v_fmac_f64_e32 v[162:163], v[162:163], v[164:165]
	v_fma_f64 v[164:165], -v[156:157], v[162:163], 1.0
	v_fmac_f64_e32 v[162:163], v[162:163], v[164:165]
	v_div_scale_f64 v[164:165], vcc, 1.0, v[158:159], 1.0
	v_mul_f64 v[166:167], v[164:165], v[162:163]
	v_fma_f64 v[156:157], -v[156:157], v[166:167], v[164:165]
	s_nop 1
	v_div_fmas_f64 v[156:157], v[156:157], v[162:163], v[166:167]
	v_div_fixup_f64 v[162:163], v[156:157], v[158:159], 1.0
	v_mul_f64 v[160:161], v[160:161], v[162:163]
	v_xor_b32_e32 v163, 0x80000000, v163
                                        ; implicit-def: $vgpr156_vgpr157
.LBB73_266:
	s_andn2_saveexec_b64 s[2:3], s[2:3]
	s_cbranch_execz .LBB73_268
; %bb.267:
	v_div_scale_f64 v[160:161], s[10:11], v[156:157], v[156:157], v[158:159]
	v_rcp_f64_e32 v[162:163], v[160:161]
	v_div_scale_f64 v[164:165], vcc, v[158:159], v[156:157], v[158:159]
	v_fma_f64 v[166:167], -v[160:161], v[162:163], 1.0
	v_fmac_f64_e32 v[162:163], v[162:163], v[166:167]
	v_fma_f64 v[166:167], -v[160:161], v[162:163], 1.0
	v_fmac_f64_e32 v[162:163], v[162:163], v[166:167]
	v_mul_f64 v[166:167], v[164:165], v[162:163]
	v_fma_f64 v[160:161], -v[160:161], v[166:167], v[164:165]
	v_div_fmas_f64 v[160:161], v[160:161], v[162:163], v[166:167]
	v_div_fixup_f64 v[162:163], v[160:161], v[156:157], v[158:159]
	v_fmac_f64_e32 v[156:157], v[158:159], v[162:163]
	v_div_scale_f64 v[158:159], s[10:11], v[156:157], v[156:157], 1.0
	v_rcp_f64_e32 v[160:161], v[158:159]
	s_nop 0
	v_fma_f64 v[164:165], -v[158:159], v[160:161], 1.0
	v_fmac_f64_e32 v[160:161], v[160:161], v[164:165]
	v_fma_f64 v[164:165], -v[158:159], v[160:161], 1.0
	v_fmac_f64_e32 v[160:161], v[160:161], v[164:165]
	v_div_scale_f64 v[164:165], vcc, 1.0, v[156:157], 1.0
	v_mul_f64 v[166:167], v[164:165], v[160:161]
	v_fma_f64 v[158:159], -v[158:159], v[166:167], v[164:165]
	s_nop 1
	v_div_fmas_f64 v[158:159], v[158:159], v[160:161], v[166:167]
	v_div_fixup_f64 v[160:161], v[158:159], v[156:157], 1.0
	v_mul_f64 v[162:163], v[162:163], -v[160:161]
.LBB73_268:
	s_or_b64 exec, exec, s[2:3]
	ds_write2_b64 v191, v[160:161], v[162:163] offset1:1
.LBB73_269:
	s_or_b64 exec, exec, s[4:5]
	s_waitcnt lgkmcnt(0)
	s_barrier
	ds_read2_b64 v[156:159], v191 offset1:1
	v_cmp_lt_u32_e32 vcc, 29, v190
	s_and_saveexec_b64 s[2:3], vcc
	s_cbranch_execz .LBB73_271
; %bb.270:
	ds_read2_b64 v[162:165], v192 offset0:60 offset1:61
	s_waitcnt vmcnt(41) lgkmcnt(1)
	v_mul_f64 v[160:161], v[156:157], v[26:27]
	v_fmac_f64_e32 v[160:161], v[158:159], v[24:25]
	v_mul_f64 v[26:27], v[158:159], v[26:27]
	v_fma_f64 v[24:25], v[156:157], v[24:25], -v[26:27]
	s_waitcnt lgkmcnt(0)
	v_mul_f64 v[26:27], v[164:165], v[160:161]
	v_fma_f64 v[26:27], v[162:163], v[24:25], -v[26:27]
	v_mul_f64 v[162:163], v[162:163], v[160:161]
	v_fmac_f64_e32 v[162:163], v[164:165], v[24:25]
	s_waitcnt vmcnt(40)
	v_add_f64 v[22:23], v[22:23], -v[162:163]
	ds_read2_b64 v[162:165], v192 offset0:62 offset1:63
	v_add_f64 v[20:21], v[20:21], -v[26:27]
	s_waitcnt lgkmcnt(0)
	v_mul_f64 v[26:27], v[164:165], v[160:161]
	v_fma_f64 v[26:27], v[162:163], v[24:25], -v[26:27]
	v_mul_f64 v[162:163], v[162:163], v[160:161]
	v_fmac_f64_e32 v[162:163], v[164:165], v[24:25]
	s_waitcnt vmcnt(39)
	v_add_f64 v[18:19], v[18:19], -v[162:163]
	ds_read2_b64 v[162:165], v192 offset0:64 offset1:65
	v_add_f64 v[16:17], v[16:17], -v[26:27]
	;; [unrolled: 9-line block ×5, first 2 shown]
	s_waitcnt lgkmcnt(0)
	v_mul_f64 v[26:27], v[164:165], v[160:161]
	v_fma_f64 v[26:27], v[162:163], v[24:25], -v[26:27]
	v_mul_f64 v[162:163], v[162:163], v[160:161]
	v_fmac_f64_e32 v[162:163], v[164:165], v[24:25]
	v_add_f64 v[2:3], v[2:3], -v[162:163]
	ds_read2_b64 v[162:165], v192 offset0:72 offset1:73
	v_add_f64 v[0:1], v[0:1], -v[26:27]
	s_waitcnt lgkmcnt(0)
	v_mul_f64 v[26:27], v[164:165], v[160:161]
	v_fma_f64 v[26:27], v[162:163], v[24:25], -v[26:27]
	v_mul_f64 v[162:163], v[162:163], v[160:161]
	v_fmac_f64_e32 v[162:163], v[164:165], v[24:25]
	s_waitcnt vmcnt(29)
	v_add_f64 v[144:145], v[144:145], -v[26:27]
	v_add_f64 v[146:147], v[146:147], -v[162:163]
	v_mov_b64_e32 v[26:27], v[160:161]
.LBB73_271:
	s_or_b64 exec, exec, s[2:3]
	v_cmp_eq_u32_e32 vcc, 30, v190
	s_waitcnt lgkmcnt(0)
	s_barrier
	s_and_saveexec_b64 s[4:5], vcc
	s_cbranch_execz .LBB73_278
; %bb.272:
	s_waitcnt vmcnt(40)
	ds_write2_b64 v191, v[20:21], v[22:23] offset1:1
	s_waitcnt vmcnt(39)
	ds_write2_b64 v192, v[16:17], v[18:19] offset0:62 offset1:63
	s_waitcnt vmcnt(38)
	ds_write2_b64 v192, v[12:13], v[14:15] offset0:64 offset1:65
	;; [unrolled: 2-line block ×4, first 2 shown]
	ds_write2_b64 v192, v[0:1], v[2:3] offset0:70 offset1:71
	s_waitcnt vmcnt(29)
	ds_write2_b64 v192, v[144:145], v[146:147] offset0:72 offset1:73
	ds_read2_b64 v[160:163], v191 offset1:1
	s_waitcnt lgkmcnt(0)
	v_cmp_neq_f64_e32 vcc, 0, v[160:161]
	v_cmp_neq_f64_e64 s[2:3], 0, v[162:163]
	s_or_b64 s[2:3], vcc, s[2:3]
	s_and_b64 exec, exec, s[2:3]
	s_cbranch_execz .LBB73_278
; %bb.273:
	v_cmp_ngt_f64_e64 s[2:3], |v[160:161]|, |v[162:163]|
                                        ; implicit-def: $vgpr164_vgpr165
	s_and_saveexec_b64 s[10:11], s[2:3]
	s_xor_b64 s[2:3], exec, s[10:11]
                                        ; implicit-def: $vgpr166_vgpr167
	s_cbranch_execz .LBB73_275
; %bb.274:
	v_div_scale_f64 v[164:165], s[10:11], v[162:163], v[162:163], v[160:161]
	v_rcp_f64_e32 v[166:167], v[164:165]
	v_div_scale_f64 v[168:169], vcc, v[160:161], v[162:163], v[160:161]
	v_fma_f64 v[170:171], -v[164:165], v[166:167], 1.0
	v_fmac_f64_e32 v[166:167], v[166:167], v[170:171]
	v_fma_f64 v[170:171], -v[164:165], v[166:167], 1.0
	v_fmac_f64_e32 v[166:167], v[166:167], v[170:171]
	v_mul_f64 v[170:171], v[168:169], v[166:167]
	v_fma_f64 v[164:165], -v[164:165], v[170:171], v[168:169]
	v_div_fmas_f64 v[164:165], v[164:165], v[166:167], v[170:171]
	v_div_fixup_f64 v[164:165], v[164:165], v[162:163], v[160:161]
	v_fmac_f64_e32 v[162:163], v[160:161], v[164:165]
	v_div_scale_f64 v[160:161], s[10:11], v[162:163], v[162:163], 1.0
	v_rcp_f64_e32 v[166:167], v[160:161]
	s_nop 0
	v_fma_f64 v[168:169], -v[160:161], v[166:167], 1.0
	v_fmac_f64_e32 v[166:167], v[166:167], v[168:169]
	v_fma_f64 v[168:169], -v[160:161], v[166:167], 1.0
	v_fmac_f64_e32 v[166:167], v[166:167], v[168:169]
	v_div_scale_f64 v[168:169], vcc, 1.0, v[162:163], 1.0
	v_mul_f64 v[170:171], v[168:169], v[166:167]
	v_fma_f64 v[160:161], -v[160:161], v[170:171], v[168:169]
	s_nop 1
	v_div_fmas_f64 v[160:161], v[160:161], v[166:167], v[170:171]
	v_div_fixup_f64 v[166:167], v[160:161], v[162:163], 1.0
	v_mul_f64 v[164:165], v[164:165], v[166:167]
	v_xor_b32_e32 v167, 0x80000000, v167
                                        ; implicit-def: $vgpr160_vgpr161
.LBB73_275:
	s_andn2_saveexec_b64 s[2:3], s[2:3]
	s_cbranch_execz .LBB73_277
; %bb.276:
	v_div_scale_f64 v[164:165], s[10:11], v[160:161], v[160:161], v[162:163]
	v_rcp_f64_e32 v[166:167], v[164:165]
	v_div_scale_f64 v[168:169], vcc, v[162:163], v[160:161], v[162:163]
	v_fma_f64 v[170:171], -v[164:165], v[166:167], 1.0
	v_fmac_f64_e32 v[166:167], v[166:167], v[170:171]
	v_fma_f64 v[170:171], -v[164:165], v[166:167], 1.0
	v_fmac_f64_e32 v[166:167], v[166:167], v[170:171]
	v_mul_f64 v[170:171], v[168:169], v[166:167]
	v_fma_f64 v[164:165], -v[164:165], v[170:171], v[168:169]
	v_div_fmas_f64 v[164:165], v[164:165], v[166:167], v[170:171]
	v_div_fixup_f64 v[166:167], v[164:165], v[160:161], v[162:163]
	v_fmac_f64_e32 v[160:161], v[162:163], v[166:167]
	v_div_scale_f64 v[162:163], s[10:11], v[160:161], v[160:161], 1.0
	v_rcp_f64_e32 v[164:165], v[162:163]
	s_nop 0
	v_fma_f64 v[168:169], -v[162:163], v[164:165], 1.0
	v_fmac_f64_e32 v[164:165], v[164:165], v[168:169]
	v_fma_f64 v[168:169], -v[162:163], v[164:165], 1.0
	v_fmac_f64_e32 v[164:165], v[164:165], v[168:169]
	v_div_scale_f64 v[168:169], vcc, 1.0, v[160:161], 1.0
	v_mul_f64 v[170:171], v[168:169], v[164:165]
	v_fma_f64 v[162:163], -v[162:163], v[170:171], v[168:169]
	s_nop 1
	v_div_fmas_f64 v[162:163], v[162:163], v[164:165], v[170:171]
	v_div_fixup_f64 v[164:165], v[162:163], v[160:161], 1.0
	v_mul_f64 v[166:167], v[166:167], -v[164:165]
.LBB73_277:
	s_or_b64 exec, exec, s[2:3]
	ds_write2_b64 v191, v[164:165], v[166:167] offset1:1
.LBB73_278:
	s_or_b64 exec, exec, s[4:5]
	s_waitcnt lgkmcnt(0)
	s_barrier
	ds_read2_b64 v[160:163], v191 offset1:1
	v_cmp_lt_u32_e32 vcc, 30, v190
	s_and_saveexec_b64 s[2:3], vcc
	s_cbranch_execz .LBB73_280
; %bb.279:
	ds_read2_b64 v[164:167], v192 offset0:62 offset1:63
	s_waitcnt vmcnt(40) lgkmcnt(1)
	v_mul_f64 v[168:169], v[160:161], v[22:23]
	v_fmac_f64_e32 v[168:169], v[162:163], v[20:21]
	v_mul_f64 v[22:23], v[162:163], v[22:23]
	v_fma_f64 v[20:21], v[160:161], v[20:21], -v[22:23]
	s_waitcnt lgkmcnt(0)
	v_mul_f64 v[22:23], v[166:167], v[168:169]
	v_fma_f64 v[22:23], v[164:165], v[20:21], -v[22:23]
	v_mul_f64 v[164:165], v[164:165], v[168:169]
	v_fmac_f64_e32 v[164:165], v[166:167], v[20:21]
	s_waitcnt vmcnt(39)
	v_add_f64 v[18:19], v[18:19], -v[164:165]
	ds_read2_b64 v[164:167], v192 offset0:64 offset1:65
	v_add_f64 v[16:17], v[16:17], -v[22:23]
	s_waitcnt lgkmcnt(0)
	v_mul_f64 v[22:23], v[166:167], v[168:169]
	v_fma_f64 v[22:23], v[164:165], v[20:21], -v[22:23]
	v_mul_f64 v[164:165], v[164:165], v[168:169]
	v_fmac_f64_e32 v[164:165], v[166:167], v[20:21]
	s_waitcnt vmcnt(38)
	v_add_f64 v[14:15], v[14:15], -v[164:165]
	ds_read2_b64 v[164:167], v192 offset0:66 offset1:67
	v_add_f64 v[12:13], v[12:13], -v[22:23]
	s_waitcnt lgkmcnt(0)
	v_mul_f64 v[22:23], v[166:167], v[168:169]
	v_fma_f64 v[22:23], v[164:165], v[20:21], -v[22:23]
	v_mul_f64 v[164:165], v[164:165], v[168:169]
	v_fmac_f64_e32 v[164:165], v[166:167], v[20:21]
	s_waitcnt vmcnt(33)
	v_add_f64 v[10:11], v[10:11], -v[164:165]
	ds_read2_b64 v[164:167], v192 offset0:68 offset1:69
	v_add_f64 v[8:9], v[8:9], -v[22:23]
	s_waitcnt lgkmcnt(0)
	v_mul_f64 v[22:23], v[166:167], v[168:169]
	v_fma_f64 v[22:23], v[164:165], v[20:21], -v[22:23]
	v_mul_f64 v[164:165], v[164:165], v[168:169]
	v_fmac_f64_e32 v[164:165], v[166:167], v[20:21]
	s_waitcnt vmcnt(31)
	v_add_f64 v[6:7], v[6:7], -v[164:165]
	ds_read2_b64 v[164:167], v192 offset0:70 offset1:71
	v_add_f64 v[4:5], v[4:5], -v[22:23]
	s_waitcnt lgkmcnt(0)
	v_mul_f64 v[22:23], v[166:167], v[168:169]
	v_fma_f64 v[22:23], v[164:165], v[20:21], -v[22:23]
	v_mul_f64 v[164:165], v[164:165], v[168:169]
	v_fmac_f64_e32 v[164:165], v[166:167], v[20:21]
	v_add_f64 v[2:3], v[2:3], -v[164:165]
	ds_read2_b64 v[164:167], v192 offset0:72 offset1:73
	v_add_f64 v[0:1], v[0:1], -v[22:23]
	s_waitcnt lgkmcnt(0)
	v_mul_f64 v[22:23], v[166:167], v[168:169]
	v_fma_f64 v[22:23], v[164:165], v[20:21], -v[22:23]
	v_mul_f64 v[164:165], v[164:165], v[168:169]
	v_fmac_f64_e32 v[164:165], v[166:167], v[20:21]
	s_waitcnt vmcnt(29)
	v_add_f64 v[144:145], v[144:145], -v[22:23]
	v_add_f64 v[146:147], v[146:147], -v[164:165]
	v_mov_b64_e32 v[22:23], v[168:169]
.LBB73_280:
	s_or_b64 exec, exec, s[2:3]
	v_cmp_eq_u32_e32 vcc, 31, v190
	s_waitcnt lgkmcnt(0)
	s_barrier
	s_and_saveexec_b64 s[4:5], vcc
	s_cbranch_execz .LBB73_287
; %bb.281:
	s_waitcnt vmcnt(39)
	ds_write2_b64 v191, v[16:17], v[18:19] offset1:1
	s_waitcnt vmcnt(38)
	ds_write2_b64 v192, v[12:13], v[14:15] offset0:64 offset1:65
	s_waitcnt vmcnt(33)
	ds_write2_b64 v192, v[8:9], v[10:11] offset0:66 offset1:67
	;; [unrolled: 2-line block ×3, first 2 shown]
	ds_write2_b64 v192, v[0:1], v[2:3] offset0:70 offset1:71
	s_waitcnt vmcnt(29)
	ds_write2_b64 v192, v[144:145], v[146:147] offset0:72 offset1:73
	ds_read2_b64 v[164:167], v191 offset1:1
	s_waitcnt lgkmcnt(0)
	v_cmp_neq_f64_e32 vcc, 0, v[164:165]
	v_cmp_neq_f64_e64 s[2:3], 0, v[166:167]
	s_or_b64 s[2:3], vcc, s[2:3]
	s_and_b64 exec, exec, s[2:3]
	s_cbranch_execz .LBB73_287
; %bb.282:
	v_cmp_ngt_f64_e64 s[2:3], |v[164:165]|, |v[166:167]|
                                        ; implicit-def: $vgpr168_vgpr169
	s_and_saveexec_b64 s[10:11], s[2:3]
	s_xor_b64 s[2:3], exec, s[10:11]
                                        ; implicit-def: $vgpr170_vgpr171
	s_cbranch_execz .LBB73_284
; %bb.283:
	v_div_scale_f64 v[168:169], s[10:11], v[166:167], v[166:167], v[164:165]
	v_rcp_f64_e32 v[170:171], v[168:169]
	v_div_scale_f64 v[172:173], vcc, v[164:165], v[166:167], v[164:165]
	v_fma_f64 v[174:175], -v[168:169], v[170:171], 1.0
	v_fmac_f64_e32 v[170:171], v[170:171], v[174:175]
	v_fma_f64 v[174:175], -v[168:169], v[170:171], 1.0
	v_fmac_f64_e32 v[170:171], v[170:171], v[174:175]
	v_mul_f64 v[174:175], v[172:173], v[170:171]
	v_fma_f64 v[168:169], -v[168:169], v[174:175], v[172:173]
	v_div_fmas_f64 v[168:169], v[168:169], v[170:171], v[174:175]
	v_div_fixup_f64 v[168:169], v[168:169], v[166:167], v[164:165]
	v_fmac_f64_e32 v[166:167], v[164:165], v[168:169]
	v_div_scale_f64 v[164:165], s[10:11], v[166:167], v[166:167], 1.0
	v_rcp_f64_e32 v[170:171], v[164:165]
	s_nop 0
	v_fma_f64 v[172:173], -v[164:165], v[170:171], 1.0
	v_fmac_f64_e32 v[170:171], v[170:171], v[172:173]
	v_fma_f64 v[172:173], -v[164:165], v[170:171], 1.0
	v_fmac_f64_e32 v[170:171], v[170:171], v[172:173]
	v_div_scale_f64 v[172:173], vcc, 1.0, v[166:167], 1.0
	v_mul_f64 v[174:175], v[172:173], v[170:171]
	v_fma_f64 v[164:165], -v[164:165], v[174:175], v[172:173]
	s_nop 1
	v_div_fmas_f64 v[164:165], v[164:165], v[170:171], v[174:175]
	v_div_fixup_f64 v[170:171], v[164:165], v[166:167], 1.0
	v_mul_f64 v[168:169], v[168:169], v[170:171]
	v_xor_b32_e32 v171, 0x80000000, v171
                                        ; implicit-def: $vgpr164_vgpr165
.LBB73_284:
	s_andn2_saveexec_b64 s[2:3], s[2:3]
	s_cbranch_execz .LBB73_286
; %bb.285:
	v_div_scale_f64 v[168:169], s[10:11], v[164:165], v[164:165], v[166:167]
	v_rcp_f64_e32 v[170:171], v[168:169]
	v_div_scale_f64 v[172:173], vcc, v[166:167], v[164:165], v[166:167]
	v_fma_f64 v[174:175], -v[168:169], v[170:171], 1.0
	v_fmac_f64_e32 v[170:171], v[170:171], v[174:175]
	v_fma_f64 v[174:175], -v[168:169], v[170:171], 1.0
	v_fmac_f64_e32 v[170:171], v[170:171], v[174:175]
	v_mul_f64 v[174:175], v[172:173], v[170:171]
	v_fma_f64 v[168:169], -v[168:169], v[174:175], v[172:173]
	v_div_fmas_f64 v[168:169], v[168:169], v[170:171], v[174:175]
	v_div_fixup_f64 v[170:171], v[168:169], v[164:165], v[166:167]
	v_fmac_f64_e32 v[164:165], v[166:167], v[170:171]
	v_div_scale_f64 v[166:167], s[10:11], v[164:165], v[164:165], 1.0
	v_rcp_f64_e32 v[168:169], v[166:167]
	s_nop 0
	v_fma_f64 v[172:173], -v[166:167], v[168:169], 1.0
	v_fmac_f64_e32 v[168:169], v[168:169], v[172:173]
	v_fma_f64 v[172:173], -v[166:167], v[168:169], 1.0
	v_fmac_f64_e32 v[168:169], v[168:169], v[172:173]
	v_div_scale_f64 v[172:173], vcc, 1.0, v[164:165], 1.0
	v_mul_f64 v[174:175], v[172:173], v[168:169]
	v_fma_f64 v[166:167], -v[166:167], v[174:175], v[172:173]
	s_nop 1
	v_div_fmas_f64 v[166:167], v[166:167], v[168:169], v[174:175]
	v_div_fixup_f64 v[168:169], v[166:167], v[164:165], 1.0
	v_mul_f64 v[170:171], v[170:171], -v[168:169]
.LBB73_286:
	s_or_b64 exec, exec, s[2:3]
	ds_write2_b64 v191, v[168:169], v[170:171] offset1:1
.LBB73_287:
	s_or_b64 exec, exec, s[4:5]
	s_waitcnt lgkmcnt(0)
	s_barrier
	ds_read2_b64 v[164:167], v191 offset1:1
	v_cmp_lt_u32_e32 vcc, 31, v190
	s_and_saveexec_b64 s[2:3], vcc
	s_cbranch_execz .LBB73_289
; %bb.288:
	ds_read2_b64 v[168:171], v192 offset0:64 offset1:65
	s_waitcnt vmcnt(39) lgkmcnt(1)
	v_mul_f64 v[172:173], v[164:165], v[18:19]
	v_fmac_f64_e32 v[172:173], v[166:167], v[16:17]
	v_mul_f64 v[18:19], v[166:167], v[18:19]
	v_fma_f64 v[16:17], v[164:165], v[16:17], -v[18:19]
	s_waitcnt lgkmcnt(0)
	v_mul_f64 v[18:19], v[170:171], v[172:173]
	v_fma_f64 v[18:19], v[168:169], v[16:17], -v[18:19]
	v_mul_f64 v[168:169], v[168:169], v[172:173]
	v_fmac_f64_e32 v[168:169], v[170:171], v[16:17]
	s_waitcnt vmcnt(38)
	v_add_f64 v[14:15], v[14:15], -v[168:169]
	ds_read2_b64 v[168:171], v192 offset0:66 offset1:67
	v_add_f64 v[12:13], v[12:13], -v[18:19]
	s_waitcnt lgkmcnt(0)
	v_mul_f64 v[18:19], v[170:171], v[172:173]
	v_fma_f64 v[18:19], v[168:169], v[16:17], -v[18:19]
	v_mul_f64 v[168:169], v[168:169], v[172:173]
	v_fmac_f64_e32 v[168:169], v[170:171], v[16:17]
	s_waitcnt vmcnt(33)
	v_add_f64 v[10:11], v[10:11], -v[168:169]
	ds_read2_b64 v[168:171], v192 offset0:68 offset1:69
	v_add_f64 v[8:9], v[8:9], -v[18:19]
	;; [unrolled: 9-line block ×3, first 2 shown]
	s_waitcnt lgkmcnt(0)
	v_mul_f64 v[18:19], v[170:171], v[172:173]
	v_fma_f64 v[18:19], v[168:169], v[16:17], -v[18:19]
	v_mul_f64 v[168:169], v[168:169], v[172:173]
	v_fmac_f64_e32 v[168:169], v[170:171], v[16:17]
	v_add_f64 v[2:3], v[2:3], -v[168:169]
	ds_read2_b64 v[168:171], v192 offset0:72 offset1:73
	v_add_f64 v[0:1], v[0:1], -v[18:19]
	s_waitcnt lgkmcnt(0)
	v_mul_f64 v[18:19], v[170:171], v[172:173]
	v_fma_f64 v[18:19], v[168:169], v[16:17], -v[18:19]
	v_mul_f64 v[168:169], v[168:169], v[172:173]
	v_fmac_f64_e32 v[168:169], v[170:171], v[16:17]
	s_waitcnt vmcnt(29)
	v_add_f64 v[144:145], v[144:145], -v[18:19]
	v_add_f64 v[146:147], v[146:147], -v[168:169]
	v_mov_b64_e32 v[18:19], v[172:173]
.LBB73_289:
	s_or_b64 exec, exec, s[2:3]
	v_cmp_eq_u32_e32 vcc, 32, v190
	s_waitcnt lgkmcnt(0)
	s_barrier
	s_and_saveexec_b64 s[4:5], vcc
	s_cbranch_execz .LBB73_296
; %bb.290:
	s_waitcnt vmcnt(38)
	ds_write2_b64 v191, v[12:13], v[14:15] offset1:1
	s_waitcnt vmcnt(33)
	ds_write2_b64 v192, v[8:9], v[10:11] offset0:66 offset1:67
	s_waitcnt vmcnt(31)
	ds_write2_b64 v192, v[4:5], v[6:7] offset0:68 offset1:69
	ds_write2_b64 v192, v[0:1], v[2:3] offset0:70 offset1:71
	s_waitcnt vmcnt(29)
	ds_write2_b64 v192, v[144:145], v[146:147] offset0:72 offset1:73
	ds_read2_b64 v[168:171], v191 offset1:1
	s_waitcnt lgkmcnt(0)
	v_cmp_neq_f64_e32 vcc, 0, v[168:169]
	v_cmp_neq_f64_e64 s[2:3], 0, v[170:171]
	s_or_b64 s[2:3], vcc, s[2:3]
	s_and_b64 exec, exec, s[2:3]
	s_cbranch_execz .LBB73_296
; %bb.291:
	v_cmp_ngt_f64_e64 s[2:3], |v[168:169]|, |v[170:171]|
                                        ; implicit-def: $vgpr172_vgpr173
	s_and_saveexec_b64 s[10:11], s[2:3]
	s_xor_b64 s[2:3], exec, s[10:11]
                                        ; implicit-def: $vgpr174_vgpr175
	s_cbranch_execz .LBB73_293
; %bb.292:
	v_div_scale_f64 v[172:173], s[10:11], v[170:171], v[170:171], v[168:169]
	v_rcp_f64_e32 v[174:175], v[172:173]
	v_div_scale_f64 v[176:177], vcc, v[168:169], v[170:171], v[168:169]
	v_fma_f64 v[178:179], -v[172:173], v[174:175], 1.0
	v_fmac_f64_e32 v[174:175], v[174:175], v[178:179]
	v_fma_f64 v[178:179], -v[172:173], v[174:175], 1.0
	v_fmac_f64_e32 v[174:175], v[174:175], v[178:179]
	v_mul_f64 v[178:179], v[176:177], v[174:175]
	v_fma_f64 v[172:173], -v[172:173], v[178:179], v[176:177]
	v_div_fmas_f64 v[172:173], v[172:173], v[174:175], v[178:179]
	v_div_fixup_f64 v[172:173], v[172:173], v[170:171], v[168:169]
	v_fmac_f64_e32 v[170:171], v[168:169], v[172:173]
	v_div_scale_f64 v[168:169], s[10:11], v[170:171], v[170:171], 1.0
	v_rcp_f64_e32 v[174:175], v[168:169]
	s_nop 0
	v_fma_f64 v[176:177], -v[168:169], v[174:175], 1.0
	v_fmac_f64_e32 v[174:175], v[174:175], v[176:177]
	v_fma_f64 v[176:177], -v[168:169], v[174:175], 1.0
	v_fmac_f64_e32 v[174:175], v[174:175], v[176:177]
	v_div_scale_f64 v[176:177], vcc, 1.0, v[170:171], 1.0
	v_mul_f64 v[178:179], v[176:177], v[174:175]
	v_fma_f64 v[168:169], -v[168:169], v[178:179], v[176:177]
	s_nop 1
	v_div_fmas_f64 v[168:169], v[168:169], v[174:175], v[178:179]
	v_div_fixup_f64 v[174:175], v[168:169], v[170:171], 1.0
	v_mul_f64 v[172:173], v[172:173], v[174:175]
	v_xor_b32_e32 v175, 0x80000000, v175
                                        ; implicit-def: $vgpr168_vgpr169
.LBB73_293:
	s_andn2_saveexec_b64 s[2:3], s[2:3]
	s_cbranch_execz .LBB73_295
; %bb.294:
	v_div_scale_f64 v[172:173], s[10:11], v[168:169], v[168:169], v[170:171]
	v_rcp_f64_e32 v[174:175], v[172:173]
	v_div_scale_f64 v[176:177], vcc, v[170:171], v[168:169], v[170:171]
	v_fma_f64 v[178:179], -v[172:173], v[174:175], 1.0
	v_fmac_f64_e32 v[174:175], v[174:175], v[178:179]
	v_fma_f64 v[178:179], -v[172:173], v[174:175], 1.0
	v_fmac_f64_e32 v[174:175], v[174:175], v[178:179]
	v_mul_f64 v[178:179], v[176:177], v[174:175]
	v_fma_f64 v[172:173], -v[172:173], v[178:179], v[176:177]
	v_div_fmas_f64 v[172:173], v[172:173], v[174:175], v[178:179]
	v_div_fixup_f64 v[174:175], v[172:173], v[168:169], v[170:171]
	v_fmac_f64_e32 v[168:169], v[170:171], v[174:175]
	v_div_scale_f64 v[170:171], s[10:11], v[168:169], v[168:169], 1.0
	v_rcp_f64_e32 v[172:173], v[170:171]
	s_nop 0
	v_fma_f64 v[176:177], -v[170:171], v[172:173], 1.0
	v_fmac_f64_e32 v[172:173], v[172:173], v[176:177]
	v_fma_f64 v[176:177], -v[170:171], v[172:173], 1.0
	v_fmac_f64_e32 v[172:173], v[172:173], v[176:177]
	v_div_scale_f64 v[176:177], vcc, 1.0, v[168:169], 1.0
	v_mul_f64 v[178:179], v[176:177], v[172:173]
	v_fma_f64 v[170:171], -v[170:171], v[178:179], v[176:177]
	s_nop 1
	v_div_fmas_f64 v[170:171], v[170:171], v[172:173], v[178:179]
	v_div_fixup_f64 v[172:173], v[170:171], v[168:169], 1.0
	v_mul_f64 v[174:175], v[174:175], -v[172:173]
.LBB73_295:
	s_or_b64 exec, exec, s[2:3]
	ds_write2_b64 v191, v[172:173], v[174:175] offset1:1
.LBB73_296:
	s_or_b64 exec, exec, s[4:5]
	s_waitcnt lgkmcnt(0)
	s_barrier
	ds_read2_b64 v[168:171], v191 offset1:1
	v_cmp_lt_u32_e32 vcc, 32, v190
	s_and_saveexec_b64 s[2:3], vcc
	s_cbranch_execz .LBB73_298
; %bb.297:
	ds_read2_b64 v[172:175], v192 offset0:66 offset1:67
	s_waitcnt vmcnt(38) lgkmcnt(1)
	v_mul_f64 v[176:177], v[168:169], v[14:15]
	v_fmac_f64_e32 v[176:177], v[170:171], v[12:13]
	v_mul_f64 v[14:15], v[170:171], v[14:15]
	v_fma_f64 v[12:13], v[168:169], v[12:13], -v[14:15]
	s_waitcnt lgkmcnt(0)
	v_mul_f64 v[14:15], v[174:175], v[176:177]
	v_fma_f64 v[14:15], v[172:173], v[12:13], -v[14:15]
	v_mul_f64 v[172:173], v[172:173], v[176:177]
	v_fmac_f64_e32 v[172:173], v[174:175], v[12:13]
	s_waitcnt vmcnt(33)
	v_add_f64 v[10:11], v[10:11], -v[172:173]
	ds_read2_b64 v[172:175], v192 offset0:68 offset1:69
	v_add_f64 v[8:9], v[8:9], -v[14:15]
	s_waitcnt lgkmcnt(0)
	v_mul_f64 v[14:15], v[174:175], v[176:177]
	v_fma_f64 v[14:15], v[172:173], v[12:13], -v[14:15]
	v_mul_f64 v[172:173], v[172:173], v[176:177]
	v_fmac_f64_e32 v[172:173], v[174:175], v[12:13]
	s_waitcnt vmcnt(31)
	v_add_f64 v[6:7], v[6:7], -v[172:173]
	ds_read2_b64 v[172:175], v192 offset0:70 offset1:71
	v_add_f64 v[4:5], v[4:5], -v[14:15]
	s_waitcnt lgkmcnt(0)
	v_mul_f64 v[14:15], v[174:175], v[176:177]
	v_fma_f64 v[14:15], v[172:173], v[12:13], -v[14:15]
	v_mul_f64 v[172:173], v[172:173], v[176:177]
	v_fmac_f64_e32 v[172:173], v[174:175], v[12:13]
	v_add_f64 v[2:3], v[2:3], -v[172:173]
	ds_read2_b64 v[172:175], v192 offset0:72 offset1:73
	v_add_f64 v[0:1], v[0:1], -v[14:15]
	s_waitcnt lgkmcnt(0)
	v_mul_f64 v[14:15], v[174:175], v[176:177]
	v_fma_f64 v[14:15], v[172:173], v[12:13], -v[14:15]
	v_mul_f64 v[172:173], v[172:173], v[176:177]
	v_fmac_f64_e32 v[172:173], v[174:175], v[12:13]
	s_waitcnt vmcnt(29)
	v_add_f64 v[144:145], v[144:145], -v[14:15]
	v_add_f64 v[146:147], v[146:147], -v[172:173]
	v_mov_b64_e32 v[14:15], v[176:177]
.LBB73_298:
	s_or_b64 exec, exec, s[2:3]
	v_cmp_eq_u32_e32 vcc, 33, v190
	s_waitcnt lgkmcnt(0)
	s_barrier
	s_and_saveexec_b64 s[4:5], vcc
	s_cbranch_execz .LBB73_305
; %bb.299:
	s_waitcnt vmcnt(33)
	ds_write2_b64 v191, v[8:9], v[10:11] offset1:1
	s_waitcnt vmcnt(31)
	ds_write2_b64 v192, v[4:5], v[6:7] offset0:68 offset1:69
	ds_write2_b64 v192, v[0:1], v[2:3] offset0:70 offset1:71
	s_waitcnt vmcnt(29)
	ds_write2_b64 v192, v[144:145], v[146:147] offset0:72 offset1:73
	ds_read2_b64 v[172:175], v191 offset1:1
	s_waitcnt lgkmcnt(0)
	v_cmp_neq_f64_e32 vcc, 0, v[172:173]
	v_cmp_neq_f64_e64 s[2:3], 0, v[174:175]
	s_or_b64 s[2:3], vcc, s[2:3]
	s_and_b64 exec, exec, s[2:3]
	s_cbranch_execz .LBB73_305
; %bb.300:
	v_cmp_ngt_f64_e64 s[2:3], |v[172:173]|, |v[174:175]|
                                        ; implicit-def: $vgpr176_vgpr177
	s_and_saveexec_b64 s[10:11], s[2:3]
	s_xor_b64 s[2:3], exec, s[10:11]
                                        ; implicit-def: $vgpr178_vgpr179
	s_cbranch_execz .LBB73_302
; %bb.301:
	v_div_scale_f64 v[176:177], s[10:11], v[174:175], v[174:175], v[172:173]
	v_rcp_f64_e32 v[178:179], v[176:177]
	v_div_scale_f64 v[180:181], vcc, v[172:173], v[174:175], v[172:173]
	v_fma_f64 v[182:183], -v[176:177], v[178:179], 1.0
	v_fmac_f64_e32 v[178:179], v[178:179], v[182:183]
	v_fma_f64 v[182:183], -v[176:177], v[178:179], 1.0
	v_fmac_f64_e32 v[178:179], v[178:179], v[182:183]
	v_mul_f64 v[182:183], v[180:181], v[178:179]
	v_fma_f64 v[176:177], -v[176:177], v[182:183], v[180:181]
	v_div_fmas_f64 v[176:177], v[176:177], v[178:179], v[182:183]
	v_div_fixup_f64 v[176:177], v[176:177], v[174:175], v[172:173]
	v_fmac_f64_e32 v[174:175], v[172:173], v[176:177]
	v_div_scale_f64 v[172:173], s[10:11], v[174:175], v[174:175], 1.0
	v_rcp_f64_e32 v[178:179], v[172:173]
	s_nop 0
	v_fma_f64 v[180:181], -v[172:173], v[178:179], 1.0
	v_fmac_f64_e32 v[178:179], v[178:179], v[180:181]
	v_fma_f64 v[180:181], -v[172:173], v[178:179], 1.0
	v_fmac_f64_e32 v[178:179], v[178:179], v[180:181]
	v_div_scale_f64 v[180:181], vcc, 1.0, v[174:175], 1.0
	v_mul_f64 v[182:183], v[180:181], v[178:179]
	v_fma_f64 v[172:173], -v[172:173], v[182:183], v[180:181]
	s_nop 1
	v_div_fmas_f64 v[172:173], v[172:173], v[178:179], v[182:183]
	v_div_fixup_f64 v[178:179], v[172:173], v[174:175], 1.0
	v_mul_f64 v[176:177], v[176:177], v[178:179]
	v_xor_b32_e32 v179, 0x80000000, v179
                                        ; implicit-def: $vgpr172_vgpr173
.LBB73_302:
	s_andn2_saveexec_b64 s[2:3], s[2:3]
	s_cbranch_execz .LBB73_304
; %bb.303:
	v_div_scale_f64 v[176:177], s[10:11], v[172:173], v[172:173], v[174:175]
	v_rcp_f64_e32 v[178:179], v[176:177]
	v_div_scale_f64 v[180:181], vcc, v[174:175], v[172:173], v[174:175]
	v_fma_f64 v[182:183], -v[176:177], v[178:179], 1.0
	v_fmac_f64_e32 v[178:179], v[178:179], v[182:183]
	v_fma_f64 v[182:183], -v[176:177], v[178:179], 1.0
	v_fmac_f64_e32 v[178:179], v[178:179], v[182:183]
	v_mul_f64 v[182:183], v[180:181], v[178:179]
	v_fma_f64 v[176:177], -v[176:177], v[182:183], v[180:181]
	v_div_fmas_f64 v[176:177], v[176:177], v[178:179], v[182:183]
	v_div_fixup_f64 v[178:179], v[176:177], v[172:173], v[174:175]
	v_fmac_f64_e32 v[172:173], v[174:175], v[178:179]
	v_div_scale_f64 v[174:175], s[10:11], v[172:173], v[172:173], 1.0
	v_rcp_f64_e32 v[176:177], v[174:175]
	s_nop 0
	v_fma_f64 v[180:181], -v[174:175], v[176:177], 1.0
	v_fmac_f64_e32 v[176:177], v[176:177], v[180:181]
	v_fma_f64 v[180:181], -v[174:175], v[176:177], 1.0
	v_fmac_f64_e32 v[176:177], v[176:177], v[180:181]
	v_div_scale_f64 v[180:181], vcc, 1.0, v[172:173], 1.0
	v_mul_f64 v[182:183], v[180:181], v[176:177]
	v_fma_f64 v[174:175], -v[174:175], v[182:183], v[180:181]
	s_nop 1
	v_div_fmas_f64 v[174:175], v[174:175], v[176:177], v[182:183]
	v_div_fixup_f64 v[176:177], v[174:175], v[172:173], 1.0
	v_mul_f64 v[178:179], v[178:179], -v[176:177]
.LBB73_304:
	s_or_b64 exec, exec, s[2:3]
	ds_write2_b64 v191, v[176:177], v[178:179] offset1:1
.LBB73_305:
	s_or_b64 exec, exec, s[4:5]
	s_waitcnt lgkmcnt(0)
	s_barrier
	ds_read2_b64 v[172:175], v191 offset1:1
	v_cmp_lt_u32_e32 vcc, 33, v190
	s_and_saveexec_b64 s[2:3], vcc
	s_cbranch_execz .LBB73_307
; %bb.306:
	ds_read2_b64 v[176:179], v192 offset0:68 offset1:69
	s_waitcnt vmcnt(33) lgkmcnt(1)
	v_mul_f64 v[180:181], v[172:173], v[10:11]
	v_fmac_f64_e32 v[180:181], v[174:175], v[8:9]
	v_mul_f64 v[10:11], v[174:175], v[10:11]
	v_fma_f64 v[8:9], v[172:173], v[8:9], -v[10:11]
	s_waitcnt lgkmcnt(0)
	v_mul_f64 v[10:11], v[178:179], v[180:181]
	v_fma_f64 v[10:11], v[176:177], v[8:9], -v[10:11]
	v_mul_f64 v[176:177], v[176:177], v[180:181]
	v_fmac_f64_e32 v[176:177], v[178:179], v[8:9]
	s_waitcnt vmcnt(31)
	v_add_f64 v[6:7], v[6:7], -v[176:177]
	ds_read2_b64 v[176:179], v192 offset0:70 offset1:71
	v_add_f64 v[4:5], v[4:5], -v[10:11]
	s_waitcnt lgkmcnt(0)
	v_mul_f64 v[10:11], v[178:179], v[180:181]
	v_fma_f64 v[10:11], v[176:177], v[8:9], -v[10:11]
	v_mul_f64 v[176:177], v[176:177], v[180:181]
	v_fmac_f64_e32 v[176:177], v[178:179], v[8:9]
	v_add_f64 v[2:3], v[2:3], -v[176:177]
	ds_read2_b64 v[176:179], v192 offset0:72 offset1:73
	v_add_f64 v[0:1], v[0:1], -v[10:11]
	s_waitcnt lgkmcnt(0)
	v_mul_f64 v[10:11], v[178:179], v[180:181]
	v_fma_f64 v[10:11], v[176:177], v[8:9], -v[10:11]
	v_mul_f64 v[176:177], v[176:177], v[180:181]
	v_fmac_f64_e32 v[176:177], v[178:179], v[8:9]
	s_waitcnt vmcnt(29)
	v_add_f64 v[144:145], v[144:145], -v[10:11]
	v_add_f64 v[146:147], v[146:147], -v[176:177]
	v_mov_b64_e32 v[10:11], v[180:181]
.LBB73_307:
	s_or_b64 exec, exec, s[2:3]
	v_cmp_eq_u32_e32 vcc, 34, v190
	s_waitcnt lgkmcnt(0)
	s_barrier
	s_and_saveexec_b64 s[4:5], vcc
	s_cbranch_execz .LBB73_314
; %bb.308:
	s_waitcnt vmcnt(31)
	ds_write2_b64 v191, v[4:5], v[6:7] offset1:1
	ds_write2_b64 v192, v[0:1], v[2:3] offset0:70 offset1:71
	s_waitcnt vmcnt(29)
	ds_write2_b64 v192, v[144:145], v[146:147] offset0:72 offset1:73
	ds_read2_b64 v[176:179], v191 offset1:1
	s_waitcnt lgkmcnt(0)
	v_cmp_neq_f64_e32 vcc, 0, v[176:177]
	v_cmp_neq_f64_e64 s[2:3], 0, v[178:179]
	s_or_b64 s[2:3], vcc, s[2:3]
	s_and_b64 exec, exec, s[2:3]
	s_cbranch_execz .LBB73_314
; %bb.309:
	v_cmp_ngt_f64_e64 s[2:3], |v[176:177]|, |v[178:179]|
                                        ; implicit-def: $vgpr180_vgpr181
	s_and_saveexec_b64 s[10:11], s[2:3]
	s_xor_b64 s[2:3], exec, s[10:11]
                                        ; implicit-def: $vgpr182_vgpr183
	s_cbranch_execz .LBB73_311
; %bb.310:
	v_div_scale_f64 v[180:181], s[10:11], v[178:179], v[178:179], v[176:177]
	v_rcp_f64_e32 v[182:183], v[180:181]
	v_div_scale_f64 v[184:185], vcc, v[176:177], v[178:179], v[176:177]
	v_fma_f64 v[186:187], -v[180:181], v[182:183], 1.0
	v_fmac_f64_e32 v[182:183], v[182:183], v[186:187]
	v_fma_f64 v[186:187], -v[180:181], v[182:183], 1.0
	v_fmac_f64_e32 v[182:183], v[182:183], v[186:187]
	v_mul_f64 v[186:187], v[184:185], v[182:183]
	v_fma_f64 v[180:181], -v[180:181], v[186:187], v[184:185]
	v_div_fmas_f64 v[180:181], v[180:181], v[182:183], v[186:187]
	v_div_fixup_f64 v[180:181], v[180:181], v[178:179], v[176:177]
	v_fmac_f64_e32 v[178:179], v[176:177], v[180:181]
	v_div_scale_f64 v[176:177], s[10:11], v[178:179], v[178:179], 1.0
	v_rcp_f64_e32 v[182:183], v[176:177]
	s_nop 0
	v_fma_f64 v[184:185], -v[176:177], v[182:183], 1.0
	v_fmac_f64_e32 v[182:183], v[182:183], v[184:185]
	v_fma_f64 v[184:185], -v[176:177], v[182:183], 1.0
	v_fmac_f64_e32 v[182:183], v[182:183], v[184:185]
	v_div_scale_f64 v[184:185], vcc, 1.0, v[178:179], 1.0
	v_mul_f64 v[186:187], v[184:185], v[182:183]
	v_fma_f64 v[176:177], -v[176:177], v[186:187], v[184:185]
	s_nop 1
	v_div_fmas_f64 v[176:177], v[176:177], v[182:183], v[186:187]
	v_div_fixup_f64 v[182:183], v[176:177], v[178:179], 1.0
	v_mul_f64 v[180:181], v[180:181], v[182:183]
	v_xor_b32_e32 v183, 0x80000000, v183
                                        ; implicit-def: $vgpr176_vgpr177
.LBB73_311:
	s_andn2_saveexec_b64 s[2:3], s[2:3]
	s_cbranch_execz .LBB73_313
; %bb.312:
	v_div_scale_f64 v[180:181], s[10:11], v[176:177], v[176:177], v[178:179]
	v_rcp_f64_e32 v[182:183], v[180:181]
	v_div_scale_f64 v[184:185], vcc, v[178:179], v[176:177], v[178:179]
	v_fma_f64 v[186:187], -v[180:181], v[182:183], 1.0
	v_fmac_f64_e32 v[182:183], v[182:183], v[186:187]
	v_fma_f64 v[186:187], -v[180:181], v[182:183], 1.0
	v_fmac_f64_e32 v[182:183], v[182:183], v[186:187]
	v_mul_f64 v[186:187], v[184:185], v[182:183]
	v_fma_f64 v[180:181], -v[180:181], v[186:187], v[184:185]
	v_div_fmas_f64 v[180:181], v[180:181], v[182:183], v[186:187]
	v_div_fixup_f64 v[182:183], v[180:181], v[176:177], v[178:179]
	v_fmac_f64_e32 v[176:177], v[178:179], v[182:183]
	v_div_scale_f64 v[178:179], s[10:11], v[176:177], v[176:177], 1.0
	v_rcp_f64_e32 v[180:181], v[178:179]
	s_nop 0
	v_fma_f64 v[184:185], -v[178:179], v[180:181], 1.0
	v_fmac_f64_e32 v[180:181], v[180:181], v[184:185]
	v_fma_f64 v[184:185], -v[178:179], v[180:181], 1.0
	v_fmac_f64_e32 v[180:181], v[180:181], v[184:185]
	v_div_scale_f64 v[184:185], vcc, 1.0, v[176:177], 1.0
	v_mul_f64 v[186:187], v[184:185], v[180:181]
	v_fma_f64 v[178:179], -v[178:179], v[186:187], v[184:185]
	s_nop 1
	v_div_fmas_f64 v[178:179], v[178:179], v[180:181], v[186:187]
	v_div_fixup_f64 v[180:181], v[178:179], v[176:177], 1.0
	v_mul_f64 v[182:183], v[182:183], -v[180:181]
.LBB73_313:
	s_or_b64 exec, exec, s[2:3]
	ds_write2_b64 v191, v[180:181], v[182:183] offset1:1
.LBB73_314:
	s_or_b64 exec, exec, s[4:5]
	s_waitcnt lgkmcnt(0)
	s_barrier
	ds_read2_b64 v[176:179], v191 offset1:1
	v_cmp_lt_u32_e32 vcc, 34, v190
	s_and_saveexec_b64 s[2:3], vcc
	s_cbranch_execz .LBB73_316
; %bb.315:
	ds_read2_b64 v[180:183], v192 offset0:70 offset1:71
	s_waitcnt vmcnt(31) lgkmcnt(1)
	v_mul_f64 v[184:185], v[176:177], v[6:7]
	v_fmac_f64_e32 v[184:185], v[178:179], v[4:5]
	v_mul_f64 v[6:7], v[178:179], v[6:7]
	v_fma_f64 v[4:5], v[176:177], v[4:5], -v[6:7]
	s_waitcnt lgkmcnt(0)
	v_mul_f64 v[6:7], v[182:183], v[184:185]
	v_fma_f64 v[6:7], v[180:181], v[4:5], -v[6:7]
	v_mul_f64 v[180:181], v[180:181], v[184:185]
	v_fmac_f64_e32 v[180:181], v[182:183], v[4:5]
	v_add_f64 v[2:3], v[2:3], -v[180:181]
	ds_read2_b64 v[180:183], v192 offset0:72 offset1:73
	v_add_f64 v[0:1], v[0:1], -v[6:7]
	s_waitcnt lgkmcnt(0)
	v_mul_f64 v[6:7], v[182:183], v[184:185]
	v_fma_f64 v[6:7], v[180:181], v[4:5], -v[6:7]
	v_mul_f64 v[180:181], v[180:181], v[184:185]
	v_fmac_f64_e32 v[180:181], v[182:183], v[4:5]
	s_waitcnt vmcnt(29)
	v_add_f64 v[144:145], v[144:145], -v[6:7]
	v_add_f64 v[146:147], v[146:147], -v[180:181]
	v_mov_b64_e32 v[6:7], v[184:185]
.LBB73_316:
	s_or_b64 exec, exec, s[2:3]
	v_cmp_eq_u32_e32 vcc, 35, v190
	s_waitcnt lgkmcnt(0)
	s_barrier
	s_and_saveexec_b64 s[4:5], vcc
	s_cbranch_execz .LBB73_323
; %bb.317:
	s_waitcnt vmcnt(37)
	ds_write2_b64 v191, v[0:1], v[2:3] offset1:1
	s_waitcnt vmcnt(29)
	ds_write2_b64 v192, v[144:145], v[146:147] offset0:72 offset1:73
	ds_read2_b64 v[180:183], v191 offset1:1
	s_waitcnt lgkmcnt(0)
	v_cmp_neq_f64_e32 vcc, 0, v[180:181]
	v_cmp_neq_f64_e64 s[2:3], 0, v[182:183]
	s_or_b64 s[2:3], vcc, s[2:3]
	s_and_b64 exec, exec, s[2:3]
	s_cbranch_execz .LBB73_323
; %bb.318:
	v_cmp_ngt_f64_e64 s[2:3], |v[180:181]|, |v[182:183]|
                                        ; implicit-def: $vgpr184_vgpr185
	s_and_saveexec_b64 s[10:11], s[2:3]
	s_xor_b64 s[2:3], exec, s[10:11]
                                        ; implicit-def: $vgpr186_vgpr187
	s_cbranch_execz .LBB73_320
; %bb.319:
	v_div_scale_f64 v[184:185], s[10:11], v[182:183], v[182:183], v[180:181]
	v_rcp_f64_e32 v[186:187], v[184:185]
	v_mov_b64_e32 v[148:149], v[196:197]
	v_mov_b64_e32 v[188:189], v[194:195]
	v_div_scale_f64 v[194:195], vcc, v[180:181], v[182:183], v[180:181]
	v_fma_f64 v[196:197], -v[184:185], v[186:187], 1.0
	v_fmac_f64_e32 v[186:187], v[186:187], v[196:197]
	v_fma_f64 v[196:197], -v[184:185], v[186:187], 1.0
	v_fmac_f64_e32 v[186:187], v[186:187], v[196:197]
	v_mul_f64 v[196:197], v[194:195], v[186:187]
	v_fma_f64 v[184:185], -v[184:185], v[196:197], v[194:195]
	v_div_fmas_f64 v[184:185], v[184:185], v[186:187], v[196:197]
	v_div_fixup_f64 v[184:185], v[184:185], v[182:183], v[180:181]
	v_fmac_f64_e32 v[182:183], v[180:181], v[184:185]
	v_div_scale_f64 v[180:181], s[10:11], v[182:183], v[182:183], 1.0
	v_rcp_f64_e32 v[186:187], v[180:181]
	s_nop 0
	v_fma_f64 v[194:195], -v[180:181], v[186:187], 1.0
	v_fmac_f64_e32 v[186:187], v[186:187], v[194:195]
	v_fma_f64 v[194:195], -v[180:181], v[186:187], 1.0
	v_fmac_f64_e32 v[186:187], v[186:187], v[194:195]
	v_div_scale_f64 v[194:195], vcc, 1.0, v[182:183], 1.0
	v_mul_f64 v[196:197], v[194:195], v[186:187]
	v_fma_f64 v[180:181], -v[180:181], v[196:197], v[194:195]
	v_mov_b64_e32 v[194:195], v[188:189]
	s_nop 0
	v_div_fmas_f64 v[180:181], v[180:181], v[186:187], v[196:197]
	v_div_fixup_f64 v[186:187], v[180:181], v[182:183], 1.0
	v_mov_b64_e32 v[196:197], v[148:149]
	v_mul_f64 v[184:185], v[184:185], v[186:187]
	v_xor_b32_e32 v187, 0x80000000, v187
                                        ; implicit-def: $vgpr180_vgpr181
.LBB73_320:
	s_andn2_saveexec_b64 s[2:3], s[2:3]
	s_cbranch_execz .LBB73_322
; %bb.321:
	v_div_scale_f64 v[184:185], s[10:11], v[180:181], v[180:181], v[182:183]
	v_rcp_f64_e32 v[186:187], v[184:185]
	v_mov_b64_e32 v[148:149], v[196:197]
	v_mov_b64_e32 v[188:189], v[194:195]
	v_div_scale_f64 v[194:195], vcc, v[182:183], v[180:181], v[182:183]
	v_fma_f64 v[196:197], -v[184:185], v[186:187], 1.0
	v_fmac_f64_e32 v[186:187], v[186:187], v[196:197]
	v_fma_f64 v[196:197], -v[184:185], v[186:187], 1.0
	v_fmac_f64_e32 v[186:187], v[186:187], v[196:197]
	v_mul_f64 v[196:197], v[194:195], v[186:187]
	v_fma_f64 v[184:185], -v[184:185], v[196:197], v[194:195]
	v_div_fmas_f64 v[184:185], v[184:185], v[186:187], v[196:197]
	v_div_fixup_f64 v[186:187], v[184:185], v[180:181], v[182:183]
	v_fmac_f64_e32 v[180:181], v[182:183], v[186:187]
	v_div_scale_f64 v[182:183], s[10:11], v[180:181], v[180:181], 1.0
	v_rcp_f64_e32 v[184:185], v[182:183]
	s_nop 0
	v_fma_f64 v[194:195], -v[182:183], v[184:185], 1.0
	v_fmac_f64_e32 v[184:185], v[184:185], v[194:195]
	v_fma_f64 v[194:195], -v[182:183], v[184:185], 1.0
	v_fmac_f64_e32 v[184:185], v[184:185], v[194:195]
	v_div_scale_f64 v[194:195], vcc, 1.0, v[180:181], 1.0
	v_mul_f64 v[196:197], v[194:195], v[184:185]
	v_fma_f64 v[182:183], -v[182:183], v[196:197], v[194:195]
	v_mov_b64_e32 v[194:195], v[188:189]
	s_nop 0
	v_div_fmas_f64 v[182:183], v[182:183], v[184:185], v[196:197]
	v_div_fixup_f64 v[184:185], v[182:183], v[180:181], 1.0
	v_mov_b64_e32 v[196:197], v[148:149]
	v_mul_f64 v[186:187], v[186:187], -v[184:185]
.LBB73_322:
	s_or_b64 exec, exec, s[2:3]
	ds_write2_b64 v191, v[184:185], v[186:187] offset1:1
.LBB73_323:
	s_or_b64 exec, exec, s[4:5]
	s_waitcnt lgkmcnt(0)
	s_barrier
	ds_read2_b64 v[180:183], v191 offset1:1
	v_cmp_lt_u32_e32 vcc, 35, v190
	s_and_saveexec_b64 s[2:3], vcc
	s_cbranch_execz .LBB73_325
; %bb.324:
	ds_read2_b64 v[184:187], v192 offset0:72 offset1:73
	s_waitcnt vmcnt(37) lgkmcnt(1)
	v_mul_f64 v[192:193], v[180:181], v[2:3]
	v_mul_f64 v[2:3], v[182:183], v[2:3]
	v_fmac_f64_e32 v[192:193], v[182:183], v[0:1]
	v_fma_f64 v[0:1], v[180:181], v[0:1], -v[2:3]
	s_waitcnt lgkmcnt(0)
	v_mul_f64 v[2:3], v[186:187], v[192:193]
	v_fma_f64 v[2:3], v[184:185], v[0:1], -v[2:3]
	v_mul_f64 v[184:185], v[184:185], v[192:193]
	v_fmac_f64_e32 v[184:185], v[186:187], v[0:1]
	s_waitcnt vmcnt(29)
	v_add_f64 v[144:145], v[144:145], -v[2:3]
	v_add_f64 v[146:147], v[146:147], -v[184:185]
	v_mov_b64_e32 v[2:3], v[192:193]
.LBB73_325:
	s_or_b64 exec, exec, s[2:3]
	v_cmp_eq_u32_e32 vcc, 36, v190
	s_waitcnt lgkmcnt(0)
	s_barrier
	s_and_saveexec_b64 s[4:5], vcc
	s_cbranch_execz .LBB73_332
; %bb.326:
	s_waitcnt vmcnt(29)
	v_cmp_neq_f64_e32 vcc, 0, v[144:145]
	v_cmp_neq_f64_e64 s[2:3], 0, v[146:147]
	s_or_b64 s[2:3], vcc, s[2:3]
	ds_write2_b64 v191, v[144:145], v[146:147] offset1:1
	s_and_b64 exec, exec, s[2:3]
	s_cbranch_execz .LBB73_332
; %bb.327:
	v_cmp_ngt_f64_e64 s[2:3], |v[144:145]|, |v[146:147]|
                                        ; implicit-def: $vgpr184_vgpr185
	s_and_saveexec_b64 s[10:11], s[2:3]
	s_xor_b64 s[2:3], exec, s[10:11]
                                        ; implicit-def: $vgpr186_vgpr187
	s_cbranch_execz .LBB73_329
; %bb.328:
	v_div_scale_f64 v[184:185], s[10:11], v[146:147], v[146:147], v[144:145]
	v_rcp_f64_e32 v[186:187], v[184:185]
	v_mov_b64_e32 v[148:149], v[254:255]
	v_mov_b64_e32 v[254:255], v[252:253]
	v_mov_b64_e32 v[252:253], v[250:251]
	v_mov_b64_e32 v[250:251], v[248:249]
	v_mov_b64_e32 v[248:249], v[246:247]
	v_mov_b64_e32 v[246:247], v[244:245]
	v_mov_b64_e32 v[244:245], v[242:243]
	v_mov_b64_e32 v[242:243], v[240:241]
	v_mov_b64_e32 v[240:241], v[238:239]
	v_mov_b64_e32 v[238:239], v[236:237]
	v_mov_b64_e32 v[236:237], v[234:235]
	v_mov_b64_e32 v[234:235], v[232:233]
	v_mov_b64_e32 v[232:233], v[230:231]
	v_mov_b64_e32 v[230:231], v[228:229]
	v_mov_b64_e32 v[228:229], v[226:227]
	v_mov_b64_e32 v[226:227], v[224:225]
	v_mov_b64_e32 v[224:225], v[222:223]
	v_mov_b64_e32 v[222:223], v[220:221]
	v_mov_b64_e32 v[220:221], v[218:219]
	v_mov_b64_e32 v[218:219], v[216:217]
	v_mov_b64_e32 v[216:217], v[214:215]
	v_mov_b64_e32 v[214:215], v[212:213]
	v_mov_b64_e32 v[212:213], v[210:211]
	v_mov_b64_e32 v[210:211], v[208:209]
	v_mov_b64_e32 v[208:209], v[194:195]
	v_fma_f64 v[194:195], -v[184:185], v[186:187], 1.0
	v_fmac_f64_e32 v[186:187], v[186:187], v[194:195]
	v_fma_f64 v[194:195], -v[184:185], v[186:187], 1.0
	v_div_scale_f64 v[192:193], vcc, v[144:145], v[146:147], v[144:145]
	v_fmac_f64_e32 v[186:187], v[186:187], v[194:195]
	v_mul_f64 v[194:195], v[192:193], v[186:187]
	v_fma_f64 v[184:185], -v[184:185], v[194:195], v[192:193]
	s_nop 0
	v_div_fmas_f64 v[184:185], v[184:185], v[186:187], v[194:195]
	v_div_fixup_f64 v[184:185], v[184:185], v[146:147], v[144:145]
	v_fma_f64 v[186:187], v[144:145], v[184:185], v[146:147]
	v_div_scale_f64 v[192:193], s[10:11], v[186:187], v[186:187], 1.0
	v_rcp_f64_e32 v[194:195], v[192:193]
	v_mov_b64_e32 v[150:151], v[196:197]
	v_mov_b64_e32 v[188:189], v[206:207]
	;; [unrolled: 1-line block ×3, first 2 shown]
	v_fma_f64 v[196:197], -v[192:193], v[194:195], 1.0
	v_fmac_f64_e32 v[194:195], v[194:195], v[196:197]
	v_fma_f64 v[196:197], -v[192:193], v[194:195], 1.0
	v_fmac_f64_e32 v[194:195], v[194:195], v[196:197]
	v_div_scale_f64 v[196:197], vcc, 1.0, v[186:187], 1.0
	v_mov_b64_e32 v[204:205], v[202:203]
	v_mov_b64_e32 v[202:203], v[200:201]
	;; [unrolled: 1-line block ×3, first 2 shown]
	v_mul_f64 v[198:199], v[196:197], v[194:195]
	v_fma_f64 v[192:193], -v[192:193], v[198:199], v[196:197]
	v_div_fmas_f64 v[192:193], v[192:193], v[194:195], v[198:199]
	v_div_fixup_f64 v[186:187], v[192:193], v[186:187], 1.0
	v_mov_b64_e32 v[196:197], v[150:151]
	v_mov_b64_e32 v[194:195], v[208:209]
	;; [unrolled: 1-line block ×31, first 2 shown]
	v_mul_f64 v[184:185], v[184:185], v[186:187]
	v_xor_b32_e32 v187, 0x80000000, v187
.LBB73_329:
	s_andn2_saveexec_b64 s[2:3], s[2:3]
	s_cbranch_execz .LBB73_331
; %bb.330:
	v_div_scale_f64 v[184:185], s[10:11], v[144:145], v[144:145], v[146:147]
	v_rcp_f64_e32 v[186:187], v[184:185]
	v_mov_b64_e32 v[148:149], v[254:255]
	v_mov_b64_e32 v[254:255], v[252:253]
	;; [unrolled: 1-line block ×25, first 2 shown]
	v_fma_f64 v[194:195], -v[184:185], v[186:187], 1.0
	v_fmac_f64_e32 v[186:187], v[186:187], v[194:195]
	v_fma_f64 v[194:195], -v[184:185], v[186:187], 1.0
	v_div_scale_f64 v[192:193], vcc, v[146:147], v[144:145], v[146:147]
	v_fmac_f64_e32 v[186:187], v[186:187], v[194:195]
	v_mul_f64 v[194:195], v[192:193], v[186:187]
	v_fma_f64 v[184:185], -v[184:185], v[194:195], v[192:193]
	s_nop 0
	v_div_fmas_f64 v[184:185], v[184:185], v[186:187], v[194:195]
	v_div_fixup_f64 v[186:187], v[184:185], v[144:145], v[146:147]
	v_fma_f64 v[184:185], v[146:147], v[186:187], v[144:145]
	v_div_scale_f64 v[192:193], s[10:11], v[184:185], v[184:185], 1.0
	v_rcp_f64_e32 v[194:195], v[192:193]
	v_mov_b64_e32 v[150:151], v[196:197]
	v_mov_b64_e32 v[188:189], v[206:207]
	;; [unrolled: 1-line block ×3, first 2 shown]
	v_fma_f64 v[196:197], -v[192:193], v[194:195], 1.0
	v_fmac_f64_e32 v[194:195], v[194:195], v[196:197]
	v_fma_f64 v[196:197], -v[192:193], v[194:195], 1.0
	v_fmac_f64_e32 v[194:195], v[194:195], v[196:197]
	v_div_scale_f64 v[196:197], vcc, 1.0, v[184:185], 1.0
	v_mov_b64_e32 v[204:205], v[202:203]
	v_mov_b64_e32 v[202:203], v[200:201]
	v_mov_b64_e32 v[200:201], v[198:199]
	v_mul_f64 v[198:199], v[196:197], v[194:195]
	v_fma_f64 v[192:193], -v[192:193], v[198:199], v[196:197]
	v_div_fmas_f64 v[192:193], v[192:193], v[194:195], v[198:199]
	v_div_fixup_f64 v[184:185], v[192:193], v[184:185], 1.0
	v_mov_b64_e32 v[196:197], v[150:151]
	v_mov_b64_e32 v[194:195], v[208:209]
	v_mov_b64_e32 v[208:209], v[210:211]
	v_mov_b64_e32 v[210:211], v[212:213]
	v_mov_b64_e32 v[212:213], v[214:215]
	v_mov_b64_e32 v[214:215], v[216:217]
	v_mov_b64_e32 v[216:217], v[218:219]
	v_mov_b64_e32 v[218:219], v[220:221]
	v_mov_b64_e32 v[220:221], v[222:223]
	v_mov_b64_e32 v[222:223], v[224:225]
	v_mov_b64_e32 v[224:225], v[226:227]
	v_mov_b64_e32 v[226:227], v[228:229]
	v_mov_b64_e32 v[228:229], v[230:231]
	v_mov_b64_e32 v[230:231], v[232:233]
	v_mov_b64_e32 v[232:233], v[234:235]
	v_mov_b64_e32 v[234:235], v[236:237]
	v_mov_b64_e32 v[236:237], v[238:239]
	v_mov_b64_e32 v[238:239], v[240:241]
	v_mov_b64_e32 v[240:241], v[242:243]
	v_mov_b64_e32 v[242:243], v[244:245]
	v_mov_b64_e32 v[244:245], v[246:247]
	v_mov_b64_e32 v[246:247], v[248:249]
	v_mov_b64_e32 v[248:249], v[250:251]
	v_mov_b64_e32 v[250:251], v[252:253]
	v_mov_b64_e32 v[252:253], v[254:255]
	v_mov_b64_e32 v[254:255], v[148:149]
	v_mov_b64_e32 v[198:199], v[200:201]
	v_mov_b64_e32 v[200:201], v[202:203]
	v_mov_b64_e32 v[202:203], v[204:205]
	v_mov_b64_e32 v[204:205], v[206:207]
	v_mov_b64_e32 v[206:207], v[188:189]
	v_mul_f64 v[186:187], v[186:187], -v[184:185]
.LBB73_331:
	s_or_b64 exec, exec, s[2:3]
	ds_write2_b64 v191, v[184:185], v[186:187] offset1:1
.LBB73_332:
	s_or_b64 exec, exec, s[4:5]
	s_waitcnt lgkmcnt(0)
	s_barrier
	ds_read2_b64 v[184:187], v191 offset1:1
	s_waitcnt lgkmcnt(0)
	s_barrier
	s_and_saveexec_b64 s[2:3], s[0:1]
	s_cbranch_execz .LBB73_335
; %bb.333:
	scratch_load_dwordx4 v[148:151], off, off offset:56 ; 16-byte Folded Reload
	v_mov_b32_e32 v192, s6
	v_mov_b32_e32 v193, s7
	v_lshl_add_u64 v[188:189], v[218:219], 2, v[192:193]
	global_load_dword v192, v[188:189], off
	s_waitcnt vmcnt(1)
	v_cmp_eq_f64_e32 vcc, 0, v[148:149]
	v_cmp_eq_f64_e64 s[0:1], 0, v[150:151]
	scratch_load_dwordx4 v[148:151], off, off offset:72 ; 16-byte Folded Reload
	s_and_b64 s[4:5], vcc, s[0:1]
	v_cndmask_b32_e64 v191, 0, 1, s[4:5]
	s_waitcnt vmcnt(0)
	v_cmp_neq_f64_e32 vcc, 0, v[148:149]
	v_cmp_neq_f64_e64 s[0:1], 0, v[150:151]
	scratch_load_dwordx4 v[148:151], off, off offset:88 ; 16-byte Folded Reload
	s_or_b64 s[0:1], vcc, s[0:1]
	s_or_b64 vcc, s[0:1], s[4:5]
	v_cndmask_b32_e32 v191, 2, v191, vcc
	s_waitcnt vmcnt(0)
	v_cmp_eq_f64_e32 vcc, 0, v[148:149]
	v_cmp_eq_f64_e64 s[0:1], 0, v[150:151]
	scratch_load_dwordx4 v[148:151], off, off offset:104 ; 16-byte Folded Reload
	s_and_b64 s[0:1], vcc, s[0:1]
	v_cmp_eq_u32_e32 vcc, 0, v191
	s_and_b64 s[0:1], s[0:1], vcc
	v_cndmask_b32_e64 v191, v191, 3, s[0:1]
	s_waitcnt vmcnt(0)
	v_cmp_eq_f64_e32 vcc, 0, v[148:149]
	v_cmp_eq_f64_e64 s[0:1], 0, v[150:151]
	scratch_load_dwordx4 v[148:151], off, off offset:120 ; 16-byte Folded Reload
	s_and_b64 s[0:1], vcc, s[0:1]
	v_cmp_eq_u32_e32 vcc, 0, v191
	s_and_b64 s[0:1], s[0:1], vcc
	v_cndmask_b32_e64 v191, v191, 4, s[0:1]
	;; [unrolled: 8-line block ×25, first 2 shown]
	s_waitcnt vmcnt(0)
	v_cmp_eq_f64_e32 vcc, 0, v[148:149]
	v_cmp_eq_f64_e64 s[0:1], 0, v[150:151]
	s_and_b64 s[0:1], vcc, s[0:1]
	v_cmp_eq_u32_e32 vcc, 0, v191
	s_and_b64 s[0:1], s[0:1], vcc
	v_cndmask_b32_e64 v148, v191, 28, s[0:1]
	v_cmp_eq_f64_e32 vcc, 0, v[152:153]
	v_cmp_eq_f64_e64 s[0:1], 0, v[154:155]
	s_and_b64 s[0:1], vcc, s[0:1]
	v_cmp_eq_u32_e32 vcc, 0, v148
	s_and_b64 s[0:1], s[0:1], vcc
	v_cndmask_b32_e64 v148, v148, 29, s[0:1]
	v_cmp_eq_f64_e32 vcc, 0, v[156:157]
	v_cmp_eq_f64_e64 s[0:1], 0, v[158:159]
	s_and_b64 s[0:1], vcc, s[0:1]
	v_cmp_eq_u32_e32 vcc, 0, v148
	s_and_b64 s[0:1], s[0:1], vcc
	v_cndmask_b32_e64 v148, v148, 30, s[0:1]
	v_cmp_eq_f64_e32 vcc, 0, v[160:161]
	v_cmp_eq_f64_e64 s[0:1], 0, v[162:163]
	s_and_b64 s[0:1], vcc, s[0:1]
	v_cmp_eq_u32_e32 vcc, 0, v148
	s_and_b64 s[0:1], s[0:1], vcc
	v_cndmask_b32_e64 v148, v148, 31, s[0:1]
	v_cmp_eq_f64_e32 vcc, 0, v[164:165]
	v_cmp_eq_f64_e64 s[0:1], 0, v[166:167]
	s_and_b64 s[0:1], vcc, s[0:1]
	v_cmp_eq_u32_e32 vcc, 0, v148
	s_and_b64 s[0:1], s[0:1], vcc
	v_cndmask_b32_e64 v148, v148, 32, s[0:1]
	v_cmp_eq_f64_e32 vcc, 0, v[168:169]
	v_cmp_eq_f64_e64 s[0:1], 0, v[170:171]
	s_and_b64 s[0:1], vcc, s[0:1]
	v_cmp_eq_u32_e32 vcc, 0, v148
	s_and_b64 s[0:1], s[0:1], vcc
	v_cndmask_b32_e64 v148, v148, 33, s[0:1]
	v_cmp_eq_f64_e32 vcc, 0, v[172:173]
	v_cmp_eq_f64_e64 s[0:1], 0, v[174:175]
	s_and_b64 s[0:1], vcc, s[0:1]
	v_cmp_eq_u32_e32 vcc, 0, v148
	s_and_b64 s[0:1], s[0:1], vcc
	v_cndmask_b32_e64 v148, v148, 34, s[0:1]
	v_cmp_eq_f64_e32 vcc, 0, v[176:177]
	v_cmp_eq_f64_e64 s[0:1], 0, v[178:179]
	s_and_b64 s[0:1], vcc, s[0:1]
	v_cmp_eq_u32_e32 vcc, 0, v148
	s_and_b64 s[0:1], s[0:1], vcc
	v_cndmask_b32_e64 v148, v148, 35, s[0:1]
	v_cmp_eq_f64_e32 vcc, 0, v[180:181]
	v_cmp_eq_f64_e64 s[0:1], 0, v[182:183]
	s_and_b64 s[0:1], vcc, s[0:1]
	v_cmp_eq_u32_e32 vcc, 0, v148
	s_and_b64 s[0:1], s[0:1], vcc
	v_cndmask_b32_e64 v148, v148, 36, s[0:1]
	v_cmp_eq_f64_e32 vcc, 0, v[184:185]
	v_cmp_eq_f64_e64 s[0:1], 0, v[186:187]
	s_and_b64 s[0:1], vcc, s[0:1]
	v_cmp_eq_u32_e32 vcc, 0, v148
	s_and_b64 s[0:1], s[0:1], vcc
	v_cndmask_b32_e64 v148, v148, 37, s[0:1]
	v_cmp_eq_u32_e32 vcc, 0, v192
	v_cmp_ne_u32_e64 s[0:1], 0, v148
	s_and_b64 s[0:1], vcc, s[0:1]
	s_and_b64 exec, exec, s[0:1]
	s_cbranch_execz .LBB73_335
; %bb.334:
	v_add_u32_e32 v148, s9, v148
	global_store_dword v[188:189], v148, off
.LBB73_335:
	s_or_b64 exec, exec, s[2:3]
	global_store_dwordx4 v[198:199], v[140:143], off
	scratch_load_dwordx2 v[140:141], off, off offset:48 ; 8-byte Folded Reload
	s_waitcnt vmcnt(31)
	v_mul_f64 v[148:149], v[186:187], v[146:147]
	v_mul_f64 v[150:151], v[184:185], v[146:147]
	v_fma_f64 v[148:149], v[184:185], v[144:145], -v[148:149]
	v_fmac_f64_e32 v[150:151], v[186:187], v[144:145]
	v_cmp_lt_u32_e32 vcc, 36, v190
	s_waitcnt vmcnt(0)
	global_store_dwordx4 v[140:141], v[136:139], off
	global_store_dwordx4 v[202:203], v[132:135], off
	;; [unrolled: 1-line block ×30, first 2 shown]
	scratch_load_dwordx2 v[20:21], off, off ; 8-byte Folded Reload
	v_cndmask_b32_e32 v147, v147, v151, vcc
	v_cndmask_b32_e32 v146, v146, v150, vcc
	;; [unrolled: 1-line block ×4, first 2 shown]
	s_waitcnt vmcnt(0)
	global_store_dwordx4 v[20:21], v[16:19], off
	scratch_load_dwordx2 v[16:17], off, off offset:8 ; 8-byte Folded Reload
	s_waitcnt vmcnt(0)
	global_store_dwordx4 v[16:17], v[12:15], off
	scratch_load_dwordx2 v[12:13], off, off offset:16 ; 8-byte Folded Reload
	;; [unrolled: 3-line block ×5, first 2 shown]
	s_waitcnt vmcnt(0)
	global_store_dwordx4 v[0:1], v[144:147], off
.LBB73_336:
	s_endpgm
	.section	.rodata,"a",@progbits
	.p2align	6, 0x0
	.amdhsa_kernel _ZN9rocsolver6v33100L23getf2_npvt_small_kernelILi37E19rocblas_complex_numIdEiiPS3_EEvT1_T3_lS5_lPT2_S5_S5_
		.amdhsa_group_segment_fixed_size 0
		.amdhsa_private_segment_fixed_size 508
		.amdhsa_kernarg_size 312
		.amdhsa_user_sgpr_count 2
		.amdhsa_user_sgpr_dispatch_ptr 0
		.amdhsa_user_sgpr_queue_ptr 0
		.amdhsa_user_sgpr_kernarg_segment_ptr 1
		.amdhsa_user_sgpr_dispatch_id 0
		.amdhsa_user_sgpr_kernarg_preload_length 0
		.amdhsa_user_sgpr_kernarg_preload_offset 0
		.amdhsa_user_sgpr_private_segment_size 0
		.amdhsa_uses_dynamic_stack 0
		.amdhsa_enable_private_segment 1
		.amdhsa_system_sgpr_workgroup_id_x 1
		.amdhsa_system_sgpr_workgroup_id_y 1
		.amdhsa_system_sgpr_workgroup_id_z 0
		.amdhsa_system_sgpr_workgroup_info 0
		.amdhsa_system_vgpr_workitem_id 1
		.amdhsa_next_free_vgpr 256
		.amdhsa_next_free_sgpr 16
		.amdhsa_accum_offset 256
		.amdhsa_reserve_vcc 1
		.amdhsa_float_round_mode_32 0
		.amdhsa_float_round_mode_16_64 0
		.amdhsa_float_denorm_mode_32 3
		.amdhsa_float_denorm_mode_16_64 3
		.amdhsa_dx10_clamp 1
		.amdhsa_ieee_mode 1
		.amdhsa_fp16_overflow 0
		.amdhsa_tg_split 0
		.amdhsa_exception_fp_ieee_invalid_op 0
		.amdhsa_exception_fp_denorm_src 0
		.amdhsa_exception_fp_ieee_div_zero 0
		.amdhsa_exception_fp_ieee_overflow 0
		.amdhsa_exception_fp_ieee_underflow 0
		.amdhsa_exception_fp_ieee_inexact 0
		.amdhsa_exception_int_div_zero 0
	.end_amdhsa_kernel
	.section	.text._ZN9rocsolver6v33100L23getf2_npvt_small_kernelILi37E19rocblas_complex_numIdEiiPS3_EEvT1_T3_lS5_lPT2_S5_S5_,"axG",@progbits,_ZN9rocsolver6v33100L23getf2_npvt_small_kernelILi37E19rocblas_complex_numIdEiiPS3_EEvT1_T3_lS5_lPT2_S5_S5_,comdat
.Lfunc_end73:
	.size	_ZN9rocsolver6v33100L23getf2_npvt_small_kernelILi37E19rocblas_complex_numIdEiiPS3_EEvT1_T3_lS5_lPT2_S5_S5_, .Lfunc_end73-_ZN9rocsolver6v33100L23getf2_npvt_small_kernelILi37E19rocblas_complex_numIdEiiPS3_EEvT1_T3_lS5_lPT2_S5_S5_
                                        ; -- End function
	.set _ZN9rocsolver6v33100L23getf2_npvt_small_kernelILi37E19rocblas_complex_numIdEiiPS3_EEvT1_T3_lS5_lPT2_S5_S5_.num_vgpr, 256
	.set _ZN9rocsolver6v33100L23getf2_npvt_small_kernelILi37E19rocblas_complex_numIdEiiPS3_EEvT1_T3_lS5_lPT2_S5_S5_.num_agpr, 0
	.set _ZN9rocsolver6v33100L23getf2_npvt_small_kernelILi37E19rocblas_complex_numIdEiiPS3_EEvT1_T3_lS5_lPT2_S5_S5_.numbered_sgpr, 16
	.set _ZN9rocsolver6v33100L23getf2_npvt_small_kernelILi37E19rocblas_complex_numIdEiiPS3_EEvT1_T3_lS5_lPT2_S5_S5_.num_named_barrier, 0
	.set _ZN9rocsolver6v33100L23getf2_npvt_small_kernelILi37E19rocblas_complex_numIdEiiPS3_EEvT1_T3_lS5_lPT2_S5_S5_.private_seg_size, 508
	.set _ZN9rocsolver6v33100L23getf2_npvt_small_kernelILi37E19rocblas_complex_numIdEiiPS3_EEvT1_T3_lS5_lPT2_S5_S5_.uses_vcc, 1
	.set _ZN9rocsolver6v33100L23getf2_npvt_small_kernelILi37E19rocblas_complex_numIdEiiPS3_EEvT1_T3_lS5_lPT2_S5_S5_.uses_flat_scratch, 0
	.set _ZN9rocsolver6v33100L23getf2_npvt_small_kernelILi37E19rocblas_complex_numIdEiiPS3_EEvT1_T3_lS5_lPT2_S5_S5_.has_dyn_sized_stack, 0
	.set _ZN9rocsolver6v33100L23getf2_npvt_small_kernelILi37E19rocblas_complex_numIdEiiPS3_EEvT1_T3_lS5_lPT2_S5_S5_.has_recursion, 0
	.set _ZN9rocsolver6v33100L23getf2_npvt_small_kernelILi37E19rocblas_complex_numIdEiiPS3_EEvT1_T3_lS5_lPT2_S5_S5_.has_indirect_call, 0
	.section	.AMDGPU.csdata,"",@progbits
; Kernel info:
; codeLenInByte = 69036
; TotalNumSgprs: 22
; NumVgprs: 256
; NumAgprs: 0
; TotalNumVgprs: 256
; ScratchSize: 508
; MemoryBound: 1
; FloatMode: 240
; IeeeMode: 1
; LDSByteSize: 0 bytes/workgroup (compile time only)
; SGPRBlocks: 2
; VGPRBlocks: 31
; NumSGPRsForWavesPerEU: 22
; NumVGPRsForWavesPerEU: 256
; AccumOffset: 256
; Occupancy: 2
; WaveLimiterHint : 0
; COMPUTE_PGM_RSRC2:SCRATCH_EN: 1
; COMPUTE_PGM_RSRC2:USER_SGPR: 2
; COMPUTE_PGM_RSRC2:TRAP_HANDLER: 0
; COMPUTE_PGM_RSRC2:TGID_X_EN: 1
; COMPUTE_PGM_RSRC2:TGID_Y_EN: 1
; COMPUTE_PGM_RSRC2:TGID_Z_EN: 0
; COMPUTE_PGM_RSRC2:TIDIG_COMP_CNT: 1
; COMPUTE_PGM_RSRC3_GFX90A:ACCUM_OFFSET: 63
; COMPUTE_PGM_RSRC3_GFX90A:TG_SPLIT: 0
	.section	.text._ZN9rocsolver6v33100L18getf2_small_kernelILi38E19rocblas_complex_numIdEiiPS3_EEvT1_T3_lS5_lPS5_llPT2_S5_S5_S7_l,"axG",@progbits,_ZN9rocsolver6v33100L18getf2_small_kernelILi38E19rocblas_complex_numIdEiiPS3_EEvT1_T3_lS5_lPS5_llPT2_S5_S5_S7_l,comdat
	.globl	_ZN9rocsolver6v33100L18getf2_small_kernelILi38E19rocblas_complex_numIdEiiPS3_EEvT1_T3_lS5_lPS5_llPT2_S5_S5_S7_l ; -- Begin function _ZN9rocsolver6v33100L18getf2_small_kernelILi38E19rocblas_complex_numIdEiiPS3_EEvT1_T3_lS5_lPS5_llPT2_S5_S5_S7_l
	.p2align	8
	.type	_ZN9rocsolver6v33100L18getf2_small_kernelILi38E19rocblas_complex_numIdEiiPS3_EEvT1_T3_lS5_lPS5_llPT2_S5_S5_S7_l,@function
_ZN9rocsolver6v33100L18getf2_small_kernelILi38E19rocblas_complex_numIdEiiPS3_EEvT1_T3_lS5_lPS5_llPT2_S5_S5_S7_l: ; @_ZN9rocsolver6v33100L18getf2_small_kernelILi38E19rocblas_complex_numIdEiiPS3_EEvT1_T3_lS5_lPS5_llPT2_S5_S5_S7_l
; %bb.0:
	s_load_dword s2, s[0:1], 0x6c
	s_load_dwordx2 s[12:13], s[0:1], 0x48
	v_bfe_u32 v152, v0, 10, 10
	s_waitcnt lgkmcnt(0)
	s_lshr_b32 s2, s2, 16
	s_mul_i32 s3, s3, s2
	v_add_u32_e32 v158, s3, v152
	v_cmp_gt_i32_e32 vcc, s12, v158
	s_and_saveexec_b64 s[2:3], vcc
	s_cbranch_execz .LBB74_799
; %bb.1:
	s_load_dwordx4 s[4:7], s[0:1], 0x50
	v_ashrrev_i32_e32 v159, 31, v158
	v_mov_b64_e32 v[160:161], 0
	s_waitcnt lgkmcnt(0)
	s_cmp_eq_u64 s[4:5], 0
	s_cselect_b64 s[14:15], -1, 0
	s_and_b64 vcc, exec, s[14:15]
	s_cbranch_vccnz .LBB74_3
; %bb.2:
	v_mul_lo_u32 v1, s7, v158
	v_mul_lo_u32 v4, s6, v159
	v_mad_u64_u32 v[2:3], s[2:3], s6, v158, 0
	v_add3_u32 v3, v3, v4, v1
	v_lshl_add_u64 v[160:161], v[2:3], 2, s[4:5]
.LBB74_3:
	s_load_dwordx4 s[16:19], s[0:1], 0x8
	s_load_dwordx8 s[4:11], s[0:1], 0x20
	s_load_dword s2, s[0:1], 0x18
	s_load_dword s20, s[0:1], 0x0
	v_and_b32_e32 v167, 0x3ff, v0
	s_waitcnt lgkmcnt(0)
	v_mov_b32_e32 v2, s16
	v_mul_lo_u32 v1, s5, v158
	v_mul_lo_u32 v6, s4, v159
	v_mad_u64_u32 v[4:5], s[4:5], s4, v158, 0
	v_mov_b32_e32 v3, s17
	v_add3_u32 v5, v5, v6, v1
	v_lshl_add_u64 v[2:3], v[4:5], 4, v[2:3]
	s_add_i32 s12, s2, s2
	v_lshl_add_u64 v[156:157], s[18:19], 4, v[2:3]
	v_add_u32_e32 v2, s12, v167
	v_add_u32_e32 v4, s2, v2
	;; [unrolled: 1-line block ×3, first 2 shown]
	v_lshlrev_b32_e32 v162, 4, v167
	v_mov_b32_e32 v163, 0
	v_add_u32_e32 v8, s2, v6
	v_lshl_add_u64 v[0:1], v[156:157], 0, v[162:163]
	s_ashr_i32 s3, s2, 31
	v_ashrrev_i32_e32 v9, 31, v8
	v_add_u32_e32 v12, s2, v8
	v_lshl_add_u64 v[10:11], s[2:3], 4, v[0:1]
	global_load_dwordx4 v[100:103], v[0:1], off
	global_load_dwordx4 v[96:99], v[10:11], off
	v_lshl_add_u64 v[0:1], v[8:9], 4, v[156:157]
	v_ashrrev_i32_e32 v13, 31, v12
	v_add_u32_e32 v8, s2, v12
	v_lshl_add_u64 v[10:11], v[12:13], 4, v[156:157]
	v_add_u32_e32 v12, s2, v8
	v_add_u32_e32 v14, s2, v12
	;; [unrolled: 1-line block ×15, first 2 shown]
	v_ashrrev_i32_e32 v41, 31, v40
	v_lshl_add_u64 v[42:43], v[40:41], 4, v[156:157]
	v_add_u32_e32 v40, s2, v40
	v_ashrrev_i32_e32 v41, 31, v40
	v_lshl_add_u64 v[44:45], v[40:41], 4, v[156:157]
	v_add_u32_e32 v40, s2, v40
	;; [unrolled: 3-line block ×14, first 2 shown]
	v_ashrrev_i32_e32 v41, 31, v40
	v_ashrrev_i32_e32 v3, 31, v2
	;; [unrolled: 1-line block ×19, first 2 shown]
	v_lshl_add_u64 v[182:183], v[40:41], 4, v[156:157]
	v_add_u32_e32 v40, s2, v40
	v_lshl_add_u64 v[2:3], v[2:3], 4, v[156:157]
	v_lshl_add_u64 v[4:5], v[4:5], 4, v[156:157]
	;; [unrolled: 1-line block ×18, first 2 shown]
	v_ashrrev_i32_e32 v41, 31, v40
	v_lshl_add_u64 v[184:185], v[40:41], 4, v[156:157]
	global_load_dwordx4 v[144:147], v[2:3], off
	global_load_dwordx4 v[140:143], v[4:5], off
	;; [unrolled: 1-line block ×9, first 2 shown]
                                        ; kill: killed $vgpr10_vgpr11
                                        ; kill: killed $vgpr8_vgpr9
                                        ; kill: killed $vgpr12_vgpr13
                                        ; kill: killed $vgpr14_vgpr15
                                        ; kill: killed $vgpr16_vgpr17
                                        ; kill: killed $vgpr2_vgpr3
                                        ; kill: killed $vgpr4_vgpr5
                                        ; kill: killed $vgpr6_vgpr7
                                        ; kill: killed $vgpr0_vgpr1
	global_load_dwordx4 v[108:111], v[18:19], off
	global_load_dwordx4 v[104:107], v[20:21], off
	;; [unrolled: 1-line block ×5, first 2 shown]
                                        ; kill: killed $vgpr26_vgpr27
                                        ; kill: killed $vgpr18_vgpr19
                                        ; kill: killed $vgpr20_vgpr21
                                        ; kill: killed $vgpr22_vgpr23
                                        ; kill: killed $vgpr24_vgpr25
	global_load_dwordx4 v[80:83], v[28:29], off
	global_load_dwordx4 v[76:79], v[30:31], off
                                        ; kill: killed $vgpr28_vgpr29
                                        ; kill: killed $vgpr30_vgpr31
	global_load_dwordx4 v[72:75], v[32:33], off
	global_load_dwordx4 v[68:71], v[34:35], off
	;; [unrolled: 1-line block ×7, first 2 shown]
	s_nop 0
	global_load_dwordx4 v[44:47], v[148:149], off
	global_load_dwordx4 v[40:43], v[150:151], off
	;; [unrolled: 1-line block ×13, first 2 shown]
	s_load_dwordx2 s[4:5], s[0:1], 0x40
	s_max_i32 s0, s20, 38
	v_mul_lo_u32 v165, s0, v152
	v_lshl_add_u32 v164, v165, 4, 0
	v_add_u32_e32 v152, v164, v162
	s_waitcnt vmcnt(37)
	ds_write2_b64 v152, v[100:101], v[102:103] offset1:1
	s_waitcnt lgkmcnt(0)
	s_barrier
	ds_read2_b64 v[152:155], v164 offset1:1
	s_cmp_lt_i32 s20, 2
	v_lshlrev_b32_e32 v168, 4, v165
	s_cbranch_scc1 .LBB74_6
; %bb.4:
	v_add3_u32 v162, v168, 0, 16
	s_mov_b32 s16, 1
	v_mov_b32_e32 v163, 0
.LBB74_5:                               ; =>This Inner Loop Header: Depth=1
	ds_read2_b64 v[170:173], v162 offset1:1
	s_waitcnt lgkmcnt(1)
	v_xor_b32_e32 v165, 0x80000000, v153
	v_xor_b32_e32 v166, 0x80000000, v155
	v_cmp_gt_f64_e32 vcc, 0, v[154:155]
	v_cmp_gt_f64_e64 s[0:1], 0, v[152:153]
	v_mov_b32_e32 v174, v152
	v_mov_b32_e32 v176, v154
	v_cndmask_b32_e64 v175, v153, v165, s[0:1]
	v_cndmask_b32_e32 v177, v155, v166, vcc
	s_waitcnt lgkmcnt(0)
	v_xor_b32_e32 v165, 0x80000000, v171
	v_xor_b32_e32 v166, 0x80000000, v173
	v_cmp_gt_f64_e32 vcc, 0, v[172:173]
	v_cmp_gt_f64_e64 s[0:1], 0, v[170:171]
	v_add_f64 v[174:175], v[174:175], v[176:177]
	v_mov_b32_e32 v176, v170
	v_mov_b32_e32 v178, v172
	v_cndmask_b32_e64 v177, v171, v165, s[0:1]
	v_cndmask_b32_e32 v179, v173, v166, vcc
	v_add_f64 v[176:177], v[176:177], v[178:179]
	v_mov_b32_e32 v169, s16
	s_add_i32 s16, s16, 1
	v_cmp_lt_f64_e32 vcc, v[174:175], v[176:177]
	v_add_u32_e32 v162, 16, v162
	s_cmp_eq_u32 s20, s16
	v_cndmask_b32_e32 v153, v153, v171, vcc
	v_cndmask_b32_e32 v152, v152, v170, vcc
	;; [unrolled: 1-line block ×5, first 2 shown]
	s_cbranch_scc0 .LBB74_5
.LBB74_6:
	s_waitcnt lgkmcnt(0)
	v_cmp_neq_f64_e32 vcc, 0, v[152:153]
	v_cmp_neq_f64_e64 s[0:1], 0, v[154:155]
	s_or_b64 s[16:17], vcc, s[0:1]
	v_mov_b32_e32 v166, 1
	v_mov_b32_e32 v169, 1
	s_and_saveexec_b64 s[0:1], s[16:17]
	s_cbranch_execz .LBB74_12
; %bb.7:
	v_cmp_ngt_f64_e64 s[16:17], |v[152:153]|, |v[154:155]|
	s_and_saveexec_b64 s[18:19], s[16:17]
	s_xor_b64 s[16:17], exec, s[18:19]
	s_cbranch_execz .LBB74_9
; %bb.8:
	v_div_scale_f64 v[170:171], s[18:19], v[154:155], v[154:155], v[152:153]
	v_rcp_f64_e32 v[172:173], v[170:171]
	v_div_scale_f64 v[174:175], vcc, v[152:153], v[154:155], v[152:153]
	v_fma_f64 v[176:177], -v[170:171], v[172:173], 1.0
	v_fmac_f64_e32 v[172:173], v[172:173], v[176:177]
	v_fma_f64 v[176:177], -v[170:171], v[172:173], 1.0
	v_fmac_f64_e32 v[172:173], v[172:173], v[176:177]
	v_mul_f64 v[176:177], v[174:175], v[172:173]
	v_fma_f64 v[170:171], -v[170:171], v[176:177], v[174:175]
	v_div_fmas_f64 v[170:171], v[170:171], v[172:173], v[176:177]
	v_div_fixup_f64 v[170:171], v[170:171], v[154:155], v[152:153]
	v_fmac_f64_e32 v[154:155], v[152:153], v[170:171]
	v_div_scale_f64 v[152:153], s[18:19], v[154:155], v[154:155], 1.0
	v_rcp_f64_e32 v[172:173], v[152:153]
	s_nop 0
	v_fma_f64 v[174:175], -v[152:153], v[172:173], 1.0
	v_fmac_f64_e32 v[172:173], v[172:173], v[174:175]
	v_fma_f64 v[174:175], -v[152:153], v[172:173], 1.0
	v_fmac_f64_e32 v[172:173], v[172:173], v[174:175]
	v_div_scale_f64 v[174:175], vcc, 1.0, v[154:155], 1.0
	v_mul_f64 v[176:177], v[174:175], v[172:173]
	v_fma_f64 v[152:153], -v[152:153], v[176:177], v[174:175]
	s_nop 1
	v_div_fmas_f64 v[152:153], v[152:153], v[172:173], v[176:177]
	v_div_fixup_f64 v[154:155], v[152:153], v[154:155], 1.0
	v_mul_f64 v[152:153], v[170:171], v[154:155]
	v_xor_b32_e32 v155, 0x80000000, v155
.LBB74_9:
	s_andn2_saveexec_b64 s[16:17], s[16:17]
	s_cbranch_execz .LBB74_11
; %bb.10:
	v_div_scale_f64 v[170:171], s[18:19], v[152:153], v[152:153], v[154:155]
	v_rcp_f64_e32 v[172:173], v[170:171]
	v_div_scale_f64 v[174:175], vcc, v[154:155], v[152:153], v[154:155]
	v_fma_f64 v[176:177], -v[170:171], v[172:173], 1.0
	v_fmac_f64_e32 v[172:173], v[172:173], v[176:177]
	v_fma_f64 v[176:177], -v[170:171], v[172:173], 1.0
	v_fmac_f64_e32 v[172:173], v[172:173], v[176:177]
	v_mul_f64 v[176:177], v[174:175], v[172:173]
	v_fma_f64 v[170:171], -v[170:171], v[176:177], v[174:175]
	v_div_fmas_f64 v[170:171], v[170:171], v[172:173], v[176:177]
	v_div_fixup_f64 v[170:171], v[170:171], v[152:153], v[154:155]
	v_fmac_f64_e32 v[152:153], v[154:155], v[170:171]
	v_div_scale_f64 v[154:155], s[18:19], v[152:153], v[152:153], 1.0
	v_rcp_f64_e32 v[172:173], v[154:155]
	s_nop 0
	v_fma_f64 v[174:175], -v[154:155], v[172:173], 1.0
	v_fmac_f64_e32 v[172:173], v[172:173], v[174:175]
	v_fma_f64 v[174:175], -v[154:155], v[172:173], 1.0
	v_fmac_f64_e32 v[172:173], v[172:173], v[174:175]
	v_div_scale_f64 v[174:175], vcc, 1.0, v[152:153], 1.0
	v_mul_f64 v[176:177], v[174:175], v[172:173]
	v_fma_f64 v[154:155], -v[154:155], v[176:177], v[174:175]
	s_nop 1
	v_div_fmas_f64 v[154:155], v[154:155], v[172:173], v[176:177]
	v_div_fixup_f64 v[152:153], v[154:155], v[152:153], 1.0
	v_mul_f64 v[154:155], v[170:171], -v[152:153]
.LBB74_11:
	s_or_b64 exec, exec, s[16:17]
	v_mov_b32_e32 v169, 0
	v_mov_b32_e32 v166, 2
.LBB74_12:
	s_or_b64 exec, exec, s[0:1]
	v_cmp_ne_u32_e32 vcc, v167, v163
	s_and_saveexec_b64 s[0:1], vcc
	s_xor_b64 s[0:1], exec, s[0:1]
	s_cbranch_execz .LBB74_18
; %bb.13:
	v_cmp_eq_u32_e32 vcc, 0, v167
	s_and_saveexec_b64 s[16:17], vcc
	s_cbranch_execz .LBB74_17
; %bb.14:
	v_cmp_ne_u32_e32 vcc, 0, v163
	s_xor_b64 s[18:19], s[14:15], -1
	s_and_b64 s[22:23], s[18:19], vcc
	s_and_saveexec_b64 s[18:19], s[22:23]
	s_cbranch_execz .LBB74_16
; %bb.15:
	v_ashrrev_i32_e32 v171, 31, v163
	v_mov_b32_e32 v170, v163
	v_lshl_add_u64 v[170:171], v[170:171], 2, v[160:161]
	global_load_dword v162, v[170:171], off
	global_load_dword v165, v[160:161], off
	s_waitcnt vmcnt(1)
	global_store_dword v[160:161], v162, off
	s_waitcnt vmcnt(1)
	global_store_dword v[170:171], v165, off
.LBB74_16:
	s_or_b64 exec, exec, s[18:19]
	v_mov_b32_e32 v167, v163
.LBB74_17:
	s_or_b64 exec, exec, s[16:17]
.LBB74_18:
	s_or_saveexec_b64 s[0:1], s[0:1]
	v_mov_b32_e32 v165, v167
	s_xor_b64 exec, exec, s[0:1]
	s_cbranch_execz .LBB74_20
; %bb.19:
	v_mov_b32_e32 v165, 0
	s_waitcnt vmcnt(36)
	ds_write2_b64 v164, v[96:97], v[98:99] offset0:2 offset1:3
	s_waitcnt vmcnt(35)
	ds_write2_b64 v164, v[144:145], v[146:147] offset0:4 offset1:5
	;; [unrolled: 2-line block ×37, first 2 shown]
.LBB74_20:
	s_or_b64 exec, exec, s[0:1]
	v_cmp_lt_i32_e32 vcc, 0, v165
	s_waitcnt lgkmcnt(0)
	s_barrier
	s_and_saveexec_b64 s[0:1], vcc
	s_cbranch_execz .LBB74_22
; %bb.21:
	ds_read2_b64 v[170:173], v164 offset0:2 offset1:3
	v_mul_f64 v[162:163], v[154:155], v[102:103]
	v_mul_f64 v[102:103], v[152:153], v[102:103]
	v_fmac_f64_e32 v[102:103], v[154:155], v[100:101]
	v_fma_f64 v[162:163], v[152:153], v[100:101], -v[162:163]
	ds_read2_b64 v[152:155], v164 offset0:4 offset1:5
	s_waitcnt lgkmcnt(1)
	v_mul_f64 v[100:101], v[172:173], v[102:103]
	v_fma_f64 v[100:101], v[170:171], v[162:163], -v[100:101]
	v_mul_f64 v[170:171], v[170:171], v[102:103]
	v_fmac_f64_e32 v[170:171], v[172:173], v[162:163]
	s_waitcnt vmcnt(36)
	v_add_f64 v[98:99], v[98:99], -v[170:171]
	ds_read2_b64 v[170:173], v164 offset0:6 offset1:7
	v_add_f64 v[96:97], v[96:97], -v[100:101]
	s_waitcnt lgkmcnt(1)
	v_mul_f64 v[100:101], v[154:155], v[102:103]
	v_fma_f64 v[100:101], v[152:153], v[162:163], -v[100:101]
	v_mul_f64 v[152:153], v[152:153], v[102:103]
	v_fmac_f64_e32 v[152:153], v[154:155], v[162:163]
	s_waitcnt vmcnt(35)
	v_add_f64 v[144:145], v[144:145], -v[100:101]
	v_add_f64 v[146:147], v[146:147], -v[152:153]
	ds_read2_b64 v[152:155], v164 offset0:8 offset1:9
	s_waitcnt lgkmcnt(1)
	v_mul_f64 v[100:101], v[172:173], v[102:103]
	v_fma_f64 v[100:101], v[170:171], v[162:163], -v[100:101]
	v_mul_f64 v[170:171], v[170:171], v[102:103]
	v_fmac_f64_e32 v[170:171], v[172:173], v[162:163]
	s_waitcnt vmcnt(34)
	v_add_f64 v[142:143], v[142:143], -v[170:171]
	ds_read2_b64 v[170:173], v164 offset0:10 offset1:11
	v_add_f64 v[140:141], v[140:141], -v[100:101]
	s_waitcnt lgkmcnt(1)
	v_mul_f64 v[100:101], v[154:155], v[102:103]
	v_fma_f64 v[100:101], v[152:153], v[162:163], -v[100:101]
	v_mul_f64 v[152:153], v[152:153], v[102:103]
	v_fmac_f64_e32 v[152:153], v[154:155], v[162:163]
	s_waitcnt vmcnt(33)
	v_add_f64 v[136:137], v[136:137], -v[100:101]
	v_add_f64 v[138:139], v[138:139], -v[152:153]
	;; [unrolled: 18-line block ×18, first 2 shown]
	s_waitcnt lgkmcnt(0)
	v_mul_f64 v[100:101], v[172:173], v[102:103]
	v_mul_f64 v[152:153], v[170:171], v[102:103]
	v_fma_f64 v[100:101], v[170:171], v[162:163], -v[100:101]
	v_fmac_f64_e32 v[152:153], v[172:173], v[162:163]
	s_waitcnt vmcnt(0)
	v_add_f64 v[148:149], v[148:149], -v[100:101]
	v_add_f64 v[150:151], v[150:151], -v[152:153]
	v_mov_b64_e32 v[100:101], v[162:163]
.LBB74_22:
	s_or_b64 exec, exec, s[0:1]
	v_lshl_add_u32 v152, v165, 4, v164
	s_barrier
	s_waitcnt vmcnt(36)
	ds_write2_b64 v152, v[96:97], v[98:99] offset1:1
	s_waitcnt lgkmcnt(0)
	s_barrier
	ds_read2_b64 v[152:155], v164 offset0:2 offset1:3
	s_cmp_lt_i32 s20, 3
	v_mov_b32_e32 v162, 1
	s_cbranch_scc1 .LBB74_25
; %bb.23:
	v_add3_u32 v163, v168, 0, 32
	s_mov_b32 s16, 2
	v_mov_b32_e32 v162, 1
.LBB74_24:                              ; =>This Inner Loop Header: Depth=1
	ds_read2_b64 v[170:173], v163 offset1:1
	s_waitcnt lgkmcnt(1)
	v_xor_b32_e32 v175, 0x80000000, v153
	v_xor_b32_e32 v177, 0x80000000, v155
	v_cmp_gt_f64_e32 vcc, 0, v[154:155]
	v_cmp_gt_f64_e64 s[0:1], 0, v[152:153]
	v_mov_b32_e32 v174, v152
	v_mov_b32_e32 v176, v154
	v_cndmask_b32_e64 v175, v153, v175, s[0:1]
	v_cndmask_b32_e32 v177, v155, v177, vcc
	v_add_f64 v[174:175], v[174:175], v[176:177]
	s_waitcnt lgkmcnt(0)
	v_xor_b32_e32 v177, 0x80000000, v171
	v_xor_b32_e32 v179, 0x80000000, v173
	v_cmp_gt_f64_e32 vcc, 0, v[172:173]
	v_cmp_gt_f64_e64 s[0:1], 0, v[170:171]
	v_mov_b32_e32 v176, v170
	v_mov_b32_e32 v178, v172
	v_cndmask_b32_e64 v177, v171, v177, s[0:1]
	v_cndmask_b32_e32 v179, v173, v179, vcc
	v_add_f64 v[176:177], v[176:177], v[178:179]
	v_mov_b32_e32 v180, s16
	s_add_i32 s16, s16, 1
	v_cmp_lt_f64_e32 vcc, v[174:175], v[176:177]
	v_add_u32_e32 v163, 16, v163
	s_cmp_lg_u32 s20, s16
	v_cndmask_b32_e32 v153, v153, v171, vcc
	v_cndmask_b32_e32 v152, v152, v170, vcc
	;; [unrolled: 1-line block ×5, first 2 shown]
	s_cbranch_scc1 .LBB74_24
.LBB74_25:
	s_waitcnt lgkmcnt(0)
	v_cmp_neq_f64_e32 vcc, 0, v[152:153]
	v_cmp_neq_f64_e64 s[0:1], 0, v[154:155]
	s_or_b64 s[16:17], vcc, s[0:1]
	s_and_saveexec_b64 s[0:1], s[16:17]
	s_cbranch_execz .LBB74_31
; %bb.26:
	v_cmp_ngt_f64_e64 s[16:17], |v[152:153]|, |v[154:155]|
	s_and_saveexec_b64 s[18:19], s[16:17]
	s_xor_b64 s[16:17], exec, s[18:19]
	s_cbranch_execz .LBB74_28
; %bb.27:
	v_div_scale_f64 v[170:171], s[18:19], v[154:155], v[154:155], v[152:153]
	v_rcp_f64_e32 v[172:173], v[170:171]
	v_div_scale_f64 v[174:175], vcc, v[152:153], v[154:155], v[152:153]
	v_fma_f64 v[176:177], -v[170:171], v[172:173], 1.0
	v_fmac_f64_e32 v[172:173], v[172:173], v[176:177]
	v_fma_f64 v[176:177], -v[170:171], v[172:173], 1.0
	v_fmac_f64_e32 v[172:173], v[172:173], v[176:177]
	v_mul_f64 v[176:177], v[174:175], v[172:173]
	v_fma_f64 v[170:171], -v[170:171], v[176:177], v[174:175]
	v_div_fmas_f64 v[170:171], v[170:171], v[172:173], v[176:177]
	v_div_fixup_f64 v[170:171], v[170:171], v[154:155], v[152:153]
	v_fmac_f64_e32 v[154:155], v[152:153], v[170:171]
	v_div_scale_f64 v[152:153], s[18:19], v[154:155], v[154:155], 1.0
	v_rcp_f64_e32 v[172:173], v[152:153]
	s_nop 0
	v_fma_f64 v[174:175], -v[152:153], v[172:173], 1.0
	v_fmac_f64_e32 v[172:173], v[172:173], v[174:175]
	v_fma_f64 v[174:175], -v[152:153], v[172:173], 1.0
	v_fmac_f64_e32 v[172:173], v[172:173], v[174:175]
	v_div_scale_f64 v[174:175], vcc, 1.0, v[154:155], 1.0
	v_mul_f64 v[176:177], v[174:175], v[172:173]
	v_fma_f64 v[152:153], -v[152:153], v[176:177], v[174:175]
	s_nop 1
	v_div_fmas_f64 v[152:153], v[152:153], v[172:173], v[176:177]
	v_div_fixup_f64 v[154:155], v[152:153], v[154:155], 1.0
	v_mul_f64 v[152:153], v[170:171], v[154:155]
	v_xor_b32_e32 v155, 0x80000000, v155
.LBB74_28:
	s_andn2_saveexec_b64 s[16:17], s[16:17]
	s_cbranch_execz .LBB74_30
; %bb.29:
	v_div_scale_f64 v[170:171], s[18:19], v[152:153], v[152:153], v[154:155]
	v_rcp_f64_e32 v[172:173], v[170:171]
	v_div_scale_f64 v[174:175], vcc, v[154:155], v[152:153], v[154:155]
	v_fma_f64 v[176:177], -v[170:171], v[172:173], 1.0
	v_fmac_f64_e32 v[172:173], v[172:173], v[176:177]
	v_fma_f64 v[176:177], -v[170:171], v[172:173], 1.0
	v_fmac_f64_e32 v[172:173], v[172:173], v[176:177]
	v_mul_f64 v[176:177], v[174:175], v[172:173]
	v_fma_f64 v[170:171], -v[170:171], v[176:177], v[174:175]
	v_div_fmas_f64 v[170:171], v[170:171], v[172:173], v[176:177]
	v_div_fixup_f64 v[170:171], v[170:171], v[152:153], v[154:155]
	v_fmac_f64_e32 v[152:153], v[154:155], v[170:171]
	v_div_scale_f64 v[154:155], s[18:19], v[152:153], v[152:153], 1.0
	v_rcp_f64_e32 v[172:173], v[154:155]
	s_nop 0
	v_fma_f64 v[174:175], -v[154:155], v[172:173], 1.0
	v_fmac_f64_e32 v[172:173], v[172:173], v[174:175]
	v_fma_f64 v[174:175], -v[154:155], v[172:173], 1.0
	v_fmac_f64_e32 v[172:173], v[172:173], v[174:175]
	v_div_scale_f64 v[174:175], vcc, 1.0, v[152:153], 1.0
	v_mul_f64 v[176:177], v[174:175], v[172:173]
	v_fma_f64 v[154:155], -v[154:155], v[176:177], v[174:175]
	s_nop 1
	v_div_fmas_f64 v[154:155], v[154:155], v[172:173], v[176:177]
	v_div_fixup_f64 v[152:153], v[154:155], v[152:153], 1.0
	v_mul_f64 v[154:155], v[170:171], -v[152:153]
.LBB74_30:
	s_or_b64 exec, exec, s[16:17]
	v_mov_b32_e32 v166, v169
.LBB74_31:
	s_or_b64 exec, exec, s[0:1]
	v_cmp_ne_u32_e32 vcc, v165, v162
	s_and_saveexec_b64 s[0:1], vcc
	s_xor_b64 s[0:1], exec, s[0:1]
	s_cbranch_execz .LBB74_37
; %bb.32:
	v_cmp_eq_u32_e32 vcc, 1, v165
	s_and_saveexec_b64 s[16:17], vcc
	s_cbranch_execz .LBB74_36
; %bb.33:
	v_cmp_ne_u32_e32 vcc, 1, v162
	s_xor_b64 s[18:19], s[14:15], -1
	s_and_b64 s[22:23], s[18:19], vcc
	s_and_saveexec_b64 s[18:19], s[22:23]
	s_cbranch_execz .LBB74_35
; %bb.34:
	v_ashrrev_i32_e32 v163, 31, v162
	v_lshl_add_u64 v[170:171], v[162:163], 2, v[160:161]
	global_load_dword v163, v[170:171], off
	global_load_dword v165, v[160:161], off offset:4
	s_waitcnt vmcnt(1)
	global_store_dword v[160:161], v163, off offset:4
	s_waitcnt vmcnt(1)
	global_store_dword v[170:171], v165, off
.LBB74_35:
	s_or_b64 exec, exec, s[18:19]
	v_mov_b32_e32 v165, v162
	v_mov_b32_e32 v167, v162
.LBB74_36:
	s_or_b64 exec, exec, s[16:17]
.LBB74_37:
	s_andn2_saveexec_b64 s[0:1], s[0:1]
	s_cbranch_execz .LBB74_39
; %bb.38:
	v_mov_b32_e32 v165, 1
	s_waitcnt vmcnt(35)
	ds_write2_b64 v164, v[144:145], v[146:147] offset0:4 offset1:5
	s_waitcnt vmcnt(34)
	ds_write2_b64 v164, v[140:141], v[142:143] offset0:6 offset1:7
	;; [unrolled: 2-line block ×36, first 2 shown]
.LBB74_39:
	s_or_b64 exec, exec, s[0:1]
	v_cmp_lt_i32_e32 vcc, 1, v165
	s_waitcnt lgkmcnt(0)
	s_barrier
	s_and_saveexec_b64 s[0:1], vcc
	s_cbranch_execz .LBB74_41
; %bb.40:
	ds_read2_b64 v[170:173], v164 offset0:4 offset1:5
	v_mul_f64 v[162:163], v[154:155], v[98:99]
	v_mul_f64 v[98:99], v[152:153], v[98:99]
	v_fma_f64 v[162:163], v[152:153], v[96:97], -v[162:163]
	v_fmac_f64_e32 v[98:99], v[154:155], v[96:97]
	ds_read2_b64 v[152:155], v164 offset0:6 offset1:7
	s_waitcnt lgkmcnt(1)
	v_mul_f64 v[96:97], v[172:173], v[98:99]
	v_fma_f64 v[96:97], v[170:171], v[162:163], -v[96:97]
	v_mul_f64 v[170:171], v[170:171], v[98:99]
	v_fmac_f64_e32 v[170:171], v[172:173], v[162:163]
	s_waitcnt vmcnt(35)
	v_add_f64 v[144:145], v[144:145], -v[96:97]
	s_waitcnt lgkmcnt(0)
	v_mul_f64 v[96:97], v[154:155], v[98:99]
	v_add_f64 v[146:147], v[146:147], -v[170:171]
	v_fma_f64 v[96:97], v[152:153], v[162:163], -v[96:97]
	v_mul_f64 v[152:153], v[152:153], v[98:99]
	ds_read2_b64 v[170:173], v164 offset0:8 offset1:9
	v_fmac_f64_e32 v[152:153], v[154:155], v[162:163]
	s_waitcnt vmcnt(34)
	v_add_f64 v[142:143], v[142:143], -v[152:153]
	ds_read2_b64 v[152:155], v164 offset0:10 offset1:11
	v_add_f64 v[140:141], v[140:141], -v[96:97]
	s_waitcnt lgkmcnt(1)
	v_mul_f64 v[96:97], v[172:173], v[98:99]
	v_fma_f64 v[96:97], v[170:171], v[162:163], -v[96:97]
	v_mul_f64 v[170:171], v[170:171], v[98:99]
	v_fmac_f64_e32 v[170:171], v[172:173], v[162:163]
	s_waitcnt vmcnt(33)
	v_add_f64 v[136:137], v[136:137], -v[96:97]
	s_waitcnt lgkmcnt(0)
	v_mul_f64 v[96:97], v[154:155], v[98:99]
	v_add_f64 v[138:139], v[138:139], -v[170:171]
	v_fma_f64 v[96:97], v[152:153], v[162:163], -v[96:97]
	v_mul_f64 v[152:153], v[152:153], v[98:99]
	ds_read2_b64 v[170:173], v164 offset0:12 offset1:13
	v_fmac_f64_e32 v[152:153], v[154:155], v[162:163]
	s_waitcnt vmcnt(32)
	v_add_f64 v[134:135], v[134:135], -v[152:153]
	ds_read2_b64 v[152:155], v164 offset0:14 offset1:15
	v_add_f64 v[132:133], v[132:133], -v[96:97]
	s_waitcnt lgkmcnt(1)
	v_mul_f64 v[96:97], v[172:173], v[98:99]
	v_fma_f64 v[96:97], v[170:171], v[162:163], -v[96:97]
	v_mul_f64 v[170:171], v[170:171], v[98:99]
	v_fmac_f64_e32 v[170:171], v[172:173], v[162:163]
	s_waitcnt vmcnt(31)
	v_add_f64 v[128:129], v[128:129], -v[96:97]
	s_waitcnt lgkmcnt(0)
	v_mul_f64 v[96:97], v[154:155], v[98:99]
	v_add_f64 v[130:131], v[130:131], -v[170:171]
	v_fma_f64 v[96:97], v[152:153], v[162:163], -v[96:97]
	v_mul_f64 v[152:153], v[152:153], v[98:99]
	ds_read2_b64 v[170:173], v164 offset0:16 offset1:17
	v_fmac_f64_e32 v[152:153], v[154:155], v[162:163]
	s_waitcnt vmcnt(30)
	v_add_f64 v[126:127], v[126:127], -v[152:153]
	ds_read2_b64 v[152:155], v164 offset0:18 offset1:19
	v_add_f64 v[124:125], v[124:125], -v[96:97]
	s_waitcnt lgkmcnt(1)
	v_mul_f64 v[96:97], v[172:173], v[98:99]
	v_fma_f64 v[96:97], v[170:171], v[162:163], -v[96:97]
	v_mul_f64 v[170:171], v[170:171], v[98:99]
	v_fmac_f64_e32 v[170:171], v[172:173], v[162:163]
	s_waitcnt vmcnt(29)
	v_add_f64 v[120:121], v[120:121], -v[96:97]
	s_waitcnt lgkmcnt(0)
	v_mul_f64 v[96:97], v[154:155], v[98:99]
	v_add_f64 v[122:123], v[122:123], -v[170:171]
	v_fma_f64 v[96:97], v[152:153], v[162:163], -v[96:97]
	v_mul_f64 v[152:153], v[152:153], v[98:99]
	ds_read2_b64 v[170:173], v164 offset0:20 offset1:21
	v_fmac_f64_e32 v[152:153], v[154:155], v[162:163]
	s_waitcnt vmcnt(28)
	v_add_f64 v[118:119], v[118:119], -v[152:153]
	ds_read2_b64 v[152:155], v164 offset0:22 offset1:23
	v_add_f64 v[116:117], v[116:117], -v[96:97]
	s_waitcnt lgkmcnt(1)
	v_mul_f64 v[96:97], v[172:173], v[98:99]
	v_fma_f64 v[96:97], v[170:171], v[162:163], -v[96:97]
	v_mul_f64 v[170:171], v[170:171], v[98:99]
	v_fmac_f64_e32 v[170:171], v[172:173], v[162:163]
	s_waitcnt vmcnt(27)
	v_add_f64 v[112:113], v[112:113], -v[96:97]
	s_waitcnt lgkmcnt(0)
	v_mul_f64 v[96:97], v[154:155], v[98:99]
	v_add_f64 v[114:115], v[114:115], -v[170:171]
	v_fma_f64 v[96:97], v[152:153], v[162:163], -v[96:97]
	v_mul_f64 v[152:153], v[152:153], v[98:99]
	ds_read2_b64 v[170:173], v164 offset0:24 offset1:25
	v_fmac_f64_e32 v[152:153], v[154:155], v[162:163]
	s_waitcnt vmcnt(26)
	v_add_f64 v[110:111], v[110:111], -v[152:153]
	ds_read2_b64 v[152:155], v164 offset0:26 offset1:27
	v_add_f64 v[108:109], v[108:109], -v[96:97]
	s_waitcnt lgkmcnt(1)
	v_mul_f64 v[96:97], v[172:173], v[98:99]
	v_fma_f64 v[96:97], v[170:171], v[162:163], -v[96:97]
	v_mul_f64 v[170:171], v[170:171], v[98:99]
	v_fmac_f64_e32 v[170:171], v[172:173], v[162:163]
	s_waitcnt vmcnt(25)
	v_add_f64 v[104:105], v[104:105], -v[96:97]
	s_waitcnt lgkmcnt(0)
	v_mul_f64 v[96:97], v[154:155], v[98:99]
	v_add_f64 v[106:107], v[106:107], -v[170:171]
	v_fma_f64 v[96:97], v[152:153], v[162:163], -v[96:97]
	v_mul_f64 v[152:153], v[152:153], v[98:99]
	ds_read2_b64 v[170:173], v164 offset0:28 offset1:29
	v_fmac_f64_e32 v[152:153], v[154:155], v[162:163]
	s_waitcnt vmcnt(24)
	v_add_f64 v[94:95], v[94:95], -v[152:153]
	ds_read2_b64 v[152:155], v164 offset0:30 offset1:31
	v_add_f64 v[92:93], v[92:93], -v[96:97]
	s_waitcnt lgkmcnt(1)
	v_mul_f64 v[96:97], v[172:173], v[98:99]
	v_fma_f64 v[96:97], v[170:171], v[162:163], -v[96:97]
	v_mul_f64 v[170:171], v[170:171], v[98:99]
	v_fmac_f64_e32 v[170:171], v[172:173], v[162:163]
	s_waitcnt vmcnt(23)
	v_add_f64 v[88:89], v[88:89], -v[96:97]
	s_waitcnt lgkmcnt(0)
	v_mul_f64 v[96:97], v[154:155], v[98:99]
	v_add_f64 v[90:91], v[90:91], -v[170:171]
	v_fma_f64 v[96:97], v[152:153], v[162:163], -v[96:97]
	v_mul_f64 v[152:153], v[152:153], v[98:99]
	ds_read2_b64 v[170:173], v164 offset0:32 offset1:33
	v_fmac_f64_e32 v[152:153], v[154:155], v[162:163]
	s_waitcnt vmcnt(22)
	v_add_f64 v[86:87], v[86:87], -v[152:153]
	ds_read2_b64 v[152:155], v164 offset0:34 offset1:35
	v_add_f64 v[84:85], v[84:85], -v[96:97]
	s_waitcnt lgkmcnt(1)
	v_mul_f64 v[96:97], v[172:173], v[98:99]
	v_fma_f64 v[96:97], v[170:171], v[162:163], -v[96:97]
	v_mul_f64 v[170:171], v[170:171], v[98:99]
	v_fmac_f64_e32 v[170:171], v[172:173], v[162:163]
	s_waitcnt vmcnt(21)
	v_add_f64 v[80:81], v[80:81], -v[96:97]
	s_waitcnt lgkmcnt(0)
	v_mul_f64 v[96:97], v[154:155], v[98:99]
	v_add_f64 v[82:83], v[82:83], -v[170:171]
	v_fma_f64 v[96:97], v[152:153], v[162:163], -v[96:97]
	v_mul_f64 v[152:153], v[152:153], v[98:99]
	ds_read2_b64 v[170:173], v164 offset0:36 offset1:37
	v_fmac_f64_e32 v[152:153], v[154:155], v[162:163]
	s_waitcnt vmcnt(20)
	v_add_f64 v[78:79], v[78:79], -v[152:153]
	ds_read2_b64 v[152:155], v164 offset0:38 offset1:39
	v_add_f64 v[76:77], v[76:77], -v[96:97]
	s_waitcnt lgkmcnt(1)
	v_mul_f64 v[96:97], v[172:173], v[98:99]
	v_fma_f64 v[96:97], v[170:171], v[162:163], -v[96:97]
	v_mul_f64 v[170:171], v[170:171], v[98:99]
	v_fmac_f64_e32 v[170:171], v[172:173], v[162:163]
	s_waitcnt vmcnt(19)
	v_add_f64 v[72:73], v[72:73], -v[96:97]
	s_waitcnt lgkmcnt(0)
	v_mul_f64 v[96:97], v[154:155], v[98:99]
	v_add_f64 v[74:75], v[74:75], -v[170:171]
	v_fma_f64 v[96:97], v[152:153], v[162:163], -v[96:97]
	v_mul_f64 v[152:153], v[152:153], v[98:99]
	ds_read2_b64 v[170:173], v164 offset0:40 offset1:41
	v_fmac_f64_e32 v[152:153], v[154:155], v[162:163]
	s_waitcnt vmcnt(18)
	v_add_f64 v[70:71], v[70:71], -v[152:153]
	ds_read2_b64 v[152:155], v164 offset0:42 offset1:43
	v_add_f64 v[68:69], v[68:69], -v[96:97]
	s_waitcnt lgkmcnt(1)
	v_mul_f64 v[96:97], v[172:173], v[98:99]
	v_fma_f64 v[96:97], v[170:171], v[162:163], -v[96:97]
	v_mul_f64 v[170:171], v[170:171], v[98:99]
	v_fmac_f64_e32 v[170:171], v[172:173], v[162:163]
	s_waitcnt vmcnt(17)
	v_add_f64 v[64:65], v[64:65], -v[96:97]
	s_waitcnt lgkmcnt(0)
	v_mul_f64 v[96:97], v[154:155], v[98:99]
	v_add_f64 v[66:67], v[66:67], -v[170:171]
	v_fma_f64 v[96:97], v[152:153], v[162:163], -v[96:97]
	v_mul_f64 v[152:153], v[152:153], v[98:99]
	ds_read2_b64 v[170:173], v164 offset0:44 offset1:45
	v_fmac_f64_e32 v[152:153], v[154:155], v[162:163]
	s_waitcnt vmcnt(16)
	v_add_f64 v[62:63], v[62:63], -v[152:153]
	ds_read2_b64 v[152:155], v164 offset0:46 offset1:47
	v_add_f64 v[60:61], v[60:61], -v[96:97]
	s_waitcnt lgkmcnt(1)
	v_mul_f64 v[96:97], v[172:173], v[98:99]
	v_fma_f64 v[96:97], v[170:171], v[162:163], -v[96:97]
	v_mul_f64 v[170:171], v[170:171], v[98:99]
	v_fmac_f64_e32 v[170:171], v[172:173], v[162:163]
	s_waitcnt vmcnt(15)
	v_add_f64 v[56:57], v[56:57], -v[96:97]
	s_waitcnt lgkmcnt(0)
	v_mul_f64 v[96:97], v[154:155], v[98:99]
	v_add_f64 v[58:59], v[58:59], -v[170:171]
	v_fma_f64 v[96:97], v[152:153], v[162:163], -v[96:97]
	v_mul_f64 v[152:153], v[152:153], v[98:99]
	ds_read2_b64 v[170:173], v164 offset0:48 offset1:49
	v_fmac_f64_e32 v[152:153], v[154:155], v[162:163]
	s_waitcnt vmcnt(14)
	v_add_f64 v[54:55], v[54:55], -v[152:153]
	ds_read2_b64 v[152:155], v164 offset0:50 offset1:51
	v_add_f64 v[52:53], v[52:53], -v[96:97]
	s_waitcnt lgkmcnt(1)
	v_mul_f64 v[96:97], v[172:173], v[98:99]
	v_fma_f64 v[96:97], v[170:171], v[162:163], -v[96:97]
	v_mul_f64 v[170:171], v[170:171], v[98:99]
	v_fmac_f64_e32 v[170:171], v[172:173], v[162:163]
	s_waitcnt vmcnt(13)
	v_add_f64 v[48:49], v[48:49], -v[96:97]
	s_waitcnt lgkmcnt(0)
	v_mul_f64 v[96:97], v[154:155], v[98:99]
	v_add_f64 v[50:51], v[50:51], -v[170:171]
	v_fma_f64 v[96:97], v[152:153], v[162:163], -v[96:97]
	v_mul_f64 v[152:153], v[152:153], v[98:99]
	ds_read2_b64 v[170:173], v164 offset0:52 offset1:53
	v_fmac_f64_e32 v[152:153], v[154:155], v[162:163]
	s_waitcnt vmcnt(12)
	v_add_f64 v[46:47], v[46:47], -v[152:153]
	ds_read2_b64 v[152:155], v164 offset0:54 offset1:55
	v_add_f64 v[44:45], v[44:45], -v[96:97]
	s_waitcnt lgkmcnt(1)
	v_mul_f64 v[96:97], v[172:173], v[98:99]
	v_fma_f64 v[96:97], v[170:171], v[162:163], -v[96:97]
	v_mul_f64 v[170:171], v[170:171], v[98:99]
	v_fmac_f64_e32 v[170:171], v[172:173], v[162:163]
	s_waitcnt vmcnt(11)
	v_add_f64 v[40:41], v[40:41], -v[96:97]
	s_waitcnt lgkmcnt(0)
	v_mul_f64 v[96:97], v[154:155], v[98:99]
	v_add_f64 v[42:43], v[42:43], -v[170:171]
	v_fma_f64 v[96:97], v[152:153], v[162:163], -v[96:97]
	v_mul_f64 v[152:153], v[152:153], v[98:99]
	ds_read2_b64 v[170:173], v164 offset0:56 offset1:57
	v_fmac_f64_e32 v[152:153], v[154:155], v[162:163]
	s_waitcnt vmcnt(10)
	v_add_f64 v[38:39], v[38:39], -v[152:153]
	ds_read2_b64 v[152:155], v164 offset0:58 offset1:59
	v_add_f64 v[36:37], v[36:37], -v[96:97]
	s_waitcnt lgkmcnt(1)
	v_mul_f64 v[96:97], v[172:173], v[98:99]
	v_fma_f64 v[96:97], v[170:171], v[162:163], -v[96:97]
	v_mul_f64 v[170:171], v[170:171], v[98:99]
	v_fmac_f64_e32 v[170:171], v[172:173], v[162:163]
	s_waitcnt vmcnt(9)
	v_add_f64 v[32:33], v[32:33], -v[96:97]
	s_waitcnt lgkmcnt(0)
	v_mul_f64 v[96:97], v[154:155], v[98:99]
	v_add_f64 v[34:35], v[34:35], -v[170:171]
	v_fma_f64 v[96:97], v[152:153], v[162:163], -v[96:97]
	v_mul_f64 v[152:153], v[152:153], v[98:99]
	ds_read2_b64 v[170:173], v164 offset0:60 offset1:61
	v_fmac_f64_e32 v[152:153], v[154:155], v[162:163]
	s_waitcnt vmcnt(8)
	v_add_f64 v[30:31], v[30:31], -v[152:153]
	ds_read2_b64 v[152:155], v164 offset0:62 offset1:63
	v_add_f64 v[28:29], v[28:29], -v[96:97]
	s_waitcnt lgkmcnt(1)
	v_mul_f64 v[96:97], v[172:173], v[98:99]
	v_fma_f64 v[96:97], v[170:171], v[162:163], -v[96:97]
	v_mul_f64 v[170:171], v[170:171], v[98:99]
	v_fmac_f64_e32 v[170:171], v[172:173], v[162:163]
	s_waitcnt vmcnt(7)
	v_add_f64 v[24:25], v[24:25], -v[96:97]
	s_waitcnt lgkmcnt(0)
	v_mul_f64 v[96:97], v[154:155], v[98:99]
	v_add_f64 v[26:27], v[26:27], -v[170:171]
	v_fma_f64 v[96:97], v[152:153], v[162:163], -v[96:97]
	v_mul_f64 v[152:153], v[152:153], v[98:99]
	ds_read2_b64 v[170:173], v164 offset0:64 offset1:65
	v_fmac_f64_e32 v[152:153], v[154:155], v[162:163]
	s_waitcnt vmcnt(6)
	v_add_f64 v[22:23], v[22:23], -v[152:153]
	ds_read2_b64 v[152:155], v164 offset0:66 offset1:67
	v_add_f64 v[20:21], v[20:21], -v[96:97]
	s_waitcnt lgkmcnt(1)
	v_mul_f64 v[96:97], v[172:173], v[98:99]
	v_fma_f64 v[96:97], v[170:171], v[162:163], -v[96:97]
	v_mul_f64 v[170:171], v[170:171], v[98:99]
	v_fmac_f64_e32 v[170:171], v[172:173], v[162:163]
	s_waitcnt vmcnt(5)
	v_add_f64 v[16:17], v[16:17], -v[96:97]
	s_waitcnt lgkmcnt(0)
	v_mul_f64 v[96:97], v[154:155], v[98:99]
	v_add_f64 v[18:19], v[18:19], -v[170:171]
	v_fma_f64 v[96:97], v[152:153], v[162:163], -v[96:97]
	v_mul_f64 v[152:153], v[152:153], v[98:99]
	ds_read2_b64 v[170:173], v164 offset0:68 offset1:69
	v_fmac_f64_e32 v[152:153], v[154:155], v[162:163]
	s_waitcnt vmcnt(4)
	v_add_f64 v[14:15], v[14:15], -v[152:153]
	ds_read2_b64 v[152:155], v164 offset0:70 offset1:71
	v_add_f64 v[12:13], v[12:13], -v[96:97]
	s_waitcnt lgkmcnt(1)
	v_mul_f64 v[96:97], v[172:173], v[98:99]
	v_fma_f64 v[96:97], v[170:171], v[162:163], -v[96:97]
	v_mul_f64 v[170:171], v[170:171], v[98:99]
	v_fmac_f64_e32 v[170:171], v[172:173], v[162:163]
	s_waitcnt vmcnt(3)
	v_add_f64 v[8:9], v[8:9], -v[96:97]
	s_waitcnt lgkmcnt(0)
	v_mul_f64 v[96:97], v[154:155], v[98:99]
	v_add_f64 v[10:11], v[10:11], -v[170:171]
	v_fma_f64 v[96:97], v[152:153], v[162:163], -v[96:97]
	v_mul_f64 v[152:153], v[152:153], v[98:99]
	ds_read2_b64 v[170:173], v164 offset0:72 offset1:73
	v_fmac_f64_e32 v[152:153], v[154:155], v[162:163]
	s_waitcnt vmcnt(2)
	v_add_f64 v[6:7], v[6:7], -v[152:153]
	ds_read2_b64 v[152:155], v164 offset0:74 offset1:75
	v_add_f64 v[4:5], v[4:5], -v[96:97]
	s_waitcnt lgkmcnt(1)
	v_mul_f64 v[96:97], v[172:173], v[98:99]
	v_fma_f64 v[96:97], v[170:171], v[162:163], -v[96:97]
	s_waitcnt vmcnt(1)
	v_add_f64 v[0:1], v[0:1], -v[96:97]
	s_waitcnt lgkmcnt(0)
	v_mul_f64 v[96:97], v[154:155], v[98:99]
	v_mul_f64 v[170:171], v[170:171], v[98:99]
	v_fma_f64 v[96:97], v[152:153], v[162:163], -v[96:97]
	v_mul_f64 v[152:153], v[152:153], v[98:99]
	v_fmac_f64_e32 v[170:171], v[172:173], v[162:163]
	v_fmac_f64_e32 v[152:153], v[154:155], v[162:163]
	v_add_f64 v[2:3], v[2:3], -v[170:171]
	s_waitcnt vmcnt(0)
	v_add_f64 v[148:149], v[148:149], -v[96:97]
	v_add_f64 v[150:151], v[150:151], -v[152:153]
	v_mov_b64_e32 v[96:97], v[162:163]
.LBB74_41:
	s_or_b64 exec, exec, s[0:1]
	v_lshl_add_u32 v152, v165, 4, v164
	s_barrier
	s_waitcnt vmcnt(35)
	ds_write2_b64 v152, v[144:145], v[146:147] offset1:1
	s_waitcnt lgkmcnt(0)
	s_barrier
	ds_read2_b64 v[152:155], v164 offset0:4 offset1:5
	s_cmp_lt_i32 s20, 4
	v_mov_b32_e32 v162, 2
	s_cbranch_scc1 .LBB74_44
; %bb.42:
	v_add3_u32 v163, v168, 0, 48
	s_mov_b32 s16, 3
	v_mov_b32_e32 v162, 2
.LBB74_43:                              ; =>This Inner Loop Header: Depth=1
	ds_read2_b64 v[170:173], v163 offset1:1
	s_waitcnt lgkmcnt(1)
	v_xor_b32_e32 v169, 0x80000000, v153
	v_xor_b32_e32 v177, 0x80000000, v155
	v_cmp_gt_f64_e32 vcc, 0, v[154:155]
	v_cmp_gt_f64_e64 s[0:1], 0, v[152:153]
	v_mov_b32_e32 v174, v152
	v_mov_b32_e32 v176, v154
	v_cndmask_b32_e64 v175, v153, v169, s[0:1]
	v_cndmask_b32_e32 v177, v155, v177, vcc
	s_waitcnt lgkmcnt(0)
	v_xor_b32_e32 v169, 0x80000000, v171
	v_xor_b32_e32 v179, 0x80000000, v173
	v_cmp_gt_f64_e32 vcc, 0, v[172:173]
	v_cmp_gt_f64_e64 s[0:1], 0, v[170:171]
	v_add_f64 v[174:175], v[174:175], v[176:177]
	v_mov_b32_e32 v176, v170
	v_mov_b32_e32 v178, v172
	v_cndmask_b32_e64 v177, v171, v169, s[0:1]
	v_cndmask_b32_e32 v179, v173, v179, vcc
	v_add_f64 v[176:177], v[176:177], v[178:179]
	v_mov_b32_e32 v180, s16
	s_add_i32 s16, s16, 1
	v_cmp_lt_f64_e32 vcc, v[174:175], v[176:177]
	v_add_u32_e32 v163, 16, v163
	s_cmp_lg_u32 s20, s16
	v_cndmask_b32_e32 v153, v153, v171, vcc
	v_cndmask_b32_e32 v152, v152, v170, vcc
	;; [unrolled: 1-line block ×5, first 2 shown]
	s_cbranch_scc1 .LBB74_43
.LBB74_44:
	s_waitcnt lgkmcnt(0)
	v_cmp_eq_f64_e32 vcc, 0, v[152:153]
	v_cmp_eq_f64_e64 s[0:1], 0, v[154:155]
	s_and_b64 s[0:1], vcc, s[0:1]
	s_and_saveexec_b64 s[16:17], s[0:1]
	s_xor_b64 s[0:1], exec, s[16:17]
; %bb.45:
	v_cmp_ne_u32_e32 vcc, 0, v166
	s_nop 1
	v_cndmask_b32_e32 v166, 3, v166, vcc
; %bb.46:
	s_andn2_saveexec_b64 s[0:1], s[0:1]
	s_cbranch_execz .LBB74_52
; %bb.47:
	v_cmp_ngt_f64_e64 s[16:17], |v[152:153]|, |v[154:155]|
	s_and_saveexec_b64 s[18:19], s[16:17]
	s_xor_b64 s[16:17], exec, s[18:19]
	s_cbranch_execz .LBB74_49
; %bb.48:
	v_div_scale_f64 v[170:171], s[18:19], v[154:155], v[154:155], v[152:153]
	v_rcp_f64_e32 v[172:173], v[170:171]
	v_div_scale_f64 v[174:175], vcc, v[152:153], v[154:155], v[152:153]
	v_fma_f64 v[176:177], -v[170:171], v[172:173], 1.0
	v_fmac_f64_e32 v[172:173], v[172:173], v[176:177]
	v_fma_f64 v[176:177], -v[170:171], v[172:173], 1.0
	v_fmac_f64_e32 v[172:173], v[172:173], v[176:177]
	v_mul_f64 v[176:177], v[174:175], v[172:173]
	v_fma_f64 v[170:171], -v[170:171], v[176:177], v[174:175]
	v_div_fmas_f64 v[170:171], v[170:171], v[172:173], v[176:177]
	v_div_fixup_f64 v[170:171], v[170:171], v[154:155], v[152:153]
	v_fmac_f64_e32 v[154:155], v[152:153], v[170:171]
	v_div_scale_f64 v[152:153], s[18:19], v[154:155], v[154:155], 1.0
	v_rcp_f64_e32 v[172:173], v[152:153]
	s_nop 0
	v_fma_f64 v[174:175], -v[152:153], v[172:173], 1.0
	v_fmac_f64_e32 v[172:173], v[172:173], v[174:175]
	v_fma_f64 v[174:175], -v[152:153], v[172:173], 1.0
	v_fmac_f64_e32 v[172:173], v[172:173], v[174:175]
	v_div_scale_f64 v[174:175], vcc, 1.0, v[154:155], 1.0
	v_mul_f64 v[176:177], v[174:175], v[172:173]
	v_fma_f64 v[152:153], -v[152:153], v[176:177], v[174:175]
	s_nop 1
	v_div_fmas_f64 v[152:153], v[152:153], v[172:173], v[176:177]
	v_div_fixup_f64 v[154:155], v[152:153], v[154:155], 1.0
	v_mul_f64 v[152:153], v[170:171], v[154:155]
	v_xor_b32_e32 v155, 0x80000000, v155
.LBB74_49:
	s_andn2_saveexec_b64 s[16:17], s[16:17]
	s_cbranch_execz .LBB74_51
; %bb.50:
	v_div_scale_f64 v[170:171], s[18:19], v[152:153], v[152:153], v[154:155]
	v_rcp_f64_e32 v[172:173], v[170:171]
	v_div_scale_f64 v[174:175], vcc, v[154:155], v[152:153], v[154:155]
	v_fma_f64 v[176:177], -v[170:171], v[172:173], 1.0
	v_fmac_f64_e32 v[172:173], v[172:173], v[176:177]
	v_fma_f64 v[176:177], -v[170:171], v[172:173], 1.0
	v_fmac_f64_e32 v[172:173], v[172:173], v[176:177]
	v_mul_f64 v[176:177], v[174:175], v[172:173]
	v_fma_f64 v[170:171], -v[170:171], v[176:177], v[174:175]
	v_div_fmas_f64 v[170:171], v[170:171], v[172:173], v[176:177]
	v_div_fixup_f64 v[170:171], v[170:171], v[152:153], v[154:155]
	v_fmac_f64_e32 v[152:153], v[154:155], v[170:171]
	v_div_scale_f64 v[154:155], s[18:19], v[152:153], v[152:153], 1.0
	v_rcp_f64_e32 v[172:173], v[154:155]
	s_nop 0
	v_fma_f64 v[174:175], -v[154:155], v[172:173], 1.0
	v_fmac_f64_e32 v[172:173], v[172:173], v[174:175]
	v_fma_f64 v[174:175], -v[154:155], v[172:173], 1.0
	v_fmac_f64_e32 v[172:173], v[172:173], v[174:175]
	v_div_scale_f64 v[174:175], vcc, 1.0, v[152:153], 1.0
	v_mul_f64 v[176:177], v[174:175], v[172:173]
	v_fma_f64 v[154:155], -v[154:155], v[176:177], v[174:175]
	s_nop 1
	v_div_fmas_f64 v[154:155], v[154:155], v[172:173], v[176:177]
	v_div_fixup_f64 v[152:153], v[154:155], v[152:153], 1.0
	v_mul_f64 v[154:155], v[170:171], -v[152:153]
.LBB74_51:
	s_or_b64 exec, exec, s[16:17]
.LBB74_52:
	s_or_b64 exec, exec, s[0:1]
	v_cmp_ne_u32_e32 vcc, v165, v162
	s_and_saveexec_b64 s[0:1], vcc
	s_xor_b64 s[0:1], exec, s[0:1]
	s_cbranch_execz .LBB74_58
; %bb.53:
	v_cmp_eq_u32_e32 vcc, 2, v165
	s_and_saveexec_b64 s[16:17], vcc
	s_cbranch_execz .LBB74_57
; %bb.54:
	v_cmp_ne_u32_e32 vcc, 2, v162
	s_xor_b64 s[18:19], s[14:15], -1
	s_and_b64 s[22:23], s[18:19], vcc
	s_and_saveexec_b64 s[18:19], s[22:23]
	s_cbranch_execz .LBB74_56
; %bb.55:
	v_ashrrev_i32_e32 v163, 31, v162
	v_lshl_add_u64 v[170:171], v[162:163], 2, v[160:161]
	global_load_dword v163, v[170:171], off
	global_load_dword v165, v[160:161], off offset:8
	s_waitcnt vmcnt(1)
	global_store_dword v[160:161], v163, off offset:8
	s_waitcnt vmcnt(1)
	global_store_dword v[170:171], v165, off
.LBB74_56:
	s_or_b64 exec, exec, s[18:19]
	v_mov_b32_e32 v165, v162
	v_mov_b32_e32 v167, v162
.LBB74_57:
	s_or_b64 exec, exec, s[16:17]
.LBB74_58:
	s_andn2_saveexec_b64 s[0:1], s[0:1]
	s_cbranch_execz .LBB74_60
; %bb.59:
	v_mov_b32_e32 v165, 2
	s_waitcnt vmcnt(34)
	ds_write2_b64 v164, v[140:141], v[142:143] offset0:6 offset1:7
	s_waitcnt vmcnt(33)
	ds_write2_b64 v164, v[136:137], v[138:139] offset0:8 offset1:9
	;; [unrolled: 2-line block ×35, first 2 shown]
.LBB74_60:
	s_or_b64 exec, exec, s[0:1]
	v_cmp_lt_i32_e32 vcc, 2, v165
	s_waitcnt lgkmcnt(0)
	s_barrier
	s_and_saveexec_b64 s[0:1], vcc
	s_cbranch_execz .LBB74_62
; %bb.61:
	ds_read2_b64 v[170:173], v164 offset0:6 offset1:7
	v_mul_f64 v[162:163], v[154:155], v[146:147]
	v_mul_f64 v[146:147], v[152:153], v[146:147]
	v_fmac_f64_e32 v[146:147], v[154:155], v[144:145]
	v_fma_f64 v[162:163], v[152:153], v[144:145], -v[162:163]
	ds_read2_b64 v[152:155], v164 offset0:8 offset1:9
	s_waitcnt lgkmcnt(1)
	v_mul_f64 v[144:145], v[172:173], v[146:147]
	v_fma_f64 v[144:145], v[170:171], v[162:163], -v[144:145]
	v_mul_f64 v[170:171], v[170:171], v[146:147]
	v_fmac_f64_e32 v[170:171], v[172:173], v[162:163]
	s_waitcnt vmcnt(34)
	v_add_f64 v[142:143], v[142:143], -v[170:171]
	ds_read2_b64 v[170:173], v164 offset0:10 offset1:11
	v_add_f64 v[140:141], v[140:141], -v[144:145]
	s_waitcnt lgkmcnt(1)
	v_mul_f64 v[144:145], v[154:155], v[146:147]
	v_fma_f64 v[144:145], v[152:153], v[162:163], -v[144:145]
	v_mul_f64 v[152:153], v[152:153], v[146:147]
	v_fmac_f64_e32 v[152:153], v[154:155], v[162:163]
	s_waitcnt vmcnt(33)
	v_add_f64 v[136:137], v[136:137], -v[144:145]
	v_add_f64 v[138:139], v[138:139], -v[152:153]
	ds_read2_b64 v[152:155], v164 offset0:12 offset1:13
	s_waitcnt lgkmcnt(1)
	v_mul_f64 v[144:145], v[172:173], v[146:147]
	v_fma_f64 v[144:145], v[170:171], v[162:163], -v[144:145]
	v_mul_f64 v[170:171], v[170:171], v[146:147]
	v_fmac_f64_e32 v[170:171], v[172:173], v[162:163]
	s_waitcnt vmcnt(32)
	v_add_f64 v[134:135], v[134:135], -v[170:171]
	ds_read2_b64 v[170:173], v164 offset0:14 offset1:15
	v_add_f64 v[132:133], v[132:133], -v[144:145]
	s_waitcnt lgkmcnt(1)
	v_mul_f64 v[144:145], v[154:155], v[146:147]
	v_fma_f64 v[144:145], v[152:153], v[162:163], -v[144:145]
	v_mul_f64 v[152:153], v[152:153], v[146:147]
	v_fmac_f64_e32 v[152:153], v[154:155], v[162:163]
	s_waitcnt vmcnt(31)
	v_add_f64 v[128:129], v[128:129], -v[144:145]
	v_add_f64 v[130:131], v[130:131], -v[152:153]
	;; [unrolled: 18-line block ×17, first 2 shown]
	s_waitcnt lgkmcnt(0)
	v_mul_f64 v[144:145], v[172:173], v[146:147]
	v_mul_f64 v[152:153], v[170:171], v[146:147]
	v_fma_f64 v[144:145], v[170:171], v[162:163], -v[144:145]
	v_fmac_f64_e32 v[152:153], v[172:173], v[162:163]
	s_waitcnt vmcnt(0)
	v_add_f64 v[148:149], v[148:149], -v[144:145]
	v_add_f64 v[150:151], v[150:151], -v[152:153]
	v_mov_b64_e32 v[144:145], v[162:163]
.LBB74_62:
	s_or_b64 exec, exec, s[0:1]
	v_lshl_add_u32 v152, v165, 4, v164
	s_barrier
	s_waitcnt vmcnt(34)
	ds_write2_b64 v152, v[140:141], v[142:143] offset1:1
	s_waitcnt lgkmcnt(0)
	s_barrier
	ds_read2_b64 v[152:155], v164 offset0:6 offset1:7
	s_mov_b32 s16, 4
	s_cmp_lt_i32 s20, 5
	v_mov_b32_e32 v162, 3
	s_cbranch_scc1 .LBB74_65
; %bb.63:
	v_add3_u32 v163, v168, 0, 64
	v_mov_b32_e32 v162, 3
.LBB74_64:                              ; =>This Inner Loop Header: Depth=1
	ds_read2_b64 v[168:171], v163 offset1:1
	s_waitcnt lgkmcnt(1)
	v_xor_b32_e32 v173, 0x80000000, v153
	v_xor_b32_e32 v175, 0x80000000, v155
	v_cmp_gt_f64_e32 vcc, 0, v[154:155]
	v_cmp_gt_f64_e64 s[0:1], 0, v[152:153]
	v_mov_b32_e32 v172, v152
	v_mov_b32_e32 v174, v154
	v_cndmask_b32_e64 v173, v153, v173, s[0:1]
	v_cndmask_b32_e32 v175, v155, v175, vcc
	v_add_f64 v[172:173], v[172:173], v[174:175]
	s_waitcnt lgkmcnt(0)
	v_xor_b32_e32 v175, 0x80000000, v169
	v_xor_b32_e32 v177, 0x80000000, v171
	v_cmp_gt_f64_e32 vcc, 0, v[170:171]
	v_cmp_gt_f64_e64 s[0:1], 0, v[168:169]
	v_mov_b32_e32 v174, v168
	v_mov_b32_e32 v176, v170
	v_cndmask_b32_e64 v175, v169, v175, s[0:1]
	v_cndmask_b32_e32 v177, v171, v177, vcc
	v_add_f64 v[174:175], v[174:175], v[176:177]
	v_mov_b32_e32 v178, s16
	s_add_i32 s16, s16, 1
	v_cmp_lt_f64_e32 vcc, v[172:173], v[174:175]
	v_add_u32_e32 v163, 16, v163
	s_cmp_lg_u32 s20, s16
	v_cndmask_b32_e32 v153, v153, v169, vcc
	v_cndmask_b32_e32 v152, v152, v168, vcc
	;; [unrolled: 1-line block ×5, first 2 shown]
	s_cbranch_scc1 .LBB74_64
.LBB74_65:
	s_waitcnt lgkmcnt(0)
	v_cmp_eq_f64_e32 vcc, 0, v[152:153]
	v_cmp_eq_f64_e64 s[0:1], 0, v[154:155]
	s_and_b64 s[0:1], vcc, s[0:1]
	s_and_saveexec_b64 s[16:17], s[0:1]
	s_xor_b64 s[0:1], exec, s[16:17]
; %bb.66:
	v_cmp_ne_u32_e32 vcc, 0, v166
	s_nop 1
	v_cndmask_b32_e32 v166, 4, v166, vcc
; %bb.67:
	s_andn2_saveexec_b64 s[0:1], s[0:1]
	s_cbranch_execz .LBB74_73
; %bb.68:
	v_cmp_ngt_f64_e64 s[16:17], |v[152:153]|, |v[154:155]|
	s_and_saveexec_b64 s[18:19], s[16:17]
	s_xor_b64 s[16:17], exec, s[18:19]
	s_cbranch_execz .LBB74_70
; %bb.69:
	v_div_scale_f64 v[168:169], s[18:19], v[154:155], v[154:155], v[152:153]
	v_rcp_f64_e32 v[170:171], v[168:169]
	v_div_scale_f64 v[172:173], vcc, v[152:153], v[154:155], v[152:153]
	v_fma_f64 v[174:175], -v[168:169], v[170:171], 1.0
	v_fmac_f64_e32 v[170:171], v[170:171], v[174:175]
	v_fma_f64 v[174:175], -v[168:169], v[170:171], 1.0
	v_fmac_f64_e32 v[170:171], v[170:171], v[174:175]
	v_mul_f64 v[174:175], v[172:173], v[170:171]
	v_fma_f64 v[168:169], -v[168:169], v[174:175], v[172:173]
	v_div_fmas_f64 v[168:169], v[168:169], v[170:171], v[174:175]
	v_div_fixup_f64 v[168:169], v[168:169], v[154:155], v[152:153]
	v_fmac_f64_e32 v[154:155], v[152:153], v[168:169]
	v_div_scale_f64 v[152:153], s[18:19], v[154:155], v[154:155], 1.0
	v_rcp_f64_e32 v[170:171], v[152:153]
	s_nop 0
	v_fma_f64 v[172:173], -v[152:153], v[170:171], 1.0
	v_fmac_f64_e32 v[170:171], v[170:171], v[172:173]
	v_fma_f64 v[172:173], -v[152:153], v[170:171], 1.0
	v_fmac_f64_e32 v[170:171], v[170:171], v[172:173]
	v_div_scale_f64 v[172:173], vcc, 1.0, v[154:155], 1.0
	v_mul_f64 v[174:175], v[172:173], v[170:171]
	v_fma_f64 v[152:153], -v[152:153], v[174:175], v[172:173]
	s_nop 1
	v_div_fmas_f64 v[152:153], v[152:153], v[170:171], v[174:175]
	v_div_fixup_f64 v[154:155], v[152:153], v[154:155], 1.0
	v_mul_f64 v[152:153], v[168:169], v[154:155]
	v_xor_b32_e32 v155, 0x80000000, v155
.LBB74_70:
	s_andn2_saveexec_b64 s[16:17], s[16:17]
	s_cbranch_execz .LBB74_72
; %bb.71:
	v_div_scale_f64 v[168:169], s[18:19], v[152:153], v[152:153], v[154:155]
	v_rcp_f64_e32 v[170:171], v[168:169]
	v_div_scale_f64 v[172:173], vcc, v[154:155], v[152:153], v[154:155]
	v_fma_f64 v[174:175], -v[168:169], v[170:171], 1.0
	v_fmac_f64_e32 v[170:171], v[170:171], v[174:175]
	v_fma_f64 v[174:175], -v[168:169], v[170:171], 1.0
	v_fmac_f64_e32 v[170:171], v[170:171], v[174:175]
	v_mul_f64 v[174:175], v[172:173], v[170:171]
	v_fma_f64 v[168:169], -v[168:169], v[174:175], v[172:173]
	v_div_fmas_f64 v[168:169], v[168:169], v[170:171], v[174:175]
	v_div_fixup_f64 v[168:169], v[168:169], v[152:153], v[154:155]
	v_fmac_f64_e32 v[152:153], v[154:155], v[168:169]
	v_div_scale_f64 v[154:155], s[18:19], v[152:153], v[152:153], 1.0
	v_rcp_f64_e32 v[170:171], v[154:155]
	s_nop 0
	v_fma_f64 v[172:173], -v[154:155], v[170:171], 1.0
	v_fmac_f64_e32 v[170:171], v[170:171], v[172:173]
	v_fma_f64 v[172:173], -v[154:155], v[170:171], 1.0
	v_fmac_f64_e32 v[170:171], v[170:171], v[172:173]
	v_div_scale_f64 v[172:173], vcc, 1.0, v[152:153], 1.0
	v_mul_f64 v[174:175], v[172:173], v[170:171]
	v_fma_f64 v[154:155], -v[154:155], v[174:175], v[172:173]
	s_nop 1
	v_div_fmas_f64 v[154:155], v[154:155], v[170:171], v[174:175]
	v_div_fixup_f64 v[152:153], v[154:155], v[152:153], 1.0
	v_mul_f64 v[154:155], v[168:169], -v[152:153]
.LBB74_72:
	s_or_b64 exec, exec, s[16:17]
.LBB74_73:
	s_or_b64 exec, exec, s[0:1]
	v_cmp_ne_u32_e32 vcc, v165, v162
	s_and_saveexec_b64 s[0:1], vcc
	s_xor_b64 s[0:1], exec, s[0:1]
	s_cbranch_execz .LBB74_79
; %bb.74:
	v_cmp_eq_u32_e32 vcc, 3, v165
	s_and_saveexec_b64 s[16:17], vcc
	s_cbranch_execz .LBB74_78
; %bb.75:
	v_cmp_ne_u32_e32 vcc, 3, v162
	s_xor_b64 s[18:19], s[14:15], -1
	s_and_b64 s[22:23], s[18:19], vcc
	s_and_saveexec_b64 s[18:19], s[22:23]
	s_cbranch_execz .LBB74_77
; %bb.76:
	v_ashrrev_i32_e32 v163, 31, v162
	v_lshl_add_u64 v[168:169], v[162:163], 2, v[160:161]
	global_load_dword v163, v[168:169], off
	global_load_dword v165, v[160:161], off offset:12
	s_waitcnt vmcnt(1)
	global_store_dword v[160:161], v163, off offset:12
	s_waitcnt vmcnt(1)
	global_store_dword v[168:169], v165, off
.LBB74_77:
	s_or_b64 exec, exec, s[18:19]
	v_mov_b32_e32 v165, v162
	v_mov_b32_e32 v167, v162
.LBB74_78:
	s_or_b64 exec, exec, s[16:17]
.LBB74_79:
	s_andn2_saveexec_b64 s[0:1], s[0:1]
	s_cbranch_execz .LBB74_81
; %bb.80:
	v_mov_b32_e32 v165, 3
	s_waitcnt vmcnt(33)
	ds_write2_b64 v164, v[136:137], v[138:139] offset0:8 offset1:9
	s_waitcnt vmcnt(32)
	ds_write2_b64 v164, v[132:133], v[134:135] offset0:10 offset1:11
	;; [unrolled: 2-line block ×34, first 2 shown]
.LBB74_81:
	s_or_b64 exec, exec, s[0:1]
	v_cmp_lt_i32_e32 vcc, 3, v165
	s_waitcnt lgkmcnt(0)
	s_barrier
	s_and_saveexec_b64 s[0:1], vcc
	s_cbranch_execz .LBB74_83
; %bb.82:
	ds_read2_b64 v[168:171], v164 offset0:8 offset1:9
	v_mul_f64 v[162:163], v[154:155], v[142:143]
	v_mul_f64 v[142:143], v[152:153], v[142:143]
	v_fma_f64 v[162:163], v[152:153], v[140:141], -v[162:163]
	v_fmac_f64_e32 v[142:143], v[154:155], v[140:141]
	ds_read2_b64 v[152:155], v164 offset0:10 offset1:11
	s_waitcnt lgkmcnt(1)
	v_mul_f64 v[140:141], v[170:171], v[142:143]
	v_fma_f64 v[140:141], v[168:169], v[162:163], -v[140:141]
	v_mul_f64 v[168:169], v[168:169], v[142:143]
	v_fmac_f64_e32 v[168:169], v[170:171], v[162:163]
	s_waitcnt vmcnt(33)
	v_add_f64 v[136:137], v[136:137], -v[140:141]
	s_waitcnt lgkmcnt(0)
	v_mul_f64 v[140:141], v[154:155], v[142:143]
	v_add_f64 v[138:139], v[138:139], -v[168:169]
	v_fma_f64 v[140:141], v[152:153], v[162:163], -v[140:141]
	v_mul_f64 v[152:153], v[152:153], v[142:143]
	ds_read2_b64 v[168:171], v164 offset0:12 offset1:13
	v_fmac_f64_e32 v[152:153], v[154:155], v[162:163]
	s_waitcnt vmcnt(32)
	v_add_f64 v[134:135], v[134:135], -v[152:153]
	ds_read2_b64 v[152:155], v164 offset0:14 offset1:15
	v_add_f64 v[132:133], v[132:133], -v[140:141]
	s_waitcnt lgkmcnt(1)
	v_mul_f64 v[140:141], v[170:171], v[142:143]
	v_fma_f64 v[140:141], v[168:169], v[162:163], -v[140:141]
	v_mul_f64 v[168:169], v[168:169], v[142:143]
	v_fmac_f64_e32 v[168:169], v[170:171], v[162:163]
	s_waitcnt vmcnt(31)
	v_add_f64 v[128:129], v[128:129], -v[140:141]
	s_waitcnt lgkmcnt(0)
	v_mul_f64 v[140:141], v[154:155], v[142:143]
	v_add_f64 v[130:131], v[130:131], -v[168:169]
	v_fma_f64 v[140:141], v[152:153], v[162:163], -v[140:141]
	v_mul_f64 v[152:153], v[152:153], v[142:143]
	ds_read2_b64 v[168:171], v164 offset0:16 offset1:17
	v_fmac_f64_e32 v[152:153], v[154:155], v[162:163]
	s_waitcnt vmcnt(30)
	v_add_f64 v[126:127], v[126:127], -v[152:153]
	ds_read2_b64 v[152:155], v164 offset0:18 offset1:19
	v_add_f64 v[124:125], v[124:125], -v[140:141]
	s_waitcnt lgkmcnt(1)
	v_mul_f64 v[140:141], v[170:171], v[142:143]
	v_fma_f64 v[140:141], v[168:169], v[162:163], -v[140:141]
	v_mul_f64 v[168:169], v[168:169], v[142:143]
	v_fmac_f64_e32 v[168:169], v[170:171], v[162:163]
	s_waitcnt vmcnt(29)
	v_add_f64 v[120:121], v[120:121], -v[140:141]
	s_waitcnt lgkmcnt(0)
	v_mul_f64 v[140:141], v[154:155], v[142:143]
	v_add_f64 v[122:123], v[122:123], -v[168:169]
	v_fma_f64 v[140:141], v[152:153], v[162:163], -v[140:141]
	v_mul_f64 v[152:153], v[152:153], v[142:143]
	ds_read2_b64 v[168:171], v164 offset0:20 offset1:21
	v_fmac_f64_e32 v[152:153], v[154:155], v[162:163]
	s_waitcnt vmcnt(28)
	v_add_f64 v[118:119], v[118:119], -v[152:153]
	ds_read2_b64 v[152:155], v164 offset0:22 offset1:23
	v_add_f64 v[116:117], v[116:117], -v[140:141]
	s_waitcnt lgkmcnt(1)
	v_mul_f64 v[140:141], v[170:171], v[142:143]
	v_fma_f64 v[140:141], v[168:169], v[162:163], -v[140:141]
	v_mul_f64 v[168:169], v[168:169], v[142:143]
	v_fmac_f64_e32 v[168:169], v[170:171], v[162:163]
	s_waitcnt vmcnt(27)
	v_add_f64 v[112:113], v[112:113], -v[140:141]
	s_waitcnt lgkmcnt(0)
	v_mul_f64 v[140:141], v[154:155], v[142:143]
	v_add_f64 v[114:115], v[114:115], -v[168:169]
	v_fma_f64 v[140:141], v[152:153], v[162:163], -v[140:141]
	v_mul_f64 v[152:153], v[152:153], v[142:143]
	ds_read2_b64 v[168:171], v164 offset0:24 offset1:25
	v_fmac_f64_e32 v[152:153], v[154:155], v[162:163]
	s_waitcnt vmcnt(26)
	v_add_f64 v[110:111], v[110:111], -v[152:153]
	ds_read2_b64 v[152:155], v164 offset0:26 offset1:27
	v_add_f64 v[108:109], v[108:109], -v[140:141]
	s_waitcnt lgkmcnt(1)
	v_mul_f64 v[140:141], v[170:171], v[142:143]
	v_fma_f64 v[140:141], v[168:169], v[162:163], -v[140:141]
	v_mul_f64 v[168:169], v[168:169], v[142:143]
	v_fmac_f64_e32 v[168:169], v[170:171], v[162:163]
	s_waitcnt vmcnt(25)
	v_add_f64 v[104:105], v[104:105], -v[140:141]
	s_waitcnt lgkmcnt(0)
	v_mul_f64 v[140:141], v[154:155], v[142:143]
	v_add_f64 v[106:107], v[106:107], -v[168:169]
	v_fma_f64 v[140:141], v[152:153], v[162:163], -v[140:141]
	v_mul_f64 v[152:153], v[152:153], v[142:143]
	ds_read2_b64 v[168:171], v164 offset0:28 offset1:29
	v_fmac_f64_e32 v[152:153], v[154:155], v[162:163]
	s_waitcnt vmcnt(24)
	v_add_f64 v[94:95], v[94:95], -v[152:153]
	ds_read2_b64 v[152:155], v164 offset0:30 offset1:31
	v_add_f64 v[92:93], v[92:93], -v[140:141]
	s_waitcnt lgkmcnt(1)
	v_mul_f64 v[140:141], v[170:171], v[142:143]
	v_fma_f64 v[140:141], v[168:169], v[162:163], -v[140:141]
	v_mul_f64 v[168:169], v[168:169], v[142:143]
	v_fmac_f64_e32 v[168:169], v[170:171], v[162:163]
	s_waitcnt vmcnt(23)
	v_add_f64 v[88:89], v[88:89], -v[140:141]
	s_waitcnt lgkmcnt(0)
	v_mul_f64 v[140:141], v[154:155], v[142:143]
	v_add_f64 v[90:91], v[90:91], -v[168:169]
	v_fma_f64 v[140:141], v[152:153], v[162:163], -v[140:141]
	v_mul_f64 v[152:153], v[152:153], v[142:143]
	ds_read2_b64 v[168:171], v164 offset0:32 offset1:33
	v_fmac_f64_e32 v[152:153], v[154:155], v[162:163]
	s_waitcnt vmcnt(22)
	v_add_f64 v[86:87], v[86:87], -v[152:153]
	ds_read2_b64 v[152:155], v164 offset0:34 offset1:35
	v_add_f64 v[84:85], v[84:85], -v[140:141]
	s_waitcnt lgkmcnt(1)
	v_mul_f64 v[140:141], v[170:171], v[142:143]
	v_fma_f64 v[140:141], v[168:169], v[162:163], -v[140:141]
	v_mul_f64 v[168:169], v[168:169], v[142:143]
	v_fmac_f64_e32 v[168:169], v[170:171], v[162:163]
	s_waitcnt vmcnt(21)
	v_add_f64 v[80:81], v[80:81], -v[140:141]
	s_waitcnt lgkmcnt(0)
	v_mul_f64 v[140:141], v[154:155], v[142:143]
	v_add_f64 v[82:83], v[82:83], -v[168:169]
	v_fma_f64 v[140:141], v[152:153], v[162:163], -v[140:141]
	v_mul_f64 v[152:153], v[152:153], v[142:143]
	ds_read2_b64 v[168:171], v164 offset0:36 offset1:37
	v_fmac_f64_e32 v[152:153], v[154:155], v[162:163]
	s_waitcnt vmcnt(20)
	v_add_f64 v[78:79], v[78:79], -v[152:153]
	ds_read2_b64 v[152:155], v164 offset0:38 offset1:39
	v_add_f64 v[76:77], v[76:77], -v[140:141]
	s_waitcnt lgkmcnt(1)
	v_mul_f64 v[140:141], v[170:171], v[142:143]
	v_fma_f64 v[140:141], v[168:169], v[162:163], -v[140:141]
	v_mul_f64 v[168:169], v[168:169], v[142:143]
	v_fmac_f64_e32 v[168:169], v[170:171], v[162:163]
	s_waitcnt vmcnt(19)
	v_add_f64 v[72:73], v[72:73], -v[140:141]
	s_waitcnt lgkmcnt(0)
	v_mul_f64 v[140:141], v[154:155], v[142:143]
	v_add_f64 v[74:75], v[74:75], -v[168:169]
	v_fma_f64 v[140:141], v[152:153], v[162:163], -v[140:141]
	v_mul_f64 v[152:153], v[152:153], v[142:143]
	ds_read2_b64 v[168:171], v164 offset0:40 offset1:41
	v_fmac_f64_e32 v[152:153], v[154:155], v[162:163]
	s_waitcnt vmcnt(18)
	v_add_f64 v[70:71], v[70:71], -v[152:153]
	ds_read2_b64 v[152:155], v164 offset0:42 offset1:43
	v_add_f64 v[68:69], v[68:69], -v[140:141]
	s_waitcnt lgkmcnt(1)
	v_mul_f64 v[140:141], v[170:171], v[142:143]
	v_fma_f64 v[140:141], v[168:169], v[162:163], -v[140:141]
	v_mul_f64 v[168:169], v[168:169], v[142:143]
	v_fmac_f64_e32 v[168:169], v[170:171], v[162:163]
	s_waitcnt vmcnt(17)
	v_add_f64 v[64:65], v[64:65], -v[140:141]
	s_waitcnt lgkmcnt(0)
	v_mul_f64 v[140:141], v[154:155], v[142:143]
	v_add_f64 v[66:67], v[66:67], -v[168:169]
	v_fma_f64 v[140:141], v[152:153], v[162:163], -v[140:141]
	v_mul_f64 v[152:153], v[152:153], v[142:143]
	ds_read2_b64 v[168:171], v164 offset0:44 offset1:45
	v_fmac_f64_e32 v[152:153], v[154:155], v[162:163]
	s_waitcnt vmcnt(16)
	v_add_f64 v[62:63], v[62:63], -v[152:153]
	ds_read2_b64 v[152:155], v164 offset0:46 offset1:47
	v_add_f64 v[60:61], v[60:61], -v[140:141]
	s_waitcnt lgkmcnt(1)
	v_mul_f64 v[140:141], v[170:171], v[142:143]
	v_fma_f64 v[140:141], v[168:169], v[162:163], -v[140:141]
	v_mul_f64 v[168:169], v[168:169], v[142:143]
	v_fmac_f64_e32 v[168:169], v[170:171], v[162:163]
	s_waitcnt vmcnt(15)
	v_add_f64 v[56:57], v[56:57], -v[140:141]
	s_waitcnt lgkmcnt(0)
	v_mul_f64 v[140:141], v[154:155], v[142:143]
	v_add_f64 v[58:59], v[58:59], -v[168:169]
	v_fma_f64 v[140:141], v[152:153], v[162:163], -v[140:141]
	v_mul_f64 v[152:153], v[152:153], v[142:143]
	ds_read2_b64 v[168:171], v164 offset0:48 offset1:49
	v_fmac_f64_e32 v[152:153], v[154:155], v[162:163]
	s_waitcnt vmcnt(14)
	v_add_f64 v[54:55], v[54:55], -v[152:153]
	ds_read2_b64 v[152:155], v164 offset0:50 offset1:51
	v_add_f64 v[52:53], v[52:53], -v[140:141]
	s_waitcnt lgkmcnt(1)
	v_mul_f64 v[140:141], v[170:171], v[142:143]
	v_fma_f64 v[140:141], v[168:169], v[162:163], -v[140:141]
	v_mul_f64 v[168:169], v[168:169], v[142:143]
	v_fmac_f64_e32 v[168:169], v[170:171], v[162:163]
	s_waitcnt vmcnt(13)
	v_add_f64 v[48:49], v[48:49], -v[140:141]
	s_waitcnt lgkmcnt(0)
	v_mul_f64 v[140:141], v[154:155], v[142:143]
	v_add_f64 v[50:51], v[50:51], -v[168:169]
	v_fma_f64 v[140:141], v[152:153], v[162:163], -v[140:141]
	v_mul_f64 v[152:153], v[152:153], v[142:143]
	ds_read2_b64 v[168:171], v164 offset0:52 offset1:53
	v_fmac_f64_e32 v[152:153], v[154:155], v[162:163]
	s_waitcnt vmcnt(12)
	v_add_f64 v[46:47], v[46:47], -v[152:153]
	ds_read2_b64 v[152:155], v164 offset0:54 offset1:55
	v_add_f64 v[44:45], v[44:45], -v[140:141]
	s_waitcnt lgkmcnt(1)
	v_mul_f64 v[140:141], v[170:171], v[142:143]
	v_fma_f64 v[140:141], v[168:169], v[162:163], -v[140:141]
	v_mul_f64 v[168:169], v[168:169], v[142:143]
	v_fmac_f64_e32 v[168:169], v[170:171], v[162:163]
	s_waitcnt vmcnt(11)
	v_add_f64 v[40:41], v[40:41], -v[140:141]
	s_waitcnt lgkmcnt(0)
	v_mul_f64 v[140:141], v[154:155], v[142:143]
	v_add_f64 v[42:43], v[42:43], -v[168:169]
	v_fma_f64 v[140:141], v[152:153], v[162:163], -v[140:141]
	v_mul_f64 v[152:153], v[152:153], v[142:143]
	ds_read2_b64 v[168:171], v164 offset0:56 offset1:57
	v_fmac_f64_e32 v[152:153], v[154:155], v[162:163]
	s_waitcnt vmcnt(10)
	v_add_f64 v[38:39], v[38:39], -v[152:153]
	ds_read2_b64 v[152:155], v164 offset0:58 offset1:59
	v_add_f64 v[36:37], v[36:37], -v[140:141]
	s_waitcnt lgkmcnt(1)
	v_mul_f64 v[140:141], v[170:171], v[142:143]
	v_fma_f64 v[140:141], v[168:169], v[162:163], -v[140:141]
	v_mul_f64 v[168:169], v[168:169], v[142:143]
	v_fmac_f64_e32 v[168:169], v[170:171], v[162:163]
	s_waitcnt vmcnt(9)
	v_add_f64 v[32:33], v[32:33], -v[140:141]
	s_waitcnt lgkmcnt(0)
	v_mul_f64 v[140:141], v[154:155], v[142:143]
	v_add_f64 v[34:35], v[34:35], -v[168:169]
	v_fma_f64 v[140:141], v[152:153], v[162:163], -v[140:141]
	v_mul_f64 v[152:153], v[152:153], v[142:143]
	ds_read2_b64 v[168:171], v164 offset0:60 offset1:61
	v_fmac_f64_e32 v[152:153], v[154:155], v[162:163]
	s_waitcnt vmcnt(8)
	v_add_f64 v[30:31], v[30:31], -v[152:153]
	ds_read2_b64 v[152:155], v164 offset0:62 offset1:63
	v_add_f64 v[28:29], v[28:29], -v[140:141]
	s_waitcnt lgkmcnt(1)
	v_mul_f64 v[140:141], v[170:171], v[142:143]
	v_fma_f64 v[140:141], v[168:169], v[162:163], -v[140:141]
	v_mul_f64 v[168:169], v[168:169], v[142:143]
	v_fmac_f64_e32 v[168:169], v[170:171], v[162:163]
	s_waitcnt vmcnt(7)
	v_add_f64 v[24:25], v[24:25], -v[140:141]
	s_waitcnt lgkmcnt(0)
	v_mul_f64 v[140:141], v[154:155], v[142:143]
	v_add_f64 v[26:27], v[26:27], -v[168:169]
	v_fma_f64 v[140:141], v[152:153], v[162:163], -v[140:141]
	v_mul_f64 v[152:153], v[152:153], v[142:143]
	ds_read2_b64 v[168:171], v164 offset0:64 offset1:65
	v_fmac_f64_e32 v[152:153], v[154:155], v[162:163]
	s_waitcnt vmcnt(6)
	v_add_f64 v[22:23], v[22:23], -v[152:153]
	ds_read2_b64 v[152:155], v164 offset0:66 offset1:67
	v_add_f64 v[20:21], v[20:21], -v[140:141]
	s_waitcnt lgkmcnt(1)
	v_mul_f64 v[140:141], v[170:171], v[142:143]
	v_fma_f64 v[140:141], v[168:169], v[162:163], -v[140:141]
	v_mul_f64 v[168:169], v[168:169], v[142:143]
	v_fmac_f64_e32 v[168:169], v[170:171], v[162:163]
	s_waitcnt vmcnt(5)
	v_add_f64 v[16:17], v[16:17], -v[140:141]
	s_waitcnt lgkmcnt(0)
	v_mul_f64 v[140:141], v[154:155], v[142:143]
	v_add_f64 v[18:19], v[18:19], -v[168:169]
	v_fma_f64 v[140:141], v[152:153], v[162:163], -v[140:141]
	v_mul_f64 v[152:153], v[152:153], v[142:143]
	ds_read2_b64 v[168:171], v164 offset0:68 offset1:69
	v_fmac_f64_e32 v[152:153], v[154:155], v[162:163]
	s_waitcnt vmcnt(4)
	v_add_f64 v[14:15], v[14:15], -v[152:153]
	ds_read2_b64 v[152:155], v164 offset0:70 offset1:71
	v_add_f64 v[12:13], v[12:13], -v[140:141]
	s_waitcnt lgkmcnt(1)
	v_mul_f64 v[140:141], v[170:171], v[142:143]
	v_fma_f64 v[140:141], v[168:169], v[162:163], -v[140:141]
	v_mul_f64 v[168:169], v[168:169], v[142:143]
	v_fmac_f64_e32 v[168:169], v[170:171], v[162:163]
	s_waitcnt vmcnt(3)
	v_add_f64 v[8:9], v[8:9], -v[140:141]
	s_waitcnt lgkmcnt(0)
	v_mul_f64 v[140:141], v[154:155], v[142:143]
	v_add_f64 v[10:11], v[10:11], -v[168:169]
	v_fma_f64 v[140:141], v[152:153], v[162:163], -v[140:141]
	v_mul_f64 v[152:153], v[152:153], v[142:143]
	ds_read2_b64 v[168:171], v164 offset0:72 offset1:73
	v_fmac_f64_e32 v[152:153], v[154:155], v[162:163]
	s_waitcnt vmcnt(2)
	v_add_f64 v[6:7], v[6:7], -v[152:153]
	ds_read2_b64 v[152:155], v164 offset0:74 offset1:75
	v_add_f64 v[4:5], v[4:5], -v[140:141]
	s_waitcnt lgkmcnt(1)
	v_mul_f64 v[140:141], v[170:171], v[142:143]
	v_fma_f64 v[140:141], v[168:169], v[162:163], -v[140:141]
	s_waitcnt vmcnt(1)
	v_add_f64 v[0:1], v[0:1], -v[140:141]
	s_waitcnt lgkmcnt(0)
	v_mul_f64 v[140:141], v[154:155], v[142:143]
	v_mul_f64 v[168:169], v[168:169], v[142:143]
	v_fma_f64 v[140:141], v[152:153], v[162:163], -v[140:141]
	v_mul_f64 v[152:153], v[152:153], v[142:143]
	v_fmac_f64_e32 v[168:169], v[170:171], v[162:163]
	v_fmac_f64_e32 v[152:153], v[154:155], v[162:163]
	v_add_f64 v[2:3], v[2:3], -v[168:169]
	s_waitcnt vmcnt(0)
	v_add_f64 v[148:149], v[148:149], -v[140:141]
	v_add_f64 v[150:151], v[150:151], -v[152:153]
	v_mov_b64_e32 v[140:141], v[162:163]
.LBB74_83:
	s_or_b64 exec, exec, s[0:1]
	v_lshl_add_u32 v152, v165, 4, v164
	s_barrier
	s_waitcnt vmcnt(33)
	ds_write2_b64 v152, v[136:137], v[138:139] offset1:1
	s_waitcnt lgkmcnt(0)
	s_barrier
	ds_read2_b64 v[152:155], v164 offset0:8 offset1:9
	s_cmp_lt_i32 s20, 6
	v_mov_b32_e32 v162, 4
	s_cbranch_scc1 .LBB74_86
; %bb.84:
	v_mov_b32_e32 v162, 4
	v_add_u32_e32 v163, 0x50, v164
	s_mov_b32 s16, 5
.LBB74_85:                              ; =>This Inner Loop Header: Depth=1
	ds_read2_b64 v[168:171], v163 offset1:1
	s_waitcnt lgkmcnt(1)
	v_xor_b32_e32 v173, 0x80000000, v153
	v_xor_b32_e32 v175, 0x80000000, v155
	v_cmp_gt_f64_e32 vcc, 0, v[154:155]
	v_cmp_gt_f64_e64 s[0:1], 0, v[152:153]
	v_mov_b32_e32 v172, v152
	v_mov_b32_e32 v174, v154
	v_cndmask_b32_e64 v173, v153, v173, s[0:1]
	v_cndmask_b32_e32 v175, v155, v175, vcc
	v_add_f64 v[172:173], v[172:173], v[174:175]
	s_waitcnt lgkmcnt(0)
	v_xor_b32_e32 v175, 0x80000000, v169
	v_xor_b32_e32 v177, 0x80000000, v171
	v_cmp_gt_f64_e32 vcc, 0, v[170:171]
	v_cmp_gt_f64_e64 s[0:1], 0, v[168:169]
	v_mov_b32_e32 v174, v168
	v_mov_b32_e32 v176, v170
	v_cndmask_b32_e64 v175, v169, v175, s[0:1]
	v_cndmask_b32_e32 v177, v171, v177, vcc
	v_add_f64 v[174:175], v[174:175], v[176:177]
	v_mov_b32_e32 v178, s16
	s_add_i32 s16, s16, 1
	v_cmp_lt_f64_e32 vcc, v[172:173], v[174:175]
	v_add_u32_e32 v163, 16, v163
	s_cmp_lg_u32 s20, s16
	v_cndmask_b32_e32 v153, v153, v169, vcc
	v_cndmask_b32_e32 v152, v152, v168, vcc
	;; [unrolled: 1-line block ×5, first 2 shown]
	s_cbranch_scc1 .LBB74_85
.LBB74_86:
	s_waitcnt lgkmcnt(0)
	v_cmp_eq_f64_e32 vcc, 0, v[152:153]
	v_cmp_eq_f64_e64 s[0:1], 0, v[154:155]
	s_and_b64 s[0:1], vcc, s[0:1]
	s_and_saveexec_b64 s[16:17], s[0:1]
	s_xor_b64 s[0:1], exec, s[16:17]
; %bb.87:
	v_cmp_ne_u32_e32 vcc, 0, v166
	s_nop 1
	v_cndmask_b32_e32 v166, 5, v166, vcc
; %bb.88:
	s_andn2_saveexec_b64 s[0:1], s[0:1]
	s_cbranch_execz .LBB74_94
; %bb.89:
	v_cmp_ngt_f64_e64 s[16:17], |v[152:153]|, |v[154:155]|
	s_and_saveexec_b64 s[18:19], s[16:17]
	s_xor_b64 s[16:17], exec, s[18:19]
	s_cbranch_execz .LBB74_91
; %bb.90:
	v_div_scale_f64 v[168:169], s[18:19], v[154:155], v[154:155], v[152:153]
	v_rcp_f64_e32 v[170:171], v[168:169]
	v_div_scale_f64 v[172:173], vcc, v[152:153], v[154:155], v[152:153]
	v_fma_f64 v[174:175], -v[168:169], v[170:171], 1.0
	v_fmac_f64_e32 v[170:171], v[170:171], v[174:175]
	v_fma_f64 v[174:175], -v[168:169], v[170:171], 1.0
	v_fmac_f64_e32 v[170:171], v[170:171], v[174:175]
	v_mul_f64 v[174:175], v[172:173], v[170:171]
	v_fma_f64 v[168:169], -v[168:169], v[174:175], v[172:173]
	v_div_fmas_f64 v[168:169], v[168:169], v[170:171], v[174:175]
	v_div_fixup_f64 v[168:169], v[168:169], v[154:155], v[152:153]
	v_fmac_f64_e32 v[154:155], v[152:153], v[168:169]
	v_div_scale_f64 v[152:153], s[18:19], v[154:155], v[154:155], 1.0
	v_rcp_f64_e32 v[170:171], v[152:153]
	s_nop 0
	v_fma_f64 v[172:173], -v[152:153], v[170:171], 1.0
	v_fmac_f64_e32 v[170:171], v[170:171], v[172:173]
	v_fma_f64 v[172:173], -v[152:153], v[170:171], 1.0
	v_fmac_f64_e32 v[170:171], v[170:171], v[172:173]
	v_div_scale_f64 v[172:173], vcc, 1.0, v[154:155], 1.0
	v_mul_f64 v[174:175], v[172:173], v[170:171]
	v_fma_f64 v[152:153], -v[152:153], v[174:175], v[172:173]
	s_nop 1
	v_div_fmas_f64 v[152:153], v[152:153], v[170:171], v[174:175]
	v_div_fixup_f64 v[154:155], v[152:153], v[154:155], 1.0
	v_mul_f64 v[152:153], v[168:169], v[154:155]
	v_xor_b32_e32 v155, 0x80000000, v155
.LBB74_91:
	s_andn2_saveexec_b64 s[16:17], s[16:17]
	s_cbranch_execz .LBB74_93
; %bb.92:
	v_div_scale_f64 v[168:169], s[18:19], v[152:153], v[152:153], v[154:155]
	v_rcp_f64_e32 v[170:171], v[168:169]
	v_div_scale_f64 v[172:173], vcc, v[154:155], v[152:153], v[154:155]
	v_fma_f64 v[174:175], -v[168:169], v[170:171], 1.0
	v_fmac_f64_e32 v[170:171], v[170:171], v[174:175]
	v_fma_f64 v[174:175], -v[168:169], v[170:171], 1.0
	v_fmac_f64_e32 v[170:171], v[170:171], v[174:175]
	v_mul_f64 v[174:175], v[172:173], v[170:171]
	v_fma_f64 v[168:169], -v[168:169], v[174:175], v[172:173]
	v_div_fmas_f64 v[168:169], v[168:169], v[170:171], v[174:175]
	v_div_fixup_f64 v[168:169], v[168:169], v[152:153], v[154:155]
	v_fmac_f64_e32 v[152:153], v[154:155], v[168:169]
	v_div_scale_f64 v[154:155], s[18:19], v[152:153], v[152:153], 1.0
	v_rcp_f64_e32 v[170:171], v[154:155]
	s_nop 0
	v_fma_f64 v[172:173], -v[154:155], v[170:171], 1.0
	v_fmac_f64_e32 v[170:171], v[170:171], v[172:173]
	v_fma_f64 v[172:173], -v[154:155], v[170:171], 1.0
	v_fmac_f64_e32 v[170:171], v[170:171], v[172:173]
	v_div_scale_f64 v[172:173], vcc, 1.0, v[152:153], 1.0
	v_mul_f64 v[174:175], v[172:173], v[170:171]
	v_fma_f64 v[154:155], -v[154:155], v[174:175], v[172:173]
	s_nop 1
	v_div_fmas_f64 v[154:155], v[154:155], v[170:171], v[174:175]
	v_div_fixup_f64 v[152:153], v[154:155], v[152:153], 1.0
	v_mul_f64 v[154:155], v[168:169], -v[152:153]
.LBB74_93:
	s_or_b64 exec, exec, s[16:17]
.LBB74_94:
	s_or_b64 exec, exec, s[0:1]
	v_cmp_ne_u32_e32 vcc, v165, v162
	s_and_saveexec_b64 s[0:1], vcc
	s_xor_b64 s[0:1], exec, s[0:1]
	s_cbranch_execz .LBB74_100
; %bb.95:
	v_cmp_eq_u32_e32 vcc, 4, v165
	s_and_saveexec_b64 s[16:17], vcc
	s_cbranch_execz .LBB74_99
; %bb.96:
	v_cmp_ne_u32_e32 vcc, 4, v162
	s_xor_b64 s[18:19], s[14:15], -1
	s_and_b64 s[22:23], s[18:19], vcc
	s_and_saveexec_b64 s[18:19], s[22:23]
	s_cbranch_execz .LBB74_98
; %bb.97:
	v_ashrrev_i32_e32 v163, 31, v162
	v_lshl_add_u64 v[168:169], v[162:163], 2, v[160:161]
	global_load_dword v163, v[168:169], off
	global_load_dword v165, v[160:161], off offset:16
	s_waitcnt vmcnt(1)
	global_store_dword v[160:161], v163, off offset:16
	s_waitcnt vmcnt(1)
	global_store_dword v[168:169], v165, off
.LBB74_98:
	s_or_b64 exec, exec, s[18:19]
	v_mov_b32_e32 v165, v162
	v_mov_b32_e32 v167, v162
.LBB74_99:
	s_or_b64 exec, exec, s[16:17]
.LBB74_100:
	s_andn2_saveexec_b64 s[0:1], s[0:1]
	s_cbranch_execz .LBB74_102
; %bb.101:
	v_mov_b32_e32 v165, 4
	s_waitcnt vmcnt(32)
	ds_write2_b64 v164, v[132:133], v[134:135] offset0:10 offset1:11
	s_waitcnt vmcnt(31)
	ds_write2_b64 v164, v[128:129], v[130:131] offset0:12 offset1:13
	;; [unrolled: 2-line block ×33, first 2 shown]
.LBB74_102:
	s_or_b64 exec, exec, s[0:1]
	v_cmp_lt_i32_e32 vcc, 4, v165
	s_waitcnt lgkmcnt(0)
	s_barrier
	s_and_saveexec_b64 s[0:1], vcc
	s_cbranch_execz .LBB74_104
; %bb.103:
	ds_read2_b64 v[168:171], v164 offset0:10 offset1:11
	v_mul_f64 v[162:163], v[154:155], v[138:139]
	v_mul_f64 v[138:139], v[152:153], v[138:139]
	v_fmac_f64_e32 v[138:139], v[154:155], v[136:137]
	v_fma_f64 v[162:163], v[152:153], v[136:137], -v[162:163]
	ds_read2_b64 v[152:155], v164 offset0:12 offset1:13
	s_waitcnt lgkmcnt(1)
	v_mul_f64 v[136:137], v[170:171], v[138:139]
	v_fma_f64 v[136:137], v[168:169], v[162:163], -v[136:137]
	v_mul_f64 v[168:169], v[168:169], v[138:139]
	v_fmac_f64_e32 v[168:169], v[170:171], v[162:163]
	s_waitcnt vmcnt(32)
	v_add_f64 v[134:135], v[134:135], -v[168:169]
	ds_read2_b64 v[168:171], v164 offset0:14 offset1:15
	v_add_f64 v[132:133], v[132:133], -v[136:137]
	s_waitcnt lgkmcnt(1)
	v_mul_f64 v[136:137], v[154:155], v[138:139]
	v_fma_f64 v[136:137], v[152:153], v[162:163], -v[136:137]
	v_mul_f64 v[152:153], v[152:153], v[138:139]
	v_fmac_f64_e32 v[152:153], v[154:155], v[162:163]
	s_waitcnt vmcnt(31)
	v_add_f64 v[128:129], v[128:129], -v[136:137]
	v_add_f64 v[130:131], v[130:131], -v[152:153]
	ds_read2_b64 v[152:155], v164 offset0:16 offset1:17
	s_waitcnt lgkmcnt(1)
	v_mul_f64 v[136:137], v[170:171], v[138:139]
	v_fma_f64 v[136:137], v[168:169], v[162:163], -v[136:137]
	v_mul_f64 v[168:169], v[168:169], v[138:139]
	v_fmac_f64_e32 v[168:169], v[170:171], v[162:163]
	s_waitcnt vmcnt(30)
	v_add_f64 v[126:127], v[126:127], -v[168:169]
	ds_read2_b64 v[168:171], v164 offset0:18 offset1:19
	v_add_f64 v[124:125], v[124:125], -v[136:137]
	s_waitcnt lgkmcnt(1)
	v_mul_f64 v[136:137], v[154:155], v[138:139]
	v_fma_f64 v[136:137], v[152:153], v[162:163], -v[136:137]
	v_mul_f64 v[152:153], v[152:153], v[138:139]
	v_fmac_f64_e32 v[152:153], v[154:155], v[162:163]
	s_waitcnt vmcnt(29)
	v_add_f64 v[120:121], v[120:121], -v[136:137]
	v_add_f64 v[122:123], v[122:123], -v[152:153]
	;; [unrolled: 18-line block ×16, first 2 shown]
	s_waitcnt lgkmcnt(0)
	v_mul_f64 v[136:137], v[170:171], v[138:139]
	v_mul_f64 v[152:153], v[168:169], v[138:139]
	v_fma_f64 v[136:137], v[168:169], v[162:163], -v[136:137]
	v_fmac_f64_e32 v[152:153], v[170:171], v[162:163]
	s_waitcnt vmcnt(0)
	v_add_f64 v[148:149], v[148:149], -v[136:137]
	v_add_f64 v[150:151], v[150:151], -v[152:153]
	v_mov_b64_e32 v[136:137], v[162:163]
.LBB74_104:
	s_or_b64 exec, exec, s[0:1]
	v_lshl_add_u32 v152, v165, 4, v164
	s_barrier
	s_waitcnt vmcnt(32)
	ds_write2_b64 v152, v[132:133], v[134:135] offset1:1
	s_waitcnt lgkmcnt(0)
	s_barrier
	ds_read2_b64 v[152:155], v164 offset0:10 offset1:11
	s_cmp_lt_i32 s20, 7
	v_mov_b32_e32 v162, 5
	s_cbranch_scc1 .LBB74_107
; %bb.105:
	v_add_u32_e32 v163, 0x60, v164
	s_mov_b32 s16, 6
	v_mov_b32_e32 v162, 5
.LBB74_106:                             ; =>This Inner Loop Header: Depth=1
	ds_read2_b64 v[168:171], v163 offset1:1
	s_waitcnt lgkmcnt(1)
	v_xor_b32_e32 v173, 0x80000000, v153
	v_xor_b32_e32 v175, 0x80000000, v155
	v_cmp_gt_f64_e32 vcc, 0, v[154:155]
	v_cmp_gt_f64_e64 s[0:1], 0, v[152:153]
	v_mov_b32_e32 v172, v152
	v_mov_b32_e32 v174, v154
	v_cndmask_b32_e64 v173, v153, v173, s[0:1]
	v_cndmask_b32_e32 v175, v155, v175, vcc
	v_add_f64 v[172:173], v[172:173], v[174:175]
	s_waitcnt lgkmcnt(0)
	v_xor_b32_e32 v175, 0x80000000, v169
	v_xor_b32_e32 v177, 0x80000000, v171
	v_cmp_gt_f64_e32 vcc, 0, v[170:171]
	v_cmp_gt_f64_e64 s[0:1], 0, v[168:169]
	v_mov_b32_e32 v174, v168
	v_mov_b32_e32 v176, v170
	v_cndmask_b32_e64 v175, v169, v175, s[0:1]
	v_cndmask_b32_e32 v177, v171, v177, vcc
	v_add_f64 v[174:175], v[174:175], v[176:177]
	v_mov_b32_e32 v178, s16
	s_add_i32 s16, s16, 1
	v_cmp_lt_f64_e32 vcc, v[172:173], v[174:175]
	v_add_u32_e32 v163, 16, v163
	s_cmp_lg_u32 s20, s16
	v_cndmask_b32_e32 v153, v153, v169, vcc
	v_cndmask_b32_e32 v152, v152, v168, vcc
	;; [unrolled: 1-line block ×5, first 2 shown]
	s_cbranch_scc1 .LBB74_106
.LBB74_107:
	s_waitcnt lgkmcnt(0)
	v_cmp_eq_f64_e32 vcc, 0, v[152:153]
	v_cmp_eq_f64_e64 s[0:1], 0, v[154:155]
	s_and_b64 s[0:1], vcc, s[0:1]
	s_and_saveexec_b64 s[16:17], s[0:1]
	s_xor_b64 s[0:1], exec, s[16:17]
; %bb.108:
	v_cmp_ne_u32_e32 vcc, 0, v166
	s_nop 1
	v_cndmask_b32_e32 v166, 6, v166, vcc
; %bb.109:
	s_andn2_saveexec_b64 s[0:1], s[0:1]
	s_cbranch_execz .LBB74_115
; %bb.110:
	v_cmp_ngt_f64_e64 s[16:17], |v[152:153]|, |v[154:155]|
	s_and_saveexec_b64 s[18:19], s[16:17]
	s_xor_b64 s[16:17], exec, s[18:19]
	s_cbranch_execz .LBB74_112
; %bb.111:
	v_div_scale_f64 v[168:169], s[18:19], v[154:155], v[154:155], v[152:153]
	v_rcp_f64_e32 v[170:171], v[168:169]
	v_div_scale_f64 v[172:173], vcc, v[152:153], v[154:155], v[152:153]
	v_fma_f64 v[174:175], -v[168:169], v[170:171], 1.0
	v_fmac_f64_e32 v[170:171], v[170:171], v[174:175]
	v_fma_f64 v[174:175], -v[168:169], v[170:171], 1.0
	v_fmac_f64_e32 v[170:171], v[170:171], v[174:175]
	v_mul_f64 v[174:175], v[172:173], v[170:171]
	v_fma_f64 v[168:169], -v[168:169], v[174:175], v[172:173]
	v_div_fmas_f64 v[168:169], v[168:169], v[170:171], v[174:175]
	v_div_fixup_f64 v[168:169], v[168:169], v[154:155], v[152:153]
	v_fmac_f64_e32 v[154:155], v[152:153], v[168:169]
	v_div_scale_f64 v[152:153], s[18:19], v[154:155], v[154:155], 1.0
	v_rcp_f64_e32 v[170:171], v[152:153]
	s_nop 0
	v_fma_f64 v[172:173], -v[152:153], v[170:171], 1.0
	v_fmac_f64_e32 v[170:171], v[170:171], v[172:173]
	v_fma_f64 v[172:173], -v[152:153], v[170:171], 1.0
	v_fmac_f64_e32 v[170:171], v[170:171], v[172:173]
	v_div_scale_f64 v[172:173], vcc, 1.0, v[154:155], 1.0
	v_mul_f64 v[174:175], v[172:173], v[170:171]
	v_fma_f64 v[152:153], -v[152:153], v[174:175], v[172:173]
	s_nop 1
	v_div_fmas_f64 v[152:153], v[152:153], v[170:171], v[174:175]
	v_div_fixup_f64 v[154:155], v[152:153], v[154:155], 1.0
	v_mul_f64 v[152:153], v[168:169], v[154:155]
	v_xor_b32_e32 v155, 0x80000000, v155
.LBB74_112:
	s_andn2_saveexec_b64 s[16:17], s[16:17]
	s_cbranch_execz .LBB74_114
; %bb.113:
	v_div_scale_f64 v[168:169], s[18:19], v[152:153], v[152:153], v[154:155]
	v_rcp_f64_e32 v[170:171], v[168:169]
	v_div_scale_f64 v[172:173], vcc, v[154:155], v[152:153], v[154:155]
	v_fma_f64 v[174:175], -v[168:169], v[170:171], 1.0
	v_fmac_f64_e32 v[170:171], v[170:171], v[174:175]
	v_fma_f64 v[174:175], -v[168:169], v[170:171], 1.0
	v_fmac_f64_e32 v[170:171], v[170:171], v[174:175]
	v_mul_f64 v[174:175], v[172:173], v[170:171]
	v_fma_f64 v[168:169], -v[168:169], v[174:175], v[172:173]
	v_div_fmas_f64 v[168:169], v[168:169], v[170:171], v[174:175]
	v_div_fixup_f64 v[168:169], v[168:169], v[152:153], v[154:155]
	v_fmac_f64_e32 v[152:153], v[154:155], v[168:169]
	v_div_scale_f64 v[154:155], s[18:19], v[152:153], v[152:153], 1.0
	v_rcp_f64_e32 v[170:171], v[154:155]
	s_nop 0
	v_fma_f64 v[172:173], -v[154:155], v[170:171], 1.0
	v_fmac_f64_e32 v[170:171], v[170:171], v[172:173]
	v_fma_f64 v[172:173], -v[154:155], v[170:171], 1.0
	v_fmac_f64_e32 v[170:171], v[170:171], v[172:173]
	v_div_scale_f64 v[172:173], vcc, 1.0, v[152:153], 1.0
	v_mul_f64 v[174:175], v[172:173], v[170:171]
	v_fma_f64 v[154:155], -v[154:155], v[174:175], v[172:173]
	s_nop 1
	v_div_fmas_f64 v[154:155], v[154:155], v[170:171], v[174:175]
	v_div_fixup_f64 v[152:153], v[154:155], v[152:153], 1.0
	v_mul_f64 v[154:155], v[168:169], -v[152:153]
.LBB74_114:
	s_or_b64 exec, exec, s[16:17]
.LBB74_115:
	s_or_b64 exec, exec, s[0:1]
	v_cmp_ne_u32_e32 vcc, v165, v162
	s_and_saveexec_b64 s[0:1], vcc
	s_xor_b64 s[0:1], exec, s[0:1]
	s_cbranch_execz .LBB74_121
; %bb.116:
	v_cmp_eq_u32_e32 vcc, 5, v165
	s_and_saveexec_b64 s[16:17], vcc
	s_cbranch_execz .LBB74_120
; %bb.117:
	v_cmp_ne_u32_e32 vcc, 5, v162
	s_xor_b64 s[18:19], s[14:15], -1
	s_and_b64 s[22:23], s[18:19], vcc
	s_and_saveexec_b64 s[18:19], s[22:23]
	s_cbranch_execz .LBB74_119
; %bb.118:
	v_ashrrev_i32_e32 v163, 31, v162
	v_lshl_add_u64 v[168:169], v[162:163], 2, v[160:161]
	global_load_dword v163, v[168:169], off
	global_load_dword v165, v[160:161], off offset:20
	s_waitcnt vmcnt(1)
	global_store_dword v[160:161], v163, off offset:20
	s_waitcnt vmcnt(1)
	global_store_dword v[168:169], v165, off
.LBB74_119:
	s_or_b64 exec, exec, s[18:19]
	v_mov_b32_e32 v165, v162
	v_mov_b32_e32 v167, v162
.LBB74_120:
	s_or_b64 exec, exec, s[16:17]
.LBB74_121:
	s_andn2_saveexec_b64 s[0:1], s[0:1]
	s_cbranch_execz .LBB74_123
; %bb.122:
	v_mov_b32_e32 v165, 5
	s_waitcnt vmcnt(31)
	ds_write2_b64 v164, v[128:129], v[130:131] offset0:12 offset1:13
	s_waitcnt vmcnt(30)
	ds_write2_b64 v164, v[124:125], v[126:127] offset0:14 offset1:15
	;; [unrolled: 2-line block ×32, first 2 shown]
.LBB74_123:
	s_or_b64 exec, exec, s[0:1]
	v_cmp_lt_i32_e32 vcc, 5, v165
	s_waitcnt lgkmcnt(0)
	s_barrier
	s_and_saveexec_b64 s[0:1], vcc
	s_cbranch_execz .LBB74_125
; %bb.124:
	ds_read2_b64 v[168:171], v164 offset0:12 offset1:13
	v_mul_f64 v[162:163], v[154:155], v[134:135]
	v_mul_f64 v[134:135], v[152:153], v[134:135]
	v_fma_f64 v[162:163], v[152:153], v[132:133], -v[162:163]
	v_fmac_f64_e32 v[134:135], v[154:155], v[132:133]
	ds_read2_b64 v[152:155], v164 offset0:14 offset1:15
	s_waitcnt lgkmcnt(1)
	v_mul_f64 v[132:133], v[170:171], v[134:135]
	v_fma_f64 v[132:133], v[168:169], v[162:163], -v[132:133]
	v_mul_f64 v[168:169], v[168:169], v[134:135]
	v_fmac_f64_e32 v[168:169], v[170:171], v[162:163]
	s_waitcnt vmcnt(31)
	v_add_f64 v[128:129], v[128:129], -v[132:133]
	s_waitcnt lgkmcnt(0)
	v_mul_f64 v[132:133], v[154:155], v[134:135]
	v_add_f64 v[130:131], v[130:131], -v[168:169]
	v_fma_f64 v[132:133], v[152:153], v[162:163], -v[132:133]
	v_mul_f64 v[152:153], v[152:153], v[134:135]
	ds_read2_b64 v[168:171], v164 offset0:16 offset1:17
	v_fmac_f64_e32 v[152:153], v[154:155], v[162:163]
	s_waitcnt vmcnt(30)
	v_add_f64 v[126:127], v[126:127], -v[152:153]
	ds_read2_b64 v[152:155], v164 offset0:18 offset1:19
	v_add_f64 v[124:125], v[124:125], -v[132:133]
	s_waitcnt lgkmcnt(1)
	v_mul_f64 v[132:133], v[170:171], v[134:135]
	v_fma_f64 v[132:133], v[168:169], v[162:163], -v[132:133]
	v_mul_f64 v[168:169], v[168:169], v[134:135]
	v_fmac_f64_e32 v[168:169], v[170:171], v[162:163]
	s_waitcnt vmcnt(29)
	v_add_f64 v[120:121], v[120:121], -v[132:133]
	s_waitcnt lgkmcnt(0)
	v_mul_f64 v[132:133], v[154:155], v[134:135]
	v_add_f64 v[122:123], v[122:123], -v[168:169]
	v_fma_f64 v[132:133], v[152:153], v[162:163], -v[132:133]
	v_mul_f64 v[152:153], v[152:153], v[134:135]
	ds_read2_b64 v[168:171], v164 offset0:20 offset1:21
	v_fmac_f64_e32 v[152:153], v[154:155], v[162:163]
	s_waitcnt vmcnt(28)
	v_add_f64 v[118:119], v[118:119], -v[152:153]
	ds_read2_b64 v[152:155], v164 offset0:22 offset1:23
	v_add_f64 v[116:117], v[116:117], -v[132:133]
	;; [unrolled: 18-line block ×15, first 2 shown]
	s_waitcnt lgkmcnt(1)
	v_mul_f64 v[132:133], v[170:171], v[134:135]
	v_fma_f64 v[132:133], v[168:169], v[162:163], -v[132:133]
	s_waitcnt vmcnt(1)
	v_add_f64 v[0:1], v[0:1], -v[132:133]
	s_waitcnt lgkmcnt(0)
	v_mul_f64 v[132:133], v[154:155], v[134:135]
	v_mul_f64 v[168:169], v[168:169], v[134:135]
	v_fma_f64 v[132:133], v[152:153], v[162:163], -v[132:133]
	v_mul_f64 v[152:153], v[152:153], v[134:135]
	v_fmac_f64_e32 v[168:169], v[170:171], v[162:163]
	v_fmac_f64_e32 v[152:153], v[154:155], v[162:163]
	v_add_f64 v[2:3], v[2:3], -v[168:169]
	s_waitcnt vmcnt(0)
	v_add_f64 v[148:149], v[148:149], -v[132:133]
	v_add_f64 v[150:151], v[150:151], -v[152:153]
	v_mov_b64_e32 v[132:133], v[162:163]
.LBB74_125:
	s_or_b64 exec, exec, s[0:1]
	v_lshl_add_u32 v152, v165, 4, v164
	s_barrier
	s_waitcnt vmcnt(31)
	ds_write2_b64 v152, v[128:129], v[130:131] offset1:1
	s_waitcnt lgkmcnt(0)
	s_barrier
	ds_read2_b64 v[152:155], v164 offset0:12 offset1:13
	s_cmp_lt_i32 s20, 8
	v_mov_b32_e32 v162, 6
	s_cbranch_scc1 .LBB74_128
; %bb.126:
	v_add_u32_e32 v163, 0x70, v164
	s_mov_b32 s16, 7
	v_mov_b32_e32 v162, 6
.LBB74_127:                             ; =>This Inner Loop Header: Depth=1
	ds_read2_b64 v[168:171], v163 offset1:1
	s_waitcnt lgkmcnt(1)
	v_xor_b32_e32 v173, 0x80000000, v153
	v_xor_b32_e32 v175, 0x80000000, v155
	v_cmp_gt_f64_e32 vcc, 0, v[154:155]
	v_cmp_gt_f64_e64 s[0:1], 0, v[152:153]
	v_mov_b32_e32 v172, v152
	v_mov_b32_e32 v174, v154
	v_cndmask_b32_e64 v173, v153, v173, s[0:1]
	v_cndmask_b32_e32 v175, v155, v175, vcc
	v_add_f64 v[172:173], v[172:173], v[174:175]
	s_waitcnt lgkmcnt(0)
	v_xor_b32_e32 v175, 0x80000000, v169
	v_xor_b32_e32 v177, 0x80000000, v171
	v_cmp_gt_f64_e32 vcc, 0, v[170:171]
	v_cmp_gt_f64_e64 s[0:1], 0, v[168:169]
	v_mov_b32_e32 v174, v168
	v_mov_b32_e32 v176, v170
	v_cndmask_b32_e64 v175, v169, v175, s[0:1]
	v_cndmask_b32_e32 v177, v171, v177, vcc
	v_add_f64 v[174:175], v[174:175], v[176:177]
	v_mov_b32_e32 v178, s16
	s_add_i32 s16, s16, 1
	v_cmp_lt_f64_e32 vcc, v[172:173], v[174:175]
	v_add_u32_e32 v163, 16, v163
	s_cmp_lg_u32 s20, s16
	v_cndmask_b32_e32 v153, v153, v169, vcc
	v_cndmask_b32_e32 v152, v152, v168, vcc
	;; [unrolled: 1-line block ×5, first 2 shown]
	s_cbranch_scc1 .LBB74_127
.LBB74_128:
	s_waitcnt lgkmcnt(0)
	v_cmp_eq_f64_e32 vcc, 0, v[152:153]
	v_cmp_eq_f64_e64 s[0:1], 0, v[154:155]
	s_and_b64 s[0:1], vcc, s[0:1]
	s_and_saveexec_b64 s[16:17], s[0:1]
	s_xor_b64 s[0:1], exec, s[16:17]
; %bb.129:
	v_cmp_ne_u32_e32 vcc, 0, v166
	s_nop 1
	v_cndmask_b32_e32 v166, 7, v166, vcc
; %bb.130:
	s_andn2_saveexec_b64 s[0:1], s[0:1]
	s_cbranch_execz .LBB74_136
; %bb.131:
	v_cmp_ngt_f64_e64 s[16:17], |v[152:153]|, |v[154:155]|
	s_and_saveexec_b64 s[18:19], s[16:17]
	s_xor_b64 s[16:17], exec, s[18:19]
	s_cbranch_execz .LBB74_133
; %bb.132:
	v_div_scale_f64 v[168:169], s[18:19], v[154:155], v[154:155], v[152:153]
	v_rcp_f64_e32 v[170:171], v[168:169]
	v_div_scale_f64 v[172:173], vcc, v[152:153], v[154:155], v[152:153]
	v_fma_f64 v[174:175], -v[168:169], v[170:171], 1.0
	v_fmac_f64_e32 v[170:171], v[170:171], v[174:175]
	v_fma_f64 v[174:175], -v[168:169], v[170:171], 1.0
	v_fmac_f64_e32 v[170:171], v[170:171], v[174:175]
	v_mul_f64 v[174:175], v[172:173], v[170:171]
	v_fma_f64 v[168:169], -v[168:169], v[174:175], v[172:173]
	v_div_fmas_f64 v[168:169], v[168:169], v[170:171], v[174:175]
	v_div_fixup_f64 v[168:169], v[168:169], v[154:155], v[152:153]
	v_fmac_f64_e32 v[154:155], v[152:153], v[168:169]
	v_div_scale_f64 v[152:153], s[18:19], v[154:155], v[154:155], 1.0
	v_rcp_f64_e32 v[170:171], v[152:153]
	s_nop 0
	v_fma_f64 v[172:173], -v[152:153], v[170:171], 1.0
	v_fmac_f64_e32 v[170:171], v[170:171], v[172:173]
	v_fma_f64 v[172:173], -v[152:153], v[170:171], 1.0
	v_fmac_f64_e32 v[170:171], v[170:171], v[172:173]
	v_div_scale_f64 v[172:173], vcc, 1.0, v[154:155], 1.0
	v_mul_f64 v[174:175], v[172:173], v[170:171]
	v_fma_f64 v[152:153], -v[152:153], v[174:175], v[172:173]
	s_nop 1
	v_div_fmas_f64 v[152:153], v[152:153], v[170:171], v[174:175]
	v_div_fixup_f64 v[154:155], v[152:153], v[154:155], 1.0
	v_mul_f64 v[152:153], v[168:169], v[154:155]
	v_xor_b32_e32 v155, 0x80000000, v155
.LBB74_133:
	s_andn2_saveexec_b64 s[16:17], s[16:17]
	s_cbranch_execz .LBB74_135
; %bb.134:
	v_div_scale_f64 v[168:169], s[18:19], v[152:153], v[152:153], v[154:155]
	v_rcp_f64_e32 v[170:171], v[168:169]
	v_div_scale_f64 v[172:173], vcc, v[154:155], v[152:153], v[154:155]
	v_fma_f64 v[174:175], -v[168:169], v[170:171], 1.0
	v_fmac_f64_e32 v[170:171], v[170:171], v[174:175]
	v_fma_f64 v[174:175], -v[168:169], v[170:171], 1.0
	v_fmac_f64_e32 v[170:171], v[170:171], v[174:175]
	v_mul_f64 v[174:175], v[172:173], v[170:171]
	v_fma_f64 v[168:169], -v[168:169], v[174:175], v[172:173]
	v_div_fmas_f64 v[168:169], v[168:169], v[170:171], v[174:175]
	v_div_fixup_f64 v[168:169], v[168:169], v[152:153], v[154:155]
	v_fmac_f64_e32 v[152:153], v[154:155], v[168:169]
	v_div_scale_f64 v[154:155], s[18:19], v[152:153], v[152:153], 1.0
	v_rcp_f64_e32 v[170:171], v[154:155]
	s_nop 0
	v_fma_f64 v[172:173], -v[154:155], v[170:171], 1.0
	v_fmac_f64_e32 v[170:171], v[170:171], v[172:173]
	v_fma_f64 v[172:173], -v[154:155], v[170:171], 1.0
	v_fmac_f64_e32 v[170:171], v[170:171], v[172:173]
	v_div_scale_f64 v[172:173], vcc, 1.0, v[152:153], 1.0
	v_mul_f64 v[174:175], v[172:173], v[170:171]
	v_fma_f64 v[154:155], -v[154:155], v[174:175], v[172:173]
	s_nop 1
	v_div_fmas_f64 v[154:155], v[154:155], v[170:171], v[174:175]
	v_div_fixup_f64 v[152:153], v[154:155], v[152:153], 1.0
	v_mul_f64 v[154:155], v[168:169], -v[152:153]
.LBB74_135:
	s_or_b64 exec, exec, s[16:17]
.LBB74_136:
	s_or_b64 exec, exec, s[0:1]
	v_cmp_ne_u32_e32 vcc, v165, v162
	s_and_saveexec_b64 s[0:1], vcc
	s_xor_b64 s[0:1], exec, s[0:1]
	s_cbranch_execz .LBB74_142
; %bb.137:
	v_cmp_eq_u32_e32 vcc, 6, v165
	s_and_saveexec_b64 s[16:17], vcc
	s_cbranch_execz .LBB74_141
; %bb.138:
	v_cmp_ne_u32_e32 vcc, 6, v162
	s_xor_b64 s[18:19], s[14:15], -1
	s_and_b64 s[22:23], s[18:19], vcc
	s_and_saveexec_b64 s[18:19], s[22:23]
	s_cbranch_execz .LBB74_140
; %bb.139:
	v_ashrrev_i32_e32 v163, 31, v162
	v_lshl_add_u64 v[168:169], v[162:163], 2, v[160:161]
	global_load_dword v163, v[168:169], off
	global_load_dword v165, v[160:161], off offset:24
	s_waitcnt vmcnt(1)
	global_store_dword v[160:161], v163, off offset:24
	s_waitcnt vmcnt(1)
	global_store_dword v[168:169], v165, off
.LBB74_140:
	s_or_b64 exec, exec, s[18:19]
	v_mov_b32_e32 v165, v162
	v_mov_b32_e32 v167, v162
.LBB74_141:
	s_or_b64 exec, exec, s[16:17]
.LBB74_142:
	s_andn2_saveexec_b64 s[0:1], s[0:1]
	s_cbranch_execz .LBB74_144
; %bb.143:
	v_mov_b32_e32 v165, 6
	s_waitcnt vmcnt(30)
	ds_write2_b64 v164, v[124:125], v[126:127] offset0:14 offset1:15
	s_waitcnt vmcnt(29)
	ds_write2_b64 v164, v[120:121], v[122:123] offset0:16 offset1:17
	;; [unrolled: 2-line block ×31, first 2 shown]
.LBB74_144:
	s_or_b64 exec, exec, s[0:1]
	v_cmp_lt_i32_e32 vcc, 6, v165
	s_waitcnt lgkmcnt(0)
	s_barrier
	s_and_saveexec_b64 s[0:1], vcc
	s_cbranch_execz .LBB74_146
; %bb.145:
	ds_read2_b64 v[168:171], v164 offset0:14 offset1:15
	v_mul_f64 v[162:163], v[154:155], v[130:131]
	v_mul_f64 v[130:131], v[152:153], v[130:131]
	v_fmac_f64_e32 v[130:131], v[154:155], v[128:129]
	v_fma_f64 v[162:163], v[152:153], v[128:129], -v[162:163]
	ds_read2_b64 v[152:155], v164 offset0:16 offset1:17
	s_waitcnt lgkmcnt(1)
	v_mul_f64 v[128:129], v[170:171], v[130:131]
	v_fma_f64 v[128:129], v[168:169], v[162:163], -v[128:129]
	v_mul_f64 v[168:169], v[168:169], v[130:131]
	v_fmac_f64_e32 v[168:169], v[170:171], v[162:163]
	s_waitcnt vmcnt(30)
	v_add_f64 v[126:127], v[126:127], -v[168:169]
	ds_read2_b64 v[168:171], v164 offset0:18 offset1:19
	v_add_f64 v[124:125], v[124:125], -v[128:129]
	s_waitcnt lgkmcnt(1)
	v_mul_f64 v[128:129], v[154:155], v[130:131]
	v_fma_f64 v[128:129], v[152:153], v[162:163], -v[128:129]
	v_mul_f64 v[152:153], v[152:153], v[130:131]
	v_fmac_f64_e32 v[152:153], v[154:155], v[162:163]
	s_waitcnt vmcnt(29)
	v_add_f64 v[120:121], v[120:121], -v[128:129]
	v_add_f64 v[122:123], v[122:123], -v[152:153]
	ds_read2_b64 v[152:155], v164 offset0:20 offset1:21
	s_waitcnt lgkmcnt(1)
	v_mul_f64 v[128:129], v[170:171], v[130:131]
	v_fma_f64 v[128:129], v[168:169], v[162:163], -v[128:129]
	v_mul_f64 v[168:169], v[168:169], v[130:131]
	v_fmac_f64_e32 v[168:169], v[170:171], v[162:163]
	s_waitcnt vmcnt(28)
	v_add_f64 v[118:119], v[118:119], -v[168:169]
	ds_read2_b64 v[168:171], v164 offset0:22 offset1:23
	v_add_f64 v[116:117], v[116:117], -v[128:129]
	s_waitcnt lgkmcnt(1)
	v_mul_f64 v[128:129], v[154:155], v[130:131]
	v_fma_f64 v[128:129], v[152:153], v[162:163], -v[128:129]
	v_mul_f64 v[152:153], v[152:153], v[130:131]
	v_fmac_f64_e32 v[152:153], v[154:155], v[162:163]
	s_waitcnt vmcnt(27)
	v_add_f64 v[112:113], v[112:113], -v[128:129]
	v_add_f64 v[114:115], v[114:115], -v[152:153]
	ds_read2_b64 v[152:155], v164 offset0:24 offset1:25
	s_waitcnt lgkmcnt(1)
	v_mul_f64 v[128:129], v[170:171], v[130:131]
	v_fma_f64 v[128:129], v[168:169], v[162:163], -v[128:129]
	v_mul_f64 v[168:169], v[168:169], v[130:131]
	v_fmac_f64_e32 v[168:169], v[170:171], v[162:163]
	s_waitcnt vmcnt(26)
	v_add_f64 v[110:111], v[110:111], -v[168:169]
	ds_read2_b64 v[168:171], v164 offset0:26 offset1:27
	v_add_f64 v[108:109], v[108:109], -v[128:129]
	s_waitcnt lgkmcnt(1)
	v_mul_f64 v[128:129], v[154:155], v[130:131]
	v_fma_f64 v[128:129], v[152:153], v[162:163], -v[128:129]
	v_mul_f64 v[152:153], v[152:153], v[130:131]
	v_fmac_f64_e32 v[152:153], v[154:155], v[162:163]
	s_waitcnt vmcnt(25)
	v_add_f64 v[104:105], v[104:105], -v[128:129]
	v_add_f64 v[106:107], v[106:107], -v[152:153]
	ds_read2_b64 v[152:155], v164 offset0:28 offset1:29
	s_waitcnt lgkmcnt(1)
	v_mul_f64 v[128:129], v[170:171], v[130:131]
	v_fma_f64 v[128:129], v[168:169], v[162:163], -v[128:129]
	v_mul_f64 v[168:169], v[168:169], v[130:131]
	v_fmac_f64_e32 v[168:169], v[170:171], v[162:163]
	s_waitcnt vmcnt(24)
	v_add_f64 v[94:95], v[94:95], -v[168:169]
	ds_read2_b64 v[168:171], v164 offset0:30 offset1:31
	v_add_f64 v[92:93], v[92:93], -v[128:129]
	s_waitcnt lgkmcnt(1)
	v_mul_f64 v[128:129], v[154:155], v[130:131]
	v_fma_f64 v[128:129], v[152:153], v[162:163], -v[128:129]
	v_mul_f64 v[152:153], v[152:153], v[130:131]
	v_fmac_f64_e32 v[152:153], v[154:155], v[162:163]
	s_waitcnt vmcnt(23)
	v_add_f64 v[88:89], v[88:89], -v[128:129]
	v_add_f64 v[90:91], v[90:91], -v[152:153]
	ds_read2_b64 v[152:155], v164 offset0:32 offset1:33
	s_waitcnt lgkmcnt(1)
	v_mul_f64 v[128:129], v[170:171], v[130:131]
	v_fma_f64 v[128:129], v[168:169], v[162:163], -v[128:129]
	v_mul_f64 v[168:169], v[168:169], v[130:131]
	v_fmac_f64_e32 v[168:169], v[170:171], v[162:163]
	s_waitcnt vmcnt(22)
	v_add_f64 v[86:87], v[86:87], -v[168:169]
	ds_read2_b64 v[168:171], v164 offset0:34 offset1:35
	v_add_f64 v[84:85], v[84:85], -v[128:129]
	s_waitcnt lgkmcnt(1)
	v_mul_f64 v[128:129], v[154:155], v[130:131]
	v_fma_f64 v[128:129], v[152:153], v[162:163], -v[128:129]
	v_mul_f64 v[152:153], v[152:153], v[130:131]
	v_fmac_f64_e32 v[152:153], v[154:155], v[162:163]
	s_waitcnt vmcnt(21)
	v_add_f64 v[80:81], v[80:81], -v[128:129]
	v_add_f64 v[82:83], v[82:83], -v[152:153]
	ds_read2_b64 v[152:155], v164 offset0:36 offset1:37
	s_waitcnt lgkmcnt(1)
	v_mul_f64 v[128:129], v[170:171], v[130:131]
	v_fma_f64 v[128:129], v[168:169], v[162:163], -v[128:129]
	v_mul_f64 v[168:169], v[168:169], v[130:131]
	v_fmac_f64_e32 v[168:169], v[170:171], v[162:163]
	s_waitcnt vmcnt(20)
	v_add_f64 v[78:79], v[78:79], -v[168:169]
	ds_read2_b64 v[168:171], v164 offset0:38 offset1:39
	v_add_f64 v[76:77], v[76:77], -v[128:129]
	s_waitcnt lgkmcnt(1)
	v_mul_f64 v[128:129], v[154:155], v[130:131]
	v_fma_f64 v[128:129], v[152:153], v[162:163], -v[128:129]
	v_mul_f64 v[152:153], v[152:153], v[130:131]
	v_fmac_f64_e32 v[152:153], v[154:155], v[162:163]
	s_waitcnt vmcnt(19)
	v_add_f64 v[72:73], v[72:73], -v[128:129]
	v_add_f64 v[74:75], v[74:75], -v[152:153]
	ds_read2_b64 v[152:155], v164 offset0:40 offset1:41
	s_waitcnt lgkmcnt(1)
	v_mul_f64 v[128:129], v[170:171], v[130:131]
	v_fma_f64 v[128:129], v[168:169], v[162:163], -v[128:129]
	v_mul_f64 v[168:169], v[168:169], v[130:131]
	v_fmac_f64_e32 v[168:169], v[170:171], v[162:163]
	s_waitcnt vmcnt(18)
	v_add_f64 v[70:71], v[70:71], -v[168:169]
	ds_read2_b64 v[168:171], v164 offset0:42 offset1:43
	v_add_f64 v[68:69], v[68:69], -v[128:129]
	s_waitcnt lgkmcnt(1)
	v_mul_f64 v[128:129], v[154:155], v[130:131]
	v_fma_f64 v[128:129], v[152:153], v[162:163], -v[128:129]
	v_mul_f64 v[152:153], v[152:153], v[130:131]
	v_fmac_f64_e32 v[152:153], v[154:155], v[162:163]
	s_waitcnt vmcnt(17)
	v_add_f64 v[64:65], v[64:65], -v[128:129]
	v_add_f64 v[66:67], v[66:67], -v[152:153]
	ds_read2_b64 v[152:155], v164 offset0:44 offset1:45
	s_waitcnt lgkmcnt(1)
	v_mul_f64 v[128:129], v[170:171], v[130:131]
	v_fma_f64 v[128:129], v[168:169], v[162:163], -v[128:129]
	v_mul_f64 v[168:169], v[168:169], v[130:131]
	v_fmac_f64_e32 v[168:169], v[170:171], v[162:163]
	s_waitcnt vmcnt(16)
	v_add_f64 v[62:63], v[62:63], -v[168:169]
	ds_read2_b64 v[168:171], v164 offset0:46 offset1:47
	v_add_f64 v[60:61], v[60:61], -v[128:129]
	s_waitcnt lgkmcnt(1)
	v_mul_f64 v[128:129], v[154:155], v[130:131]
	v_fma_f64 v[128:129], v[152:153], v[162:163], -v[128:129]
	v_mul_f64 v[152:153], v[152:153], v[130:131]
	v_fmac_f64_e32 v[152:153], v[154:155], v[162:163]
	s_waitcnt vmcnt(15)
	v_add_f64 v[56:57], v[56:57], -v[128:129]
	v_add_f64 v[58:59], v[58:59], -v[152:153]
	ds_read2_b64 v[152:155], v164 offset0:48 offset1:49
	s_waitcnt lgkmcnt(1)
	v_mul_f64 v[128:129], v[170:171], v[130:131]
	v_fma_f64 v[128:129], v[168:169], v[162:163], -v[128:129]
	v_mul_f64 v[168:169], v[168:169], v[130:131]
	v_fmac_f64_e32 v[168:169], v[170:171], v[162:163]
	s_waitcnt vmcnt(14)
	v_add_f64 v[54:55], v[54:55], -v[168:169]
	ds_read2_b64 v[168:171], v164 offset0:50 offset1:51
	v_add_f64 v[52:53], v[52:53], -v[128:129]
	s_waitcnt lgkmcnt(1)
	v_mul_f64 v[128:129], v[154:155], v[130:131]
	v_fma_f64 v[128:129], v[152:153], v[162:163], -v[128:129]
	v_mul_f64 v[152:153], v[152:153], v[130:131]
	v_fmac_f64_e32 v[152:153], v[154:155], v[162:163]
	s_waitcnt vmcnt(13)
	v_add_f64 v[48:49], v[48:49], -v[128:129]
	v_add_f64 v[50:51], v[50:51], -v[152:153]
	ds_read2_b64 v[152:155], v164 offset0:52 offset1:53
	s_waitcnt lgkmcnt(1)
	v_mul_f64 v[128:129], v[170:171], v[130:131]
	v_fma_f64 v[128:129], v[168:169], v[162:163], -v[128:129]
	v_mul_f64 v[168:169], v[168:169], v[130:131]
	v_fmac_f64_e32 v[168:169], v[170:171], v[162:163]
	s_waitcnt vmcnt(12)
	v_add_f64 v[46:47], v[46:47], -v[168:169]
	ds_read2_b64 v[168:171], v164 offset0:54 offset1:55
	v_add_f64 v[44:45], v[44:45], -v[128:129]
	s_waitcnt lgkmcnt(1)
	v_mul_f64 v[128:129], v[154:155], v[130:131]
	v_fma_f64 v[128:129], v[152:153], v[162:163], -v[128:129]
	v_mul_f64 v[152:153], v[152:153], v[130:131]
	v_fmac_f64_e32 v[152:153], v[154:155], v[162:163]
	s_waitcnt vmcnt(11)
	v_add_f64 v[40:41], v[40:41], -v[128:129]
	v_add_f64 v[42:43], v[42:43], -v[152:153]
	ds_read2_b64 v[152:155], v164 offset0:56 offset1:57
	s_waitcnt lgkmcnt(1)
	v_mul_f64 v[128:129], v[170:171], v[130:131]
	v_fma_f64 v[128:129], v[168:169], v[162:163], -v[128:129]
	v_mul_f64 v[168:169], v[168:169], v[130:131]
	v_fmac_f64_e32 v[168:169], v[170:171], v[162:163]
	s_waitcnt vmcnt(10)
	v_add_f64 v[38:39], v[38:39], -v[168:169]
	ds_read2_b64 v[168:171], v164 offset0:58 offset1:59
	v_add_f64 v[36:37], v[36:37], -v[128:129]
	s_waitcnt lgkmcnt(1)
	v_mul_f64 v[128:129], v[154:155], v[130:131]
	v_fma_f64 v[128:129], v[152:153], v[162:163], -v[128:129]
	v_mul_f64 v[152:153], v[152:153], v[130:131]
	v_fmac_f64_e32 v[152:153], v[154:155], v[162:163]
	s_waitcnt vmcnt(9)
	v_add_f64 v[32:33], v[32:33], -v[128:129]
	v_add_f64 v[34:35], v[34:35], -v[152:153]
	ds_read2_b64 v[152:155], v164 offset0:60 offset1:61
	s_waitcnt lgkmcnt(1)
	v_mul_f64 v[128:129], v[170:171], v[130:131]
	v_fma_f64 v[128:129], v[168:169], v[162:163], -v[128:129]
	v_mul_f64 v[168:169], v[168:169], v[130:131]
	v_fmac_f64_e32 v[168:169], v[170:171], v[162:163]
	s_waitcnt vmcnt(8)
	v_add_f64 v[30:31], v[30:31], -v[168:169]
	ds_read2_b64 v[168:171], v164 offset0:62 offset1:63
	v_add_f64 v[28:29], v[28:29], -v[128:129]
	s_waitcnt lgkmcnt(1)
	v_mul_f64 v[128:129], v[154:155], v[130:131]
	v_fma_f64 v[128:129], v[152:153], v[162:163], -v[128:129]
	v_mul_f64 v[152:153], v[152:153], v[130:131]
	v_fmac_f64_e32 v[152:153], v[154:155], v[162:163]
	s_waitcnt vmcnt(7)
	v_add_f64 v[24:25], v[24:25], -v[128:129]
	v_add_f64 v[26:27], v[26:27], -v[152:153]
	ds_read2_b64 v[152:155], v164 offset0:64 offset1:65
	s_waitcnt lgkmcnt(1)
	v_mul_f64 v[128:129], v[170:171], v[130:131]
	v_fma_f64 v[128:129], v[168:169], v[162:163], -v[128:129]
	v_mul_f64 v[168:169], v[168:169], v[130:131]
	v_fmac_f64_e32 v[168:169], v[170:171], v[162:163]
	s_waitcnt vmcnt(6)
	v_add_f64 v[22:23], v[22:23], -v[168:169]
	ds_read2_b64 v[168:171], v164 offset0:66 offset1:67
	v_add_f64 v[20:21], v[20:21], -v[128:129]
	s_waitcnt lgkmcnt(1)
	v_mul_f64 v[128:129], v[154:155], v[130:131]
	v_fma_f64 v[128:129], v[152:153], v[162:163], -v[128:129]
	v_mul_f64 v[152:153], v[152:153], v[130:131]
	v_fmac_f64_e32 v[152:153], v[154:155], v[162:163]
	s_waitcnt vmcnt(5)
	v_add_f64 v[16:17], v[16:17], -v[128:129]
	v_add_f64 v[18:19], v[18:19], -v[152:153]
	ds_read2_b64 v[152:155], v164 offset0:68 offset1:69
	s_waitcnt lgkmcnt(1)
	v_mul_f64 v[128:129], v[170:171], v[130:131]
	v_fma_f64 v[128:129], v[168:169], v[162:163], -v[128:129]
	v_mul_f64 v[168:169], v[168:169], v[130:131]
	v_fmac_f64_e32 v[168:169], v[170:171], v[162:163]
	s_waitcnt vmcnt(4)
	v_add_f64 v[14:15], v[14:15], -v[168:169]
	ds_read2_b64 v[168:171], v164 offset0:70 offset1:71
	v_add_f64 v[12:13], v[12:13], -v[128:129]
	s_waitcnt lgkmcnt(1)
	v_mul_f64 v[128:129], v[154:155], v[130:131]
	v_fma_f64 v[128:129], v[152:153], v[162:163], -v[128:129]
	v_mul_f64 v[152:153], v[152:153], v[130:131]
	v_fmac_f64_e32 v[152:153], v[154:155], v[162:163]
	s_waitcnt vmcnt(3)
	v_add_f64 v[8:9], v[8:9], -v[128:129]
	v_add_f64 v[10:11], v[10:11], -v[152:153]
	ds_read2_b64 v[152:155], v164 offset0:72 offset1:73
	s_waitcnt lgkmcnt(1)
	v_mul_f64 v[128:129], v[170:171], v[130:131]
	v_fma_f64 v[128:129], v[168:169], v[162:163], -v[128:129]
	v_mul_f64 v[168:169], v[168:169], v[130:131]
	v_fmac_f64_e32 v[168:169], v[170:171], v[162:163]
	s_waitcnt vmcnt(2)
	v_add_f64 v[6:7], v[6:7], -v[168:169]
	ds_read2_b64 v[168:171], v164 offset0:74 offset1:75
	v_add_f64 v[4:5], v[4:5], -v[128:129]
	s_waitcnt lgkmcnt(1)
	v_mul_f64 v[128:129], v[154:155], v[130:131]
	v_fma_f64 v[128:129], v[152:153], v[162:163], -v[128:129]
	v_mul_f64 v[152:153], v[152:153], v[130:131]
	v_fmac_f64_e32 v[152:153], v[154:155], v[162:163]
	s_waitcnt vmcnt(1)
	v_add_f64 v[0:1], v[0:1], -v[128:129]
	v_add_f64 v[2:3], v[2:3], -v[152:153]
	s_waitcnt lgkmcnt(0)
	v_mul_f64 v[128:129], v[170:171], v[130:131]
	v_mul_f64 v[152:153], v[168:169], v[130:131]
	v_fma_f64 v[128:129], v[168:169], v[162:163], -v[128:129]
	v_fmac_f64_e32 v[152:153], v[170:171], v[162:163]
	s_waitcnt vmcnt(0)
	v_add_f64 v[148:149], v[148:149], -v[128:129]
	v_add_f64 v[150:151], v[150:151], -v[152:153]
	v_mov_b64_e32 v[128:129], v[162:163]
.LBB74_146:
	s_or_b64 exec, exec, s[0:1]
	v_lshl_add_u32 v152, v165, 4, v164
	s_barrier
	s_waitcnt vmcnt(30)
	ds_write2_b64 v152, v[124:125], v[126:127] offset1:1
	s_waitcnt lgkmcnt(0)
	s_barrier
	ds_read2_b64 v[152:155], v164 offset0:14 offset1:15
	s_cmp_lt_i32 s20, 9
	v_mov_b32_e32 v162, 7
	s_cbranch_scc1 .LBB74_149
; %bb.147:
	v_add_u32_e32 v163, 0x80, v164
	s_mov_b32 s16, 8
	v_mov_b32_e32 v162, 7
.LBB74_148:                             ; =>This Inner Loop Header: Depth=1
	ds_read2_b64 v[168:171], v163 offset1:1
	s_waitcnt lgkmcnt(1)
	v_xor_b32_e32 v173, 0x80000000, v153
	v_xor_b32_e32 v175, 0x80000000, v155
	v_cmp_gt_f64_e32 vcc, 0, v[154:155]
	v_cmp_gt_f64_e64 s[0:1], 0, v[152:153]
	v_mov_b32_e32 v172, v152
	v_mov_b32_e32 v174, v154
	v_cndmask_b32_e64 v173, v153, v173, s[0:1]
	v_cndmask_b32_e32 v175, v155, v175, vcc
	v_add_f64 v[172:173], v[172:173], v[174:175]
	s_waitcnt lgkmcnt(0)
	v_xor_b32_e32 v175, 0x80000000, v169
	v_xor_b32_e32 v177, 0x80000000, v171
	v_cmp_gt_f64_e32 vcc, 0, v[170:171]
	v_cmp_gt_f64_e64 s[0:1], 0, v[168:169]
	v_mov_b32_e32 v174, v168
	v_mov_b32_e32 v176, v170
	v_cndmask_b32_e64 v175, v169, v175, s[0:1]
	v_cndmask_b32_e32 v177, v171, v177, vcc
	v_add_f64 v[174:175], v[174:175], v[176:177]
	v_mov_b32_e32 v178, s16
	s_add_i32 s16, s16, 1
	v_cmp_lt_f64_e32 vcc, v[172:173], v[174:175]
	v_add_u32_e32 v163, 16, v163
	s_cmp_lg_u32 s20, s16
	v_cndmask_b32_e32 v153, v153, v169, vcc
	v_cndmask_b32_e32 v152, v152, v168, vcc
	;; [unrolled: 1-line block ×5, first 2 shown]
	s_cbranch_scc1 .LBB74_148
.LBB74_149:
	s_waitcnt lgkmcnt(0)
	v_cmp_eq_f64_e32 vcc, 0, v[152:153]
	v_cmp_eq_f64_e64 s[0:1], 0, v[154:155]
	s_and_b64 s[0:1], vcc, s[0:1]
	s_and_saveexec_b64 s[16:17], s[0:1]
	s_xor_b64 s[0:1], exec, s[16:17]
; %bb.150:
	v_cmp_ne_u32_e32 vcc, 0, v166
	s_nop 1
	v_cndmask_b32_e32 v166, 8, v166, vcc
; %bb.151:
	s_andn2_saveexec_b64 s[0:1], s[0:1]
	s_cbranch_execz .LBB74_157
; %bb.152:
	v_cmp_ngt_f64_e64 s[16:17], |v[152:153]|, |v[154:155]|
	s_and_saveexec_b64 s[18:19], s[16:17]
	s_xor_b64 s[16:17], exec, s[18:19]
	s_cbranch_execz .LBB74_154
; %bb.153:
	v_div_scale_f64 v[168:169], s[18:19], v[154:155], v[154:155], v[152:153]
	v_rcp_f64_e32 v[170:171], v[168:169]
	v_div_scale_f64 v[172:173], vcc, v[152:153], v[154:155], v[152:153]
	v_fma_f64 v[174:175], -v[168:169], v[170:171], 1.0
	v_fmac_f64_e32 v[170:171], v[170:171], v[174:175]
	v_fma_f64 v[174:175], -v[168:169], v[170:171], 1.0
	v_fmac_f64_e32 v[170:171], v[170:171], v[174:175]
	v_mul_f64 v[174:175], v[172:173], v[170:171]
	v_fma_f64 v[168:169], -v[168:169], v[174:175], v[172:173]
	v_div_fmas_f64 v[168:169], v[168:169], v[170:171], v[174:175]
	v_div_fixup_f64 v[168:169], v[168:169], v[154:155], v[152:153]
	v_fmac_f64_e32 v[154:155], v[152:153], v[168:169]
	v_div_scale_f64 v[152:153], s[18:19], v[154:155], v[154:155], 1.0
	v_rcp_f64_e32 v[170:171], v[152:153]
	s_nop 0
	v_fma_f64 v[172:173], -v[152:153], v[170:171], 1.0
	v_fmac_f64_e32 v[170:171], v[170:171], v[172:173]
	v_fma_f64 v[172:173], -v[152:153], v[170:171], 1.0
	v_fmac_f64_e32 v[170:171], v[170:171], v[172:173]
	v_div_scale_f64 v[172:173], vcc, 1.0, v[154:155], 1.0
	v_mul_f64 v[174:175], v[172:173], v[170:171]
	v_fma_f64 v[152:153], -v[152:153], v[174:175], v[172:173]
	s_nop 1
	v_div_fmas_f64 v[152:153], v[152:153], v[170:171], v[174:175]
	v_div_fixup_f64 v[154:155], v[152:153], v[154:155], 1.0
	v_mul_f64 v[152:153], v[168:169], v[154:155]
	v_xor_b32_e32 v155, 0x80000000, v155
.LBB74_154:
	s_andn2_saveexec_b64 s[16:17], s[16:17]
	s_cbranch_execz .LBB74_156
; %bb.155:
	v_div_scale_f64 v[168:169], s[18:19], v[152:153], v[152:153], v[154:155]
	v_rcp_f64_e32 v[170:171], v[168:169]
	v_div_scale_f64 v[172:173], vcc, v[154:155], v[152:153], v[154:155]
	v_fma_f64 v[174:175], -v[168:169], v[170:171], 1.0
	v_fmac_f64_e32 v[170:171], v[170:171], v[174:175]
	v_fma_f64 v[174:175], -v[168:169], v[170:171], 1.0
	v_fmac_f64_e32 v[170:171], v[170:171], v[174:175]
	v_mul_f64 v[174:175], v[172:173], v[170:171]
	v_fma_f64 v[168:169], -v[168:169], v[174:175], v[172:173]
	v_div_fmas_f64 v[168:169], v[168:169], v[170:171], v[174:175]
	v_div_fixup_f64 v[168:169], v[168:169], v[152:153], v[154:155]
	v_fmac_f64_e32 v[152:153], v[154:155], v[168:169]
	v_div_scale_f64 v[154:155], s[18:19], v[152:153], v[152:153], 1.0
	v_rcp_f64_e32 v[170:171], v[154:155]
	s_nop 0
	v_fma_f64 v[172:173], -v[154:155], v[170:171], 1.0
	v_fmac_f64_e32 v[170:171], v[170:171], v[172:173]
	v_fma_f64 v[172:173], -v[154:155], v[170:171], 1.0
	v_fmac_f64_e32 v[170:171], v[170:171], v[172:173]
	v_div_scale_f64 v[172:173], vcc, 1.0, v[152:153], 1.0
	v_mul_f64 v[174:175], v[172:173], v[170:171]
	v_fma_f64 v[154:155], -v[154:155], v[174:175], v[172:173]
	s_nop 1
	v_div_fmas_f64 v[154:155], v[154:155], v[170:171], v[174:175]
	v_div_fixup_f64 v[152:153], v[154:155], v[152:153], 1.0
	v_mul_f64 v[154:155], v[168:169], -v[152:153]
.LBB74_156:
	s_or_b64 exec, exec, s[16:17]
.LBB74_157:
	s_or_b64 exec, exec, s[0:1]
	v_cmp_ne_u32_e32 vcc, v165, v162
	s_and_saveexec_b64 s[0:1], vcc
	s_xor_b64 s[0:1], exec, s[0:1]
	s_cbranch_execz .LBB74_163
; %bb.158:
	v_cmp_eq_u32_e32 vcc, 7, v165
	s_and_saveexec_b64 s[16:17], vcc
	s_cbranch_execz .LBB74_162
; %bb.159:
	v_cmp_ne_u32_e32 vcc, 7, v162
	s_xor_b64 s[18:19], s[14:15], -1
	s_and_b64 s[22:23], s[18:19], vcc
	s_and_saveexec_b64 s[18:19], s[22:23]
	s_cbranch_execz .LBB74_161
; %bb.160:
	v_ashrrev_i32_e32 v163, 31, v162
	v_lshl_add_u64 v[168:169], v[162:163], 2, v[160:161]
	global_load_dword v163, v[168:169], off
	global_load_dword v165, v[160:161], off offset:28
	s_waitcnt vmcnt(1)
	global_store_dword v[160:161], v163, off offset:28
	s_waitcnt vmcnt(1)
	global_store_dword v[168:169], v165, off
.LBB74_161:
	s_or_b64 exec, exec, s[18:19]
	v_mov_b32_e32 v165, v162
	v_mov_b32_e32 v167, v162
.LBB74_162:
	s_or_b64 exec, exec, s[16:17]
.LBB74_163:
	s_andn2_saveexec_b64 s[0:1], s[0:1]
	s_cbranch_execz .LBB74_165
; %bb.164:
	v_mov_b32_e32 v165, 7
	s_waitcnt vmcnt(29)
	ds_write2_b64 v164, v[120:121], v[122:123] offset0:16 offset1:17
	s_waitcnt vmcnt(28)
	ds_write2_b64 v164, v[116:117], v[118:119] offset0:18 offset1:19
	;; [unrolled: 2-line block ×30, first 2 shown]
.LBB74_165:
	s_or_b64 exec, exec, s[0:1]
	v_cmp_lt_i32_e32 vcc, 7, v165
	s_waitcnt lgkmcnt(0)
	s_barrier
	s_and_saveexec_b64 s[0:1], vcc
	s_cbranch_execz .LBB74_167
; %bb.166:
	ds_read2_b64 v[168:171], v164 offset0:16 offset1:17
	v_mul_f64 v[162:163], v[154:155], v[126:127]
	v_mul_f64 v[126:127], v[152:153], v[126:127]
	v_fma_f64 v[162:163], v[152:153], v[124:125], -v[162:163]
	v_fmac_f64_e32 v[126:127], v[154:155], v[124:125]
	ds_read2_b64 v[152:155], v164 offset0:18 offset1:19
	s_waitcnt lgkmcnt(1)
	v_mul_f64 v[124:125], v[170:171], v[126:127]
	v_fma_f64 v[124:125], v[168:169], v[162:163], -v[124:125]
	v_mul_f64 v[168:169], v[168:169], v[126:127]
	v_fmac_f64_e32 v[168:169], v[170:171], v[162:163]
	s_waitcnt vmcnt(29)
	v_add_f64 v[120:121], v[120:121], -v[124:125]
	s_waitcnt lgkmcnt(0)
	v_mul_f64 v[124:125], v[154:155], v[126:127]
	v_add_f64 v[122:123], v[122:123], -v[168:169]
	v_fma_f64 v[124:125], v[152:153], v[162:163], -v[124:125]
	v_mul_f64 v[152:153], v[152:153], v[126:127]
	ds_read2_b64 v[168:171], v164 offset0:20 offset1:21
	v_fmac_f64_e32 v[152:153], v[154:155], v[162:163]
	s_waitcnt vmcnt(28)
	v_add_f64 v[118:119], v[118:119], -v[152:153]
	ds_read2_b64 v[152:155], v164 offset0:22 offset1:23
	v_add_f64 v[116:117], v[116:117], -v[124:125]
	s_waitcnt lgkmcnt(1)
	v_mul_f64 v[124:125], v[170:171], v[126:127]
	v_fma_f64 v[124:125], v[168:169], v[162:163], -v[124:125]
	v_mul_f64 v[168:169], v[168:169], v[126:127]
	v_fmac_f64_e32 v[168:169], v[170:171], v[162:163]
	s_waitcnt vmcnt(27)
	v_add_f64 v[112:113], v[112:113], -v[124:125]
	s_waitcnt lgkmcnt(0)
	v_mul_f64 v[124:125], v[154:155], v[126:127]
	v_add_f64 v[114:115], v[114:115], -v[168:169]
	v_fma_f64 v[124:125], v[152:153], v[162:163], -v[124:125]
	v_mul_f64 v[152:153], v[152:153], v[126:127]
	ds_read2_b64 v[168:171], v164 offset0:24 offset1:25
	v_fmac_f64_e32 v[152:153], v[154:155], v[162:163]
	s_waitcnt vmcnt(26)
	v_add_f64 v[110:111], v[110:111], -v[152:153]
	ds_read2_b64 v[152:155], v164 offset0:26 offset1:27
	v_add_f64 v[108:109], v[108:109], -v[124:125]
	;; [unrolled: 18-line block ×14, first 2 shown]
	s_waitcnt lgkmcnt(1)
	v_mul_f64 v[124:125], v[170:171], v[126:127]
	v_fma_f64 v[124:125], v[168:169], v[162:163], -v[124:125]
	s_waitcnt vmcnt(1)
	v_add_f64 v[0:1], v[0:1], -v[124:125]
	s_waitcnt lgkmcnt(0)
	v_mul_f64 v[124:125], v[154:155], v[126:127]
	v_mul_f64 v[168:169], v[168:169], v[126:127]
	v_fma_f64 v[124:125], v[152:153], v[162:163], -v[124:125]
	v_mul_f64 v[152:153], v[152:153], v[126:127]
	v_fmac_f64_e32 v[168:169], v[170:171], v[162:163]
	v_fmac_f64_e32 v[152:153], v[154:155], v[162:163]
	v_add_f64 v[2:3], v[2:3], -v[168:169]
	s_waitcnt vmcnt(0)
	v_add_f64 v[148:149], v[148:149], -v[124:125]
	v_add_f64 v[150:151], v[150:151], -v[152:153]
	v_mov_b64_e32 v[124:125], v[162:163]
.LBB74_167:
	s_or_b64 exec, exec, s[0:1]
	v_lshl_add_u32 v152, v165, 4, v164
	s_barrier
	s_waitcnt vmcnt(29)
	ds_write2_b64 v152, v[120:121], v[122:123] offset1:1
	s_waitcnt lgkmcnt(0)
	s_barrier
	ds_read2_b64 v[152:155], v164 offset0:16 offset1:17
	s_cmp_lt_i32 s20, 10
	v_mov_b32_e32 v162, 8
	s_cbranch_scc1 .LBB74_170
; %bb.168:
	v_add_u32_e32 v163, 0x90, v164
	s_mov_b32 s16, 9
	v_mov_b32_e32 v162, 8
.LBB74_169:                             ; =>This Inner Loop Header: Depth=1
	ds_read2_b64 v[168:171], v163 offset1:1
	s_waitcnt lgkmcnt(1)
	v_xor_b32_e32 v173, 0x80000000, v153
	v_xor_b32_e32 v175, 0x80000000, v155
	v_cmp_gt_f64_e32 vcc, 0, v[154:155]
	v_cmp_gt_f64_e64 s[0:1], 0, v[152:153]
	v_mov_b32_e32 v172, v152
	v_mov_b32_e32 v174, v154
	v_cndmask_b32_e64 v173, v153, v173, s[0:1]
	v_cndmask_b32_e32 v175, v155, v175, vcc
	v_add_f64 v[172:173], v[172:173], v[174:175]
	s_waitcnt lgkmcnt(0)
	v_xor_b32_e32 v175, 0x80000000, v169
	v_xor_b32_e32 v177, 0x80000000, v171
	v_cmp_gt_f64_e32 vcc, 0, v[170:171]
	v_cmp_gt_f64_e64 s[0:1], 0, v[168:169]
	v_mov_b32_e32 v174, v168
	v_mov_b32_e32 v176, v170
	v_cndmask_b32_e64 v175, v169, v175, s[0:1]
	v_cndmask_b32_e32 v177, v171, v177, vcc
	v_add_f64 v[174:175], v[174:175], v[176:177]
	v_mov_b32_e32 v178, s16
	s_add_i32 s16, s16, 1
	v_cmp_lt_f64_e32 vcc, v[172:173], v[174:175]
	v_add_u32_e32 v163, 16, v163
	s_cmp_lg_u32 s20, s16
	v_cndmask_b32_e32 v153, v153, v169, vcc
	v_cndmask_b32_e32 v152, v152, v168, vcc
	v_cndmask_b32_e32 v155, v155, v171, vcc
	v_cndmask_b32_e32 v154, v154, v170, vcc
	v_cndmask_b32_e32 v162, v162, v178, vcc
	s_cbranch_scc1 .LBB74_169
.LBB74_170:
	s_waitcnt lgkmcnt(0)
	v_cmp_eq_f64_e32 vcc, 0, v[152:153]
	v_cmp_eq_f64_e64 s[0:1], 0, v[154:155]
	s_and_b64 s[0:1], vcc, s[0:1]
	s_and_saveexec_b64 s[16:17], s[0:1]
	s_xor_b64 s[0:1], exec, s[16:17]
; %bb.171:
	v_cmp_ne_u32_e32 vcc, 0, v166
	s_nop 1
	v_cndmask_b32_e32 v166, 9, v166, vcc
; %bb.172:
	s_andn2_saveexec_b64 s[0:1], s[0:1]
	s_cbranch_execz .LBB74_178
; %bb.173:
	v_cmp_ngt_f64_e64 s[16:17], |v[152:153]|, |v[154:155]|
	s_and_saveexec_b64 s[18:19], s[16:17]
	s_xor_b64 s[16:17], exec, s[18:19]
	s_cbranch_execz .LBB74_175
; %bb.174:
	v_div_scale_f64 v[168:169], s[18:19], v[154:155], v[154:155], v[152:153]
	v_rcp_f64_e32 v[170:171], v[168:169]
	v_div_scale_f64 v[172:173], vcc, v[152:153], v[154:155], v[152:153]
	v_fma_f64 v[174:175], -v[168:169], v[170:171], 1.0
	v_fmac_f64_e32 v[170:171], v[170:171], v[174:175]
	v_fma_f64 v[174:175], -v[168:169], v[170:171], 1.0
	v_fmac_f64_e32 v[170:171], v[170:171], v[174:175]
	v_mul_f64 v[174:175], v[172:173], v[170:171]
	v_fma_f64 v[168:169], -v[168:169], v[174:175], v[172:173]
	v_div_fmas_f64 v[168:169], v[168:169], v[170:171], v[174:175]
	v_div_fixup_f64 v[168:169], v[168:169], v[154:155], v[152:153]
	v_fmac_f64_e32 v[154:155], v[152:153], v[168:169]
	v_div_scale_f64 v[152:153], s[18:19], v[154:155], v[154:155], 1.0
	v_rcp_f64_e32 v[170:171], v[152:153]
	s_nop 0
	v_fma_f64 v[172:173], -v[152:153], v[170:171], 1.0
	v_fmac_f64_e32 v[170:171], v[170:171], v[172:173]
	v_fma_f64 v[172:173], -v[152:153], v[170:171], 1.0
	v_fmac_f64_e32 v[170:171], v[170:171], v[172:173]
	v_div_scale_f64 v[172:173], vcc, 1.0, v[154:155], 1.0
	v_mul_f64 v[174:175], v[172:173], v[170:171]
	v_fma_f64 v[152:153], -v[152:153], v[174:175], v[172:173]
	s_nop 1
	v_div_fmas_f64 v[152:153], v[152:153], v[170:171], v[174:175]
	v_div_fixup_f64 v[154:155], v[152:153], v[154:155], 1.0
	v_mul_f64 v[152:153], v[168:169], v[154:155]
	v_xor_b32_e32 v155, 0x80000000, v155
.LBB74_175:
	s_andn2_saveexec_b64 s[16:17], s[16:17]
	s_cbranch_execz .LBB74_177
; %bb.176:
	v_div_scale_f64 v[168:169], s[18:19], v[152:153], v[152:153], v[154:155]
	v_rcp_f64_e32 v[170:171], v[168:169]
	v_div_scale_f64 v[172:173], vcc, v[154:155], v[152:153], v[154:155]
	v_fma_f64 v[174:175], -v[168:169], v[170:171], 1.0
	v_fmac_f64_e32 v[170:171], v[170:171], v[174:175]
	v_fma_f64 v[174:175], -v[168:169], v[170:171], 1.0
	v_fmac_f64_e32 v[170:171], v[170:171], v[174:175]
	v_mul_f64 v[174:175], v[172:173], v[170:171]
	v_fma_f64 v[168:169], -v[168:169], v[174:175], v[172:173]
	v_div_fmas_f64 v[168:169], v[168:169], v[170:171], v[174:175]
	v_div_fixup_f64 v[168:169], v[168:169], v[152:153], v[154:155]
	v_fmac_f64_e32 v[152:153], v[154:155], v[168:169]
	v_div_scale_f64 v[154:155], s[18:19], v[152:153], v[152:153], 1.0
	v_rcp_f64_e32 v[170:171], v[154:155]
	s_nop 0
	v_fma_f64 v[172:173], -v[154:155], v[170:171], 1.0
	v_fmac_f64_e32 v[170:171], v[170:171], v[172:173]
	v_fma_f64 v[172:173], -v[154:155], v[170:171], 1.0
	v_fmac_f64_e32 v[170:171], v[170:171], v[172:173]
	v_div_scale_f64 v[172:173], vcc, 1.0, v[152:153], 1.0
	v_mul_f64 v[174:175], v[172:173], v[170:171]
	v_fma_f64 v[154:155], -v[154:155], v[174:175], v[172:173]
	s_nop 1
	v_div_fmas_f64 v[154:155], v[154:155], v[170:171], v[174:175]
	v_div_fixup_f64 v[152:153], v[154:155], v[152:153], 1.0
	v_mul_f64 v[154:155], v[168:169], -v[152:153]
.LBB74_177:
	s_or_b64 exec, exec, s[16:17]
.LBB74_178:
	s_or_b64 exec, exec, s[0:1]
	v_cmp_ne_u32_e32 vcc, v165, v162
	s_and_saveexec_b64 s[0:1], vcc
	s_xor_b64 s[0:1], exec, s[0:1]
	s_cbranch_execz .LBB74_184
; %bb.179:
	v_cmp_eq_u32_e32 vcc, 8, v165
	s_and_saveexec_b64 s[16:17], vcc
	s_cbranch_execz .LBB74_183
; %bb.180:
	v_cmp_ne_u32_e32 vcc, 8, v162
	s_xor_b64 s[18:19], s[14:15], -1
	s_and_b64 s[22:23], s[18:19], vcc
	s_and_saveexec_b64 s[18:19], s[22:23]
	s_cbranch_execz .LBB74_182
; %bb.181:
	v_ashrrev_i32_e32 v163, 31, v162
	v_lshl_add_u64 v[168:169], v[162:163], 2, v[160:161]
	global_load_dword v163, v[168:169], off
	global_load_dword v165, v[160:161], off offset:32
	s_waitcnt vmcnt(1)
	global_store_dword v[160:161], v163, off offset:32
	s_waitcnt vmcnt(1)
	global_store_dword v[168:169], v165, off
.LBB74_182:
	s_or_b64 exec, exec, s[18:19]
	v_mov_b32_e32 v165, v162
	v_mov_b32_e32 v167, v162
.LBB74_183:
	s_or_b64 exec, exec, s[16:17]
.LBB74_184:
	s_andn2_saveexec_b64 s[0:1], s[0:1]
	s_cbranch_execz .LBB74_186
; %bb.185:
	v_mov_b32_e32 v165, 8
	s_waitcnt vmcnt(28)
	ds_write2_b64 v164, v[116:117], v[118:119] offset0:18 offset1:19
	s_waitcnt vmcnt(27)
	ds_write2_b64 v164, v[112:113], v[114:115] offset0:20 offset1:21
	;; [unrolled: 2-line block ×29, first 2 shown]
.LBB74_186:
	s_or_b64 exec, exec, s[0:1]
	v_cmp_lt_i32_e32 vcc, 8, v165
	s_waitcnt lgkmcnt(0)
	s_barrier
	s_and_saveexec_b64 s[0:1], vcc
	s_cbranch_execz .LBB74_188
; %bb.187:
	ds_read2_b64 v[168:171], v164 offset0:18 offset1:19
	v_mul_f64 v[162:163], v[154:155], v[122:123]
	v_mul_f64 v[122:123], v[152:153], v[122:123]
	v_fmac_f64_e32 v[122:123], v[154:155], v[120:121]
	v_fma_f64 v[162:163], v[152:153], v[120:121], -v[162:163]
	ds_read2_b64 v[152:155], v164 offset0:20 offset1:21
	s_waitcnt lgkmcnt(1)
	v_mul_f64 v[120:121], v[170:171], v[122:123]
	v_fma_f64 v[120:121], v[168:169], v[162:163], -v[120:121]
	v_mul_f64 v[168:169], v[168:169], v[122:123]
	v_fmac_f64_e32 v[168:169], v[170:171], v[162:163]
	s_waitcnt vmcnt(28)
	v_add_f64 v[118:119], v[118:119], -v[168:169]
	ds_read2_b64 v[168:171], v164 offset0:22 offset1:23
	v_add_f64 v[116:117], v[116:117], -v[120:121]
	s_waitcnt lgkmcnt(1)
	v_mul_f64 v[120:121], v[154:155], v[122:123]
	v_fma_f64 v[120:121], v[152:153], v[162:163], -v[120:121]
	v_mul_f64 v[152:153], v[152:153], v[122:123]
	v_fmac_f64_e32 v[152:153], v[154:155], v[162:163]
	s_waitcnt vmcnt(27)
	v_add_f64 v[112:113], v[112:113], -v[120:121]
	v_add_f64 v[114:115], v[114:115], -v[152:153]
	ds_read2_b64 v[152:155], v164 offset0:24 offset1:25
	s_waitcnt lgkmcnt(1)
	v_mul_f64 v[120:121], v[170:171], v[122:123]
	v_fma_f64 v[120:121], v[168:169], v[162:163], -v[120:121]
	v_mul_f64 v[168:169], v[168:169], v[122:123]
	v_fmac_f64_e32 v[168:169], v[170:171], v[162:163]
	s_waitcnt vmcnt(26)
	v_add_f64 v[110:111], v[110:111], -v[168:169]
	ds_read2_b64 v[168:171], v164 offset0:26 offset1:27
	v_add_f64 v[108:109], v[108:109], -v[120:121]
	s_waitcnt lgkmcnt(1)
	v_mul_f64 v[120:121], v[154:155], v[122:123]
	v_fma_f64 v[120:121], v[152:153], v[162:163], -v[120:121]
	v_mul_f64 v[152:153], v[152:153], v[122:123]
	v_fmac_f64_e32 v[152:153], v[154:155], v[162:163]
	s_waitcnt vmcnt(25)
	v_add_f64 v[104:105], v[104:105], -v[120:121]
	v_add_f64 v[106:107], v[106:107], -v[152:153]
	;; [unrolled: 18-line block ×14, first 2 shown]
	s_waitcnt lgkmcnt(0)
	v_mul_f64 v[120:121], v[170:171], v[122:123]
	v_mul_f64 v[152:153], v[168:169], v[122:123]
	v_fma_f64 v[120:121], v[168:169], v[162:163], -v[120:121]
	v_fmac_f64_e32 v[152:153], v[170:171], v[162:163]
	s_waitcnt vmcnt(0)
	v_add_f64 v[148:149], v[148:149], -v[120:121]
	v_add_f64 v[150:151], v[150:151], -v[152:153]
	v_mov_b64_e32 v[120:121], v[162:163]
.LBB74_188:
	s_or_b64 exec, exec, s[0:1]
	v_lshl_add_u32 v152, v165, 4, v164
	s_barrier
	s_waitcnt vmcnt(28)
	ds_write2_b64 v152, v[116:117], v[118:119] offset1:1
	s_waitcnt lgkmcnt(0)
	s_barrier
	ds_read2_b64 v[152:155], v164 offset0:18 offset1:19
	s_cmp_lt_i32 s20, 11
	v_mov_b32_e32 v162, 9
	s_cbranch_scc1 .LBB74_191
; %bb.189:
	v_add_u32_e32 v163, 0xa0, v164
	s_mov_b32 s16, 10
	v_mov_b32_e32 v162, 9
.LBB74_190:                             ; =>This Inner Loop Header: Depth=1
	ds_read2_b64 v[168:171], v163 offset1:1
	s_waitcnt lgkmcnt(1)
	v_xor_b32_e32 v173, 0x80000000, v153
	v_xor_b32_e32 v175, 0x80000000, v155
	v_cmp_gt_f64_e32 vcc, 0, v[154:155]
	v_cmp_gt_f64_e64 s[0:1], 0, v[152:153]
	v_mov_b32_e32 v172, v152
	v_mov_b32_e32 v174, v154
	v_cndmask_b32_e64 v173, v153, v173, s[0:1]
	v_cndmask_b32_e32 v175, v155, v175, vcc
	v_add_f64 v[172:173], v[172:173], v[174:175]
	s_waitcnt lgkmcnt(0)
	v_xor_b32_e32 v175, 0x80000000, v169
	v_xor_b32_e32 v177, 0x80000000, v171
	v_cmp_gt_f64_e32 vcc, 0, v[170:171]
	v_cmp_gt_f64_e64 s[0:1], 0, v[168:169]
	v_mov_b32_e32 v174, v168
	v_mov_b32_e32 v176, v170
	v_cndmask_b32_e64 v175, v169, v175, s[0:1]
	v_cndmask_b32_e32 v177, v171, v177, vcc
	v_add_f64 v[174:175], v[174:175], v[176:177]
	v_mov_b32_e32 v178, s16
	s_add_i32 s16, s16, 1
	v_cmp_lt_f64_e32 vcc, v[172:173], v[174:175]
	v_add_u32_e32 v163, 16, v163
	s_cmp_lg_u32 s20, s16
	v_cndmask_b32_e32 v153, v153, v169, vcc
	v_cndmask_b32_e32 v152, v152, v168, vcc
	;; [unrolled: 1-line block ×5, first 2 shown]
	s_cbranch_scc1 .LBB74_190
.LBB74_191:
	s_waitcnt lgkmcnt(0)
	v_cmp_eq_f64_e32 vcc, 0, v[152:153]
	v_cmp_eq_f64_e64 s[0:1], 0, v[154:155]
	s_and_b64 s[0:1], vcc, s[0:1]
	s_and_saveexec_b64 s[16:17], s[0:1]
	s_xor_b64 s[0:1], exec, s[16:17]
; %bb.192:
	v_cmp_ne_u32_e32 vcc, 0, v166
	s_nop 1
	v_cndmask_b32_e32 v166, 10, v166, vcc
; %bb.193:
	s_andn2_saveexec_b64 s[0:1], s[0:1]
	s_cbranch_execz .LBB74_199
; %bb.194:
	v_cmp_ngt_f64_e64 s[16:17], |v[152:153]|, |v[154:155]|
	s_and_saveexec_b64 s[18:19], s[16:17]
	s_xor_b64 s[16:17], exec, s[18:19]
	s_cbranch_execz .LBB74_196
; %bb.195:
	v_div_scale_f64 v[168:169], s[18:19], v[154:155], v[154:155], v[152:153]
	v_rcp_f64_e32 v[170:171], v[168:169]
	v_div_scale_f64 v[172:173], vcc, v[152:153], v[154:155], v[152:153]
	v_fma_f64 v[174:175], -v[168:169], v[170:171], 1.0
	v_fmac_f64_e32 v[170:171], v[170:171], v[174:175]
	v_fma_f64 v[174:175], -v[168:169], v[170:171], 1.0
	v_fmac_f64_e32 v[170:171], v[170:171], v[174:175]
	v_mul_f64 v[174:175], v[172:173], v[170:171]
	v_fma_f64 v[168:169], -v[168:169], v[174:175], v[172:173]
	v_div_fmas_f64 v[168:169], v[168:169], v[170:171], v[174:175]
	v_div_fixup_f64 v[168:169], v[168:169], v[154:155], v[152:153]
	v_fmac_f64_e32 v[154:155], v[152:153], v[168:169]
	v_div_scale_f64 v[152:153], s[18:19], v[154:155], v[154:155], 1.0
	v_rcp_f64_e32 v[170:171], v[152:153]
	s_nop 0
	v_fma_f64 v[172:173], -v[152:153], v[170:171], 1.0
	v_fmac_f64_e32 v[170:171], v[170:171], v[172:173]
	v_fma_f64 v[172:173], -v[152:153], v[170:171], 1.0
	v_fmac_f64_e32 v[170:171], v[170:171], v[172:173]
	v_div_scale_f64 v[172:173], vcc, 1.0, v[154:155], 1.0
	v_mul_f64 v[174:175], v[172:173], v[170:171]
	v_fma_f64 v[152:153], -v[152:153], v[174:175], v[172:173]
	s_nop 1
	v_div_fmas_f64 v[152:153], v[152:153], v[170:171], v[174:175]
	v_div_fixup_f64 v[154:155], v[152:153], v[154:155], 1.0
	v_mul_f64 v[152:153], v[168:169], v[154:155]
	v_xor_b32_e32 v155, 0x80000000, v155
.LBB74_196:
	s_andn2_saveexec_b64 s[16:17], s[16:17]
	s_cbranch_execz .LBB74_198
; %bb.197:
	v_div_scale_f64 v[168:169], s[18:19], v[152:153], v[152:153], v[154:155]
	v_rcp_f64_e32 v[170:171], v[168:169]
	v_div_scale_f64 v[172:173], vcc, v[154:155], v[152:153], v[154:155]
	v_fma_f64 v[174:175], -v[168:169], v[170:171], 1.0
	v_fmac_f64_e32 v[170:171], v[170:171], v[174:175]
	v_fma_f64 v[174:175], -v[168:169], v[170:171], 1.0
	v_fmac_f64_e32 v[170:171], v[170:171], v[174:175]
	v_mul_f64 v[174:175], v[172:173], v[170:171]
	v_fma_f64 v[168:169], -v[168:169], v[174:175], v[172:173]
	v_div_fmas_f64 v[168:169], v[168:169], v[170:171], v[174:175]
	v_div_fixup_f64 v[168:169], v[168:169], v[152:153], v[154:155]
	v_fmac_f64_e32 v[152:153], v[154:155], v[168:169]
	v_div_scale_f64 v[154:155], s[18:19], v[152:153], v[152:153], 1.0
	v_rcp_f64_e32 v[170:171], v[154:155]
	s_nop 0
	v_fma_f64 v[172:173], -v[154:155], v[170:171], 1.0
	v_fmac_f64_e32 v[170:171], v[170:171], v[172:173]
	v_fma_f64 v[172:173], -v[154:155], v[170:171], 1.0
	v_fmac_f64_e32 v[170:171], v[170:171], v[172:173]
	v_div_scale_f64 v[172:173], vcc, 1.0, v[152:153], 1.0
	v_mul_f64 v[174:175], v[172:173], v[170:171]
	v_fma_f64 v[154:155], -v[154:155], v[174:175], v[172:173]
	s_nop 1
	v_div_fmas_f64 v[154:155], v[154:155], v[170:171], v[174:175]
	v_div_fixup_f64 v[152:153], v[154:155], v[152:153], 1.0
	v_mul_f64 v[154:155], v[168:169], -v[152:153]
.LBB74_198:
	s_or_b64 exec, exec, s[16:17]
.LBB74_199:
	s_or_b64 exec, exec, s[0:1]
	v_cmp_ne_u32_e32 vcc, v165, v162
	s_and_saveexec_b64 s[0:1], vcc
	s_xor_b64 s[0:1], exec, s[0:1]
	s_cbranch_execz .LBB74_205
; %bb.200:
	v_cmp_eq_u32_e32 vcc, 9, v165
	s_and_saveexec_b64 s[16:17], vcc
	s_cbranch_execz .LBB74_204
; %bb.201:
	v_cmp_ne_u32_e32 vcc, 9, v162
	s_xor_b64 s[18:19], s[14:15], -1
	s_and_b64 s[22:23], s[18:19], vcc
	s_and_saveexec_b64 s[18:19], s[22:23]
	s_cbranch_execz .LBB74_203
; %bb.202:
	v_ashrrev_i32_e32 v163, 31, v162
	v_lshl_add_u64 v[168:169], v[162:163], 2, v[160:161]
	global_load_dword v163, v[168:169], off
	global_load_dword v165, v[160:161], off offset:36
	s_waitcnt vmcnt(1)
	global_store_dword v[160:161], v163, off offset:36
	s_waitcnt vmcnt(1)
	global_store_dword v[168:169], v165, off
.LBB74_203:
	s_or_b64 exec, exec, s[18:19]
	v_mov_b32_e32 v165, v162
	v_mov_b32_e32 v167, v162
.LBB74_204:
	s_or_b64 exec, exec, s[16:17]
.LBB74_205:
	s_andn2_saveexec_b64 s[0:1], s[0:1]
	s_cbranch_execz .LBB74_207
; %bb.206:
	v_mov_b32_e32 v165, 9
	s_waitcnt vmcnt(27)
	ds_write2_b64 v164, v[112:113], v[114:115] offset0:20 offset1:21
	s_waitcnt vmcnt(26)
	ds_write2_b64 v164, v[108:109], v[110:111] offset0:22 offset1:23
	;; [unrolled: 2-line block ×28, first 2 shown]
.LBB74_207:
	s_or_b64 exec, exec, s[0:1]
	v_cmp_lt_i32_e32 vcc, 9, v165
	s_waitcnt lgkmcnt(0)
	s_barrier
	s_and_saveexec_b64 s[0:1], vcc
	s_cbranch_execz .LBB74_209
; %bb.208:
	ds_read2_b64 v[168:171], v164 offset0:20 offset1:21
	v_mul_f64 v[162:163], v[154:155], v[118:119]
	v_mul_f64 v[118:119], v[152:153], v[118:119]
	v_fma_f64 v[162:163], v[152:153], v[116:117], -v[162:163]
	v_fmac_f64_e32 v[118:119], v[154:155], v[116:117]
	ds_read2_b64 v[152:155], v164 offset0:22 offset1:23
	s_waitcnt lgkmcnt(1)
	v_mul_f64 v[116:117], v[170:171], v[118:119]
	v_fma_f64 v[116:117], v[168:169], v[162:163], -v[116:117]
	v_mul_f64 v[168:169], v[168:169], v[118:119]
	v_fmac_f64_e32 v[168:169], v[170:171], v[162:163]
	s_waitcnt vmcnt(27)
	v_add_f64 v[112:113], v[112:113], -v[116:117]
	s_waitcnt lgkmcnt(0)
	v_mul_f64 v[116:117], v[154:155], v[118:119]
	v_add_f64 v[114:115], v[114:115], -v[168:169]
	v_fma_f64 v[116:117], v[152:153], v[162:163], -v[116:117]
	v_mul_f64 v[152:153], v[152:153], v[118:119]
	ds_read2_b64 v[168:171], v164 offset0:24 offset1:25
	v_fmac_f64_e32 v[152:153], v[154:155], v[162:163]
	s_waitcnt vmcnt(26)
	v_add_f64 v[110:111], v[110:111], -v[152:153]
	ds_read2_b64 v[152:155], v164 offset0:26 offset1:27
	v_add_f64 v[108:109], v[108:109], -v[116:117]
	s_waitcnt lgkmcnt(1)
	v_mul_f64 v[116:117], v[170:171], v[118:119]
	v_fma_f64 v[116:117], v[168:169], v[162:163], -v[116:117]
	v_mul_f64 v[168:169], v[168:169], v[118:119]
	v_fmac_f64_e32 v[168:169], v[170:171], v[162:163]
	s_waitcnt vmcnt(25)
	v_add_f64 v[104:105], v[104:105], -v[116:117]
	s_waitcnt lgkmcnt(0)
	v_mul_f64 v[116:117], v[154:155], v[118:119]
	v_add_f64 v[106:107], v[106:107], -v[168:169]
	v_fma_f64 v[116:117], v[152:153], v[162:163], -v[116:117]
	v_mul_f64 v[152:153], v[152:153], v[118:119]
	ds_read2_b64 v[168:171], v164 offset0:28 offset1:29
	v_fmac_f64_e32 v[152:153], v[154:155], v[162:163]
	s_waitcnt vmcnt(24)
	v_add_f64 v[94:95], v[94:95], -v[152:153]
	ds_read2_b64 v[152:155], v164 offset0:30 offset1:31
	v_add_f64 v[92:93], v[92:93], -v[116:117]
	;; [unrolled: 18-line block ×13, first 2 shown]
	s_waitcnt lgkmcnt(1)
	v_mul_f64 v[116:117], v[170:171], v[118:119]
	v_fma_f64 v[116:117], v[168:169], v[162:163], -v[116:117]
	s_waitcnt vmcnt(1)
	v_add_f64 v[0:1], v[0:1], -v[116:117]
	s_waitcnt lgkmcnt(0)
	v_mul_f64 v[116:117], v[154:155], v[118:119]
	v_mul_f64 v[168:169], v[168:169], v[118:119]
	v_fma_f64 v[116:117], v[152:153], v[162:163], -v[116:117]
	v_mul_f64 v[152:153], v[152:153], v[118:119]
	v_fmac_f64_e32 v[168:169], v[170:171], v[162:163]
	v_fmac_f64_e32 v[152:153], v[154:155], v[162:163]
	v_add_f64 v[2:3], v[2:3], -v[168:169]
	s_waitcnt vmcnt(0)
	v_add_f64 v[148:149], v[148:149], -v[116:117]
	v_add_f64 v[150:151], v[150:151], -v[152:153]
	v_mov_b64_e32 v[116:117], v[162:163]
.LBB74_209:
	s_or_b64 exec, exec, s[0:1]
	v_lshl_add_u32 v152, v165, 4, v164
	s_barrier
	s_waitcnt vmcnt(27)
	ds_write2_b64 v152, v[112:113], v[114:115] offset1:1
	s_waitcnt lgkmcnt(0)
	s_barrier
	ds_read2_b64 v[152:155], v164 offset0:20 offset1:21
	s_cmp_lt_i32 s20, 12
	v_mov_b32_e32 v162, 10
	s_cbranch_scc1 .LBB74_212
; %bb.210:
	v_add_u32_e32 v163, 0xb0, v164
	s_mov_b32 s16, 11
	v_mov_b32_e32 v162, 10
.LBB74_211:                             ; =>This Inner Loop Header: Depth=1
	ds_read2_b64 v[168:171], v163 offset1:1
	s_waitcnt lgkmcnt(1)
	v_xor_b32_e32 v173, 0x80000000, v153
	v_xor_b32_e32 v175, 0x80000000, v155
	v_cmp_gt_f64_e32 vcc, 0, v[154:155]
	v_cmp_gt_f64_e64 s[0:1], 0, v[152:153]
	v_mov_b32_e32 v172, v152
	v_mov_b32_e32 v174, v154
	v_cndmask_b32_e64 v173, v153, v173, s[0:1]
	v_cndmask_b32_e32 v175, v155, v175, vcc
	v_add_f64 v[172:173], v[172:173], v[174:175]
	s_waitcnt lgkmcnt(0)
	v_xor_b32_e32 v175, 0x80000000, v169
	v_xor_b32_e32 v177, 0x80000000, v171
	v_cmp_gt_f64_e32 vcc, 0, v[170:171]
	v_cmp_gt_f64_e64 s[0:1], 0, v[168:169]
	v_mov_b32_e32 v174, v168
	v_mov_b32_e32 v176, v170
	v_cndmask_b32_e64 v175, v169, v175, s[0:1]
	v_cndmask_b32_e32 v177, v171, v177, vcc
	v_add_f64 v[174:175], v[174:175], v[176:177]
	v_mov_b32_e32 v178, s16
	s_add_i32 s16, s16, 1
	v_cmp_lt_f64_e32 vcc, v[172:173], v[174:175]
	v_add_u32_e32 v163, 16, v163
	s_cmp_lg_u32 s20, s16
	v_cndmask_b32_e32 v153, v153, v169, vcc
	v_cndmask_b32_e32 v152, v152, v168, vcc
	;; [unrolled: 1-line block ×5, first 2 shown]
	s_cbranch_scc1 .LBB74_211
.LBB74_212:
	s_waitcnt lgkmcnt(0)
	v_cmp_eq_f64_e32 vcc, 0, v[152:153]
	v_cmp_eq_f64_e64 s[0:1], 0, v[154:155]
	s_and_b64 s[0:1], vcc, s[0:1]
	s_and_saveexec_b64 s[16:17], s[0:1]
	s_xor_b64 s[0:1], exec, s[16:17]
; %bb.213:
	v_cmp_ne_u32_e32 vcc, 0, v166
	s_nop 1
	v_cndmask_b32_e32 v166, 11, v166, vcc
; %bb.214:
	s_andn2_saveexec_b64 s[0:1], s[0:1]
	s_cbranch_execz .LBB74_220
; %bb.215:
	v_cmp_ngt_f64_e64 s[16:17], |v[152:153]|, |v[154:155]|
	s_and_saveexec_b64 s[18:19], s[16:17]
	s_xor_b64 s[16:17], exec, s[18:19]
	s_cbranch_execz .LBB74_217
; %bb.216:
	v_div_scale_f64 v[168:169], s[18:19], v[154:155], v[154:155], v[152:153]
	v_rcp_f64_e32 v[170:171], v[168:169]
	v_div_scale_f64 v[172:173], vcc, v[152:153], v[154:155], v[152:153]
	v_fma_f64 v[174:175], -v[168:169], v[170:171], 1.0
	v_fmac_f64_e32 v[170:171], v[170:171], v[174:175]
	v_fma_f64 v[174:175], -v[168:169], v[170:171], 1.0
	v_fmac_f64_e32 v[170:171], v[170:171], v[174:175]
	v_mul_f64 v[174:175], v[172:173], v[170:171]
	v_fma_f64 v[168:169], -v[168:169], v[174:175], v[172:173]
	v_div_fmas_f64 v[168:169], v[168:169], v[170:171], v[174:175]
	v_div_fixup_f64 v[168:169], v[168:169], v[154:155], v[152:153]
	v_fmac_f64_e32 v[154:155], v[152:153], v[168:169]
	v_div_scale_f64 v[152:153], s[18:19], v[154:155], v[154:155], 1.0
	v_rcp_f64_e32 v[170:171], v[152:153]
	s_nop 0
	v_fma_f64 v[172:173], -v[152:153], v[170:171], 1.0
	v_fmac_f64_e32 v[170:171], v[170:171], v[172:173]
	v_fma_f64 v[172:173], -v[152:153], v[170:171], 1.0
	v_fmac_f64_e32 v[170:171], v[170:171], v[172:173]
	v_div_scale_f64 v[172:173], vcc, 1.0, v[154:155], 1.0
	v_mul_f64 v[174:175], v[172:173], v[170:171]
	v_fma_f64 v[152:153], -v[152:153], v[174:175], v[172:173]
	s_nop 1
	v_div_fmas_f64 v[152:153], v[152:153], v[170:171], v[174:175]
	v_div_fixup_f64 v[154:155], v[152:153], v[154:155], 1.0
	v_mul_f64 v[152:153], v[168:169], v[154:155]
	v_xor_b32_e32 v155, 0x80000000, v155
.LBB74_217:
	s_andn2_saveexec_b64 s[16:17], s[16:17]
	s_cbranch_execz .LBB74_219
; %bb.218:
	v_div_scale_f64 v[168:169], s[18:19], v[152:153], v[152:153], v[154:155]
	v_rcp_f64_e32 v[170:171], v[168:169]
	v_div_scale_f64 v[172:173], vcc, v[154:155], v[152:153], v[154:155]
	v_fma_f64 v[174:175], -v[168:169], v[170:171], 1.0
	v_fmac_f64_e32 v[170:171], v[170:171], v[174:175]
	v_fma_f64 v[174:175], -v[168:169], v[170:171], 1.0
	v_fmac_f64_e32 v[170:171], v[170:171], v[174:175]
	v_mul_f64 v[174:175], v[172:173], v[170:171]
	v_fma_f64 v[168:169], -v[168:169], v[174:175], v[172:173]
	v_div_fmas_f64 v[168:169], v[168:169], v[170:171], v[174:175]
	v_div_fixup_f64 v[168:169], v[168:169], v[152:153], v[154:155]
	v_fmac_f64_e32 v[152:153], v[154:155], v[168:169]
	v_div_scale_f64 v[154:155], s[18:19], v[152:153], v[152:153], 1.0
	v_rcp_f64_e32 v[170:171], v[154:155]
	s_nop 0
	v_fma_f64 v[172:173], -v[154:155], v[170:171], 1.0
	v_fmac_f64_e32 v[170:171], v[170:171], v[172:173]
	v_fma_f64 v[172:173], -v[154:155], v[170:171], 1.0
	v_fmac_f64_e32 v[170:171], v[170:171], v[172:173]
	v_div_scale_f64 v[172:173], vcc, 1.0, v[152:153], 1.0
	v_mul_f64 v[174:175], v[172:173], v[170:171]
	v_fma_f64 v[154:155], -v[154:155], v[174:175], v[172:173]
	s_nop 1
	v_div_fmas_f64 v[154:155], v[154:155], v[170:171], v[174:175]
	v_div_fixup_f64 v[152:153], v[154:155], v[152:153], 1.0
	v_mul_f64 v[154:155], v[168:169], -v[152:153]
.LBB74_219:
	s_or_b64 exec, exec, s[16:17]
.LBB74_220:
	s_or_b64 exec, exec, s[0:1]
	v_cmp_ne_u32_e32 vcc, v165, v162
	s_and_saveexec_b64 s[0:1], vcc
	s_xor_b64 s[0:1], exec, s[0:1]
	s_cbranch_execz .LBB74_226
; %bb.221:
	v_cmp_eq_u32_e32 vcc, 10, v165
	s_and_saveexec_b64 s[16:17], vcc
	s_cbranch_execz .LBB74_225
; %bb.222:
	v_cmp_ne_u32_e32 vcc, 10, v162
	s_xor_b64 s[18:19], s[14:15], -1
	s_and_b64 s[22:23], s[18:19], vcc
	s_and_saveexec_b64 s[18:19], s[22:23]
	s_cbranch_execz .LBB74_224
; %bb.223:
	v_ashrrev_i32_e32 v163, 31, v162
	v_lshl_add_u64 v[168:169], v[162:163], 2, v[160:161]
	global_load_dword v163, v[168:169], off
	global_load_dword v165, v[160:161], off offset:40
	s_waitcnt vmcnt(1)
	global_store_dword v[160:161], v163, off offset:40
	s_waitcnt vmcnt(1)
	global_store_dword v[168:169], v165, off
.LBB74_224:
	s_or_b64 exec, exec, s[18:19]
	v_mov_b32_e32 v165, v162
	v_mov_b32_e32 v167, v162
.LBB74_225:
	s_or_b64 exec, exec, s[16:17]
.LBB74_226:
	s_andn2_saveexec_b64 s[0:1], s[0:1]
	s_cbranch_execz .LBB74_228
; %bb.227:
	v_mov_b32_e32 v165, 10
	s_waitcnt vmcnt(26)
	ds_write2_b64 v164, v[108:109], v[110:111] offset0:22 offset1:23
	s_waitcnt vmcnt(25)
	ds_write2_b64 v164, v[104:105], v[106:107] offset0:24 offset1:25
	;; [unrolled: 2-line block ×27, first 2 shown]
.LBB74_228:
	s_or_b64 exec, exec, s[0:1]
	v_cmp_lt_i32_e32 vcc, 10, v165
	s_waitcnt lgkmcnt(0)
	s_barrier
	s_and_saveexec_b64 s[0:1], vcc
	s_cbranch_execz .LBB74_230
; %bb.229:
	ds_read2_b64 v[168:171], v164 offset0:22 offset1:23
	v_mul_f64 v[162:163], v[154:155], v[114:115]
	v_mul_f64 v[114:115], v[152:153], v[114:115]
	v_fmac_f64_e32 v[114:115], v[154:155], v[112:113]
	v_fma_f64 v[162:163], v[152:153], v[112:113], -v[162:163]
	ds_read2_b64 v[152:155], v164 offset0:24 offset1:25
	s_waitcnt lgkmcnt(1)
	v_mul_f64 v[112:113], v[170:171], v[114:115]
	v_fma_f64 v[112:113], v[168:169], v[162:163], -v[112:113]
	v_mul_f64 v[168:169], v[168:169], v[114:115]
	v_fmac_f64_e32 v[168:169], v[170:171], v[162:163]
	s_waitcnt vmcnt(26)
	v_add_f64 v[110:111], v[110:111], -v[168:169]
	ds_read2_b64 v[168:171], v164 offset0:26 offset1:27
	v_add_f64 v[108:109], v[108:109], -v[112:113]
	s_waitcnt lgkmcnt(1)
	v_mul_f64 v[112:113], v[154:155], v[114:115]
	v_fma_f64 v[112:113], v[152:153], v[162:163], -v[112:113]
	v_mul_f64 v[152:153], v[152:153], v[114:115]
	v_fmac_f64_e32 v[152:153], v[154:155], v[162:163]
	s_waitcnt vmcnt(25)
	v_add_f64 v[104:105], v[104:105], -v[112:113]
	v_add_f64 v[106:107], v[106:107], -v[152:153]
	ds_read2_b64 v[152:155], v164 offset0:28 offset1:29
	s_waitcnt lgkmcnt(1)
	v_mul_f64 v[112:113], v[170:171], v[114:115]
	v_fma_f64 v[112:113], v[168:169], v[162:163], -v[112:113]
	v_mul_f64 v[168:169], v[168:169], v[114:115]
	v_fmac_f64_e32 v[168:169], v[170:171], v[162:163]
	s_waitcnt vmcnt(24)
	v_add_f64 v[94:95], v[94:95], -v[168:169]
	ds_read2_b64 v[168:171], v164 offset0:30 offset1:31
	v_add_f64 v[92:93], v[92:93], -v[112:113]
	s_waitcnt lgkmcnt(1)
	v_mul_f64 v[112:113], v[154:155], v[114:115]
	v_fma_f64 v[112:113], v[152:153], v[162:163], -v[112:113]
	v_mul_f64 v[152:153], v[152:153], v[114:115]
	v_fmac_f64_e32 v[152:153], v[154:155], v[162:163]
	s_waitcnt vmcnt(23)
	v_add_f64 v[88:89], v[88:89], -v[112:113]
	v_add_f64 v[90:91], v[90:91], -v[152:153]
	;; [unrolled: 18-line block ×13, first 2 shown]
	s_waitcnt lgkmcnt(0)
	v_mul_f64 v[112:113], v[170:171], v[114:115]
	v_mul_f64 v[152:153], v[168:169], v[114:115]
	v_fma_f64 v[112:113], v[168:169], v[162:163], -v[112:113]
	v_fmac_f64_e32 v[152:153], v[170:171], v[162:163]
	s_waitcnt vmcnt(0)
	v_add_f64 v[148:149], v[148:149], -v[112:113]
	v_add_f64 v[150:151], v[150:151], -v[152:153]
	v_mov_b64_e32 v[112:113], v[162:163]
.LBB74_230:
	s_or_b64 exec, exec, s[0:1]
	v_lshl_add_u32 v152, v165, 4, v164
	s_barrier
	s_waitcnt vmcnt(26)
	ds_write2_b64 v152, v[108:109], v[110:111] offset1:1
	s_waitcnt lgkmcnt(0)
	s_barrier
	ds_read2_b64 v[152:155], v164 offset0:22 offset1:23
	s_cmp_lt_i32 s20, 13
	v_mov_b32_e32 v162, 11
	s_cbranch_scc1 .LBB74_233
; %bb.231:
	v_add_u32_e32 v163, 0xc0, v164
	s_mov_b32 s16, 12
	v_mov_b32_e32 v162, 11
.LBB74_232:                             ; =>This Inner Loop Header: Depth=1
	ds_read2_b64 v[168:171], v163 offset1:1
	s_waitcnt lgkmcnt(1)
	v_xor_b32_e32 v173, 0x80000000, v153
	v_xor_b32_e32 v175, 0x80000000, v155
	v_cmp_gt_f64_e32 vcc, 0, v[154:155]
	v_cmp_gt_f64_e64 s[0:1], 0, v[152:153]
	v_mov_b32_e32 v172, v152
	v_mov_b32_e32 v174, v154
	v_cndmask_b32_e64 v173, v153, v173, s[0:1]
	v_cndmask_b32_e32 v175, v155, v175, vcc
	v_add_f64 v[172:173], v[172:173], v[174:175]
	s_waitcnt lgkmcnt(0)
	v_xor_b32_e32 v175, 0x80000000, v169
	v_xor_b32_e32 v177, 0x80000000, v171
	v_cmp_gt_f64_e32 vcc, 0, v[170:171]
	v_cmp_gt_f64_e64 s[0:1], 0, v[168:169]
	v_mov_b32_e32 v174, v168
	v_mov_b32_e32 v176, v170
	v_cndmask_b32_e64 v175, v169, v175, s[0:1]
	v_cndmask_b32_e32 v177, v171, v177, vcc
	v_add_f64 v[174:175], v[174:175], v[176:177]
	v_mov_b32_e32 v178, s16
	s_add_i32 s16, s16, 1
	v_cmp_lt_f64_e32 vcc, v[172:173], v[174:175]
	v_add_u32_e32 v163, 16, v163
	s_cmp_lg_u32 s20, s16
	v_cndmask_b32_e32 v153, v153, v169, vcc
	v_cndmask_b32_e32 v152, v152, v168, vcc
	;; [unrolled: 1-line block ×5, first 2 shown]
	s_cbranch_scc1 .LBB74_232
.LBB74_233:
	s_waitcnt lgkmcnt(0)
	v_cmp_eq_f64_e32 vcc, 0, v[152:153]
	v_cmp_eq_f64_e64 s[0:1], 0, v[154:155]
	s_and_b64 s[0:1], vcc, s[0:1]
	s_and_saveexec_b64 s[16:17], s[0:1]
	s_xor_b64 s[0:1], exec, s[16:17]
; %bb.234:
	v_cmp_ne_u32_e32 vcc, 0, v166
	s_nop 1
	v_cndmask_b32_e32 v166, 12, v166, vcc
; %bb.235:
	s_andn2_saveexec_b64 s[0:1], s[0:1]
	s_cbranch_execz .LBB74_241
; %bb.236:
	v_cmp_ngt_f64_e64 s[16:17], |v[152:153]|, |v[154:155]|
	s_and_saveexec_b64 s[18:19], s[16:17]
	s_xor_b64 s[16:17], exec, s[18:19]
	s_cbranch_execz .LBB74_238
; %bb.237:
	v_div_scale_f64 v[168:169], s[18:19], v[154:155], v[154:155], v[152:153]
	v_rcp_f64_e32 v[170:171], v[168:169]
	v_div_scale_f64 v[172:173], vcc, v[152:153], v[154:155], v[152:153]
	v_fma_f64 v[174:175], -v[168:169], v[170:171], 1.0
	v_fmac_f64_e32 v[170:171], v[170:171], v[174:175]
	v_fma_f64 v[174:175], -v[168:169], v[170:171], 1.0
	v_fmac_f64_e32 v[170:171], v[170:171], v[174:175]
	v_mul_f64 v[174:175], v[172:173], v[170:171]
	v_fma_f64 v[168:169], -v[168:169], v[174:175], v[172:173]
	v_div_fmas_f64 v[168:169], v[168:169], v[170:171], v[174:175]
	v_div_fixup_f64 v[168:169], v[168:169], v[154:155], v[152:153]
	v_fmac_f64_e32 v[154:155], v[152:153], v[168:169]
	v_div_scale_f64 v[152:153], s[18:19], v[154:155], v[154:155], 1.0
	v_rcp_f64_e32 v[170:171], v[152:153]
	s_nop 0
	v_fma_f64 v[172:173], -v[152:153], v[170:171], 1.0
	v_fmac_f64_e32 v[170:171], v[170:171], v[172:173]
	v_fma_f64 v[172:173], -v[152:153], v[170:171], 1.0
	v_fmac_f64_e32 v[170:171], v[170:171], v[172:173]
	v_div_scale_f64 v[172:173], vcc, 1.0, v[154:155], 1.0
	v_mul_f64 v[174:175], v[172:173], v[170:171]
	v_fma_f64 v[152:153], -v[152:153], v[174:175], v[172:173]
	s_nop 1
	v_div_fmas_f64 v[152:153], v[152:153], v[170:171], v[174:175]
	v_div_fixup_f64 v[154:155], v[152:153], v[154:155], 1.0
	v_mul_f64 v[152:153], v[168:169], v[154:155]
	v_xor_b32_e32 v155, 0x80000000, v155
.LBB74_238:
	s_andn2_saveexec_b64 s[16:17], s[16:17]
	s_cbranch_execz .LBB74_240
; %bb.239:
	v_div_scale_f64 v[168:169], s[18:19], v[152:153], v[152:153], v[154:155]
	v_rcp_f64_e32 v[170:171], v[168:169]
	v_div_scale_f64 v[172:173], vcc, v[154:155], v[152:153], v[154:155]
	v_fma_f64 v[174:175], -v[168:169], v[170:171], 1.0
	v_fmac_f64_e32 v[170:171], v[170:171], v[174:175]
	v_fma_f64 v[174:175], -v[168:169], v[170:171], 1.0
	v_fmac_f64_e32 v[170:171], v[170:171], v[174:175]
	v_mul_f64 v[174:175], v[172:173], v[170:171]
	v_fma_f64 v[168:169], -v[168:169], v[174:175], v[172:173]
	v_div_fmas_f64 v[168:169], v[168:169], v[170:171], v[174:175]
	v_div_fixup_f64 v[168:169], v[168:169], v[152:153], v[154:155]
	v_fmac_f64_e32 v[152:153], v[154:155], v[168:169]
	v_div_scale_f64 v[154:155], s[18:19], v[152:153], v[152:153], 1.0
	v_rcp_f64_e32 v[170:171], v[154:155]
	s_nop 0
	v_fma_f64 v[172:173], -v[154:155], v[170:171], 1.0
	v_fmac_f64_e32 v[170:171], v[170:171], v[172:173]
	v_fma_f64 v[172:173], -v[154:155], v[170:171], 1.0
	v_fmac_f64_e32 v[170:171], v[170:171], v[172:173]
	v_div_scale_f64 v[172:173], vcc, 1.0, v[152:153], 1.0
	v_mul_f64 v[174:175], v[172:173], v[170:171]
	v_fma_f64 v[154:155], -v[154:155], v[174:175], v[172:173]
	s_nop 1
	v_div_fmas_f64 v[154:155], v[154:155], v[170:171], v[174:175]
	v_div_fixup_f64 v[152:153], v[154:155], v[152:153], 1.0
	v_mul_f64 v[154:155], v[168:169], -v[152:153]
.LBB74_240:
	s_or_b64 exec, exec, s[16:17]
.LBB74_241:
	s_or_b64 exec, exec, s[0:1]
	v_cmp_ne_u32_e32 vcc, v165, v162
	s_and_saveexec_b64 s[0:1], vcc
	s_xor_b64 s[0:1], exec, s[0:1]
	s_cbranch_execz .LBB74_247
; %bb.242:
	v_cmp_eq_u32_e32 vcc, 11, v165
	s_and_saveexec_b64 s[16:17], vcc
	s_cbranch_execz .LBB74_246
; %bb.243:
	v_cmp_ne_u32_e32 vcc, 11, v162
	s_xor_b64 s[18:19], s[14:15], -1
	s_and_b64 s[22:23], s[18:19], vcc
	s_and_saveexec_b64 s[18:19], s[22:23]
	s_cbranch_execz .LBB74_245
; %bb.244:
	v_ashrrev_i32_e32 v163, 31, v162
	v_lshl_add_u64 v[168:169], v[162:163], 2, v[160:161]
	global_load_dword v163, v[168:169], off
	global_load_dword v165, v[160:161], off offset:44
	s_waitcnt vmcnt(1)
	global_store_dword v[160:161], v163, off offset:44
	s_waitcnt vmcnt(1)
	global_store_dword v[168:169], v165, off
.LBB74_245:
	s_or_b64 exec, exec, s[18:19]
	v_mov_b32_e32 v165, v162
	v_mov_b32_e32 v167, v162
.LBB74_246:
	s_or_b64 exec, exec, s[16:17]
.LBB74_247:
	s_andn2_saveexec_b64 s[0:1], s[0:1]
	s_cbranch_execz .LBB74_249
; %bb.248:
	v_mov_b32_e32 v165, 11
	s_waitcnt vmcnt(25)
	ds_write2_b64 v164, v[104:105], v[106:107] offset0:24 offset1:25
	s_waitcnt vmcnt(24)
	ds_write2_b64 v164, v[92:93], v[94:95] offset0:26 offset1:27
	;; [unrolled: 2-line block ×26, first 2 shown]
.LBB74_249:
	s_or_b64 exec, exec, s[0:1]
	v_cmp_lt_i32_e32 vcc, 11, v165
	s_waitcnt lgkmcnt(0)
	s_barrier
	s_and_saveexec_b64 s[0:1], vcc
	s_cbranch_execz .LBB74_251
; %bb.250:
	ds_read2_b64 v[168:171], v164 offset0:24 offset1:25
	v_mul_f64 v[162:163], v[154:155], v[110:111]
	v_mul_f64 v[110:111], v[152:153], v[110:111]
	v_fma_f64 v[162:163], v[152:153], v[108:109], -v[162:163]
	v_fmac_f64_e32 v[110:111], v[154:155], v[108:109]
	ds_read2_b64 v[152:155], v164 offset0:26 offset1:27
	s_waitcnt lgkmcnt(1)
	v_mul_f64 v[108:109], v[170:171], v[110:111]
	v_fma_f64 v[108:109], v[168:169], v[162:163], -v[108:109]
	v_mul_f64 v[168:169], v[168:169], v[110:111]
	v_fmac_f64_e32 v[168:169], v[170:171], v[162:163]
	s_waitcnt vmcnt(25)
	v_add_f64 v[104:105], v[104:105], -v[108:109]
	s_waitcnt lgkmcnt(0)
	v_mul_f64 v[108:109], v[154:155], v[110:111]
	v_add_f64 v[106:107], v[106:107], -v[168:169]
	v_fma_f64 v[108:109], v[152:153], v[162:163], -v[108:109]
	v_mul_f64 v[152:153], v[152:153], v[110:111]
	ds_read2_b64 v[168:171], v164 offset0:28 offset1:29
	v_fmac_f64_e32 v[152:153], v[154:155], v[162:163]
	s_waitcnt vmcnt(24)
	v_add_f64 v[94:95], v[94:95], -v[152:153]
	ds_read2_b64 v[152:155], v164 offset0:30 offset1:31
	v_add_f64 v[92:93], v[92:93], -v[108:109]
	s_waitcnt lgkmcnt(1)
	v_mul_f64 v[108:109], v[170:171], v[110:111]
	v_fma_f64 v[108:109], v[168:169], v[162:163], -v[108:109]
	v_mul_f64 v[168:169], v[168:169], v[110:111]
	v_fmac_f64_e32 v[168:169], v[170:171], v[162:163]
	s_waitcnt vmcnt(23)
	v_add_f64 v[88:89], v[88:89], -v[108:109]
	s_waitcnt lgkmcnt(0)
	v_mul_f64 v[108:109], v[154:155], v[110:111]
	v_add_f64 v[90:91], v[90:91], -v[168:169]
	v_fma_f64 v[108:109], v[152:153], v[162:163], -v[108:109]
	v_mul_f64 v[152:153], v[152:153], v[110:111]
	ds_read2_b64 v[168:171], v164 offset0:32 offset1:33
	v_fmac_f64_e32 v[152:153], v[154:155], v[162:163]
	s_waitcnt vmcnt(22)
	v_add_f64 v[86:87], v[86:87], -v[152:153]
	ds_read2_b64 v[152:155], v164 offset0:34 offset1:35
	v_add_f64 v[84:85], v[84:85], -v[108:109]
	;; [unrolled: 18-line block ×12, first 2 shown]
	s_waitcnt lgkmcnt(1)
	v_mul_f64 v[108:109], v[170:171], v[110:111]
	v_fma_f64 v[108:109], v[168:169], v[162:163], -v[108:109]
	s_waitcnt vmcnt(1)
	v_add_f64 v[0:1], v[0:1], -v[108:109]
	s_waitcnt lgkmcnt(0)
	v_mul_f64 v[108:109], v[154:155], v[110:111]
	v_mul_f64 v[168:169], v[168:169], v[110:111]
	v_fma_f64 v[108:109], v[152:153], v[162:163], -v[108:109]
	v_mul_f64 v[152:153], v[152:153], v[110:111]
	v_fmac_f64_e32 v[168:169], v[170:171], v[162:163]
	v_fmac_f64_e32 v[152:153], v[154:155], v[162:163]
	v_add_f64 v[2:3], v[2:3], -v[168:169]
	s_waitcnt vmcnt(0)
	v_add_f64 v[148:149], v[148:149], -v[108:109]
	v_add_f64 v[150:151], v[150:151], -v[152:153]
	v_mov_b64_e32 v[108:109], v[162:163]
.LBB74_251:
	s_or_b64 exec, exec, s[0:1]
	v_lshl_add_u32 v152, v165, 4, v164
	s_barrier
	s_waitcnt vmcnt(25)
	ds_write2_b64 v152, v[104:105], v[106:107] offset1:1
	s_waitcnt lgkmcnt(0)
	s_barrier
	ds_read2_b64 v[152:155], v164 offset0:24 offset1:25
	s_cmp_lt_i32 s20, 14
	v_mov_b32_e32 v162, 12
	s_cbranch_scc1 .LBB74_254
; %bb.252:
	v_add_u32_e32 v163, 0xd0, v164
	s_mov_b32 s16, 13
	v_mov_b32_e32 v162, 12
.LBB74_253:                             ; =>This Inner Loop Header: Depth=1
	ds_read2_b64 v[168:171], v163 offset1:1
	s_waitcnt lgkmcnt(1)
	v_xor_b32_e32 v173, 0x80000000, v153
	v_xor_b32_e32 v175, 0x80000000, v155
	v_cmp_gt_f64_e32 vcc, 0, v[154:155]
	v_cmp_gt_f64_e64 s[0:1], 0, v[152:153]
	v_mov_b32_e32 v172, v152
	v_mov_b32_e32 v174, v154
	v_cndmask_b32_e64 v173, v153, v173, s[0:1]
	v_cndmask_b32_e32 v175, v155, v175, vcc
	v_add_f64 v[172:173], v[172:173], v[174:175]
	s_waitcnt lgkmcnt(0)
	v_xor_b32_e32 v175, 0x80000000, v169
	v_xor_b32_e32 v177, 0x80000000, v171
	v_cmp_gt_f64_e32 vcc, 0, v[170:171]
	v_cmp_gt_f64_e64 s[0:1], 0, v[168:169]
	v_mov_b32_e32 v174, v168
	v_mov_b32_e32 v176, v170
	v_cndmask_b32_e64 v175, v169, v175, s[0:1]
	v_cndmask_b32_e32 v177, v171, v177, vcc
	v_add_f64 v[174:175], v[174:175], v[176:177]
	v_mov_b32_e32 v178, s16
	s_add_i32 s16, s16, 1
	v_cmp_lt_f64_e32 vcc, v[172:173], v[174:175]
	v_add_u32_e32 v163, 16, v163
	s_cmp_lg_u32 s20, s16
	v_cndmask_b32_e32 v153, v153, v169, vcc
	v_cndmask_b32_e32 v152, v152, v168, vcc
	;; [unrolled: 1-line block ×5, first 2 shown]
	s_cbranch_scc1 .LBB74_253
.LBB74_254:
	s_waitcnt lgkmcnt(0)
	v_cmp_eq_f64_e32 vcc, 0, v[152:153]
	v_cmp_eq_f64_e64 s[0:1], 0, v[154:155]
	s_and_b64 s[0:1], vcc, s[0:1]
	s_and_saveexec_b64 s[16:17], s[0:1]
	s_xor_b64 s[0:1], exec, s[16:17]
; %bb.255:
	v_cmp_ne_u32_e32 vcc, 0, v166
	s_nop 1
	v_cndmask_b32_e32 v166, 13, v166, vcc
; %bb.256:
	s_andn2_saveexec_b64 s[0:1], s[0:1]
	s_cbranch_execz .LBB74_262
; %bb.257:
	v_cmp_ngt_f64_e64 s[16:17], |v[152:153]|, |v[154:155]|
	s_and_saveexec_b64 s[18:19], s[16:17]
	s_xor_b64 s[16:17], exec, s[18:19]
	s_cbranch_execz .LBB74_259
; %bb.258:
	v_div_scale_f64 v[168:169], s[18:19], v[154:155], v[154:155], v[152:153]
	v_rcp_f64_e32 v[170:171], v[168:169]
	v_div_scale_f64 v[172:173], vcc, v[152:153], v[154:155], v[152:153]
	v_fma_f64 v[174:175], -v[168:169], v[170:171], 1.0
	v_fmac_f64_e32 v[170:171], v[170:171], v[174:175]
	v_fma_f64 v[174:175], -v[168:169], v[170:171], 1.0
	v_fmac_f64_e32 v[170:171], v[170:171], v[174:175]
	v_mul_f64 v[174:175], v[172:173], v[170:171]
	v_fma_f64 v[168:169], -v[168:169], v[174:175], v[172:173]
	v_div_fmas_f64 v[168:169], v[168:169], v[170:171], v[174:175]
	v_div_fixup_f64 v[168:169], v[168:169], v[154:155], v[152:153]
	v_fmac_f64_e32 v[154:155], v[152:153], v[168:169]
	v_div_scale_f64 v[152:153], s[18:19], v[154:155], v[154:155], 1.0
	v_rcp_f64_e32 v[170:171], v[152:153]
	s_nop 0
	v_fma_f64 v[172:173], -v[152:153], v[170:171], 1.0
	v_fmac_f64_e32 v[170:171], v[170:171], v[172:173]
	v_fma_f64 v[172:173], -v[152:153], v[170:171], 1.0
	v_fmac_f64_e32 v[170:171], v[170:171], v[172:173]
	v_div_scale_f64 v[172:173], vcc, 1.0, v[154:155], 1.0
	v_mul_f64 v[174:175], v[172:173], v[170:171]
	v_fma_f64 v[152:153], -v[152:153], v[174:175], v[172:173]
	s_nop 1
	v_div_fmas_f64 v[152:153], v[152:153], v[170:171], v[174:175]
	v_div_fixup_f64 v[154:155], v[152:153], v[154:155], 1.0
	v_mul_f64 v[152:153], v[168:169], v[154:155]
	v_xor_b32_e32 v155, 0x80000000, v155
.LBB74_259:
	s_andn2_saveexec_b64 s[16:17], s[16:17]
	s_cbranch_execz .LBB74_261
; %bb.260:
	v_div_scale_f64 v[168:169], s[18:19], v[152:153], v[152:153], v[154:155]
	v_rcp_f64_e32 v[170:171], v[168:169]
	v_div_scale_f64 v[172:173], vcc, v[154:155], v[152:153], v[154:155]
	v_fma_f64 v[174:175], -v[168:169], v[170:171], 1.0
	v_fmac_f64_e32 v[170:171], v[170:171], v[174:175]
	v_fma_f64 v[174:175], -v[168:169], v[170:171], 1.0
	v_fmac_f64_e32 v[170:171], v[170:171], v[174:175]
	v_mul_f64 v[174:175], v[172:173], v[170:171]
	v_fma_f64 v[168:169], -v[168:169], v[174:175], v[172:173]
	v_div_fmas_f64 v[168:169], v[168:169], v[170:171], v[174:175]
	v_div_fixup_f64 v[168:169], v[168:169], v[152:153], v[154:155]
	v_fmac_f64_e32 v[152:153], v[154:155], v[168:169]
	v_div_scale_f64 v[154:155], s[18:19], v[152:153], v[152:153], 1.0
	v_rcp_f64_e32 v[170:171], v[154:155]
	s_nop 0
	v_fma_f64 v[172:173], -v[154:155], v[170:171], 1.0
	v_fmac_f64_e32 v[170:171], v[170:171], v[172:173]
	v_fma_f64 v[172:173], -v[154:155], v[170:171], 1.0
	v_fmac_f64_e32 v[170:171], v[170:171], v[172:173]
	v_div_scale_f64 v[172:173], vcc, 1.0, v[152:153], 1.0
	v_mul_f64 v[174:175], v[172:173], v[170:171]
	v_fma_f64 v[154:155], -v[154:155], v[174:175], v[172:173]
	s_nop 1
	v_div_fmas_f64 v[154:155], v[154:155], v[170:171], v[174:175]
	v_div_fixup_f64 v[152:153], v[154:155], v[152:153], 1.0
	v_mul_f64 v[154:155], v[168:169], -v[152:153]
.LBB74_261:
	s_or_b64 exec, exec, s[16:17]
.LBB74_262:
	s_or_b64 exec, exec, s[0:1]
	v_cmp_ne_u32_e32 vcc, v165, v162
	s_and_saveexec_b64 s[0:1], vcc
	s_xor_b64 s[0:1], exec, s[0:1]
	s_cbranch_execz .LBB74_268
; %bb.263:
	v_cmp_eq_u32_e32 vcc, 12, v165
	s_and_saveexec_b64 s[16:17], vcc
	s_cbranch_execz .LBB74_267
; %bb.264:
	v_cmp_ne_u32_e32 vcc, 12, v162
	s_xor_b64 s[18:19], s[14:15], -1
	s_and_b64 s[22:23], s[18:19], vcc
	s_and_saveexec_b64 s[18:19], s[22:23]
	s_cbranch_execz .LBB74_266
; %bb.265:
	v_ashrrev_i32_e32 v163, 31, v162
	v_lshl_add_u64 v[168:169], v[162:163], 2, v[160:161]
	global_load_dword v163, v[168:169], off
	global_load_dword v165, v[160:161], off offset:48
	s_waitcnt vmcnt(1)
	global_store_dword v[160:161], v163, off offset:48
	s_waitcnt vmcnt(1)
	global_store_dword v[168:169], v165, off
.LBB74_266:
	s_or_b64 exec, exec, s[18:19]
	v_mov_b32_e32 v165, v162
	v_mov_b32_e32 v167, v162
.LBB74_267:
	s_or_b64 exec, exec, s[16:17]
.LBB74_268:
	s_andn2_saveexec_b64 s[0:1], s[0:1]
	s_cbranch_execz .LBB74_270
; %bb.269:
	v_mov_b32_e32 v165, 12
	s_waitcnt vmcnt(24)
	ds_write2_b64 v164, v[92:93], v[94:95] offset0:26 offset1:27
	s_waitcnt vmcnt(23)
	ds_write2_b64 v164, v[88:89], v[90:91] offset0:28 offset1:29
	;; [unrolled: 2-line block ×25, first 2 shown]
.LBB74_270:
	s_or_b64 exec, exec, s[0:1]
	v_cmp_lt_i32_e32 vcc, 12, v165
	s_waitcnt lgkmcnt(0)
	s_barrier
	s_and_saveexec_b64 s[0:1], vcc
	s_cbranch_execz .LBB74_272
; %bb.271:
	ds_read2_b64 v[168:171], v164 offset0:26 offset1:27
	v_mul_f64 v[162:163], v[154:155], v[106:107]
	v_mul_f64 v[106:107], v[152:153], v[106:107]
	v_fmac_f64_e32 v[106:107], v[154:155], v[104:105]
	v_fma_f64 v[162:163], v[152:153], v[104:105], -v[162:163]
	ds_read2_b64 v[152:155], v164 offset0:28 offset1:29
	s_waitcnt lgkmcnt(1)
	v_mul_f64 v[104:105], v[170:171], v[106:107]
	v_fma_f64 v[104:105], v[168:169], v[162:163], -v[104:105]
	v_mul_f64 v[168:169], v[168:169], v[106:107]
	v_fmac_f64_e32 v[168:169], v[170:171], v[162:163]
	s_waitcnt vmcnt(24)
	v_add_f64 v[94:95], v[94:95], -v[168:169]
	ds_read2_b64 v[168:171], v164 offset0:30 offset1:31
	v_add_f64 v[92:93], v[92:93], -v[104:105]
	s_waitcnt lgkmcnt(1)
	v_mul_f64 v[104:105], v[154:155], v[106:107]
	v_fma_f64 v[104:105], v[152:153], v[162:163], -v[104:105]
	v_mul_f64 v[152:153], v[152:153], v[106:107]
	v_fmac_f64_e32 v[152:153], v[154:155], v[162:163]
	s_waitcnt vmcnt(23)
	v_add_f64 v[88:89], v[88:89], -v[104:105]
	v_add_f64 v[90:91], v[90:91], -v[152:153]
	ds_read2_b64 v[152:155], v164 offset0:32 offset1:33
	s_waitcnt lgkmcnt(1)
	v_mul_f64 v[104:105], v[170:171], v[106:107]
	v_fma_f64 v[104:105], v[168:169], v[162:163], -v[104:105]
	v_mul_f64 v[168:169], v[168:169], v[106:107]
	v_fmac_f64_e32 v[168:169], v[170:171], v[162:163]
	s_waitcnt vmcnt(22)
	v_add_f64 v[86:87], v[86:87], -v[168:169]
	ds_read2_b64 v[168:171], v164 offset0:34 offset1:35
	v_add_f64 v[84:85], v[84:85], -v[104:105]
	s_waitcnt lgkmcnt(1)
	v_mul_f64 v[104:105], v[154:155], v[106:107]
	v_fma_f64 v[104:105], v[152:153], v[162:163], -v[104:105]
	v_mul_f64 v[152:153], v[152:153], v[106:107]
	v_fmac_f64_e32 v[152:153], v[154:155], v[162:163]
	s_waitcnt vmcnt(21)
	v_add_f64 v[80:81], v[80:81], -v[104:105]
	v_add_f64 v[82:83], v[82:83], -v[152:153]
	;; [unrolled: 18-line block ×12, first 2 shown]
	s_waitcnt lgkmcnt(0)
	v_mul_f64 v[104:105], v[170:171], v[106:107]
	v_mul_f64 v[152:153], v[168:169], v[106:107]
	v_fma_f64 v[104:105], v[168:169], v[162:163], -v[104:105]
	v_fmac_f64_e32 v[152:153], v[170:171], v[162:163]
	s_waitcnt vmcnt(0)
	v_add_f64 v[148:149], v[148:149], -v[104:105]
	v_add_f64 v[150:151], v[150:151], -v[152:153]
	v_mov_b64_e32 v[104:105], v[162:163]
.LBB74_272:
	s_or_b64 exec, exec, s[0:1]
	v_lshl_add_u32 v152, v165, 4, v164
	s_barrier
	s_waitcnt vmcnt(24)
	ds_write2_b64 v152, v[92:93], v[94:95] offset1:1
	s_waitcnt lgkmcnt(0)
	s_barrier
	ds_read2_b64 v[152:155], v164 offset0:26 offset1:27
	s_cmp_lt_i32 s20, 15
	v_mov_b32_e32 v162, 13
	s_cbranch_scc1 .LBB74_275
; %bb.273:
	v_add_u32_e32 v163, 0xe0, v164
	s_mov_b32 s16, 14
	v_mov_b32_e32 v162, 13
.LBB74_274:                             ; =>This Inner Loop Header: Depth=1
	ds_read2_b64 v[168:171], v163 offset1:1
	s_waitcnt lgkmcnt(1)
	v_xor_b32_e32 v173, 0x80000000, v153
	v_xor_b32_e32 v175, 0x80000000, v155
	v_cmp_gt_f64_e32 vcc, 0, v[154:155]
	v_cmp_gt_f64_e64 s[0:1], 0, v[152:153]
	v_mov_b32_e32 v172, v152
	v_mov_b32_e32 v174, v154
	v_cndmask_b32_e64 v173, v153, v173, s[0:1]
	v_cndmask_b32_e32 v175, v155, v175, vcc
	v_add_f64 v[172:173], v[172:173], v[174:175]
	s_waitcnt lgkmcnt(0)
	v_xor_b32_e32 v175, 0x80000000, v169
	v_xor_b32_e32 v177, 0x80000000, v171
	v_cmp_gt_f64_e32 vcc, 0, v[170:171]
	v_cmp_gt_f64_e64 s[0:1], 0, v[168:169]
	v_mov_b32_e32 v174, v168
	v_mov_b32_e32 v176, v170
	v_cndmask_b32_e64 v175, v169, v175, s[0:1]
	v_cndmask_b32_e32 v177, v171, v177, vcc
	v_add_f64 v[174:175], v[174:175], v[176:177]
	v_mov_b32_e32 v178, s16
	s_add_i32 s16, s16, 1
	v_cmp_lt_f64_e32 vcc, v[172:173], v[174:175]
	v_add_u32_e32 v163, 16, v163
	s_cmp_lg_u32 s20, s16
	v_cndmask_b32_e32 v153, v153, v169, vcc
	v_cndmask_b32_e32 v152, v152, v168, vcc
	;; [unrolled: 1-line block ×5, first 2 shown]
	s_cbranch_scc1 .LBB74_274
.LBB74_275:
	s_waitcnt lgkmcnt(0)
	v_cmp_eq_f64_e32 vcc, 0, v[152:153]
	v_cmp_eq_f64_e64 s[0:1], 0, v[154:155]
	s_and_b64 s[0:1], vcc, s[0:1]
	s_and_saveexec_b64 s[16:17], s[0:1]
	s_xor_b64 s[0:1], exec, s[16:17]
; %bb.276:
	v_cmp_ne_u32_e32 vcc, 0, v166
	s_nop 1
	v_cndmask_b32_e32 v166, 14, v166, vcc
; %bb.277:
	s_andn2_saveexec_b64 s[0:1], s[0:1]
	s_cbranch_execz .LBB74_283
; %bb.278:
	v_cmp_ngt_f64_e64 s[16:17], |v[152:153]|, |v[154:155]|
	s_and_saveexec_b64 s[18:19], s[16:17]
	s_xor_b64 s[16:17], exec, s[18:19]
	s_cbranch_execz .LBB74_280
; %bb.279:
	v_div_scale_f64 v[168:169], s[18:19], v[154:155], v[154:155], v[152:153]
	v_rcp_f64_e32 v[170:171], v[168:169]
	v_div_scale_f64 v[172:173], vcc, v[152:153], v[154:155], v[152:153]
	v_fma_f64 v[174:175], -v[168:169], v[170:171], 1.0
	v_fmac_f64_e32 v[170:171], v[170:171], v[174:175]
	v_fma_f64 v[174:175], -v[168:169], v[170:171], 1.0
	v_fmac_f64_e32 v[170:171], v[170:171], v[174:175]
	v_mul_f64 v[174:175], v[172:173], v[170:171]
	v_fma_f64 v[168:169], -v[168:169], v[174:175], v[172:173]
	v_div_fmas_f64 v[168:169], v[168:169], v[170:171], v[174:175]
	v_div_fixup_f64 v[168:169], v[168:169], v[154:155], v[152:153]
	v_fmac_f64_e32 v[154:155], v[152:153], v[168:169]
	v_div_scale_f64 v[152:153], s[18:19], v[154:155], v[154:155], 1.0
	v_rcp_f64_e32 v[170:171], v[152:153]
	s_nop 0
	v_fma_f64 v[172:173], -v[152:153], v[170:171], 1.0
	v_fmac_f64_e32 v[170:171], v[170:171], v[172:173]
	v_fma_f64 v[172:173], -v[152:153], v[170:171], 1.0
	v_fmac_f64_e32 v[170:171], v[170:171], v[172:173]
	v_div_scale_f64 v[172:173], vcc, 1.0, v[154:155], 1.0
	v_mul_f64 v[174:175], v[172:173], v[170:171]
	v_fma_f64 v[152:153], -v[152:153], v[174:175], v[172:173]
	s_nop 1
	v_div_fmas_f64 v[152:153], v[152:153], v[170:171], v[174:175]
	v_div_fixup_f64 v[154:155], v[152:153], v[154:155], 1.0
	v_mul_f64 v[152:153], v[168:169], v[154:155]
	v_xor_b32_e32 v155, 0x80000000, v155
.LBB74_280:
	s_andn2_saveexec_b64 s[16:17], s[16:17]
	s_cbranch_execz .LBB74_282
; %bb.281:
	v_div_scale_f64 v[168:169], s[18:19], v[152:153], v[152:153], v[154:155]
	v_rcp_f64_e32 v[170:171], v[168:169]
	v_div_scale_f64 v[172:173], vcc, v[154:155], v[152:153], v[154:155]
	v_fma_f64 v[174:175], -v[168:169], v[170:171], 1.0
	v_fmac_f64_e32 v[170:171], v[170:171], v[174:175]
	v_fma_f64 v[174:175], -v[168:169], v[170:171], 1.0
	v_fmac_f64_e32 v[170:171], v[170:171], v[174:175]
	v_mul_f64 v[174:175], v[172:173], v[170:171]
	v_fma_f64 v[168:169], -v[168:169], v[174:175], v[172:173]
	v_div_fmas_f64 v[168:169], v[168:169], v[170:171], v[174:175]
	v_div_fixup_f64 v[168:169], v[168:169], v[152:153], v[154:155]
	v_fmac_f64_e32 v[152:153], v[154:155], v[168:169]
	v_div_scale_f64 v[154:155], s[18:19], v[152:153], v[152:153], 1.0
	v_rcp_f64_e32 v[170:171], v[154:155]
	s_nop 0
	v_fma_f64 v[172:173], -v[154:155], v[170:171], 1.0
	v_fmac_f64_e32 v[170:171], v[170:171], v[172:173]
	v_fma_f64 v[172:173], -v[154:155], v[170:171], 1.0
	v_fmac_f64_e32 v[170:171], v[170:171], v[172:173]
	v_div_scale_f64 v[172:173], vcc, 1.0, v[152:153], 1.0
	v_mul_f64 v[174:175], v[172:173], v[170:171]
	v_fma_f64 v[154:155], -v[154:155], v[174:175], v[172:173]
	s_nop 1
	v_div_fmas_f64 v[154:155], v[154:155], v[170:171], v[174:175]
	v_div_fixup_f64 v[152:153], v[154:155], v[152:153], 1.0
	v_mul_f64 v[154:155], v[168:169], -v[152:153]
.LBB74_282:
	s_or_b64 exec, exec, s[16:17]
.LBB74_283:
	s_or_b64 exec, exec, s[0:1]
	v_cmp_ne_u32_e32 vcc, v165, v162
	s_and_saveexec_b64 s[0:1], vcc
	s_xor_b64 s[0:1], exec, s[0:1]
	s_cbranch_execz .LBB74_289
; %bb.284:
	v_cmp_eq_u32_e32 vcc, 13, v165
	s_and_saveexec_b64 s[16:17], vcc
	s_cbranch_execz .LBB74_288
; %bb.285:
	v_cmp_ne_u32_e32 vcc, 13, v162
	s_xor_b64 s[18:19], s[14:15], -1
	s_and_b64 s[22:23], s[18:19], vcc
	s_and_saveexec_b64 s[18:19], s[22:23]
	s_cbranch_execz .LBB74_287
; %bb.286:
	v_ashrrev_i32_e32 v163, 31, v162
	v_lshl_add_u64 v[168:169], v[162:163], 2, v[160:161]
	global_load_dword v163, v[168:169], off
	global_load_dword v165, v[160:161], off offset:52
	s_waitcnt vmcnt(1)
	global_store_dword v[160:161], v163, off offset:52
	s_waitcnt vmcnt(1)
	global_store_dword v[168:169], v165, off
.LBB74_287:
	s_or_b64 exec, exec, s[18:19]
	v_mov_b32_e32 v165, v162
	v_mov_b32_e32 v167, v162
.LBB74_288:
	s_or_b64 exec, exec, s[16:17]
.LBB74_289:
	s_andn2_saveexec_b64 s[0:1], s[0:1]
	s_cbranch_execz .LBB74_291
; %bb.290:
	v_mov_b32_e32 v165, 13
	s_waitcnt vmcnt(23)
	ds_write2_b64 v164, v[88:89], v[90:91] offset0:28 offset1:29
	s_waitcnt vmcnt(22)
	ds_write2_b64 v164, v[84:85], v[86:87] offset0:30 offset1:31
	;; [unrolled: 2-line block ×24, first 2 shown]
.LBB74_291:
	s_or_b64 exec, exec, s[0:1]
	v_cmp_lt_i32_e32 vcc, 13, v165
	s_waitcnt lgkmcnt(0)
	s_barrier
	s_and_saveexec_b64 s[0:1], vcc
	s_cbranch_execz .LBB74_293
; %bb.292:
	ds_read2_b64 v[168:171], v164 offset0:28 offset1:29
	v_mul_f64 v[162:163], v[154:155], v[94:95]
	v_mul_f64 v[94:95], v[152:153], v[94:95]
	v_fma_f64 v[162:163], v[152:153], v[92:93], -v[162:163]
	v_fmac_f64_e32 v[94:95], v[154:155], v[92:93]
	ds_read2_b64 v[152:155], v164 offset0:30 offset1:31
	s_waitcnt lgkmcnt(1)
	v_mul_f64 v[92:93], v[170:171], v[94:95]
	v_fma_f64 v[92:93], v[168:169], v[162:163], -v[92:93]
	v_mul_f64 v[168:169], v[168:169], v[94:95]
	v_fmac_f64_e32 v[168:169], v[170:171], v[162:163]
	s_waitcnt vmcnt(23)
	v_add_f64 v[88:89], v[88:89], -v[92:93]
	s_waitcnt lgkmcnt(0)
	v_mul_f64 v[92:93], v[154:155], v[94:95]
	v_add_f64 v[90:91], v[90:91], -v[168:169]
	v_fma_f64 v[92:93], v[152:153], v[162:163], -v[92:93]
	v_mul_f64 v[152:153], v[152:153], v[94:95]
	ds_read2_b64 v[168:171], v164 offset0:32 offset1:33
	v_fmac_f64_e32 v[152:153], v[154:155], v[162:163]
	s_waitcnt vmcnt(22)
	v_add_f64 v[86:87], v[86:87], -v[152:153]
	ds_read2_b64 v[152:155], v164 offset0:34 offset1:35
	v_add_f64 v[84:85], v[84:85], -v[92:93]
	s_waitcnt lgkmcnt(1)
	v_mul_f64 v[92:93], v[170:171], v[94:95]
	v_fma_f64 v[92:93], v[168:169], v[162:163], -v[92:93]
	v_mul_f64 v[168:169], v[168:169], v[94:95]
	v_fmac_f64_e32 v[168:169], v[170:171], v[162:163]
	s_waitcnt vmcnt(21)
	v_add_f64 v[80:81], v[80:81], -v[92:93]
	s_waitcnt lgkmcnt(0)
	v_mul_f64 v[92:93], v[154:155], v[94:95]
	v_add_f64 v[82:83], v[82:83], -v[168:169]
	v_fma_f64 v[92:93], v[152:153], v[162:163], -v[92:93]
	v_mul_f64 v[152:153], v[152:153], v[94:95]
	ds_read2_b64 v[168:171], v164 offset0:36 offset1:37
	v_fmac_f64_e32 v[152:153], v[154:155], v[162:163]
	s_waitcnt vmcnt(20)
	v_add_f64 v[78:79], v[78:79], -v[152:153]
	ds_read2_b64 v[152:155], v164 offset0:38 offset1:39
	v_add_f64 v[76:77], v[76:77], -v[92:93]
	;; [unrolled: 18-line block ×11, first 2 shown]
	s_waitcnt lgkmcnt(1)
	v_mul_f64 v[92:93], v[170:171], v[94:95]
	v_fma_f64 v[92:93], v[168:169], v[162:163], -v[92:93]
	s_waitcnt vmcnt(1)
	v_add_f64 v[0:1], v[0:1], -v[92:93]
	s_waitcnt lgkmcnt(0)
	v_mul_f64 v[92:93], v[154:155], v[94:95]
	v_mul_f64 v[168:169], v[168:169], v[94:95]
	v_fma_f64 v[92:93], v[152:153], v[162:163], -v[92:93]
	v_mul_f64 v[152:153], v[152:153], v[94:95]
	v_fmac_f64_e32 v[168:169], v[170:171], v[162:163]
	v_fmac_f64_e32 v[152:153], v[154:155], v[162:163]
	v_add_f64 v[2:3], v[2:3], -v[168:169]
	s_waitcnt vmcnt(0)
	v_add_f64 v[148:149], v[148:149], -v[92:93]
	v_add_f64 v[150:151], v[150:151], -v[152:153]
	v_mov_b64_e32 v[92:93], v[162:163]
.LBB74_293:
	s_or_b64 exec, exec, s[0:1]
	v_lshl_add_u32 v152, v165, 4, v164
	s_barrier
	s_waitcnt vmcnt(23)
	ds_write2_b64 v152, v[88:89], v[90:91] offset1:1
	s_waitcnt lgkmcnt(0)
	s_barrier
	ds_read2_b64 v[152:155], v164 offset0:28 offset1:29
	s_cmp_lt_i32 s20, 16
	v_mov_b32_e32 v162, 14
	s_cbranch_scc1 .LBB74_296
; %bb.294:
	v_add_u32_e32 v163, 0xf0, v164
	s_mov_b32 s16, 15
	v_mov_b32_e32 v162, 14
.LBB74_295:                             ; =>This Inner Loop Header: Depth=1
	ds_read2_b64 v[168:171], v163 offset1:1
	s_waitcnt lgkmcnt(1)
	v_xor_b32_e32 v173, 0x80000000, v153
	v_xor_b32_e32 v175, 0x80000000, v155
	v_cmp_gt_f64_e32 vcc, 0, v[154:155]
	v_cmp_gt_f64_e64 s[0:1], 0, v[152:153]
	v_mov_b32_e32 v172, v152
	v_mov_b32_e32 v174, v154
	v_cndmask_b32_e64 v173, v153, v173, s[0:1]
	v_cndmask_b32_e32 v175, v155, v175, vcc
	v_add_f64 v[172:173], v[172:173], v[174:175]
	s_waitcnt lgkmcnt(0)
	v_xor_b32_e32 v175, 0x80000000, v169
	v_xor_b32_e32 v177, 0x80000000, v171
	v_cmp_gt_f64_e32 vcc, 0, v[170:171]
	v_cmp_gt_f64_e64 s[0:1], 0, v[168:169]
	v_mov_b32_e32 v174, v168
	v_mov_b32_e32 v176, v170
	v_cndmask_b32_e64 v175, v169, v175, s[0:1]
	v_cndmask_b32_e32 v177, v171, v177, vcc
	v_add_f64 v[174:175], v[174:175], v[176:177]
	v_mov_b32_e32 v178, s16
	s_add_i32 s16, s16, 1
	v_cmp_lt_f64_e32 vcc, v[172:173], v[174:175]
	v_add_u32_e32 v163, 16, v163
	s_cmp_lg_u32 s20, s16
	v_cndmask_b32_e32 v153, v153, v169, vcc
	v_cndmask_b32_e32 v152, v152, v168, vcc
	v_cndmask_b32_e32 v155, v155, v171, vcc
	v_cndmask_b32_e32 v154, v154, v170, vcc
	v_cndmask_b32_e32 v162, v162, v178, vcc
	s_cbranch_scc1 .LBB74_295
.LBB74_296:
	s_waitcnt lgkmcnt(0)
	v_cmp_eq_f64_e32 vcc, 0, v[152:153]
	v_cmp_eq_f64_e64 s[0:1], 0, v[154:155]
	s_and_b64 s[0:1], vcc, s[0:1]
	s_and_saveexec_b64 s[16:17], s[0:1]
	s_xor_b64 s[0:1], exec, s[16:17]
; %bb.297:
	v_cmp_ne_u32_e32 vcc, 0, v166
	s_nop 1
	v_cndmask_b32_e32 v166, 15, v166, vcc
; %bb.298:
	s_andn2_saveexec_b64 s[0:1], s[0:1]
	s_cbranch_execz .LBB74_304
; %bb.299:
	v_cmp_ngt_f64_e64 s[16:17], |v[152:153]|, |v[154:155]|
	s_and_saveexec_b64 s[18:19], s[16:17]
	s_xor_b64 s[16:17], exec, s[18:19]
	s_cbranch_execz .LBB74_301
; %bb.300:
	v_div_scale_f64 v[168:169], s[18:19], v[154:155], v[154:155], v[152:153]
	v_rcp_f64_e32 v[170:171], v[168:169]
	v_div_scale_f64 v[172:173], vcc, v[152:153], v[154:155], v[152:153]
	v_fma_f64 v[174:175], -v[168:169], v[170:171], 1.0
	v_fmac_f64_e32 v[170:171], v[170:171], v[174:175]
	v_fma_f64 v[174:175], -v[168:169], v[170:171], 1.0
	v_fmac_f64_e32 v[170:171], v[170:171], v[174:175]
	v_mul_f64 v[174:175], v[172:173], v[170:171]
	v_fma_f64 v[168:169], -v[168:169], v[174:175], v[172:173]
	v_div_fmas_f64 v[168:169], v[168:169], v[170:171], v[174:175]
	v_div_fixup_f64 v[168:169], v[168:169], v[154:155], v[152:153]
	v_fmac_f64_e32 v[154:155], v[152:153], v[168:169]
	v_div_scale_f64 v[152:153], s[18:19], v[154:155], v[154:155], 1.0
	v_rcp_f64_e32 v[170:171], v[152:153]
	s_nop 0
	v_fma_f64 v[172:173], -v[152:153], v[170:171], 1.0
	v_fmac_f64_e32 v[170:171], v[170:171], v[172:173]
	v_fma_f64 v[172:173], -v[152:153], v[170:171], 1.0
	v_fmac_f64_e32 v[170:171], v[170:171], v[172:173]
	v_div_scale_f64 v[172:173], vcc, 1.0, v[154:155], 1.0
	v_mul_f64 v[174:175], v[172:173], v[170:171]
	v_fma_f64 v[152:153], -v[152:153], v[174:175], v[172:173]
	s_nop 1
	v_div_fmas_f64 v[152:153], v[152:153], v[170:171], v[174:175]
	v_div_fixup_f64 v[154:155], v[152:153], v[154:155], 1.0
	v_mul_f64 v[152:153], v[168:169], v[154:155]
	v_xor_b32_e32 v155, 0x80000000, v155
.LBB74_301:
	s_andn2_saveexec_b64 s[16:17], s[16:17]
	s_cbranch_execz .LBB74_303
; %bb.302:
	v_div_scale_f64 v[168:169], s[18:19], v[152:153], v[152:153], v[154:155]
	v_rcp_f64_e32 v[170:171], v[168:169]
	v_div_scale_f64 v[172:173], vcc, v[154:155], v[152:153], v[154:155]
	v_fma_f64 v[174:175], -v[168:169], v[170:171], 1.0
	v_fmac_f64_e32 v[170:171], v[170:171], v[174:175]
	v_fma_f64 v[174:175], -v[168:169], v[170:171], 1.0
	v_fmac_f64_e32 v[170:171], v[170:171], v[174:175]
	v_mul_f64 v[174:175], v[172:173], v[170:171]
	v_fma_f64 v[168:169], -v[168:169], v[174:175], v[172:173]
	v_div_fmas_f64 v[168:169], v[168:169], v[170:171], v[174:175]
	v_div_fixup_f64 v[168:169], v[168:169], v[152:153], v[154:155]
	v_fmac_f64_e32 v[152:153], v[154:155], v[168:169]
	v_div_scale_f64 v[154:155], s[18:19], v[152:153], v[152:153], 1.0
	v_rcp_f64_e32 v[170:171], v[154:155]
	s_nop 0
	v_fma_f64 v[172:173], -v[154:155], v[170:171], 1.0
	v_fmac_f64_e32 v[170:171], v[170:171], v[172:173]
	v_fma_f64 v[172:173], -v[154:155], v[170:171], 1.0
	v_fmac_f64_e32 v[170:171], v[170:171], v[172:173]
	v_div_scale_f64 v[172:173], vcc, 1.0, v[152:153], 1.0
	v_mul_f64 v[174:175], v[172:173], v[170:171]
	v_fma_f64 v[154:155], -v[154:155], v[174:175], v[172:173]
	s_nop 1
	v_div_fmas_f64 v[154:155], v[154:155], v[170:171], v[174:175]
	v_div_fixup_f64 v[152:153], v[154:155], v[152:153], 1.0
	v_mul_f64 v[154:155], v[168:169], -v[152:153]
.LBB74_303:
	s_or_b64 exec, exec, s[16:17]
.LBB74_304:
	s_or_b64 exec, exec, s[0:1]
	v_cmp_ne_u32_e32 vcc, v165, v162
	s_and_saveexec_b64 s[0:1], vcc
	s_xor_b64 s[0:1], exec, s[0:1]
	s_cbranch_execz .LBB74_310
; %bb.305:
	v_cmp_eq_u32_e32 vcc, 14, v165
	s_and_saveexec_b64 s[16:17], vcc
	s_cbranch_execz .LBB74_309
; %bb.306:
	v_cmp_ne_u32_e32 vcc, 14, v162
	s_xor_b64 s[18:19], s[14:15], -1
	s_and_b64 s[22:23], s[18:19], vcc
	s_and_saveexec_b64 s[18:19], s[22:23]
	s_cbranch_execz .LBB74_308
; %bb.307:
	v_ashrrev_i32_e32 v163, 31, v162
	v_lshl_add_u64 v[168:169], v[162:163], 2, v[160:161]
	global_load_dword v163, v[168:169], off
	global_load_dword v165, v[160:161], off offset:56
	s_waitcnt vmcnt(1)
	global_store_dword v[160:161], v163, off offset:56
	s_waitcnt vmcnt(1)
	global_store_dword v[168:169], v165, off
.LBB74_308:
	s_or_b64 exec, exec, s[18:19]
	v_mov_b32_e32 v165, v162
	v_mov_b32_e32 v167, v162
.LBB74_309:
	s_or_b64 exec, exec, s[16:17]
.LBB74_310:
	s_andn2_saveexec_b64 s[0:1], s[0:1]
	s_cbranch_execz .LBB74_312
; %bb.311:
	v_mov_b32_e32 v165, 14
	s_waitcnt vmcnt(22)
	ds_write2_b64 v164, v[84:85], v[86:87] offset0:30 offset1:31
	s_waitcnt vmcnt(21)
	ds_write2_b64 v164, v[80:81], v[82:83] offset0:32 offset1:33
	;; [unrolled: 2-line block ×23, first 2 shown]
.LBB74_312:
	s_or_b64 exec, exec, s[0:1]
	v_cmp_lt_i32_e32 vcc, 14, v165
	s_waitcnt lgkmcnt(0)
	s_barrier
	s_and_saveexec_b64 s[0:1], vcc
	s_cbranch_execz .LBB74_314
; %bb.313:
	ds_read2_b64 v[168:171], v164 offset0:30 offset1:31
	v_mul_f64 v[162:163], v[154:155], v[90:91]
	v_mul_f64 v[90:91], v[152:153], v[90:91]
	v_fmac_f64_e32 v[90:91], v[154:155], v[88:89]
	v_fma_f64 v[162:163], v[152:153], v[88:89], -v[162:163]
	ds_read2_b64 v[152:155], v164 offset0:32 offset1:33
	s_waitcnt lgkmcnt(1)
	v_mul_f64 v[88:89], v[170:171], v[90:91]
	v_fma_f64 v[88:89], v[168:169], v[162:163], -v[88:89]
	v_mul_f64 v[168:169], v[168:169], v[90:91]
	v_fmac_f64_e32 v[168:169], v[170:171], v[162:163]
	s_waitcnt vmcnt(22)
	v_add_f64 v[86:87], v[86:87], -v[168:169]
	ds_read2_b64 v[168:171], v164 offset0:34 offset1:35
	v_add_f64 v[84:85], v[84:85], -v[88:89]
	s_waitcnt lgkmcnt(1)
	v_mul_f64 v[88:89], v[154:155], v[90:91]
	v_fma_f64 v[88:89], v[152:153], v[162:163], -v[88:89]
	v_mul_f64 v[152:153], v[152:153], v[90:91]
	v_fmac_f64_e32 v[152:153], v[154:155], v[162:163]
	s_waitcnt vmcnt(21)
	v_add_f64 v[80:81], v[80:81], -v[88:89]
	v_add_f64 v[82:83], v[82:83], -v[152:153]
	ds_read2_b64 v[152:155], v164 offset0:36 offset1:37
	s_waitcnt lgkmcnt(1)
	v_mul_f64 v[88:89], v[170:171], v[90:91]
	v_fma_f64 v[88:89], v[168:169], v[162:163], -v[88:89]
	v_mul_f64 v[168:169], v[168:169], v[90:91]
	v_fmac_f64_e32 v[168:169], v[170:171], v[162:163]
	s_waitcnt vmcnt(20)
	v_add_f64 v[78:79], v[78:79], -v[168:169]
	ds_read2_b64 v[168:171], v164 offset0:38 offset1:39
	v_add_f64 v[76:77], v[76:77], -v[88:89]
	s_waitcnt lgkmcnt(1)
	v_mul_f64 v[88:89], v[154:155], v[90:91]
	v_fma_f64 v[88:89], v[152:153], v[162:163], -v[88:89]
	v_mul_f64 v[152:153], v[152:153], v[90:91]
	v_fmac_f64_e32 v[152:153], v[154:155], v[162:163]
	s_waitcnt vmcnt(19)
	v_add_f64 v[72:73], v[72:73], -v[88:89]
	v_add_f64 v[74:75], v[74:75], -v[152:153]
	;; [unrolled: 18-line block ×11, first 2 shown]
	s_waitcnt lgkmcnt(0)
	v_mul_f64 v[88:89], v[170:171], v[90:91]
	v_mul_f64 v[152:153], v[168:169], v[90:91]
	v_fma_f64 v[88:89], v[168:169], v[162:163], -v[88:89]
	v_fmac_f64_e32 v[152:153], v[170:171], v[162:163]
	s_waitcnt vmcnt(0)
	v_add_f64 v[148:149], v[148:149], -v[88:89]
	v_add_f64 v[150:151], v[150:151], -v[152:153]
	v_mov_b64_e32 v[88:89], v[162:163]
.LBB74_314:
	s_or_b64 exec, exec, s[0:1]
	v_lshl_add_u32 v152, v165, 4, v164
	s_barrier
	s_waitcnt vmcnt(22)
	ds_write2_b64 v152, v[84:85], v[86:87] offset1:1
	s_waitcnt lgkmcnt(0)
	s_barrier
	ds_read2_b64 v[152:155], v164 offset0:30 offset1:31
	s_cmp_lt_i32 s20, 17
	v_mov_b32_e32 v162, 15
	s_cbranch_scc1 .LBB74_317
; %bb.315:
	v_add_u32_e32 v163, 0x100, v164
	s_mov_b32 s16, 16
	v_mov_b32_e32 v162, 15
.LBB74_316:                             ; =>This Inner Loop Header: Depth=1
	ds_read2_b64 v[168:171], v163 offset1:1
	s_waitcnt lgkmcnt(1)
	v_xor_b32_e32 v173, 0x80000000, v153
	v_xor_b32_e32 v175, 0x80000000, v155
	v_cmp_gt_f64_e32 vcc, 0, v[154:155]
	v_cmp_gt_f64_e64 s[0:1], 0, v[152:153]
	v_mov_b32_e32 v172, v152
	v_mov_b32_e32 v174, v154
	v_cndmask_b32_e64 v173, v153, v173, s[0:1]
	v_cndmask_b32_e32 v175, v155, v175, vcc
	v_add_f64 v[172:173], v[172:173], v[174:175]
	s_waitcnt lgkmcnt(0)
	v_xor_b32_e32 v175, 0x80000000, v169
	v_xor_b32_e32 v177, 0x80000000, v171
	v_cmp_gt_f64_e32 vcc, 0, v[170:171]
	v_cmp_gt_f64_e64 s[0:1], 0, v[168:169]
	v_mov_b32_e32 v174, v168
	v_mov_b32_e32 v176, v170
	v_cndmask_b32_e64 v175, v169, v175, s[0:1]
	v_cndmask_b32_e32 v177, v171, v177, vcc
	v_add_f64 v[174:175], v[174:175], v[176:177]
	v_mov_b32_e32 v178, s16
	s_add_i32 s16, s16, 1
	v_cmp_lt_f64_e32 vcc, v[172:173], v[174:175]
	v_add_u32_e32 v163, 16, v163
	s_cmp_lg_u32 s20, s16
	v_cndmask_b32_e32 v153, v153, v169, vcc
	v_cndmask_b32_e32 v152, v152, v168, vcc
	;; [unrolled: 1-line block ×5, first 2 shown]
	s_cbranch_scc1 .LBB74_316
.LBB74_317:
	s_waitcnt lgkmcnt(0)
	v_cmp_eq_f64_e32 vcc, 0, v[152:153]
	v_cmp_eq_f64_e64 s[0:1], 0, v[154:155]
	s_and_b64 s[0:1], vcc, s[0:1]
	s_and_saveexec_b64 s[16:17], s[0:1]
	s_xor_b64 s[0:1], exec, s[16:17]
; %bb.318:
	v_cmp_ne_u32_e32 vcc, 0, v166
	s_nop 1
	v_cndmask_b32_e32 v166, 16, v166, vcc
; %bb.319:
	s_andn2_saveexec_b64 s[0:1], s[0:1]
	s_cbranch_execz .LBB74_325
; %bb.320:
	v_cmp_ngt_f64_e64 s[16:17], |v[152:153]|, |v[154:155]|
	s_and_saveexec_b64 s[18:19], s[16:17]
	s_xor_b64 s[16:17], exec, s[18:19]
	s_cbranch_execz .LBB74_322
; %bb.321:
	v_div_scale_f64 v[168:169], s[18:19], v[154:155], v[154:155], v[152:153]
	v_rcp_f64_e32 v[170:171], v[168:169]
	v_div_scale_f64 v[172:173], vcc, v[152:153], v[154:155], v[152:153]
	v_fma_f64 v[174:175], -v[168:169], v[170:171], 1.0
	v_fmac_f64_e32 v[170:171], v[170:171], v[174:175]
	v_fma_f64 v[174:175], -v[168:169], v[170:171], 1.0
	v_fmac_f64_e32 v[170:171], v[170:171], v[174:175]
	v_mul_f64 v[174:175], v[172:173], v[170:171]
	v_fma_f64 v[168:169], -v[168:169], v[174:175], v[172:173]
	v_div_fmas_f64 v[168:169], v[168:169], v[170:171], v[174:175]
	v_div_fixup_f64 v[168:169], v[168:169], v[154:155], v[152:153]
	v_fmac_f64_e32 v[154:155], v[152:153], v[168:169]
	v_div_scale_f64 v[152:153], s[18:19], v[154:155], v[154:155], 1.0
	v_rcp_f64_e32 v[170:171], v[152:153]
	s_nop 0
	v_fma_f64 v[172:173], -v[152:153], v[170:171], 1.0
	v_fmac_f64_e32 v[170:171], v[170:171], v[172:173]
	v_fma_f64 v[172:173], -v[152:153], v[170:171], 1.0
	v_fmac_f64_e32 v[170:171], v[170:171], v[172:173]
	v_div_scale_f64 v[172:173], vcc, 1.0, v[154:155], 1.0
	v_mul_f64 v[174:175], v[172:173], v[170:171]
	v_fma_f64 v[152:153], -v[152:153], v[174:175], v[172:173]
	s_nop 1
	v_div_fmas_f64 v[152:153], v[152:153], v[170:171], v[174:175]
	v_div_fixup_f64 v[154:155], v[152:153], v[154:155], 1.0
	v_mul_f64 v[152:153], v[168:169], v[154:155]
	v_xor_b32_e32 v155, 0x80000000, v155
.LBB74_322:
	s_andn2_saveexec_b64 s[16:17], s[16:17]
	s_cbranch_execz .LBB74_324
; %bb.323:
	v_div_scale_f64 v[168:169], s[18:19], v[152:153], v[152:153], v[154:155]
	v_rcp_f64_e32 v[170:171], v[168:169]
	v_div_scale_f64 v[172:173], vcc, v[154:155], v[152:153], v[154:155]
	v_fma_f64 v[174:175], -v[168:169], v[170:171], 1.0
	v_fmac_f64_e32 v[170:171], v[170:171], v[174:175]
	v_fma_f64 v[174:175], -v[168:169], v[170:171], 1.0
	v_fmac_f64_e32 v[170:171], v[170:171], v[174:175]
	v_mul_f64 v[174:175], v[172:173], v[170:171]
	v_fma_f64 v[168:169], -v[168:169], v[174:175], v[172:173]
	v_div_fmas_f64 v[168:169], v[168:169], v[170:171], v[174:175]
	v_div_fixup_f64 v[168:169], v[168:169], v[152:153], v[154:155]
	v_fmac_f64_e32 v[152:153], v[154:155], v[168:169]
	v_div_scale_f64 v[154:155], s[18:19], v[152:153], v[152:153], 1.0
	v_rcp_f64_e32 v[170:171], v[154:155]
	s_nop 0
	v_fma_f64 v[172:173], -v[154:155], v[170:171], 1.0
	v_fmac_f64_e32 v[170:171], v[170:171], v[172:173]
	v_fma_f64 v[172:173], -v[154:155], v[170:171], 1.0
	v_fmac_f64_e32 v[170:171], v[170:171], v[172:173]
	v_div_scale_f64 v[172:173], vcc, 1.0, v[152:153], 1.0
	v_mul_f64 v[174:175], v[172:173], v[170:171]
	v_fma_f64 v[154:155], -v[154:155], v[174:175], v[172:173]
	s_nop 1
	v_div_fmas_f64 v[154:155], v[154:155], v[170:171], v[174:175]
	v_div_fixup_f64 v[152:153], v[154:155], v[152:153], 1.0
	v_mul_f64 v[154:155], v[168:169], -v[152:153]
.LBB74_324:
	s_or_b64 exec, exec, s[16:17]
.LBB74_325:
	s_or_b64 exec, exec, s[0:1]
	v_cmp_ne_u32_e32 vcc, v165, v162
	s_and_saveexec_b64 s[0:1], vcc
	s_xor_b64 s[0:1], exec, s[0:1]
	s_cbranch_execz .LBB74_331
; %bb.326:
	v_cmp_eq_u32_e32 vcc, 15, v165
	s_and_saveexec_b64 s[16:17], vcc
	s_cbranch_execz .LBB74_330
; %bb.327:
	v_cmp_ne_u32_e32 vcc, 15, v162
	s_xor_b64 s[18:19], s[14:15], -1
	s_and_b64 s[22:23], s[18:19], vcc
	s_and_saveexec_b64 s[18:19], s[22:23]
	s_cbranch_execz .LBB74_329
; %bb.328:
	v_ashrrev_i32_e32 v163, 31, v162
	v_lshl_add_u64 v[168:169], v[162:163], 2, v[160:161]
	global_load_dword v163, v[168:169], off
	global_load_dword v165, v[160:161], off offset:60
	s_waitcnt vmcnt(1)
	global_store_dword v[160:161], v163, off offset:60
	s_waitcnt vmcnt(1)
	global_store_dword v[168:169], v165, off
.LBB74_329:
	s_or_b64 exec, exec, s[18:19]
	v_mov_b32_e32 v165, v162
	v_mov_b32_e32 v167, v162
.LBB74_330:
	s_or_b64 exec, exec, s[16:17]
.LBB74_331:
	s_andn2_saveexec_b64 s[0:1], s[0:1]
	s_cbranch_execz .LBB74_333
; %bb.332:
	v_mov_b32_e32 v165, 15
	s_waitcnt vmcnt(21)
	ds_write2_b64 v164, v[80:81], v[82:83] offset0:32 offset1:33
	s_waitcnt vmcnt(20)
	ds_write2_b64 v164, v[76:77], v[78:79] offset0:34 offset1:35
	;; [unrolled: 2-line block ×22, first 2 shown]
.LBB74_333:
	s_or_b64 exec, exec, s[0:1]
	v_cmp_lt_i32_e32 vcc, 15, v165
	s_waitcnt lgkmcnt(0)
	s_barrier
	s_and_saveexec_b64 s[0:1], vcc
	s_cbranch_execz .LBB74_335
; %bb.334:
	ds_read2_b64 v[168:171], v164 offset0:32 offset1:33
	v_mul_f64 v[162:163], v[154:155], v[86:87]
	v_mul_f64 v[86:87], v[152:153], v[86:87]
	v_fma_f64 v[162:163], v[152:153], v[84:85], -v[162:163]
	v_fmac_f64_e32 v[86:87], v[154:155], v[84:85]
	ds_read2_b64 v[152:155], v164 offset0:34 offset1:35
	s_waitcnt lgkmcnt(1)
	v_mul_f64 v[84:85], v[170:171], v[86:87]
	v_fma_f64 v[84:85], v[168:169], v[162:163], -v[84:85]
	v_mul_f64 v[168:169], v[168:169], v[86:87]
	v_fmac_f64_e32 v[168:169], v[170:171], v[162:163]
	s_waitcnt vmcnt(21)
	v_add_f64 v[80:81], v[80:81], -v[84:85]
	s_waitcnt lgkmcnt(0)
	v_mul_f64 v[84:85], v[154:155], v[86:87]
	v_add_f64 v[82:83], v[82:83], -v[168:169]
	v_fma_f64 v[84:85], v[152:153], v[162:163], -v[84:85]
	v_mul_f64 v[152:153], v[152:153], v[86:87]
	ds_read2_b64 v[168:171], v164 offset0:36 offset1:37
	v_fmac_f64_e32 v[152:153], v[154:155], v[162:163]
	s_waitcnt vmcnt(20)
	v_add_f64 v[78:79], v[78:79], -v[152:153]
	ds_read2_b64 v[152:155], v164 offset0:38 offset1:39
	v_add_f64 v[76:77], v[76:77], -v[84:85]
	s_waitcnt lgkmcnt(1)
	v_mul_f64 v[84:85], v[170:171], v[86:87]
	v_fma_f64 v[84:85], v[168:169], v[162:163], -v[84:85]
	v_mul_f64 v[168:169], v[168:169], v[86:87]
	v_fmac_f64_e32 v[168:169], v[170:171], v[162:163]
	s_waitcnt vmcnt(19)
	v_add_f64 v[72:73], v[72:73], -v[84:85]
	s_waitcnt lgkmcnt(0)
	v_mul_f64 v[84:85], v[154:155], v[86:87]
	v_add_f64 v[74:75], v[74:75], -v[168:169]
	v_fma_f64 v[84:85], v[152:153], v[162:163], -v[84:85]
	v_mul_f64 v[152:153], v[152:153], v[86:87]
	ds_read2_b64 v[168:171], v164 offset0:40 offset1:41
	v_fmac_f64_e32 v[152:153], v[154:155], v[162:163]
	s_waitcnt vmcnt(18)
	v_add_f64 v[70:71], v[70:71], -v[152:153]
	ds_read2_b64 v[152:155], v164 offset0:42 offset1:43
	v_add_f64 v[68:69], v[68:69], -v[84:85]
	s_waitcnt lgkmcnt(1)
	v_mul_f64 v[84:85], v[170:171], v[86:87]
	v_fma_f64 v[84:85], v[168:169], v[162:163], -v[84:85]
	v_mul_f64 v[168:169], v[168:169], v[86:87]
	v_fmac_f64_e32 v[168:169], v[170:171], v[162:163]
	s_waitcnt vmcnt(17)
	v_add_f64 v[64:65], v[64:65], -v[84:85]
	s_waitcnt lgkmcnt(0)
	v_mul_f64 v[84:85], v[154:155], v[86:87]
	v_add_f64 v[66:67], v[66:67], -v[168:169]
	v_fma_f64 v[84:85], v[152:153], v[162:163], -v[84:85]
	v_mul_f64 v[152:153], v[152:153], v[86:87]
	ds_read2_b64 v[168:171], v164 offset0:44 offset1:45
	v_fmac_f64_e32 v[152:153], v[154:155], v[162:163]
	s_waitcnt vmcnt(16)
	v_add_f64 v[62:63], v[62:63], -v[152:153]
	ds_read2_b64 v[152:155], v164 offset0:46 offset1:47
	v_add_f64 v[60:61], v[60:61], -v[84:85]
	s_waitcnt lgkmcnt(1)
	v_mul_f64 v[84:85], v[170:171], v[86:87]
	v_fma_f64 v[84:85], v[168:169], v[162:163], -v[84:85]
	v_mul_f64 v[168:169], v[168:169], v[86:87]
	v_fmac_f64_e32 v[168:169], v[170:171], v[162:163]
	s_waitcnt vmcnt(15)
	v_add_f64 v[56:57], v[56:57], -v[84:85]
	s_waitcnt lgkmcnt(0)
	v_mul_f64 v[84:85], v[154:155], v[86:87]
	v_add_f64 v[58:59], v[58:59], -v[168:169]
	v_fma_f64 v[84:85], v[152:153], v[162:163], -v[84:85]
	v_mul_f64 v[152:153], v[152:153], v[86:87]
	ds_read2_b64 v[168:171], v164 offset0:48 offset1:49
	v_fmac_f64_e32 v[152:153], v[154:155], v[162:163]
	s_waitcnt vmcnt(14)
	v_add_f64 v[54:55], v[54:55], -v[152:153]
	ds_read2_b64 v[152:155], v164 offset0:50 offset1:51
	v_add_f64 v[52:53], v[52:53], -v[84:85]
	s_waitcnt lgkmcnt(1)
	v_mul_f64 v[84:85], v[170:171], v[86:87]
	v_fma_f64 v[84:85], v[168:169], v[162:163], -v[84:85]
	v_mul_f64 v[168:169], v[168:169], v[86:87]
	v_fmac_f64_e32 v[168:169], v[170:171], v[162:163]
	s_waitcnt vmcnt(13)
	v_add_f64 v[48:49], v[48:49], -v[84:85]
	s_waitcnt lgkmcnt(0)
	v_mul_f64 v[84:85], v[154:155], v[86:87]
	v_add_f64 v[50:51], v[50:51], -v[168:169]
	v_fma_f64 v[84:85], v[152:153], v[162:163], -v[84:85]
	v_mul_f64 v[152:153], v[152:153], v[86:87]
	ds_read2_b64 v[168:171], v164 offset0:52 offset1:53
	v_fmac_f64_e32 v[152:153], v[154:155], v[162:163]
	s_waitcnt vmcnt(12)
	v_add_f64 v[46:47], v[46:47], -v[152:153]
	ds_read2_b64 v[152:155], v164 offset0:54 offset1:55
	v_add_f64 v[44:45], v[44:45], -v[84:85]
	s_waitcnt lgkmcnt(1)
	v_mul_f64 v[84:85], v[170:171], v[86:87]
	v_fma_f64 v[84:85], v[168:169], v[162:163], -v[84:85]
	v_mul_f64 v[168:169], v[168:169], v[86:87]
	v_fmac_f64_e32 v[168:169], v[170:171], v[162:163]
	s_waitcnt vmcnt(11)
	v_add_f64 v[40:41], v[40:41], -v[84:85]
	s_waitcnt lgkmcnt(0)
	v_mul_f64 v[84:85], v[154:155], v[86:87]
	v_add_f64 v[42:43], v[42:43], -v[168:169]
	v_fma_f64 v[84:85], v[152:153], v[162:163], -v[84:85]
	v_mul_f64 v[152:153], v[152:153], v[86:87]
	ds_read2_b64 v[168:171], v164 offset0:56 offset1:57
	v_fmac_f64_e32 v[152:153], v[154:155], v[162:163]
	s_waitcnt vmcnt(10)
	v_add_f64 v[38:39], v[38:39], -v[152:153]
	ds_read2_b64 v[152:155], v164 offset0:58 offset1:59
	v_add_f64 v[36:37], v[36:37], -v[84:85]
	s_waitcnt lgkmcnt(1)
	v_mul_f64 v[84:85], v[170:171], v[86:87]
	v_fma_f64 v[84:85], v[168:169], v[162:163], -v[84:85]
	v_mul_f64 v[168:169], v[168:169], v[86:87]
	v_fmac_f64_e32 v[168:169], v[170:171], v[162:163]
	s_waitcnt vmcnt(9)
	v_add_f64 v[32:33], v[32:33], -v[84:85]
	s_waitcnt lgkmcnt(0)
	v_mul_f64 v[84:85], v[154:155], v[86:87]
	v_add_f64 v[34:35], v[34:35], -v[168:169]
	v_fma_f64 v[84:85], v[152:153], v[162:163], -v[84:85]
	v_mul_f64 v[152:153], v[152:153], v[86:87]
	ds_read2_b64 v[168:171], v164 offset0:60 offset1:61
	v_fmac_f64_e32 v[152:153], v[154:155], v[162:163]
	s_waitcnt vmcnt(8)
	v_add_f64 v[30:31], v[30:31], -v[152:153]
	ds_read2_b64 v[152:155], v164 offset0:62 offset1:63
	v_add_f64 v[28:29], v[28:29], -v[84:85]
	s_waitcnt lgkmcnt(1)
	v_mul_f64 v[84:85], v[170:171], v[86:87]
	v_fma_f64 v[84:85], v[168:169], v[162:163], -v[84:85]
	v_mul_f64 v[168:169], v[168:169], v[86:87]
	v_fmac_f64_e32 v[168:169], v[170:171], v[162:163]
	s_waitcnt vmcnt(7)
	v_add_f64 v[24:25], v[24:25], -v[84:85]
	s_waitcnt lgkmcnt(0)
	v_mul_f64 v[84:85], v[154:155], v[86:87]
	v_add_f64 v[26:27], v[26:27], -v[168:169]
	v_fma_f64 v[84:85], v[152:153], v[162:163], -v[84:85]
	v_mul_f64 v[152:153], v[152:153], v[86:87]
	ds_read2_b64 v[168:171], v164 offset0:64 offset1:65
	v_fmac_f64_e32 v[152:153], v[154:155], v[162:163]
	s_waitcnt vmcnt(6)
	v_add_f64 v[22:23], v[22:23], -v[152:153]
	ds_read2_b64 v[152:155], v164 offset0:66 offset1:67
	v_add_f64 v[20:21], v[20:21], -v[84:85]
	s_waitcnt lgkmcnt(1)
	v_mul_f64 v[84:85], v[170:171], v[86:87]
	v_fma_f64 v[84:85], v[168:169], v[162:163], -v[84:85]
	v_mul_f64 v[168:169], v[168:169], v[86:87]
	v_fmac_f64_e32 v[168:169], v[170:171], v[162:163]
	s_waitcnt vmcnt(5)
	v_add_f64 v[16:17], v[16:17], -v[84:85]
	s_waitcnt lgkmcnt(0)
	v_mul_f64 v[84:85], v[154:155], v[86:87]
	v_add_f64 v[18:19], v[18:19], -v[168:169]
	v_fma_f64 v[84:85], v[152:153], v[162:163], -v[84:85]
	v_mul_f64 v[152:153], v[152:153], v[86:87]
	ds_read2_b64 v[168:171], v164 offset0:68 offset1:69
	v_fmac_f64_e32 v[152:153], v[154:155], v[162:163]
	s_waitcnt vmcnt(4)
	v_add_f64 v[14:15], v[14:15], -v[152:153]
	ds_read2_b64 v[152:155], v164 offset0:70 offset1:71
	v_add_f64 v[12:13], v[12:13], -v[84:85]
	s_waitcnt lgkmcnt(1)
	v_mul_f64 v[84:85], v[170:171], v[86:87]
	v_fma_f64 v[84:85], v[168:169], v[162:163], -v[84:85]
	v_mul_f64 v[168:169], v[168:169], v[86:87]
	v_fmac_f64_e32 v[168:169], v[170:171], v[162:163]
	s_waitcnt vmcnt(3)
	v_add_f64 v[8:9], v[8:9], -v[84:85]
	s_waitcnt lgkmcnt(0)
	v_mul_f64 v[84:85], v[154:155], v[86:87]
	v_add_f64 v[10:11], v[10:11], -v[168:169]
	v_fma_f64 v[84:85], v[152:153], v[162:163], -v[84:85]
	v_mul_f64 v[152:153], v[152:153], v[86:87]
	ds_read2_b64 v[168:171], v164 offset0:72 offset1:73
	v_fmac_f64_e32 v[152:153], v[154:155], v[162:163]
	s_waitcnt vmcnt(2)
	v_add_f64 v[6:7], v[6:7], -v[152:153]
	ds_read2_b64 v[152:155], v164 offset0:74 offset1:75
	v_add_f64 v[4:5], v[4:5], -v[84:85]
	s_waitcnt lgkmcnt(1)
	v_mul_f64 v[84:85], v[170:171], v[86:87]
	v_fma_f64 v[84:85], v[168:169], v[162:163], -v[84:85]
	s_waitcnt vmcnt(1)
	v_add_f64 v[0:1], v[0:1], -v[84:85]
	s_waitcnt lgkmcnt(0)
	v_mul_f64 v[84:85], v[154:155], v[86:87]
	v_mul_f64 v[168:169], v[168:169], v[86:87]
	v_fma_f64 v[84:85], v[152:153], v[162:163], -v[84:85]
	v_mul_f64 v[152:153], v[152:153], v[86:87]
	v_fmac_f64_e32 v[168:169], v[170:171], v[162:163]
	v_fmac_f64_e32 v[152:153], v[154:155], v[162:163]
	v_add_f64 v[2:3], v[2:3], -v[168:169]
	s_waitcnt vmcnt(0)
	v_add_f64 v[148:149], v[148:149], -v[84:85]
	v_add_f64 v[150:151], v[150:151], -v[152:153]
	v_mov_b64_e32 v[84:85], v[162:163]
.LBB74_335:
	s_or_b64 exec, exec, s[0:1]
	v_lshl_add_u32 v152, v165, 4, v164
	s_barrier
	s_waitcnt vmcnt(21)
	ds_write2_b64 v152, v[80:81], v[82:83] offset1:1
	s_waitcnt lgkmcnt(0)
	s_barrier
	ds_read2_b64 v[152:155], v164 offset0:32 offset1:33
	s_cmp_lt_i32 s20, 18
	v_mov_b32_e32 v162, 16
	s_cbranch_scc1 .LBB74_338
; %bb.336:
	v_add_u32_e32 v163, 0x110, v164
	s_mov_b32 s16, 17
	v_mov_b32_e32 v162, 16
.LBB74_337:                             ; =>This Inner Loop Header: Depth=1
	ds_read2_b64 v[168:171], v163 offset1:1
	s_waitcnt lgkmcnt(1)
	v_xor_b32_e32 v173, 0x80000000, v153
	v_xor_b32_e32 v175, 0x80000000, v155
	v_cmp_gt_f64_e32 vcc, 0, v[154:155]
	v_cmp_gt_f64_e64 s[0:1], 0, v[152:153]
	v_mov_b32_e32 v172, v152
	v_mov_b32_e32 v174, v154
	v_cndmask_b32_e64 v173, v153, v173, s[0:1]
	v_cndmask_b32_e32 v175, v155, v175, vcc
	v_add_f64 v[172:173], v[172:173], v[174:175]
	s_waitcnt lgkmcnt(0)
	v_xor_b32_e32 v175, 0x80000000, v169
	v_xor_b32_e32 v177, 0x80000000, v171
	v_cmp_gt_f64_e32 vcc, 0, v[170:171]
	v_cmp_gt_f64_e64 s[0:1], 0, v[168:169]
	v_mov_b32_e32 v174, v168
	v_mov_b32_e32 v176, v170
	v_cndmask_b32_e64 v175, v169, v175, s[0:1]
	v_cndmask_b32_e32 v177, v171, v177, vcc
	v_add_f64 v[174:175], v[174:175], v[176:177]
	v_mov_b32_e32 v178, s16
	s_add_i32 s16, s16, 1
	v_cmp_lt_f64_e32 vcc, v[172:173], v[174:175]
	v_add_u32_e32 v163, 16, v163
	s_cmp_lg_u32 s20, s16
	v_cndmask_b32_e32 v153, v153, v169, vcc
	v_cndmask_b32_e32 v152, v152, v168, vcc
	;; [unrolled: 1-line block ×5, first 2 shown]
	s_cbranch_scc1 .LBB74_337
.LBB74_338:
	s_waitcnt lgkmcnt(0)
	v_cmp_eq_f64_e32 vcc, 0, v[152:153]
	v_cmp_eq_f64_e64 s[0:1], 0, v[154:155]
	s_and_b64 s[0:1], vcc, s[0:1]
	s_and_saveexec_b64 s[16:17], s[0:1]
	s_xor_b64 s[0:1], exec, s[16:17]
; %bb.339:
	v_cmp_ne_u32_e32 vcc, 0, v166
	s_nop 1
	v_cndmask_b32_e32 v166, 17, v166, vcc
; %bb.340:
	s_andn2_saveexec_b64 s[0:1], s[0:1]
	s_cbranch_execz .LBB74_346
; %bb.341:
	v_cmp_ngt_f64_e64 s[16:17], |v[152:153]|, |v[154:155]|
	s_and_saveexec_b64 s[18:19], s[16:17]
	s_xor_b64 s[16:17], exec, s[18:19]
	s_cbranch_execz .LBB74_343
; %bb.342:
	v_div_scale_f64 v[168:169], s[18:19], v[154:155], v[154:155], v[152:153]
	v_rcp_f64_e32 v[170:171], v[168:169]
	v_div_scale_f64 v[172:173], vcc, v[152:153], v[154:155], v[152:153]
	v_fma_f64 v[174:175], -v[168:169], v[170:171], 1.0
	v_fmac_f64_e32 v[170:171], v[170:171], v[174:175]
	v_fma_f64 v[174:175], -v[168:169], v[170:171], 1.0
	v_fmac_f64_e32 v[170:171], v[170:171], v[174:175]
	v_mul_f64 v[174:175], v[172:173], v[170:171]
	v_fma_f64 v[168:169], -v[168:169], v[174:175], v[172:173]
	v_div_fmas_f64 v[168:169], v[168:169], v[170:171], v[174:175]
	v_div_fixup_f64 v[168:169], v[168:169], v[154:155], v[152:153]
	v_fmac_f64_e32 v[154:155], v[152:153], v[168:169]
	v_div_scale_f64 v[152:153], s[18:19], v[154:155], v[154:155], 1.0
	v_rcp_f64_e32 v[170:171], v[152:153]
	s_nop 0
	v_fma_f64 v[172:173], -v[152:153], v[170:171], 1.0
	v_fmac_f64_e32 v[170:171], v[170:171], v[172:173]
	v_fma_f64 v[172:173], -v[152:153], v[170:171], 1.0
	v_fmac_f64_e32 v[170:171], v[170:171], v[172:173]
	v_div_scale_f64 v[172:173], vcc, 1.0, v[154:155], 1.0
	v_mul_f64 v[174:175], v[172:173], v[170:171]
	v_fma_f64 v[152:153], -v[152:153], v[174:175], v[172:173]
	s_nop 1
	v_div_fmas_f64 v[152:153], v[152:153], v[170:171], v[174:175]
	v_div_fixup_f64 v[154:155], v[152:153], v[154:155], 1.0
	v_mul_f64 v[152:153], v[168:169], v[154:155]
	v_xor_b32_e32 v155, 0x80000000, v155
.LBB74_343:
	s_andn2_saveexec_b64 s[16:17], s[16:17]
	s_cbranch_execz .LBB74_345
; %bb.344:
	v_div_scale_f64 v[168:169], s[18:19], v[152:153], v[152:153], v[154:155]
	v_rcp_f64_e32 v[170:171], v[168:169]
	v_div_scale_f64 v[172:173], vcc, v[154:155], v[152:153], v[154:155]
	v_fma_f64 v[174:175], -v[168:169], v[170:171], 1.0
	v_fmac_f64_e32 v[170:171], v[170:171], v[174:175]
	v_fma_f64 v[174:175], -v[168:169], v[170:171], 1.0
	v_fmac_f64_e32 v[170:171], v[170:171], v[174:175]
	v_mul_f64 v[174:175], v[172:173], v[170:171]
	v_fma_f64 v[168:169], -v[168:169], v[174:175], v[172:173]
	v_div_fmas_f64 v[168:169], v[168:169], v[170:171], v[174:175]
	v_div_fixup_f64 v[168:169], v[168:169], v[152:153], v[154:155]
	v_fmac_f64_e32 v[152:153], v[154:155], v[168:169]
	v_div_scale_f64 v[154:155], s[18:19], v[152:153], v[152:153], 1.0
	v_rcp_f64_e32 v[170:171], v[154:155]
	s_nop 0
	v_fma_f64 v[172:173], -v[154:155], v[170:171], 1.0
	v_fmac_f64_e32 v[170:171], v[170:171], v[172:173]
	v_fma_f64 v[172:173], -v[154:155], v[170:171], 1.0
	v_fmac_f64_e32 v[170:171], v[170:171], v[172:173]
	v_div_scale_f64 v[172:173], vcc, 1.0, v[152:153], 1.0
	v_mul_f64 v[174:175], v[172:173], v[170:171]
	v_fma_f64 v[154:155], -v[154:155], v[174:175], v[172:173]
	s_nop 1
	v_div_fmas_f64 v[154:155], v[154:155], v[170:171], v[174:175]
	v_div_fixup_f64 v[152:153], v[154:155], v[152:153], 1.0
	v_mul_f64 v[154:155], v[168:169], -v[152:153]
.LBB74_345:
	s_or_b64 exec, exec, s[16:17]
.LBB74_346:
	s_or_b64 exec, exec, s[0:1]
	v_cmp_ne_u32_e32 vcc, v165, v162
	s_and_saveexec_b64 s[0:1], vcc
	s_xor_b64 s[0:1], exec, s[0:1]
	s_cbranch_execz .LBB74_352
; %bb.347:
	v_cmp_eq_u32_e32 vcc, 16, v165
	s_and_saveexec_b64 s[16:17], vcc
	s_cbranch_execz .LBB74_351
; %bb.348:
	v_cmp_ne_u32_e32 vcc, 16, v162
	s_xor_b64 s[18:19], s[14:15], -1
	s_and_b64 s[22:23], s[18:19], vcc
	s_and_saveexec_b64 s[18:19], s[22:23]
	s_cbranch_execz .LBB74_350
; %bb.349:
	v_ashrrev_i32_e32 v163, 31, v162
	v_lshl_add_u64 v[168:169], v[162:163], 2, v[160:161]
	global_load_dword v163, v[168:169], off
	global_load_dword v165, v[160:161], off offset:64
	s_waitcnt vmcnt(1)
	global_store_dword v[160:161], v163, off offset:64
	s_waitcnt vmcnt(1)
	global_store_dword v[168:169], v165, off
.LBB74_350:
	s_or_b64 exec, exec, s[18:19]
	v_mov_b32_e32 v165, v162
	v_mov_b32_e32 v167, v162
.LBB74_351:
	s_or_b64 exec, exec, s[16:17]
.LBB74_352:
	s_andn2_saveexec_b64 s[0:1], s[0:1]
	s_cbranch_execz .LBB74_354
; %bb.353:
	v_mov_b32_e32 v165, 16
	s_waitcnt vmcnt(20)
	ds_write2_b64 v164, v[76:77], v[78:79] offset0:34 offset1:35
	s_waitcnt vmcnt(19)
	ds_write2_b64 v164, v[72:73], v[74:75] offset0:36 offset1:37
	;; [unrolled: 2-line block ×21, first 2 shown]
.LBB74_354:
	s_or_b64 exec, exec, s[0:1]
	v_cmp_lt_i32_e32 vcc, 16, v165
	s_waitcnt lgkmcnt(0)
	s_barrier
	s_and_saveexec_b64 s[0:1], vcc
	s_cbranch_execz .LBB74_356
; %bb.355:
	ds_read2_b64 v[168:171], v164 offset0:34 offset1:35
	v_mul_f64 v[162:163], v[154:155], v[82:83]
	v_mul_f64 v[82:83], v[152:153], v[82:83]
	v_fmac_f64_e32 v[82:83], v[154:155], v[80:81]
	v_fma_f64 v[162:163], v[152:153], v[80:81], -v[162:163]
	ds_read2_b64 v[152:155], v164 offset0:36 offset1:37
	s_waitcnt lgkmcnt(1)
	v_mul_f64 v[80:81], v[170:171], v[82:83]
	v_fma_f64 v[80:81], v[168:169], v[162:163], -v[80:81]
	v_mul_f64 v[168:169], v[168:169], v[82:83]
	v_fmac_f64_e32 v[168:169], v[170:171], v[162:163]
	s_waitcnt vmcnt(20)
	v_add_f64 v[78:79], v[78:79], -v[168:169]
	ds_read2_b64 v[168:171], v164 offset0:38 offset1:39
	v_add_f64 v[76:77], v[76:77], -v[80:81]
	s_waitcnt lgkmcnt(1)
	v_mul_f64 v[80:81], v[154:155], v[82:83]
	v_fma_f64 v[80:81], v[152:153], v[162:163], -v[80:81]
	v_mul_f64 v[152:153], v[152:153], v[82:83]
	v_fmac_f64_e32 v[152:153], v[154:155], v[162:163]
	s_waitcnt vmcnt(19)
	v_add_f64 v[72:73], v[72:73], -v[80:81]
	v_add_f64 v[74:75], v[74:75], -v[152:153]
	ds_read2_b64 v[152:155], v164 offset0:40 offset1:41
	s_waitcnt lgkmcnt(1)
	v_mul_f64 v[80:81], v[170:171], v[82:83]
	v_fma_f64 v[80:81], v[168:169], v[162:163], -v[80:81]
	v_mul_f64 v[168:169], v[168:169], v[82:83]
	v_fmac_f64_e32 v[168:169], v[170:171], v[162:163]
	s_waitcnt vmcnt(18)
	v_add_f64 v[70:71], v[70:71], -v[168:169]
	ds_read2_b64 v[168:171], v164 offset0:42 offset1:43
	v_add_f64 v[68:69], v[68:69], -v[80:81]
	s_waitcnt lgkmcnt(1)
	v_mul_f64 v[80:81], v[154:155], v[82:83]
	v_fma_f64 v[80:81], v[152:153], v[162:163], -v[80:81]
	v_mul_f64 v[152:153], v[152:153], v[82:83]
	v_fmac_f64_e32 v[152:153], v[154:155], v[162:163]
	s_waitcnt vmcnt(17)
	v_add_f64 v[64:65], v[64:65], -v[80:81]
	v_add_f64 v[66:67], v[66:67], -v[152:153]
	;; [unrolled: 18-line block ×10, first 2 shown]
	s_waitcnt lgkmcnt(0)
	v_mul_f64 v[80:81], v[170:171], v[82:83]
	v_mul_f64 v[152:153], v[168:169], v[82:83]
	v_fma_f64 v[80:81], v[168:169], v[162:163], -v[80:81]
	v_fmac_f64_e32 v[152:153], v[170:171], v[162:163]
	s_waitcnt vmcnt(0)
	v_add_f64 v[148:149], v[148:149], -v[80:81]
	v_add_f64 v[150:151], v[150:151], -v[152:153]
	v_mov_b64_e32 v[80:81], v[162:163]
.LBB74_356:
	s_or_b64 exec, exec, s[0:1]
	v_lshl_add_u32 v152, v165, 4, v164
	s_barrier
	s_waitcnt vmcnt(20)
	ds_write2_b64 v152, v[76:77], v[78:79] offset1:1
	s_waitcnt lgkmcnt(0)
	s_barrier
	ds_read2_b64 v[152:155], v164 offset0:34 offset1:35
	s_cmp_lt_i32 s20, 19
	v_mov_b32_e32 v162, 17
	s_cbranch_scc1 .LBB74_359
; %bb.357:
	v_add_u32_e32 v163, 0x120, v164
	s_mov_b32 s16, 18
	v_mov_b32_e32 v162, 17
.LBB74_358:                             ; =>This Inner Loop Header: Depth=1
	ds_read2_b64 v[168:171], v163 offset1:1
	s_waitcnt lgkmcnt(1)
	v_xor_b32_e32 v173, 0x80000000, v153
	v_xor_b32_e32 v175, 0x80000000, v155
	v_cmp_gt_f64_e32 vcc, 0, v[154:155]
	v_cmp_gt_f64_e64 s[0:1], 0, v[152:153]
	v_mov_b32_e32 v172, v152
	v_mov_b32_e32 v174, v154
	v_cndmask_b32_e64 v173, v153, v173, s[0:1]
	v_cndmask_b32_e32 v175, v155, v175, vcc
	v_add_f64 v[172:173], v[172:173], v[174:175]
	s_waitcnt lgkmcnt(0)
	v_xor_b32_e32 v175, 0x80000000, v169
	v_xor_b32_e32 v177, 0x80000000, v171
	v_cmp_gt_f64_e32 vcc, 0, v[170:171]
	v_cmp_gt_f64_e64 s[0:1], 0, v[168:169]
	v_mov_b32_e32 v174, v168
	v_mov_b32_e32 v176, v170
	v_cndmask_b32_e64 v175, v169, v175, s[0:1]
	v_cndmask_b32_e32 v177, v171, v177, vcc
	v_add_f64 v[174:175], v[174:175], v[176:177]
	v_mov_b32_e32 v178, s16
	s_add_i32 s16, s16, 1
	v_cmp_lt_f64_e32 vcc, v[172:173], v[174:175]
	v_add_u32_e32 v163, 16, v163
	s_cmp_lg_u32 s20, s16
	v_cndmask_b32_e32 v153, v153, v169, vcc
	v_cndmask_b32_e32 v152, v152, v168, vcc
	;; [unrolled: 1-line block ×5, first 2 shown]
	s_cbranch_scc1 .LBB74_358
.LBB74_359:
	s_waitcnt lgkmcnt(0)
	v_cmp_eq_f64_e32 vcc, 0, v[152:153]
	v_cmp_eq_f64_e64 s[0:1], 0, v[154:155]
	s_and_b64 s[0:1], vcc, s[0:1]
	s_and_saveexec_b64 s[16:17], s[0:1]
	s_xor_b64 s[0:1], exec, s[16:17]
; %bb.360:
	v_cmp_ne_u32_e32 vcc, 0, v166
	s_nop 1
	v_cndmask_b32_e32 v166, 18, v166, vcc
; %bb.361:
	s_andn2_saveexec_b64 s[0:1], s[0:1]
	s_cbranch_execz .LBB74_367
; %bb.362:
	v_cmp_ngt_f64_e64 s[16:17], |v[152:153]|, |v[154:155]|
	s_and_saveexec_b64 s[18:19], s[16:17]
	s_xor_b64 s[16:17], exec, s[18:19]
	s_cbranch_execz .LBB74_364
; %bb.363:
	v_div_scale_f64 v[168:169], s[18:19], v[154:155], v[154:155], v[152:153]
	v_rcp_f64_e32 v[170:171], v[168:169]
	v_div_scale_f64 v[172:173], vcc, v[152:153], v[154:155], v[152:153]
	v_fma_f64 v[174:175], -v[168:169], v[170:171], 1.0
	v_fmac_f64_e32 v[170:171], v[170:171], v[174:175]
	v_fma_f64 v[174:175], -v[168:169], v[170:171], 1.0
	v_fmac_f64_e32 v[170:171], v[170:171], v[174:175]
	v_mul_f64 v[174:175], v[172:173], v[170:171]
	v_fma_f64 v[168:169], -v[168:169], v[174:175], v[172:173]
	v_div_fmas_f64 v[168:169], v[168:169], v[170:171], v[174:175]
	v_div_fixup_f64 v[168:169], v[168:169], v[154:155], v[152:153]
	v_fmac_f64_e32 v[154:155], v[152:153], v[168:169]
	v_div_scale_f64 v[152:153], s[18:19], v[154:155], v[154:155], 1.0
	v_rcp_f64_e32 v[170:171], v[152:153]
	s_nop 0
	v_fma_f64 v[172:173], -v[152:153], v[170:171], 1.0
	v_fmac_f64_e32 v[170:171], v[170:171], v[172:173]
	v_fma_f64 v[172:173], -v[152:153], v[170:171], 1.0
	v_fmac_f64_e32 v[170:171], v[170:171], v[172:173]
	v_div_scale_f64 v[172:173], vcc, 1.0, v[154:155], 1.0
	v_mul_f64 v[174:175], v[172:173], v[170:171]
	v_fma_f64 v[152:153], -v[152:153], v[174:175], v[172:173]
	s_nop 1
	v_div_fmas_f64 v[152:153], v[152:153], v[170:171], v[174:175]
	v_div_fixup_f64 v[154:155], v[152:153], v[154:155], 1.0
	v_mul_f64 v[152:153], v[168:169], v[154:155]
	v_xor_b32_e32 v155, 0x80000000, v155
.LBB74_364:
	s_andn2_saveexec_b64 s[16:17], s[16:17]
	s_cbranch_execz .LBB74_366
; %bb.365:
	v_div_scale_f64 v[168:169], s[18:19], v[152:153], v[152:153], v[154:155]
	v_rcp_f64_e32 v[170:171], v[168:169]
	v_div_scale_f64 v[172:173], vcc, v[154:155], v[152:153], v[154:155]
	v_fma_f64 v[174:175], -v[168:169], v[170:171], 1.0
	v_fmac_f64_e32 v[170:171], v[170:171], v[174:175]
	v_fma_f64 v[174:175], -v[168:169], v[170:171], 1.0
	v_fmac_f64_e32 v[170:171], v[170:171], v[174:175]
	v_mul_f64 v[174:175], v[172:173], v[170:171]
	v_fma_f64 v[168:169], -v[168:169], v[174:175], v[172:173]
	v_div_fmas_f64 v[168:169], v[168:169], v[170:171], v[174:175]
	v_div_fixup_f64 v[168:169], v[168:169], v[152:153], v[154:155]
	v_fmac_f64_e32 v[152:153], v[154:155], v[168:169]
	v_div_scale_f64 v[154:155], s[18:19], v[152:153], v[152:153], 1.0
	v_rcp_f64_e32 v[170:171], v[154:155]
	s_nop 0
	v_fma_f64 v[172:173], -v[154:155], v[170:171], 1.0
	v_fmac_f64_e32 v[170:171], v[170:171], v[172:173]
	v_fma_f64 v[172:173], -v[154:155], v[170:171], 1.0
	v_fmac_f64_e32 v[170:171], v[170:171], v[172:173]
	v_div_scale_f64 v[172:173], vcc, 1.0, v[152:153], 1.0
	v_mul_f64 v[174:175], v[172:173], v[170:171]
	v_fma_f64 v[154:155], -v[154:155], v[174:175], v[172:173]
	s_nop 1
	v_div_fmas_f64 v[154:155], v[154:155], v[170:171], v[174:175]
	v_div_fixup_f64 v[152:153], v[154:155], v[152:153], 1.0
	v_mul_f64 v[154:155], v[168:169], -v[152:153]
.LBB74_366:
	s_or_b64 exec, exec, s[16:17]
.LBB74_367:
	s_or_b64 exec, exec, s[0:1]
	v_cmp_ne_u32_e32 vcc, v165, v162
	s_and_saveexec_b64 s[0:1], vcc
	s_xor_b64 s[0:1], exec, s[0:1]
	s_cbranch_execz .LBB74_373
; %bb.368:
	v_cmp_eq_u32_e32 vcc, 17, v165
	s_and_saveexec_b64 s[16:17], vcc
	s_cbranch_execz .LBB74_372
; %bb.369:
	v_cmp_ne_u32_e32 vcc, 17, v162
	s_xor_b64 s[18:19], s[14:15], -1
	s_and_b64 s[22:23], s[18:19], vcc
	s_and_saveexec_b64 s[18:19], s[22:23]
	s_cbranch_execz .LBB74_371
; %bb.370:
	v_ashrrev_i32_e32 v163, 31, v162
	v_lshl_add_u64 v[168:169], v[162:163], 2, v[160:161]
	global_load_dword v163, v[168:169], off
	global_load_dword v165, v[160:161], off offset:68
	s_waitcnt vmcnt(1)
	global_store_dword v[160:161], v163, off offset:68
	s_waitcnt vmcnt(1)
	global_store_dword v[168:169], v165, off
.LBB74_371:
	s_or_b64 exec, exec, s[18:19]
	v_mov_b32_e32 v165, v162
	v_mov_b32_e32 v167, v162
.LBB74_372:
	s_or_b64 exec, exec, s[16:17]
.LBB74_373:
	s_andn2_saveexec_b64 s[0:1], s[0:1]
	s_cbranch_execz .LBB74_375
; %bb.374:
	v_mov_b32_e32 v165, 17
	s_waitcnt vmcnt(19)
	ds_write2_b64 v164, v[72:73], v[74:75] offset0:36 offset1:37
	s_waitcnt vmcnt(18)
	ds_write2_b64 v164, v[68:69], v[70:71] offset0:38 offset1:39
	;; [unrolled: 2-line block ×20, first 2 shown]
.LBB74_375:
	s_or_b64 exec, exec, s[0:1]
	v_cmp_lt_i32_e32 vcc, 17, v165
	s_waitcnt lgkmcnt(0)
	s_barrier
	s_and_saveexec_b64 s[0:1], vcc
	s_cbranch_execz .LBB74_377
; %bb.376:
	ds_read2_b64 v[168:171], v164 offset0:36 offset1:37
	v_mul_f64 v[162:163], v[154:155], v[78:79]
	v_mul_f64 v[78:79], v[152:153], v[78:79]
	v_fma_f64 v[162:163], v[152:153], v[76:77], -v[162:163]
	v_fmac_f64_e32 v[78:79], v[154:155], v[76:77]
	ds_read2_b64 v[152:155], v164 offset0:38 offset1:39
	s_waitcnt lgkmcnt(1)
	v_mul_f64 v[76:77], v[170:171], v[78:79]
	v_fma_f64 v[76:77], v[168:169], v[162:163], -v[76:77]
	v_mul_f64 v[168:169], v[168:169], v[78:79]
	v_fmac_f64_e32 v[168:169], v[170:171], v[162:163]
	s_waitcnt vmcnt(19)
	v_add_f64 v[72:73], v[72:73], -v[76:77]
	s_waitcnt lgkmcnt(0)
	v_mul_f64 v[76:77], v[154:155], v[78:79]
	v_add_f64 v[74:75], v[74:75], -v[168:169]
	v_fma_f64 v[76:77], v[152:153], v[162:163], -v[76:77]
	v_mul_f64 v[152:153], v[152:153], v[78:79]
	ds_read2_b64 v[168:171], v164 offset0:40 offset1:41
	v_fmac_f64_e32 v[152:153], v[154:155], v[162:163]
	s_waitcnt vmcnt(18)
	v_add_f64 v[70:71], v[70:71], -v[152:153]
	ds_read2_b64 v[152:155], v164 offset0:42 offset1:43
	v_add_f64 v[68:69], v[68:69], -v[76:77]
	s_waitcnt lgkmcnt(1)
	v_mul_f64 v[76:77], v[170:171], v[78:79]
	v_fma_f64 v[76:77], v[168:169], v[162:163], -v[76:77]
	v_mul_f64 v[168:169], v[168:169], v[78:79]
	v_fmac_f64_e32 v[168:169], v[170:171], v[162:163]
	s_waitcnt vmcnt(17)
	v_add_f64 v[64:65], v[64:65], -v[76:77]
	s_waitcnt lgkmcnt(0)
	v_mul_f64 v[76:77], v[154:155], v[78:79]
	v_add_f64 v[66:67], v[66:67], -v[168:169]
	v_fma_f64 v[76:77], v[152:153], v[162:163], -v[76:77]
	v_mul_f64 v[152:153], v[152:153], v[78:79]
	ds_read2_b64 v[168:171], v164 offset0:44 offset1:45
	v_fmac_f64_e32 v[152:153], v[154:155], v[162:163]
	s_waitcnt vmcnt(16)
	v_add_f64 v[62:63], v[62:63], -v[152:153]
	ds_read2_b64 v[152:155], v164 offset0:46 offset1:47
	v_add_f64 v[60:61], v[60:61], -v[76:77]
	;; [unrolled: 18-line block ×9, first 2 shown]
	s_waitcnt lgkmcnt(1)
	v_mul_f64 v[76:77], v[170:171], v[78:79]
	v_fma_f64 v[76:77], v[168:169], v[162:163], -v[76:77]
	s_waitcnt vmcnt(1)
	v_add_f64 v[0:1], v[0:1], -v[76:77]
	s_waitcnt lgkmcnt(0)
	v_mul_f64 v[76:77], v[154:155], v[78:79]
	v_mul_f64 v[168:169], v[168:169], v[78:79]
	v_fma_f64 v[76:77], v[152:153], v[162:163], -v[76:77]
	v_mul_f64 v[152:153], v[152:153], v[78:79]
	v_fmac_f64_e32 v[168:169], v[170:171], v[162:163]
	v_fmac_f64_e32 v[152:153], v[154:155], v[162:163]
	v_add_f64 v[2:3], v[2:3], -v[168:169]
	s_waitcnt vmcnt(0)
	v_add_f64 v[148:149], v[148:149], -v[76:77]
	v_add_f64 v[150:151], v[150:151], -v[152:153]
	v_mov_b64_e32 v[76:77], v[162:163]
.LBB74_377:
	s_or_b64 exec, exec, s[0:1]
	v_lshl_add_u32 v152, v165, 4, v164
	s_barrier
	s_waitcnt vmcnt(19)
	ds_write2_b64 v152, v[72:73], v[74:75] offset1:1
	s_waitcnt lgkmcnt(0)
	s_barrier
	ds_read2_b64 v[152:155], v164 offset0:36 offset1:37
	s_cmp_lt_i32 s20, 20
	v_mov_b32_e32 v162, 18
	s_cbranch_scc1 .LBB74_380
; %bb.378:
	v_add_u32_e32 v163, 0x130, v164
	s_mov_b32 s16, 19
	v_mov_b32_e32 v162, 18
.LBB74_379:                             ; =>This Inner Loop Header: Depth=1
	ds_read2_b64 v[168:171], v163 offset1:1
	s_waitcnt lgkmcnt(1)
	v_xor_b32_e32 v173, 0x80000000, v153
	v_xor_b32_e32 v175, 0x80000000, v155
	v_cmp_gt_f64_e32 vcc, 0, v[154:155]
	v_cmp_gt_f64_e64 s[0:1], 0, v[152:153]
	v_mov_b32_e32 v172, v152
	v_mov_b32_e32 v174, v154
	v_cndmask_b32_e64 v173, v153, v173, s[0:1]
	v_cndmask_b32_e32 v175, v155, v175, vcc
	v_add_f64 v[172:173], v[172:173], v[174:175]
	s_waitcnt lgkmcnt(0)
	v_xor_b32_e32 v175, 0x80000000, v169
	v_xor_b32_e32 v177, 0x80000000, v171
	v_cmp_gt_f64_e32 vcc, 0, v[170:171]
	v_cmp_gt_f64_e64 s[0:1], 0, v[168:169]
	v_mov_b32_e32 v174, v168
	v_mov_b32_e32 v176, v170
	v_cndmask_b32_e64 v175, v169, v175, s[0:1]
	v_cndmask_b32_e32 v177, v171, v177, vcc
	v_add_f64 v[174:175], v[174:175], v[176:177]
	v_mov_b32_e32 v178, s16
	s_add_i32 s16, s16, 1
	v_cmp_lt_f64_e32 vcc, v[172:173], v[174:175]
	v_add_u32_e32 v163, 16, v163
	s_cmp_lg_u32 s20, s16
	v_cndmask_b32_e32 v153, v153, v169, vcc
	v_cndmask_b32_e32 v152, v152, v168, vcc
	;; [unrolled: 1-line block ×5, first 2 shown]
	s_cbranch_scc1 .LBB74_379
.LBB74_380:
	s_waitcnt lgkmcnt(0)
	v_cmp_eq_f64_e32 vcc, 0, v[152:153]
	v_cmp_eq_f64_e64 s[0:1], 0, v[154:155]
	s_and_b64 s[0:1], vcc, s[0:1]
	s_and_saveexec_b64 s[16:17], s[0:1]
	s_xor_b64 s[0:1], exec, s[16:17]
; %bb.381:
	v_cmp_ne_u32_e32 vcc, 0, v166
	s_nop 1
	v_cndmask_b32_e32 v166, 19, v166, vcc
; %bb.382:
	s_andn2_saveexec_b64 s[0:1], s[0:1]
	s_cbranch_execz .LBB74_388
; %bb.383:
	v_cmp_ngt_f64_e64 s[16:17], |v[152:153]|, |v[154:155]|
	s_and_saveexec_b64 s[18:19], s[16:17]
	s_xor_b64 s[16:17], exec, s[18:19]
	s_cbranch_execz .LBB74_385
; %bb.384:
	v_div_scale_f64 v[168:169], s[18:19], v[154:155], v[154:155], v[152:153]
	v_rcp_f64_e32 v[170:171], v[168:169]
	v_div_scale_f64 v[172:173], vcc, v[152:153], v[154:155], v[152:153]
	v_fma_f64 v[174:175], -v[168:169], v[170:171], 1.0
	v_fmac_f64_e32 v[170:171], v[170:171], v[174:175]
	v_fma_f64 v[174:175], -v[168:169], v[170:171], 1.0
	v_fmac_f64_e32 v[170:171], v[170:171], v[174:175]
	v_mul_f64 v[174:175], v[172:173], v[170:171]
	v_fma_f64 v[168:169], -v[168:169], v[174:175], v[172:173]
	v_div_fmas_f64 v[168:169], v[168:169], v[170:171], v[174:175]
	v_div_fixup_f64 v[168:169], v[168:169], v[154:155], v[152:153]
	v_fmac_f64_e32 v[154:155], v[152:153], v[168:169]
	v_div_scale_f64 v[152:153], s[18:19], v[154:155], v[154:155], 1.0
	v_rcp_f64_e32 v[170:171], v[152:153]
	s_nop 0
	v_fma_f64 v[172:173], -v[152:153], v[170:171], 1.0
	v_fmac_f64_e32 v[170:171], v[170:171], v[172:173]
	v_fma_f64 v[172:173], -v[152:153], v[170:171], 1.0
	v_fmac_f64_e32 v[170:171], v[170:171], v[172:173]
	v_div_scale_f64 v[172:173], vcc, 1.0, v[154:155], 1.0
	v_mul_f64 v[174:175], v[172:173], v[170:171]
	v_fma_f64 v[152:153], -v[152:153], v[174:175], v[172:173]
	s_nop 1
	v_div_fmas_f64 v[152:153], v[152:153], v[170:171], v[174:175]
	v_div_fixup_f64 v[154:155], v[152:153], v[154:155], 1.0
	v_mul_f64 v[152:153], v[168:169], v[154:155]
	v_xor_b32_e32 v155, 0x80000000, v155
.LBB74_385:
	s_andn2_saveexec_b64 s[16:17], s[16:17]
	s_cbranch_execz .LBB74_387
; %bb.386:
	v_div_scale_f64 v[168:169], s[18:19], v[152:153], v[152:153], v[154:155]
	v_rcp_f64_e32 v[170:171], v[168:169]
	v_div_scale_f64 v[172:173], vcc, v[154:155], v[152:153], v[154:155]
	v_fma_f64 v[174:175], -v[168:169], v[170:171], 1.0
	v_fmac_f64_e32 v[170:171], v[170:171], v[174:175]
	v_fma_f64 v[174:175], -v[168:169], v[170:171], 1.0
	v_fmac_f64_e32 v[170:171], v[170:171], v[174:175]
	v_mul_f64 v[174:175], v[172:173], v[170:171]
	v_fma_f64 v[168:169], -v[168:169], v[174:175], v[172:173]
	v_div_fmas_f64 v[168:169], v[168:169], v[170:171], v[174:175]
	v_div_fixup_f64 v[168:169], v[168:169], v[152:153], v[154:155]
	v_fmac_f64_e32 v[152:153], v[154:155], v[168:169]
	v_div_scale_f64 v[154:155], s[18:19], v[152:153], v[152:153], 1.0
	v_rcp_f64_e32 v[170:171], v[154:155]
	s_nop 0
	v_fma_f64 v[172:173], -v[154:155], v[170:171], 1.0
	v_fmac_f64_e32 v[170:171], v[170:171], v[172:173]
	v_fma_f64 v[172:173], -v[154:155], v[170:171], 1.0
	v_fmac_f64_e32 v[170:171], v[170:171], v[172:173]
	v_div_scale_f64 v[172:173], vcc, 1.0, v[152:153], 1.0
	v_mul_f64 v[174:175], v[172:173], v[170:171]
	v_fma_f64 v[154:155], -v[154:155], v[174:175], v[172:173]
	s_nop 1
	v_div_fmas_f64 v[154:155], v[154:155], v[170:171], v[174:175]
	v_div_fixup_f64 v[152:153], v[154:155], v[152:153], 1.0
	v_mul_f64 v[154:155], v[168:169], -v[152:153]
.LBB74_387:
	s_or_b64 exec, exec, s[16:17]
.LBB74_388:
	s_or_b64 exec, exec, s[0:1]
	v_cmp_ne_u32_e32 vcc, v165, v162
	s_and_saveexec_b64 s[0:1], vcc
	s_xor_b64 s[0:1], exec, s[0:1]
	s_cbranch_execz .LBB74_394
; %bb.389:
	v_cmp_eq_u32_e32 vcc, 18, v165
	s_and_saveexec_b64 s[16:17], vcc
	s_cbranch_execz .LBB74_393
; %bb.390:
	v_cmp_ne_u32_e32 vcc, 18, v162
	s_xor_b64 s[18:19], s[14:15], -1
	s_and_b64 s[22:23], s[18:19], vcc
	s_and_saveexec_b64 s[18:19], s[22:23]
	s_cbranch_execz .LBB74_392
; %bb.391:
	v_ashrrev_i32_e32 v163, 31, v162
	v_lshl_add_u64 v[168:169], v[162:163], 2, v[160:161]
	global_load_dword v163, v[168:169], off
	global_load_dword v165, v[160:161], off offset:72
	s_waitcnt vmcnt(1)
	global_store_dword v[160:161], v163, off offset:72
	s_waitcnt vmcnt(1)
	global_store_dword v[168:169], v165, off
.LBB74_392:
	s_or_b64 exec, exec, s[18:19]
	v_mov_b32_e32 v165, v162
	v_mov_b32_e32 v167, v162
.LBB74_393:
	s_or_b64 exec, exec, s[16:17]
.LBB74_394:
	s_andn2_saveexec_b64 s[0:1], s[0:1]
	s_cbranch_execz .LBB74_396
; %bb.395:
	v_mov_b32_e32 v165, 18
	s_waitcnt vmcnt(18)
	ds_write2_b64 v164, v[68:69], v[70:71] offset0:38 offset1:39
	s_waitcnt vmcnt(17)
	ds_write2_b64 v164, v[64:65], v[66:67] offset0:40 offset1:41
	;; [unrolled: 2-line block ×19, first 2 shown]
.LBB74_396:
	s_or_b64 exec, exec, s[0:1]
	v_cmp_lt_i32_e32 vcc, 18, v165
	s_waitcnt lgkmcnt(0)
	s_barrier
	s_and_saveexec_b64 s[0:1], vcc
	s_cbranch_execz .LBB74_398
; %bb.397:
	ds_read2_b64 v[168:171], v164 offset0:38 offset1:39
	v_mul_f64 v[162:163], v[154:155], v[74:75]
	v_mul_f64 v[74:75], v[152:153], v[74:75]
	v_fmac_f64_e32 v[74:75], v[154:155], v[72:73]
	v_fma_f64 v[162:163], v[152:153], v[72:73], -v[162:163]
	ds_read2_b64 v[152:155], v164 offset0:40 offset1:41
	s_waitcnt lgkmcnt(1)
	v_mul_f64 v[72:73], v[170:171], v[74:75]
	v_fma_f64 v[72:73], v[168:169], v[162:163], -v[72:73]
	v_mul_f64 v[168:169], v[168:169], v[74:75]
	v_fmac_f64_e32 v[168:169], v[170:171], v[162:163]
	s_waitcnt vmcnt(18)
	v_add_f64 v[70:71], v[70:71], -v[168:169]
	ds_read2_b64 v[168:171], v164 offset0:42 offset1:43
	v_add_f64 v[68:69], v[68:69], -v[72:73]
	s_waitcnt lgkmcnt(1)
	v_mul_f64 v[72:73], v[154:155], v[74:75]
	v_fma_f64 v[72:73], v[152:153], v[162:163], -v[72:73]
	v_mul_f64 v[152:153], v[152:153], v[74:75]
	v_fmac_f64_e32 v[152:153], v[154:155], v[162:163]
	s_waitcnt vmcnt(17)
	v_add_f64 v[64:65], v[64:65], -v[72:73]
	v_add_f64 v[66:67], v[66:67], -v[152:153]
	ds_read2_b64 v[152:155], v164 offset0:44 offset1:45
	s_waitcnt lgkmcnt(1)
	v_mul_f64 v[72:73], v[170:171], v[74:75]
	v_fma_f64 v[72:73], v[168:169], v[162:163], -v[72:73]
	v_mul_f64 v[168:169], v[168:169], v[74:75]
	v_fmac_f64_e32 v[168:169], v[170:171], v[162:163]
	s_waitcnt vmcnt(16)
	v_add_f64 v[62:63], v[62:63], -v[168:169]
	ds_read2_b64 v[168:171], v164 offset0:46 offset1:47
	v_add_f64 v[60:61], v[60:61], -v[72:73]
	s_waitcnt lgkmcnt(1)
	v_mul_f64 v[72:73], v[154:155], v[74:75]
	v_fma_f64 v[72:73], v[152:153], v[162:163], -v[72:73]
	v_mul_f64 v[152:153], v[152:153], v[74:75]
	v_fmac_f64_e32 v[152:153], v[154:155], v[162:163]
	s_waitcnt vmcnt(15)
	v_add_f64 v[56:57], v[56:57], -v[72:73]
	v_add_f64 v[58:59], v[58:59], -v[152:153]
	;; [unrolled: 18-line block ×9, first 2 shown]
	s_waitcnt lgkmcnt(0)
	v_mul_f64 v[72:73], v[170:171], v[74:75]
	v_mul_f64 v[152:153], v[168:169], v[74:75]
	v_fma_f64 v[72:73], v[168:169], v[162:163], -v[72:73]
	v_fmac_f64_e32 v[152:153], v[170:171], v[162:163]
	s_waitcnt vmcnt(0)
	v_add_f64 v[148:149], v[148:149], -v[72:73]
	v_add_f64 v[150:151], v[150:151], -v[152:153]
	v_mov_b64_e32 v[72:73], v[162:163]
.LBB74_398:
	s_or_b64 exec, exec, s[0:1]
	v_lshl_add_u32 v152, v165, 4, v164
	s_barrier
	s_waitcnt vmcnt(18)
	ds_write2_b64 v152, v[68:69], v[70:71] offset1:1
	s_waitcnt lgkmcnt(0)
	s_barrier
	ds_read2_b64 v[152:155], v164 offset0:38 offset1:39
	s_cmp_lt_i32 s20, 21
	v_mov_b32_e32 v162, 19
	s_cbranch_scc1 .LBB74_401
; %bb.399:
	v_add_u32_e32 v163, 0x140, v164
	s_mov_b32 s16, 20
	v_mov_b32_e32 v162, 19
.LBB74_400:                             ; =>This Inner Loop Header: Depth=1
	ds_read2_b64 v[168:171], v163 offset1:1
	s_waitcnt lgkmcnt(1)
	v_xor_b32_e32 v173, 0x80000000, v153
	v_xor_b32_e32 v175, 0x80000000, v155
	v_cmp_gt_f64_e32 vcc, 0, v[154:155]
	v_cmp_gt_f64_e64 s[0:1], 0, v[152:153]
	v_mov_b32_e32 v172, v152
	v_mov_b32_e32 v174, v154
	v_cndmask_b32_e64 v173, v153, v173, s[0:1]
	v_cndmask_b32_e32 v175, v155, v175, vcc
	v_add_f64 v[172:173], v[172:173], v[174:175]
	s_waitcnt lgkmcnt(0)
	v_xor_b32_e32 v175, 0x80000000, v169
	v_xor_b32_e32 v177, 0x80000000, v171
	v_cmp_gt_f64_e32 vcc, 0, v[170:171]
	v_cmp_gt_f64_e64 s[0:1], 0, v[168:169]
	v_mov_b32_e32 v174, v168
	v_mov_b32_e32 v176, v170
	v_cndmask_b32_e64 v175, v169, v175, s[0:1]
	v_cndmask_b32_e32 v177, v171, v177, vcc
	v_add_f64 v[174:175], v[174:175], v[176:177]
	v_mov_b32_e32 v178, s16
	s_add_i32 s16, s16, 1
	v_cmp_lt_f64_e32 vcc, v[172:173], v[174:175]
	v_add_u32_e32 v163, 16, v163
	s_cmp_lg_u32 s20, s16
	v_cndmask_b32_e32 v153, v153, v169, vcc
	v_cndmask_b32_e32 v152, v152, v168, vcc
	;; [unrolled: 1-line block ×5, first 2 shown]
	s_cbranch_scc1 .LBB74_400
.LBB74_401:
	s_waitcnt lgkmcnt(0)
	v_cmp_eq_f64_e32 vcc, 0, v[152:153]
	v_cmp_eq_f64_e64 s[0:1], 0, v[154:155]
	s_and_b64 s[0:1], vcc, s[0:1]
	s_and_saveexec_b64 s[16:17], s[0:1]
	s_xor_b64 s[0:1], exec, s[16:17]
; %bb.402:
	v_cmp_ne_u32_e32 vcc, 0, v166
	s_nop 1
	v_cndmask_b32_e32 v166, 20, v166, vcc
; %bb.403:
	s_andn2_saveexec_b64 s[0:1], s[0:1]
	s_cbranch_execz .LBB74_409
; %bb.404:
	v_cmp_ngt_f64_e64 s[16:17], |v[152:153]|, |v[154:155]|
	s_and_saveexec_b64 s[18:19], s[16:17]
	s_xor_b64 s[16:17], exec, s[18:19]
	s_cbranch_execz .LBB74_406
; %bb.405:
	v_div_scale_f64 v[168:169], s[18:19], v[154:155], v[154:155], v[152:153]
	v_rcp_f64_e32 v[170:171], v[168:169]
	v_div_scale_f64 v[172:173], vcc, v[152:153], v[154:155], v[152:153]
	v_fma_f64 v[174:175], -v[168:169], v[170:171], 1.0
	v_fmac_f64_e32 v[170:171], v[170:171], v[174:175]
	v_fma_f64 v[174:175], -v[168:169], v[170:171], 1.0
	v_fmac_f64_e32 v[170:171], v[170:171], v[174:175]
	v_mul_f64 v[174:175], v[172:173], v[170:171]
	v_fma_f64 v[168:169], -v[168:169], v[174:175], v[172:173]
	v_div_fmas_f64 v[168:169], v[168:169], v[170:171], v[174:175]
	v_div_fixup_f64 v[168:169], v[168:169], v[154:155], v[152:153]
	v_fmac_f64_e32 v[154:155], v[152:153], v[168:169]
	v_div_scale_f64 v[152:153], s[18:19], v[154:155], v[154:155], 1.0
	v_rcp_f64_e32 v[170:171], v[152:153]
	s_nop 0
	v_fma_f64 v[172:173], -v[152:153], v[170:171], 1.0
	v_fmac_f64_e32 v[170:171], v[170:171], v[172:173]
	v_fma_f64 v[172:173], -v[152:153], v[170:171], 1.0
	v_fmac_f64_e32 v[170:171], v[170:171], v[172:173]
	v_div_scale_f64 v[172:173], vcc, 1.0, v[154:155], 1.0
	v_mul_f64 v[174:175], v[172:173], v[170:171]
	v_fma_f64 v[152:153], -v[152:153], v[174:175], v[172:173]
	s_nop 1
	v_div_fmas_f64 v[152:153], v[152:153], v[170:171], v[174:175]
	v_div_fixup_f64 v[154:155], v[152:153], v[154:155], 1.0
	v_mul_f64 v[152:153], v[168:169], v[154:155]
	v_xor_b32_e32 v155, 0x80000000, v155
.LBB74_406:
	s_andn2_saveexec_b64 s[16:17], s[16:17]
	s_cbranch_execz .LBB74_408
; %bb.407:
	v_div_scale_f64 v[168:169], s[18:19], v[152:153], v[152:153], v[154:155]
	v_rcp_f64_e32 v[170:171], v[168:169]
	v_div_scale_f64 v[172:173], vcc, v[154:155], v[152:153], v[154:155]
	v_fma_f64 v[174:175], -v[168:169], v[170:171], 1.0
	v_fmac_f64_e32 v[170:171], v[170:171], v[174:175]
	v_fma_f64 v[174:175], -v[168:169], v[170:171], 1.0
	v_fmac_f64_e32 v[170:171], v[170:171], v[174:175]
	v_mul_f64 v[174:175], v[172:173], v[170:171]
	v_fma_f64 v[168:169], -v[168:169], v[174:175], v[172:173]
	v_div_fmas_f64 v[168:169], v[168:169], v[170:171], v[174:175]
	v_div_fixup_f64 v[168:169], v[168:169], v[152:153], v[154:155]
	v_fmac_f64_e32 v[152:153], v[154:155], v[168:169]
	v_div_scale_f64 v[154:155], s[18:19], v[152:153], v[152:153], 1.0
	v_rcp_f64_e32 v[170:171], v[154:155]
	s_nop 0
	v_fma_f64 v[172:173], -v[154:155], v[170:171], 1.0
	v_fmac_f64_e32 v[170:171], v[170:171], v[172:173]
	v_fma_f64 v[172:173], -v[154:155], v[170:171], 1.0
	v_fmac_f64_e32 v[170:171], v[170:171], v[172:173]
	v_div_scale_f64 v[172:173], vcc, 1.0, v[152:153], 1.0
	v_mul_f64 v[174:175], v[172:173], v[170:171]
	v_fma_f64 v[154:155], -v[154:155], v[174:175], v[172:173]
	s_nop 1
	v_div_fmas_f64 v[154:155], v[154:155], v[170:171], v[174:175]
	v_div_fixup_f64 v[152:153], v[154:155], v[152:153], 1.0
	v_mul_f64 v[154:155], v[168:169], -v[152:153]
.LBB74_408:
	s_or_b64 exec, exec, s[16:17]
.LBB74_409:
	s_or_b64 exec, exec, s[0:1]
	v_cmp_ne_u32_e32 vcc, v165, v162
	s_and_saveexec_b64 s[0:1], vcc
	s_xor_b64 s[0:1], exec, s[0:1]
	s_cbranch_execz .LBB74_415
; %bb.410:
	v_cmp_eq_u32_e32 vcc, 19, v165
	s_and_saveexec_b64 s[16:17], vcc
	s_cbranch_execz .LBB74_414
; %bb.411:
	v_cmp_ne_u32_e32 vcc, 19, v162
	s_xor_b64 s[18:19], s[14:15], -1
	s_and_b64 s[22:23], s[18:19], vcc
	s_and_saveexec_b64 s[18:19], s[22:23]
	s_cbranch_execz .LBB74_413
; %bb.412:
	v_ashrrev_i32_e32 v163, 31, v162
	v_lshl_add_u64 v[168:169], v[162:163], 2, v[160:161]
	global_load_dword v163, v[168:169], off
	global_load_dword v165, v[160:161], off offset:76
	s_waitcnt vmcnt(1)
	global_store_dword v[160:161], v163, off offset:76
	s_waitcnt vmcnt(1)
	global_store_dword v[168:169], v165, off
.LBB74_413:
	s_or_b64 exec, exec, s[18:19]
	v_mov_b32_e32 v165, v162
	v_mov_b32_e32 v167, v162
.LBB74_414:
	s_or_b64 exec, exec, s[16:17]
.LBB74_415:
	s_andn2_saveexec_b64 s[0:1], s[0:1]
	s_cbranch_execz .LBB74_417
; %bb.416:
	v_mov_b32_e32 v165, 19
	s_waitcnt vmcnt(17)
	ds_write2_b64 v164, v[64:65], v[66:67] offset0:40 offset1:41
	s_waitcnt vmcnt(16)
	ds_write2_b64 v164, v[60:61], v[62:63] offset0:42 offset1:43
	;; [unrolled: 2-line block ×18, first 2 shown]
.LBB74_417:
	s_or_b64 exec, exec, s[0:1]
	v_cmp_lt_i32_e32 vcc, 19, v165
	s_waitcnt lgkmcnt(0)
	s_barrier
	s_and_saveexec_b64 s[0:1], vcc
	s_cbranch_execz .LBB74_419
; %bb.418:
	ds_read2_b64 v[168:171], v164 offset0:40 offset1:41
	v_mul_f64 v[162:163], v[154:155], v[70:71]
	v_mul_f64 v[70:71], v[152:153], v[70:71]
	v_fma_f64 v[162:163], v[152:153], v[68:69], -v[162:163]
	v_fmac_f64_e32 v[70:71], v[154:155], v[68:69]
	ds_read2_b64 v[152:155], v164 offset0:42 offset1:43
	s_waitcnt lgkmcnt(1)
	v_mul_f64 v[68:69], v[170:171], v[70:71]
	v_fma_f64 v[68:69], v[168:169], v[162:163], -v[68:69]
	v_mul_f64 v[168:169], v[168:169], v[70:71]
	v_fmac_f64_e32 v[168:169], v[170:171], v[162:163]
	s_waitcnt vmcnt(17)
	v_add_f64 v[64:65], v[64:65], -v[68:69]
	s_waitcnt lgkmcnt(0)
	v_mul_f64 v[68:69], v[154:155], v[70:71]
	v_add_f64 v[66:67], v[66:67], -v[168:169]
	v_fma_f64 v[68:69], v[152:153], v[162:163], -v[68:69]
	v_mul_f64 v[152:153], v[152:153], v[70:71]
	ds_read2_b64 v[168:171], v164 offset0:44 offset1:45
	v_fmac_f64_e32 v[152:153], v[154:155], v[162:163]
	s_waitcnt vmcnt(16)
	v_add_f64 v[62:63], v[62:63], -v[152:153]
	ds_read2_b64 v[152:155], v164 offset0:46 offset1:47
	v_add_f64 v[60:61], v[60:61], -v[68:69]
	s_waitcnt lgkmcnt(1)
	v_mul_f64 v[68:69], v[170:171], v[70:71]
	v_fma_f64 v[68:69], v[168:169], v[162:163], -v[68:69]
	v_mul_f64 v[168:169], v[168:169], v[70:71]
	v_fmac_f64_e32 v[168:169], v[170:171], v[162:163]
	s_waitcnt vmcnt(15)
	v_add_f64 v[56:57], v[56:57], -v[68:69]
	s_waitcnt lgkmcnt(0)
	v_mul_f64 v[68:69], v[154:155], v[70:71]
	v_add_f64 v[58:59], v[58:59], -v[168:169]
	v_fma_f64 v[68:69], v[152:153], v[162:163], -v[68:69]
	v_mul_f64 v[152:153], v[152:153], v[70:71]
	ds_read2_b64 v[168:171], v164 offset0:48 offset1:49
	v_fmac_f64_e32 v[152:153], v[154:155], v[162:163]
	s_waitcnt vmcnt(14)
	v_add_f64 v[54:55], v[54:55], -v[152:153]
	ds_read2_b64 v[152:155], v164 offset0:50 offset1:51
	v_add_f64 v[52:53], v[52:53], -v[68:69]
	;; [unrolled: 18-line block ×8, first 2 shown]
	s_waitcnt lgkmcnt(1)
	v_mul_f64 v[68:69], v[170:171], v[70:71]
	v_fma_f64 v[68:69], v[168:169], v[162:163], -v[68:69]
	s_waitcnt vmcnt(1)
	v_add_f64 v[0:1], v[0:1], -v[68:69]
	s_waitcnt lgkmcnt(0)
	v_mul_f64 v[68:69], v[154:155], v[70:71]
	v_mul_f64 v[168:169], v[168:169], v[70:71]
	v_fma_f64 v[68:69], v[152:153], v[162:163], -v[68:69]
	v_mul_f64 v[152:153], v[152:153], v[70:71]
	v_fmac_f64_e32 v[168:169], v[170:171], v[162:163]
	v_fmac_f64_e32 v[152:153], v[154:155], v[162:163]
	v_add_f64 v[2:3], v[2:3], -v[168:169]
	s_waitcnt vmcnt(0)
	v_add_f64 v[148:149], v[148:149], -v[68:69]
	v_add_f64 v[150:151], v[150:151], -v[152:153]
	v_mov_b64_e32 v[68:69], v[162:163]
.LBB74_419:
	s_or_b64 exec, exec, s[0:1]
	v_lshl_add_u32 v152, v165, 4, v164
	s_barrier
	s_waitcnt vmcnt(17)
	ds_write2_b64 v152, v[64:65], v[66:67] offset1:1
	s_waitcnt lgkmcnt(0)
	s_barrier
	ds_read2_b64 v[152:155], v164 offset0:40 offset1:41
	s_cmp_lt_i32 s20, 22
	v_mov_b32_e32 v162, 20
	s_cbranch_scc1 .LBB74_422
; %bb.420:
	v_add_u32_e32 v163, 0x150, v164
	s_mov_b32 s16, 21
	v_mov_b32_e32 v162, 20
.LBB74_421:                             ; =>This Inner Loop Header: Depth=1
	ds_read2_b64 v[168:171], v163 offset1:1
	s_waitcnt lgkmcnt(1)
	v_xor_b32_e32 v173, 0x80000000, v153
	v_xor_b32_e32 v175, 0x80000000, v155
	v_cmp_gt_f64_e32 vcc, 0, v[154:155]
	v_cmp_gt_f64_e64 s[0:1], 0, v[152:153]
	v_mov_b32_e32 v172, v152
	v_mov_b32_e32 v174, v154
	v_cndmask_b32_e64 v173, v153, v173, s[0:1]
	v_cndmask_b32_e32 v175, v155, v175, vcc
	v_add_f64 v[172:173], v[172:173], v[174:175]
	s_waitcnt lgkmcnt(0)
	v_xor_b32_e32 v175, 0x80000000, v169
	v_xor_b32_e32 v177, 0x80000000, v171
	v_cmp_gt_f64_e32 vcc, 0, v[170:171]
	v_cmp_gt_f64_e64 s[0:1], 0, v[168:169]
	v_mov_b32_e32 v174, v168
	v_mov_b32_e32 v176, v170
	v_cndmask_b32_e64 v175, v169, v175, s[0:1]
	v_cndmask_b32_e32 v177, v171, v177, vcc
	v_add_f64 v[174:175], v[174:175], v[176:177]
	v_mov_b32_e32 v178, s16
	s_add_i32 s16, s16, 1
	v_cmp_lt_f64_e32 vcc, v[172:173], v[174:175]
	v_add_u32_e32 v163, 16, v163
	s_cmp_lg_u32 s20, s16
	v_cndmask_b32_e32 v153, v153, v169, vcc
	v_cndmask_b32_e32 v152, v152, v168, vcc
	;; [unrolled: 1-line block ×5, first 2 shown]
	s_cbranch_scc1 .LBB74_421
.LBB74_422:
	s_waitcnt lgkmcnt(0)
	v_cmp_eq_f64_e32 vcc, 0, v[152:153]
	v_cmp_eq_f64_e64 s[0:1], 0, v[154:155]
	s_and_b64 s[0:1], vcc, s[0:1]
	s_and_saveexec_b64 s[16:17], s[0:1]
	s_xor_b64 s[0:1], exec, s[16:17]
; %bb.423:
	v_cmp_ne_u32_e32 vcc, 0, v166
	s_nop 1
	v_cndmask_b32_e32 v166, 21, v166, vcc
; %bb.424:
	s_andn2_saveexec_b64 s[0:1], s[0:1]
	s_cbranch_execz .LBB74_430
; %bb.425:
	v_cmp_ngt_f64_e64 s[16:17], |v[152:153]|, |v[154:155]|
	s_and_saveexec_b64 s[18:19], s[16:17]
	s_xor_b64 s[16:17], exec, s[18:19]
	s_cbranch_execz .LBB74_427
; %bb.426:
	v_div_scale_f64 v[168:169], s[18:19], v[154:155], v[154:155], v[152:153]
	v_rcp_f64_e32 v[170:171], v[168:169]
	v_div_scale_f64 v[172:173], vcc, v[152:153], v[154:155], v[152:153]
	v_fma_f64 v[174:175], -v[168:169], v[170:171], 1.0
	v_fmac_f64_e32 v[170:171], v[170:171], v[174:175]
	v_fma_f64 v[174:175], -v[168:169], v[170:171], 1.0
	v_fmac_f64_e32 v[170:171], v[170:171], v[174:175]
	v_mul_f64 v[174:175], v[172:173], v[170:171]
	v_fma_f64 v[168:169], -v[168:169], v[174:175], v[172:173]
	v_div_fmas_f64 v[168:169], v[168:169], v[170:171], v[174:175]
	v_div_fixup_f64 v[168:169], v[168:169], v[154:155], v[152:153]
	v_fmac_f64_e32 v[154:155], v[152:153], v[168:169]
	v_div_scale_f64 v[152:153], s[18:19], v[154:155], v[154:155], 1.0
	v_rcp_f64_e32 v[170:171], v[152:153]
	s_nop 0
	v_fma_f64 v[172:173], -v[152:153], v[170:171], 1.0
	v_fmac_f64_e32 v[170:171], v[170:171], v[172:173]
	v_fma_f64 v[172:173], -v[152:153], v[170:171], 1.0
	v_fmac_f64_e32 v[170:171], v[170:171], v[172:173]
	v_div_scale_f64 v[172:173], vcc, 1.0, v[154:155], 1.0
	v_mul_f64 v[174:175], v[172:173], v[170:171]
	v_fma_f64 v[152:153], -v[152:153], v[174:175], v[172:173]
	s_nop 1
	v_div_fmas_f64 v[152:153], v[152:153], v[170:171], v[174:175]
	v_div_fixup_f64 v[154:155], v[152:153], v[154:155], 1.0
	v_mul_f64 v[152:153], v[168:169], v[154:155]
	v_xor_b32_e32 v155, 0x80000000, v155
.LBB74_427:
	s_andn2_saveexec_b64 s[16:17], s[16:17]
	s_cbranch_execz .LBB74_429
; %bb.428:
	v_div_scale_f64 v[168:169], s[18:19], v[152:153], v[152:153], v[154:155]
	v_rcp_f64_e32 v[170:171], v[168:169]
	v_div_scale_f64 v[172:173], vcc, v[154:155], v[152:153], v[154:155]
	v_fma_f64 v[174:175], -v[168:169], v[170:171], 1.0
	v_fmac_f64_e32 v[170:171], v[170:171], v[174:175]
	v_fma_f64 v[174:175], -v[168:169], v[170:171], 1.0
	v_fmac_f64_e32 v[170:171], v[170:171], v[174:175]
	v_mul_f64 v[174:175], v[172:173], v[170:171]
	v_fma_f64 v[168:169], -v[168:169], v[174:175], v[172:173]
	v_div_fmas_f64 v[168:169], v[168:169], v[170:171], v[174:175]
	v_div_fixup_f64 v[168:169], v[168:169], v[152:153], v[154:155]
	v_fmac_f64_e32 v[152:153], v[154:155], v[168:169]
	v_div_scale_f64 v[154:155], s[18:19], v[152:153], v[152:153], 1.0
	v_rcp_f64_e32 v[170:171], v[154:155]
	s_nop 0
	v_fma_f64 v[172:173], -v[154:155], v[170:171], 1.0
	v_fmac_f64_e32 v[170:171], v[170:171], v[172:173]
	v_fma_f64 v[172:173], -v[154:155], v[170:171], 1.0
	v_fmac_f64_e32 v[170:171], v[170:171], v[172:173]
	v_div_scale_f64 v[172:173], vcc, 1.0, v[152:153], 1.0
	v_mul_f64 v[174:175], v[172:173], v[170:171]
	v_fma_f64 v[154:155], -v[154:155], v[174:175], v[172:173]
	s_nop 1
	v_div_fmas_f64 v[154:155], v[154:155], v[170:171], v[174:175]
	v_div_fixup_f64 v[152:153], v[154:155], v[152:153], 1.0
	v_mul_f64 v[154:155], v[168:169], -v[152:153]
.LBB74_429:
	s_or_b64 exec, exec, s[16:17]
.LBB74_430:
	s_or_b64 exec, exec, s[0:1]
	v_cmp_ne_u32_e32 vcc, v165, v162
	s_and_saveexec_b64 s[0:1], vcc
	s_xor_b64 s[0:1], exec, s[0:1]
	s_cbranch_execz .LBB74_436
; %bb.431:
	v_cmp_eq_u32_e32 vcc, 20, v165
	s_and_saveexec_b64 s[16:17], vcc
	s_cbranch_execz .LBB74_435
; %bb.432:
	v_cmp_ne_u32_e32 vcc, 20, v162
	s_xor_b64 s[18:19], s[14:15], -1
	s_and_b64 s[22:23], s[18:19], vcc
	s_and_saveexec_b64 s[18:19], s[22:23]
	s_cbranch_execz .LBB74_434
; %bb.433:
	v_ashrrev_i32_e32 v163, 31, v162
	v_lshl_add_u64 v[168:169], v[162:163], 2, v[160:161]
	global_load_dword v163, v[168:169], off
	global_load_dword v165, v[160:161], off offset:80
	s_waitcnt vmcnt(1)
	global_store_dword v[160:161], v163, off offset:80
	s_waitcnt vmcnt(1)
	global_store_dword v[168:169], v165, off
.LBB74_434:
	s_or_b64 exec, exec, s[18:19]
	v_mov_b32_e32 v165, v162
	v_mov_b32_e32 v167, v162
.LBB74_435:
	s_or_b64 exec, exec, s[16:17]
.LBB74_436:
	s_andn2_saveexec_b64 s[0:1], s[0:1]
	s_cbranch_execz .LBB74_438
; %bb.437:
	v_mov_b32_e32 v165, 20
	s_waitcnt vmcnt(16)
	ds_write2_b64 v164, v[60:61], v[62:63] offset0:42 offset1:43
	s_waitcnt vmcnt(15)
	ds_write2_b64 v164, v[56:57], v[58:59] offset0:44 offset1:45
	;; [unrolled: 2-line block ×17, first 2 shown]
.LBB74_438:
	s_or_b64 exec, exec, s[0:1]
	v_cmp_lt_i32_e32 vcc, 20, v165
	s_waitcnt lgkmcnt(0)
	s_barrier
	s_and_saveexec_b64 s[0:1], vcc
	s_cbranch_execz .LBB74_440
; %bb.439:
	ds_read2_b64 v[168:171], v164 offset0:42 offset1:43
	v_mul_f64 v[162:163], v[154:155], v[66:67]
	v_mul_f64 v[66:67], v[152:153], v[66:67]
	v_fmac_f64_e32 v[66:67], v[154:155], v[64:65]
	v_fma_f64 v[162:163], v[152:153], v[64:65], -v[162:163]
	ds_read2_b64 v[152:155], v164 offset0:44 offset1:45
	s_waitcnt lgkmcnt(1)
	v_mul_f64 v[64:65], v[170:171], v[66:67]
	v_fma_f64 v[64:65], v[168:169], v[162:163], -v[64:65]
	v_mul_f64 v[168:169], v[168:169], v[66:67]
	v_fmac_f64_e32 v[168:169], v[170:171], v[162:163]
	s_waitcnt vmcnt(16)
	v_add_f64 v[62:63], v[62:63], -v[168:169]
	ds_read2_b64 v[168:171], v164 offset0:46 offset1:47
	v_add_f64 v[60:61], v[60:61], -v[64:65]
	s_waitcnt lgkmcnt(1)
	v_mul_f64 v[64:65], v[154:155], v[66:67]
	v_fma_f64 v[64:65], v[152:153], v[162:163], -v[64:65]
	v_mul_f64 v[152:153], v[152:153], v[66:67]
	v_fmac_f64_e32 v[152:153], v[154:155], v[162:163]
	s_waitcnt vmcnt(15)
	v_add_f64 v[56:57], v[56:57], -v[64:65]
	v_add_f64 v[58:59], v[58:59], -v[152:153]
	ds_read2_b64 v[152:155], v164 offset0:48 offset1:49
	s_waitcnt lgkmcnt(1)
	v_mul_f64 v[64:65], v[170:171], v[66:67]
	v_fma_f64 v[64:65], v[168:169], v[162:163], -v[64:65]
	v_mul_f64 v[168:169], v[168:169], v[66:67]
	v_fmac_f64_e32 v[168:169], v[170:171], v[162:163]
	s_waitcnt vmcnt(14)
	v_add_f64 v[54:55], v[54:55], -v[168:169]
	ds_read2_b64 v[168:171], v164 offset0:50 offset1:51
	v_add_f64 v[52:53], v[52:53], -v[64:65]
	s_waitcnt lgkmcnt(1)
	v_mul_f64 v[64:65], v[154:155], v[66:67]
	v_fma_f64 v[64:65], v[152:153], v[162:163], -v[64:65]
	v_mul_f64 v[152:153], v[152:153], v[66:67]
	v_fmac_f64_e32 v[152:153], v[154:155], v[162:163]
	s_waitcnt vmcnt(13)
	v_add_f64 v[48:49], v[48:49], -v[64:65]
	v_add_f64 v[50:51], v[50:51], -v[152:153]
	;; [unrolled: 18-line block ×8, first 2 shown]
	s_waitcnt lgkmcnt(0)
	v_mul_f64 v[64:65], v[170:171], v[66:67]
	v_mul_f64 v[152:153], v[168:169], v[66:67]
	v_fma_f64 v[64:65], v[168:169], v[162:163], -v[64:65]
	v_fmac_f64_e32 v[152:153], v[170:171], v[162:163]
	s_waitcnt vmcnt(0)
	v_add_f64 v[148:149], v[148:149], -v[64:65]
	v_add_f64 v[150:151], v[150:151], -v[152:153]
	v_mov_b64_e32 v[64:65], v[162:163]
.LBB74_440:
	s_or_b64 exec, exec, s[0:1]
	v_lshl_add_u32 v152, v165, 4, v164
	s_barrier
	s_waitcnt vmcnt(16)
	ds_write2_b64 v152, v[60:61], v[62:63] offset1:1
	s_waitcnt lgkmcnt(0)
	s_barrier
	ds_read2_b64 v[152:155], v164 offset0:42 offset1:43
	s_cmp_lt_i32 s20, 23
	v_mov_b32_e32 v162, 21
	s_cbranch_scc1 .LBB74_443
; %bb.441:
	v_add_u32_e32 v163, 0x160, v164
	s_mov_b32 s16, 22
	v_mov_b32_e32 v162, 21
.LBB74_442:                             ; =>This Inner Loop Header: Depth=1
	ds_read2_b64 v[168:171], v163 offset1:1
	s_waitcnt lgkmcnt(1)
	v_xor_b32_e32 v173, 0x80000000, v153
	v_xor_b32_e32 v175, 0x80000000, v155
	v_cmp_gt_f64_e32 vcc, 0, v[154:155]
	v_cmp_gt_f64_e64 s[0:1], 0, v[152:153]
	v_mov_b32_e32 v172, v152
	v_mov_b32_e32 v174, v154
	v_cndmask_b32_e64 v173, v153, v173, s[0:1]
	v_cndmask_b32_e32 v175, v155, v175, vcc
	v_add_f64 v[172:173], v[172:173], v[174:175]
	s_waitcnt lgkmcnt(0)
	v_xor_b32_e32 v175, 0x80000000, v169
	v_xor_b32_e32 v177, 0x80000000, v171
	v_cmp_gt_f64_e32 vcc, 0, v[170:171]
	v_cmp_gt_f64_e64 s[0:1], 0, v[168:169]
	v_mov_b32_e32 v174, v168
	v_mov_b32_e32 v176, v170
	v_cndmask_b32_e64 v175, v169, v175, s[0:1]
	v_cndmask_b32_e32 v177, v171, v177, vcc
	v_add_f64 v[174:175], v[174:175], v[176:177]
	v_mov_b32_e32 v178, s16
	s_add_i32 s16, s16, 1
	v_cmp_lt_f64_e32 vcc, v[172:173], v[174:175]
	v_add_u32_e32 v163, 16, v163
	s_cmp_lg_u32 s20, s16
	v_cndmask_b32_e32 v153, v153, v169, vcc
	v_cndmask_b32_e32 v152, v152, v168, vcc
	;; [unrolled: 1-line block ×5, first 2 shown]
	s_cbranch_scc1 .LBB74_442
.LBB74_443:
	s_waitcnt lgkmcnt(0)
	v_cmp_eq_f64_e32 vcc, 0, v[152:153]
	v_cmp_eq_f64_e64 s[0:1], 0, v[154:155]
	s_and_b64 s[0:1], vcc, s[0:1]
	s_and_saveexec_b64 s[16:17], s[0:1]
	s_xor_b64 s[0:1], exec, s[16:17]
; %bb.444:
	v_cmp_ne_u32_e32 vcc, 0, v166
	s_nop 1
	v_cndmask_b32_e32 v166, 22, v166, vcc
; %bb.445:
	s_andn2_saveexec_b64 s[0:1], s[0:1]
	s_cbranch_execz .LBB74_451
; %bb.446:
	v_cmp_ngt_f64_e64 s[16:17], |v[152:153]|, |v[154:155]|
	s_and_saveexec_b64 s[18:19], s[16:17]
	s_xor_b64 s[16:17], exec, s[18:19]
	s_cbranch_execz .LBB74_448
; %bb.447:
	v_div_scale_f64 v[168:169], s[18:19], v[154:155], v[154:155], v[152:153]
	v_rcp_f64_e32 v[170:171], v[168:169]
	v_div_scale_f64 v[172:173], vcc, v[152:153], v[154:155], v[152:153]
	v_fma_f64 v[174:175], -v[168:169], v[170:171], 1.0
	v_fmac_f64_e32 v[170:171], v[170:171], v[174:175]
	v_fma_f64 v[174:175], -v[168:169], v[170:171], 1.0
	v_fmac_f64_e32 v[170:171], v[170:171], v[174:175]
	v_mul_f64 v[174:175], v[172:173], v[170:171]
	v_fma_f64 v[168:169], -v[168:169], v[174:175], v[172:173]
	v_div_fmas_f64 v[168:169], v[168:169], v[170:171], v[174:175]
	v_div_fixup_f64 v[168:169], v[168:169], v[154:155], v[152:153]
	v_fmac_f64_e32 v[154:155], v[152:153], v[168:169]
	v_div_scale_f64 v[152:153], s[18:19], v[154:155], v[154:155], 1.0
	v_rcp_f64_e32 v[170:171], v[152:153]
	s_nop 0
	v_fma_f64 v[172:173], -v[152:153], v[170:171], 1.0
	v_fmac_f64_e32 v[170:171], v[170:171], v[172:173]
	v_fma_f64 v[172:173], -v[152:153], v[170:171], 1.0
	v_fmac_f64_e32 v[170:171], v[170:171], v[172:173]
	v_div_scale_f64 v[172:173], vcc, 1.0, v[154:155], 1.0
	v_mul_f64 v[174:175], v[172:173], v[170:171]
	v_fma_f64 v[152:153], -v[152:153], v[174:175], v[172:173]
	s_nop 1
	v_div_fmas_f64 v[152:153], v[152:153], v[170:171], v[174:175]
	v_div_fixup_f64 v[154:155], v[152:153], v[154:155], 1.0
	v_mul_f64 v[152:153], v[168:169], v[154:155]
	v_xor_b32_e32 v155, 0x80000000, v155
.LBB74_448:
	s_andn2_saveexec_b64 s[16:17], s[16:17]
	s_cbranch_execz .LBB74_450
; %bb.449:
	v_div_scale_f64 v[168:169], s[18:19], v[152:153], v[152:153], v[154:155]
	v_rcp_f64_e32 v[170:171], v[168:169]
	v_div_scale_f64 v[172:173], vcc, v[154:155], v[152:153], v[154:155]
	v_fma_f64 v[174:175], -v[168:169], v[170:171], 1.0
	v_fmac_f64_e32 v[170:171], v[170:171], v[174:175]
	v_fma_f64 v[174:175], -v[168:169], v[170:171], 1.0
	v_fmac_f64_e32 v[170:171], v[170:171], v[174:175]
	v_mul_f64 v[174:175], v[172:173], v[170:171]
	v_fma_f64 v[168:169], -v[168:169], v[174:175], v[172:173]
	v_div_fmas_f64 v[168:169], v[168:169], v[170:171], v[174:175]
	v_div_fixup_f64 v[168:169], v[168:169], v[152:153], v[154:155]
	v_fmac_f64_e32 v[152:153], v[154:155], v[168:169]
	v_div_scale_f64 v[154:155], s[18:19], v[152:153], v[152:153], 1.0
	v_rcp_f64_e32 v[170:171], v[154:155]
	s_nop 0
	v_fma_f64 v[172:173], -v[154:155], v[170:171], 1.0
	v_fmac_f64_e32 v[170:171], v[170:171], v[172:173]
	v_fma_f64 v[172:173], -v[154:155], v[170:171], 1.0
	v_fmac_f64_e32 v[170:171], v[170:171], v[172:173]
	v_div_scale_f64 v[172:173], vcc, 1.0, v[152:153], 1.0
	v_mul_f64 v[174:175], v[172:173], v[170:171]
	v_fma_f64 v[154:155], -v[154:155], v[174:175], v[172:173]
	s_nop 1
	v_div_fmas_f64 v[154:155], v[154:155], v[170:171], v[174:175]
	v_div_fixup_f64 v[152:153], v[154:155], v[152:153], 1.0
	v_mul_f64 v[154:155], v[168:169], -v[152:153]
.LBB74_450:
	s_or_b64 exec, exec, s[16:17]
.LBB74_451:
	s_or_b64 exec, exec, s[0:1]
	v_cmp_ne_u32_e32 vcc, v165, v162
	s_and_saveexec_b64 s[0:1], vcc
	s_xor_b64 s[0:1], exec, s[0:1]
	s_cbranch_execz .LBB74_457
; %bb.452:
	v_cmp_eq_u32_e32 vcc, 21, v165
	s_and_saveexec_b64 s[16:17], vcc
	s_cbranch_execz .LBB74_456
; %bb.453:
	v_cmp_ne_u32_e32 vcc, 21, v162
	s_xor_b64 s[18:19], s[14:15], -1
	s_and_b64 s[22:23], s[18:19], vcc
	s_and_saveexec_b64 s[18:19], s[22:23]
	s_cbranch_execz .LBB74_455
; %bb.454:
	v_ashrrev_i32_e32 v163, 31, v162
	v_lshl_add_u64 v[168:169], v[162:163], 2, v[160:161]
	global_load_dword v163, v[168:169], off
	global_load_dword v165, v[160:161], off offset:84
	s_waitcnt vmcnt(1)
	global_store_dword v[160:161], v163, off offset:84
	s_waitcnt vmcnt(1)
	global_store_dword v[168:169], v165, off
.LBB74_455:
	s_or_b64 exec, exec, s[18:19]
	v_mov_b32_e32 v165, v162
	v_mov_b32_e32 v167, v162
.LBB74_456:
	s_or_b64 exec, exec, s[16:17]
.LBB74_457:
	s_andn2_saveexec_b64 s[0:1], s[0:1]
	s_cbranch_execz .LBB74_459
; %bb.458:
	v_mov_b32_e32 v165, 21
	s_waitcnt vmcnt(15)
	ds_write2_b64 v164, v[56:57], v[58:59] offset0:44 offset1:45
	s_waitcnt vmcnt(14)
	ds_write2_b64 v164, v[52:53], v[54:55] offset0:46 offset1:47
	;; [unrolled: 2-line block ×16, first 2 shown]
.LBB74_459:
	s_or_b64 exec, exec, s[0:1]
	v_cmp_lt_i32_e32 vcc, 21, v165
	s_waitcnt lgkmcnt(0)
	s_barrier
	s_and_saveexec_b64 s[0:1], vcc
	s_cbranch_execz .LBB74_461
; %bb.460:
	ds_read2_b64 v[168:171], v164 offset0:44 offset1:45
	v_mul_f64 v[162:163], v[152:153], v[62:63]
	v_mul_f64 v[62:63], v[154:155], v[62:63]
	v_fmac_f64_e32 v[162:163], v[154:155], v[60:61]
	v_fma_f64 v[60:61], v[152:153], v[60:61], -v[62:63]
	ds_read2_b64 v[152:155], v164 offset0:46 offset1:47
	s_waitcnt lgkmcnt(1)
	v_mul_f64 v[62:63], v[170:171], v[162:163]
	v_fma_f64 v[62:63], v[168:169], v[60:61], -v[62:63]
	v_mul_f64 v[168:169], v[168:169], v[162:163]
	v_fmac_f64_e32 v[168:169], v[170:171], v[60:61]
	s_waitcnt vmcnt(15)
	v_add_f64 v[56:57], v[56:57], -v[62:63]
	s_waitcnt lgkmcnt(0)
	v_mul_f64 v[62:63], v[154:155], v[162:163]
	v_add_f64 v[58:59], v[58:59], -v[168:169]
	v_fma_f64 v[62:63], v[152:153], v[60:61], -v[62:63]
	v_mul_f64 v[152:153], v[152:153], v[162:163]
	ds_read2_b64 v[168:171], v164 offset0:48 offset1:49
	v_fmac_f64_e32 v[152:153], v[154:155], v[60:61]
	s_waitcnt vmcnt(14)
	v_add_f64 v[54:55], v[54:55], -v[152:153]
	ds_read2_b64 v[152:155], v164 offset0:50 offset1:51
	v_add_f64 v[52:53], v[52:53], -v[62:63]
	s_waitcnt lgkmcnt(1)
	v_mul_f64 v[62:63], v[170:171], v[162:163]
	v_fma_f64 v[62:63], v[168:169], v[60:61], -v[62:63]
	v_mul_f64 v[168:169], v[168:169], v[162:163]
	v_fmac_f64_e32 v[168:169], v[170:171], v[60:61]
	s_waitcnt vmcnt(13)
	v_add_f64 v[48:49], v[48:49], -v[62:63]
	s_waitcnt lgkmcnt(0)
	v_mul_f64 v[62:63], v[154:155], v[162:163]
	v_add_f64 v[50:51], v[50:51], -v[168:169]
	v_fma_f64 v[62:63], v[152:153], v[60:61], -v[62:63]
	v_mul_f64 v[152:153], v[152:153], v[162:163]
	ds_read2_b64 v[168:171], v164 offset0:52 offset1:53
	v_fmac_f64_e32 v[152:153], v[154:155], v[60:61]
	s_waitcnt vmcnt(12)
	v_add_f64 v[46:47], v[46:47], -v[152:153]
	ds_read2_b64 v[152:155], v164 offset0:54 offset1:55
	v_add_f64 v[44:45], v[44:45], -v[62:63]
	;; [unrolled: 18-line block ×7, first 2 shown]
	s_waitcnt lgkmcnt(1)
	v_mul_f64 v[62:63], v[170:171], v[162:163]
	v_fma_f64 v[62:63], v[168:169], v[60:61], -v[62:63]
	s_waitcnt vmcnt(1)
	v_add_f64 v[0:1], v[0:1], -v[62:63]
	s_waitcnt lgkmcnt(0)
	v_mul_f64 v[62:63], v[154:155], v[162:163]
	v_mul_f64 v[168:169], v[168:169], v[162:163]
	v_fma_f64 v[62:63], v[152:153], v[60:61], -v[62:63]
	v_mul_f64 v[152:153], v[152:153], v[162:163]
	v_fmac_f64_e32 v[168:169], v[170:171], v[60:61]
	v_fmac_f64_e32 v[152:153], v[154:155], v[60:61]
	v_add_f64 v[2:3], v[2:3], -v[168:169]
	s_waitcnt vmcnt(0)
	v_add_f64 v[148:149], v[148:149], -v[62:63]
	v_add_f64 v[150:151], v[150:151], -v[152:153]
	v_mov_b64_e32 v[62:63], v[162:163]
.LBB74_461:
	s_or_b64 exec, exec, s[0:1]
	v_lshl_add_u32 v152, v165, 4, v164
	s_barrier
	s_waitcnt vmcnt(15)
	ds_write2_b64 v152, v[56:57], v[58:59] offset1:1
	s_waitcnt lgkmcnt(0)
	s_barrier
	ds_read2_b64 v[152:155], v164 offset0:44 offset1:45
	s_cmp_lt_i32 s20, 24
	v_mov_b32_e32 v162, 22
	s_cbranch_scc1 .LBB74_464
; %bb.462:
	v_add_u32_e32 v163, 0x170, v164
	s_mov_b32 s16, 23
	v_mov_b32_e32 v162, 22
.LBB74_463:                             ; =>This Inner Loop Header: Depth=1
	ds_read2_b64 v[168:171], v163 offset1:1
	s_waitcnt lgkmcnt(1)
	v_xor_b32_e32 v173, 0x80000000, v153
	v_xor_b32_e32 v175, 0x80000000, v155
	v_cmp_gt_f64_e32 vcc, 0, v[154:155]
	v_cmp_gt_f64_e64 s[0:1], 0, v[152:153]
	v_mov_b32_e32 v172, v152
	v_mov_b32_e32 v174, v154
	v_cndmask_b32_e64 v173, v153, v173, s[0:1]
	v_cndmask_b32_e32 v175, v155, v175, vcc
	v_add_f64 v[172:173], v[172:173], v[174:175]
	s_waitcnt lgkmcnt(0)
	v_xor_b32_e32 v175, 0x80000000, v169
	v_xor_b32_e32 v177, 0x80000000, v171
	v_cmp_gt_f64_e32 vcc, 0, v[170:171]
	v_cmp_gt_f64_e64 s[0:1], 0, v[168:169]
	v_mov_b32_e32 v174, v168
	v_mov_b32_e32 v176, v170
	v_cndmask_b32_e64 v175, v169, v175, s[0:1]
	v_cndmask_b32_e32 v177, v171, v177, vcc
	v_add_f64 v[174:175], v[174:175], v[176:177]
	v_mov_b32_e32 v178, s16
	s_add_i32 s16, s16, 1
	v_cmp_lt_f64_e32 vcc, v[172:173], v[174:175]
	v_add_u32_e32 v163, 16, v163
	s_cmp_lg_u32 s20, s16
	v_cndmask_b32_e32 v153, v153, v169, vcc
	v_cndmask_b32_e32 v152, v152, v168, vcc
	;; [unrolled: 1-line block ×5, first 2 shown]
	s_cbranch_scc1 .LBB74_463
.LBB74_464:
	s_waitcnt lgkmcnt(0)
	v_cmp_eq_f64_e32 vcc, 0, v[152:153]
	v_cmp_eq_f64_e64 s[0:1], 0, v[154:155]
	s_and_b64 s[0:1], vcc, s[0:1]
	s_and_saveexec_b64 s[16:17], s[0:1]
	s_xor_b64 s[0:1], exec, s[16:17]
; %bb.465:
	v_cmp_ne_u32_e32 vcc, 0, v166
	s_nop 1
	v_cndmask_b32_e32 v166, 23, v166, vcc
; %bb.466:
	s_andn2_saveexec_b64 s[0:1], s[0:1]
	s_cbranch_execz .LBB74_472
; %bb.467:
	v_cmp_ngt_f64_e64 s[16:17], |v[152:153]|, |v[154:155]|
	s_and_saveexec_b64 s[18:19], s[16:17]
	s_xor_b64 s[16:17], exec, s[18:19]
	s_cbranch_execz .LBB74_469
; %bb.468:
	v_div_scale_f64 v[168:169], s[18:19], v[154:155], v[154:155], v[152:153]
	v_rcp_f64_e32 v[170:171], v[168:169]
	v_div_scale_f64 v[172:173], vcc, v[152:153], v[154:155], v[152:153]
	v_fma_f64 v[174:175], -v[168:169], v[170:171], 1.0
	v_fmac_f64_e32 v[170:171], v[170:171], v[174:175]
	v_fma_f64 v[174:175], -v[168:169], v[170:171], 1.0
	v_fmac_f64_e32 v[170:171], v[170:171], v[174:175]
	v_mul_f64 v[174:175], v[172:173], v[170:171]
	v_fma_f64 v[168:169], -v[168:169], v[174:175], v[172:173]
	v_div_fmas_f64 v[168:169], v[168:169], v[170:171], v[174:175]
	v_div_fixup_f64 v[168:169], v[168:169], v[154:155], v[152:153]
	v_fmac_f64_e32 v[154:155], v[152:153], v[168:169]
	v_div_scale_f64 v[152:153], s[18:19], v[154:155], v[154:155], 1.0
	v_rcp_f64_e32 v[170:171], v[152:153]
	s_nop 0
	v_fma_f64 v[172:173], -v[152:153], v[170:171], 1.0
	v_fmac_f64_e32 v[170:171], v[170:171], v[172:173]
	v_fma_f64 v[172:173], -v[152:153], v[170:171], 1.0
	v_fmac_f64_e32 v[170:171], v[170:171], v[172:173]
	v_div_scale_f64 v[172:173], vcc, 1.0, v[154:155], 1.0
	v_mul_f64 v[174:175], v[172:173], v[170:171]
	v_fma_f64 v[152:153], -v[152:153], v[174:175], v[172:173]
	s_nop 1
	v_div_fmas_f64 v[152:153], v[152:153], v[170:171], v[174:175]
	v_div_fixup_f64 v[154:155], v[152:153], v[154:155], 1.0
	v_mul_f64 v[152:153], v[168:169], v[154:155]
	v_xor_b32_e32 v155, 0x80000000, v155
.LBB74_469:
	s_andn2_saveexec_b64 s[16:17], s[16:17]
	s_cbranch_execz .LBB74_471
; %bb.470:
	v_div_scale_f64 v[168:169], s[18:19], v[152:153], v[152:153], v[154:155]
	v_rcp_f64_e32 v[170:171], v[168:169]
	v_div_scale_f64 v[172:173], vcc, v[154:155], v[152:153], v[154:155]
	v_fma_f64 v[174:175], -v[168:169], v[170:171], 1.0
	v_fmac_f64_e32 v[170:171], v[170:171], v[174:175]
	v_fma_f64 v[174:175], -v[168:169], v[170:171], 1.0
	v_fmac_f64_e32 v[170:171], v[170:171], v[174:175]
	v_mul_f64 v[174:175], v[172:173], v[170:171]
	v_fma_f64 v[168:169], -v[168:169], v[174:175], v[172:173]
	v_div_fmas_f64 v[168:169], v[168:169], v[170:171], v[174:175]
	v_div_fixup_f64 v[168:169], v[168:169], v[152:153], v[154:155]
	v_fmac_f64_e32 v[152:153], v[154:155], v[168:169]
	v_div_scale_f64 v[154:155], s[18:19], v[152:153], v[152:153], 1.0
	v_rcp_f64_e32 v[170:171], v[154:155]
	s_nop 0
	v_fma_f64 v[172:173], -v[154:155], v[170:171], 1.0
	v_fmac_f64_e32 v[170:171], v[170:171], v[172:173]
	v_fma_f64 v[172:173], -v[154:155], v[170:171], 1.0
	v_fmac_f64_e32 v[170:171], v[170:171], v[172:173]
	v_div_scale_f64 v[172:173], vcc, 1.0, v[152:153], 1.0
	v_mul_f64 v[174:175], v[172:173], v[170:171]
	v_fma_f64 v[154:155], -v[154:155], v[174:175], v[172:173]
	s_nop 1
	v_div_fmas_f64 v[154:155], v[154:155], v[170:171], v[174:175]
	v_div_fixup_f64 v[152:153], v[154:155], v[152:153], 1.0
	v_mul_f64 v[154:155], v[168:169], -v[152:153]
.LBB74_471:
	s_or_b64 exec, exec, s[16:17]
.LBB74_472:
	s_or_b64 exec, exec, s[0:1]
	v_cmp_ne_u32_e32 vcc, v165, v162
	s_and_saveexec_b64 s[0:1], vcc
	s_xor_b64 s[0:1], exec, s[0:1]
	s_cbranch_execz .LBB74_478
; %bb.473:
	v_cmp_eq_u32_e32 vcc, 22, v165
	s_and_saveexec_b64 s[16:17], vcc
	s_cbranch_execz .LBB74_477
; %bb.474:
	v_cmp_ne_u32_e32 vcc, 22, v162
	s_xor_b64 s[18:19], s[14:15], -1
	s_and_b64 s[22:23], s[18:19], vcc
	s_and_saveexec_b64 s[18:19], s[22:23]
	s_cbranch_execz .LBB74_476
; %bb.475:
	v_ashrrev_i32_e32 v163, 31, v162
	v_lshl_add_u64 v[168:169], v[162:163], 2, v[160:161]
	global_load_dword v163, v[168:169], off
	global_load_dword v165, v[160:161], off offset:88
	s_waitcnt vmcnt(1)
	global_store_dword v[160:161], v163, off offset:88
	s_waitcnt vmcnt(1)
	global_store_dword v[168:169], v165, off
.LBB74_476:
	s_or_b64 exec, exec, s[18:19]
	v_mov_b32_e32 v165, v162
	v_mov_b32_e32 v167, v162
.LBB74_477:
	s_or_b64 exec, exec, s[16:17]
.LBB74_478:
	s_andn2_saveexec_b64 s[0:1], s[0:1]
	s_cbranch_execz .LBB74_480
; %bb.479:
	v_mov_b32_e32 v165, 22
	s_waitcnt vmcnt(14)
	ds_write2_b64 v164, v[52:53], v[54:55] offset0:46 offset1:47
	s_waitcnt vmcnt(13)
	ds_write2_b64 v164, v[48:49], v[50:51] offset0:48 offset1:49
	;; [unrolled: 2-line block ×15, first 2 shown]
.LBB74_480:
	s_or_b64 exec, exec, s[0:1]
	v_cmp_lt_i32_e32 vcc, 22, v165
	s_waitcnt lgkmcnt(0)
	s_barrier
	s_and_saveexec_b64 s[0:1], vcc
	s_cbranch_execz .LBB74_482
; %bb.481:
	ds_read2_b64 v[168:171], v164 offset0:46 offset1:47
	v_mul_f64 v[162:163], v[152:153], v[58:59]
	v_fmac_f64_e32 v[162:163], v[154:155], v[56:57]
	v_mul_f64 v[58:59], v[154:155], v[58:59]
	v_fma_f64 v[56:57], v[152:153], v[56:57], -v[58:59]
	ds_read2_b64 v[152:155], v164 offset0:48 offset1:49
	s_waitcnt lgkmcnt(1)
	v_mul_f64 v[58:59], v[170:171], v[162:163]
	v_fma_f64 v[58:59], v[168:169], v[56:57], -v[58:59]
	v_mul_f64 v[168:169], v[168:169], v[162:163]
	v_fmac_f64_e32 v[168:169], v[170:171], v[56:57]
	s_waitcnt vmcnt(14)
	v_add_f64 v[54:55], v[54:55], -v[168:169]
	ds_read2_b64 v[168:171], v164 offset0:50 offset1:51
	v_add_f64 v[52:53], v[52:53], -v[58:59]
	s_waitcnt lgkmcnt(1)
	v_mul_f64 v[58:59], v[154:155], v[162:163]
	v_fma_f64 v[58:59], v[152:153], v[56:57], -v[58:59]
	v_mul_f64 v[152:153], v[152:153], v[162:163]
	v_fmac_f64_e32 v[152:153], v[154:155], v[56:57]
	s_waitcnt vmcnt(13)
	v_add_f64 v[48:49], v[48:49], -v[58:59]
	v_add_f64 v[50:51], v[50:51], -v[152:153]
	ds_read2_b64 v[152:155], v164 offset0:52 offset1:53
	s_waitcnt lgkmcnt(1)
	v_mul_f64 v[58:59], v[170:171], v[162:163]
	v_fma_f64 v[58:59], v[168:169], v[56:57], -v[58:59]
	v_mul_f64 v[168:169], v[168:169], v[162:163]
	v_fmac_f64_e32 v[168:169], v[170:171], v[56:57]
	s_waitcnt vmcnt(12)
	v_add_f64 v[46:47], v[46:47], -v[168:169]
	ds_read2_b64 v[168:171], v164 offset0:54 offset1:55
	v_add_f64 v[44:45], v[44:45], -v[58:59]
	s_waitcnt lgkmcnt(1)
	v_mul_f64 v[58:59], v[154:155], v[162:163]
	v_fma_f64 v[58:59], v[152:153], v[56:57], -v[58:59]
	v_mul_f64 v[152:153], v[152:153], v[162:163]
	v_fmac_f64_e32 v[152:153], v[154:155], v[56:57]
	s_waitcnt vmcnt(11)
	v_add_f64 v[40:41], v[40:41], -v[58:59]
	v_add_f64 v[42:43], v[42:43], -v[152:153]
	ds_read2_b64 v[152:155], v164 offset0:56 offset1:57
	s_waitcnt lgkmcnt(1)
	v_mul_f64 v[58:59], v[170:171], v[162:163]
	v_fma_f64 v[58:59], v[168:169], v[56:57], -v[58:59]
	v_mul_f64 v[168:169], v[168:169], v[162:163]
	v_fmac_f64_e32 v[168:169], v[170:171], v[56:57]
	s_waitcnt vmcnt(10)
	v_add_f64 v[38:39], v[38:39], -v[168:169]
	ds_read2_b64 v[168:171], v164 offset0:58 offset1:59
	v_add_f64 v[36:37], v[36:37], -v[58:59]
	s_waitcnt lgkmcnt(1)
	v_mul_f64 v[58:59], v[154:155], v[162:163]
	v_fma_f64 v[58:59], v[152:153], v[56:57], -v[58:59]
	v_mul_f64 v[152:153], v[152:153], v[162:163]
	v_fmac_f64_e32 v[152:153], v[154:155], v[56:57]
	s_waitcnt vmcnt(9)
	v_add_f64 v[32:33], v[32:33], -v[58:59]
	v_add_f64 v[34:35], v[34:35], -v[152:153]
	ds_read2_b64 v[152:155], v164 offset0:60 offset1:61
	s_waitcnt lgkmcnt(1)
	v_mul_f64 v[58:59], v[170:171], v[162:163]
	v_fma_f64 v[58:59], v[168:169], v[56:57], -v[58:59]
	v_mul_f64 v[168:169], v[168:169], v[162:163]
	v_fmac_f64_e32 v[168:169], v[170:171], v[56:57]
	s_waitcnt vmcnt(8)
	v_add_f64 v[30:31], v[30:31], -v[168:169]
	ds_read2_b64 v[168:171], v164 offset0:62 offset1:63
	v_add_f64 v[28:29], v[28:29], -v[58:59]
	s_waitcnt lgkmcnt(1)
	v_mul_f64 v[58:59], v[154:155], v[162:163]
	v_fma_f64 v[58:59], v[152:153], v[56:57], -v[58:59]
	v_mul_f64 v[152:153], v[152:153], v[162:163]
	v_fmac_f64_e32 v[152:153], v[154:155], v[56:57]
	s_waitcnt vmcnt(7)
	v_add_f64 v[24:25], v[24:25], -v[58:59]
	v_add_f64 v[26:27], v[26:27], -v[152:153]
	ds_read2_b64 v[152:155], v164 offset0:64 offset1:65
	s_waitcnt lgkmcnt(1)
	v_mul_f64 v[58:59], v[170:171], v[162:163]
	v_fma_f64 v[58:59], v[168:169], v[56:57], -v[58:59]
	v_mul_f64 v[168:169], v[168:169], v[162:163]
	v_fmac_f64_e32 v[168:169], v[170:171], v[56:57]
	s_waitcnt vmcnt(6)
	v_add_f64 v[22:23], v[22:23], -v[168:169]
	ds_read2_b64 v[168:171], v164 offset0:66 offset1:67
	v_add_f64 v[20:21], v[20:21], -v[58:59]
	s_waitcnt lgkmcnt(1)
	v_mul_f64 v[58:59], v[154:155], v[162:163]
	v_fma_f64 v[58:59], v[152:153], v[56:57], -v[58:59]
	v_mul_f64 v[152:153], v[152:153], v[162:163]
	v_fmac_f64_e32 v[152:153], v[154:155], v[56:57]
	s_waitcnt vmcnt(5)
	v_add_f64 v[16:17], v[16:17], -v[58:59]
	v_add_f64 v[18:19], v[18:19], -v[152:153]
	ds_read2_b64 v[152:155], v164 offset0:68 offset1:69
	s_waitcnt lgkmcnt(1)
	v_mul_f64 v[58:59], v[170:171], v[162:163]
	v_fma_f64 v[58:59], v[168:169], v[56:57], -v[58:59]
	v_mul_f64 v[168:169], v[168:169], v[162:163]
	v_fmac_f64_e32 v[168:169], v[170:171], v[56:57]
	s_waitcnt vmcnt(4)
	v_add_f64 v[14:15], v[14:15], -v[168:169]
	ds_read2_b64 v[168:171], v164 offset0:70 offset1:71
	v_add_f64 v[12:13], v[12:13], -v[58:59]
	s_waitcnt lgkmcnt(1)
	v_mul_f64 v[58:59], v[154:155], v[162:163]
	v_fma_f64 v[58:59], v[152:153], v[56:57], -v[58:59]
	v_mul_f64 v[152:153], v[152:153], v[162:163]
	v_fmac_f64_e32 v[152:153], v[154:155], v[56:57]
	s_waitcnt vmcnt(3)
	v_add_f64 v[8:9], v[8:9], -v[58:59]
	v_add_f64 v[10:11], v[10:11], -v[152:153]
	ds_read2_b64 v[152:155], v164 offset0:72 offset1:73
	s_waitcnt lgkmcnt(1)
	v_mul_f64 v[58:59], v[170:171], v[162:163]
	v_fma_f64 v[58:59], v[168:169], v[56:57], -v[58:59]
	v_mul_f64 v[168:169], v[168:169], v[162:163]
	v_fmac_f64_e32 v[168:169], v[170:171], v[56:57]
	s_waitcnt vmcnt(2)
	v_add_f64 v[6:7], v[6:7], -v[168:169]
	ds_read2_b64 v[168:171], v164 offset0:74 offset1:75
	v_add_f64 v[4:5], v[4:5], -v[58:59]
	s_waitcnt lgkmcnt(1)
	v_mul_f64 v[58:59], v[154:155], v[162:163]
	v_fma_f64 v[58:59], v[152:153], v[56:57], -v[58:59]
	v_mul_f64 v[152:153], v[152:153], v[162:163]
	v_fmac_f64_e32 v[152:153], v[154:155], v[56:57]
	s_waitcnt vmcnt(1)
	v_add_f64 v[0:1], v[0:1], -v[58:59]
	v_add_f64 v[2:3], v[2:3], -v[152:153]
	s_waitcnt lgkmcnt(0)
	v_mul_f64 v[58:59], v[170:171], v[162:163]
	v_mul_f64 v[152:153], v[168:169], v[162:163]
	v_fma_f64 v[58:59], v[168:169], v[56:57], -v[58:59]
	v_fmac_f64_e32 v[152:153], v[170:171], v[56:57]
	s_waitcnt vmcnt(0)
	v_add_f64 v[148:149], v[148:149], -v[58:59]
	v_add_f64 v[150:151], v[150:151], -v[152:153]
	v_mov_b64_e32 v[58:59], v[162:163]
.LBB74_482:
	s_or_b64 exec, exec, s[0:1]
	v_lshl_add_u32 v152, v165, 4, v164
	s_barrier
	s_waitcnt vmcnt(14)
	ds_write2_b64 v152, v[52:53], v[54:55] offset1:1
	s_waitcnt lgkmcnt(0)
	s_barrier
	ds_read2_b64 v[152:155], v164 offset0:46 offset1:47
	s_cmp_lt_i32 s20, 25
	v_mov_b32_e32 v162, 23
	s_cbranch_scc1 .LBB74_485
; %bb.483:
	v_add_u32_e32 v163, 0x180, v164
	s_mov_b32 s16, 24
	v_mov_b32_e32 v162, 23
.LBB74_484:                             ; =>This Inner Loop Header: Depth=1
	ds_read2_b64 v[168:171], v163 offset1:1
	s_waitcnt lgkmcnt(1)
	v_xor_b32_e32 v173, 0x80000000, v153
	v_xor_b32_e32 v175, 0x80000000, v155
	v_cmp_gt_f64_e32 vcc, 0, v[154:155]
	v_cmp_gt_f64_e64 s[0:1], 0, v[152:153]
	v_mov_b32_e32 v172, v152
	v_mov_b32_e32 v174, v154
	v_cndmask_b32_e64 v173, v153, v173, s[0:1]
	v_cndmask_b32_e32 v175, v155, v175, vcc
	v_add_f64 v[172:173], v[172:173], v[174:175]
	s_waitcnt lgkmcnt(0)
	v_xor_b32_e32 v175, 0x80000000, v169
	v_xor_b32_e32 v177, 0x80000000, v171
	v_cmp_gt_f64_e32 vcc, 0, v[170:171]
	v_cmp_gt_f64_e64 s[0:1], 0, v[168:169]
	v_mov_b32_e32 v174, v168
	v_mov_b32_e32 v176, v170
	v_cndmask_b32_e64 v175, v169, v175, s[0:1]
	v_cndmask_b32_e32 v177, v171, v177, vcc
	v_add_f64 v[174:175], v[174:175], v[176:177]
	v_mov_b32_e32 v178, s16
	s_add_i32 s16, s16, 1
	v_cmp_lt_f64_e32 vcc, v[172:173], v[174:175]
	v_add_u32_e32 v163, 16, v163
	s_cmp_lg_u32 s20, s16
	v_cndmask_b32_e32 v153, v153, v169, vcc
	v_cndmask_b32_e32 v152, v152, v168, vcc
	;; [unrolled: 1-line block ×5, first 2 shown]
	s_cbranch_scc1 .LBB74_484
.LBB74_485:
	s_waitcnt lgkmcnt(0)
	v_cmp_eq_f64_e32 vcc, 0, v[152:153]
	v_cmp_eq_f64_e64 s[0:1], 0, v[154:155]
	s_and_b64 s[0:1], vcc, s[0:1]
	s_and_saveexec_b64 s[16:17], s[0:1]
	s_xor_b64 s[0:1], exec, s[16:17]
; %bb.486:
	v_cmp_ne_u32_e32 vcc, 0, v166
	s_nop 1
	v_cndmask_b32_e32 v166, 24, v166, vcc
; %bb.487:
	s_andn2_saveexec_b64 s[0:1], s[0:1]
	s_cbranch_execz .LBB74_493
; %bb.488:
	v_cmp_ngt_f64_e64 s[16:17], |v[152:153]|, |v[154:155]|
	s_and_saveexec_b64 s[18:19], s[16:17]
	s_xor_b64 s[16:17], exec, s[18:19]
	s_cbranch_execz .LBB74_490
; %bb.489:
	v_div_scale_f64 v[168:169], s[18:19], v[154:155], v[154:155], v[152:153]
	v_rcp_f64_e32 v[170:171], v[168:169]
	v_div_scale_f64 v[172:173], vcc, v[152:153], v[154:155], v[152:153]
	v_fma_f64 v[174:175], -v[168:169], v[170:171], 1.0
	v_fmac_f64_e32 v[170:171], v[170:171], v[174:175]
	v_fma_f64 v[174:175], -v[168:169], v[170:171], 1.0
	v_fmac_f64_e32 v[170:171], v[170:171], v[174:175]
	v_mul_f64 v[174:175], v[172:173], v[170:171]
	v_fma_f64 v[168:169], -v[168:169], v[174:175], v[172:173]
	v_div_fmas_f64 v[168:169], v[168:169], v[170:171], v[174:175]
	v_div_fixup_f64 v[168:169], v[168:169], v[154:155], v[152:153]
	v_fmac_f64_e32 v[154:155], v[152:153], v[168:169]
	v_div_scale_f64 v[152:153], s[18:19], v[154:155], v[154:155], 1.0
	v_rcp_f64_e32 v[170:171], v[152:153]
	s_nop 0
	v_fma_f64 v[172:173], -v[152:153], v[170:171], 1.0
	v_fmac_f64_e32 v[170:171], v[170:171], v[172:173]
	v_fma_f64 v[172:173], -v[152:153], v[170:171], 1.0
	v_fmac_f64_e32 v[170:171], v[170:171], v[172:173]
	v_div_scale_f64 v[172:173], vcc, 1.0, v[154:155], 1.0
	v_mul_f64 v[174:175], v[172:173], v[170:171]
	v_fma_f64 v[152:153], -v[152:153], v[174:175], v[172:173]
	s_nop 1
	v_div_fmas_f64 v[152:153], v[152:153], v[170:171], v[174:175]
	v_div_fixup_f64 v[154:155], v[152:153], v[154:155], 1.0
	v_mul_f64 v[152:153], v[168:169], v[154:155]
	v_xor_b32_e32 v155, 0x80000000, v155
.LBB74_490:
	s_andn2_saveexec_b64 s[16:17], s[16:17]
	s_cbranch_execz .LBB74_492
; %bb.491:
	v_div_scale_f64 v[168:169], s[18:19], v[152:153], v[152:153], v[154:155]
	v_rcp_f64_e32 v[170:171], v[168:169]
	v_div_scale_f64 v[172:173], vcc, v[154:155], v[152:153], v[154:155]
	v_fma_f64 v[174:175], -v[168:169], v[170:171], 1.0
	v_fmac_f64_e32 v[170:171], v[170:171], v[174:175]
	v_fma_f64 v[174:175], -v[168:169], v[170:171], 1.0
	v_fmac_f64_e32 v[170:171], v[170:171], v[174:175]
	v_mul_f64 v[174:175], v[172:173], v[170:171]
	v_fma_f64 v[168:169], -v[168:169], v[174:175], v[172:173]
	v_div_fmas_f64 v[168:169], v[168:169], v[170:171], v[174:175]
	v_div_fixup_f64 v[168:169], v[168:169], v[152:153], v[154:155]
	v_fmac_f64_e32 v[152:153], v[154:155], v[168:169]
	v_div_scale_f64 v[154:155], s[18:19], v[152:153], v[152:153], 1.0
	v_rcp_f64_e32 v[170:171], v[154:155]
	s_nop 0
	v_fma_f64 v[172:173], -v[154:155], v[170:171], 1.0
	v_fmac_f64_e32 v[170:171], v[170:171], v[172:173]
	v_fma_f64 v[172:173], -v[154:155], v[170:171], 1.0
	v_fmac_f64_e32 v[170:171], v[170:171], v[172:173]
	v_div_scale_f64 v[172:173], vcc, 1.0, v[152:153], 1.0
	v_mul_f64 v[174:175], v[172:173], v[170:171]
	v_fma_f64 v[154:155], -v[154:155], v[174:175], v[172:173]
	s_nop 1
	v_div_fmas_f64 v[154:155], v[154:155], v[170:171], v[174:175]
	v_div_fixup_f64 v[152:153], v[154:155], v[152:153], 1.0
	v_mul_f64 v[154:155], v[168:169], -v[152:153]
.LBB74_492:
	s_or_b64 exec, exec, s[16:17]
.LBB74_493:
	s_or_b64 exec, exec, s[0:1]
	v_cmp_ne_u32_e32 vcc, v165, v162
	s_and_saveexec_b64 s[0:1], vcc
	s_xor_b64 s[0:1], exec, s[0:1]
	s_cbranch_execz .LBB74_499
; %bb.494:
	v_cmp_eq_u32_e32 vcc, 23, v165
	s_and_saveexec_b64 s[16:17], vcc
	s_cbranch_execz .LBB74_498
; %bb.495:
	v_cmp_ne_u32_e32 vcc, 23, v162
	s_xor_b64 s[18:19], s[14:15], -1
	s_and_b64 s[22:23], s[18:19], vcc
	s_and_saveexec_b64 s[18:19], s[22:23]
	s_cbranch_execz .LBB74_497
; %bb.496:
	v_ashrrev_i32_e32 v163, 31, v162
	v_lshl_add_u64 v[168:169], v[162:163], 2, v[160:161]
	global_load_dword v163, v[168:169], off
	global_load_dword v165, v[160:161], off offset:92
	s_waitcnt vmcnt(1)
	global_store_dword v[160:161], v163, off offset:92
	s_waitcnt vmcnt(1)
	global_store_dword v[168:169], v165, off
.LBB74_497:
	s_or_b64 exec, exec, s[18:19]
	v_mov_b32_e32 v165, v162
	v_mov_b32_e32 v167, v162
.LBB74_498:
	s_or_b64 exec, exec, s[16:17]
.LBB74_499:
	s_andn2_saveexec_b64 s[0:1], s[0:1]
	s_cbranch_execz .LBB74_501
; %bb.500:
	v_mov_b32_e32 v165, 23
	s_waitcnt vmcnt(13)
	ds_write2_b64 v164, v[48:49], v[50:51] offset0:48 offset1:49
	s_waitcnt vmcnt(12)
	ds_write2_b64 v164, v[44:45], v[46:47] offset0:50 offset1:51
	;; [unrolled: 2-line block ×14, first 2 shown]
.LBB74_501:
	s_or_b64 exec, exec, s[0:1]
	v_cmp_lt_i32_e32 vcc, 23, v165
	s_waitcnt lgkmcnt(0)
	s_barrier
	s_and_saveexec_b64 s[0:1], vcc
	s_cbranch_execz .LBB74_503
; %bb.502:
	ds_read2_b64 v[168:171], v164 offset0:48 offset1:49
	v_mul_f64 v[162:163], v[152:153], v[54:55]
	v_mul_f64 v[54:55], v[154:155], v[54:55]
	v_fmac_f64_e32 v[162:163], v[154:155], v[52:53]
	v_fma_f64 v[52:53], v[152:153], v[52:53], -v[54:55]
	ds_read2_b64 v[152:155], v164 offset0:50 offset1:51
	s_waitcnt lgkmcnt(1)
	v_mul_f64 v[54:55], v[170:171], v[162:163]
	v_fma_f64 v[54:55], v[168:169], v[52:53], -v[54:55]
	v_mul_f64 v[168:169], v[168:169], v[162:163]
	v_fmac_f64_e32 v[168:169], v[170:171], v[52:53]
	s_waitcnt vmcnt(13)
	v_add_f64 v[48:49], v[48:49], -v[54:55]
	s_waitcnt lgkmcnt(0)
	v_mul_f64 v[54:55], v[154:155], v[162:163]
	v_add_f64 v[50:51], v[50:51], -v[168:169]
	v_fma_f64 v[54:55], v[152:153], v[52:53], -v[54:55]
	v_mul_f64 v[152:153], v[152:153], v[162:163]
	ds_read2_b64 v[168:171], v164 offset0:52 offset1:53
	v_fmac_f64_e32 v[152:153], v[154:155], v[52:53]
	s_waitcnt vmcnt(12)
	v_add_f64 v[46:47], v[46:47], -v[152:153]
	ds_read2_b64 v[152:155], v164 offset0:54 offset1:55
	v_add_f64 v[44:45], v[44:45], -v[54:55]
	s_waitcnt lgkmcnt(1)
	v_mul_f64 v[54:55], v[170:171], v[162:163]
	v_fma_f64 v[54:55], v[168:169], v[52:53], -v[54:55]
	v_mul_f64 v[168:169], v[168:169], v[162:163]
	v_fmac_f64_e32 v[168:169], v[170:171], v[52:53]
	s_waitcnt vmcnt(11)
	v_add_f64 v[40:41], v[40:41], -v[54:55]
	s_waitcnt lgkmcnt(0)
	v_mul_f64 v[54:55], v[154:155], v[162:163]
	v_add_f64 v[42:43], v[42:43], -v[168:169]
	v_fma_f64 v[54:55], v[152:153], v[52:53], -v[54:55]
	v_mul_f64 v[152:153], v[152:153], v[162:163]
	ds_read2_b64 v[168:171], v164 offset0:56 offset1:57
	v_fmac_f64_e32 v[152:153], v[154:155], v[52:53]
	s_waitcnt vmcnt(10)
	v_add_f64 v[38:39], v[38:39], -v[152:153]
	ds_read2_b64 v[152:155], v164 offset0:58 offset1:59
	v_add_f64 v[36:37], v[36:37], -v[54:55]
	;; [unrolled: 18-line block ×6, first 2 shown]
	s_waitcnt lgkmcnt(1)
	v_mul_f64 v[54:55], v[170:171], v[162:163]
	v_fma_f64 v[54:55], v[168:169], v[52:53], -v[54:55]
	s_waitcnt vmcnt(1)
	v_add_f64 v[0:1], v[0:1], -v[54:55]
	s_waitcnt lgkmcnt(0)
	v_mul_f64 v[54:55], v[154:155], v[162:163]
	v_mul_f64 v[168:169], v[168:169], v[162:163]
	v_fma_f64 v[54:55], v[152:153], v[52:53], -v[54:55]
	v_mul_f64 v[152:153], v[152:153], v[162:163]
	v_fmac_f64_e32 v[168:169], v[170:171], v[52:53]
	v_fmac_f64_e32 v[152:153], v[154:155], v[52:53]
	v_add_f64 v[2:3], v[2:3], -v[168:169]
	s_waitcnt vmcnt(0)
	v_add_f64 v[148:149], v[148:149], -v[54:55]
	v_add_f64 v[150:151], v[150:151], -v[152:153]
	v_mov_b64_e32 v[54:55], v[162:163]
.LBB74_503:
	s_or_b64 exec, exec, s[0:1]
	v_lshl_add_u32 v152, v165, 4, v164
	s_barrier
	s_waitcnt vmcnt(13)
	ds_write2_b64 v152, v[48:49], v[50:51] offset1:1
	s_waitcnt lgkmcnt(0)
	s_barrier
	ds_read2_b64 v[152:155], v164 offset0:48 offset1:49
	s_cmp_lt_i32 s20, 26
	v_mov_b32_e32 v162, 24
	s_cbranch_scc1 .LBB74_506
; %bb.504:
	v_add_u32_e32 v163, 0x190, v164
	s_mov_b32 s16, 25
	v_mov_b32_e32 v162, 24
.LBB74_505:                             ; =>This Inner Loop Header: Depth=1
	ds_read2_b64 v[168:171], v163 offset1:1
	s_waitcnt lgkmcnt(1)
	v_xor_b32_e32 v173, 0x80000000, v153
	v_xor_b32_e32 v175, 0x80000000, v155
	v_cmp_gt_f64_e32 vcc, 0, v[154:155]
	v_cmp_gt_f64_e64 s[0:1], 0, v[152:153]
	v_mov_b32_e32 v172, v152
	v_mov_b32_e32 v174, v154
	v_cndmask_b32_e64 v173, v153, v173, s[0:1]
	v_cndmask_b32_e32 v175, v155, v175, vcc
	v_add_f64 v[172:173], v[172:173], v[174:175]
	s_waitcnt lgkmcnt(0)
	v_xor_b32_e32 v175, 0x80000000, v169
	v_xor_b32_e32 v177, 0x80000000, v171
	v_cmp_gt_f64_e32 vcc, 0, v[170:171]
	v_cmp_gt_f64_e64 s[0:1], 0, v[168:169]
	v_mov_b32_e32 v174, v168
	v_mov_b32_e32 v176, v170
	v_cndmask_b32_e64 v175, v169, v175, s[0:1]
	v_cndmask_b32_e32 v177, v171, v177, vcc
	v_add_f64 v[174:175], v[174:175], v[176:177]
	v_mov_b32_e32 v178, s16
	s_add_i32 s16, s16, 1
	v_cmp_lt_f64_e32 vcc, v[172:173], v[174:175]
	v_add_u32_e32 v163, 16, v163
	s_cmp_lg_u32 s20, s16
	v_cndmask_b32_e32 v153, v153, v169, vcc
	v_cndmask_b32_e32 v152, v152, v168, vcc
	;; [unrolled: 1-line block ×5, first 2 shown]
	s_cbranch_scc1 .LBB74_505
.LBB74_506:
	s_waitcnt lgkmcnt(0)
	v_cmp_eq_f64_e32 vcc, 0, v[152:153]
	v_cmp_eq_f64_e64 s[0:1], 0, v[154:155]
	s_and_b64 s[0:1], vcc, s[0:1]
	s_and_saveexec_b64 s[16:17], s[0:1]
	s_xor_b64 s[0:1], exec, s[16:17]
; %bb.507:
	v_cmp_ne_u32_e32 vcc, 0, v166
	s_nop 1
	v_cndmask_b32_e32 v166, 25, v166, vcc
; %bb.508:
	s_andn2_saveexec_b64 s[0:1], s[0:1]
	s_cbranch_execz .LBB74_514
; %bb.509:
	v_cmp_ngt_f64_e64 s[16:17], |v[152:153]|, |v[154:155]|
	s_and_saveexec_b64 s[18:19], s[16:17]
	s_xor_b64 s[16:17], exec, s[18:19]
	s_cbranch_execz .LBB74_511
; %bb.510:
	v_div_scale_f64 v[168:169], s[18:19], v[154:155], v[154:155], v[152:153]
	v_rcp_f64_e32 v[170:171], v[168:169]
	v_div_scale_f64 v[172:173], vcc, v[152:153], v[154:155], v[152:153]
	v_fma_f64 v[174:175], -v[168:169], v[170:171], 1.0
	v_fmac_f64_e32 v[170:171], v[170:171], v[174:175]
	v_fma_f64 v[174:175], -v[168:169], v[170:171], 1.0
	v_fmac_f64_e32 v[170:171], v[170:171], v[174:175]
	v_mul_f64 v[174:175], v[172:173], v[170:171]
	v_fma_f64 v[168:169], -v[168:169], v[174:175], v[172:173]
	v_div_fmas_f64 v[168:169], v[168:169], v[170:171], v[174:175]
	v_div_fixup_f64 v[168:169], v[168:169], v[154:155], v[152:153]
	v_fmac_f64_e32 v[154:155], v[152:153], v[168:169]
	v_div_scale_f64 v[152:153], s[18:19], v[154:155], v[154:155], 1.0
	v_rcp_f64_e32 v[170:171], v[152:153]
	s_nop 0
	v_fma_f64 v[172:173], -v[152:153], v[170:171], 1.0
	v_fmac_f64_e32 v[170:171], v[170:171], v[172:173]
	v_fma_f64 v[172:173], -v[152:153], v[170:171], 1.0
	v_fmac_f64_e32 v[170:171], v[170:171], v[172:173]
	v_div_scale_f64 v[172:173], vcc, 1.0, v[154:155], 1.0
	v_mul_f64 v[174:175], v[172:173], v[170:171]
	v_fma_f64 v[152:153], -v[152:153], v[174:175], v[172:173]
	s_nop 1
	v_div_fmas_f64 v[152:153], v[152:153], v[170:171], v[174:175]
	v_div_fixup_f64 v[154:155], v[152:153], v[154:155], 1.0
	v_mul_f64 v[152:153], v[168:169], v[154:155]
	v_xor_b32_e32 v155, 0x80000000, v155
.LBB74_511:
	s_andn2_saveexec_b64 s[16:17], s[16:17]
	s_cbranch_execz .LBB74_513
; %bb.512:
	v_div_scale_f64 v[168:169], s[18:19], v[152:153], v[152:153], v[154:155]
	v_rcp_f64_e32 v[170:171], v[168:169]
	v_div_scale_f64 v[172:173], vcc, v[154:155], v[152:153], v[154:155]
	v_fma_f64 v[174:175], -v[168:169], v[170:171], 1.0
	v_fmac_f64_e32 v[170:171], v[170:171], v[174:175]
	v_fma_f64 v[174:175], -v[168:169], v[170:171], 1.0
	v_fmac_f64_e32 v[170:171], v[170:171], v[174:175]
	v_mul_f64 v[174:175], v[172:173], v[170:171]
	v_fma_f64 v[168:169], -v[168:169], v[174:175], v[172:173]
	v_div_fmas_f64 v[168:169], v[168:169], v[170:171], v[174:175]
	v_div_fixup_f64 v[168:169], v[168:169], v[152:153], v[154:155]
	v_fmac_f64_e32 v[152:153], v[154:155], v[168:169]
	v_div_scale_f64 v[154:155], s[18:19], v[152:153], v[152:153], 1.0
	v_rcp_f64_e32 v[170:171], v[154:155]
	s_nop 0
	v_fma_f64 v[172:173], -v[154:155], v[170:171], 1.0
	v_fmac_f64_e32 v[170:171], v[170:171], v[172:173]
	v_fma_f64 v[172:173], -v[154:155], v[170:171], 1.0
	v_fmac_f64_e32 v[170:171], v[170:171], v[172:173]
	v_div_scale_f64 v[172:173], vcc, 1.0, v[152:153], 1.0
	v_mul_f64 v[174:175], v[172:173], v[170:171]
	v_fma_f64 v[154:155], -v[154:155], v[174:175], v[172:173]
	s_nop 1
	v_div_fmas_f64 v[154:155], v[154:155], v[170:171], v[174:175]
	v_div_fixup_f64 v[152:153], v[154:155], v[152:153], 1.0
	v_mul_f64 v[154:155], v[168:169], -v[152:153]
.LBB74_513:
	s_or_b64 exec, exec, s[16:17]
.LBB74_514:
	s_or_b64 exec, exec, s[0:1]
	v_cmp_ne_u32_e32 vcc, v165, v162
	s_and_saveexec_b64 s[0:1], vcc
	s_xor_b64 s[0:1], exec, s[0:1]
	s_cbranch_execz .LBB74_520
; %bb.515:
	v_cmp_eq_u32_e32 vcc, 24, v165
	s_and_saveexec_b64 s[16:17], vcc
	s_cbranch_execz .LBB74_519
; %bb.516:
	v_cmp_ne_u32_e32 vcc, 24, v162
	s_xor_b64 s[18:19], s[14:15], -1
	s_and_b64 s[22:23], s[18:19], vcc
	s_and_saveexec_b64 s[18:19], s[22:23]
	s_cbranch_execz .LBB74_518
; %bb.517:
	v_ashrrev_i32_e32 v163, 31, v162
	v_lshl_add_u64 v[168:169], v[162:163], 2, v[160:161]
	global_load_dword v163, v[168:169], off
	global_load_dword v165, v[160:161], off offset:96
	s_waitcnt vmcnt(1)
	global_store_dword v[160:161], v163, off offset:96
	s_waitcnt vmcnt(1)
	global_store_dword v[168:169], v165, off
.LBB74_518:
	s_or_b64 exec, exec, s[18:19]
	v_mov_b32_e32 v165, v162
	v_mov_b32_e32 v167, v162
.LBB74_519:
	s_or_b64 exec, exec, s[16:17]
.LBB74_520:
	s_andn2_saveexec_b64 s[0:1], s[0:1]
	s_cbranch_execz .LBB74_522
; %bb.521:
	v_mov_b32_e32 v165, 24
	s_waitcnt vmcnt(12)
	ds_write2_b64 v164, v[44:45], v[46:47] offset0:50 offset1:51
	s_waitcnt vmcnt(11)
	ds_write2_b64 v164, v[40:41], v[42:43] offset0:52 offset1:53
	;; [unrolled: 2-line block ×13, first 2 shown]
.LBB74_522:
	s_or_b64 exec, exec, s[0:1]
	v_cmp_lt_i32_e32 vcc, 24, v165
	s_waitcnt lgkmcnt(0)
	s_barrier
	s_and_saveexec_b64 s[0:1], vcc
	s_cbranch_execz .LBB74_524
; %bb.523:
	ds_read2_b64 v[168:171], v164 offset0:50 offset1:51
	v_mul_f64 v[162:163], v[152:153], v[50:51]
	v_fmac_f64_e32 v[162:163], v[154:155], v[48:49]
	v_mul_f64 v[50:51], v[154:155], v[50:51]
	v_fma_f64 v[48:49], v[152:153], v[48:49], -v[50:51]
	ds_read2_b64 v[152:155], v164 offset0:52 offset1:53
	s_waitcnt lgkmcnt(1)
	v_mul_f64 v[50:51], v[170:171], v[162:163]
	v_fma_f64 v[50:51], v[168:169], v[48:49], -v[50:51]
	v_mul_f64 v[168:169], v[168:169], v[162:163]
	v_fmac_f64_e32 v[168:169], v[170:171], v[48:49]
	s_waitcnt vmcnt(12)
	v_add_f64 v[46:47], v[46:47], -v[168:169]
	ds_read2_b64 v[168:171], v164 offset0:54 offset1:55
	v_add_f64 v[44:45], v[44:45], -v[50:51]
	s_waitcnt lgkmcnt(1)
	v_mul_f64 v[50:51], v[154:155], v[162:163]
	v_fma_f64 v[50:51], v[152:153], v[48:49], -v[50:51]
	v_mul_f64 v[152:153], v[152:153], v[162:163]
	v_fmac_f64_e32 v[152:153], v[154:155], v[48:49]
	s_waitcnt vmcnt(11)
	v_add_f64 v[40:41], v[40:41], -v[50:51]
	v_add_f64 v[42:43], v[42:43], -v[152:153]
	ds_read2_b64 v[152:155], v164 offset0:56 offset1:57
	s_waitcnt lgkmcnt(1)
	v_mul_f64 v[50:51], v[170:171], v[162:163]
	v_fma_f64 v[50:51], v[168:169], v[48:49], -v[50:51]
	v_mul_f64 v[168:169], v[168:169], v[162:163]
	v_fmac_f64_e32 v[168:169], v[170:171], v[48:49]
	s_waitcnt vmcnt(10)
	v_add_f64 v[38:39], v[38:39], -v[168:169]
	ds_read2_b64 v[168:171], v164 offset0:58 offset1:59
	v_add_f64 v[36:37], v[36:37], -v[50:51]
	s_waitcnt lgkmcnt(1)
	v_mul_f64 v[50:51], v[154:155], v[162:163]
	v_fma_f64 v[50:51], v[152:153], v[48:49], -v[50:51]
	v_mul_f64 v[152:153], v[152:153], v[162:163]
	v_fmac_f64_e32 v[152:153], v[154:155], v[48:49]
	s_waitcnt vmcnt(9)
	v_add_f64 v[32:33], v[32:33], -v[50:51]
	v_add_f64 v[34:35], v[34:35], -v[152:153]
	;; [unrolled: 18-line block ×6, first 2 shown]
	s_waitcnt lgkmcnt(0)
	v_mul_f64 v[50:51], v[170:171], v[162:163]
	v_mul_f64 v[152:153], v[168:169], v[162:163]
	v_fma_f64 v[50:51], v[168:169], v[48:49], -v[50:51]
	v_fmac_f64_e32 v[152:153], v[170:171], v[48:49]
	s_waitcnt vmcnt(0)
	v_add_f64 v[148:149], v[148:149], -v[50:51]
	v_add_f64 v[150:151], v[150:151], -v[152:153]
	v_mov_b64_e32 v[50:51], v[162:163]
.LBB74_524:
	s_or_b64 exec, exec, s[0:1]
	v_lshl_add_u32 v152, v165, 4, v164
	s_barrier
	s_waitcnt vmcnt(12)
	ds_write2_b64 v152, v[44:45], v[46:47] offset1:1
	s_waitcnt lgkmcnt(0)
	s_barrier
	ds_read2_b64 v[152:155], v164 offset0:50 offset1:51
	s_cmp_lt_i32 s20, 27
	v_mov_b32_e32 v162, 25
	s_cbranch_scc1 .LBB74_527
; %bb.525:
	v_add_u32_e32 v163, 0x1a0, v164
	s_mov_b32 s16, 26
	v_mov_b32_e32 v162, 25
.LBB74_526:                             ; =>This Inner Loop Header: Depth=1
	ds_read2_b64 v[168:171], v163 offset1:1
	s_waitcnt lgkmcnt(1)
	v_xor_b32_e32 v173, 0x80000000, v153
	v_xor_b32_e32 v175, 0x80000000, v155
	v_cmp_gt_f64_e32 vcc, 0, v[154:155]
	v_cmp_gt_f64_e64 s[0:1], 0, v[152:153]
	v_mov_b32_e32 v172, v152
	v_mov_b32_e32 v174, v154
	v_cndmask_b32_e64 v173, v153, v173, s[0:1]
	v_cndmask_b32_e32 v175, v155, v175, vcc
	v_add_f64 v[172:173], v[172:173], v[174:175]
	s_waitcnt lgkmcnt(0)
	v_xor_b32_e32 v175, 0x80000000, v169
	v_xor_b32_e32 v177, 0x80000000, v171
	v_cmp_gt_f64_e32 vcc, 0, v[170:171]
	v_cmp_gt_f64_e64 s[0:1], 0, v[168:169]
	v_mov_b32_e32 v174, v168
	v_mov_b32_e32 v176, v170
	v_cndmask_b32_e64 v175, v169, v175, s[0:1]
	v_cndmask_b32_e32 v177, v171, v177, vcc
	v_add_f64 v[174:175], v[174:175], v[176:177]
	v_mov_b32_e32 v178, s16
	s_add_i32 s16, s16, 1
	v_cmp_lt_f64_e32 vcc, v[172:173], v[174:175]
	v_add_u32_e32 v163, 16, v163
	s_cmp_lg_u32 s20, s16
	v_cndmask_b32_e32 v153, v153, v169, vcc
	v_cndmask_b32_e32 v152, v152, v168, vcc
	v_cndmask_b32_e32 v155, v155, v171, vcc
	v_cndmask_b32_e32 v154, v154, v170, vcc
	v_cndmask_b32_e32 v162, v162, v178, vcc
	s_cbranch_scc1 .LBB74_526
.LBB74_527:
	s_waitcnt lgkmcnt(0)
	v_cmp_eq_f64_e32 vcc, 0, v[152:153]
	v_cmp_eq_f64_e64 s[0:1], 0, v[154:155]
	s_and_b64 s[0:1], vcc, s[0:1]
	s_and_saveexec_b64 s[16:17], s[0:1]
	s_xor_b64 s[0:1], exec, s[16:17]
; %bb.528:
	v_cmp_ne_u32_e32 vcc, 0, v166
	s_nop 1
	v_cndmask_b32_e32 v166, 26, v166, vcc
; %bb.529:
	s_andn2_saveexec_b64 s[0:1], s[0:1]
	s_cbranch_execz .LBB74_535
; %bb.530:
	v_cmp_ngt_f64_e64 s[16:17], |v[152:153]|, |v[154:155]|
	s_and_saveexec_b64 s[18:19], s[16:17]
	s_xor_b64 s[16:17], exec, s[18:19]
	s_cbranch_execz .LBB74_532
; %bb.531:
	v_div_scale_f64 v[168:169], s[18:19], v[154:155], v[154:155], v[152:153]
	v_rcp_f64_e32 v[170:171], v[168:169]
	v_div_scale_f64 v[172:173], vcc, v[152:153], v[154:155], v[152:153]
	v_fma_f64 v[174:175], -v[168:169], v[170:171], 1.0
	v_fmac_f64_e32 v[170:171], v[170:171], v[174:175]
	v_fma_f64 v[174:175], -v[168:169], v[170:171], 1.0
	v_fmac_f64_e32 v[170:171], v[170:171], v[174:175]
	v_mul_f64 v[174:175], v[172:173], v[170:171]
	v_fma_f64 v[168:169], -v[168:169], v[174:175], v[172:173]
	v_div_fmas_f64 v[168:169], v[168:169], v[170:171], v[174:175]
	v_div_fixup_f64 v[168:169], v[168:169], v[154:155], v[152:153]
	v_fmac_f64_e32 v[154:155], v[152:153], v[168:169]
	v_div_scale_f64 v[152:153], s[18:19], v[154:155], v[154:155], 1.0
	v_rcp_f64_e32 v[170:171], v[152:153]
	s_nop 0
	v_fma_f64 v[172:173], -v[152:153], v[170:171], 1.0
	v_fmac_f64_e32 v[170:171], v[170:171], v[172:173]
	v_fma_f64 v[172:173], -v[152:153], v[170:171], 1.0
	v_fmac_f64_e32 v[170:171], v[170:171], v[172:173]
	v_div_scale_f64 v[172:173], vcc, 1.0, v[154:155], 1.0
	v_mul_f64 v[174:175], v[172:173], v[170:171]
	v_fma_f64 v[152:153], -v[152:153], v[174:175], v[172:173]
	s_nop 1
	v_div_fmas_f64 v[152:153], v[152:153], v[170:171], v[174:175]
	v_div_fixup_f64 v[154:155], v[152:153], v[154:155], 1.0
	v_mul_f64 v[152:153], v[168:169], v[154:155]
	v_xor_b32_e32 v155, 0x80000000, v155
.LBB74_532:
	s_andn2_saveexec_b64 s[16:17], s[16:17]
	s_cbranch_execz .LBB74_534
; %bb.533:
	v_div_scale_f64 v[168:169], s[18:19], v[152:153], v[152:153], v[154:155]
	v_rcp_f64_e32 v[170:171], v[168:169]
	v_div_scale_f64 v[172:173], vcc, v[154:155], v[152:153], v[154:155]
	v_fma_f64 v[174:175], -v[168:169], v[170:171], 1.0
	v_fmac_f64_e32 v[170:171], v[170:171], v[174:175]
	v_fma_f64 v[174:175], -v[168:169], v[170:171], 1.0
	v_fmac_f64_e32 v[170:171], v[170:171], v[174:175]
	v_mul_f64 v[174:175], v[172:173], v[170:171]
	v_fma_f64 v[168:169], -v[168:169], v[174:175], v[172:173]
	v_div_fmas_f64 v[168:169], v[168:169], v[170:171], v[174:175]
	v_div_fixup_f64 v[168:169], v[168:169], v[152:153], v[154:155]
	v_fmac_f64_e32 v[152:153], v[154:155], v[168:169]
	v_div_scale_f64 v[154:155], s[18:19], v[152:153], v[152:153], 1.0
	v_rcp_f64_e32 v[170:171], v[154:155]
	s_nop 0
	v_fma_f64 v[172:173], -v[154:155], v[170:171], 1.0
	v_fmac_f64_e32 v[170:171], v[170:171], v[172:173]
	v_fma_f64 v[172:173], -v[154:155], v[170:171], 1.0
	v_fmac_f64_e32 v[170:171], v[170:171], v[172:173]
	v_div_scale_f64 v[172:173], vcc, 1.0, v[152:153], 1.0
	v_mul_f64 v[174:175], v[172:173], v[170:171]
	v_fma_f64 v[154:155], -v[154:155], v[174:175], v[172:173]
	s_nop 1
	v_div_fmas_f64 v[154:155], v[154:155], v[170:171], v[174:175]
	v_div_fixup_f64 v[152:153], v[154:155], v[152:153], 1.0
	v_mul_f64 v[154:155], v[168:169], -v[152:153]
.LBB74_534:
	s_or_b64 exec, exec, s[16:17]
.LBB74_535:
	s_or_b64 exec, exec, s[0:1]
	v_cmp_ne_u32_e32 vcc, v165, v162
	s_and_saveexec_b64 s[0:1], vcc
	s_xor_b64 s[0:1], exec, s[0:1]
	s_cbranch_execz .LBB74_541
; %bb.536:
	v_cmp_eq_u32_e32 vcc, 25, v165
	s_and_saveexec_b64 s[16:17], vcc
	s_cbranch_execz .LBB74_540
; %bb.537:
	v_cmp_ne_u32_e32 vcc, 25, v162
	s_xor_b64 s[18:19], s[14:15], -1
	s_and_b64 s[22:23], s[18:19], vcc
	s_and_saveexec_b64 s[18:19], s[22:23]
	s_cbranch_execz .LBB74_539
; %bb.538:
	v_ashrrev_i32_e32 v163, 31, v162
	v_lshl_add_u64 v[168:169], v[162:163], 2, v[160:161]
	global_load_dword v163, v[168:169], off
	global_load_dword v165, v[160:161], off offset:100
	s_waitcnt vmcnt(1)
	global_store_dword v[160:161], v163, off offset:100
	s_waitcnt vmcnt(1)
	global_store_dword v[168:169], v165, off
.LBB74_539:
	s_or_b64 exec, exec, s[18:19]
	v_mov_b32_e32 v165, v162
	v_mov_b32_e32 v167, v162
.LBB74_540:
	s_or_b64 exec, exec, s[16:17]
.LBB74_541:
	s_andn2_saveexec_b64 s[0:1], s[0:1]
	s_cbranch_execz .LBB74_543
; %bb.542:
	v_mov_b32_e32 v165, 25
	s_waitcnt vmcnt(11)
	ds_write2_b64 v164, v[40:41], v[42:43] offset0:52 offset1:53
	s_waitcnt vmcnt(10)
	ds_write2_b64 v164, v[36:37], v[38:39] offset0:54 offset1:55
	;; [unrolled: 2-line block ×12, first 2 shown]
.LBB74_543:
	s_or_b64 exec, exec, s[0:1]
	v_cmp_lt_i32_e32 vcc, 25, v165
	s_waitcnt lgkmcnt(0)
	s_barrier
	s_and_saveexec_b64 s[0:1], vcc
	s_cbranch_execz .LBB74_545
; %bb.544:
	ds_read2_b64 v[168:171], v164 offset0:52 offset1:53
	v_mul_f64 v[162:163], v[152:153], v[46:47]
	v_mul_f64 v[46:47], v[154:155], v[46:47]
	v_fmac_f64_e32 v[162:163], v[154:155], v[44:45]
	v_fma_f64 v[44:45], v[152:153], v[44:45], -v[46:47]
	ds_read2_b64 v[152:155], v164 offset0:54 offset1:55
	s_waitcnt lgkmcnt(1)
	v_mul_f64 v[46:47], v[170:171], v[162:163]
	v_fma_f64 v[46:47], v[168:169], v[44:45], -v[46:47]
	v_mul_f64 v[168:169], v[168:169], v[162:163]
	v_fmac_f64_e32 v[168:169], v[170:171], v[44:45]
	s_waitcnt vmcnt(11)
	v_add_f64 v[40:41], v[40:41], -v[46:47]
	s_waitcnt lgkmcnt(0)
	v_mul_f64 v[46:47], v[154:155], v[162:163]
	v_add_f64 v[42:43], v[42:43], -v[168:169]
	v_fma_f64 v[46:47], v[152:153], v[44:45], -v[46:47]
	v_mul_f64 v[152:153], v[152:153], v[162:163]
	ds_read2_b64 v[168:171], v164 offset0:56 offset1:57
	v_fmac_f64_e32 v[152:153], v[154:155], v[44:45]
	s_waitcnt vmcnt(10)
	v_add_f64 v[38:39], v[38:39], -v[152:153]
	ds_read2_b64 v[152:155], v164 offset0:58 offset1:59
	v_add_f64 v[36:37], v[36:37], -v[46:47]
	s_waitcnt lgkmcnt(1)
	v_mul_f64 v[46:47], v[170:171], v[162:163]
	v_fma_f64 v[46:47], v[168:169], v[44:45], -v[46:47]
	v_mul_f64 v[168:169], v[168:169], v[162:163]
	v_fmac_f64_e32 v[168:169], v[170:171], v[44:45]
	s_waitcnt vmcnt(9)
	v_add_f64 v[32:33], v[32:33], -v[46:47]
	s_waitcnt lgkmcnt(0)
	v_mul_f64 v[46:47], v[154:155], v[162:163]
	v_add_f64 v[34:35], v[34:35], -v[168:169]
	v_fma_f64 v[46:47], v[152:153], v[44:45], -v[46:47]
	v_mul_f64 v[152:153], v[152:153], v[162:163]
	ds_read2_b64 v[168:171], v164 offset0:60 offset1:61
	v_fmac_f64_e32 v[152:153], v[154:155], v[44:45]
	s_waitcnt vmcnt(8)
	v_add_f64 v[30:31], v[30:31], -v[152:153]
	ds_read2_b64 v[152:155], v164 offset0:62 offset1:63
	v_add_f64 v[28:29], v[28:29], -v[46:47]
	;; [unrolled: 18-line block ×5, first 2 shown]
	s_waitcnt lgkmcnt(1)
	v_mul_f64 v[46:47], v[170:171], v[162:163]
	v_fma_f64 v[46:47], v[168:169], v[44:45], -v[46:47]
	s_waitcnt vmcnt(1)
	v_add_f64 v[0:1], v[0:1], -v[46:47]
	s_waitcnt lgkmcnt(0)
	v_mul_f64 v[46:47], v[154:155], v[162:163]
	v_mul_f64 v[168:169], v[168:169], v[162:163]
	v_fma_f64 v[46:47], v[152:153], v[44:45], -v[46:47]
	v_mul_f64 v[152:153], v[152:153], v[162:163]
	v_fmac_f64_e32 v[168:169], v[170:171], v[44:45]
	v_fmac_f64_e32 v[152:153], v[154:155], v[44:45]
	v_add_f64 v[2:3], v[2:3], -v[168:169]
	s_waitcnt vmcnt(0)
	v_add_f64 v[148:149], v[148:149], -v[46:47]
	v_add_f64 v[150:151], v[150:151], -v[152:153]
	v_mov_b64_e32 v[46:47], v[162:163]
.LBB74_545:
	s_or_b64 exec, exec, s[0:1]
	v_lshl_add_u32 v152, v165, 4, v164
	s_barrier
	s_waitcnt vmcnt(11)
	ds_write2_b64 v152, v[40:41], v[42:43] offset1:1
	s_waitcnt lgkmcnt(0)
	s_barrier
	ds_read2_b64 v[152:155], v164 offset0:52 offset1:53
	s_cmp_lt_i32 s20, 28
	v_mov_b32_e32 v162, 26
	s_cbranch_scc1 .LBB74_548
; %bb.546:
	v_add_u32_e32 v163, 0x1b0, v164
	s_mov_b32 s16, 27
	v_mov_b32_e32 v162, 26
.LBB74_547:                             ; =>This Inner Loop Header: Depth=1
	ds_read2_b64 v[168:171], v163 offset1:1
	s_waitcnt lgkmcnt(1)
	v_xor_b32_e32 v173, 0x80000000, v153
	v_xor_b32_e32 v175, 0x80000000, v155
	v_cmp_gt_f64_e32 vcc, 0, v[154:155]
	v_cmp_gt_f64_e64 s[0:1], 0, v[152:153]
	v_mov_b32_e32 v172, v152
	v_mov_b32_e32 v174, v154
	v_cndmask_b32_e64 v173, v153, v173, s[0:1]
	v_cndmask_b32_e32 v175, v155, v175, vcc
	v_add_f64 v[172:173], v[172:173], v[174:175]
	s_waitcnt lgkmcnt(0)
	v_xor_b32_e32 v175, 0x80000000, v169
	v_xor_b32_e32 v177, 0x80000000, v171
	v_cmp_gt_f64_e32 vcc, 0, v[170:171]
	v_cmp_gt_f64_e64 s[0:1], 0, v[168:169]
	v_mov_b32_e32 v174, v168
	v_mov_b32_e32 v176, v170
	v_cndmask_b32_e64 v175, v169, v175, s[0:1]
	v_cndmask_b32_e32 v177, v171, v177, vcc
	v_add_f64 v[174:175], v[174:175], v[176:177]
	v_mov_b32_e32 v178, s16
	s_add_i32 s16, s16, 1
	v_cmp_lt_f64_e32 vcc, v[172:173], v[174:175]
	v_add_u32_e32 v163, 16, v163
	s_cmp_lg_u32 s20, s16
	v_cndmask_b32_e32 v153, v153, v169, vcc
	v_cndmask_b32_e32 v152, v152, v168, vcc
	;; [unrolled: 1-line block ×5, first 2 shown]
	s_cbranch_scc1 .LBB74_547
.LBB74_548:
	s_waitcnt lgkmcnt(0)
	v_cmp_eq_f64_e32 vcc, 0, v[152:153]
	v_cmp_eq_f64_e64 s[0:1], 0, v[154:155]
	s_and_b64 s[0:1], vcc, s[0:1]
	s_and_saveexec_b64 s[16:17], s[0:1]
	s_xor_b64 s[0:1], exec, s[16:17]
; %bb.549:
	v_cmp_ne_u32_e32 vcc, 0, v166
	s_nop 1
	v_cndmask_b32_e32 v166, 27, v166, vcc
; %bb.550:
	s_andn2_saveexec_b64 s[0:1], s[0:1]
	s_cbranch_execz .LBB74_556
; %bb.551:
	v_cmp_ngt_f64_e64 s[16:17], |v[152:153]|, |v[154:155]|
	s_and_saveexec_b64 s[18:19], s[16:17]
	s_xor_b64 s[16:17], exec, s[18:19]
	s_cbranch_execz .LBB74_553
; %bb.552:
	v_div_scale_f64 v[168:169], s[18:19], v[154:155], v[154:155], v[152:153]
	v_rcp_f64_e32 v[170:171], v[168:169]
	v_div_scale_f64 v[172:173], vcc, v[152:153], v[154:155], v[152:153]
	v_fma_f64 v[174:175], -v[168:169], v[170:171], 1.0
	v_fmac_f64_e32 v[170:171], v[170:171], v[174:175]
	v_fma_f64 v[174:175], -v[168:169], v[170:171], 1.0
	v_fmac_f64_e32 v[170:171], v[170:171], v[174:175]
	v_mul_f64 v[174:175], v[172:173], v[170:171]
	v_fma_f64 v[168:169], -v[168:169], v[174:175], v[172:173]
	v_div_fmas_f64 v[168:169], v[168:169], v[170:171], v[174:175]
	v_div_fixup_f64 v[168:169], v[168:169], v[154:155], v[152:153]
	v_fmac_f64_e32 v[154:155], v[152:153], v[168:169]
	v_div_scale_f64 v[152:153], s[18:19], v[154:155], v[154:155], 1.0
	v_rcp_f64_e32 v[170:171], v[152:153]
	s_nop 0
	v_fma_f64 v[172:173], -v[152:153], v[170:171], 1.0
	v_fmac_f64_e32 v[170:171], v[170:171], v[172:173]
	v_fma_f64 v[172:173], -v[152:153], v[170:171], 1.0
	v_fmac_f64_e32 v[170:171], v[170:171], v[172:173]
	v_div_scale_f64 v[172:173], vcc, 1.0, v[154:155], 1.0
	v_mul_f64 v[174:175], v[172:173], v[170:171]
	v_fma_f64 v[152:153], -v[152:153], v[174:175], v[172:173]
	s_nop 1
	v_div_fmas_f64 v[152:153], v[152:153], v[170:171], v[174:175]
	v_div_fixup_f64 v[154:155], v[152:153], v[154:155], 1.0
	v_mul_f64 v[152:153], v[168:169], v[154:155]
	v_xor_b32_e32 v155, 0x80000000, v155
.LBB74_553:
	s_andn2_saveexec_b64 s[16:17], s[16:17]
	s_cbranch_execz .LBB74_555
; %bb.554:
	v_div_scale_f64 v[168:169], s[18:19], v[152:153], v[152:153], v[154:155]
	v_rcp_f64_e32 v[170:171], v[168:169]
	v_div_scale_f64 v[172:173], vcc, v[154:155], v[152:153], v[154:155]
	v_fma_f64 v[174:175], -v[168:169], v[170:171], 1.0
	v_fmac_f64_e32 v[170:171], v[170:171], v[174:175]
	v_fma_f64 v[174:175], -v[168:169], v[170:171], 1.0
	v_fmac_f64_e32 v[170:171], v[170:171], v[174:175]
	v_mul_f64 v[174:175], v[172:173], v[170:171]
	v_fma_f64 v[168:169], -v[168:169], v[174:175], v[172:173]
	v_div_fmas_f64 v[168:169], v[168:169], v[170:171], v[174:175]
	v_div_fixup_f64 v[168:169], v[168:169], v[152:153], v[154:155]
	v_fmac_f64_e32 v[152:153], v[154:155], v[168:169]
	v_div_scale_f64 v[154:155], s[18:19], v[152:153], v[152:153], 1.0
	v_rcp_f64_e32 v[170:171], v[154:155]
	s_nop 0
	v_fma_f64 v[172:173], -v[154:155], v[170:171], 1.0
	v_fmac_f64_e32 v[170:171], v[170:171], v[172:173]
	v_fma_f64 v[172:173], -v[154:155], v[170:171], 1.0
	v_fmac_f64_e32 v[170:171], v[170:171], v[172:173]
	v_div_scale_f64 v[172:173], vcc, 1.0, v[152:153], 1.0
	v_mul_f64 v[174:175], v[172:173], v[170:171]
	v_fma_f64 v[154:155], -v[154:155], v[174:175], v[172:173]
	s_nop 1
	v_div_fmas_f64 v[154:155], v[154:155], v[170:171], v[174:175]
	v_div_fixup_f64 v[152:153], v[154:155], v[152:153], 1.0
	v_mul_f64 v[154:155], v[168:169], -v[152:153]
.LBB74_555:
	s_or_b64 exec, exec, s[16:17]
.LBB74_556:
	s_or_b64 exec, exec, s[0:1]
	v_cmp_ne_u32_e32 vcc, v165, v162
	s_and_saveexec_b64 s[0:1], vcc
	s_xor_b64 s[0:1], exec, s[0:1]
	s_cbranch_execz .LBB74_562
; %bb.557:
	v_cmp_eq_u32_e32 vcc, 26, v165
	s_and_saveexec_b64 s[16:17], vcc
	s_cbranch_execz .LBB74_561
; %bb.558:
	v_cmp_ne_u32_e32 vcc, 26, v162
	s_xor_b64 s[18:19], s[14:15], -1
	s_and_b64 s[22:23], s[18:19], vcc
	s_and_saveexec_b64 s[18:19], s[22:23]
	s_cbranch_execz .LBB74_560
; %bb.559:
	v_ashrrev_i32_e32 v163, 31, v162
	v_lshl_add_u64 v[168:169], v[162:163], 2, v[160:161]
	global_load_dword v163, v[168:169], off
	global_load_dword v165, v[160:161], off offset:104
	s_waitcnt vmcnt(1)
	global_store_dword v[160:161], v163, off offset:104
	s_waitcnt vmcnt(1)
	global_store_dword v[168:169], v165, off
.LBB74_560:
	s_or_b64 exec, exec, s[18:19]
	v_mov_b32_e32 v165, v162
	v_mov_b32_e32 v167, v162
.LBB74_561:
	s_or_b64 exec, exec, s[16:17]
.LBB74_562:
	s_andn2_saveexec_b64 s[0:1], s[0:1]
	s_cbranch_execz .LBB74_564
; %bb.563:
	v_mov_b32_e32 v165, 26
	s_waitcnt vmcnt(10)
	ds_write2_b64 v164, v[36:37], v[38:39] offset0:54 offset1:55
	s_waitcnt vmcnt(9)
	ds_write2_b64 v164, v[32:33], v[34:35] offset0:56 offset1:57
	;; [unrolled: 2-line block ×11, first 2 shown]
.LBB74_564:
	s_or_b64 exec, exec, s[0:1]
	v_cmp_lt_i32_e32 vcc, 26, v165
	s_waitcnt lgkmcnt(0)
	s_barrier
	s_and_saveexec_b64 s[0:1], vcc
	s_cbranch_execz .LBB74_566
; %bb.565:
	ds_read2_b64 v[168:171], v164 offset0:54 offset1:55
	v_mul_f64 v[162:163], v[152:153], v[42:43]
	v_fmac_f64_e32 v[162:163], v[154:155], v[40:41]
	v_mul_f64 v[42:43], v[154:155], v[42:43]
	v_fma_f64 v[40:41], v[152:153], v[40:41], -v[42:43]
	ds_read2_b64 v[152:155], v164 offset0:56 offset1:57
	s_waitcnt lgkmcnt(1)
	v_mul_f64 v[42:43], v[170:171], v[162:163]
	v_fma_f64 v[42:43], v[168:169], v[40:41], -v[42:43]
	v_mul_f64 v[168:169], v[168:169], v[162:163]
	v_fmac_f64_e32 v[168:169], v[170:171], v[40:41]
	s_waitcnt vmcnt(10)
	v_add_f64 v[38:39], v[38:39], -v[168:169]
	ds_read2_b64 v[168:171], v164 offset0:58 offset1:59
	v_add_f64 v[36:37], v[36:37], -v[42:43]
	s_waitcnt lgkmcnt(1)
	v_mul_f64 v[42:43], v[154:155], v[162:163]
	v_fma_f64 v[42:43], v[152:153], v[40:41], -v[42:43]
	v_mul_f64 v[152:153], v[152:153], v[162:163]
	v_fmac_f64_e32 v[152:153], v[154:155], v[40:41]
	s_waitcnt vmcnt(9)
	v_add_f64 v[32:33], v[32:33], -v[42:43]
	v_add_f64 v[34:35], v[34:35], -v[152:153]
	ds_read2_b64 v[152:155], v164 offset0:60 offset1:61
	s_waitcnt lgkmcnt(1)
	v_mul_f64 v[42:43], v[170:171], v[162:163]
	v_fma_f64 v[42:43], v[168:169], v[40:41], -v[42:43]
	v_mul_f64 v[168:169], v[168:169], v[162:163]
	v_fmac_f64_e32 v[168:169], v[170:171], v[40:41]
	s_waitcnt vmcnt(8)
	v_add_f64 v[30:31], v[30:31], -v[168:169]
	ds_read2_b64 v[168:171], v164 offset0:62 offset1:63
	v_add_f64 v[28:29], v[28:29], -v[42:43]
	s_waitcnt lgkmcnt(1)
	v_mul_f64 v[42:43], v[154:155], v[162:163]
	v_fma_f64 v[42:43], v[152:153], v[40:41], -v[42:43]
	v_mul_f64 v[152:153], v[152:153], v[162:163]
	v_fmac_f64_e32 v[152:153], v[154:155], v[40:41]
	s_waitcnt vmcnt(7)
	v_add_f64 v[24:25], v[24:25], -v[42:43]
	v_add_f64 v[26:27], v[26:27], -v[152:153]
	;; [unrolled: 18-line block ×5, first 2 shown]
	s_waitcnt lgkmcnt(0)
	v_mul_f64 v[42:43], v[170:171], v[162:163]
	v_mul_f64 v[152:153], v[168:169], v[162:163]
	v_fma_f64 v[42:43], v[168:169], v[40:41], -v[42:43]
	v_fmac_f64_e32 v[152:153], v[170:171], v[40:41]
	s_waitcnt vmcnt(0)
	v_add_f64 v[148:149], v[148:149], -v[42:43]
	v_add_f64 v[150:151], v[150:151], -v[152:153]
	v_mov_b64_e32 v[42:43], v[162:163]
.LBB74_566:
	s_or_b64 exec, exec, s[0:1]
	v_lshl_add_u32 v152, v165, 4, v164
	s_barrier
	s_waitcnt vmcnt(10)
	ds_write2_b64 v152, v[36:37], v[38:39] offset1:1
	s_waitcnt lgkmcnt(0)
	s_barrier
	ds_read2_b64 v[152:155], v164 offset0:54 offset1:55
	s_cmp_lt_i32 s20, 29
	v_mov_b32_e32 v162, 27
	s_cbranch_scc1 .LBB74_569
; %bb.567:
	v_add_u32_e32 v163, 0x1c0, v164
	s_mov_b32 s16, 28
	v_mov_b32_e32 v162, 27
.LBB74_568:                             ; =>This Inner Loop Header: Depth=1
	ds_read2_b64 v[168:171], v163 offset1:1
	s_waitcnt lgkmcnt(1)
	v_xor_b32_e32 v173, 0x80000000, v153
	v_xor_b32_e32 v175, 0x80000000, v155
	v_cmp_gt_f64_e32 vcc, 0, v[154:155]
	v_cmp_gt_f64_e64 s[0:1], 0, v[152:153]
	v_mov_b32_e32 v172, v152
	v_mov_b32_e32 v174, v154
	v_cndmask_b32_e64 v173, v153, v173, s[0:1]
	v_cndmask_b32_e32 v175, v155, v175, vcc
	v_add_f64 v[172:173], v[172:173], v[174:175]
	s_waitcnt lgkmcnt(0)
	v_xor_b32_e32 v175, 0x80000000, v169
	v_xor_b32_e32 v177, 0x80000000, v171
	v_cmp_gt_f64_e32 vcc, 0, v[170:171]
	v_cmp_gt_f64_e64 s[0:1], 0, v[168:169]
	v_mov_b32_e32 v174, v168
	v_mov_b32_e32 v176, v170
	v_cndmask_b32_e64 v175, v169, v175, s[0:1]
	v_cndmask_b32_e32 v177, v171, v177, vcc
	v_add_f64 v[174:175], v[174:175], v[176:177]
	v_mov_b32_e32 v178, s16
	s_add_i32 s16, s16, 1
	v_cmp_lt_f64_e32 vcc, v[172:173], v[174:175]
	v_add_u32_e32 v163, 16, v163
	s_cmp_lg_u32 s20, s16
	v_cndmask_b32_e32 v153, v153, v169, vcc
	v_cndmask_b32_e32 v152, v152, v168, vcc
	;; [unrolled: 1-line block ×5, first 2 shown]
	s_cbranch_scc1 .LBB74_568
.LBB74_569:
	s_waitcnt lgkmcnt(0)
	v_cmp_eq_f64_e32 vcc, 0, v[152:153]
	v_cmp_eq_f64_e64 s[0:1], 0, v[154:155]
	s_and_b64 s[0:1], vcc, s[0:1]
	s_and_saveexec_b64 s[16:17], s[0:1]
	s_xor_b64 s[0:1], exec, s[16:17]
; %bb.570:
	v_cmp_ne_u32_e32 vcc, 0, v166
	s_nop 1
	v_cndmask_b32_e32 v166, 28, v166, vcc
; %bb.571:
	s_andn2_saveexec_b64 s[0:1], s[0:1]
	s_cbranch_execz .LBB74_577
; %bb.572:
	v_cmp_ngt_f64_e64 s[16:17], |v[152:153]|, |v[154:155]|
	s_and_saveexec_b64 s[18:19], s[16:17]
	s_xor_b64 s[16:17], exec, s[18:19]
	s_cbranch_execz .LBB74_574
; %bb.573:
	v_div_scale_f64 v[168:169], s[18:19], v[154:155], v[154:155], v[152:153]
	v_rcp_f64_e32 v[170:171], v[168:169]
	v_div_scale_f64 v[172:173], vcc, v[152:153], v[154:155], v[152:153]
	v_fma_f64 v[174:175], -v[168:169], v[170:171], 1.0
	v_fmac_f64_e32 v[170:171], v[170:171], v[174:175]
	v_fma_f64 v[174:175], -v[168:169], v[170:171], 1.0
	v_fmac_f64_e32 v[170:171], v[170:171], v[174:175]
	v_mul_f64 v[174:175], v[172:173], v[170:171]
	v_fma_f64 v[168:169], -v[168:169], v[174:175], v[172:173]
	v_div_fmas_f64 v[168:169], v[168:169], v[170:171], v[174:175]
	v_div_fixup_f64 v[168:169], v[168:169], v[154:155], v[152:153]
	v_fmac_f64_e32 v[154:155], v[152:153], v[168:169]
	v_div_scale_f64 v[152:153], s[18:19], v[154:155], v[154:155], 1.0
	v_rcp_f64_e32 v[170:171], v[152:153]
	s_nop 0
	v_fma_f64 v[172:173], -v[152:153], v[170:171], 1.0
	v_fmac_f64_e32 v[170:171], v[170:171], v[172:173]
	v_fma_f64 v[172:173], -v[152:153], v[170:171], 1.0
	v_fmac_f64_e32 v[170:171], v[170:171], v[172:173]
	v_div_scale_f64 v[172:173], vcc, 1.0, v[154:155], 1.0
	v_mul_f64 v[174:175], v[172:173], v[170:171]
	v_fma_f64 v[152:153], -v[152:153], v[174:175], v[172:173]
	s_nop 1
	v_div_fmas_f64 v[152:153], v[152:153], v[170:171], v[174:175]
	v_div_fixup_f64 v[154:155], v[152:153], v[154:155], 1.0
	v_mul_f64 v[152:153], v[168:169], v[154:155]
	v_xor_b32_e32 v155, 0x80000000, v155
.LBB74_574:
	s_andn2_saveexec_b64 s[16:17], s[16:17]
	s_cbranch_execz .LBB74_576
; %bb.575:
	v_div_scale_f64 v[168:169], s[18:19], v[152:153], v[152:153], v[154:155]
	v_rcp_f64_e32 v[170:171], v[168:169]
	v_div_scale_f64 v[172:173], vcc, v[154:155], v[152:153], v[154:155]
	v_fma_f64 v[174:175], -v[168:169], v[170:171], 1.0
	v_fmac_f64_e32 v[170:171], v[170:171], v[174:175]
	v_fma_f64 v[174:175], -v[168:169], v[170:171], 1.0
	v_fmac_f64_e32 v[170:171], v[170:171], v[174:175]
	v_mul_f64 v[174:175], v[172:173], v[170:171]
	v_fma_f64 v[168:169], -v[168:169], v[174:175], v[172:173]
	v_div_fmas_f64 v[168:169], v[168:169], v[170:171], v[174:175]
	v_div_fixup_f64 v[168:169], v[168:169], v[152:153], v[154:155]
	v_fmac_f64_e32 v[152:153], v[154:155], v[168:169]
	v_div_scale_f64 v[154:155], s[18:19], v[152:153], v[152:153], 1.0
	v_rcp_f64_e32 v[170:171], v[154:155]
	s_nop 0
	v_fma_f64 v[172:173], -v[154:155], v[170:171], 1.0
	v_fmac_f64_e32 v[170:171], v[170:171], v[172:173]
	v_fma_f64 v[172:173], -v[154:155], v[170:171], 1.0
	v_fmac_f64_e32 v[170:171], v[170:171], v[172:173]
	v_div_scale_f64 v[172:173], vcc, 1.0, v[152:153], 1.0
	v_mul_f64 v[174:175], v[172:173], v[170:171]
	v_fma_f64 v[154:155], -v[154:155], v[174:175], v[172:173]
	s_nop 1
	v_div_fmas_f64 v[154:155], v[154:155], v[170:171], v[174:175]
	v_div_fixup_f64 v[152:153], v[154:155], v[152:153], 1.0
	v_mul_f64 v[154:155], v[168:169], -v[152:153]
.LBB74_576:
	s_or_b64 exec, exec, s[16:17]
.LBB74_577:
	s_or_b64 exec, exec, s[0:1]
	v_cmp_ne_u32_e32 vcc, v165, v162
	s_and_saveexec_b64 s[0:1], vcc
	s_xor_b64 s[0:1], exec, s[0:1]
	s_cbranch_execz .LBB74_583
; %bb.578:
	v_cmp_eq_u32_e32 vcc, 27, v165
	s_and_saveexec_b64 s[16:17], vcc
	s_cbranch_execz .LBB74_582
; %bb.579:
	v_cmp_ne_u32_e32 vcc, 27, v162
	s_xor_b64 s[18:19], s[14:15], -1
	s_and_b64 s[22:23], s[18:19], vcc
	s_and_saveexec_b64 s[18:19], s[22:23]
	s_cbranch_execz .LBB74_581
; %bb.580:
	v_ashrrev_i32_e32 v163, 31, v162
	v_lshl_add_u64 v[168:169], v[162:163], 2, v[160:161]
	global_load_dword v163, v[168:169], off
	global_load_dword v165, v[160:161], off offset:108
	s_waitcnt vmcnt(1)
	global_store_dword v[160:161], v163, off offset:108
	s_waitcnt vmcnt(1)
	global_store_dword v[168:169], v165, off
.LBB74_581:
	s_or_b64 exec, exec, s[18:19]
	v_mov_b32_e32 v165, v162
	v_mov_b32_e32 v167, v162
.LBB74_582:
	s_or_b64 exec, exec, s[16:17]
.LBB74_583:
	s_andn2_saveexec_b64 s[0:1], s[0:1]
	s_cbranch_execz .LBB74_585
; %bb.584:
	v_mov_b32_e32 v165, 27
	s_waitcnt vmcnt(9)
	ds_write2_b64 v164, v[32:33], v[34:35] offset0:56 offset1:57
	s_waitcnt vmcnt(8)
	ds_write2_b64 v164, v[28:29], v[30:31] offset0:58 offset1:59
	;; [unrolled: 2-line block ×10, first 2 shown]
.LBB74_585:
	s_or_b64 exec, exec, s[0:1]
	v_cmp_lt_i32_e32 vcc, 27, v165
	s_waitcnt lgkmcnt(0)
	s_barrier
	s_and_saveexec_b64 s[0:1], vcc
	s_cbranch_execz .LBB74_587
; %bb.586:
	ds_read2_b64 v[168:171], v164 offset0:56 offset1:57
	v_mul_f64 v[162:163], v[152:153], v[38:39]
	v_mul_f64 v[38:39], v[154:155], v[38:39]
	v_fmac_f64_e32 v[162:163], v[154:155], v[36:37]
	v_fma_f64 v[36:37], v[152:153], v[36:37], -v[38:39]
	ds_read2_b64 v[152:155], v164 offset0:58 offset1:59
	s_waitcnt lgkmcnt(1)
	v_mul_f64 v[38:39], v[170:171], v[162:163]
	v_fma_f64 v[38:39], v[168:169], v[36:37], -v[38:39]
	v_mul_f64 v[168:169], v[168:169], v[162:163]
	v_fmac_f64_e32 v[168:169], v[170:171], v[36:37]
	s_waitcnt vmcnt(9)
	v_add_f64 v[32:33], v[32:33], -v[38:39]
	s_waitcnt lgkmcnt(0)
	v_mul_f64 v[38:39], v[154:155], v[162:163]
	v_add_f64 v[34:35], v[34:35], -v[168:169]
	v_fma_f64 v[38:39], v[152:153], v[36:37], -v[38:39]
	v_mul_f64 v[152:153], v[152:153], v[162:163]
	ds_read2_b64 v[168:171], v164 offset0:60 offset1:61
	v_fmac_f64_e32 v[152:153], v[154:155], v[36:37]
	s_waitcnt vmcnt(8)
	v_add_f64 v[30:31], v[30:31], -v[152:153]
	ds_read2_b64 v[152:155], v164 offset0:62 offset1:63
	v_add_f64 v[28:29], v[28:29], -v[38:39]
	s_waitcnt lgkmcnt(1)
	v_mul_f64 v[38:39], v[170:171], v[162:163]
	v_fma_f64 v[38:39], v[168:169], v[36:37], -v[38:39]
	v_mul_f64 v[168:169], v[168:169], v[162:163]
	v_fmac_f64_e32 v[168:169], v[170:171], v[36:37]
	s_waitcnt vmcnt(7)
	v_add_f64 v[24:25], v[24:25], -v[38:39]
	s_waitcnt lgkmcnt(0)
	v_mul_f64 v[38:39], v[154:155], v[162:163]
	v_add_f64 v[26:27], v[26:27], -v[168:169]
	v_fma_f64 v[38:39], v[152:153], v[36:37], -v[38:39]
	v_mul_f64 v[152:153], v[152:153], v[162:163]
	ds_read2_b64 v[168:171], v164 offset0:64 offset1:65
	v_fmac_f64_e32 v[152:153], v[154:155], v[36:37]
	s_waitcnt vmcnt(6)
	v_add_f64 v[22:23], v[22:23], -v[152:153]
	ds_read2_b64 v[152:155], v164 offset0:66 offset1:67
	v_add_f64 v[20:21], v[20:21], -v[38:39]
	;; [unrolled: 18-line block ×4, first 2 shown]
	s_waitcnt lgkmcnt(1)
	v_mul_f64 v[38:39], v[170:171], v[162:163]
	v_fma_f64 v[38:39], v[168:169], v[36:37], -v[38:39]
	s_waitcnt vmcnt(1)
	v_add_f64 v[0:1], v[0:1], -v[38:39]
	s_waitcnt lgkmcnt(0)
	v_mul_f64 v[38:39], v[154:155], v[162:163]
	v_mul_f64 v[168:169], v[168:169], v[162:163]
	v_fma_f64 v[38:39], v[152:153], v[36:37], -v[38:39]
	v_mul_f64 v[152:153], v[152:153], v[162:163]
	v_fmac_f64_e32 v[168:169], v[170:171], v[36:37]
	v_fmac_f64_e32 v[152:153], v[154:155], v[36:37]
	v_add_f64 v[2:3], v[2:3], -v[168:169]
	s_waitcnt vmcnt(0)
	v_add_f64 v[148:149], v[148:149], -v[38:39]
	v_add_f64 v[150:151], v[150:151], -v[152:153]
	v_mov_b64_e32 v[38:39], v[162:163]
.LBB74_587:
	s_or_b64 exec, exec, s[0:1]
	v_lshl_add_u32 v152, v165, 4, v164
	s_barrier
	s_waitcnt vmcnt(9)
	ds_write2_b64 v152, v[32:33], v[34:35] offset1:1
	s_waitcnt lgkmcnt(0)
	s_barrier
	ds_read2_b64 v[152:155], v164 offset0:56 offset1:57
	s_cmp_lt_i32 s20, 30
	v_mov_b32_e32 v162, 28
	s_cbranch_scc1 .LBB74_590
; %bb.588:
	v_add_u32_e32 v163, 0x1d0, v164
	s_mov_b32 s16, 29
	v_mov_b32_e32 v162, 28
.LBB74_589:                             ; =>This Inner Loop Header: Depth=1
	ds_read2_b64 v[168:171], v163 offset1:1
	s_waitcnt lgkmcnt(1)
	v_xor_b32_e32 v173, 0x80000000, v153
	v_xor_b32_e32 v175, 0x80000000, v155
	v_cmp_gt_f64_e32 vcc, 0, v[154:155]
	v_cmp_gt_f64_e64 s[0:1], 0, v[152:153]
	v_mov_b32_e32 v172, v152
	v_mov_b32_e32 v174, v154
	v_cndmask_b32_e64 v173, v153, v173, s[0:1]
	v_cndmask_b32_e32 v175, v155, v175, vcc
	v_add_f64 v[172:173], v[172:173], v[174:175]
	s_waitcnt lgkmcnt(0)
	v_xor_b32_e32 v175, 0x80000000, v169
	v_xor_b32_e32 v177, 0x80000000, v171
	v_cmp_gt_f64_e32 vcc, 0, v[170:171]
	v_cmp_gt_f64_e64 s[0:1], 0, v[168:169]
	v_mov_b32_e32 v174, v168
	v_mov_b32_e32 v176, v170
	v_cndmask_b32_e64 v175, v169, v175, s[0:1]
	v_cndmask_b32_e32 v177, v171, v177, vcc
	v_add_f64 v[174:175], v[174:175], v[176:177]
	v_mov_b32_e32 v178, s16
	s_add_i32 s16, s16, 1
	v_cmp_lt_f64_e32 vcc, v[172:173], v[174:175]
	v_add_u32_e32 v163, 16, v163
	s_cmp_lg_u32 s20, s16
	v_cndmask_b32_e32 v153, v153, v169, vcc
	v_cndmask_b32_e32 v152, v152, v168, vcc
	;; [unrolled: 1-line block ×5, first 2 shown]
	s_cbranch_scc1 .LBB74_589
.LBB74_590:
	s_waitcnt lgkmcnt(0)
	v_cmp_eq_f64_e32 vcc, 0, v[152:153]
	v_cmp_eq_f64_e64 s[0:1], 0, v[154:155]
	s_and_b64 s[0:1], vcc, s[0:1]
	s_and_saveexec_b64 s[16:17], s[0:1]
	s_xor_b64 s[0:1], exec, s[16:17]
; %bb.591:
	v_cmp_ne_u32_e32 vcc, 0, v166
	s_nop 1
	v_cndmask_b32_e32 v166, 29, v166, vcc
; %bb.592:
	s_andn2_saveexec_b64 s[0:1], s[0:1]
	s_cbranch_execz .LBB74_598
; %bb.593:
	v_cmp_ngt_f64_e64 s[16:17], |v[152:153]|, |v[154:155]|
	s_and_saveexec_b64 s[18:19], s[16:17]
	s_xor_b64 s[16:17], exec, s[18:19]
	s_cbranch_execz .LBB74_595
; %bb.594:
	v_div_scale_f64 v[168:169], s[18:19], v[154:155], v[154:155], v[152:153]
	v_rcp_f64_e32 v[170:171], v[168:169]
	v_div_scale_f64 v[172:173], vcc, v[152:153], v[154:155], v[152:153]
	v_fma_f64 v[174:175], -v[168:169], v[170:171], 1.0
	v_fmac_f64_e32 v[170:171], v[170:171], v[174:175]
	v_fma_f64 v[174:175], -v[168:169], v[170:171], 1.0
	v_fmac_f64_e32 v[170:171], v[170:171], v[174:175]
	v_mul_f64 v[174:175], v[172:173], v[170:171]
	v_fma_f64 v[168:169], -v[168:169], v[174:175], v[172:173]
	v_div_fmas_f64 v[168:169], v[168:169], v[170:171], v[174:175]
	v_div_fixup_f64 v[168:169], v[168:169], v[154:155], v[152:153]
	v_fmac_f64_e32 v[154:155], v[152:153], v[168:169]
	v_div_scale_f64 v[152:153], s[18:19], v[154:155], v[154:155], 1.0
	v_rcp_f64_e32 v[170:171], v[152:153]
	s_nop 0
	v_fma_f64 v[172:173], -v[152:153], v[170:171], 1.0
	v_fmac_f64_e32 v[170:171], v[170:171], v[172:173]
	v_fma_f64 v[172:173], -v[152:153], v[170:171], 1.0
	v_fmac_f64_e32 v[170:171], v[170:171], v[172:173]
	v_div_scale_f64 v[172:173], vcc, 1.0, v[154:155], 1.0
	v_mul_f64 v[174:175], v[172:173], v[170:171]
	v_fma_f64 v[152:153], -v[152:153], v[174:175], v[172:173]
	s_nop 1
	v_div_fmas_f64 v[152:153], v[152:153], v[170:171], v[174:175]
	v_div_fixup_f64 v[154:155], v[152:153], v[154:155], 1.0
	v_mul_f64 v[152:153], v[168:169], v[154:155]
	v_xor_b32_e32 v155, 0x80000000, v155
.LBB74_595:
	s_andn2_saveexec_b64 s[16:17], s[16:17]
	s_cbranch_execz .LBB74_597
; %bb.596:
	v_div_scale_f64 v[168:169], s[18:19], v[152:153], v[152:153], v[154:155]
	v_rcp_f64_e32 v[170:171], v[168:169]
	v_div_scale_f64 v[172:173], vcc, v[154:155], v[152:153], v[154:155]
	v_fma_f64 v[174:175], -v[168:169], v[170:171], 1.0
	v_fmac_f64_e32 v[170:171], v[170:171], v[174:175]
	v_fma_f64 v[174:175], -v[168:169], v[170:171], 1.0
	v_fmac_f64_e32 v[170:171], v[170:171], v[174:175]
	v_mul_f64 v[174:175], v[172:173], v[170:171]
	v_fma_f64 v[168:169], -v[168:169], v[174:175], v[172:173]
	v_div_fmas_f64 v[168:169], v[168:169], v[170:171], v[174:175]
	v_div_fixup_f64 v[168:169], v[168:169], v[152:153], v[154:155]
	v_fmac_f64_e32 v[152:153], v[154:155], v[168:169]
	v_div_scale_f64 v[154:155], s[18:19], v[152:153], v[152:153], 1.0
	v_rcp_f64_e32 v[170:171], v[154:155]
	s_nop 0
	v_fma_f64 v[172:173], -v[154:155], v[170:171], 1.0
	v_fmac_f64_e32 v[170:171], v[170:171], v[172:173]
	v_fma_f64 v[172:173], -v[154:155], v[170:171], 1.0
	v_fmac_f64_e32 v[170:171], v[170:171], v[172:173]
	v_div_scale_f64 v[172:173], vcc, 1.0, v[152:153], 1.0
	v_mul_f64 v[174:175], v[172:173], v[170:171]
	v_fma_f64 v[154:155], -v[154:155], v[174:175], v[172:173]
	s_nop 1
	v_div_fmas_f64 v[154:155], v[154:155], v[170:171], v[174:175]
	v_div_fixup_f64 v[152:153], v[154:155], v[152:153], 1.0
	v_mul_f64 v[154:155], v[168:169], -v[152:153]
.LBB74_597:
	s_or_b64 exec, exec, s[16:17]
.LBB74_598:
	s_or_b64 exec, exec, s[0:1]
	v_cmp_ne_u32_e32 vcc, v165, v162
	s_and_saveexec_b64 s[0:1], vcc
	s_xor_b64 s[0:1], exec, s[0:1]
	s_cbranch_execz .LBB74_604
; %bb.599:
	v_cmp_eq_u32_e32 vcc, 28, v165
	s_and_saveexec_b64 s[16:17], vcc
	s_cbranch_execz .LBB74_603
; %bb.600:
	v_cmp_ne_u32_e32 vcc, 28, v162
	s_xor_b64 s[18:19], s[14:15], -1
	s_and_b64 s[22:23], s[18:19], vcc
	s_and_saveexec_b64 s[18:19], s[22:23]
	s_cbranch_execz .LBB74_602
; %bb.601:
	v_ashrrev_i32_e32 v163, 31, v162
	v_lshl_add_u64 v[168:169], v[162:163], 2, v[160:161]
	global_load_dword v163, v[168:169], off
	global_load_dword v165, v[160:161], off offset:112
	s_waitcnt vmcnt(1)
	global_store_dword v[160:161], v163, off offset:112
	s_waitcnt vmcnt(1)
	global_store_dword v[168:169], v165, off
.LBB74_602:
	s_or_b64 exec, exec, s[18:19]
	v_mov_b32_e32 v165, v162
	v_mov_b32_e32 v167, v162
.LBB74_603:
	s_or_b64 exec, exec, s[16:17]
.LBB74_604:
	s_andn2_saveexec_b64 s[0:1], s[0:1]
	s_cbranch_execz .LBB74_606
; %bb.605:
	v_mov_b32_e32 v165, 28
	s_waitcnt vmcnt(8)
	ds_write2_b64 v164, v[28:29], v[30:31] offset0:58 offset1:59
	s_waitcnt vmcnt(7)
	ds_write2_b64 v164, v[24:25], v[26:27] offset0:60 offset1:61
	;; [unrolled: 2-line block ×9, first 2 shown]
.LBB74_606:
	s_or_b64 exec, exec, s[0:1]
	v_cmp_lt_i32_e32 vcc, 28, v165
	s_waitcnt lgkmcnt(0)
	s_barrier
	s_and_saveexec_b64 s[0:1], vcc
	s_cbranch_execz .LBB74_608
; %bb.607:
	ds_read2_b64 v[168:171], v164 offset0:58 offset1:59
	v_mul_f64 v[162:163], v[152:153], v[34:35]
	v_fmac_f64_e32 v[162:163], v[154:155], v[32:33]
	v_mul_f64 v[34:35], v[154:155], v[34:35]
	v_fma_f64 v[32:33], v[152:153], v[32:33], -v[34:35]
	ds_read2_b64 v[152:155], v164 offset0:60 offset1:61
	s_waitcnt lgkmcnt(1)
	v_mul_f64 v[34:35], v[170:171], v[162:163]
	v_fma_f64 v[34:35], v[168:169], v[32:33], -v[34:35]
	v_mul_f64 v[168:169], v[168:169], v[162:163]
	v_fmac_f64_e32 v[168:169], v[170:171], v[32:33]
	s_waitcnt vmcnt(8)
	v_add_f64 v[30:31], v[30:31], -v[168:169]
	ds_read2_b64 v[168:171], v164 offset0:62 offset1:63
	v_add_f64 v[28:29], v[28:29], -v[34:35]
	s_waitcnt lgkmcnt(1)
	v_mul_f64 v[34:35], v[154:155], v[162:163]
	v_fma_f64 v[34:35], v[152:153], v[32:33], -v[34:35]
	v_mul_f64 v[152:153], v[152:153], v[162:163]
	v_fmac_f64_e32 v[152:153], v[154:155], v[32:33]
	s_waitcnt vmcnt(7)
	v_add_f64 v[24:25], v[24:25], -v[34:35]
	v_add_f64 v[26:27], v[26:27], -v[152:153]
	ds_read2_b64 v[152:155], v164 offset0:64 offset1:65
	s_waitcnt lgkmcnt(1)
	v_mul_f64 v[34:35], v[170:171], v[162:163]
	v_fma_f64 v[34:35], v[168:169], v[32:33], -v[34:35]
	v_mul_f64 v[168:169], v[168:169], v[162:163]
	v_fmac_f64_e32 v[168:169], v[170:171], v[32:33]
	s_waitcnt vmcnt(6)
	v_add_f64 v[22:23], v[22:23], -v[168:169]
	ds_read2_b64 v[168:171], v164 offset0:66 offset1:67
	v_add_f64 v[20:21], v[20:21], -v[34:35]
	s_waitcnt lgkmcnt(1)
	v_mul_f64 v[34:35], v[154:155], v[162:163]
	v_fma_f64 v[34:35], v[152:153], v[32:33], -v[34:35]
	v_mul_f64 v[152:153], v[152:153], v[162:163]
	v_fmac_f64_e32 v[152:153], v[154:155], v[32:33]
	s_waitcnt vmcnt(5)
	v_add_f64 v[16:17], v[16:17], -v[34:35]
	v_add_f64 v[18:19], v[18:19], -v[152:153]
	;; [unrolled: 18-line block ×4, first 2 shown]
	s_waitcnt lgkmcnt(0)
	v_mul_f64 v[34:35], v[170:171], v[162:163]
	v_mul_f64 v[152:153], v[168:169], v[162:163]
	v_fma_f64 v[34:35], v[168:169], v[32:33], -v[34:35]
	v_fmac_f64_e32 v[152:153], v[170:171], v[32:33]
	s_waitcnt vmcnt(0)
	v_add_f64 v[148:149], v[148:149], -v[34:35]
	v_add_f64 v[150:151], v[150:151], -v[152:153]
	v_mov_b64_e32 v[34:35], v[162:163]
.LBB74_608:
	s_or_b64 exec, exec, s[0:1]
	v_lshl_add_u32 v152, v165, 4, v164
	s_barrier
	s_waitcnt vmcnt(8)
	ds_write2_b64 v152, v[28:29], v[30:31] offset1:1
	s_waitcnt lgkmcnt(0)
	s_barrier
	ds_read2_b64 v[152:155], v164 offset0:58 offset1:59
	s_cmp_lt_i32 s20, 31
	v_mov_b32_e32 v162, 29
	s_cbranch_scc1 .LBB74_611
; %bb.609:
	v_add_u32_e32 v163, 0x1e0, v164
	s_mov_b32 s16, 30
	v_mov_b32_e32 v162, 29
.LBB74_610:                             ; =>This Inner Loop Header: Depth=1
	ds_read2_b64 v[168:171], v163 offset1:1
	s_waitcnt lgkmcnt(1)
	v_xor_b32_e32 v173, 0x80000000, v153
	v_xor_b32_e32 v175, 0x80000000, v155
	v_cmp_gt_f64_e32 vcc, 0, v[154:155]
	v_cmp_gt_f64_e64 s[0:1], 0, v[152:153]
	v_mov_b32_e32 v172, v152
	v_mov_b32_e32 v174, v154
	v_cndmask_b32_e64 v173, v153, v173, s[0:1]
	v_cndmask_b32_e32 v175, v155, v175, vcc
	v_add_f64 v[172:173], v[172:173], v[174:175]
	s_waitcnt lgkmcnt(0)
	v_xor_b32_e32 v175, 0x80000000, v169
	v_xor_b32_e32 v177, 0x80000000, v171
	v_cmp_gt_f64_e32 vcc, 0, v[170:171]
	v_cmp_gt_f64_e64 s[0:1], 0, v[168:169]
	v_mov_b32_e32 v174, v168
	v_mov_b32_e32 v176, v170
	v_cndmask_b32_e64 v175, v169, v175, s[0:1]
	v_cndmask_b32_e32 v177, v171, v177, vcc
	v_add_f64 v[174:175], v[174:175], v[176:177]
	v_mov_b32_e32 v178, s16
	s_add_i32 s16, s16, 1
	v_cmp_lt_f64_e32 vcc, v[172:173], v[174:175]
	v_add_u32_e32 v163, 16, v163
	s_cmp_lg_u32 s20, s16
	v_cndmask_b32_e32 v153, v153, v169, vcc
	v_cndmask_b32_e32 v152, v152, v168, vcc
	;; [unrolled: 1-line block ×5, first 2 shown]
	s_cbranch_scc1 .LBB74_610
.LBB74_611:
	s_waitcnt lgkmcnt(0)
	v_cmp_eq_f64_e32 vcc, 0, v[152:153]
	v_cmp_eq_f64_e64 s[0:1], 0, v[154:155]
	s_and_b64 s[0:1], vcc, s[0:1]
	s_and_saveexec_b64 s[16:17], s[0:1]
	s_xor_b64 s[0:1], exec, s[16:17]
; %bb.612:
	v_cmp_ne_u32_e32 vcc, 0, v166
	s_nop 1
	v_cndmask_b32_e32 v166, 30, v166, vcc
; %bb.613:
	s_andn2_saveexec_b64 s[0:1], s[0:1]
	s_cbranch_execz .LBB74_619
; %bb.614:
	v_cmp_ngt_f64_e64 s[16:17], |v[152:153]|, |v[154:155]|
	s_and_saveexec_b64 s[18:19], s[16:17]
	s_xor_b64 s[16:17], exec, s[18:19]
	s_cbranch_execz .LBB74_616
; %bb.615:
	v_div_scale_f64 v[168:169], s[18:19], v[154:155], v[154:155], v[152:153]
	v_rcp_f64_e32 v[170:171], v[168:169]
	v_div_scale_f64 v[172:173], vcc, v[152:153], v[154:155], v[152:153]
	v_fma_f64 v[174:175], -v[168:169], v[170:171], 1.0
	v_fmac_f64_e32 v[170:171], v[170:171], v[174:175]
	v_fma_f64 v[174:175], -v[168:169], v[170:171], 1.0
	v_fmac_f64_e32 v[170:171], v[170:171], v[174:175]
	v_mul_f64 v[174:175], v[172:173], v[170:171]
	v_fma_f64 v[168:169], -v[168:169], v[174:175], v[172:173]
	v_div_fmas_f64 v[168:169], v[168:169], v[170:171], v[174:175]
	v_div_fixup_f64 v[168:169], v[168:169], v[154:155], v[152:153]
	v_fmac_f64_e32 v[154:155], v[152:153], v[168:169]
	v_div_scale_f64 v[152:153], s[18:19], v[154:155], v[154:155], 1.0
	v_rcp_f64_e32 v[170:171], v[152:153]
	s_nop 0
	v_fma_f64 v[172:173], -v[152:153], v[170:171], 1.0
	v_fmac_f64_e32 v[170:171], v[170:171], v[172:173]
	v_fma_f64 v[172:173], -v[152:153], v[170:171], 1.0
	v_fmac_f64_e32 v[170:171], v[170:171], v[172:173]
	v_div_scale_f64 v[172:173], vcc, 1.0, v[154:155], 1.0
	v_mul_f64 v[174:175], v[172:173], v[170:171]
	v_fma_f64 v[152:153], -v[152:153], v[174:175], v[172:173]
	s_nop 1
	v_div_fmas_f64 v[152:153], v[152:153], v[170:171], v[174:175]
	v_div_fixup_f64 v[154:155], v[152:153], v[154:155], 1.0
	v_mul_f64 v[152:153], v[168:169], v[154:155]
	v_xor_b32_e32 v155, 0x80000000, v155
.LBB74_616:
	s_andn2_saveexec_b64 s[16:17], s[16:17]
	s_cbranch_execz .LBB74_618
; %bb.617:
	v_div_scale_f64 v[168:169], s[18:19], v[152:153], v[152:153], v[154:155]
	v_rcp_f64_e32 v[170:171], v[168:169]
	v_div_scale_f64 v[172:173], vcc, v[154:155], v[152:153], v[154:155]
	v_fma_f64 v[174:175], -v[168:169], v[170:171], 1.0
	v_fmac_f64_e32 v[170:171], v[170:171], v[174:175]
	v_fma_f64 v[174:175], -v[168:169], v[170:171], 1.0
	v_fmac_f64_e32 v[170:171], v[170:171], v[174:175]
	v_mul_f64 v[174:175], v[172:173], v[170:171]
	v_fma_f64 v[168:169], -v[168:169], v[174:175], v[172:173]
	v_div_fmas_f64 v[168:169], v[168:169], v[170:171], v[174:175]
	v_div_fixup_f64 v[168:169], v[168:169], v[152:153], v[154:155]
	v_fmac_f64_e32 v[152:153], v[154:155], v[168:169]
	v_div_scale_f64 v[154:155], s[18:19], v[152:153], v[152:153], 1.0
	v_rcp_f64_e32 v[170:171], v[154:155]
	s_nop 0
	v_fma_f64 v[172:173], -v[154:155], v[170:171], 1.0
	v_fmac_f64_e32 v[170:171], v[170:171], v[172:173]
	v_fma_f64 v[172:173], -v[154:155], v[170:171], 1.0
	v_fmac_f64_e32 v[170:171], v[170:171], v[172:173]
	v_div_scale_f64 v[172:173], vcc, 1.0, v[152:153], 1.0
	v_mul_f64 v[174:175], v[172:173], v[170:171]
	v_fma_f64 v[154:155], -v[154:155], v[174:175], v[172:173]
	s_nop 1
	v_div_fmas_f64 v[154:155], v[154:155], v[170:171], v[174:175]
	v_div_fixup_f64 v[152:153], v[154:155], v[152:153], 1.0
	v_mul_f64 v[154:155], v[168:169], -v[152:153]
.LBB74_618:
	s_or_b64 exec, exec, s[16:17]
.LBB74_619:
	s_or_b64 exec, exec, s[0:1]
	v_cmp_ne_u32_e32 vcc, v165, v162
	s_and_saveexec_b64 s[0:1], vcc
	s_xor_b64 s[0:1], exec, s[0:1]
	s_cbranch_execz .LBB74_625
; %bb.620:
	v_cmp_eq_u32_e32 vcc, 29, v165
	s_and_saveexec_b64 s[16:17], vcc
	s_cbranch_execz .LBB74_624
; %bb.621:
	v_cmp_ne_u32_e32 vcc, 29, v162
	s_xor_b64 s[18:19], s[14:15], -1
	s_and_b64 s[22:23], s[18:19], vcc
	s_and_saveexec_b64 s[18:19], s[22:23]
	s_cbranch_execz .LBB74_623
; %bb.622:
	v_ashrrev_i32_e32 v163, 31, v162
	v_lshl_add_u64 v[168:169], v[162:163], 2, v[160:161]
	global_load_dword v163, v[168:169], off
	global_load_dword v165, v[160:161], off offset:116
	s_waitcnt vmcnt(1)
	global_store_dword v[160:161], v163, off offset:116
	s_waitcnt vmcnt(1)
	global_store_dword v[168:169], v165, off
.LBB74_623:
	s_or_b64 exec, exec, s[18:19]
	v_mov_b32_e32 v165, v162
	v_mov_b32_e32 v167, v162
.LBB74_624:
	s_or_b64 exec, exec, s[16:17]
.LBB74_625:
	s_andn2_saveexec_b64 s[0:1], s[0:1]
	s_cbranch_execz .LBB74_627
; %bb.626:
	v_mov_b32_e32 v165, 29
	s_waitcnt vmcnt(7)
	ds_write2_b64 v164, v[24:25], v[26:27] offset0:60 offset1:61
	s_waitcnt vmcnt(6)
	ds_write2_b64 v164, v[20:21], v[22:23] offset0:62 offset1:63
	;; [unrolled: 2-line block ×8, first 2 shown]
.LBB74_627:
	s_or_b64 exec, exec, s[0:1]
	v_cmp_lt_i32_e32 vcc, 29, v165
	s_waitcnt lgkmcnt(0)
	s_barrier
	s_and_saveexec_b64 s[0:1], vcc
	s_cbranch_execz .LBB74_629
; %bb.628:
	ds_read2_b64 v[168:171], v164 offset0:60 offset1:61
	v_mul_f64 v[162:163], v[152:153], v[30:31]
	v_mul_f64 v[30:31], v[154:155], v[30:31]
	v_fmac_f64_e32 v[162:163], v[154:155], v[28:29]
	v_fma_f64 v[28:29], v[152:153], v[28:29], -v[30:31]
	ds_read2_b64 v[152:155], v164 offset0:62 offset1:63
	s_waitcnt lgkmcnt(1)
	v_mul_f64 v[30:31], v[170:171], v[162:163]
	v_fma_f64 v[30:31], v[168:169], v[28:29], -v[30:31]
	v_mul_f64 v[168:169], v[168:169], v[162:163]
	v_fmac_f64_e32 v[168:169], v[170:171], v[28:29]
	s_waitcnt vmcnt(7)
	v_add_f64 v[24:25], v[24:25], -v[30:31]
	s_waitcnt lgkmcnt(0)
	v_mul_f64 v[30:31], v[154:155], v[162:163]
	v_add_f64 v[26:27], v[26:27], -v[168:169]
	v_fma_f64 v[30:31], v[152:153], v[28:29], -v[30:31]
	v_mul_f64 v[152:153], v[152:153], v[162:163]
	ds_read2_b64 v[168:171], v164 offset0:64 offset1:65
	v_fmac_f64_e32 v[152:153], v[154:155], v[28:29]
	s_waitcnt vmcnt(6)
	v_add_f64 v[22:23], v[22:23], -v[152:153]
	ds_read2_b64 v[152:155], v164 offset0:66 offset1:67
	v_add_f64 v[20:21], v[20:21], -v[30:31]
	s_waitcnt lgkmcnt(1)
	v_mul_f64 v[30:31], v[170:171], v[162:163]
	v_fma_f64 v[30:31], v[168:169], v[28:29], -v[30:31]
	v_mul_f64 v[168:169], v[168:169], v[162:163]
	v_fmac_f64_e32 v[168:169], v[170:171], v[28:29]
	s_waitcnt vmcnt(5)
	v_add_f64 v[16:17], v[16:17], -v[30:31]
	s_waitcnt lgkmcnt(0)
	v_mul_f64 v[30:31], v[154:155], v[162:163]
	v_add_f64 v[18:19], v[18:19], -v[168:169]
	v_fma_f64 v[30:31], v[152:153], v[28:29], -v[30:31]
	v_mul_f64 v[152:153], v[152:153], v[162:163]
	ds_read2_b64 v[168:171], v164 offset0:68 offset1:69
	v_fmac_f64_e32 v[152:153], v[154:155], v[28:29]
	s_waitcnt vmcnt(4)
	v_add_f64 v[14:15], v[14:15], -v[152:153]
	ds_read2_b64 v[152:155], v164 offset0:70 offset1:71
	v_add_f64 v[12:13], v[12:13], -v[30:31]
	s_waitcnt lgkmcnt(1)
	v_mul_f64 v[30:31], v[170:171], v[162:163]
	v_fma_f64 v[30:31], v[168:169], v[28:29], -v[30:31]
	v_mul_f64 v[168:169], v[168:169], v[162:163]
	v_fmac_f64_e32 v[168:169], v[170:171], v[28:29]
	s_waitcnt vmcnt(3)
	v_add_f64 v[8:9], v[8:9], -v[30:31]
	s_waitcnt lgkmcnt(0)
	v_mul_f64 v[30:31], v[154:155], v[162:163]
	v_add_f64 v[10:11], v[10:11], -v[168:169]
	v_fma_f64 v[30:31], v[152:153], v[28:29], -v[30:31]
	v_mul_f64 v[152:153], v[152:153], v[162:163]
	ds_read2_b64 v[168:171], v164 offset0:72 offset1:73
	v_fmac_f64_e32 v[152:153], v[154:155], v[28:29]
	s_waitcnt vmcnt(2)
	v_add_f64 v[6:7], v[6:7], -v[152:153]
	ds_read2_b64 v[152:155], v164 offset0:74 offset1:75
	v_add_f64 v[4:5], v[4:5], -v[30:31]
	s_waitcnt lgkmcnt(1)
	v_mul_f64 v[30:31], v[170:171], v[162:163]
	v_fma_f64 v[30:31], v[168:169], v[28:29], -v[30:31]
	s_waitcnt vmcnt(1)
	v_add_f64 v[0:1], v[0:1], -v[30:31]
	s_waitcnt lgkmcnt(0)
	v_mul_f64 v[30:31], v[154:155], v[162:163]
	v_mul_f64 v[168:169], v[168:169], v[162:163]
	v_fma_f64 v[30:31], v[152:153], v[28:29], -v[30:31]
	v_mul_f64 v[152:153], v[152:153], v[162:163]
	v_fmac_f64_e32 v[168:169], v[170:171], v[28:29]
	v_fmac_f64_e32 v[152:153], v[154:155], v[28:29]
	v_add_f64 v[2:3], v[2:3], -v[168:169]
	s_waitcnt vmcnt(0)
	v_add_f64 v[148:149], v[148:149], -v[30:31]
	v_add_f64 v[150:151], v[150:151], -v[152:153]
	v_mov_b64_e32 v[30:31], v[162:163]
.LBB74_629:
	s_or_b64 exec, exec, s[0:1]
	v_lshl_add_u32 v152, v165, 4, v164
	s_barrier
	s_waitcnt vmcnt(7)
	ds_write2_b64 v152, v[24:25], v[26:27] offset1:1
	s_waitcnt lgkmcnt(0)
	s_barrier
	ds_read2_b64 v[152:155], v164 offset0:60 offset1:61
	s_cmp_lt_i32 s20, 32
	v_mov_b32_e32 v162, 30
	s_cbranch_scc1 .LBB74_632
; %bb.630:
	v_add_u32_e32 v163, 0x1f0, v164
	s_mov_b32 s16, 31
	v_mov_b32_e32 v162, 30
.LBB74_631:                             ; =>This Inner Loop Header: Depth=1
	ds_read2_b64 v[168:171], v163 offset1:1
	s_waitcnt lgkmcnt(1)
	v_xor_b32_e32 v173, 0x80000000, v153
	v_xor_b32_e32 v175, 0x80000000, v155
	v_cmp_gt_f64_e32 vcc, 0, v[154:155]
	v_cmp_gt_f64_e64 s[0:1], 0, v[152:153]
	v_mov_b32_e32 v172, v152
	v_mov_b32_e32 v174, v154
	v_cndmask_b32_e64 v173, v153, v173, s[0:1]
	v_cndmask_b32_e32 v175, v155, v175, vcc
	v_add_f64 v[172:173], v[172:173], v[174:175]
	s_waitcnt lgkmcnt(0)
	v_xor_b32_e32 v175, 0x80000000, v169
	v_xor_b32_e32 v177, 0x80000000, v171
	v_cmp_gt_f64_e32 vcc, 0, v[170:171]
	v_cmp_gt_f64_e64 s[0:1], 0, v[168:169]
	v_mov_b32_e32 v174, v168
	v_mov_b32_e32 v176, v170
	v_cndmask_b32_e64 v175, v169, v175, s[0:1]
	v_cndmask_b32_e32 v177, v171, v177, vcc
	v_add_f64 v[174:175], v[174:175], v[176:177]
	v_mov_b32_e32 v178, s16
	s_add_i32 s16, s16, 1
	v_cmp_lt_f64_e32 vcc, v[172:173], v[174:175]
	v_add_u32_e32 v163, 16, v163
	s_cmp_lg_u32 s20, s16
	v_cndmask_b32_e32 v153, v153, v169, vcc
	v_cndmask_b32_e32 v152, v152, v168, vcc
	;; [unrolled: 1-line block ×5, first 2 shown]
	s_cbranch_scc1 .LBB74_631
.LBB74_632:
	s_waitcnt lgkmcnt(0)
	v_cmp_eq_f64_e32 vcc, 0, v[152:153]
	v_cmp_eq_f64_e64 s[0:1], 0, v[154:155]
	s_and_b64 s[0:1], vcc, s[0:1]
	s_and_saveexec_b64 s[16:17], s[0:1]
	s_xor_b64 s[0:1], exec, s[16:17]
; %bb.633:
	v_cmp_ne_u32_e32 vcc, 0, v166
	s_nop 1
	v_cndmask_b32_e32 v166, 31, v166, vcc
; %bb.634:
	s_andn2_saveexec_b64 s[0:1], s[0:1]
	s_cbranch_execz .LBB74_640
; %bb.635:
	v_cmp_ngt_f64_e64 s[16:17], |v[152:153]|, |v[154:155]|
	s_and_saveexec_b64 s[18:19], s[16:17]
	s_xor_b64 s[16:17], exec, s[18:19]
	s_cbranch_execz .LBB74_637
; %bb.636:
	v_div_scale_f64 v[168:169], s[18:19], v[154:155], v[154:155], v[152:153]
	v_rcp_f64_e32 v[170:171], v[168:169]
	v_div_scale_f64 v[172:173], vcc, v[152:153], v[154:155], v[152:153]
	v_fma_f64 v[174:175], -v[168:169], v[170:171], 1.0
	v_fmac_f64_e32 v[170:171], v[170:171], v[174:175]
	v_fma_f64 v[174:175], -v[168:169], v[170:171], 1.0
	v_fmac_f64_e32 v[170:171], v[170:171], v[174:175]
	v_mul_f64 v[174:175], v[172:173], v[170:171]
	v_fma_f64 v[168:169], -v[168:169], v[174:175], v[172:173]
	v_div_fmas_f64 v[168:169], v[168:169], v[170:171], v[174:175]
	v_div_fixup_f64 v[168:169], v[168:169], v[154:155], v[152:153]
	v_fmac_f64_e32 v[154:155], v[152:153], v[168:169]
	v_div_scale_f64 v[152:153], s[18:19], v[154:155], v[154:155], 1.0
	v_rcp_f64_e32 v[170:171], v[152:153]
	s_nop 0
	v_fma_f64 v[172:173], -v[152:153], v[170:171], 1.0
	v_fmac_f64_e32 v[170:171], v[170:171], v[172:173]
	v_fma_f64 v[172:173], -v[152:153], v[170:171], 1.0
	v_fmac_f64_e32 v[170:171], v[170:171], v[172:173]
	v_div_scale_f64 v[172:173], vcc, 1.0, v[154:155], 1.0
	v_mul_f64 v[174:175], v[172:173], v[170:171]
	v_fma_f64 v[152:153], -v[152:153], v[174:175], v[172:173]
	s_nop 1
	v_div_fmas_f64 v[152:153], v[152:153], v[170:171], v[174:175]
	v_div_fixup_f64 v[154:155], v[152:153], v[154:155], 1.0
	v_mul_f64 v[152:153], v[168:169], v[154:155]
	v_xor_b32_e32 v155, 0x80000000, v155
.LBB74_637:
	s_andn2_saveexec_b64 s[16:17], s[16:17]
	s_cbranch_execz .LBB74_639
; %bb.638:
	v_div_scale_f64 v[168:169], s[18:19], v[152:153], v[152:153], v[154:155]
	v_rcp_f64_e32 v[170:171], v[168:169]
	v_div_scale_f64 v[172:173], vcc, v[154:155], v[152:153], v[154:155]
	v_fma_f64 v[174:175], -v[168:169], v[170:171], 1.0
	v_fmac_f64_e32 v[170:171], v[170:171], v[174:175]
	v_fma_f64 v[174:175], -v[168:169], v[170:171], 1.0
	v_fmac_f64_e32 v[170:171], v[170:171], v[174:175]
	v_mul_f64 v[174:175], v[172:173], v[170:171]
	v_fma_f64 v[168:169], -v[168:169], v[174:175], v[172:173]
	v_div_fmas_f64 v[168:169], v[168:169], v[170:171], v[174:175]
	v_div_fixup_f64 v[168:169], v[168:169], v[152:153], v[154:155]
	v_fmac_f64_e32 v[152:153], v[154:155], v[168:169]
	v_div_scale_f64 v[154:155], s[18:19], v[152:153], v[152:153], 1.0
	v_rcp_f64_e32 v[170:171], v[154:155]
	s_nop 0
	v_fma_f64 v[172:173], -v[154:155], v[170:171], 1.0
	v_fmac_f64_e32 v[170:171], v[170:171], v[172:173]
	v_fma_f64 v[172:173], -v[154:155], v[170:171], 1.0
	v_fmac_f64_e32 v[170:171], v[170:171], v[172:173]
	v_div_scale_f64 v[172:173], vcc, 1.0, v[152:153], 1.0
	v_mul_f64 v[174:175], v[172:173], v[170:171]
	v_fma_f64 v[154:155], -v[154:155], v[174:175], v[172:173]
	s_nop 1
	v_div_fmas_f64 v[154:155], v[154:155], v[170:171], v[174:175]
	v_div_fixup_f64 v[152:153], v[154:155], v[152:153], 1.0
	v_mul_f64 v[154:155], v[168:169], -v[152:153]
.LBB74_639:
	s_or_b64 exec, exec, s[16:17]
.LBB74_640:
	s_or_b64 exec, exec, s[0:1]
	v_cmp_ne_u32_e32 vcc, v165, v162
	s_and_saveexec_b64 s[0:1], vcc
	s_xor_b64 s[0:1], exec, s[0:1]
	s_cbranch_execz .LBB74_646
; %bb.641:
	v_cmp_eq_u32_e32 vcc, 30, v165
	s_and_saveexec_b64 s[16:17], vcc
	s_cbranch_execz .LBB74_645
; %bb.642:
	v_cmp_ne_u32_e32 vcc, 30, v162
	s_xor_b64 s[18:19], s[14:15], -1
	s_and_b64 s[22:23], s[18:19], vcc
	s_and_saveexec_b64 s[18:19], s[22:23]
	s_cbranch_execz .LBB74_644
; %bb.643:
	v_ashrrev_i32_e32 v163, 31, v162
	v_lshl_add_u64 v[168:169], v[162:163], 2, v[160:161]
	global_load_dword v163, v[168:169], off
	global_load_dword v165, v[160:161], off offset:120
	s_waitcnt vmcnt(1)
	global_store_dword v[160:161], v163, off offset:120
	s_waitcnt vmcnt(1)
	global_store_dword v[168:169], v165, off
.LBB74_644:
	s_or_b64 exec, exec, s[18:19]
	v_mov_b32_e32 v165, v162
	v_mov_b32_e32 v167, v162
.LBB74_645:
	s_or_b64 exec, exec, s[16:17]
.LBB74_646:
	s_andn2_saveexec_b64 s[0:1], s[0:1]
	s_cbranch_execz .LBB74_648
; %bb.647:
	v_mov_b32_e32 v165, 30
	s_waitcnt vmcnt(6)
	ds_write2_b64 v164, v[20:21], v[22:23] offset0:62 offset1:63
	s_waitcnt vmcnt(5)
	ds_write2_b64 v164, v[16:17], v[18:19] offset0:64 offset1:65
	;; [unrolled: 2-line block ×7, first 2 shown]
.LBB74_648:
	s_or_b64 exec, exec, s[0:1]
	v_cmp_lt_i32_e32 vcc, 30, v165
	s_waitcnt lgkmcnt(0)
	s_barrier
	s_and_saveexec_b64 s[0:1], vcc
	s_cbranch_execz .LBB74_650
; %bb.649:
	ds_read2_b64 v[168:171], v164 offset0:62 offset1:63
	v_mul_f64 v[162:163], v[152:153], v[26:27]
	v_fmac_f64_e32 v[162:163], v[154:155], v[24:25]
	v_mul_f64 v[26:27], v[154:155], v[26:27]
	v_fma_f64 v[24:25], v[152:153], v[24:25], -v[26:27]
	ds_read2_b64 v[152:155], v164 offset0:64 offset1:65
	s_waitcnt lgkmcnt(1)
	v_mul_f64 v[26:27], v[170:171], v[162:163]
	v_fma_f64 v[26:27], v[168:169], v[24:25], -v[26:27]
	v_mul_f64 v[168:169], v[168:169], v[162:163]
	v_fmac_f64_e32 v[168:169], v[170:171], v[24:25]
	s_waitcnt vmcnt(6)
	v_add_f64 v[22:23], v[22:23], -v[168:169]
	ds_read2_b64 v[168:171], v164 offset0:66 offset1:67
	v_add_f64 v[20:21], v[20:21], -v[26:27]
	s_waitcnt lgkmcnt(1)
	v_mul_f64 v[26:27], v[154:155], v[162:163]
	v_fma_f64 v[26:27], v[152:153], v[24:25], -v[26:27]
	v_mul_f64 v[152:153], v[152:153], v[162:163]
	v_fmac_f64_e32 v[152:153], v[154:155], v[24:25]
	s_waitcnt vmcnt(5)
	v_add_f64 v[16:17], v[16:17], -v[26:27]
	v_add_f64 v[18:19], v[18:19], -v[152:153]
	ds_read2_b64 v[152:155], v164 offset0:68 offset1:69
	s_waitcnt lgkmcnt(1)
	v_mul_f64 v[26:27], v[170:171], v[162:163]
	v_fma_f64 v[26:27], v[168:169], v[24:25], -v[26:27]
	v_mul_f64 v[168:169], v[168:169], v[162:163]
	v_fmac_f64_e32 v[168:169], v[170:171], v[24:25]
	s_waitcnt vmcnt(4)
	v_add_f64 v[14:15], v[14:15], -v[168:169]
	ds_read2_b64 v[168:171], v164 offset0:70 offset1:71
	v_add_f64 v[12:13], v[12:13], -v[26:27]
	s_waitcnt lgkmcnt(1)
	v_mul_f64 v[26:27], v[154:155], v[162:163]
	v_fma_f64 v[26:27], v[152:153], v[24:25], -v[26:27]
	v_mul_f64 v[152:153], v[152:153], v[162:163]
	v_fmac_f64_e32 v[152:153], v[154:155], v[24:25]
	s_waitcnt vmcnt(3)
	v_add_f64 v[8:9], v[8:9], -v[26:27]
	v_add_f64 v[10:11], v[10:11], -v[152:153]
	;; [unrolled: 18-line block ×3, first 2 shown]
	s_waitcnt lgkmcnt(0)
	v_mul_f64 v[26:27], v[170:171], v[162:163]
	v_mul_f64 v[152:153], v[168:169], v[162:163]
	v_fma_f64 v[26:27], v[168:169], v[24:25], -v[26:27]
	v_fmac_f64_e32 v[152:153], v[170:171], v[24:25]
	s_waitcnt vmcnt(0)
	v_add_f64 v[148:149], v[148:149], -v[26:27]
	v_add_f64 v[150:151], v[150:151], -v[152:153]
	v_mov_b64_e32 v[26:27], v[162:163]
.LBB74_650:
	s_or_b64 exec, exec, s[0:1]
	v_lshl_add_u32 v152, v165, 4, v164
	s_barrier
	s_waitcnt vmcnt(6)
	ds_write2_b64 v152, v[20:21], v[22:23] offset1:1
	s_waitcnt lgkmcnt(0)
	s_barrier
	ds_read2_b64 v[152:155], v164 offset0:62 offset1:63
	s_cmp_lt_i32 s20, 33
	v_mov_b32_e32 v162, 31
	s_cbranch_scc1 .LBB74_653
; %bb.651:
	v_add_u32_e32 v163, 0x200, v164
	s_mov_b32 s16, 32
	v_mov_b32_e32 v162, 31
.LBB74_652:                             ; =>This Inner Loop Header: Depth=1
	ds_read2_b64 v[168:171], v163 offset1:1
	s_waitcnt lgkmcnt(1)
	v_xor_b32_e32 v173, 0x80000000, v153
	v_xor_b32_e32 v175, 0x80000000, v155
	v_cmp_gt_f64_e32 vcc, 0, v[154:155]
	v_cmp_gt_f64_e64 s[0:1], 0, v[152:153]
	v_mov_b32_e32 v172, v152
	v_mov_b32_e32 v174, v154
	v_cndmask_b32_e64 v173, v153, v173, s[0:1]
	v_cndmask_b32_e32 v175, v155, v175, vcc
	v_add_f64 v[172:173], v[172:173], v[174:175]
	s_waitcnt lgkmcnt(0)
	v_xor_b32_e32 v175, 0x80000000, v169
	v_xor_b32_e32 v177, 0x80000000, v171
	v_cmp_gt_f64_e32 vcc, 0, v[170:171]
	v_cmp_gt_f64_e64 s[0:1], 0, v[168:169]
	v_mov_b32_e32 v174, v168
	v_mov_b32_e32 v176, v170
	v_cndmask_b32_e64 v175, v169, v175, s[0:1]
	v_cndmask_b32_e32 v177, v171, v177, vcc
	v_add_f64 v[174:175], v[174:175], v[176:177]
	v_mov_b32_e32 v178, s16
	s_add_i32 s16, s16, 1
	v_cmp_lt_f64_e32 vcc, v[172:173], v[174:175]
	v_add_u32_e32 v163, 16, v163
	s_cmp_lg_u32 s20, s16
	v_cndmask_b32_e32 v153, v153, v169, vcc
	v_cndmask_b32_e32 v152, v152, v168, vcc
	;; [unrolled: 1-line block ×5, first 2 shown]
	s_cbranch_scc1 .LBB74_652
.LBB74_653:
	s_waitcnt lgkmcnt(0)
	v_cmp_eq_f64_e32 vcc, 0, v[152:153]
	v_cmp_eq_f64_e64 s[0:1], 0, v[154:155]
	s_and_b64 s[0:1], vcc, s[0:1]
	s_and_saveexec_b64 s[16:17], s[0:1]
	s_xor_b64 s[0:1], exec, s[16:17]
; %bb.654:
	v_cmp_ne_u32_e32 vcc, 0, v166
	s_nop 1
	v_cndmask_b32_e32 v166, 32, v166, vcc
; %bb.655:
	s_andn2_saveexec_b64 s[0:1], s[0:1]
	s_cbranch_execz .LBB74_661
; %bb.656:
	v_cmp_ngt_f64_e64 s[16:17], |v[152:153]|, |v[154:155]|
	s_and_saveexec_b64 s[18:19], s[16:17]
	s_xor_b64 s[16:17], exec, s[18:19]
	s_cbranch_execz .LBB74_658
; %bb.657:
	v_div_scale_f64 v[168:169], s[18:19], v[154:155], v[154:155], v[152:153]
	v_rcp_f64_e32 v[170:171], v[168:169]
	v_div_scale_f64 v[172:173], vcc, v[152:153], v[154:155], v[152:153]
	v_fma_f64 v[174:175], -v[168:169], v[170:171], 1.0
	v_fmac_f64_e32 v[170:171], v[170:171], v[174:175]
	v_fma_f64 v[174:175], -v[168:169], v[170:171], 1.0
	v_fmac_f64_e32 v[170:171], v[170:171], v[174:175]
	v_mul_f64 v[174:175], v[172:173], v[170:171]
	v_fma_f64 v[168:169], -v[168:169], v[174:175], v[172:173]
	v_div_fmas_f64 v[168:169], v[168:169], v[170:171], v[174:175]
	v_div_fixup_f64 v[168:169], v[168:169], v[154:155], v[152:153]
	v_fmac_f64_e32 v[154:155], v[152:153], v[168:169]
	v_div_scale_f64 v[152:153], s[18:19], v[154:155], v[154:155], 1.0
	v_rcp_f64_e32 v[170:171], v[152:153]
	s_nop 0
	v_fma_f64 v[172:173], -v[152:153], v[170:171], 1.0
	v_fmac_f64_e32 v[170:171], v[170:171], v[172:173]
	v_fma_f64 v[172:173], -v[152:153], v[170:171], 1.0
	v_fmac_f64_e32 v[170:171], v[170:171], v[172:173]
	v_div_scale_f64 v[172:173], vcc, 1.0, v[154:155], 1.0
	v_mul_f64 v[174:175], v[172:173], v[170:171]
	v_fma_f64 v[152:153], -v[152:153], v[174:175], v[172:173]
	s_nop 1
	v_div_fmas_f64 v[152:153], v[152:153], v[170:171], v[174:175]
	v_div_fixup_f64 v[154:155], v[152:153], v[154:155], 1.0
	v_mul_f64 v[152:153], v[168:169], v[154:155]
	v_xor_b32_e32 v155, 0x80000000, v155
.LBB74_658:
	s_andn2_saveexec_b64 s[16:17], s[16:17]
	s_cbranch_execz .LBB74_660
; %bb.659:
	v_div_scale_f64 v[168:169], s[18:19], v[152:153], v[152:153], v[154:155]
	v_rcp_f64_e32 v[170:171], v[168:169]
	v_div_scale_f64 v[172:173], vcc, v[154:155], v[152:153], v[154:155]
	v_fma_f64 v[174:175], -v[168:169], v[170:171], 1.0
	v_fmac_f64_e32 v[170:171], v[170:171], v[174:175]
	v_fma_f64 v[174:175], -v[168:169], v[170:171], 1.0
	v_fmac_f64_e32 v[170:171], v[170:171], v[174:175]
	v_mul_f64 v[174:175], v[172:173], v[170:171]
	v_fma_f64 v[168:169], -v[168:169], v[174:175], v[172:173]
	v_div_fmas_f64 v[168:169], v[168:169], v[170:171], v[174:175]
	v_div_fixup_f64 v[168:169], v[168:169], v[152:153], v[154:155]
	v_fmac_f64_e32 v[152:153], v[154:155], v[168:169]
	v_div_scale_f64 v[154:155], s[18:19], v[152:153], v[152:153], 1.0
	v_rcp_f64_e32 v[170:171], v[154:155]
	s_nop 0
	v_fma_f64 v[172:173], -v[154:155], v[170:171], 1.0
	v_fmac_f64_e32 v[170:171], v[170:171], v[172:173]
	v_fma_f64 v[172:173], -v[154:155], v[170:171], 1.0
	v_fmac_f64_e32 v[170:171], v[170:171], v[172:173]
	v_div_scale_f64 v[172:173], vcc, 1.0, v[152:153], 1.0
	v_mul_f64 v[174:175], v[172:173], v[170:171]
	v_fma_f64 v[154:155], -v[154:155], v[174:175], v[172:173]
	s_nop 1
	v_div_fmas_f64 v[154:155], v[154:155], v[170:171], v[174:175]
	v_div_fixup_f64 v[152:153], v[154:155], v[152:153], 1.0
	v_mul_f64 v[154:155], v[168:169], -v[152:153]
.LBB74_660:
	s_or_b64 exec, exec, s[16:17]
.LBB74_661:
	s_or_b64 exec, exec, s[0:1]
	v_cmp_ne_u32_e32 vcc, v165, v162
	s_and_saveexec_b64 s[0:1], vcc
	s_xor_b64 s[0:1], exec, s[0:1]
	s_cbranch_execz .LBB74_667
; %bb.662:
	v_cmp_eq_u32_e32 vcc, 31, v165
	s_and_saveexec_b64 s[16:17], vcc
	s_cbranch_execz .LBB74_666
; %bb.663:
	v_cmp_ne_u32_e32 vcc, 31, v162
	s_xor_b64 s[18:19], s[14:15], -1
	s_and_b64 s[22:23], s[18:19], vcc
	s_and_saveexec_b64 s[18:19], s[22:23]
	s_cbranch_execz .LBB74_665
; %bb.664:
	v_ashrrev_i32_e32 v163, 31, v162
	v_lshl_add_u64 v[168:169], v[162:163], 2, v[160:161]
	global_load_dword v163, v[168:169], off
	global_load_dword v165, v[160:161], off offset:124
	s_waitcnt vmcnt(1)
	global_store_dword v[160:161], v163, off offset:124
	s_waitcnt vmcnt(1)
	global_store_dword v[168:169], v165, off
.LBB74_665:
	s_or_b64 exec, exec, s[18:19]
	v_mov_b32_e32 v165, v162
	v_mov_b32_e32 v167, v162
.LBB74_666:
	s_or_b64 exec, exec, s[16:17]
.LBB74_667:
	s_andn2_saveexec_b64 s[0:1], s[0:1]
	s_cbranch_execz .LBB74_669
; %bb.668:
	v_mov_b32_e32 v165, 31
	s_waitcnt vmcnt(5)
	ds_write2_b64 v164, v[16:17], v[18:19] offset0:64 offset1:65
	s_waitcnt vmcnt(4)
	ds_write2_b64 v164, v[12:13], v[14:15] offset0:66 offset1:67
	;; [unrolled: 2-line block ×6, first 2 shown]
.LBB74_669:
	s_or_b64 exec, exec, s[0:1]
	v_cmp_lt_i32_e32 vcc, 31, v165
	s_waitcnt lgkmcnt(0)
	s_barrier
	s_and_saveexec_b64 s[0:1], vcc
	s_cbranch_execz .LBB74_671
; %bb.670:
	ds_read2_b64 v[168:171], v164 offset0:64 offset1:65
	v_mul_f64 v[162:163], v[152:153], v[22:23]
	v_mul_f64 v[22:23], v[154:155], v[22:23]
	v_fmac_f64_e32 v[162:163], v[154:155], v[20:21]
	v_fma_f64 v[20:21], v[152:153], v[20:21], -v[22:23]
	ds_read2_b64 v[152:155], v164 offset0:66 offset1:67
	s_waitcnt lgkmcnt(1)
	v_mul_f64 v[22:23], v[170:171], v[162:163]
	v_fma_f64 v[22:23], v[168:169], v[20:21], -v[22:23]
	v_mul_f64 v[168:169], v[168:169], v[162:163]
	v_fmac_f64_e32 v[168:169], v[170:171], v[20:21]
	s_waitcnt vmcnt(5)
	v_add_f64 v[16:17], v[16:17], -v[22:23]
	s_waitcnt lgkmcnt(0)
	v_mul_f64 v[22:23], v[154:155], v[162:163]
	v_add_f64 v[18:19], v[18:19], -v[168:169]
	v_fma_f64 v[22:23], v[152:153], v[20:21], -v[22:23]
	v_mul_f64 v[152:153], v[152:153], v[162:163]
	ds_read2_b64 v[168:171], v164 offset0:68 offset1:69
	v_fmac_f64_e32 v[152:153], v[154:155], v[20:21]
	s_waitcnt vmcnt(4)
	v_add_f64 v[14:15], v[14:15], -v[152:153]
	ds_read2_b64 v[152:155], v164 offset0:70 offset1:71
	v_add_f64 v[12:13], v[12:13], -v[22:23]
	s_waitcnt lgkmcnt(1)
	v_mul_f64 v[22:23], v[170:171], v[162:163]
	v_fma_f64 v[22:23], v[168:169], v[20:21], -v[22:23]
	v_mul_f64 v[168:169], v[168:169], v[162:163]
	v_fmac_f64_e32 v[168:169], v[170:171], v[20:21]
	s_waitcnt vmcnt(3)
	v_add_f64 v[8:9], v[8:9], -v[22:23]
	s_waitcnt lgkmcnt(0)
	v_mul_f64 v[22:23], v[154:155], v[162:163]
	v_add_f64 v[10:11], v[10:11], -v[168:169]
	v_fma_f64 v[22:23], v[152:153], v[20:21], -v[22:23]
	v_mul_f64 v[152:153], v[152:153], v[162:163]
	ds_read2_b64 v[168:171], v164 offset0:72 offset1:73
	v_fmac_f64_e32 v[152:153], v[154:155], v[20:21]
	s_waitcnt vmcnt(2)
	v_add_f64 v[6:7], v[6:7], -v[152:153]
	ds_read2_b64 v[152:155], v164 offset0:74 offset1:75
	v_add_f64 v[4:5], v[4:5], -v[22:23]
	s_waitcnt lgkmcnt(1)
	v_mul_f64 v[22:23], v[170:171], v[162:163]
	v_fma_f64 v[22:23], v[168:169], v[20:21], -v[22:23]
	s_waitcnt vmcnt(1)
	v_add_f64 v[0:1], v[0:1], -v[22:23]
	s_waitcnt lgkmcnt(0)
	v_mul_f64 v[22:23], v[154:155], v[162:163]
	v_mul_f64 v[168:169], v[168:169], v[162:163]
	v_fma_f64 v[22:23], v[152:153], v[20:21], -v[22:23]
	v_mul_f64 v[152:153], v[152:153], v[162:163]
	v_fmac_f64_e32 v[168:169], v[170:171], v[20:21]
	v_fmac_f64_e32 v[152:153], v[154:155], v[20:21]
	v_add_f64 v[2:3], v[2:3], -v[168:169]
	s_waitcnt vmcnt(0)
	v_add_f64 v[148:149], v[148:149], -v[22:23]
	v_add_f64 v[150:151], v[150:151], -v[152:153]
	v_mov_b64_e32 v[22:23], v[162:163]
.LBB74_671:
	s_or_b64 exec, exec, s[0:1]
	v_lshl_add_u32 v152, v165, 4, v164
	s_barrier
	s_waitcnt vmcnt(5)
	ds_write2_b64 v152, v[16:17], v[18:19] offset1:1
	s_waitcnt lgkmcnt(0)
	s_barrier
	ds_read2_b64 v[152:155], v164 offset0:64 offset1:65
	s_cmp_lt_i32 s20, 34
	v_mov_b32_e32 v162, 32
	s_cbranch_scc1 .LBB74_674
; %bb.672:
	v_add_u32_e32 v163, 0x210, v164
	s_mov_b32 s16, 33
	v_mov_b32_e32 v162, 32
.LBB74_673:                             ; =>This Inner Loop Header: Depth=1
	ds_read2_b64 v[168:171], v163 offset1:1
	s_waitcnt lgkmcnt(1)
	v_xor_b32_e32 v173, 0x80000000, v153
	v_xor_b32_e32 v175, 0x80000000, v155
	v_cmp_gt_f64_e32 vcc, 0, v[154:155]
	v_cmp_gt_f64_e64 s[0:1], 0, v[152:153]
	v_mov_b32_e32 v172, v152
	v_mov_b32_e32 v174, v154
	v_cndmask_b32_e64 v173, v153, v173, s[0:1]
	v_cndmask_b32_e32 v175, v155, v175, vcc
	v_add_f64 v[172:173], v[172:173], v[174:175]
	s_waitcnt lgkmcnt(0)
	v_xor_b32_e32 v175, 0x80000000, v169
	v_xor_b32_e32 v177, 0x80000000, v171
	v_cmp_gt_f64_e32 vcc, 0, v[170:171]
	v_cmp_gt_f64_e64 s[0:1], 0, v[168:169]
	v_mov_b32_e32 v174, v168
	v_mov_b32_e32 v176, v170
	v_cndmask_b32_e64 v175, v169, v175, s[0:1]
	v_cndmask_b32_e32 v177, v171, v177, vcc
	v_add_f64 v[174:175], v[174:175], v[176:177]
	v_mov_b32_e32 v178, s16
	s_add_i32 s16, s16, 1
	v_cmp_lt_f64_e32 vcc, v[172:173], v[174:175]
	v_add_u32_e32 v163, 16, v163
	s_cmp_lg_u32 s20, s16
	v_cndmask_b32_e32 v153, v153, v169, vcc
	v_cndmask_b32_e32 v152, v152, v168, vcc
	;; [unrolled: 1-line block ×5, first 2 shown]
	s_cbranch_scc1 .LBB74_673
.LBB74_674:
	s_waitcnt lgkmcnt(0)
	v_cmp_eq_f64_e32 vcc, 0, v[152:153]
	v_cmp_eq_f64_e64 s[0:1], 0, v[154:155]
	s_and_b64 s[0:1], vcc, s[0:1]
	s_and_saveexec_b64 s[16:17], s[0:1]
	s_xor_b64 s[0:1], exec, s[16:17]
; %bb.675:
	v_cmp_ne_u32_e32 vcc, 0, v166
	s_nop 1
	v_cndmask_b32_e32 v166, 33, v166, vcc
; %bb.676:
	s_andn2_saveexec_b64 s[0:1], s[0:1]
	s_cbranch_execz .LBB74_682
; %bb.677:
	v_cmp_ngt_f64_e64 s[16:17], |v[152:153]|, |v[154:155]|
	s_and_saveexec_b64 s[18:19], s[16:17]
	s_xor_b64 s[16:17], exec, s[18:19]
	s_cbranch_execz .LBB74_679
; %bb.678:
	v_div_scale_f64 v[168:169], s[18:19], v[154:155], v[154:155], v[152:153]
	v_rcp_f64_e32 v[170:171], v[168:169]
	v_div_scale_f64 v[172:173], vcc, v[152:153], v[154:155], v[152:153]
	v_fma_f64 v[174:175], -v[168:169], v[170:171], 1.0
	v_fmac_f64_e32 v[170:171], v[170:171], v[174:175]
	v_fma_f64 v[174:175], -v[168:169], v[170:171], 1.0
	v_fmac_f64_e32 v[170:171], v[170:171], v[174:175]
	v_mul_f64 v[174:175], v[172:173], v[170:171]
	v_fma_f64 v[168:169], -v[168:169], v[174:175], v[172:173]
	v_div_fmas_f64 v[168:169], v[168:169], v[170:171], v[174:175]
	v_div_fixup_f64 v[168:169], v[168:169], v[154:155], v[152:153]
	v_fmac_f64_e32 v[154:155], v[152:153], v[168:169]
	v_div_scale_f64 v[152:153], s[18:19], v[154:155], v[154:155], 1.0
	v_rcp_f64_e32 v[170:171], v[152:153]
	s_nop 0
	v_fma_f64 v[172:173], -v[152:153], v[170:171], 1.0
	v_fmac_f64_e32 v[170:171], v[170:171], v[172:173]
	v_fma_f64 v[172:173], -v[152:153], v[170:171], 1.0
	v_fmac_f64_e32 v[170:171], v[170:171], v[172:173]
	v_div_scale_f64 v[172:173], vcc, 1.0, v[154:155], 1.0
	v_mul_f64 v[174:175], v[172:173], v[170:171]
	v_fma_f64 v[152:153], -v[152:153], v[174:175], v[172:173]
	s_nop 1
	v_div_fmas_f64 v[152:153], v[152:153], v[170:171], v[174:175]
	v_div_fixup_f64 v[154:155], v[152:153], v[154:155], 1.0
	v_mul_f64 v[152:153], v[168:169], v[154:155]
	v_xor_b32_e32 v155, 0x80000000, v155
.LBB74_679:
	s_andn2_saveexec_b64 s[16:17], s[16:17]
	s_cbranch_execz .LBB74_681
; %bb.680:
	v_div_scale_f64 v[168:169], s[18:19], v[152:153], v[152:153], v[154:155]
	v_rcp_f64_e32 v[170:171], v[168:169]
	v_div_scale_f64 v[172:173], vcc, v[154:155], v[152:153], v[154:155]
	v_fma_f64 v[174:175], -v[168:169], v[170:171], 1.0
	v_fmac_f64_e32 v[170:171], v[170:171], v[174:175]
	v_fma_f64 v[174:175], -v[168:169], v[170:171], 1.0
	v_fmac_f64_e32 v[170:171], v[170:171], v[174:175]
	v_mul_f64 v[174:175], v[172:173], v[170:171]
	v_fma_f64 v[168:169], -v[168:169], v[174:175], v[172:173]
	v_div_fmas_f64 v[168:169], v[168:169], v[170:171], v[174:175]
	v_div_fixup_f64 v[168:169], v[168:169], v[152:153], v[154:155]
	v_fmac_f64_e32 v[152:153], v[154:155], v[168:169]
	v_div_scale_f64 v[154:155], s[18:19], v[152:153], v[152:153], 1.0
	v_rcp_f64_e32 v[170:171], v[154:155]
	s_nop 0
	v_fma_f64 v[172:173], -v[154:155], v[170:171], 1.0
	v_fmac_f64_e32 v[170:171], v[170:171], v[172:173]
	v_fma_f64 v[172:173], -v[154:155], v[170:171], 1.0
	v_fmac_f64_e32 v[170:171], v[170:171], v[172:173]
	v_div_scale_f64 v[172:173], vcc, 1.0, v[152:153], 1.0
	v_mul_f64 v[174:175], v[172:173], v[170:171]
	v_fma_f64 v[154:155], -v[154:155], v[174:175], v[172:173]
	s_nop 1
	v_div_fmas_f64 v[154:155], v[154:155], v[170:171], v[174:175]
	v_div_fixup_f64 v[152:153], v[154:155], v[152:153], 1.0
	v_mul_f64 v[154:155], v[168:169], -v[152:153]
.LBB74_681:
	s_or_b64 exec, exec, s[16:17]
.LBB74_682:
	s_or_b64 exec, exec, s[0:1]
	v_cmp_ne_u32_e32 vcc, v165, v162
	s_and_saveexec_b64 s[0:1], vcc
	s_xor_b64 s[0:1], exec, s[0:1]
	s_cbranch_execz .LBB74_688
; %bb.683:
	v_cmp_eq_u32_e32 vcc, 32, v165
	s_and_saveexec_b64 s[16:17], vcc
	s_cbranch_execz .LBB74_687
; %bb.684:
	v_cmp_ne_u32_e32 vcc, 32, v162
	s_xor_b64 s[18:19], s[14:15], -1
	s_and_b64 s[22:23], s[18:19], vcc
	s_and_saveexec_b64 s[18:19], s[22:23]
	s_cbranch_execz .LBB74_686
; %bb.685:
	v_ashrrev_i32_e32 v163, 31, v162
	v_lshl_add_u64 v[168:169], v[162:163], 2, v[160:161]
	global_load_dword v163, v[168:169], off
	global_load_dword v165, v[160:161], off offset:128
	s_waitcnt vmcnt(1)
	global_store_dword v[160:161], v163, off offset:128
	s_waitcnt vmcnt(1)
	global_store_dword v[168:169], v165, off
.LBB74_686:
	s_or_b64 exec, exec, s[18:19]
	v_mov_b32_e32 v165, v162
	v_mov_b32_e32 v167, v162
.LBB74_687:
	s_or_b64 exec, exec, s[16:17]
.LBB74_688:
	s_andn2_saveexec_b64 s[0:1], s[0:1]
	s_cbranch_execz .LBB74_690
; %bb.689:
	v_mov_b32_e32 v165, 32
	s_waitcnt vmcnt(4)
	ds_write2_b64 v164, v[12:13], v[14:15] offset0:66 offset1:67
	s_waitcnt vmcnt(3)
	ds_write2_b64 v164, v[8:9], v[10:11] offset0:68 offset1:69
	;; [unrolled: 2-line block ×5, first 2 shown]
.LBB74_690:
	s_or_b64 exec, exec, s[0:1]
	v_cmp_lt_i32_e32 vcc, 32, v165
	s_waitcnt lgkmcnt(0)
	s_barrier
	s_and_saveexec_b64 s[0:1], vcc
	s_cbranch_execz .LBB74_692
; %bb.691:
	ds_read2_b64 v[168:171], v164 offset0:66 offset1:67
	v_mul_f64 v[162:163], v[152:153], v[18:19]
	v_fmac_f64_e32 v[162:163], v[154:155], v[16:17]
	v_mul_f64 v[18:19], v[154:155], v[18:19]
	v_fma_f64 v[16:17], v[152:153], v[16:17], -v[18:19]
	ds_read2_b64 v[152:155], v164 offset0:68 offset1:69
	s_waitcnt lgkmcnt(1)
	v_mul_f64 v[18:19], v[170:171], v[162:163]
	v_fma_f64 v[18:19], v[168:169], v[16:17], -v[18:19]
	v_mul_f64 v[168:169], v[168:169], v[162:163]
	v_fmac_f64_e32 v[168:169], v[170:171], v[16:17]
	s_waitcnt vmcnt(4)
	v_add_f64 v[14:15], v[14:15], -v[168:169]
	ds_read2_b64 v[168:171], v164 offset0:70 offset1:71
	v_add_f64 v[12:13], v[12:13], -v[18:19]
	s_waitcnt lgkmcnt(1)
	v_mul_f64 v[18:19], v[154:155], v[162:163]
	v_fma_f64 v[18:19], v[152:153], v[16:17], -v[18:19]
	v_mul_f64 v[152:153], v[152:153], v[162:163]
	v_fmac_f64_e32 v[152:153], v[154:155], v[16:17]
	s_waitcnt vmcnt(3)
	v_add_f64 v[8:9], v[8:9], -v[18:19]
	v_add_f64 v[10:11], v[10:11], -v[152:153]
	ds_read2_b64 v[152:155], v164 offset0:72 offset1:73
	s_waitcnt lgkmcnt(1)
	v_mul_f64 v[18:19], v[170:171], v[162:163]
	v_fma_f64 v[18:19], v[168:169], v[16:17], -v[18:19]
	v_mul_f64 v[168:169], v[168:169], v[162:163]
	v_fmac_f64_e32 v[168:169], v[170:171], v[16:17]
	s_waitcnt vmcnt(2)
	v_add_f64 v[6:7], v[6:7], -v[168:169]
	ds_read2_b64 v[168:171], v164 offset0:74 offset1:75
	v_add_f64 v[4:5], v[4:5], -v[18:19]
	s_waitcnt lgkmcnt(1)
	v_mul_f64 v[18:19], v[154:155], v[162:163]
	v_fma_f64 v[18:19], v[152:153], v[16:17], -v[18:19]
	v_mul_f64 v[152:153], v[152:153], v[162:163]
	v_fmac_f64_e32 v[152:153], v[154:155], v[16:17]
	s_waitcnt vmcnt(1)
	v_add_f64 v[0:1], v[0:1], -v[18:19]
	v_add_f64 v[2:3], v[2:3], -v[152:153]
	s_waitcnt lgkmcnt(0)
	v_mul_f64 v[18:19], v[170:171], v[162:163]
	v_mul_f64 v[152:153], v[168:169], v[162:163]
	v_fma_f64 v[18:19], v[168:169], v[16:17], -v[18:19]
	v_fmac_f64_e32 v[152:153], v[170:171], v[16:17]
	s_waitcnt vmcnt(0)
	v_add_f64 v[148:149], v[148:149], -v[18:19]
	v_add_f64 v[150:151], v[150:151], -v[152:153]
	v_mov_b64_e32 v[18:19], v[162:163]
.LBB74_692:
	s_or_b64 exec, exec, s[0:1]
	v_lshl_add_u32 v152, v165, 4, v164
	s_barrier
	s_waitcnt vmcnt(4)
	ds_write2_b64 v152, v[12:13], v[14:15] offset1:1
	s_waitcnt lgkmcnt(0)
	s_barrier
	ds_read2_b64 v[152:155], v164 offset0:66 offset1:67
	s_cmp_lt_i32 s20, 35
	v_mov_b32_e32 v162, 33
	s_cbranch_scc1 .LBB74_695
; %bb.693:
	v_add_u32_e32 v163, 0x220, v164
	s_mov_b32 s16, 34
	v_mov_b32_e32 v162, 33
.LBB74_694:                             ; =>This Inner Loop Header: Depth=1
	ds_read2_b64 v[168:171], v163 offset1:1
	s_waitcnt lgkmcnt(1)
	v_xor_b32_e32 v173, 0x80000000, v153
	v_xor_b32_e32 v175, 0x80000000, v155
	v_cmp_gt_f64_e32 vcc, 0, v[154:155]
	v_cmp_gt_f64_e64 s[0:1], 0, v[152:153]
	v_mov_b32_e32 v172, v152
	v_mov_b32_e32 v174, v154
	v_cndmask_b32_e64 v173, v153, v173, s[0:1]
	v_cndmask_b32_e32 v175, v155, v175, vcc
	v_add_f64 v[172:173], v[172:173], v[174:175]
	s_waitcnt lgkmcnt(0)
	v_xor_b32_e32 v175, 0x80000000, v169
	v_xor_b32_e32 v177, 0x80000000, v171
	v_cmp_gt_f64_e32 vcc, 0, v[170:171]
	v_cmp_gt_f64_e64 s[0:1], 0, v[168:169]
	v_mov_b32_e32 v174, v168
	v_mov_b32_e32 v176, v170
	v_cndmask_b32_e64 v175, v169, v175, s[0:1]
	v_cndmask_b32_e32 v177, v171, v177, vcc
	v_add_f64 v[174:175], v[174:175], v[176:177]
	v_mov_b32_e32 v178, s16
	s_add_i32 s16, s16, 1
	v_cmp_lt_f64_e32 vcc, v[172:173], v[174:175]
	v_add_u32_e32 v163, 16, v163
	s_cmp_lg_u32 s20, s16
	v_cndmask_b32_e32 v153, v153, v169, vcc
	v_cndmask_b32_e32 v152, v152, v168, vcc
	;; [unrolled: 1-line block ×5, first 2 shown]
	s_cbranch_scc1 .LBB74_694
.LBB74_695:
	s_waitcnt lgkmcnt(0)
	v_cmp_eq_f64_e32 vcc, 0, v[152:153]
	v_cmp_eq_f64_e64 s[0:1], 0, v[154:155]
	s_and_b64 s[0:1], vcc, s[0:1]
	s_and_saveexec_b64 s[16:17], s[0:1]
	s_xor_b64 s[0:1], exec, s[16:17]
; %bb.696:
	v_cmp_ne_u32_e32 vcc, 0, v166
	s_nop 1
	v_cndmask_b32_e32 v166, 34, v166, vcc
; %bb.697:
	s_andn2_saveexec_b64 s[0:1], s[0:1]
	s_cbranch_execz .LBB74_703
; %bb.698:
	v_cmp_ngt_f64_e64 s[16:17], |v[152:153]|, |v[154:155]|
	s_and_saveexec_b64 s[18:19], s[16:17]
	s_xor_b64 s[16:17], exec, s[18:19]
	s_cbranch_execz .LBB74_700
; %bb.699:
	v_div_scale_f64 v[168:169], s[18:19], v[154:155], v[154:155], v[152:153]
	v_rcp_f64_e32 v[170:171], v[168:169]
	v_div_scale_f64 v[172:173], vcc, v[152:153], v[154:155], v[152:153]
	v_fma_f64 v[174:175], -v[168:169], v[170:171], 1.0
	v_fmac_f64_e32 v[170:171], v[170:171], v[174:175]
	v_fma_f64 v[174:175], -v[168:169], v[170:171], 1.0
	v_fmac_f64_e32 v[170:171], v[170:171], v[174:175]
	v_mul_f64 v[174:175], v[172:173], v[170:171]
	v_fma_f64 v[168:169], -v[168:169], v[174:175], v[172:173]
	v_div_fmas_f64 v[168:169], v[168:169], v[170:171], v[174:175]
	v_div_fixup_f64 v[168:169], v[168:169], v[154:155], v[152:153]
	v_fmac_f64_e32 v[154:155], v[152:153], v[168:169]
	v_div_scale_f64 v[152:153], s[18:19], v[154:155], v[154:155], 1.0
	v_rcp_f64_e32 v[170:171], v[152:153]
	s_nop 0
	v_fma_f64 v[172:173], -v[152:153], v[170:171], 1.0
	v_fmac_f64_e32 v[170:171], v[170:171], v[172:173]
	v_fma_f64 v[172:173], -v[152:153], v[170:171], 1.0
	v_fmac_f64_e32 v[170:171], v[170:171], v[172:173]
	v_div_scale_f64 v[172:173], vcc, 1.0, v[154:155], 1.0
	v_mul_f64 v[174:175], v[172:173], v[170:171]
	v_fma_f64 v[152:153], -v[152:153], v[174:175], v[172:173]
	s_nop 1
	v_div_fmas_f64 v[152:153], v[152:153], v[170:171], v[174:175]
	v_div_fixup_f64 v[154:155], v[152:153], v[154:155], 1.0
	v_mul_f64 v[152:153], v[168:169], v[154:155]
	v_xor_b32_e32 v155, 0x80000000, v155
.LBB74_700:
	s_andn2_saveexec_b64 s[16:17], s[16:17]
	s_cbranch_execz .LBB74_702
; %bb.701:
	v_div_scale_f64 v[168:169], s[18:19], v[152:153], v[152:153], v[154:155]
	v_rcp_f64_e32 v[170:171], v[168:169]
	v_div_scale_f64 v[172:173], vcc, v[154:155], v[152:153], v[154:155]
	v_fma_f64 v[174:175], -v[168:169], v[170:171], 1.0
	v_fmac_f64_e32 v[170:171], v[170:171], v[174:175]
	v_fma_f64 v[174:175], -v[168:169], v[170:171], 1.0
	v_fmac_f64_e32 v[170:171], v[170:171], v[174:175]
	v_mul_f64 v[174:175], v[172:173], v[170:171]
	v_fma_f64 v[168:169], -v[168:169], v[174:175], v[172:173]
	v_div_fmas_f64 v[168:169], v[168:169], v[170:171], v[174:175]
	v_div_fixup_f64 v[168:169], v[168:169], v[152:153], v[154:155]
	v_fmac_f64_e32 v[152:153], v[154:155], v[168:169]
	v_div_scale_f64 v[154:155], s[18:19], v[152:153], v[152:153], 1.0
	v_rcp_f64_e32 v[170:171], v[154:155]
	s_nop 0
	v_fma_f64 v[172:173], -v[154:155], v[170:171], 1.0
	v_fmac_f64_e32 v[170:171], v[170:171], v[172:173]
	v_fma_f64 v[172:173], -v[154:155], v[170:171], 1.0
	v_fmac_f64_e32 v[170:171], v[170:171], v[172:173]
	v_div_scale_f64 v[172:173], vcc, 1.0, v[152:153], 1.0
	v_mul_f64 v[174:175], v[172:173], v[170:171]
	v_fma_f64 v[154:155], -v[154:155], v[174:175], v[172:173]
	s_nop 1
	v_div_fmas_f64 v[154:155], v[154:155], v[170:171], v[174:175]
	v_div_fixup_f64 v[152:153], v[154:155], v[152:153], 1.0
	v_mul_f64 v[154:155], v[168:169], -v[152:153]
.LBB74_702:
	s_or_b64 exec, exec, s[16:17]
.LBB74_703:
	s_or_b64 exec, exec, s[0:1]
	v_cmp_ne_u32_e32 vcc, v165, v162
	s_and_saveexec_b64 s[0:1], vcc
	s_xor_b64 s[0:1], exec, s[0:1]
	s_cbranch_execz .LBB74_709
; %bb.704:
	v_cmp_eq_u32_e32 vcc, 33, v165
	s_and_saveexec_b64 s[16:17], vcc
	s_cbranch_execz .LBB74_708
; %bb.705:
	v_cmp_ne_u32_e32 vcc, 33, v162
	s_xor_b64 s[18:19], s[14:15], -1
	s_and_b64 s[22:23], s[18:19], vcc
	s_and_saveexec_b64 s[18:19], s[22:23]
	s_cbranch_execz .LBB74_707
; %bb.706:
	v_ashrrev_i32_e32 v163, 31, v162
	v_lshl_add_u64 v[168:169], v[162:163], 2, v[160:161]
	global_load_dword v163, v[168:169], off
	global_load_dword v165, v[160:161], off offset:132
	s_waitcnt vmcnt(1)
	global_store_dword v[160:161], v163, off offset:132
	s_waitcnt vmcnt(1)
	global_store_dword v[168:169], v165, off
.LBB74_707:
	s_or_b64 exec, exec, s[18:19]
	v_mov_b32_e32 v165, v162
	v_mov_b32_e32 v167, v162
.LBB74_708:
	s_or_b64 exec, exec, s[16:17]
.LBB74_709:
	s_andn2_saveexec_b64 s[0:1], s[0:1]
	s_cbranch_execz .LBB74_711
; %bb.710:
	v_mov_b32_e32 v165, 33
	s_waitcnt vmcnt(3)
	ds_write2_b64 v164, v[8:9], v[10:11] offset0:68 offset1:69
	s_waitcnt vmcnt(2)
	ds_write2_b64 v164, v[4:5], v[6:7] offset0:70 offset1:71
	;; [unrolled: 2-line block ×4, first 2 shown]
.LBB74_711:
	s_or_b64 exec, exec, s[0:1]
	v_cmp_lt_i32_e32 vcc, 33, v165
	s_waitcnt lgkmcnt(0)
	s_barrier
	s_and_saveexec_b64 s[0:1], vcc
	s_cbranch_execz .LBB74_713
; %bb.712:
	ds_read2_b64 v[168:171], v164 offset0:68 offset1:69
	v_mul_f64 v[162:163], v[152:153], v[14:15]
	v_mul_f64 v[14:15], v[154:155], v[14:15]
	v_fmac_f64_e32 v[162:163], v[154:155], v[12:13]
	v_fma_f64 v[12:13], v[152:153], v[12:13], -v[14:15]
	ds_read2_b64 v[152:155], v164 offset0:70 offset1:71
	s_waitcnt lgkmcnt(1)
	v_mul_f64 v[14:15], v[170:171], v[162:163]
	v_fma_f64 v[14:15], v[168:169], v[12:13], -v[14:15]
	v_mul_f64 v[168:169], v[168:169], v[162:163]
	v_fmac_f64_e32 v[168:169], v[170:171], v[12:13]
	s_waitcnt vmcnt(3)
	v_add_f64 v[8:9], v[8:9], -v[14:15]
	s_waitcnt lgkmcnt(0)
	v_mul_f64 v[14:15], v[154:155], v[162:163]
	v_add_f64 v[10:11], v[10:11], -v[168:169]
	v_fma_f64 v[14:15], v[152:153], v[12:13], -v[14:15]
	v_mul_f64 v[152:153], v[152:153], v[162:163]
	ds_read2_b64 v[168:171], v164 offset0:72 offset1:73
	v_fmac_f64_e32 v[152:153], v[154:155], v[12:13]
	s_waitcnt vmcnt(2)
	v_add_f64 v[6:7], v[6:7], -v[152:153]
	ds_read2_b64 v[152:155], v164 offset0:74 offset1:75
	v_add_f64 v[4:5], v[4:5], -v[14:15]
	s_waitcnt lgkmcnt(1)
	v_mul_f64 v[14:15], v[170:171], v[162:163]
	v_fma_f64 v[14:15], v[168:169], v[12:13], -v[14:15]
	s_waitcnt vmcnt(1)
	v_add_f64 v[0:1], v[0:1], -v[14:15]
	s_waitcnt lgkmcnt(0)
	v_mul_f64 v[14:15], v[154:155], v[162:163]
	v_mul_f64 v[168:169], v[168:169], v[162:163]
	v_fma_f64 v[14:15], v[152:153], v[12:13], -v[14:15]
	v_mul_f64 v[152:153], v[152:153], v[162:163]
	v_fmac_f64_e32 v[168:169], v[170:171], v[12:13]
	v_fmac_f64_e32 v[152:153], v[154:155], v[12:13]
	v_add_f64 v[2:3], v[2:3], -v[168:169]
	s_waitcnt vmcnt(0)
	v_add_f64 v[148:149], v[148:149], -v[14:15]
	v_add_f64 v[150:151], v[150:151], -v[152:153]
	v_mov_b64_e32 v[14:15], v[162:163]
.LBB74_713:
	s_or_b64 exec, exec, s[0:1]
	v_lshl_add_u32 v152, v165, 4, v164
	s_barrier
	s_waitcnt vmcnt(3)
	ds_write2_b64 v152, v[8:9], v[10:11] offset1:1
	s_waitcnt lgkmcnt(0)
	s_barrier
	ds_read2_b64 v[152:155], v164 offset0:68 offset1:69
	s_cmp_lt_i32 s20, 36
	v_mov_b32_e32 v162, 34
	s_cbranch_scc1 .LBB74_716
; %bb.714:
	v_add_u32_e32 v163, 0x230, v164
	s_mov_b32 s16, 35
	v_mov_b32_e32 v162, 34
.LBB74_715:                             ; =>This Inner Loop Header: Depth=1
	ds_read2_b64 v[168:171], v163 offset1:1
	s_waitcnt lgkmcnt(1)
	v_xor_b32_e32 v173, 0x80000000, v153
	v_xor_b32_e32 v175, 0x80000000, v155
	v_cmp_gt_f64_e32 vcc, 0, v[154:155]
	v_cmp_gt_f64_e64 s[0:1], 0, v[152:153]
	v_mov_b32_e32 v172, v152
	v_mov_b32_e32 v174, v154
	v_cndmask_b32_e64 v173, v153, v173, s[0:1]
	v_cndmask_b32_e32 v175, v155, v175, vcc
	v_add_f64 v[172:173], v[172:173], v[174:175]
	s_waitcnt lgkmcnt(0)
	v_xor_b32_e32 v175, 0x80000000, v169
	v_xor_b32_e32 v177, 0x80000000, v171
	v_cmp_gt_f64_e32 vcc, 0, v[170:171]
	v_cmp_gt_f64_e64 s[0:1], 0, v[168:169]
	v_mov_b32_e32 v174, v168
	v_mov_b32_e32 v176, v170
	v_cndmask_b32_e64 v175, v169, v175, s[0:1]
	v_cndmask_b32_e32 v177, v171, v177, vcc
	v_add_f64 v[174:175], v[174:175], v[176:177]
	v_mov_b32_e32 v178, s16
	s_add_i32 s16, s16, 1
	v_cmp_lt_f64_e32 vcc, v[172:173], v[174:175]
	v_add_u32_e32 v163, 16, v163
	s_cmp_lg_u32 s20, s16
	v_cndmask_b32_e32 v153, v153, v169, vcc
	v_cndmask_b32_e32 v152, v152, v168, vcc
	v_cndmask_b32_e32 v155, v155, v171, vcc
	v_cndmask_b32_e32 v154, v154, v170, vcc
	v_cndmask_b32_e32 v162, v162, v178, vcc
	s_cbranch_scc1 .LBB74_715
.LBB74_716:
	s_waitcnt lgkmcnt(0)
	v_cmp_eq_f64_e32 vcc, 0, v[152:153]
	v_cmp_eq_f64_e64 s[0:1], 0, v[154:155]
	s_and_b64 s[0:1], vcc, s[0:1]
	s_and_saveexec_b64 s[16:17], s[0:1]
	s_xor_b64 s[0:1], exec, s[16:17]
; %bb.717:
	v_cmp_ne_u32_e32 vcc, 0, v166
	s_nop 1
	v_cndmask_b32_e32 v166, 35, v166, vcc
; %bb.718:
	s_andn2_saveexec_b64 s[0:1], s[0:1]
	s_cbranch_execz .LBB74_724
; %bb.719:
	v_cmp_ngt_f64_e64 s[16:17], |v[152:153]|, |v[154:155]|
	s_and_saveexec_b64 s[18:19], s[16:17]
	s_xor_b64 s[16:17], exec, s[18:19]
	s_cbranch_execz .LBB74_721
; %bb.720:
	v_div_scale_f64 v[168:169], s[18:19], v[154:155], v[154:155], v[152:153]
	v_rcp_f64_e32 v[170:171], v[168:169]
	v_div_scale_f64 v[172:173], vcc, v[152:153], v[154:155], v[152:153]
	v_fma_f64 v[174:175], -v[168:169], v[170:171], 1.0
	v_fmac_f64_e32 v[170:171], v[170:171], v[174:175]
	v_fma_f64 v[174:175], -v[168:169], v[170:171], 1.0
	v_fmac_f64_e32 v[170:171], v[170:171], v[174:175]
	v_mul_f64 v[174:175], v[172:173], v[170:171]
	v_fma_f64 v[168:169], -v[168:169], v[174:175], v[172:173]
	v_div_fmas_f64 v[168:169], v[168:169], v[170:171], v[174:175]
	v_div_fixup_f64 v[168:169], v[168:169], v[154:155], v[152:153]
	v_fmac_f64_e32 v[154:155], v[152:153], v[168:169]
	v_div_scale_f64 v[152:153], s[18:19], v[154:155], v[154:155], 1.0
	v_rcp_f64_e32 v[170:171], v[152:153]
	s_nop 0
	v_fma_f64 v[172:173], -v[152:153], v[170:171], 1.0
	v_fmac_f64_e32 v[170:171], v[170:171], v[172:173]
	v_fma_f64 v[172:173], -v[152:153], v[170:171], 1.0
	v_fmac_f64_e32 v[170:171], v[170:171], v[172:173]
	v_div_scale_f64 v[172:173], vcc, 1.0, v[154:155], 1.0
	v_mul_f64 v[174:175], v[172:173], v[170:171]
	v_fma_f64 v[152:153], -v[152:153], v[174:175], v[172:173]
	s_nop 1
	v_div_fmas_f64 v[152:153], v[152:153], v[170:171], v[174:175]
	v_div_fixup_f64 v[154:155], v[152:153], v[154:155], 1.0
	v_mul_f64 v[152:153], v[168:169], v[154:155]
	v_xor_b32_e32 v155, 0x80000000, v155
.LBB74_721:
	s_andn2_saveexec_b64 s[16:17], s[16:17]
	s_cbranch_execz .LBB74_723
; %bb.722:
	v_div_scale_f64 v[168:169], s[18:19], v[152:153], v[152:153], v[154:155]
	v_rcp_f64_e32 v[170:171], v[168:169]
	v_div_scale_f64 v[172:173], vcc, v[154:155], v[152:153], v[154:155]
	v_fma_f64 v[174:175], -v[168:169], v[170:171], 1.0
	v_fmac_f64_e32 v[170:171], v[170:171], v[174:175]
	v_fma_f64 v[174:175], -v[168:169], v[170:171], 1.0
	v_fmac_f64_e32 v[170:171], v[170:171], v[174:175]
	v_mul_f64 v[174:175], v[172:173], v[170:171]
	v_fma_f64 v[168:169], -v[168:169], v[174:175], v[172:173]
	v_div_fmas_f64 v[168:169], v[168:169], v[170:171], v[174:175]
	v_div_fixup_f64 v[168:169], v[168:169], v[152:153], v[154:155]
	v_fmac_f64_e32 v[152:153], v[154:155], v[168:169]
	v_div_scale_f64 v[154:155], s[18:19], v[152:153], v[152:153], 1.0
	v_rcp_f64_e32 v[170:171], v[154:155]
	s_nop 0
	v_fma_f64 v[172:173], -v[154:155], v[170:171], 1.0
	v_fmac_f64_e32 v[170:171], v[170:171], v[172:173]
	v_fma_f64 v[172:173], -v[154:155], v[170:171], 1.0
	v_fmac_f64_e32 v[170:171], v[170:171], v[172:173]
	v_div_scale_f64 v[172:173], vcc, 1.0, v[152:153], 1.0
	v_mul_f64 v[174:175], v[172:173], v[170:171]
	v_fma_f64 v[154:155], -v[154:155], v[174:175], v[172:173]
	s_nop 1
	v_div_fmas_f64 v[154:155], v[154:155], v[170:171], v[174:175]
	v_div_fixup_f64 v[152:153], v[154:155], v[152:153], 1.0
	v_mul_f64 v[154:155], v[168:169], -v[152:153]
.LBB74_723:
	s_or_b64 exec, exec, s[16:17]
.LBB74_724:
	s_or_b64 exec, exec, s[0:1]
	v_cmp_ne_u32_e32 vcc, v165, v162
	s_and_saveexec_b64 s[0:1], vcc
	s_xor_b64 s[0:1], exec, s[0:1]
	s_cbranch_execz .LBB74_730
; %bb.725:
	v_cmp_eq_u32_e32 vcc, 34, v165
	s_and_saveexec_b64 s[16:17], vcc
	s_cbranch_execz .LBB74_729
; %bb.726:
	v_cmp_ne_u32_e32 vcc, 34, v162
	s_xor_b64 s[18:19], s[14:15], -1
	s_and_b64 s[22:23], s[18:19], vcc
	s_and_saveexec_b64 s[18:19], s[22:23]
	s_cbranch_execz .LBB74_728
; %bb.727:
	v_ashrrev_i32_e32 v163, 31, v162
	v_lshl_add_u64 v[168:169], v[162:163], 2, v[160:161]
	global_load_dword v163, v[168:169], off
	global_load_dword v165, v[160:161], off offset:136
	s_waitcnt vmcnt(1)
	global_store_dword v[160:161], v163, off offset:136
	s_waitcnt vmcnt(1)
	global_store_dword v[168:169], v165, off
.LBB74_728:
	s_or_b64 exec, exec, s[18:19]
	v_mov_b32_e32 v165, v162
	v_mov_b32_e32 v167, v162
.LBB74_729:
	s_or_b64 exec, exec, s[16:17]
.LBB74_730:
	s_andn2_saveexec_b64 s[0:1], s[0:1]
	s_cbranch_execz .LBB74_732
; %bb.731:
	v_mov_b32_e32 v165, 34
	s_waitcnt vmcnt(2)
	ds_write2_b64 v164, v[4:5], v[6:7] offset0:70 offset1:71
	s_waitcnt vmcnt(1)
	ds_write2_b64 v164, v[0:1], v[2:3] offset0:72 offset1:73
	;; [unrolled: 2-line block ×3, first 2 shown]
.LBB74_732:
	s_or_b64 exec, exec, s[0:1]
	v_cmp_lt_i32_e32 vcc, 34, v165
	s_waitcnt lgkmcnt(0)
	s_barrier
	s_and_saveexec_b64 s[0:1], vcc
	s_cbranch_execz .LBB74_734
; %bb.733:
	ds_read2_b64 v[168:171], v164 offset0:70 offset1:71
	v_mul_f64 v[162:163], v[152:153], v[10:11]
	v_fmac_f64_e32 v[162:163], v[154:155], v[8:9]
	v_mul_f64 v[10:11], v[154:155], v[10:11]
	v_fma_f64 v[8:9], v[152:153], v[8:9], -v[10:11]
	ds_read2_b64 v[152:155], v164 offset0:72 offset1:73
	s_waitcnt lgkmcnt(1)
	v_mul_f64 v[10:11], v[170:171], v[162:163]
	v_fma_f64 v[10:11], v[168:169], v[8:9], -v[10:11]
	v_mul_f64 v[168:169], v[168:169], v[162:163]
	v_fmac_f64_e32 v[168:169], v[170:171], v[8:9]
	s_waitcnt vmcnt(2)
	v_add_f64 v[6:7], v[6:7], -v[168:169]
	ds_read2_b64 v[168:171], v164 offset0:74 offset1:75
	v_add_f64 v[4:5], v[4:5], -v[10:11]
	s_waitcnt lgkmcnt(1)
	v_mul_f64 v[10:11], v[154:155], v[162:163]
	v_fma_f64 v[10:11], v[152:153], v[8:9], -v[10:11]
	v_mul_f64 v[152:153], v[152:153], v[162:163]
	v_fmac_f64_e32 v[152:153], v[154:155], v[8:9]
	s_waitcnt vmcnt(1)
	v_add_f64 v[0:1], v[0:1], -v[10:11]
	v_add_f64 v[2:3], v[2:3], -v[152:153]
	s_waitcnt lgkmcnt(0)
	v_mul_f64 v[10:11], v[170:171], v[162:163]
	v_mul_f64 v[152:153], v[168:169], v[162:163]
	v_fma_f64 v[10:11], v[168:169], v[8:9], -v[10:11]
	v_fmac_f64_e32 v[152:153], v[170:171], v[8:9]
	s_waitcnt vmcnt(0)
	v_add_f64 v[148:149], v[148:149], -v[10:11]
	v_add_f64 v[150:151], v[150:151], -v[152:153]
	v_mov_b64_e32 v[10:11], v[162:163]
.LBB74_734:
	s_or_b64 exec, exec, s[0:1]
	v_lshl_add_u32 v152, v165, 4, v164
	s_barrier
	s_waitcnt vmcnt(2)
	ds_write2_b64 v152, v[4:5], v[6:7] offset1:1
	s_waitcnt lgkmcnt(0)
	s_barrier
	ds_read2_b64 v[152:155], v164 offset0:70 offset1:71
	s_cmp_lt_i32 s20, 37
	v_mov_b32_e32 v162, 35
	s_cbranch_scc1 .LBB74_737
; %bb.735:
	v_add_u32_e32 v163, 0x240, v164
	s_mov_b32 s16, 36
	v_mov_b32_e32 v162, 35
.LBB74_736:                             ; =>This Inner Loop Header: Depth=1
	ds_read2_b64 v[168:171], v163 offset1:1
	s_waitcnt lgkmcnt(1)
	v_xor_b32_e32 v173, 0x80000000, v153
	v_xor_b32_e32 v175, 0x80000000, v155
	v_cmp_gt_f64_e32 vcc, 0, v[154:155]
	v_cmp_gt_f64_e64 s[0:1], 0, v[152:153]
	v_mov_b32_e32 v172, v152
	v_mov_b32_e32 v174, v154
	v_cndmask_b32_e64 v173, v153, v173, s[0:1]
	v_cndmask_b32_e32 v175, v155, v175, vcc
	v_add_f64 v[172:173], v[172:173], v[174:175]
	s_waitcnt lgkmcnt(0)
	v_xor_b32_e32 v175, 0x80000000, v169
	v_xor_b32_e32 v177, 0x80000000, v171
	v_cmp_gt_f64_e32 vcc, 0, v[170:171]
	v_cmp_gt_f64_e64 s[0:1], 0, v[168:169]
	v_mov_b32_e32 v174, v168
	v_mov_b32_e32 v176, v170
	v_cndmask_b32_e64 v175, v169, v175, s[0:1]
	v_cndmask_b32_e32 v177, v171, v177, vcc
	v_add_f64 v[174:175], v[174:175], v[176:177]
	v_mov_b32_e32 v178, s16
	s_add_i32 s16, s16, 1
	v_cmp_lt_f64_e32 vcc, v[172:173], v[174:175]
	v_add_u32_e32 v163, 16, v163
	s_cmp_lg_u32 s20, s16
	v_cndmask_b32_e32 v153, v153, v169, vcc
	v_cndmask_b32_e32 v152, v152, v168, vcc
	;; [unrolled: 1-line block ×5, first 2 shown]
	s_cbranch_scc1 .LBB74_736
.LBB74_737:
	s_waitcnt lgkmcnt(0)
	v_cmp_eq_f64_e32 vcc, 0, v[152:153]
	v_cmp_eq_f64_e64 s[0:1], 0, v[154:155]
	s_and_b64 s[0:1], vcc, s[0:1]
	s_and_saveexec_b64 s[16:17], s[0:1]
	s_xor_b64 s[0:1], exec, s[16:17]
; %bb.738:
	v_cmp_ne_u32_e32 vcc, 0, v166
	s_nop 1
	v_cndmask_b32_e32 v166, 36, v166, vcc
; %bb.739:
	s_andn2_saveexec_b64 s[0:1], s[0:1]
	s_cbranch_execz .LBB74_745
; %bb.740:
	v_cmp_ngt_f64_e64 s[16:17], |v[152:153]|, |v[154:155]|
	s_and_saveexec_b64 s[18:19], s[16:17]
	s_xor_b64 s[16:17], exec, s[18:19]
	s_cbranch_execz .LBB74_742
; %bb.741:
	v_div_scale_f64 v[168:169], s[18:19], v[154:155], v[154:155], v[152:153]
	v_rcp_f64_e32 v[170:171], v[168:169]
	v_div_scale_f64 v[172:173], vcc, v[152:153], v[154:155], v[152:153]
	v_fma_f64 v[174:175], -v[168:169], v[170:171], 1.0
	v_fmac_f64_e32 v[170:171], v[170:171], v[174:175]
	v_fma_f64 v[174:175], -v[168:169], v[170:171], 1.0
	v_fmac_f64_e32 v[170:171], v[170:171], v[174:175]
	v_mul_f64 v[174:175], v[172:173], v[170:171]
	v_fma_f64 v[168:169], -v[168:169], v[174:175], v[172:173]
	v_div_fmas_f64 v[168:169], v[168:169], v[170:171], v[174:175]
	v_div_fixup_f64 v[168:169], v[168:169], v[154:155], v[152:153]
	v_fmac_f64_e32 v[154:155], v[152:153], v[168:169]
	v_div_scale_f64 v[152:153], s[18:19], v[154:155], v[154:155], 1.0
	v_rcp_f64_e32 v[170:171], v[152:153]
	s_nop 0
	v_fma_f64 v[172:173], -v[152:153], v[170:171], 1.0
	v_fmac_f64_e32 v[170:171], v[170:171], v[172:173]
	v_fma_f64 v[172:173], -v[152:153], v[170:171], 1.0
	v_fmac_f64_e32 v[170:171], v[170:171], v[172:173]
	v_div_scale_f64 v[172:173], vcc, 1.0, v[154:155], 1.0
	v_mul_f64 v[174:175], v[172:173], v[170:171]
	v_fma_f64 v[152:153], -v[152:153], v[174:175], v[172:173]
	s_nop 1
	v_div_fmas_f64 v[152:153], v[152:153], v[170:171], v[174:175]
	v_div_fixup_f64 v[154:155], v[152:153], v[154:155], 1.0
	v_mul_f64 v[152:153], v[168:169], v[154:155]
	v_xor_b32_e32 v155, 0x80000000, v155
.LBB74_742:
	s_andn2_saveexec_b64 s[16:17], s[16:17]
	s_cbranch_execz .LBB74_744
; %bb.743:
	v_div_scale_f64 v[168:169], s[18:19], v[152:153], v[152:153], v[154:155]
	v_rcp_f64_e32 v[170:171], v[168:169]
	v_div_scale_f64 v[172:173], vcc, v[154:155], v[152:153], v[154:155]
	v_fma_f64 v[174:175], -v[168:169], v[170:171], 1.0
	v_fmac_f64_e32 v[170:171], v[170:171], v[174:175]
	v_fma_f64 v[174:175], -v[168:169], v[170:171], 1.0
	v_fmac_f64_e32 v[170:171], v[170:171], v[174:175]
	v_mul_f64 v[174:175], v[172:173], v[170:171]
	v_fma_f64 v[168:169], -v[168:169], v[174:175], v[172:173]
	v_div_fmas_f64 v[168:169], v[168:169], v[170:171], v[174:175]
	v_div_fixup_f64 v[168:169], v[168:169], v[152:153], v[154:155]
	v_fmac_f64_e32 v[152:153], v[154:155], v[168:169]
	v_div_scale_f64 v[154:155], s[18:19], v[152:153], v[152:153], 1.0
	v_rcp_f64_e32 v[170:171], v[154:155]
	s_nop 0
	v_fma_f64 v[172:173], -v[154:155], v[170:171], 1.0
	v_fmac_f64_e32 v[170:171], v[170:171], v[172:173]
	v_fma_f64 v[172:173], -v[154:155], v[170:171], 1.0
	v_fmac_f64_e32 v[170:171], v[170:171], v[172:173]
	v_div_scale_f64 v[172:173], vcc, 1.0, v[152:153], 1.0
	v_mul_f64 v[174:175], v[172:173], v[170:171]
	v_fma_f64 v[154:155], -v[154:155], v[174:175], v[172:173]
	s_nop 1
	v_div_fmas_f64 v[154:155], v[154:155], v[170:171], v[174:175]
	v_div_fixup_f64 v[152:153], v[154:155], v[152:153], 1.0
	v_mul_f64 v[154:155], v[168:169], -v[152:153]
.LBB74_744:
	s_or_b64 exec, exec, s[16:17]
.LBB74_745:
	s_or_b64 exec, exec, s[0:1]
	v_cmp_ne_u32_e32 vcc, v165, v162
	s_and_saveexec_b64 s[0:1], vcc
	s_xor_b64 s[0:1], exec, s[0:1]
	s_cbranch_execz .LBB74_751
; %bb.746:
	v_cmp_eq_u32_e32 vcc, 35, v165
	s_and_saveexec_b64 s[16:17], vcc
	s_cbranch_execz .LBB74_750
; %bb.747:
	v_cmp_ne_u32_e32 vcc, 35, v162
	s_xor_b64 s[18:19], s[14:15], -1
	s_and_b64 s[22:23], s[18:19], vcc
	s_and_saveexec_b64 s[18:19], s[22:23]
	s_cbranch_execz .LBB74_749
; %bb.748:
	v_ashrrev_i32_e32 v163, 31, v162
	v_lshl_add_u64 v[168:169], v[162:163], 2, v[160:161]
	global_load_dword v163, v[168:169], off
	global_load_dword v165, v[160:161], off offset:140
	s_waitcnt vmcnt(1)
	global_store_dword v[160:161], v163, off offset:140
	s_waitcnt vmcnt(1)
	global_store_dword v[168:169], v165, off
.LBB74_749:
	s_or_b64 exec, exec, s[18:19]
	v_mov_b32_e32 v165, v162
	v_mov_b32_e32 v167, v162
.LBB74_750:
	s_or_b64 exec, exec, s[16:17]
.LBB74_751:
	s_andn2_saveexec_b64 s[0:1], s[0:1]
	s_cbranch_execz .LBB74_753
; %bb.752:
	v_mov_b32_e32 v165, 35
	s_waitcnt vmcnt(1)
	ds_write2_b64 v164, v[0:1], v[2:3] offset0:72 offset1:73
	s_waitcnt vmcnt(0)
	ds_write2_b64 v164, v[148:149], v[150:151] offset0:74 offset1:75
.LBB74_753:
	s_or_b64 exec, exec, s[0:1]
	v_cmp_lt_i32_e32 vcc, 35, v165
	s_waitcnt lgkmcnt(0)
	s_barrier
	s_and_saveexec_b64 s[0:1], vcc
	s_cbranch_execz .LBB74_755
; %bb.754:
	ds_read2_b64 v[168:171], v164 offset0:72 offset1:73
	v_mul_f64 v[162:163], v[152:153], v[6:7]
	v_mul_f64 v[6:7], v[154:155], v[6:7]
	v_fmac_f64_e32 v[162:163], v[154:155], v[4:5]
	v_fma_f64 v[4:5], v[152:153], v[4:5], -v[6:7]
	ds_read2_b64 v[152:155], v164 offset0:74 offset1:75
	s_waitcnt lgkmcnt(1)
	v_mul_f64 v[6:7], v[170:171], v[162:163]
	v_fma_f64 v[6:7], v[168:169], v[4:5], -v[6:7]
	s_waitcnt vmcnt(1)
	v_add_f64 v[0:1], v[0:1], -v[6:7]
	v_mul_f64 v[168:169], v[168:169], v[162:163]
	s_waitcnt lgkmcnt(0)
	v_mul_f64 v[6:7], v[154:155], v[162:163]
	v_fma_f64 v[6:7], v[152:153], v[4:5], -v[6:7]
	v_mul_f64 v[152:153], v[152:153], v[162:163]
	v_fmac_f64_e32 v[168:169], v[170:171], v[4:5]
	v_fmac_f64_e32 v[152:153], v[154:155], v[4:5]
	v_add_f64 v[2:3], v[2:3], -v[168:169]
	s_waitcnt vmcnt(0)
	v_add_f64 v[148:149], v[148:149], -v[6:7]
	v_add_f64 v[150:151], v[150:151], -v[152:153]
	v_mov_b64_e32 v[6:7], v[162:163]
.LBB74_755:
	s_or_b64 exec, exec, s[0:1]
	v_lshl_add_u32 v152, v165, 4, v164
	s_barrier
	s_waitcnt vmcnt(1)
	ds_write2_b64 v152, v[0:1], v[2:3] offset1:1
	s_waitcnt lgkmcnt(0)
	s_barrier
	ds_read2_b64 v[152:155], v164 offset0:72 offset1:73
	s_cmp_lt_i32 s20, 38
	v_mov_b32_e32 v162, 36
	s_cbranch_scc1 .LBB74_758
; %bb.756:
	v_add_u32_e32 v163, 0x250, v164
	s_mov_b32 s16, 37
	v_mov_b32_e32 v162, 36
.LBB74_757:                             ; =>This Inner Loop Header: Depth=1
	ds_read2_b64 v[168:171], v163 offset1:1
	s_waitcnt lgkmcnt(1)
	v_xor_b32_e32 v173, 0x80000000, v153
	v_xor_b32_e32 v175, 0x80000000, v155
	v_cmp_gt_f64_e32 vcc, 0, v[154:155]
	v_cmp_gt_f64_e64 s[0:1], 0, v[152:153]
	v_mov_b32_e32 v172, v152
	v_mov_b32_e32 v174, v154
	v_cndmask_b32_e64 v173, v153, v173, s[0:1]
	v_cndmask_b32_e32 v175, v155, v175, vcc
	v_add_f64 v[172:173], v[172:173], v[174:175]
	s_waitcnt lgkmcnt(0)
	v_xor_b32_e32 v175, 0x80000000, v169
	v_xor_b32_e32 v177, 0x80000000, v171
	v_cmp_gt_f64_e32 vcc, 0, v[170:171]
	v_cmp_gt_f64_e64 s[0:1], 0, v[168:169]
	v_mov_b32_e32 v174, v168
	v_mov_b32_e32 v176, v170
	v_cndmask_b32_e64 v175, v169, v175, s[0:1]
	v_cndmask_b32_e32 v177, v171, v177, vcc
	v_add_f64 v[174:175], v[174:175], v[176:177]
	v_mov_b32_e32 v178, s16
	s_add_i32 s16, s16, 1
	v_cmp_lt_f64_e32 vcc, v[172:173], v[174:175]
	v_add_u32_e32 v163, 16, v163
	s_cmp_lg_u32 s20, s16
	v_cndmask_b32_e32 v153, v153, v169, vcc
	v_cndmask_b32_e32 v152, v152, v168, vcc
	;; [unrolled: 1-line block ×5, first 2 shown]
	s_cbranch_scc1 .LBB74_757
.LBB74_758:
	s_waitcnt lgkmcnt(0)
	v_cmp_eq_f64_e32 vcc, 0, v[152:153]
	v_cmp_eq_f64_e64 s[0:1], 0, v[154:155]
	s_and_b64 s[0:1], vcc, s[0:1]
	s_and_saveexec_b64 s[16:17], s[0:1]
	s_xor_b64 s[0:1], exec, s[16:17]
; %bb.759:
	v_cmp_ne_u32_e32 vcc, 0, v166
	s_nop 1
	v_cndmask_b32_e32 v166, 37, v166, vcc
; %bb.760:
	s_andn2_saveexec_b64 s[0:1], s[0:1]
	s_cbranch_execz .LBB74_766
; %bb.761:
	v_cmp_ngt_f64_e64 s[16:17], |v[152:153]|, |v[154:155]|
	s_and_saveexec_b64 s[18:19], s[16:17]
	s_xor_b64 s[16:17], exec, s[18:19]
	s_cbranch_execz .LBB74_763
; %bb.762:
	v_div_scale_f64 v[168:169], s[18:19], v[154:155], v[154:155], v[152:153]
	v_rcp_f64_e32 v[170:171], v[168:169]
	v_div_scale_f64 v[172:173], vcc, v[152:153], v[154:155], v[152:153]
	v_fma_f64 v[174:175], -v[168:169], v[170:171], 1.0
	v_fmac_f64_e32 v[170:171], v[170:171], v[174:175]
	v_fma_f64 v[174:175], -v[168:169], v[170:171], 1.0
	v_fmac_f64_e32 v[170:171], v[170:171], v[174:175]
	v_mul_f64 v[174:175], v[172:173], v[170:171]
	v_fma_f64 v[168:169], -v[168:169], v[174:175], v[172:173]
	v_div_fmas_f64 v[168:169], v[168:169], v[170:171], v[174:175]
	v_div_fixup_f64 v[168:169], v[168:169], v[154:155], v[152:153]
	v_fmac_f64_e32 v[154:155], v[152:153], v[168:169]
	v_div_scale_f64 v[152:153], s[18:19], v[154:155], v[154:155], 1.0
	v_rcp_f64_e32 v[170:171], v[152:153]
	s_nop 0
	v_fma_f64 v[172:173], -v[152:153], v[170:171], 1.0
	v_fmac_f64_e32 v[170:171], v[170:171], v[172:173]
	v_fma_f64 v[172:173], -v[152:153], v[170:171], 1.0
	v_fmac_f64_e32 v[170:171], v[170:171], v[172:173]
	v_div_scale_f64 v[172:173], vcc, 1.0, v[154:155], 1.0
	v_mul_f64 v[174:175], v[172:173], v[170:171]
	v_fma_f64 v[152:153], -v[152:153], v[174:175], v[172:173]
	s_nop 1
	v_div_fmas_f64 v[152:153], v[152:153], v[170:171], v[174:175]
	v_div_fixup_f64 v[154:155], v[152:153], v[154:155], 1.0
	v_mul_f64 v[152:153], v[168:169], v[154:155]
	v_xor_b32_e32 v155, 0x80000000, v155
.LBB74_763:
	s_andn2_saveexec_b64 s[16:17], s[16:17]
	s_cbranch_execz .LBB74_765
; %bb.764:
	v_div_scale_f64 v[168:169], s[18:19], v[152:153], v[152:153], v[154:155]
	v_rcp_f64_e32 v[170:171], v[168:169]
	v_div_scale_f64 v[172:173], vcc, v[154:155], v[152:153], v[154:155]
	v_fma_f64 v[174:175], -v[168:169], v[170:171], 1.0
	v_fmac_f64_e32 v[170:171], v[170:171], v[174:175]
	v_fma_f64 v[174:175], -v[168:169], v[170:171], 1.0
	v_fmac_f64_e32 v[170:171], v[170:171], v[174:175]
	v_mul_f64 v[174:175], v[172:173], v[170:171]
	v_fma_f64 v[168:169], -v[168:169], v[174:175], v[172:173]
	v_div_fmas_f64 v[168:169], v[168:169], v[170:171], v[174:175]
	v_div_fixup_f64 v[168:169], v[168:169], v[152:153], v[154:155]
	v_fmac_f64_e32 v[152:153], v[154:155], v[168:169]
	v_div_scale_f64 v[154:155], s[18:19], v[152:153], v[152:153], 1.0
	v_rcp_f64_e32 v[170:171], v[154:155]
	s_nop 0
	v_fma_f64 v[172:173], -v[154:155], v[170:171], 1.0
	v_fmac_f64_e32 v[170:171], v[170:171], v[172:173]
	v_fma_f64 v[172:173], -v[154:155], v[170:171], 1.0
	v_fmac_f64_e32 v[170:171], v[170:171], v[172:173]
	v_div_scale_f64 v[172:173], vcc, 1.0, v[152:153], 1.0
	v_mul_f64 v[174:175], v[172:173], v[170:171]
	v_fma_f64 v[154:155], -v[154:155], v[174:175], v[172:173]
	s_nop 1
	v_div_fmas_f64 v[154:155], v[154:155], v[170:171], v[174:175]
	v_div_fixup_f64 v[152:153], v[154:155], v[152:153], 1.0
	v_mul_f64 v[154:155], v[168:169], -v[152:153]
.LBB74_765:
	s_or_b64 exec, exec, s[16:17]
.LBB74_766:
	s_or_b64 exec, exec, s[0:1]
	v_cmp_ne_u32_e32 vcc, v165, v162
	s_and_saveexec_b64 s[0:1], vcc
	s_xor_b64 s[0:1], exec, s[0:1]
	s_cbranch_execz .LBB74_772
; %bb.767:
	v_cmp_eq_u32_e32 vcc, 36, v165
	s_and_saveexec_b64 s[16:17], vcc
	s_cbranch_execz .LBB74_771
; %bb.768:
	v_cmp_ne_u32_e32 vcc, 36, v162
	s_xor_b64 s[18:19], s[14:15], -1
	s_and_b64 s[22:23], s[18:19], vcc
	s_and_saveexec_b64 s[18:19], s[22:23]
	s_cbranch_execz .LBB74_770
; %bb.769:
	v_ashrrev_i32_e32 v163, 31, v162
	v_lshl_add_u64 v[168:169], v[162:163], 2, v[160:161]
	global_load_dword v163, v[168:169], off
	global_load_dword v165, v[160:161], off offset:144
	s_waitcnt vmcnt(1)
	global_store_dword v[160:161], v163, off offset:144
	s_waitcnt vmcnt(1)
	global_store_dword v[168:169], v165, off
.LBB74_770:
	s_or_b64 exec, exec, s[18:19]
	v_mov_b32_e32 v165, v162
	v_mov_b32_e32 v167, v162
.LBB74_771:
	s_or_b64 exec, exec, s[16:17]
.LBB74_772:
	s_andn2_saveexec_b64 s[0:1], s[0:1]
	s_cbranch_execz .LBB74_774
; %bb.773:
	v_mov_b32_e32 v165, 36
	s_waitcnt vmcnt(0)
	ds_write2_b64 v164, v[148:149], v[150:151] offset0:74 offset1:75
.LBB74_774:
	s_or_b64 exec, exec, s[0:1]
	v_cmp_lt_i32_e32 vcc, 36, v165
	s_waitcnt lgkmcnt(0)
	s_barrier
	s_and_saveexec_b64 s[0:1], vcc
	s_cbranch_execz .LBB74_776
; %bb.775:
	ds_read2_b64 v[168:171], v164 offset0:74 offset1:75
	v_mul_f64 v[162:163], v[152:153], v[2:3]
	v_mul_f64 v[2:3], v[154:155], v[2:3]
	v_fmac_f64_e32 v[162:163], v[154:155], v[0:1]
	v_fma_f64 v[0:1], v[152:153], v[0:1], -v[2:3]
	s_waitcnt lgkmcnt(0)
	v_mul_f64 v[2:3], v[170:171], v[162:163]
	v_mul_f64 v[152:153], v[168:169], v[162:163]
	v_fma_f64 v[2:3], v[168:169], v[0:1], -v[2:3]
	v_fmac_f64_e32 v[152:153], v[170:171], v[0:1]
	s_waitcnt vmcnt(0)
	v_add_f64 v[148:149], v[148:149], -v[2:3]
	v_add_f64 v[150:151], v[150:151], -v[152:153]
	v_mov_b64_e32 v[2:3], v[162:163]
.LBB74_776:
	s_or_b64 exec, exec, s[0:1]
	v_lshl_add_u32 v152, v165, 4, v164
	s_barrier
	s_waitcnt vmcnt(0)
	ds_write2_b64 v152, v[148:149], v[150:151] offset1:1
	s_waitcnt lgkmcnt(0)
	s_barrier
	ds_read2_b64 v[152:155], v164 offset0:74 offset1:75
	s_cmp_lt_i32 s20, 39
	v_mov_b32_e32 v162, 37
	s_cbranch_scc1 .LBB74_779
; %bb.777:
	v_add_u32_e32 v163, 0x260, v164
	s_mov_b32 s16, 38
	v_mov_b32_e32 v162, 37
.LBB74_778:                             ; =>This Inner Loop Header: Depth=1
	ds_read2_b64 v[168:171], v163 offset1:1
	s_waitcnt lgkmcnt(1)
	v_xor_b32_e32 v164, 0x80000000, v153
	v_xor_b32_e32 v175, 0x80000000, v155
	v_cmp_gt_f64_e32 vcc, 0, v[154:155]
	v_cmp_gt_f64_e64 s[0:1], 0, v[152:153]
	v_mov_b32_e32 v172, v152
	v_mov_b32_e32 v174, v154
	v_cndmask_b32_e64 v173, v153, v164, s[0:1]
	v_cndmask_b32_e32 v175, v155, v175, vcc
	s_waitcnt lgkmcnt(0)
	v_xor_b32_e32 v164, 0x80000000, v169
	v_xor_b32_e32 v177, 0x80000000, v171
	v_cmp_gt_f64_e32 vcc, 0, v[170:171]
	v_cmp_gt_f64_e64 s[0:1], 0, v[168:169]
	v_add_f64 v[172:173], v[172:173], v[174:175]
	v_mov_b32_e32 v174, v168
	v_mov_b32_e32 v176, v170
	v_cndmask_b32_e64 v175, v169, v164, s[0:1]
	v_cndmask_b32_e32 v177, v171, v177, vcc
	v_add_f64 v[174:175], v[174:175], v[176:177]
	v_mov_b32_e32 v178, s16
	s_add_i32 s16, s16, 1
	v_cmp_lt_f64_e32 vcc, v[172:173], v[174:175]
	v_add_u32_e32 v163, 16, v163
	s_cmp_lg_u32 s20, s16
	v_cndmask_b32_e32 v153, v153, v169, vcc
	v_cndmask_b32_e32 v152, v152, v168, vcc
	v_cndmask_b32_e32 v155, v155, v171, vcc
	v_cndmask_b32_e32 v154, v154, v170, vcc
	v_cndmask_b32_e32 v162, v162, v178, vcc
	s_cbranch_scc1 .LBB74_778
.LBB74_779:
	s_waitcnt lgkmcnt(0)
	v_cmp_eq_f64_e32 vcc, 0, v[152:153]
	v_cmp_eq_f64_e64 s[0:1], 0, v[154:155]
	s_and_b64 s[0:1], vcc, s[0:1]
	s_and_saveexec_b64 s[16:17], s[0:1]
	s_xor_b64 s[0:1], exec, s[16:17]
; %bb.780:
	v_cmp_ne_u32_e32 vcc, 0, v166
	s_nop 1
	v_cndmask_b32_e32 v166, 38, v166, vcc
; %bb.781:
	s_andn2_saveexec_b64 s[0:1], s[0:1]
	s_cbranch_execz .LBB74_787
; %bb.782:
	v_cmp_ngt_f64_e64 s[16:17], |v[152:153]|, |v[154:155]|
	s_and_saveexec_b64 s[18:19], s[16:17]
	s_xor_b64 s[16:17], exec, s[18:19]
	s_cbranch_execz .LBB74_784
; %bb.783:
	v_div_scale_f64 v[168:169], s[18:19], v[154:155], v[154:155], v[152:153]
	v_rcp_f64_e32 v[170:171], v[168:169]
	v_div_scale_f64 v[172:173], vcc, v[152:153], v[154:155], v[152:153]
	v_fma_f64 v[174:175], -v[168:169], v[170:171], 1.0
	v_fmac_f64_e32 v[170:171], v[170:171], v[174:175]
	v_fma_f64 v[174:175], -v[168:169], v[170:171], 1.0
	v_fmac_f64_e32 v[170:171], v[170:171], v[174:175]
	v_mul_f64 v[174:175], v[172:173], v[170:171]
	v_fma_f64 v[168:169], -v[168:169], v[174:175], v[172:173]
	v_div_fmas_f64 v[168:169], v[168:169], v[170:171], v[174:175]
	v_div_fixup_f64 v[168:169], v[168:169], v[154:155], v[152:153]
	v_fmac_f64_e32 v[154:155], v[152:153], v[168:169]
	v_div_scale_f64 v[152:153], s[18:19], v[154:155], v[154:155], 1.0
	v_rcp_f64_e32 v[170:171], v[152:153]
	s_nop 0
	v_fma_f64 v[172:173], -v[152:153], v[170:171], 1.0
	v_fmac_f64_e32 v[170:171], v[170:171], v[172:173]
	v_fma_f64 v[172:173], -v[152:153], v[170:171], 1.0
	v_fmac_f64_e32 v[170:171], v[170:171], v[172:173]
	v_div_scale_f64 v[172:173], vcc, 1.0, v[154:155], 1.0
	v_mul_f64 v[174:175], v[172:173], v[170:171]
	v_fma_f64 v[152:153], -v[152:153], v[174:175], v[172:173]
	s_nop 1
	v_div_fmas_f64 v[152:153], v[152:153], v[170:171], v[174:175]
	v_div_fixup_f64 v[154:155], v[152:153], v[154:155], 1.0
	v_mul_f64 v[152:153], v[168:169], v[154:155]
	v_xor_b32_e32 v155, 0x80000000, v155
.LBB74_784:
	s_andn2_saveexec_b64 s[16:17], s[16:17]
	s_cbranch_execz .LBB74_786
; %bb.785:
	v_div_scale_f64 v[168:169], s[18:19], v[152:153], v[152:153], v[154:155]
	v_rcp_f64_e32 v[170:171], v[168:169]
	v_div_scale_f64 v[172:173], vcc, v[154:155], v[152:153], v[154:155]
	v_fma_f64 v[174:175], -v[168:169], v[170:171], 1.0
	v_fmac_f64_e32 v[170:171], v[170:171], v[174:175]
	v_fma_f64 v[174:175], -v[168:169], v[170:171], 1.0
	v_fmac_f64_e32 v[170:171], v[170:171], v[174:175]
	v_mul_f64 v[174:175], v[172:173], v[170:171]
	v_fma_f64 v[168:169], -v[168:169], v[174:175], v[172:173]
	v_div_fmas_f64 v[168:169], v[168:169], v[170:171], v[174:175]
	v_div_fixup_f64 v[168:169], v[168:169], v[152:153], v[154:155]
	v_fmac_f64_e32 v[152:153], v[154:155], v[168:169]
	v_div_scale_f64 v[154:155], s[18:19], v[152:153], v[152:153], 1.0
	v_rcp_f64_e32 v[170:171], v[154:155]
	s_nop 0
	v_fma_f64 v[172:173], -v[154:155], v[170:171], 1.0
	v_fmac_f64_e32 v[170:171], v[170:171], v[172:173]
	v_fma_f64 v[172:173], -v[154:155], v[170:171], 1.0
	v_fmac_f64_e32 v[170:171], v[170:171], v[172:173]
	v_div_scale_f64 v[172:173], vcc, 1.0, v[152:153], 1.0
	v_mul_f64 v[174:175], v[172:173], v[170:171]
	v_fma_f64 v[154:155], -v[154:155], v[174:175], v[172:173]
	s_nop 1
	v_div_fmas_f64 v[154:155], v[154:155], v[170:171], v[174:175]
	v_div_fixup_f64 v[152:153], v[154:155], v[152:153], 1.0
	v_mul_f64 v[154:155], v[168:169], -v[152:153]
.LBB74_786:
	s_or_b64 exec, exec, s[16:17]
.LBB74_787:
	s_or_b64 exec, exec, s[0:1]
	v_cmp_ne_u32_e32 vcc, v165, v162
	v_mov_b32_e32 v164, 37
	s_and_saveexec_b64 s[0:1], vcc
	s_cbranch_execz .LBB74_793
; %bb.788:
	v_cmp_eq_u32_e32 vcc, 37, v165
	s_and_saveexec_b64 s[16:17], vcc
	s_cbranch_execz .LBB74_792
; %bb.789:
	v_cmp_ne_u32_e32 vcc, 37, v162
	s_xor_b64 s[14:15], s[14:15], -1
	s_and_b64 s[18:19], s[14:15], vcc
	s_and_saveexec_b64 s[14:15], s[18:19]
	s_cbranch_execz .LBB74_791
; %bb.790:
	v_ashrrev_i32_e32 v163, 31, v162
	v_lshl_add_u64 v[164:165], v[162:163], 2, v[160:161]
	global_load_dword v163, v[164:165], off
	global_load_dword v167, v[160:161], off offset:148
	s_waitcnt vmcnt(1)
	global_store_dword v[160:161], v163, off offset:148
	s_waitcnt vmcnt(1)
	global_store_dword v[164:165], v167, off
.LBB74_791:
	s_or_b64 exec, exec, s[14:15]
	v_mov_b32_e32 v165, v162
	v_mov_b32_e32 v167, v162
.LBB74_792:
	s_or_b64 exec, exec, s[16:17]
	v_mov_b32_e32 v164, v165
.LBB74_793:
	s_or_b64 exec, exec, s[0:1]
	v_cmp_gt_i32_e32 vcc, 38, v164
	v_ashrrev_i32_e32 v165, 31, v164
	s_barrier
	s_barrier
	s_and_saveexec_b64 s[0:1], vcc
	s_cbranch_execz .LBB74_795
; %bb.794:
	v_mov_b32_e32 v160, s6
	v_mov_b32_e32 v161, s7
	v_mul_lo_u32 v168, s11, v158
	v_mul_lo_u32 v169, s10, v159
	v_mad_u64_u32 v[162:163], s[6:7], s10, v158, 0
	v_add3_u32 v163, v163, v169, v168
	v_lshl_add_u64 v[160:161], v[162:163], 2, v[160:161]
	v_lshl_add_u64 v[160:161], s[8:9], 2, v[160:161]
	;; [unrolled: 1-line block ×3, first 2 shown]
	v_add3_u32 v162, v167, s13, 1
	global_store_dword v[160:161], v162, off
.LBB74_795:
	s_or_b64 exec, exec, s[0:1]
	v_cmp_eq_u32_e32 vcc, 0, v164
	s_and_saveexec_b64 s[6:7], vcc
	s_cbranch_execz .LBB74_798
; %bb.796:
	v_mov_b32_e32 v160, s4
	v_mov_b32_e32 v161, s5
	v_lshl_add_u64 v[158:159], v[158:159], 2, v[160:161]
	global_load_dword v160, v[158:159], off
	v_cmp_ne_u32_e64 s[0:1], 0, v166
	s_waitcnt vmcnt(0)
	v_cmp_eq_u32_e32 vcc, 0, v160
	s_and_b64 s[0:1], vcc, s[0:1]
	s_and_b64 exec, exec, s[0:1]
	s_cbranch_execz .LBB74_798
; %bb.797:
	v_add_u32_e32 v160, s13, v166
	global_store_dword v[158:159], v160, off
.LBB74_798:
	s_or_b64 exec, exec, s[6:7]
	v_mul_f64 v[158:159], v[154:155], v[150:151]
	v_fma_f64 v[158:159], v[152:153], v[148:149], -v[158:159]
	v_mul_f64 v[152:153], v[152:153], v[150:151]
	v_fmac_f64_e32 v[152:153], v[154:155], v[148:149]
	v_cmp_lt_i32_e32 vcc, 37, v164
	s_nop 1
	v_cndmask_b32_e32 v151, v151, v153, vcc
	v_cndmask_b32_e32 v150, v150, v152, vcc
	v_lshl_add_u64 v[152:153], v[164:165], 4, v[156:157]
	global_store_dwordx4 v[152:153], v[100:103], off
	v_cndmask_b32_e32 v149, v149, v159, vcc
	v_cndmask_b32_e32 v148, v148, v158, vcc
	v_lshl_add_u64 v[100:101], s[2:3], 4, v[152:153]
	global_store_dwordx4 v[100:101], v[96:99], off
	s_nop 1
	v_add_u32_e32 v96, s12, v164
	v_ashrrev_i32_e32 v97, 31, v96
	v_lshl_add_u64 v[98:99], v[96:97], 4, v[156:157]
	v_add_u32_e32 v96, s2, v96
	v_ashrrev_i32_e32 v97, 31, v96
	global_store_dwordx4 v[98:99], v[144:147], off
	v_lshl_add_u64 v[98:99], v[96:97], 4, v[156:157]
	v_add_u32_e32 v96, s2, v96
	v_ashrrev_i32_e32 v97, 31, v96
	global_store_dwordx4 v[98:99], v[140:143], off
	;; [unrolled: 4-line block ×11, first 2 shown]
	v_lshl_add_u64 v[98:99], v[96:97], 4, v[156:157]
	global_store_dwordx4 v[98:99], v[92:95], off
	s_nop 1
	v_add_u32_e32 v92, s2, v96
	v_ashrrev_i32_e32 v93, 31, v92
	v_lshl_add_u64 v[94:95], v[92:93], 4, v[156:157]
	global_store_dwordx4 v[94:95], v[88:91], off
	s_nop 1
	v_add_u32_e32 v88, s2, v92
	v_ashrrev_i32_e32 v89, 31, v88
	;; [unrolled: 5-line block ×24, first 2 shown]
	v_lshl_add_u64 v[0:1], v[0:1], 4, v[156:157]
	global_store_dwordx4 v[0:1], v[148:151], off
.LBB74_799:
	s_endpgm
	.section	.rodata,"a",@progbits
	.p2align	6, 0x0
	.amdhsa_kernel _ZN9rocsolver6v33100L18getf2_small_kernelILi38E19rocblas_complex_numIdEiiPS3_EEvT1_T3_lS5_lPS5_llPT2_S5_S5_S7_l
		.amdhsa_group_segment_fixed_size 0
		.amdhsa_private_segment_fixed_size 0
		.amdhsa_kernarg_size 352
		.amdhsa_user_sgpr_count 2
		.amdhsa_user_sgpr_dispatch_ptr 0
		.amdhsa_user_sgpr_queue_ptr 0
		.amdhsa_user_sgpr_kernarg_segment_ptr 1
		.amdhsa_user_sgpr_dispatch_id 0
		.amdhsa_user_sgpr_kernarg_preload_length 0
		.amdhsa_user_sgpr_kernarg_preload_offset 0
		.amdhsa_user_sgpr_private_segment_size 0
		.amdhsa_uses_dynamic_stack 0
		.amdhsa_enable_private_segment 0
		.amdhsa_system_sgpr_workgroup_id_x 1
		.amdhsa_system_sgpr_workgroup_id_y 1
		.amdhsa_system_sgpr_workgroup_id_z 0
		.amdhsa_system_sgpr_workgroup_info 0
		.amdhsa_system_vgpr_workitem_id 1
		.amdhsa_next_free_vgpr 186
		.amdhsa_next_free_sgpr 24
		.amdhsa_accum_offset 188
		.amdhsa_reserve_vcc 1
		.amdhsa_float_round_mode_32 0
		.amdhsa_float_round_mode_16_64 0
		.amdhsa_float_denorm_mode_32 3
		.amdhsa_float_denorm_mode_16_64 3
		.amdhsa_dx10_clamp 1
		.amdhsa_ieee_mode 1
		.amdhsa_fp16_overflow 0
		.amdhsa_tg_split 0
		.amdhsa_exception_fp_ieee_invalid_op 0
		.amdhsa_exception_fp_denorm_src 0
		.amdhsa_exception_fp_ieee_div_zero 0
		.amdhsa_exception_fp_ieee_overflow 0
		.amdhsa_exception_fp_ieee_underflow 0
		.amdhsa_exception_fp_ieee_inexact 0
		.amdhsa_exception_int_div_zero 0
	.end_amdhsa_kernel
	.section	.text._ZN9rocsolver6v33100L18getf2_small_kernelILi38E19rocblas_complex_numIdEiiPS3_EEvT1_T3_lS5_lPS5_llPT2_S5_S5_S7_l,"axG",@progbits,_ZN9rocsolver6v33100L18getf2_small_kernelILi38E19rocblas_complex_numIdEiiPS3_EEvT1_T3_lS5_lPS5_llPT2_S5_S5_S7_l,comdat
.Lfunc_end74:
	.size	_ZN9rocsolver6v33100L18getf2_small_kernelILi38E19rocblas_complex_numIdEiiPS3_EEvT1_T3_lS5_lPS5_llPT2_S5_S5_S7_l, .Lfunc_end74-_ZN9rocsolver6v33100L18getf2_small_kernelILi38E19rocblas_complex_numIdEiiPS3_EEvT1_T3_lS5_lPS5_llPT2_S5_S5_S7_l
                                        ; -- End function
	.set _ZN9rocsolver6v33100L18getf2_small_kernelILi38E19rocblas_complex_numIdEiiPS3_EEvT1_T3_lS5_lPS5_llPT2_S5_S5_S7_l.num_vgpr, 186
	.set _ZN9rocsolver6v33100L18getf2_small_kernelILi38E19rocblas_complex_numIdEiiPS3_EEvT1_T3_lS5_lPS5_llPT2_S5_S5_S7_l.num_agpr, 0
	.set _ZN9rocsolver6v33100L18getf2_small_kernelILi38E19rocblas_complex_numIdEiiPS3_EEvT1_T3_lS5_lPS5_llPT2_S5_S5_S7_l.numbered_sgpr, 24
	.set _ZN9rocsolver6v33100L18getf2_small_kernelILi38E19rocblas_complex_numIdEiiPS3_EEvT1_T3_lS5_lPS5_llPT2_S5_S5_S7_l.num_named_barrier, 0
	.set _ZN9rocsolver6v33100L18getf2_small_kernelILi38E19rocblas_complex_numIdEiiPS3_EEvT1_T3_lS5_lPS5_llPT2_S5_S5_S7_l.private_seg_size, 0
	.set _ZN9rocsolver6v33100L18getf2_small_kernelILi38E19rocblas_complex_numIdEiiPS3_EEvT1_T3_lS5_lPS5_llPT2_S5_S5_S7_l.uses_vcc, 1
	.set _ZN9rocsolver6v33100L18getf2_small_kernelILi38E19rocblas_complex_numIdEiiPS3_EEvT1_T3_lS5_lPS5_llPT2_S5_S5_S7_l.uses_flat_scratch, 0
	.set _ZN9rocsolver6v33100L18getf2_small_kernelILi38E19rocblas_complex_numIdEiiPS3_EEvT1_T3_lS5_lPS5_llPT2_S5_S5_S7_l.has_dyn_sized_stack, 0
	.set _ZN9rocsolver6v33100L18getf2_small_kernelILi38E19rocblas_complex_numIdEiiPS3_EEvT1_T3_lS5_lPS5_llPT2_S5_S5_S7_l.has_recursion, 0
	.set _ZN9rocsolver6v33100L18getf2_small_kernelILi38E19rocblas_complex_numIdEiiPS3_EEvT1_T3_lS5_lPS5_llPT2_S5_S5_S7_l.has_indirect_call, 0
	.section	.AMDGPU.csdata,"",@progbits
; Kernel info:
; codeLenInByte = 85776
; TotalNumSgprs: 30
; NumVgprs: 186
; NumAgprs: 0
; TotalNumVgprs: 186
; ScratchSize: 0
; MemoryBound: 0
; FloatMode: 240
; IeeeMode: 1
; LDSByteSize: 0 bytes/workgroup (compile time only)
; SGPRBlocks: 3
; VGPRBlocks: 23
; NumSGPRsForWavesPerEU: 30
; NumVGPRsForWavesPerEU: 186
; AccumOffset: 188
; Occupancy: 2
; WaveLimiterHint : 0
; COMPUTE_PGM_RSRC2:SCRATCH_EN: 0
; COMPUTE_PGM_RSRC2:USER_SGPR: 2
; COMPUTE_PGM_RSRC2:TRAP_HANDLER: 0
; COMPUTE_PGM_RSRC2:TGID_X_EN: 1
; COMPUTE_PGM_RSRC2:TGID_Y_EN: 1
; COMPUTE_PGM_RSRC2:TGID_Z_EN: 0
; COMPUTE_PGM_RSRC2:TIDIG_COMP_CNT: 1
; COMPUTE_PGM_RSRC3_GFX90A:ACCUM_OFFSET: 46
; COMPUTE_PGM_RSRC3_GFX90A:TG_SPLIT: 0
	.section	.text._ZN9rocsolver6v33100L23getf2_npvt_small_kernelILi38E19rocblas_complex_numIdEiiPS3_EEvT1_T3_lS5_lPT2_S5_S5_,"axG",@progbits,_ZN9rocsolver6v33100L23getf2_npvt_small_kernelILi38E19rocblas_complex_numIdEiiPS3_EEvT1_T3_lS5_lPT2_S5_S5_,comdat
	.globl	_ZN9rocsolver6v33100L23getf2_npvt_small_kernelILi38E19rocblas_complex_numIdEiiPS3_EEvT1_T3_lS5_lPT2_S5_S5_ ; -- Begin function _ZN9rocsolver6v33100L23getf2_npvt_small_kernelILi38E19rocblas_complex_numIdEiiPS3_EEvT1_T3_lS5_lPT2_S5_S5_
	.p2align	8
	.type	_ZN9rocsolver6v33100L23getf2_npvt_small_kernelILi38E19rocblas_complex_numIdEiiPS3_EEvT1_T3_lS5_lPT2_S5_S5_,@function
_ZN9rocsolver6v33100L23getf2_npvt_small_kernelILi38E19rocblas_complex_numIdEiiPS3_EEvT1_T3_lS5_lPT2_S5_S5_: ; @_ZN9rocsolver6v33100L23getf2_npvt_small_kernelILi38E19rocblas_complex_numIdEiiPS3_EEvT1_T3_lS5_lPT2_S5_S5_
; %bb.0:
	s_load_dword s2, s[0:1], 0x44
	s_load_dwordx2 s[8:9], s[0:1], 0x30
	v_bfe_u32 v152, v0, 10, 10
	s_waitcnt lgkmcnt(0)
	s_lshr_b32 s10, s2, 16
	s_mul_i32 s3, s3, s10
	v_add_u32_e32 v230, s3, v152
	v_cmp_gt_i32_e32 vcc, s8, v230
	s_and_saveexec_b64 s[2:3], vcc
	s_cbranch_execz .LBB75_345
; %bb.1:
	s_load_dwordx4 s[12:15], s[0:1], 0x8
	s_load_dword s2, s[0:1], 0x18
	s_load_dwordx4 s[4:7], s[0:1], 0x20
	v_ashrrev_i32_e32 v231, 31, v230
	v_and_b32_e32 v202, 0x3ff, v0
	s_waitcnt lgkmcnt(0)
	v_mov_b32_e32 v0, s12
	v_mov_b32_e32 v1, s13
	v_mul_lo_u32 v4, s5, v230
	v_mul_lo_u32 v5, s4, v231
	v_mad_u64_u32 v[2:3], s[0:1], s4, v230, 0
	v_add3_u32 v3, v3, v5, v4
	v_lshl_add_u64 v[0:1], v[2:3], 4, v[0:1]
	v_lshl_add_u64 v[0:1], s[14:15], 4, v[0:1]
	v_lshlrev_b32_e32 v2, 4, v202
	v_mov_b32_e32 v3, 0
	s_add_i32 s0, s2, s2
	v_lshl_add_u64 v[210:211], v[0:1], 0, v[2:3]
	v_add_u32_e32 v2, s0, v202
	v_ashrrev_i32_e32 v3, 31, v2
	v_lshl_add_u64 v[206:207], v[2:3], 4, v[0:1]
	v_add_u32_e32 v2, s2, v2
	v_ashrrev_i32_e32 v3, 31, v2
	;; [unrolled: 3-line block ×36, first 2 shown]
	s_ashr_i32 s3, s2, 31
	v_lshl_add_u64 v[158:159], v[2:3], 4, v[0:1]
	v_lshl_add_u64 v[0:1], s[2:3], 4, v[210:211]
	scratch_store_dwordx2 off, v[0:1], off offset:104 ; 8-byte Folded Spill
	global_load_dwordx4 v[144:147], v[210:211], off
	global_load_dwordx4 v[140:143], v[0:1], off
	;; [unrolled: 1-line block ×33, first 2 shown]
	s_mulk_i32 s10, 0x260
	scratch_store_dwordx2 off, v[4:5], off  ; 8-byte Folded Spill
	scratch_store_dwordx2 off, v[6:7], off offset:8 ; 8-byte Folded Spill
	scratch_store_dwordx2 off, v[8:9], off offset:16 ; 8-byte Folded Spill
	;; [unrolled: 1-line block ×8, first 2 shown]
	global_load_dwordx4 v[12:15], v[148:149], off
	s_movk_i32 s0, 0x260
	global_load_dwordx4 v[16:19], v[18:19], off
	s_add_i32 s1, s10, 0
	scratch_store_dwordx2 off, v[150:151], off offset:72 ; 8-byte Folded Spill
	global_load_dwordx4 v[8:11], v[150:151], off
	global_load_dwordx4 v[4:7], v[154:155], off
	v_mad_u32_u24 v204, v152, s0, 0
	global_load_dwordx4 v[148:151], v[158:159], off
	v_lshl_add_u32 v203, v152, 4, s1
	v_cmp_ne_u32_e64 s[2:3], 0, v202
	v_cmp_eq_u32_e64 s[0:1], 0, v202
	scratch_store_dwordx2 off, v[154:155], off offset:80 ; 8-byte Folded Spill
	scratch_store_dwordx2 off, v[156:157], off offset:88 ; 8-byte Folded Spill
	;; [unrolled: 1-line block ×3, first 2 shown]
	s_and_saveexec_b64 s[10:11], s[0:1]
	s_cbranch_execz .LBB75_8
; %bb.2:
	s_waitcnt vmcnt(50)
	ds_write2_b64 v203, v[144:145], v[146:147] offset1:1
	s_waitcnt vmcnt(49)
	ds_write2_b64 v204, v[140:141], v[142:143] offset0:2 offset1:3
	s_waitcnt vmcnt(48)
	ds_write2_b64 v204, v[136:137], v[138:139] offset0:4 offset1:5
	;; [unrolled: 2-line block ×32, first 2 shown]
	ds_write2_b64 v204, v[12:13], v[14:15] offset0:66 offset1:67
	s_waitcnt vmcnt(5)
	ds_write2_b64 v204, v[8:9], v[10:11] offset0:68 offset1:69
	s_waitcnt vmcnt(4)
	ds_write2_b64 v204, v[4:5], v[6:7] offset0:70 offset1:71
	ds_write2_b64 v204, v[0:1], v[2:3] offset0:72 offset1:73
	s_waitcnt vmcnt(3)
	ds_write2_b64 v204, v[148:149], v[150:151] offset0:74 offset1:75
	ds_read2_b64 v[152:155], v203 offset1:1
	s_waitcnt lgkmcnt(0)
	v_cmp_neq_f64_e32 vcc, 0, v[152:153]
	v_cmp_neq_f64_e64 s[4:5], 0, v[154:155]
	s_or_b64 s[4:5], vcc, s[4:5]
	s_and_b64 exec, exec, s[4:5]
	s_cbranch_execz .LBB75_8
; %bb.3:
	v_cmp_ngt_f64_e64 s[4:5], |v[152:153]|, |v[154:155]|
                                        ; implicit-def: $vgpr156_vgpr157
	s_and_saveexec_b64 s[12:13], s[4:5]
	s_xor_b64 s[4:5], exec, s[12:13]
                                        ; implicit-def: $vgpr158_vgpr159
	s_cbranch_execz .LBB75_5
; %bb.4:
	v_div_scale_f64 v[156:157], s[12:13], v[154:155], v[154:155], v[152:153]
	v_rcp_f64_e32 v[158:159], v[156:157]
	v_div_scale_f64 v[160:161], vcc, v[152:153], v[154:155], v[152:153]
	v_fma_f64 v[162:163], -v[156:157], v[158:159], 1.0
	v_fmac_f64_e32 v[158:159], v[158:159], v[162:163]
	v_fma_f64 v[162:163], -v[156:157], v[158:159], 1.0
	v_fmac_f64_e32 v[158:159], v[158:159], v[162:163]
	v_mul_f64 v[162:163], v[160:161], v[158:159]
	v_fma_f64 v[156:157], -v[156:157], v[162:163], v[160:161]
	v_div_fmas_f64 v[156:157], v[156:157], v[158:159], v[162:163]
	v_div_fixup_f64 v[156:157], v[156:157], v[154:155], v[152:153]
	v_fmac_f64_e32 v[154:155], v[152:153], v[156:157]
	v_div_scale_f64 v[152:153], s[12:13], v[154:155], v[154:155], 1.0
	v_rcp_f64_e32 v[158:159], v[152:153]
	s_nop 0
	v_fma_f64 v[160:161], -v[152:153], v[158:159], 1.0
	v_fmac_f64_e32 v[158:159], v[158:159], v[160:161]
	v_fma_f64 v[160:161], -v[152:153], v[158:159], 1.0
	v_fmac_f64_e32 v[158:159], v[158:159], v[160:161]
	v_div_scale_f64 v[160:161], vcc, 1.0, v[154:155], 1.0
	v_mul_f64 v[162:163], v[160:161], v[158:159]
	v_fma_f64 v[152:153], -v[152:153], v[162:163], v[160:161]
	s_nop 1
	v_div_fmas_f64 v[152:153], v[152:153], v[158:159], v[162:163]
	v_div_fixup_f64 v[158:159], v[152:153], v[154:155], 1.0
	v_mul_f64 v[156:157], v[156:157], v[158:159]
	v_xor_b32_e32 v159, 0x80000000, v159
                                        ; implicit-def: $vgpr152_vgpr153
.LBB75_5:
	s_andn2_saveexec_b64 s[4:5], s[4:5]
	s_cbranch_execz .LBB75_7
; %bb.6:
	v_div_scale_f64 v[156:157], s[12:13], v[152:153], v[152:153], v[154:155]
	v_rcp_f64_e32 v[158:159], v[156:157]
	v_div_scale_f64 v[160:161], vcc, v[154:155], v[152:153], v[154:155]
	v_fma_f64 v[162:163], -v[156:157], v[158:159], 1.0
	v_fmac_f64_e32 v[158:159], v[158:159], v[162:163]
	v_fma_f64 v[162:163], -v[156:157], v[158:159], 1.0
	v_fmac_f64_e32 v[158:159], v[158:159], v[162:163]
	v_mul_f64 v[162:163], v[160:161], v[158:159]
	v_fma_f64 v[156:157], -v[156:157], v[162:163], v[160:161]
	v_div_fmas_f64 v[156:157], v[156:157], v[158:159], v[162:163]
	v_div_fixup_f64 v[158:159], v[156:157], v[152:153], v[154:155]
	v_fmac_f64_e32 v[152:153], v[154:155], v[158:159]
	v_div_scale_f64 v[154:155], s[12:13], v[152:153], v[152:153], 1.0
	v_rcp_f64_e32 v[156:157], v[154:155]
	s_nop 0
	v_fma_f64 v[160:161], -v[154:155], v[156:157], 1.0
	v_fmac_f64_e32 v[156:157], v[156:157], v[160:161]
	v_fma_f64 v[160:161], -v[154:155], v[156:157], 1.0
	v_fmac_f64_e32 v[156:157], v[156:157], v[160:161]
	v_div_scale_f64 v[160:161], vcc, 1.0, v[152:153], 1.0
	v_mul_f64 v[162:163], v[160:161], v[156:157]
	v_fma_f64 v[154:155], -v[154:155], v[162:163], v[160:161]
	s_nop 1
	v_div_fmas_f64 v[154:155], v[154:155], v[156:157], v[162:163]
	v_div_fixup_f64 v[156:157], v[154:155], v[152:153], 1.0
	v_mul_f64 v[158:159], v[158:159], -v[156:157]
.LBB75_7:
	s_or_b64 exec, exec, s[4:5]
	ds_write2_b64 v203, v[156:157], v[158:159] offset1:1
.LBB75_8:
	s_or_b64 exec, exec, s[10:11]
	s_waitcnt lgkmcnt(0)
	s_barrier
	ds_read2_b64 v[152:155], v203 offset1:1
	s_waitcnt lgkmcnt(0)
	scratch_store_dwordx4 off, v[152:155], off offset:112 ; 16-byte Folded Spill
	s_and_saveexec_b64 s[4:5], s[2:3]
	s_cbranch_execz .LBB75_10
; %bb.9:
	scratch_load_dwordx4 v[158:161], off, off offset:112 ; 16-byte Folded Reload
	ds_read2_b64 v[154:157], v204 offset0:2 offset1:3
	s_waitcnt vmcnt(0)
	v_mul_f64 v[152:153], v[160:161], v[146:147]
	v_mul_f64 v[146:147], v[158:159], v[146:147]
	v_fmac_f64_e32 v[146:147], v[160:161], v[144:145]
	v_fma_f64 v[152:153], v[158:159], v[144:145], -v[152:153]
	ds_read2_b64 v[158:161], v204 offset0:4 offset1:5
	s_waitcnt lgkmcnt(1)
	v_mul_f64 v[144:145], v[156:157], v[146:147]
	v_fma_f64 v[144:145], v[154:155], v[152:153], -v[144:145]
	v_mul_f64 v[154:155], v[154:155], v[146:147]
	v_fmac_f64_e32 v[154:155], v[156:157], v[152:153]
	v_add_f64 v[142:143], v[142:143], -v[154:155]
	ds_read2_b64 v[154:157], v204 offset0:6 offset1:7
	v_add_f64 v[140:141], v[140:141], -v[144:145]
	s_waitcnt lgkmcnt(1)
	v_mul_f64 v[144:145], v[160:161], v[146:147]
	v_fma_f64 v[144:145], v[158:159], v[152:153], -v[144:145]
	v_mul_f64 v[158:159], v[158:159], v[146:147]
	v_fmac_f64_e32 v[158:159], v[160:161], v[152:153]
	v_add_f64 v[136:137], v[136:137], -v[144:145]
	v_add_f64 v[138:139], v[138:139], -v[158:159]
	ds_read2_b64 v[158:161], v204 offset0:8 offset1:9
	s_waitcnt lgkmcnt(1)
	v_mul_f64 v[144:145], v[156:157], v[146:147]
	v_fma_f64 v[144:145], v[154:155], v[152:153], -v[144:145]
	v_mul_f64 v[154:155], v[154:155], v[146:147]
	v_fmac_f64_e32 v[154:155], v[156:157], v[152:153]
	v_add_f64 v[134:135], v[134:135], -v[154:155]
	ds_read2_b64 v[154:157], v204 offset0:10 offset1:11
	v_add_f64 v[132:133], v[132:133], -v[144:145]
	s_waitcnt lgkmcnt(1)
	v_mul_f64 v[144:145], v[160:161], v[146:147]
	v_fma_f64 v[144:145], v[158:159], v[152:153], -v[144:145]
	v_mul_f64 v[158:159], v[158:159], v[146:147]
	v_fmac_f64_e32 v[158:159], v[160:161], v[152:153]
	v_add_f64 v[128:129], v[128:129], -v[144:145]
	v_add_f64 v[130:131], v[130:131], -v[158:159]
	;; [unrolled: 16-line block ×17, first 2 shown]
	ds_read2_b64 v[158:161], v204 offset0:72 offset1:73
	s_waitcnt lgkmcnt(1)
	v_mul_f64 v[144:145], v[156:157], v[146:147]
	v_fma_f64 v[144:145], v[154:155], v[152:153], -v[144:145]
	v_mul_f64 v[154:155], v[154:155], v[146:147]
	v_fmac_f64_e32 v[154:155], v[156:157], v[152:153]
	v_add_f64 v[6:7], v[6:7], -v[154:155]
	ds_read2_b64 v[154:157], v204 offset0:74 offset1:75
	v_add_f64 v[4:5], v[4:5], -v[144:145]
	s_waitcnt lgkmcnt(1)
	v_mul_f64 v[144:145], v[160:161], v[146:147]
	v_fma_f64 v[144:145], v[158:159], v[152:153], -v[144:145]
	v_add_f64 v[0:1], v[0:1], -v[144:145]
	s_waitcnt lgkmcnt(0)
	v_mul_f64 v[144:145], v[156:157], v[146:147]
	v_mul_f64 v[158:159], v[158:159], v[146:147]
	v_fma_f64 v[144:145], v[154:155], v[152:153], -v[144:145]
	v_mul_f64 v[154:155], v[154:155], v[146:147]
	v_fmac_f64_e32 v[158:159], v[160:161], v[152:153]
	v_fmac_f64_e32 v[154:155], v[156:157], v[152:153]
	v_add_f64 v[2:3], v[2:3], -v[158:159]
	v_add_f64 v[148:149], v[148:149], -v[144:145]
	;; [unrolled: 1-line block ×3, first 2 shown]
	v_mov_b64_e32 v[144:145], v[152:153]
.LBB75_10:
	s_or_b64 exec, exec, s[4:5]
	v_cmp_eq_u32_e32 vcc, 1, v202
	s_barrier
	s_and_saveexec_b64 s[4:5], vcc
	s_cbranch_execz .LBB75_17
; %bb.11:
	s_waitcnt vmcnt(50)
	ds_write2_b64 v203, v[140:141], v[142:143] offset1:1
	s_waitcnt vmcnt(49)
	ds_write2_b64 v204, v[136:137], v[138:139] offset0:4 offset1:5
	s_waitcnt vmcnt(48)
	ds_write2_b64 v204, v[132:133], v[134:135] offset0:6 offset1:7
	s_waitcnt vmcnt(47)
	ds_write2_b64 v204, v[128:129], v[130:131] offset0:8 offset1:9
	s_waitcnt vmcnt(46)
	ds_write2_b64 v204, v[124:125], v[126:127] offset0:10 offset1:11
	s_waitcnt vmcnt(45)
	ds_write2_b64 v204, v[120:121], v[122:123] offset0:12 offset1:13
	s_waitcnt vmcnt(44)
	ds_write2_b64 v204, v[116:117], v[118:119] offset0:14 offset1:15
	s_waitcnt vmcnt(43)
	ds_write2_b64 v204, v[112:113], v[114:115] offset0:16 offset1:17
	s_waitcnt vmcnt(42)
	ds_write2_b64 v204, v[108:109], v[110:111] offset0:18 offset1:19
	s_waitcnt vmcnt(41)
	ds_write2_b64 v204, v[104:105], v[106:107] offset0:20 offset1:21
	s_waitcnt vmcnt(40)
	ds_write2_b64 v204, v[100:101], v[102:103] offset0:22 offset1:23
	s_waitcnt vmcnt(39)
	ds_write2_b64 v204, v[96:97], v[98:99] offset0:24 offset1:25
	s_waitcnt vmcnt(38)
	ds_write2_b64 v204, v[92:93], v[94:95] offset0:26 offset1:27
	s_waitcnt vmcnt(37)
	ds_write2_b64 v204, v[88:89], v[90:91] offset0:28 offset1:29
	s_waitcnt vmcnt(36)
	ds_write2_b64 v204, v[84:85], v[86:87] offset0:30 offset1:31
	s_waitcnt vmcnt(35)
	ds_write2_b64 v204, v[80:81], v[82:83] offset0:32 offset1:33
	s_waitcnt vmcnt(34)
	ds_write2_b64 v204, v[76:77], v[78:79] offset0:34 offset1:35
	s_waitcnt vmcnt(33)
	ds_write2_b64 v204, v[72:73], v[74:75] offset0:36 offset1:37
	s_waitcnt vmcnt(32)
	ds_write2_b64 v204, v[68:69], v[70:71] offset0:38 offset1:39
	s_waitcnt vmcnt(31)
	ds_write2_b64 v204, v[64:65], v[66:67] offset0:40 offset1:41
	s_waitcnt vmcnt(30)
	ds_write2_b64 v204, v[60:61], v[62:63] offset0:42 offset1:43
	s_waitcnt vmcnt(29)
	ds_write2_b64 v204, v[56:57], v[58:59] offset0:44 offset1:45
	s_waitcnt vmcnt(28)
	ds_write2_b64 v204, v[52:53], v[54:55] offset0:46 offset1:47
	s_waitcnt vmcnt(27)
	ds_write2_b64 v204, v[48:49], v[50:51] offset0:48 offset1:49
	s_waitcnt vmcnt(26)
	ds_write2_b64 v204, v[44:45], v[46:47] offset0:50 offset1:51
	s_waitcnt vmcnt(25)
	ds_write2_b64 v204, v[40:41], v[42:43] offset0:52 offset1:53
	s_waitcnt vmcnt(24)
	ds_write2_b64 v204, v[36:37], v[38:39] offset0:54 offset1:55
	s_waitcnt vmcnt(23)
	ds_write2_b64 v204, v[32:33], v[34:35] offset0:56 offset1:57
	s_waitcnt vmcnt(22)
	ds_write2_b64 v204, v[28:29], v[30:31] offset0:58 offset1:59
	s_waitcnt vmcnt(21)
	ds_write2_b64 v204, v[24:25], v[26:27] offset0:60 offset1:61
	s_waitcnt vmcnt(20)
	ds_write2_b64 v204, v[20:21], v[22:23] offset0:62 offset1:63
	s_waitcnt vmcnt(8)
	ds_write2_b64 v204, v[16:17], v[18:19] offset0:64 offset1:65
	ds_write2_b64 v204, v[12:13], v[14:15] offset0:66 offset1:67
	s_waitcnt vmcnt(6)
	ds_write2_b64 v204, v[8:9], v[10:11] offset0:68 offset1:69
	s_waitcnt vmcnt(5)
	ds_write2_b64 v204, v[4:5], v[6:7] offset0:70 offset1:71
	ds_write2_b64 v204, v[0:1], v[2:3] offset0:72 offset1:73
	s_waitcnt vmcnt(4)
	ds_write2_b64 v204, v[148:149], v[150:151] offset0:74 offset1:75
	ds_read2_b64 v[152:155], v203 offset1:1
	s_waitcnt lgkmcnt(0)
	v_cmp_neq_f64_e32 vcc, 0, v[152:153]
	v_cmp_neq_f64_e64 s[2:3], 0, v[154:155]
	s_or_b64 s[2:3], vcc, s[2:3]
	s_and_b64 exec, exec, s[2:3]
	s_cbranch_execz .LBB75_17
; %bb.12:
	v_cmp_ngt_f64_e64 s[2:3], |v[152:153]|, |v[154:155]|
                                        ; implicit-def: $vgpr156_vgpr157
	s_and_saveexec_b64 s[10:11], s[2:3]
	s_xor_b64 s[2:3], exec, s[10:11]
                                        ; implicit-def: $vgpr158_vgpr159
	s_cbranch_execz .LBB75_14
; %bb.13:
	v_div_scale_f64 v[156:157], s[10:11], v[154:155], v[154:155], v[152:153]
	v_rcp_f64_e32 v[158:159], v[156:157]
	v_div_scale_f64 v[160:161], vcc, v[152:153], v[154:155], v[152:153]
	v_fma_f64 v[162:163], -v[156:157], v[158:159], 1.0
	v_fmac_f64_e32 v[158:159], v[158:159], v[162:163]
	v_fma_f64 v[162:163], -v[156:157], v[158:159], 1.0
	v_fmac_f64_e32 v[158:159], v[158:159], v[162:163]
	v_mul_f64 v[162:163], v[160:161], v[158:159]
	v_fma_f64 v[156:157], -v[156:157], v[162:163], v[160:161]
	v_div_fmas_f64 v[156:157], v[156:157], v[158:159], v[162:163]
	v_div_fixup_f64 v[156:157], v[156:157], v[154:155], v[152:153]
	v_fmac_f64_e32 v[154:155], v[152:153], v[156:157]
	v_div_scale_f64 v[152:153], s[10:11], v[154:155], v[154:155], 1.0
	v_rcp_f64_e32 v[158:159], v[152:153]
	s_nop 0
	v_fma_f64 v[160:161], -v[152:153], v[158:159], 1.0
	v_fmac_f64_e32 v[158:159], v[158:159], v[160:161]
	v_fma_f64 v[160:161], -v[152:153], v[158:159], 1.0
	v_fmac_f64_e32 v[158:159], v[158:159], v[160:161]
	v_div_scale_f64 v[160:161], vcc, 1.0, v[154:155], 1.0
	v_mul_f64 v[162:163], v[160:161], v[158:159]
	v_fma_f64 v[152:153], -v[152:153], v[162:163], v[160:161]
	s_nop 1
	v_div_fmas_f64 v[152:153], v[152:153], v[158:159], v[162:163]
	v_div_fixup_f64 v[158:159], v[152:153], v[154:155], 1.0
	v_mul_f64 v[156:157], v[156:157], v[158:159]
	v_xor_b32_e32 v159, 0x80000000, v159
                                        ; implicit-def: $vgpr152_vgpr153
.LBB75_14:
	s_andn2_saveexec_b64 s[2:3], s[2:3]
	s_cbranch_execz .LBB75_16
; %bb.15:
	v_div_scale_f64 v[156:157], s[10:11], v[152:153], v[152:153], v[154:155]
	v_rcp_f64_e32 v[158:159], v[156:157]
	v_div_scale_f64 v[160:161], vcc, v[154:155], v[152:153], v[154:155]
	v_fma_f64 v[162:163], -v[156:157], v[158:159], 1.0
	v_fmac_f64_e32 v[158:159], v[158:159], v[162:163]
	v_fma_f64 v[162:163], -v[156:157], v[158:159], 1.0
	v_fmac_f64_e32 v[158:159], v[158:159], v[162:163]
	v_mul_f64 v[162:163], v[160:161], v[158:159]
	v_fma_f64 v[156:157], -v[156:157], v[162:163], v[160:161]
	v_div_fmas_f64 v[156:157], v[156:157], v[158:159], v[162:163]
	v_div_fixup_f64 v[158:159], v[156:157], v[152:153], v[154:155]
	v_fmac_f64_e32 v[152:153], v[154:155], v[158:159]
	v_div_scale_f64 v[154:155], s[10:11], v[152:153], v[152:153], 1.0
	v_rcp_f64_e32 v[156:157], v[154:155]
	s_nop 0
	v_fma_f64 v[160:161], -v[154:155], v[156:157], 1.0
	v_fmac_f64_e32 v[156:157], v[156:157], v[160:161]
	v_fma_f64 v[160:161], -v[154:155], v[156:157], 1.0
	v_fmac_f64_e32 v[156:157], v[156:157], v[160:161]
	v_div_scale_f64 v[160:161], vcc, 1.0, v[152:153], 1.0
	v_mul_f64 v[162:163], v[160:161], v[156:157]
	v_fma_f64 v[154:155], -v[154:155], v[162:163], v[160:161]
	s_nop 1
	v_div_fmas_f64 v[154:155], v[154:155], v[156:157], v[162:163]
	v_div_fixup_f64 v[156:157], v[154:155], v[152:153], 1.0
	v_mul_f64 v[158:159], v[158:159], -v[156:157]
.LBB75_16:
	s_or_b64 exec, exec, s[2:3]
	ds_write2_b64 v203, v[156:157], v[158:159] offset1:1
.LBB75_17:
	s_or_b64 exec, exec, s[4:5]
	s_waitcnt lgkmcnt(0)
	s_barrier
	ds_read2_b64 v[152:155], v203 offset1:1
	v_cmp_lt_u32_e32 vcc, 1, v202
	s_waitcnt lgkmcnt(0)
	scratch_store_dwordx4 off, v[152:155], off offset:128 ; 16-byte Folded Spill
	s_and_saveexec_b64 s[2:3], vcc
	s_cbranch_execz .LBB75_19
; %bb.18:
	scratch_load_dwordx4 v[158:161], off, off offset:128 ; 16-byte Folded Reload
	ds_read2_b64 v[154:157], v204 offset0:4 offset1:5
	s_waitcnt vmcnt(0)
	v_mul_f64 v[152:153], v[160:161], v[142:143]
	v_mul_f64 v[142:143], v[158:159], v[142:143]
	v_fma_f64 v[152:153], v[158:159], v[140:141], -v[152:153]
	v_fmac_f64_e32 v[142:143], v[160:161], v[140:141]
	ds_read2_b64 v[158:161], v204 offset0:6 offset1:7
	s_waitcnt lgkmcnt(1)
	v_mul_f64 v[140:141], v[156:157], v[142:143]
	v_fma_f64 v[140:141], v[154:155], v[152:153], -v[140:141]
	v_mul_f64 v[154:155], v[154:155], v[142:143]
	v_fmac_f64_e32 v[154:155], v[156:157], v[152:153]
	v_add_f64 v[136:137], v[136:137], -v[140:141]
	v_add_f64 v[138:139], v[138:139], -v[154:155]
	s_waitcnt lgkmcnt(0)
	v_mul_f64 v[140:141], v[160:161], v[142:143]
	ds_read2_b64 v[154:157], v204 offset0:8 offset1:9
	v_fma_f64 v[140:141], v[158:159], v[152:153], -v[140:141]
	v_mul_f64 v[158:159], v[158:159], v[142:143]
	v_fmac_f64_e32 v[158:159], v[160:161], v[152:153]
	v_add_f64 v[134:135], v[134:135], -v[158:159]
	ds_read2_b64 v[158:161], v204 offset0:10 offset1:11
	v_add_f64 v[132:133], v[132:133], -v[140:141]
	s_waitcnt lgkmcnt(1)
	v_mul_f64 v[140:141], v[156:157], v[142:143]
	v_fma_f64 v[140:141], v[154:155], v[152:153], -v[140:141]
	v_mul_f64 v[154:155], v[154:155], v[142:143]
	v_fmac_f64_e32 v[154:155], v[156:157], v[152:153]
	v_add_f64 v[128:129], v[128:129], -v[140:141]
	v_add_f64 v[130:131], v[130:131], -v[154:155]
	s_waitcnt lgkmcnt(0)
	v_mul_f64 v[140:141], v[160:161], v[142:143]
	ds_read2_b64 v[154:157], v204 offset0:12 offset1:13
	v_fma_f64 v[140:141], v[158:159], v[152:153], -v[140:141]
	v_mul_f64 v[158:159], v[158:159], v[142:143]
	v_fmac_f64_e32 v[158:159], v[160:161], v[152:153]
	v_add_f64 v[126:127], v[126:127], -v[158:159]
	ds_read2_b64 v[158:161], v204 offset0:14 offset1:15
	v_add_f64 v[124:125], v[124:125], -v[140:141]
	;; [unrolled: 16-line block ×17, first 2 shown]
	s_waitcnt lgkmcnt(1)
	v_mul_f64 v[140:141], v[156:157], v[142:143]
	v_fma_f64 v[140:141], v[154:155], v[152:153], -v[140:141]
	v_mul_f64 v[154:155], v[154:155], v[142:143]
	v_fmac_f64_e32 v[154:155], v[156:157], v[152:153]
	v_add_f64 v[0:1], v[0:1], -v[140:141]
	v_add_f64 v[2:3], v[2:3], -v[154:155]
	s_waitcnt lgkmcnt(0)
	v_mul_f64 v[140:141], v[160:161], v[142:143]
	v_mul_f64 v[154:155], v[158:159], v[142:143]
	v_fma_f64 v[140:141], v[158:159], v[152:153], -v[140:141]
	v_fmac_f64_e32 v[154:155], v[160:161], v[152:153]
	v_add_f64 v[148:149], v[148:149], -v[140:141]
	v_add_f64 v[150:151], v[150:151], -v[154:155]
	v_mov_b64_e32 v[140:141], v[152:153]
.LBB75_19:
	s_or_b64 exec, exec, s[2:3]
	v_cmp_eq_u32_e32 vcc, 2, v202
	s_barrier
	s_and_saveexec_b64 s[4:5], vcc
	s_cbranch_execz .LBB75_26
; %bb.20:
	s_waitcnt vmcnt(50)
	ds_write2_b64 v203, v[136:137], v[138:139] offset1:1
	s_waitcnt vmcnt(49)
	ds_write2_b64 v204, v[132:133], v[134:135] offset0:6 offset1:7
	s_waitcnt vmcnt(48)
	ds_write2_b64 v204, v[128:129], v[130:131] offset0:8 offset1:9
	;; [unrolled: 2-line block ×30, first 2 shown]
	ds_write2_b64 v204, v[12:13], v[14:15] offset0:66 offset1:67
	s_waitcnt vmcnt(7)
	ds_write2_b64 v204, v[8:9], v[10:11] offset0:68 offset1:69
	s_waitcnt vmcnt(6)
	ds_write2_b64 v204, v[4:5], v[6:7] offset0:70 offset1:71
	ds_write2_b64 v204, v[0:1], v[2:3] offset0:72 offset1:73
	s_waitcnt vmcnt(5)
	ds_write2_b64 v204, v[148:149], v[150:151] offset0:74 offset1:75
	ds_read2_b64 v[152:155], v203 offset1:1
	s_waitcnt lgkmcnt(0)
	v_cmp_neq_f64_e32 vcc, 0, v[152:153]
	v_cmp_neq_f64_e64 s[2:3], 0, v[154:155]
	s_or_b64 s[2:3], vcc, s[2:3]
	s_and_b64 exec, exec, s[2:3]
	s_cbranch_execz .LBB75_26
; %bb.21:
	v_cmp_ngt_f64_e64 s[2:3], |v[152:153]|, |v[154:155]|
                                        ; implicit-def: $vgpr156_vgpr157
	s_and_saveexec_b64 s[10:11], s[2:3]
	s_xor_b64 s[2:3], exec, s[10:11]
                                        ; implicit-def: $vgpr158_vgpr159
	s_cbranch_execz .LBB75_23
; %bb.22:
	v_div_scale_f64 v[156:157], s[10:11], v[154:155], v[154:155], v[152:153]
	v_rcp_f64_e32 v[158:159], v[156:157]
	v_div_scale_f64 v[160:161], vcc, v[152:153], v[154:155], v[152:153]
	v_fma_f64 v[162:163], -v[156:157], v[158:159], 1.0
	v_fmac_f64_e32 v[158:159], v[158:159], v[162:163]
	v_fma_f64 v[162:163], -v[156:157], v[158:159], 1.0
	v_fmac_f64_e32 v[158:159], v[158:159], v[162:163]
	v_mul_f64 v[162:163], v[160:161], v[158:159]
	v_fma_f64 v[156:157], -v[156:157], v[162:163], v[160:161]
	v_div_fmas_f64 v[156:157], v[156:157], v[158:159], v[162:163]
	v_div_fixup_f64 v[156:157], v[156:157], v[154:155], v[152:153]
	v_fmac_f64_e32 v[154:155], v[152:153], v[156:157]
	v_div_scale_f64 v[152:153], s[10:11], v[154:155], v[154:155], 1.0
	v_rcp_f64_e32 v[158:159], v[152:153]
	s_nop 0
	v_fma_f64 v[160:161], -v[152:153], v[158:159], 1.0
	v_fmac_f64_e32 v[158:159], v[158:159], v[160:161]
	v_fma_f64 v[160:161], -v[152:153], v[158:159], 1.0
	v_fmac_f64_e32 v[158:159], v[158:159], v[160:161]
	v_div_scale_f64 v[160:161], vcc, 1.0, v[154:155], 1.0
	v_mul_f64 v[162:163], v[160:161], v[158:159]
	v_fma_f64 v[152:153], -v[152:153], v[162:163], v[160:161]
	s_nop 1
	v_div_fmas_f64 v[152:153], v[152:153], v[158:159], v[162:163]
	v_div_fixup_f64 v[158:159], v[152:153], v[154:155], 1.0
	v_mul_f64 v[156:157], v[156:157], v[158:159]
	v_xor_b32_e32 v159, 0x80000000, v159
                                        ; implicit-def: $vgpr152_vgpr153
.LBB75_23:
	s_andn2_saveexec_b64 s[2:3], s[2:3]
	s_cbranch_execz .LBB75_25
; %bb.24:
	v_div_scale_f64 v[156:157], s[10:11], v[152:153], v[152:153], v[154:155]
	v_rcp_f64_e32 v[158:159], v[156:157]
	v_div_scale_f64 v[160:161], vcc, v[154:155], v[152:153], v[154:155]
	v_fma_f64 v[162:163], -v[156:157], v[158:159], 1.0
	v_fmac_f64_e32 v[158:159], v[158:159], v[162:163]
	v_fma_f64 v[162:163], -v[156:157], v[158:159], 1.0
	v_fmac_f64_e32 v[158:159], v[158:159], v[162:163]
	v_mul_f64 v[162:163], v[160:161], v[158:159]
	v_fma_f64 v[156:157], -v[156:157], v[162:163], v[160:161]
	v_div_fmas_f64 v[156:157], v[156:157], v[158:159], v[162:163]
	v_div_fixup_f64 v[158:159], v[156:157], v[152:153], v[154:155]
	v_fmac_f64_e32 v[152:153], v[154:155], v[158:159]
	v_div_scale_f64 v[154:155], s[10:11], v[152:153], v[152:153], 1.0
	v_rcp_f64_e32 v[156:157], v[154:155]
	s_nop 0
	v_fma_f64 v[160:161], -v[154:155], v[156:157], 1.0
	v_fmac_f64_e32 v[156:157], v[156:157], v[160:161]
	v_fma_f64 v[160:161], -v[154:155], v[156:157], 1.0
	v_fmac_f64_e32 v[156:157], v[156:157], v[160:161]
	v_div_scale_f64 v[160:161], vcc, 1.0, v[152:153], 1.0
	v_mul_f64 v[162:163], v[160:161], v[156:157]
	v_fma_f64 v[154:155], -v[154:155], v[162:163], v[160:161]
	s_nop 1
	v_div_fmas_f64 v[154:155], v[154:155], v[156:157], v[162:163]
	v_div_fixup_f64 v[156:157], v[154:155], v[152:153], 1.0
	v_mul_f64 v[158:159], v[158:159], -v[156:157]
.LBB75_25:
	s_or_b64 exec, exec, s[2:3]
	ds_write2_b64 v203, v[156:157], v[158:159] offset1:1
.LBB75_26:
	s_or_b64 exec, exec, s[4:5]
	s_waitcnt lgkmcnt(0)
	s_barrier
	ds_read2_b64 v[152:155], v203 offset1:1
	v_cmp_lt_u32_e32 vcc, 2, v202
	s_waitcnt lgkmcnt(0)
	scratch_store_dwordx4 off, v[152:155], off offset:144 ; 16-byte Folded Spill
	s_and_saveexec_b64 s[2:3], vcc
	s_cbranch_execz .LBB75_28
; %bb.27:
	scratch_load_dwordx4 v[154:157], off, off offset:144 ; 16-byte Folded Reload
	s_waitcnt vmcnt(0)
	v_mul_f64 v[152:153], v[156:157], v[138:139]
	v_mul_f64 v[138:139], v[154:155], v[138:139]
	v_fma_f64 v[152:153], v[154:155], v[136:137], -v[152:153]
	v_fmac_f64_e32 v[138:139], v[156:157], v[136:137]
	ds_read2_b64 v[154:157], v204 offset0:6 offset1:7
	s_waitcnt lgkmcnt(0)
	v_mul_f64 v[136:137], v[156:157], v[138:139]
	v_fma_f64 v[136:137], v[154:155], v[152:153], -v[136:137]
	v_mul_f64 v[154:155], v[154:155], v[138:139]
	v_fmac_f64_e32 v[154:155], v[156:157], v[152:153]
	v_add_f64 v[134:135], v[134:135], -v[154:155]
	ds_read2_b64 v[154:157], v204 offset0:8 offset1:9
	v_add_f64 v[132:133], v[132:133], -v[136:137]
	s_waitcnt lgkmcnt(0)
	v_mul_f64 v[136:137], v[156:157], v[138:139]
	v_fma_f64 v[136:137], v[154:155], v[152:153], -v[136:137]
	v_mul_f64 v[154:155], v[154:155], v[138:139]
	v_fmac_f64_e32 v[154:155], v[156:157], v[152:153]
	v_add_f64 v[130:131], v[130:131], -v[154:155]
	ds_read2_b64 v[154:157], v204 offset0:10 offset1:11
	v_add_f64 v[128:129], v[128:129], -v[136:137]
	;; [unrolled: 8-line block ×34, first 2 shown]
	s_waitcnt lgkmcnt(0)
	v_mul_f64 v[136:137], v[156:157], v[138:139]
	v_fma_f64 v[136:137], v[154:155], v[152:153], -v[136:137]
	v_mul_f64 v[154:155], v[154:155], v[138:139]
	v_fmac_f64_e32 v[154:155], v[156:157], v[152:153]
	v_add_f64 v[148:149], v[148:149], -v[136:137]
	v_add_f64 v[150:151], v[150:151], -v[154:155]
	v_mov_b64_e32 v[136:137], v[152:153]
.LBB75_28:
	s_or_b64 exec, exec, s[2:3]
	v_cmp_eq_u32_e32 vcc, 3, v202
	s_barrier
	s_and_saveexec_b64 s[4:5], vcc
	s_cbranch_execz .LBB75_35
; %bb.29:
	s_waitcnt vmcnt(50)
	ds_write2_b64 v203, v[132:133], v[134:135] offset1:1
	s_waitcnt vmcnt(49)
	ds_write2_b64 v204, v[128:129], v[130:131] offset0:8 offset1:9
	s_waitcnt vmcnt(48)
	ds_write2_b64 v204, v[124:125], v[126:127] offset0:10 offset1:11
	;; [unrolled: 2-line block ×29, first 2 shown]
	ds_write2_b64 v204, v[12:13], v[14:15] offset0:66 offset1:67
	s_waitcnt vmcnt(8)
	ds_write2_b64 v204, v[8:9], v[10:11] offset0:68 offset1:69
	s_waitcnt vmcnt(7)
	ds_write2_b64 v204, v[4:5], v[6:7] offset0:70 offset1:71
	ds_write2_b64 v204, v[0:1], v[2:3] offset0:72 offset1:73
	s_waitcnt vmcnt(6)
	ds_write2_b64 v204, v[148:149], v[150:151] offset0:74 offset1:75
	ds_read2_b64 v[152:155], v203 offset1:1
	s_waitcnt lgkmcnt(0)
	v_cmp_neq_f64_e32 vcc, 0, v[152:153]
	v_cmp_neq_f64_e64 s[2:3], 0, v[154:155]
	s_or_b64 s[2:3], vcc, s[2:3]
	s_and_b64 exec, exec, s[2:3]
	s_cbranch_execz .LBB75_35
; %bb.30:
	v_cmp_ngt_f64_e64 s[2:3], |v[152:153]|, |v[154:155]|
                                        ; implicit-def: $vgpr156_vgpr157
	s_and_saveexec_b64 s[10:11], s[2:3]
	s_xor_b64 s[2:3], exec, s[10:11]
                                        ; implicit-def: $vgpr158_vgpr159
	s_cbranch_execz .LBB75_32
; %bb.31:
	v_div_scale_f64 v[156:157], s[10:11], v[154:155], v[154:155], v[152:153]
	v_rcp_f64_e32 v[158:159], v[156:157]
	v_div_scale_f64 v[160:161], vcc, v[152:153], v[154:155], v[152:153]
	v_fma_f64 v[162:163], -v[156:157], v[158:159], 1.0
	v_fmac_f64_e32 v[158:159], v[158:159], v[162:163]
	v_fma_f64 v[162:163], -v[156:157], v[158:159], 1.0
	v_fmac_f64_e32 v[158:159], v[158:159], v[162:163]
	v_mul_f64 v[162:163], v[160:161], v[158:159]
	v_fma_f64 v[156:157], -v[156:157], v[162:163], v[160:161]
	v_div_fmas_f64 v[156:157], v[156:157], v[158:159], v[162:163]
	v_div_fixup_f64 v[156:157], v[156:157], v[154:155], v[152:153]
	v_fmac_f64_e32 v[154:155], v[152:153], v[156:157]
	v_div_scale_f64 v[152:153], s[10:11], v[154:155], v[154:155], 1.0
	v_rcp_f64_e32 v[158:159], v[152:153]
	s_nop 0
	v_fma_f64 v[160:161], -v[152:153], v[158:159], 1.0
	v_fmac_f64_e32 v[158:159], v[158:159], v[160:161]
	v_fma_f64 v[160:161], -v[152:153], v[158:159], 1.0
	v_fmac_f64_e32 v[158:159], v[158:159], v[160:161]
	v_div_scale_f64 v[160:161], vcc, 1.0, v[154:155], 1.0
	v_mul_f64 v[162:163], v[160:161], v[158:159]
	v_fma_f64 v[152:153], -v[152:153], v[162:163], v[160:161]
	s_nop 1
	v_div_fmas_f64 v[152:153], v[152:153], v[158:159], v[162:163]
	v_div_fixup_f64 v[158:159], v[152:153], v[154:155], 1.0
	v_mul_f64 v[156:157], v[156:157], v[158:159]
	v_xor_b32_e32 v159, 0x80000000, v159
                                        ; implicit-def: $vgpr152_vgpr153
.LBB75_32:
	s_andn2_saveexec_b64 s[2:3], s[2:3]
	s_cbranch_execz .LBB75_34
; %bb.33:
	v_div_scale_f64 v[156:157], s[10:11], v[152:153], v[152:153], v[154:155]
	v_rcp_f64_e32 v[158:159], v[156:157]
	v_div_scale_f64 v[160:161], vcc, v[154:155], v[152:153], v[154:155]
	v_fma_f64 v[162:163], -v[156:157], v[158:159], 1.0
	v_fmac_f64_e32 v[158:159], v[158:159], v[162:163]
	v_fma_f64 v[162:163], -v[156:157], v[158:159], 1.0
	v_fmac_f64_e32 v[158:159], v[158:159], v[162:163]
	v_mul_f64 v[162:163], v[160:161], v[158:159]
	v_fma_f64 v[156:157], -v[156:157], v[162:163], v[160:161]
	v_div_fmas_f64 v[156:157], v[156:157], v[158:159], v[162:163]
	v_div_fixup_f64 v[158:159], v[156:157], v[152:153], v[154:155]
	v_fmac_f64_e32 v[152:153], v[154:155], v[158:159]
	v_div_scale_f64 v[154:155], s[10:11], v[152:153], v[152:153], 1.0
	v_rcp_f64_e32 v[156:157], v[154:155]
	s_nop 0
	v_fma_f64 v[160:161], -v[154:155], v[156:157], 1.0
	v_fmac_f64_e32 v[156:157], v[156:157], v[160:161]
	v_fma_f64 v[160:161], -v[154:155], v[156:157], 1.0
	v_fmac_f64_e32 v[156:157], v[156:157], v[160:161]
	v_div_scale_f64 v[160:161], vcc, 1.0, v[152:153], 1.0
	v_mul_f64 v[162:163], v[160:161], v[156:157]
	v_fma_f64 v[154:155], -v[154:155], v[162:163], v[160:161]
	s_nop 1
	v_div_fmas_f64 v[154:155], v[154:155], v[156:157], v[162:163]
	v_div_fixup_f64 v[156:157], v[154:155], v[152:153], 1.0
	v_mul_f64 v[158:159], v[158:159], -v[156:157]
.LBB75_34:
	s_or_b64 exec, exec, s[2:3]
	ds_write2_b64 v203, v[156:157], v[158:159] offset1:1
.LBB75_35:
	s_or_b64 exec, exec, s[4:5]
	s_waitcnt lgkmcnt(0)
	s_barrier
	ds_read2_b64 v[152:155], v203 offset1:1
	v_cmp_lt_u32_e32 vcc, 3, v202
	s_waitcnt lgkmcnt(0)
	scratch_store_dwordx4 off, v[152:155], off offset:160 ; 16-byte Folded Spill
	s_and_saveexec_b64 s[2:3], vcc
	s_cbranch_execz .LBB75_37
; %bb.36:
	scratch_load_dwordx4 v[154:157], off, off offset:160 ; 16-byte Folded Reload
	s_waitcnt vmcnt(0)
	v_mul_f64 v[152:153], v[156:157], v[134:135]
	v_mul_f64 v[134:135], v[154:155], v[134:135]
	v_fma_f64 v[152:153], v[154:155], v[132:133], -v[152:153]
	v_fmac_f64_e32 v[134:135], v[156:157], v[132:133]
	ds_read2_b64 v[154:157], v204 offset0:8 offset1:9
	s_waitcnt lgkmcnt(0)
	v_mul_f64 v[132:133], v[156:157], v[134:135]
	v_fma_f64 v[132:133], v[154:155], v[152:153], -v[132:133]
	v_mul_f64 v[154:155], v[154:155], v[134:135]
	v_fmac_f64_e32 v[154:155], v[156:157], v[152:153]
	v_add_f64 v[130:131], v[130:131], -v[154:155]
	ds_read2_b64 v[154:157], v204 offset0:10 offset1:11
	v_add_f64 v[128:129], v[128:129], -v[132:133]
	s_waitcnt lgkmcnt(0)
	v_mul_f64 v[132:133], v[156:157], v[134:135]
	v_fma_f64 v[132:133], v[154:155], v[152:153], -v[132:133]
	v_mul_f64 v[154:155], v[154:155], v[134:135]
	v_fmac_f64_e32 v[154:155], v[156:157], v[152:153]
	v_add_f64 v[126:127], v[126:127], -v[154:155]
	ds_read2_b64 v[154:157], v204 offset0:12 offset1:13
	v_add_f64 v[124:125], v[124:125], -v[132:133]
	;; [unrolled: 8-line block ×33, first 2 shown]
	s_waitcnt lgkmcnt(0)
	v_mul_f64 v[132:133], v[156:157], v[134:135]
	v_fma_f64 v[132:133], v[154:155], v[152:153], -v[132:133]
	v_mul_f64 v[154:155], v[154:155], v[134:135]
	v_fmac_f64_e32 v[154:155], v[156:157], v[152:153]
	v_add_f64 v[148:149], v[148:149], -v[132:133]
	v_add_f64 v[150:151], v[150:151], -v[154:155]
	v_mov_b64_e32 v[132:133], v[152:153]
.LBB75_37:
	s_or_b64 exec, exec, s[2:3]
	v_cmp_eq_u32_e32 vcc, 4, v202
	s_barrier
	s_and_saveexec_b64 s[4:5], vcc
	s_cbranch_execz .LBB75_44
; %bb.38:
	s_waitcnt vmcnt(50)
	ds_write2_b64 v203, v[128:129], v[130:131] offset1:1
	s_waitcnt vmcnt(49)
	ds_write2_b64 v204, v[124:125], v[126:127] offset0:10 offset1:11
	s_waitcnt vmcnt(48)
	ds_write2_b64 v204, v[120:121], v[122:123] offset0:12 offset1:13
	;; [unrolled: 2-line block ×28, first 2 shown]
	ds_write2_b64 v204, v[12:13], v[14:15] offset0:66 offset1:67
	s_waitcnt vmcnt(9)
	ds_write2_b64 v204, v[8:9], v[10:11] offset0:68 offset1:69
	s_waitcnt vmcnt(8)
	ds_write2_b64 v204, v[4:5], v[6:7] offset0:70 offset1:71
	ds_write2_b64 v204, v[0:1], v[2:3] offset0:72 offset1:73
	s_waitcnt vmcnt(7)
	ds_write2_b64 v204, v[148:149], v[150:151] offset0:74 offset1:75
	ds_read2_b64 v[152:155], v203 offset1:1
	s_waitcnt lgkmcnt(0)
	v_cmp_neq_f64_e32 vcc, 0, v[152:153]
	v_cmp_neq_f64_e64 s[2:3], 0, v[154:155]
	s_or_b64 s[2:3], vcc, s[2:3]
	s_and_b64 exec, exec, s[2:3]
	s_cbranch_execz .LBB75_44
; %bb.39:
	v_cmp_ngt_f64_e64 s[2:3], |v[152:153]|, |v[154:155]|
                                        ; implicit-def: $vgpr156_vgpr157
	s_and_saveexec_b64 s[10:11], s[2:3]
	s_xor_b64 s[2:3], exec, s[10:11]
                                        ; implicit-def: $vgpr158_vgpr159
	s_cbranch_execz .LBB75_41
; %bb.40:
	v_div_scale_f64 v[156:157], s[10:11], v[154:155], v[154:155], v[152:153]
	v_rcp_f64_e32 v[158:159], v[156:157]
	v_div_scale_f64 v[160:161], vcc, v[152:153], v[154:155], v[152:153]
	v_fma_f64 v[162:163], -v[156:157], v[158:159], 1.0
	v_fmac_f64_e32 v[158:159], v[158:159], v[162:163]
	v_fma_f64 v[162:163], -v[156:157], v[158:159], 1.0
	v_fmac_f64_e32 v[158:159], v[158:159], v[162:163]
	v_mul_f64 v[162:163], v[160:161], v[158:159]
	v_fma_f64 v[156:157], -v[156:157], v[162:163], v[160:161]
	v_div_fmas_f64 v[156:157], v[156:157], v[158:159], v[162:163]
	v_div_fixup_f64 v[156:157], v[156:157], v[154:155], v[152:153]
	v_fmac_f64_e32 v[154:155], v[152:153], v[156:157]
	v_div_scale_f64 v[152:153], s[10:11], v[154:155], v[154:155], 1.0
	v_rcp_f64_e32 v[158:159], v[152:153]
	s_nop 0
	v_fma_f64 v[160:161], -v[152:153], v[158:159], 1.0
	v_fmac_f64_e32 v[158:159], v[158:159], v[160:161]
	v_fma_f64 v[160:161], -v[152:153], v[158:159], 1.0
	v_fmac_f64_e32 v[158:159], v[158:159], v[160:161]
	v_div_scale_f64 v[160:161], vcc, 1.0, v[154:155], 1.0
	v_mul_f64 v[162:163], v[160:161], v[158:159]
	v_fma_f64 v[152:153], -v[152:153], v[162:163], v[160:161]
	s_nop 1
	v_div_fmas_f64 v[152:153], v[152:153], v[158:159], v[162:163]
	v_div_fixup_f64 v[158:159], v[152:153], v[154:155], 1.0
	v_mul_f64 v[156:157], v[156:157], v[158:159]
	v_xor_b32_e32 v159, 0x80000000, v159
                                        ; implicit-def: $vgpr152_vgpr153
.LBB75_41:
	s_andn2_saveexec_b64 s[2:3], s[2:3]
	s_cbranch_execz .LBB75_43
; %bb.42:
	v_div_scale_f64 v[156:157], s[10:11], v[152:153], v[152:153], v[154:155]
	v_rcp_f64_e32 v[158:159], v[156:157]
	v_div_scale_f64 v[160:161], vcc, v[154:155], v[152:153], v[154:155]
	v_fma_f64 v[162:163], -v[156:157], v[158:159], 1.0
	v_fmac_f64_e32 v[158:159], v[158:159], v[162:163]
	v_fma_f64 v[162:163], -v[156:157], v[158:159], 1.0
	v_fmac_f64_e32 v[158:159], v[158:159], v[162:163]
	v_mul_f64 v[162:163], v[160:161], v[158:159]
	v_fma_f64 v[156:157], -v[156:157], v[162:163], v[160:161]
	v_div_fmas_f64 v[156:157], v[156:157], v[158:159], v[162:163]
	v_div_fixup_f64 v[158:159], v[156:157], v[152:153], v[154:155]
	v_fmac_f64_e32 v[152:153], v[154:155], v[158:159]
	v_div_scale_f64 v[154:155], s[10:11], v[152:153], v[152:153], 1.0
	v_rcp_f64_e32 v[156:157], v[154:155]
	s_nop 0
	v_fma_f64 v[160:161], -v[154:155], v[156:157], 1.0
	v_fmac_f64_e32 v[156:157], v[156:157], v[160:161]
	v_fma_f64 v[160:161], -v[154:155], v[156:157], 1.0
	v_fmac_f64_e32 v[156:157], v[156:157], v[160:161]
	v_div_scale_f64 v[160:161], vcc, 1.0, v[152:153], 1.0
	v_mul_f64 v[162:163], v[160:161], v[156:157]
	v_fma_f64 v[154:155], -v[154:155], v[162:163], v[160:161]
	s_nop 1
	v_div_fmas_f64 v[154:155], v[154:155], v[156:157], v[162:163]
	v_div_fixup_f64 v[156:157], v[154:155], v[152:153], 1.0
	v_mul_f64 v[158:159], v[158:159], -v[156:157]
.LBB75_43:
	s_or_b64 exec, exec, s[2:3]
	ds_write2_b64 v203, v[156:157], v[158:159] offset1:1
.LBB75_44:
	s_or_b64 exec, exec, s[4:5]
	s_waitcnt lgkmcnt(0)
	s_barrier
	ds_read2_b64 v[152:155], v203 offset1:1
	v_cmp_lt_u32_e32 vcc, 4, v202
	s_waitcnt lgkmcnt(0)
	scratch_store_dwordx4 off, v[152:155], off offset:176 ; 16-byte Folded Spill
	s_and_saveexec_b64 s[2:3], vcc
	s_cbranch_execz .LBB75_46
; %bb.45:
	scratch_load_dwordx4 v[154:157], off, off offset:176 ; 16-byte Folded Reload
	s_waitcnt vmcnt(0)
	v_mul_f64 v[152:153], v[156:157], v[130:131]
	v_mul_f64 v[130:131], v[154:155], v[130:131]
	v_fma_f64 v[152:153], v[154:155], v[128:129], -v[152:153]
	v_fmac_f64_e32 v[130:131], v[156:157], v[128:129]
	ds_read2_b64 v[154:157], v204 offset0:10 offset1:11
	s_waitcnt lgkmcnt(0)
	v_mul_f64 v[128:129], v[156:157], v[130:131]
	v_fma_f64 v[128:129], v[154:155], v[152:153], -v[128:129]
	v_mul_f64 v[154:155], v[154:155], v[130:131]
	v_fmac_f64_e32 v[154:155], v[156:157], v[152:153]
	v_add_f64 v[126:127], v[126:127], -v[154:155]
	ds_read2_b64 v[154:157], v204 offset0:12 offset1:13
	v_add_f64 v[124:125], v[124:125], -v[128:129]
	s_waitcnt lgkmcnt(0)
	v_mul_f64 v[128:129], v[156:157], v[130:131]
	v_fma_f64 v[128:129], v[154:155], v[152:153], -v[128:129]
	v_mul_f64 v[154:155], v[154:155], v[130:131]
	v_fmac_f64_e32 v[154:155], v[156:157], v[152:153]
	v_add_f64 v[122:123], v[122:123], -v[154:155]
	ds_read2_b64 v[154:157], v204 offset0:14 offset1:15
	v_add_f64 v[120:121], v[120:121], -v[128:129]
	s_waitcnt lgkmcnt(0)
	v_mul_f64 v[128:129], v[156:157], v[130:131]
	v_fma_f64 v[128:129], v[154:155], v[152:153], -v[128:129]
	v_mul_f64 v[154:155], v[154:155], v[130:131]
	v_fmac_f64_e32 v[154:155], v[156:157], v[152:153]
	v_add_f64 v[118:119], v[118:119], -v[154:155]
	ds_read2_b64 v[154:157], v204 offset0:16 offset1:17
	v_add_f64 v[116:117], v[116:117], -v[128:129]
	s_waitcnt lgkmcnt(0)
	v_mul_f64 v[128:129], v[156:157], v[130:131]
	v_fma_f64 v[128:129], v[154:155], v[152:153], -v[128:129]
	v_mul_f64 v[154:155], v[154:155], v[130:131]
	v_fmac_f64_e32 v[154:155], v[156:157], v[152:153]
	v_add_f64 v[114:115], v[114:115], -v[154:155]
	ds_read2_b64 v[154:157], v204 offset0:18 offset1:19
	v_add_f64 v[112:113], v[112:113], -v[128:129]
	s_waitcnt lgkmcnt(0)
	v_mul_f64 v[128:129], v[156:157], v[130:131]
	v_fma_f64 v[128:129], v[154:155], v[152:153], -v[128:129]
	v_mul_f64 v[154:155], v[154:155], v[130:131]
	v_fmac_f64_e32 v[154:155], v[156:157], v[152:153]
	v_add_f64 v[110:111], v[110:111], -v[154:155]
	ds_read2_b64 v[154:157], v204 offset0:20 offset1:21
	v_add_f64 v[108:109], v[108:109], -v[128:129]
	s_waitcnt lgkmcnt(0)
	v_mul_f64 v[128:129], v[156:157], v[130:131]
	v_fma_f64 v[128:129], v[154:155], v[152:153], -v[128:129]
	v_mul_f64 v[154:155], v[154:155], v[130:131]
	v_fmac_f64_e32 v[154:155], v[156:157], v[152:153]
	v_add_f64 v[106:107], v[106:107], -v[154:155]
	ds_read2_b64 v[154:157], v204 offset0:22 offset1:23
	v_add_f64 v[104:105], v[104:105], -v[128:129]
	s_waitcnt lgkmcnt(0)
	v_mul_f64 v[128:129], v[156:157], v[130:131]
	v_fma_f64 v[128:129], v[154:155], v[152:153], -v[128:129]
	v_mul_f64 v[154:155], v[154:155], v[130:131]
	v_fmac_f64_e32 v[154:155], v[156:157], v[152:153]
	v_add_f64 v[102:103], v[102:103], -v[154:155]
	ds_read2_b64 v[154:157], v204 offset0:24 offset1:25
	v_add_f64 v[100:101], v[100:101], -v[128:129]
	s_waitcnt lgkmcnt(0)
	v_mul_f64 v[128:129], v[156:157], v[130:131]
	v_fma_f64 v[128:129], v[154:155], v[152:153], -v[128:129]
	v_mul_f64 v[154:155], v[154:155], v[130:131]
	v_fmac_f64_e32 v[154:155], v[156:157], v[152:153]
	v_add_f64 v[98:99], v[98:99], -v[154:155]
	ds_read2_b64 v[154:157], v204 offset0:26 offset1:27
	v_add_f64 v[96:97], v[96:97], -v[128:129]
	s_waitcnt lgkmcnt(0)
	v_mul_f64 v[128:129], v[156:157], v[130:131]
	v_fma_f64 v[128:129], v[154:155], v[152:153], -v[128:129]
	v_mul_f64 v[154:155], v[154:155], v[130:131]
	v_fmac_f64_e32 v[154:155], v[156:157], v[152:153]
	v_add_f64 v[94:95], v[94:95], -v[154:155]
	ds_read2_b64 v[154:157], v204 offset0:28 offset1:29
	v_add_f64 v[92:93], v[92:93], -v[128:129]
	s_waitcnt lgkmcnt(0)
	v_mul_f64 v[128:129], v[156:157], v[130:131]
	v_fma_f64 v[128:129], v[154:155], v[152:153], -v[128:129]
	v_mul_f64 v[154:155], v[154:155], v[130:131]
	v_fmac_f64_e32 v[154:155], v[156:157], v[152:153]
	v_add_f64 v[90:91], v[90:91], -v[154:155]
	ds_read2_b64 v[154:157], v204 offset0:30 offset1:31
	v_add_f64 v[88:89], v[88:89], -v[128:129]
	s_waitcnt lgkmcnt(0)
	v_mul_f64 v[128:129], v[156:157], v[130:131]
	v_fma_f64 v[128:129], v[154:155], v[152:153], -v[128:129]
	v_mul_f64 v[154:155], v[154:155], v[130:131]
	v_fmac_f64_e32 v[154:155], v[156:157], v[152:153]
	v_add_f64 v[86:87], v[86:87], -v[154:155]
	ds_read2_b64 v[154:157], v204 offset0:32 offset1:33
	v_add_f64 v[84:85], v[84:85], -v[128:129]
	s_waitcnt lgkmcnt(0)
	v_mul_f64 v[128:129], v[156:157], v[130:131]
	v_fma_f64 v[128:129], v[154:155], v[152:153], -v[128:129]
	v_mul_f64 v[154:155], v[154:155], v[130:131]
	v_fmac_f64_e32 v[154:155], v[156:157], v[152:153]
	v_add_f64 v[82:83], v[82:83], -v[154:155]
	ds_read2_b64 v[154:157], v204 offset0:34 offset1:35
	v_add_f64 v[80:81], v[80:81], -v[128:129]
	s_waitcnt lgkmcnt(0)
	v_mul_f64 v[128:129], v[156:157], v[130:131]
	v_fma_f64 v[128:129], v[154:155], v[152:153], -v[128:129]
	v_mul_f64 v[154:155], v[154:155], v[130:131]
	v_fmac_f64_e32 v[154:155], v[156:157], v[152:153]
	v_add_f64 v[78:79], v[78:79], -v[154:155]
	ds_read2_b64 v[154:157], v204 offset0:36 offset1:37
	v_add_f64 v[76:77], v[76:77], -v[128:129]
	s_waitcnt lgkmcnt(0)
	v_mul_f64 v[128:129], v[156:157], v[130:131]
	v_fma_f64 v[128:129], v[154:155], v[152:153], -v[128:129]
	v_mul_f64 v[154:155], v[154:155], v[130:131]
	v_fmac_f64_e32 v[154:155], v[156:157], v[152:153]
	v_add_f64 v[74:75], v[74:75], -v[154:155]
	ds_read2_b64 v[154:157], v204 offset0:38 offset1:39
	v_add_f64 v[72:73], v[72:73], -v[128:129]
	s_waitcnt lgkmcnt(0)
	v_mul_f64 v[128:129], v[156:157], v[130:131]
	v_fma_f64 v[128:129], v[154:155], v[152:153], -v[128:129]
	v_mul_f64 v[154:155], v[154:155], v[130:131]
	v_fmac_f64_e32 v[154:155], v[156:157], v[152:153]
	v_add_f64 v[70:71], v[70:71], -v[154:155]
	ds_read2_b64 v[154:157], v204 offset0:40 offset1:41
	v_add_f64 v[68:69], v[68:69], -v[128:129]
	s_waitcnt lgkmcnt(0)
	v_mul_f64 v[128:129], v[156:157], v[130:131]
	v_fma_f64 v[128:129], v[154:155], v[152:153], -v[128:129]
	v_mul_f64 v[154:155], v[154:155], v[130:131]
	v_fmac_f64_e32 v[154:155], v[156:157], v[152:153]
	v_add_f64 v[66:67], v[66:67], -v[154:155]
	ds_read2_b64 v[154:157], v204 offset0:42 offset1:43
	v_add_f64 v[64:65], v[64:65], -v[128:129]
	s_waitcnt lgkmcnt(0)
	v_mul_f64 v[128:129], v[156:157], v[130:131]
	v_fma_f64 v[128:129], v[154:155], v[152:153], -v[128:129]
	v_mul_f64 v[154:155], v[154:155], v[130:131]
	v_fmac_f64_e32 v[154:155], v[156:157], v[152:153]
	v_add_f64 v[62:63], v[62:63], -v[154:155]
	ds_read2_b64 v[154:157], v204 offset0:44 offset1:45
	v_add_f64 v[60:61], v[60:61], -v[128:129]
	s_waitcnt lgkmcnt(0)
	v_mul_f64 v[128:129], v[156:157], v[130:131]
	v_fma_f64 v[128:129], v[154:155], v[152:153], -v[128:129]
	v_mul_f64 v[154:155], v[154:155], v[130:131]
	v_fmac_f64_e32 v[154:155], v[156:157], v[152:153]
	v_add_f64 v[58:59], v[58:59], -v[154:155]
	ds_read2_b64 v[154:157], v204 offset0:46 offset1:47
	v_add_f64 v[56:57], v[56:57], -v[128:129]
	s_waitcnt lgkmcnt(0)
	v_mul_f64 v[128:129], v[156:157], v[130:131]
	v_fma_f64 v[128:129], v[154:155], v[152:153], -v[128:129]
	v_mul_f64 v[154:155], v[154:155], v[130:131]
	v_fmac_f64_e32 v[154:155], v[156:157], v[152:153]
	v_add_f64 v[54:55], v[54:55], -v[154:155]
	ds_read2_b64 v[154:157], v204 offset0:48 offset1:49
	v_add_f64 v[52:53], v[52:53], -v[128:129]
	s_waitcnt lgkmcnt(0)
	v_mul_f64 v[128:129], v[156:157], v[130:131]
	v_fma_f64 v[128:129], v[154:155], v[152:153], -v[128:129]
	v_mul_f64 v[154:155], v[154:155], v[130:131]
	v_fmac_f64_e32 v[154:155], v[156:157], v[152:153]
	v_add_f64 v[50:51], v[50:51], -v[154:155]
	ds_read2_b64 v[154:157], v204 offset0:50 offset1:51
	v_add_f64 v[48:49], v[48:49], -v[128:129]
	s_waitcnt lgkmcnt(0)
	v_mul_f64 v[128:129], v[156:157], v[130:131]
	v_fma_f64 v[128:129], v[154:155], v[152:153], -v[128:129]
	v_mul_f64 v[154:155], v[154:155], v[130:131]
	v_fmac_f64_e32 v[154:155], v[156:157], v[152:153]
	v_add_f64 v[46:47], v[46:47], -v[154:155]
	ds_read2_b64 v[154:157], v204 offset0:52 offset1:53
	v_add_f64 v[44:45], v[44:45], -v[128:129]
	s_waitcnt lgkmcnt(0)
	v_mul_f64 v[128:129], v[156:157], v[130:131]
	v_fma_f64 v[128:129], v[154:155], v[152:153], -v[128:129]
	v_mul_f64 v[154:155], v[154:155], v[130:131]
	v_fmac_f64_e32 v[154:155], v[156:157], v[152:153]
	v_add_f64 v[42:43], v[42:43], -v[154:155]
	ds_read2_b64 v[154:157], v204 offset0:54 offset1:55
	v_add_f64 v[40:41], v[40:41], -v[128:129]
	s_waitcnt lgkmcnt(0)
	v_mul_f64 v[128:129], v[156:157], v[130:131]
	v_fma_f64 v[128:129], v[154:155], v[152:153], -v[128:129]
	v_mul_f64 v[154:155], v[154:155], v[130:131]
	v_fmac_f64_e32 v[154:155], v[156:157], v[152:153]
	v_add_f64 v[38:39], v[38:39], -v[154:155]
	ds_read2_b64 v[154:157], v204 offset0:56 offset1:57
	v_add_f64 v[36:37], v[36:37], -v[128:129]
	s_waitcnt lgkmcnt(0)
	v_mul_f64 v[128:129], v[156:157], v[130:131]
	v_fma_f64 v[128:129], v[154:155], v[152:153], -v[128:129]
	v_mul_f64 v[154:155], v[154:155], v[130:131]
	v_fmac_f64_e32 v[154:155], v[156:157], v[152:153]
	v_add_f64 v[34:35], v[34:35], -v[154:155]
	ds_read2_b64 v[154:157], v204 offset0:58 offset1:59
	v_add_f64 v[32:33], v[32:33], -v[128:129]
	s_waitcnt lgkmcnt(0)
	v_mul_f64 v[128:129], v[156:157], v[130:131]
	v_fma_f64 v[128:129], v[154:155], v[152:153], -v[128:129]
	v_mul_f64 v[154:155], v[154:155], v[130:131]
	v_fmac_f64_e32 v[154:155], v[156:157], v[152:153]
	v_add_f64 v[30:31], v[30:31], -v[154:155]
	ds_read2_b64 v[154:157], v204 offset0:60 offset1:61
	v_add_f64 v[28:29], v[28:29], -v[128:129]
	s_waitcnt lgkmcnt(0)
	v_mul_f64 v[128:129], v[156:157], v[130:131]
	v_fma_f64 v[128:129], v[154:155], v[152:153], -v[128:129]
	v_mul_f64 v[154:155], v[154:155], v[130:131]
	v_fmac_f64_e32 v[154:155], v[156:157], v[152:153]
	v_add_f64 v[26:27], v[26:27], -v[154:155]
	ds_read2_b64 v[154:157], v204 offset0:62 offset1:63
	v_add_f64 v[24:25], v[24:25], -v[128:129]
	s_waitcnt lgkmcnt(0)
	v_mul_f64 v[128:129], v[156:157], v[130:131]
	v_fma_f64 v[128:129], v[154:155], v[152:153], -v[128:129]
	v_mul_f64 v[154:155], v[154:155], v[130:131]
	v_fmac_f64_e32 v[154:155], v[156:157], v[152:153]
	v_add_f64 v[22:23], v[22:23], -v[154:155]
	ds_read2_b64 v[154:157], v204 offset0:64 offset1:65
	v_add_f64 v[20:21], v[20:21], -v[128:129]
	s_waitcnt lgkmcnt(0)
	v_mul_f64 v[128:129], v[156:157], v[130:131]
	v_fma_f64 v[128:129], v[154:155], v[152:153], -v[128:129]
	v_mul_f64 v[154:155], v[154:155], v[130:131]
	v_fmac_f64_e32 v[154:155], v[156:157], v[152:153]
	v_add_f64 v[18:19], v[18:19], -v[154:155]
	ds_read2_b64 v[154:157], v204 offset0:66 offset1:67
	v_add_f64 v[16:17], v[16:17], -v[128:129]
	s_waitcnt lgkmcnt(0)
	v_mul_f64 v[128:129], v[156:157], v[130:131]
	v_fma_f64 v[128:129], v[154:155], v[152:153], -v[128:129]
	v_mul_f64 v[154:155], v[154:155], v[130:131]
	v_fmac_f64_e32 v[154:155], v[156:157], v[152:153]
	v_add_f64 v[14:15], v[14:15], -v[154:155]
	ds_read2_b64 v[154:157], v204 offset0:68 offset1:69
	v_add_f64 v[12:13], v[12:13], -v[128:129]
	s_waitcnt lgkmcnt(0)
	v_mul_f64 v[128:129], v[156:157], v[130:131]
	v_fma_f64 v[128:129], v[154:155], v[152:153], -v[128:129]
	v_mul_f64 v[154:155], v[154:155], v[130:131]
	v_fmac_f64_e32 v[154:155], v[156:157], v[152:153]
	v_add_f64 v[10:11], v[10:11], -v[154:155]
	ds_read2_b64 v[154:157], v204 offset0:70 offset1:71
	v_add_f64 v[8:9], v[8:9], -v[128:129]
	s_waitcnt lgkmcnt(0)
	v_mul_f64 v[128:129], v[156:157], v[130:131]
	v_fma_f64 v[128:129], v[154:155], v[152:153], -v[128:129]
	v_mul_f64 v[154:155], v[154:155], v[130:131]
	v_fmac_f64_e32 v[154:155], v[156:157], v[152:153]
	v_add_f64 v[6:7], v[6:7], -v[154:155]
	ds_read2_b64 v[154:157], v204 offset0:72 offset1:73
	v_add_f64 v[4:5], v[4:5], -v[128:129]
	s_waitcnt lgkmcnt(0)
	v_mul_f64 v[128:129], v[156:157], v[130:131]
	v_fma_f64 v[128:129], v[154:155], v[152:153], -v[128:129]
	v_mul_f64 v[154:155], v[154:155], v[130:131]
	v_fmac_f64_e32 v[154:155], v[156:157], v[152:153]
	v_add_f64 v[2:3], v[2:3], -v[154:155]
	ds_read2_b64 v[154:157], v204 offset0:74 offset1:75
	v_add_f64 v[0:1], v[0:1], -v[128:129]
	s_waitcnt lgkmcnt(0)
	v_mul_f64 v[128:129], v[156:157], v[130:131]
	v_fma_f64 v[128:129], v[154:155], v[152:153], -v[128:129]
	v_mul_f64 v[154:155], v[154:155], v[130:131]
	v_fmac_f64_e32 v[154:155], v[156:157], v[152:153]
	v_add_f64 v[148:149], v[148:149], -v[128:129]
	v_add_f64 v[150:151], v[150:151], -v[154:155]
	v_mov_b64_e32 v[128:129], v[152:153]
.LBB75_46:
	s_or_b64 exec, exec, s[2:3]
	v_cmp_eq_u32_e32 vcc, 5, v202
	s_barrier
	s_and_saveexec_b64 s[4:5], vcc
	s_cbranch_execz .LBB75_53
; %bb.47:
	s_waitcnt vmcnt(50)
	ds_write2_b64 v203, v[124:125], v[126:127] offset1:1
	s_waitcnt vmcnt(49)
	ds_write2_b64 v204, v[120:121], v[122:123] offset0:12 offset1:13
	s_waitcnt vmcnt(48)
	ds_write2_b64 v204, v[116:117], v[118:119] offset0:14 offset1:15
	;; [unrolled: 2-line block ×27, first 2 shown]
	ds_write2_b64 v204, v[12:13], v[14:15] offset0:66 offset1:67
	s_waitcnt vmcnt(10)
	ds_write2_b64 v204, v[8:9], v[10:11] offset0:68 offset1:69
	s_waitcnt vmcnt(9)
	ds_write2_b64 v204, v[4:5], v[6:7] offset0:70 offset1:71
	ds_write2_b64 v204, v[0:1], v[2:3] offset0:72 offset1:73
	s_waitcnt vmcnt(8)
	ds_write2_b64 v204, v[148:149], v[150:151] offset0:74 offset1:75
	ds_read2_b64 v[152:155], v203 offset1:1
	s_waitcnt lgkmcnt(0)
	v_cmp_neq_f64_e32 vcc, 0, v[152:153]
	v_cmp_neq_f64_e64 s[2:3], 0, v[154:155]
	s_or_b64 s[2:3], vcc, s[2:3]
	s_and_b64 exec, exec, s[2:3]
	s_cbranch_execz .LBB75_53
; %bb.48:
	v_cmp_ngt_f64_e64 s[2:3], |v[152:153]|, |v[154:155]|
                                        ; implicit-def: $vgpr156_vgpr157
	s_and_saveexec_b64 s[10:11], s[2:3]
	s_xor_b64 s[2:3], exec, s[10:11]
                                        ; implicit-def: $vgpr158_vgpr159
	s_cbranch_execz .LBB75_50
; %bb.49:
	v_div_scale_f64 v[156:157], s[10:11], v[154:155], v[154:155], v[152:153]
	v_rcp_f64_e32 v[158:159], v[156:157]
	v_div_scale_f64 v[160:161], vcc, v[152:153], v[154:155], v[152:153]
	v_fma_f64 v[162:163], -v[156:157], v[158:159], 1.0
	v_fmac_f64_e32 v[158:159], v[158:159], v[162:163]
	v_fma_f64 v[162:163], -v[156:157], v[158:159], 1.0
	v_fmac_f64_e32 v[158:159], v[158:159], v[162:163]
	v_mul_f64 v[162:163], v[160:161], v[158:159]
	v_fma_f64 v[156:157], -v[156:157], v[162:163], v[160:161]
	v_div_fmas_f64 v[156:157], v[156:157], v[158:159], v[162:163]
	v_div_fixup_f64 v[156:157], v[156:157], v[154:155], v[152:153]
	v_fmac_f64_e32 v[154:155], v[152:153], v[156:157]
	v_div_scale_f64 v[152:153], s[10:11], v[154:155], v[154:155], 1.0
	v_rcp_f64_e32 v[158:159], v[152:153]
	s_nop 0
	v_fma_f64 v[160:161], -v[152:153], v[158:159], 1.0
	v_fmac_f64_e32 v[158:159], v[158:159], v[160:161]
	v_fma_f64 v[160:161], -v[152:153], v[158:159], 1.0
	v_fmac_f64_e32 v[158:159], v[158:159], v[160:161]
	v_div_scale_f64 v[160:161], vcc, 1.0, v[154:155], 1.0
	v_mul_f64 v[162:163], v[160:161], v[158:159]
	v_fma_f64 v[152:153], -v[152:153], v[162:163], v[160:161]
	s_nop 1
	v_div_fmas_f64 v[152:153], v[152:153], v[158:159], v[162:163]
	v_div_fixup_f64 v[158:159], v[152:153], v[154:155], 1.0
	v_mul_f64 v[156:157], v[156:157], v[158:159]
	v_xor_b32_e32 v159, 0x80000000, v159
                                        ; implicit-def: $vgpr152_vgpr153
.LBB75_50:
	s_andn2_saveexec_b64 s[2:3], s[2:3]
	s_cbranch_execz .LBB75_52
; %bb.51:
	v_div_scale_f64 v[156:157], s[10:11], v[152:153], v[152:153], v[154:155]
	v_rcp_f64_e32 v[158:159], v[156:157]
	v_div_scale_f64 v[160:161], vcc, v[154:155], v[152:153], v[154:155]
	v_fma_f64 v[162:163], -v[156:157], v[158:159], 1.0
	v_fmac_f64_e32 v[158:159], v[158:159], v[162:163]
	v_fma_f64 v[162:163], -v[156:157], v[158:159], 1.0
	v_fmac_f64_e32 v[158:159], v[158:159], v[162:163]
	v_mul_f64 v[162:163], v[160:161], v[158:159]
	v_fma_f64 v[156:157], -v[156:157], v[162:163], v[160:161]
	v_div_fmas_f64 v[156:157], v[156:157], v[158:159], v[162:163]
	v_div_fixup_f64 v[158:159], v[156:157], v[152:153], v[154:155]
	v_fmac_f64_e32 v[152:153], v[154:155], v[158:159]
	v_div_scale_f64 v[154:155], s[10:11], v[152:153], v[152:153], 1.0
	v_rcp_f64_e32 v[156:157], v[154:155]
	s_nop 0
	v_fma_f64 v[160:161], -v[154:155], v[156:157], 1.0
	v_fmac_f64_e32 v[156:157], v[156:157], v[160:161]
	v_fma_f64 v[160:161], -v[154:155], v[156:157], 1.0
	v_fmac_f64_e32 v[156:157], v[156:157], v[160:161]
	v_div_scale_f64 v[160:161], vcc, 1.0, v[152:153], 1.0
	v_mul_f64 v[162:163], v[160:161], v[156:157]
	v_fma_f64 v[154:155], -v[154:155], v[162:163], v[160:161]
	s_nop 1
	v_div_fmas_f64 v[154:155], v[154:155], v[156:157], v[162:163]
	v_div_fixup_f64 v[156:157], v[154:155], v[152:153], 1.0
	v_mul_f64 v[158:159], v[158:159], -v[156:157]
.LBB75_52:
	s_or_b64 exec, exec, s[2:3]
	ds_write2_b64 v203, v[156:157], v[158:159] offset1:1
.LBB75_53:
	s_or_b64 exec, exec, s[4:5]
	s_waitcnt lgkmcnt(0)
	s_barrier
	ds_read2_b64 v[152:155], v203 offset1:1
	v_cmp_lt_u32_e32 vcc, 5, v202
	s_waitcnt lgkmcnt(0)
	scratch_store_dwordx4 off, v[152:155], off offset:192 ; 16-byte Folded Spill
	s_and_saveexec_b64 s[2:3], vcc
	s_cbranch_execz .LBB75_55
; %bb.54:
	scratch_load_dwordx4 v[154:157], off, off offset:192 ; 16-byte Folded Reload
	s_waitcnt vmcnt(0)
	v_mul_f64 v[152:153], v[156:157], v[126:127]
	v_mul_f64 v[126:127], v[154:155], v[126:127]
	v_fma_f64 v[152:153], v[154:155], v[124:125], -v[152:153]
	v_fmac_f64_e32 v[126:127], v[156:157], v[124:125]
	ds_read2_b64 v[154:157], v204 offset0:12 offset1:13
	s_waitcnt lgkmcnt(0)
	v_mul_f64 v[124:125], v[156:157], v[126:127]
	v_fma_f64 v[124:125], v[154:155], v[152:153], -v[124:125]
	v_mul_f64 v[154:155], v[154:155], v[126:127]
	v_fmac_f64_e32 v[154:155], v[156:157], v[152:153]
	v_add_f64 v[122:123], v[122:123], -v[154:155]
	ds_read2_b64 v[154:157], v204 offset0:14 offset1:15
	v_add_f64 v[120:121], v[120:121], -v[124:125]
	s_waitcnt lgkmcnt(0)
	v_mul_f64 v[124:125], v[156:157], v[126:127]
	v_fma_f64 v[124:125], v[154:155], v[152:153], -v[124:125]
	v_mul_f64 v[154:155], v[154:155], v[126:127]
	v_fmac_f64_e32 v[154:155], v[156:157], v[152:153]
	v_add_f64 v[118:119], v[118:119], -v[154:155]
	ds_read2_b64 v[154:157], v204 offset0:16 offset1:17
	v_add_f64 v[116:117], v[116:117], -v[124:125]
	;; [unrolled: 8-line block ×31, first 2 shown]
	s_waitcnt lgkmcnt(0)
	v_mul_f64 v[124:125], v[156:157], v[126:127]
	v_fma_f64 v[124:125], v[154:155], v[152:153], -v[124:125]
	v_mul_f64 v[154:155], v[154:155], v[126:127]
	v_fmac_f64_e32 v[154:155], v[156:157], v[152:153]
	v_add_f64 v[148:149], v[148:149], -v[124:125]
	v_add_f64 v[150:151], v[150:151], -v[154:155]
	v_mov_b64_e32 v[124:125], v[152:153]
.LBB75_55:
	s_or_b64 exec, exec, s[2:3]
	v_cmp_eq_u32_e32 vcc, 6, v202
	s_barrier
	s_and_saveexec_b64 s[4:5], vcc
	s_cbranch_execz .LBB75_62
; %bb.56:
	s_waitcnt vmcnt(50)
	ds_write2_b64 v203, v[120:121], v[122:123] offset1:1
	s_waitcnt vmcnt(49)
	ds_write2_b64 v204, v[116:117], v[118:119] offset0:14 offset1:15
	s_waitcnt vmcnt(48)
	ds_write2_b64 v204, v[112:113], v[114:115] offset0:16 offset1:17
	;; [unrolled: 2-line block ×26, first 2 shown]
	ds_write2_b64 v204, v[12:13], v[14:15] offset0:66 offset1:67
	s_waitcnt vmcnt(11)
	ds_write2_b64 v204, v[8:9], v[10:11] offset0:68 offset1:69
	s_waitcnt vmcnt(10)
	ds_write2_b64 v204, v[4:5], v[6:7] offset0:70 offset1:71
	ds_write2_b64 v204, v[0:1], v[2:3] offset0:72 offset1:73
	s_waitcnt vmcnt(9)
	ds_write2_b64 v204, v[148:149], v[150:151] offset0:74 offset1:75
	ds_read2_b64 v[152:155], v203 offset1:1
	s_waitcnt lgkmcnt(0)
	v_cmp_neq_f64_e32 vcc, 0, v[152:153]
	v_cmp_neq_f64_e64 s[2:3], 0, v[154:155]
	s_or_b64 s[2:3], vcc, s[2:3]
	s_and_b64 exec, exec, s[2:3]
	s_cbranch_execz .LBB75_62
; %bb.57:
	v_cmp_ngt_f64_e64 s[2:3], |v[152:153]|, |v[154:155]|
                                        ; implicit-def: $vgpr156_vgpr157
	s_and_saveexec_b64 s[10:11], s[2:3]
	s_xor_b64 s[2:3], exec, s[10:11]
                                        ; implicit-def: $vgpr158_vgpr159
	s_cbranch_execz .LBB75_59
; %bb.58:
	v_div_scale_f64 v[156:157], s[10:11], v[154:155], v[154:155], v[152:153]
	v_rcp_f64_e32 v[158:159], v[156:157]
	v_div_scale_f64 v[160:161], vcc, v[152:153], v[154:155], v[152:153]
	v_fma_f64 v[162:163], -v[156:157], v[158:159], 1.0
	v_fmac_f64_e32 v[158:159], v[158:159], v[162:163]
	v_fma_f64 v[162:163], -v[156:157], v[158:159], 1.0
	v_fmac_f64_e32 v[158:159], v[158:159], v[162:163]
	v_mul_f64 v[162:163], v[160:161], v[158:159]
	v_fma_f64 v[156:157], -v[156:157], v[162:163], v[160:161]
	v_div_fmas_f64 v[156:157], v[156:157], v[158:159], v[162:163]
	v_div_fixup_f64 v[156:157], v[156:157], v[154:155], v[152:153]
	v_fmac_f64_e32 v[154:155], v[152:153], v[156:157]
	v_div_scale_f64 v[152:153], s[10:11], v[154:155], v[154:155], 1.0
	v_rcp_f64_e32 v[158:159], v[152:153]
	s_nop 0
	v_fma_f64 v[160:161], -v[152:153], v[158:159], 1.0
	v_fmac_f64_e32 v[158:159], v[158:159], v[160:161]
	v_fma_f64 v[160:161], -v[152:153], v[158:159], 1.0
	v_fmac_f64_e32 v[158:159], v[158:159], v[160:161]
	v_div_scale_f64 v[160:161], vcc, 1.0, v[154:155], 1.0
	v_mul_f64 v[162:163], v[160:161], v[158:159]
	v_fma_f64 v[152:153], -v[152:153], v[162:163], v[160:161]
	s_nop 1
	v_div_fmas_f64 v[152:153], v[152:153], v[158:159], v[162:163]
	v_div_fixup_f64 v[158:159], v[152:153], v[154:155], 1.0
	v_mul_f64 v[156:157], v[156:157], v[158:159]
	v_xor_b32_e32 v159, 0x80000000, v159
                                        ; implicit-def: $vgpr152_vgpr153
.LBB75_59:
	s_andn2_saveexec_b64 s[2:3], s[2:3]
	s_cbranch_execz .LBB75_61
; %bb.60:
	v_div_scale_f64 v[156:157], s[10:11], v[152:153], v[152:153], v[154:155]
	v_rcp_f64_e32 v[158:159], v[156:157]
	v_div_scale_f64 v[160:161], vcc, v[154:155], v[152:153], v[154:155]
	v_fma_f64 v[162:163], -v[156:157], v[158:159], 1.0
	v_fmac_f64_e32 v[158:159], v[158:159], v[162:163]
	v_fma_f64 v[162:163], -v[156:157], v[158:159], 1.0
	v_fmac_f64_e32 v[158:159], v[158:159], v[162:163]
	v_mul_f64 v[162:163], v[160:161], v[158:159]
	v_fma_f64 v[156:157], -v[156:157], v[162:163], v[160:161]
	v_div_fmas_f64 v[156:157], v[156:157], v[158:159], v[162:163]
	v_div_fixup_f64 v[158:159], v[156:157], v[152:153], v[154:155]
	v_fmac_f64_e32 v[152:153], v[154:155], v[158:159]
	v_div_scale_f64 v[154:155], s[10:11], v[152:153], v[152:153], 1.0
	v_rcp_f64_e32 v[156:157], v[154:155]
	s_nop 0
	v_fma_f64 v[160:161], -v[154:155], v[156:157], 1.0
	v_fmac_f64_e32 v[156:157], v[156:157], v[160:161]
	v_fma_f64 v[160:161], -v[154:155], v[156:157], 1.0
	v_fmac_f64_e32 v[156:157], v[156:157], v[160:161]
	v_div_scale_f64 v[160:161], vcc, 1.0, v[152:153], 1.0
	v_mul_f64 v[162:163], v[160:161], v[156:157]
	v_fma_f64 v[154:155], -v[154:155], v[162:163], v[160:161]
	s_nop 1
	v_div_fmas_f64 v[154:155], v[154:155], v[156:157], v[162:163]
	v_div_fixup_f64 v[156:157], v[154:155], v[152:153], 1.0
	v_mul_f64 v[158:159], v[158:159], -v[156:157]
.LBB75_61:
	s_or_b64 exec, exec, s[2:3]
	ds_write2_b64 v203, v[156:157], v[158:159] offset1:1
.LBB75_62:
	s_or_b64 exec, exec, s[4:5]
	s_waitcnt lgkmcnt(0)
	s_barrier
	ds_read2_b64 v[152:155], v203 offset1:1
	v_cmp_lt_u32_e32 vcc, 6, v202
	s_waitcnt lgkmcnt(0)
	scratch_store_dwordx4 off, v[152:155], off offset:208 ; 16-byte Folded Spill
	s_and_saveexec_b64 s[2:3], vcc
	s_cbranch_execz .LBB75_64
; %bb.63:
	scratch_load_dwordx4 v[154:157], off, off offset:208 ; 16-byte Folded Reload
	s_waitcnt vmcnt(0)
	v_mul_f64 v[152:153], v[156:157], v[122:123]
	v_mul_f64 v[122:123], v[154:155], v[122:123]
	v_fma_f64 v[152:153], v[154:155], v[120:121], -v[152:153]
	v_fmac_f64_e32 v[122:123], v[156:157], v[120:121]
	ds_read2_b64 v[154:157], v204 offset0:14 offset1:15
	s_waitcnt lgkmcnt(0)
	v_mul_f64 v[120:121], v[156:157], v[122:123]
	v_fma_f64 v[120:121], v[154:155], v[152:153], -v[120:121]
	v_mul_f64 v[154:155], v[154:155], v[122:123]
	v_fmac_f64_e32 v[154:155], v[156:157], v[152:153]
	v_add_f64 v[118:119], v[118:119], -v[154:155]
	ds_read2_b64 v[154:157], v204 offset0:16 offset1:17
	v_add_f64 v[116:117], v[116:117], -v[120:121]
	s_waitcnt lgkmcnt(0)
	v_mul_f64 v[120:121], v[156:157], v[122:123]
	v_fma_f64 v[120:121], v[154:155], v[152:153], -v[120:121]
	v_mul_f64 v[154:155], v[154:155], v[122:123]
	v_fmac_f64_e32 v[154:155], v[156:157], v[152:153]
	v_add_f64 v[114:115], v[114:115], -v[154:155]
	ds_read2_b64 v[154:157], v204 offset0:18 offset1:19
	v_add_f64 v[112:113], v[112:113], -v[120:121]
	;; [unrolled: 8-line block ×30, first 2 shown]
	s_waitcnt lgkmcnt(0)
	v_mul_f64 v[120:121], v[156:157], v[122:123]
	v_fma_f64 v[120:121], v[154:155], v[152:153], -v[120:121]
	v_mul_f64 v[154:155], v[154:155], v[122:123]
	v_fmac_f64_e32 v[154:155], v[156:157], v[152:153]
	v_add_f64 v[148:149], v[148:149], -v[120:121]
	v_add_f64 v[150:151], v[150:151], -v[154:155]
	v_mov_b64_e32 v[120:121], v[152:153]
.LBB75_64:
	s_or_b64 exec, exec, s[2:3]
	v_cmp_eq_u32_e32 vcc, 7, v202
	s_barrier
	s_and_saveexec_b64 s[4:5], vcc
	s_cbranch_execz .LBB75_71
; %bb.65:
	s_waitcnt vmcnt(50)
	ds_write2_b64 v203, v[116:117], v[118:119] offset1:1
	s_waitcnt vmcnt(49)
	ds_write2_b64 v204, v[112:113], v[114:115] offset0:16 offset1:17
	s_waitcnt vmcnt(48)
	ds_write2_b64 v204, v[108:109], v[110:111] offset0:18 offset1:19
	;; [unrolled: 2-line block ×25, first 2 shown]
	ds_write2_b64 v204, v[12:13], v[14:15] offset0:66 offset1:67
	s_waitcnt vmcnt(12)
	ds_write2_b64 v204, v[8:9], v[10:11] offset0:68 offset1:69
	s_waitcnt vmcnt(11)
	ds_write2_b64 v204, v[4:5], v[6:7] offset0:70 offset1:71
	ds_write2_b64 v204, v[0:1], v[2:3] offset0:72 offset1:73
	s_waitcnt vmcnt(10)
	ds_write2_b64 v204, v[148:149], v[150:151] offset0:74 offset1:75
	ds_read2_b64 v[152:155], v203 offset1:1
	s_waitcnt lgkmcnt(0)
	v_cmp_neq_f64_e32 vcc, 0, v[152:153]
	v_cmp_neq_f64_e64 s[2:3], 0, v[154:155]
	s_or_b64 s[2:3], vcc, s[2:3]
	s_and_b64 exec, exec, s[2:3]
	s_cbranch_execz .LBB75_71
; %bb.66:
	v_cmp_ngt_f64_e64 s[2:3], |v[152:153]|, |v[154:155]|
                                        ; implicit-def: $vgpr156_vgpr157
	s_and_saveexec_b64 s[10:11], s[2:3]
	s_xor_b64 s[2:3], exec, s[10:11]
                                        ; implicit-def: $vgpr158_vgpr159
	s_cbranch_execz .LBB75_68
; %bb.67:
	v_div_scale_f64 v[156:157], s[10:11], v[154:155], v[154:155], v[152:153]
	v_rcp_f64_e32 v[158:159], v[156:157]
	v_div_scale_f64 v[160:161], vcc, v[152:153], v[154:155], v[152:153]
	v_fma_f64 v[162:163], -v[156:157], v[158:159], 1.0
	v_fmac_f64_e32 v[158:159], v[158:159], v[162:163]
	v_fma_f64 v[162:163], -v[156:157], v[158:159], 1.0
	v_fmac_f64_e32 v[158:159], v[158:159], v[162:163]
	v_mul_f64 v[162:163], v[160:161], v[158:159]
	v_fma_f64 v[156:157], -v[156:157], v[162:163], v[160:161]
	v_div_fmas_f64 v[156:157], v[156:157], v[158:159], v[162:163]
	v_div_fixup_f64 v[156:157], v[156:157], v[154:155], v[152:153]
	v_fmac_f64_e32 v[154:155], v[152:153], v[156:157]
	v_div_scale_f64 v[152:153], s[10:11], v[154:155], v[154:155], 1.0
	v_rcp_f64_e32 v[158:159], v[152:153]
	s_nop 0
	v_fma_f64 v[160:161], -v[152:153], v[158:159], 1.0
	v_fmac_f64_e32 v[158:159], v[158:159], v[160:161]
	v_fma_f64 v[160:161], -v[152:153], v[158:159], 1.0
	v_fmac_f64_e32 v[158:159], v[158:159], v[160:161]
	v_div_scale_f64 v[160:161], vcc, 1.0, v[154:155], 1.0
	v_mul_f64 v[162:163], v[160:161], v[158:159]
	v_fma_f64 v[152:153], -v[152:153], v[162:163], v[160:161]
	s_nop 1
	v_div_fmas_f64 v[152:153], v[152:153], v[158:159], v[162:163]
	v_div_fixup_f64 v[158:159], v[152:153], v[154:155], 1.0
	v_mul_f64 v[156:157], v[156:157], v[158:159]
	v_xor_b32_e32 v159, 0x80000000, v159
                                        ; implicit-def: $vgpr152_vgpr153
.LBB75_68:
	s_andn2_saveexec_b64 s[2:3], s[2:3]
	s_cbranch_execz .LBB75_70
; %bb.69:
	v_div_scale_f64 v[156:157], s[10:11], v[152:153], v[152:153], v[154:155]
	v_rcp_f64_e32 v[158:159], v[156:157]
	v_div_scale_f64 v[160:161], vcc, v[154:155], v[152:153], v[154:155]
	v_fma_f64 v[162:163], -v[156:157], v[158:159], 1.0
	v_fmac_f64_e32 v[158:159], v[158:159], v[162:163]
	v_fma_f64 v[162:163], -v[156:157], v[158:159], 1.0
	v_fmac_f64_e32 v[158:159], v[158:159], v[162:163]
	v_mul_f64 v[162:163], v[160:161], v[158:159]
	v_fma_f64 v[156:157], -v[156:157], v[162:163], v[160:161]
	v_div_fmas_f64 v[156:157], v[156:157], v[158:159], v[162:163]
	v_div_fixup_f64 v[158:159], v[156:157], v[152:153], v[154:155]
	v_fmac_f64_e32 v[152:153], v[154:155], v[158:159]
	v_div_scale_f64 v[154:155], s[10:11], v[152:153], v[152:153], 1.0
	v_rcp_f64_e32 v[156:157], v[154:155]
	s_nop 0
	v_fma_f64 v[160:161], -v[154:155], v[156:157], 1.0
	v_fmac_f64_e32 v[156:157], v[156:157], v[160:161]
	v_fma_f64 v[160:161], -v[154:155], v[156:157], 1.0
	v_fmac_f64_e32 v[156:157], v[156:157], v[160:161]
	v_div_scale_f64 v[160:161], vcc, 1.0, v[152:153], 1.0
	v_mul_f64 v[162:163], v[160:161], v[156:157]
	v_fma_f64 v[154:155], -v[154:155], v[162:163], v[160:161]
	s_nop 1
	v_div_fmas_f64 v[154:155], v[154:155], v[156:157], v[162:163]
	v_div_fixup_f64 v[156:157], v[154:155], v[152:153], 1.0
	v_mul_f64 v[158:159], v[158:159], -v[156:157]
.LBB75_70:
	s_or_b64 exec, exec, s[2:3]
	ds_write2_b64 v203, v[156:157], v[158:159] offset1:1
.LBB75_71:
	s_or_b64 exec, exec, s[4:5]
	s_waitcnt lgkmcnt(0)
	s_barrier
	ds_read2_b64 v[152:155], v203 offset1:1
	v_cmp_lt_u32_e32 vcc, 7, v202
	s_waitcnt lgkmcnt(0)
	scratch_store_dwordx4 off, v[152:155], off offset:224 ; 16-byte Folded Spill
	s_and_saveexec_b64 s[2:3], vcc
	s_cbranch_execz .LBB75_73
; %bb.72:
	scratch_load_dwordx4 v[154:157], off, off offset:224 ; 16-byte Folded Reload
	s_waitcnt vmcnt(0)
	v_mul_f64 v[152:153], v[156:157], v[118:119]
	v_mul_f64 v[118:119], v[154:155], v[118:119]
	v_fma_f64 v[152:153], v[154:155], v[116:117], -v[152:153]
	v_fmac_f64_e32 v[118:119], v[156:157], v[116:117]
	ds_read2_b64 v[154:157], v204 offset0:16 offset1:17
	s_waitcnt lgkmcnt(0)
	v_mul_f64 v[116:117], v[156:157], v[118:119]
	v_fma_f64 v[116:117], v[154:155], v[152:153], -v[116:117]
	v_mul_f64 v[154:155], v[154:155], v[118:119]
	v_fmac_f64_e32 v[154:155], v[156:157], v[152:153]
	v_add_f64 v[114:115], v[114:115], -v[154:155]
	ds_read2_b64 v[154:157], v204 offset0:18 offset1:19
	v_add_f64 v[112:113], v[112:113], -v[116:117]
	s_waitcnt lgkmcnt(0)
	v_mul_f64 v[116:117], v[156:157], v[118:119]
	v_fma_f64 v[116:117], v[154:155], v[152:153], -v[116:117]
	v_mul_f64 v[154:155], v[154:155], v[118:119]
	v_fmac_f64_e32 v[154:155], v[156:157], v[152:153]
	v_add_f64 v[110:111], v[110:111], -v[154:155]
	ds_read2_b64 v[154:157], v204 offset0:20 offset1:21
	v_add_f64 v[108:109], v[108:109], -v[116:117]
	;; [unrolled: 8-line block ×29, first 2 shown]
	s_waitcnt lgkmcnt(0)
	v_mul_f64 v[116:117], v[156:157], v[118:119]
	v_fma_f64 v[116:117], v[154:155], v[152:153], -v[116:117]
	v_mul_f64 v[154:155], v[154:155], v[118:119]
	v_fmac_f64_e32 v[154:155], v[156:157], v[152:153]
	v_add_f64 v[148:149], v[148:149], -v[116:117]
	v_add_f64 v[150:151], v[150:151], -v[154:155]
	v_mov_b64_e32 v[116:117], v[152:153]
.LBB75_73:
	s_or_b64 exec, exec, s[2:3]
	v_cmp_eq_u32_e32 vcc, 8, v202
	s_barrier
	s_and_saveexec_b64 s[4:5], vcc
	s_cbranch_execz .LBB75_80
; %bb.74:
	s_waitcnt vmcnt(50)
	ds_write2_b64 v203, v[112:113], v[114:115] offset1:1
	s_waitcnt vmcnt(49)
	ds_write2_b64 v204, v[108:109], v[110:111] offset0:18 offset1:19
	s_waitcnt vmcnt(48)
	ds_write2_b64 v204, v[104:105], v[106:107] offset0:20 offset1:21
	;; [unrolled: 2-line block ×24, first 2 shown]
	ds_write2_b64 v204, v[12:13], v[14:15] offset0:66 offset1:67
	s_waitcnt vmcnt(13)
	ds_write2_b64 v204, v[8:9], v[10:11] offset0:68 offset1:69
	s_waitcnt vmcnt(12)
	ds_write2_b64 v204, v[4:5], v[6:7] offset0:70 offset1:71
	ds_write2_b64 v204, v[0:1], v[2:3] offset0:72 offset1:73
	s_waitcnt vmcnt(11)
	ds_write2_b64 v204, v[148:149], v[150:151] offset0:74 offset1:75
	ds_read2_b64 v[152:155], v203 offset1:1
	s_waitcnt lgkmcnt(0)
	v_cmp_neq_f64_e32 vcc, 0, v[152:153]
	v_cmp_neq_f64_e64 s[2:3], 0, v[154:155]
	s_or_b64 s[2:3], vcc, s[2:3]
	s_and_b64 exec, exec, s[2:3]
	s_cbranch_execz .LBB75_80
; %bb.75:
	v_cmp_ngt_f64_e64 s[2:3], |v[152:153]|, |v[154:155]|
                                        ; implicit-def: $vgpr156_vgpr157
	s_and_saveexec_b64 s[10:11], s[2:3]
	s_xor_b64 s[2:3], exec, s[10:11]
                                        ; implicit-def: $vgpr158_vgpr159
	s_cbranch_execz .LBB75_77
; %bb.76:
	v_div_scale_f64 v[156:157], s[10:11], v[154:155], v[154:155], v[152:153]
	v_rcp_f64_e32 v[158:159], v[156:157]
	v_div_scale_f64 v[160:161], vcc, v[152:153], v[154:155], v[152:153]
	v_fma_f64 v[162:163], -v[156:157], v[158:159], 1.0
	v_fmac_f64_e32 v[158:159], v[158:159], v[162:163]
	v_fma_f64 v[162:163], -v[156:157], v[158:159], 1.0
	v_fmac_f64_e32 v[158:159], v[158:159], v[162:163]
	v_mul_f64 v[162:163], v[160:161], v[158:159]
	v_fma_f64 v[156:157], -v[156:157], v[162:163], v[160:161]
	v_div_fmas_f64 v[156:157], v[156:157], v[158:159], v[162:163]
	v_div_fixup_f64 v[156:157], v[156:157], v[154:155], v[152:153]
	v_fmac_f64_e32 v[154:155], v[152:153], v[156:157]
	v_div_scale_f64 v[152:153], s[10:11], v[154:155], v[154:155], 1.0
	v_rcp_f64_e32 v[158:159], v[152:153]
	s_nop 0
	v_fma_f64 v[160:161], -v[152:153], v[158:159], 1.0
	v_fmac_f64_e32 v[158:159], v[158:159], v[160:161]
	v_fma_f64 v[160:161], -v[152:153], v[158:159], 1.0
	v_fmac_f64_e32 v[158:159], v[158:159], v[160:161]
	v_div_scale_f64 v[160:161], vcc, 1.0, v[154:155], 1.0
	v_mul_f64 v[162:163], v[160:161], v[158:159]
	v_fma_f64 v[152:153], -v[152:153], v[162:163], v[160:161]
	s_nop 1
	v_div_fmas_f64 v[152:153], v[152:153], v[158:159], v[162:163]
	v_div_fixup_f64 v[158:159], v[152:153], v[154:155], 1.0
	v_mul_f64 v[156:157], v[156:157], v[158:159]
	v_xor_b32_e32 v159, 0x80000000, v159
                                        ; implicit-def: $vgpr152_vgpr153
.LBB75_77:
	s_andn2_saveexec_b64 s[2:3], s[2:3]
	s_cbranch_execz .LBB75_79
; %bb.78:
	v_div_scale_f64 v[156:157], s[10:11], v[152:153], v[152:153], v[154:155]
	v_rcp_f64_e32 v[158:159], v[156:157]
	v_div_scale_f64 v[160:161], vcc, v[154:155], v[152:153], v[154:155]
	v_fma_f64 v[162:163], -v[156:157], v[158:159], 1.0
	v_fmac_f64_e32 v[158:159], v[158:159], v[162:163]
	v_fma_f64 v[162:163], -v[156:157], v[158:159], 1.0
	v_fmac_f64_e32 v[158:159], v[158:159], v[162:163]
	v_mul_f64 v[162:163], v[160:161], v[158:159]
	v_fma_f64 v[156:157], -v[156:157], v[162:163], v[160:161]
	v_div_fmas_f64 v[156:157], v[156:157], v[158:159], v[162:163]
	v_div_fixup_f64 v[158:159], v[156:157], v[152:153], v[154:155]
	v_fmac_f64_e32 v[152:153], v[154:155], v[158:159]
	v_div_scale_f64 v[154:155], s[10:11], v[152:153], v[152:153], 1.0
	v_rcp_f64_e32 v[156:157], v[154:155]
	s_nop 0
	v_fma_f64 v[160:161], -v[154:155], v[156:157], 1.0
	v_fmac_f64_e32 v[156:157], v[156:157], v[160:161]
	v_fma_f64 v[160:161], -v[154:155], v[156:157], 1.0
	v_fmac_f64_e32 v[156:157], v[156:157], v[160:161]
	v_div_scale_f64 v[160:161], vcc, 1.0, v[152:153], 1.0
	v_mul_f64 v[162:163], v[160:161], v[156:157]
	v_fma_f64 v[154:155], -v[154:155], v[162:163], v[160:161]
	s_nop 1
	v_div_fmas_f64 v[154:155], v[154:155], v[156:157], v[162:163]
	v_div_fixup_f64 v[156:157], v[154:155], v[152:153], 1.0
	v_mul_f64 v[158:159], v[158:159], -v[156:157]
.LBB75_79:
	s_or_b64 exec, exec, s[2:3]
	ds_write2_b64 v203, v[156:157], v[158:159] offset1:1
.LBB75_80:
	s_or_b64 exec, exec, s[4:5]
	s_waitcnt lgkmcnt(0)
	s_barrier
	ds_read2_b64 v[152:155], v203 offset1:1
	v_cmp_lt_u32_e32 vcc, 8, v202
	s_waitcnt lgkmcnt(0)
	scratch_store_dwordx4 off, v[152:155], off offset:240 ; 16-byte Folded Spill
	s_and_saveexec_b64 s[2:3], vcc
	s_cbranch_execz .LBB75_82
; %bb.81:
	scratch_load_dwordx4 v[154:157], off, off offset:240 ; 16-byte Folded Reload
	s_waitcnt vmcnt(0)
	v_mul_f64 v[152:153], v[156:157], v[114:115]
	v_mul_f64 v[114:115], v[154:155], v[114:115]
	v_fma_f64 v[152:153], v[154:155], v[112:113], -v[152:153]
	v_fmac_f64_e32 v[114:115], v[156:157], v[112:113]
	ds_read2_b64 v[154:157], v204 offset0:18 offset1:19
	s_waitcnt lgkmcnt(0)
	v_mul_f64 v[112:113], v[156:157], v[114:115]
	v_fma_f64 v[112:113], v[154:155], v[152:153], -v[112:113]
	v_mul_f64 v[154:155], v[154:155], v[114:115]
	v_fmac_f64_e32 v[154:155], v[156:157], v[152:153]
	v_add_f64 v[110:111], v[110:111], -v[154:155]
	ds_read2_b64 v[154:157], v204 offset0:20 offset1:21
	v_add_f64 v[108:109], v[108:109], -v[112:113]
	s_waitcnt lgkmcnt(0)
	v_mul_f64 v[112:113], v[156:157], v[114:115]
	v_fma_f64 v[112:113], v[154:155], v[152:153], -v[112:113]
	v_mul_f64 v[154:155], v[154:155], v[114:115]
	v_fmac_f64_e32 v[154:155], v[156:157], v[152:153]
	v_add_f64 v[106:107], v[106:107], -v[154:155]
	ds_read2_b64 v[154:157], v204 offset0:22 offset1:23
	v_add_f64 v[104:105], v[104:105], -v[112:113]
	;; [unrolled: 8-line block ×28, first 2 shown]
	s_waitcnt lgkmcnt(0)
	v_mul_f64 v[112:113], v[156:157], v[114:115]
	v_fma_f64 v[112:113], v[154:155], v[152:153], -v[112:113]
	v_mul_f64 v[154:155], v[154:155], v[114:115]
	v_fmac_f64_e32 v[154:155], v[156:157], v[152:153]
	v_add_f64 v[148:149], v[148:149], -v[112:113]
	v_add_f64 v[150:151], v[150:151], -v[154:155]
	v_mov_b64_e32 v[112:113], v[152:153]
.LBB75_82:
	s_or_b64 exec, exec, s[2:3]
	v_cmp_eq_u32_e32 vcc, 9, v202
	s_barrier
	s_and_saveexec_b64 s[4:5], vcc
	s_cbranch_execz .LBB75_89
; %bb.83:
	s_waitcnt vmcnt(50)
	ds_write2_b64 v203, v[108:109], v[110:111] offset1:1
	s_waitcnt vmcnt(49)
	ds_write2_b64 v204, v[104:105], v[106:107] offset0:20 offset1:21
	s_waitcnt vmcnt(48)
	ds_write2_b64 v204, v[100:101], v[102:103] offset0:22 offset1:23
	;; [unrolled: 2-line block ×23, first 2 shown]
	ds_write2_b64 v204, v[12:13], v[14:15] offset0:66 offset1:67
	s_waitcnt vmcnt(14)
	ds_write2_b64 v204, v[8:9], v[10:11] offset0:68 offset1:69
	s_waitcnt vmcnt(13)
	ds_write2_b64 v204, v[4:5], v[6:7] offset0:70 offset1:71
	ds_write2_b64 v204, v[0:1], v[2:3] offset0:72 offset1:73
	s_waitcnt vmcnt(12)
	ds_write2_b64 v204, v[148:149], v[150:151] offset0:74 offset1:75
	ds_read2_b64 v[152:155], v203 offset1:1
	s_waitcnt lgkmcnt(0)
	v_cmp_neq_f64_e32 vcc, 0, v[152:153]
	v_cmp_neq_f64_e64 s[2:3], 0, v[154:155]
	s_or_b64 s[2:3], vcc, s[2:3]
	s_and_b64 exec, exec, s[2:3]
	s_cbranch_execz .LBB75_89
; %bb.84:
	v_cmp_ngt_f64_e64 s[2:3], |v[152:153]|, |v[154:155]|
                                        ; implicit-def: $vgpr156_vgpr157
	s_and_saveexec_b64 s[10:11], s[2:3]
	s_xor_b64 s[2:3], exec, s[10:11]
                                        ; implicit-def: $vgpr158_vgpr159
	s_cbranch_execz .LBB75_86
; %bb.85:
	v_div_scale_f64 v[156:157], s[10:11], v[154:155], v[154:155], v[152:153]
	v_rcp_f64_e32 v[158:159], v[156:157]
	v_div_scale_f64 v[160:161], vcc, v[152:153], v[154:155], v[152:153]
	v_fma_f64 v[162:163], -v[156:157], v[158:159], 1.0
	v_fmac_f64_e32 v[158:159], v[158:159], v[162:163]
	v_fma_f64 v[162:163], -v[156:157], v[158:159], 1.0
	v_fmac_f64_e32 v[158:159], v[158:159], v[162:163]
	v_mul_f64 v[162:163], v[160:161], v[158:159]
	v_fma_f64 v[156:157], -v[156:157], v[162:163], v[160:161]
	v_div_fmas_f64 v[156:157], v[156:157], v[158:159], v[162:163]
	v_div_fixup_f64 v[156:157], v[156:157], v[154:155], v[152:153]
	v_fmac_f64_e32 v[154:155], v[152:153], v[156:157]
	v_div_scale_f64 v[152:153], s[10:11], v[154:155], v[154:155], 1.0
	v_rcp_f64_e32 v[158:159], v[152:153]
	s_nop 0
	v_fma_f64 v[160:161], -v[152:153], v[158:159], 1.0
	v_fmac_f64_e32 v[158:159], v[158:159], v[160:161]
	v_fma_f64 v[160:161], -v[152:153], v[158:159], 1.0
	v_fmac_f64_e32 v[158:159], v[158:159], v[160:161]
	v_div_scale_f64 v[160:161], vcc, 1.0, v[154:155], 1.0
	v_mul_f64 v[162:163], v[160:161], v[158:159]
	v_fma_f64 v[152:153], -v[152:153], v[162:163], v[160:161]
	s_nop 1
	v_div_fmas_f64 v[152:153], v[152:153], v[158:159], v[162:163]
	v_div_fixup_f64 v[158:159], v[152:153], v[154:155], 1.0
	v_mul_f64 v[156:157], v[156:157], v[158:159]
	v_xor_b32_e32 v159, 0x80000000, v159
                                        ; implicit-def: $vgpr152_vgpr153
.LBB75_86:
	s_andn2_saveexec_b64 s[2:3], s[2:3]
	s_cbranch_execz .LBB75_88
; %bb.87:
	v_div_scale_f64 v[156:157], s[10:11], v[152:153], v[152:153], v[154:155]
	v_rcp_f64_e32 v[158:159], v[156:157]
	v_div_scale_f64 v[160:161], vcc, v[154:155], v[152:153], v[154:155]
	v_fma_f64 v[162:163], -v[156:157], v[158:159], 1.0
	v_fmac_f64_e32 v[158:159], v[158:159], v[162:163]
	v_fma_f64 v[162:163], -v[156:157], v[158:159], 1.0
	v_fmac_f64_e32 v[158:159], v[158:159], v[162:163]
	v_mul_f64 v[162:163], v[160:161], v[158:159]
	v_fma_f64 v[156:157], -v[156:157], v[162:163], v[160:161]
	v_div_fmas_f64 v[156:157], v[156:157], v[158:159], v[162:163]
	v_div_fixup_f64 v[158:159], v[156:157], v[152:153], v[154:155]
	v_fmac_f64_e32 v[152:153], v[154:155], v[158:159]
	v_div_scale_f64 v[154:155], s[10:11], v[152:153], v[152:153], 1.0
	v_rcp_f64_e32 v[156:157], v[154:155]
	s_nop 0
	v_fma_f64 v[160:161], -v[154:155], v[156:157], 1.0
	v_fmac_f64_e32 v[156:157], v[156:157], v[160:161]
	v_fma_f64 v[160:161], -v[154:155], v[156:157], 1.0
	v_fmac_f64_e32 v[156:157], v[156:157], v[160:161]
	v_div_scale_f64 v[160:161], vcc, 1.0, v[152:153], 1.0
	v_mul_f64 v[162:163], v[160:161], v[156:157]
	v_fma_f64 v[154:155], -v[154:155], v[162:163], v[160:161]
	s_nop 1
	v_div_fmas_f64 v[154:155], v[154:155], v[156:157], v[162:163]
	v_div_fixup_f64 v[156:157], v[154:155], v[152:153], 1.0
	v_mul_f64 v[158:159], v[158:159], -v[156:157]
.LBB75_88:
	s_or_b64 exec, exec, s[2:3]
	ds_write2_b64 v203, v[156:157], v[158:159] offset1:1
.LBB75_89:
	s_or_b64 exec, exec, s[4:5]
	s_waitcnt lgkmcnt(0)
	s_barrier
	ds_read2_b64 v[152:155], v203 offset1:1
	v_cmp_lt_u32_e32 vcc, 9, v202
	s_waitcnt lgkmcnt(0)
	scratch_store_dwordx4 off, v[152:155], off offset:256 ; 16-byte Folded Spill
	s_and_saveexec_b64 s[2:3], vcc
	s_cbranch_execz .LBB75_91
; %bb.90:
	scratch_load_dwordx4 v[154:157], off, off offset:256 ; 16-byte Folded Reload
	s_waitcnt vmcnt(0)
	v_mul_f64 v[152:153], v[156:157], v[110:111]
	v_mul_f64 v[110:111], v[154:155], v[110:111]
	v_fma_f64 v[152:153], v[154:155], v[108:109], -v[152:153]
	v_fmac_f64_e32 v[110:111], v[156:157], v[108:109]
	ds_read2_b64 v[154:157], v204 offset0:20 offset1:21
	s_waitcnt lgkmcnt(0)
	v_mul_f64 v[108:109], v[156:157], v[110:111]
	v_fma_f64 v[108:109], v[154:155], v[152:153], -v[108:109]
	v_mul_f64 v[154:155], v[154:155], v[110:111]
	v_fmac_f64_e32 v[154:155], v[156:157], v[152:153]
	v_add_f64 v[106:107], v[106:107], -v[154:155]
	ds_read2_b64 v[154:157], v204 offset0:22 offset1:23
	v_add_f64 v[104:105], v[104:105], -v[108:109]
	s_waitcnt lgkmcnt(0)
	v_mul_f64 v[108:109], v[156:157], v[110:111]
	v_fma_f64 v[108:109], v[154:155], v[152:153], -v[108:109]
	v_mul_f64 v[154:155], v[154:155], v[110:111]
	v_fmac_f64_e32 v[154:155], v[156:157], v[152:153]
	v_add_f64 v[102:103], v[102:103], -v[154:155]
	ds_read2_b64 v[154:157], v204 offset0:24 offset1:25
	v_add_f64 v[100:101], v[100:101], -v[108:109]
	;; [unrolled: 8-line block ×27, first 2 shown]
	s_waitcnt lgkmcnt(0)
	v_mul_f64 v[108:109], v[156:157], v[110:111]
	v_fma_f64 v[108:109], v[154:155], v[152:153], -v[108:109]
	v_mul_f64 v[154:155], v[154:155], v[110:111]
	v_fmac_f64_e32 v[154:155], v[156:157], v[152:153]
	v_add_f64 v[148:149], v[148:149], -v[108:109]
	v_add_f64 v[150:151], v[150:151], -v[154:155]
	v_mov_b64_e32 v[108:109], v[152:153]
.LBB75_91:
	s_or_b64 exec, exec, s[2:3]
	v_cmp_eq_u32_e32 vcc, 10, v202
	s_barrier
	s_and_saveexec_b64 s[4:5], vcc
	s_cbranch_execz .LBB75_98
; %bb.92:
	s_waitcnt vmcnt(50)
	ds_write2_b64 v203, v[104:105], v[106:107] offset1:1
	s_waitcnt vmcnt(49)
	ds_write2_b64 v204, v[100:101], v[102:103] offset0:22 offset1:23
	s_waitcnt vmcnt(48)
	ds_write2_b64 v204, v[96:97], v[98:99] offset0:24 offset1:25
	;; [unrolled: 2-line block ×22, first 2 shown]
	ds_write2_b64 v204, v[12:13], v[14:15] offset0:66 offset1:67
	s_waitcnt vmcnt(15)
	ds_write2_b64 v204, v[8:9], v[10:11] offset0:68 offset1:69
	s_waitcnt vmcnt(14)
	ds_write2_b64 v204, v[4:5], v[6:7] offset0:70 offset1:71
	ds_write2_b64 v204, v[0:1], v[2:3] offset0:72 offset1:73
	s_waitcnt vmcnt(13)
	ds_write2_b64 v204, v[148:149], v[150:151] offset0:74 offset1:75
	ds_read2_b64 v[152:155], v203 offset1:1
	s_waitcnt lgkmcnt(0)
	v_cmp_neq_f64_e32 vcc, 0, v[152:153]
	v_cmp_neq_f64_e64 s[2:3], 0, v[154:155]
	s_or_b64 s[2:3], vcc, s[2:3]
	s_and_b64 exec, exec, s[2:3]
	s_cbranch_execz .LBB75_98
; %bb.93:
	v_cmp_ngt_f64_e64 s[2:3], |v[152:153]|, |v[154:155]|
                                        ; implicit-def: $vgpr156_vgpr157
	s_and_saveexec_b64 s[10:11], s[2:3]
	s_xor_b64 s[2:3], exec, s[10:11]
                                        ; implicit-def: $vgpr158_vgpr159
	s_cbranch_execz .LBB75_95
; %bb.94:
	v_div_scale_f64 v[156:157], s[10:11], v[154:155], v[154:155], v[152:153]
	v_rcp_f64_e32 v[158:159], v[156:157]
	v_div_scale_f64 v[160:161], vcc, v[152:153], v[154:155], v[152:153]
	v_fma_f64 v[162:163], -v[156:157], v[158:159], 1.0
	v_fmac_f64_e32 v[158:159], v[158:159], v[162:163]
	v_fma_f64 v[162:163], -v[156:157], v[158:159], 1.0
	v_fmac_f64_e32 v[158:159], v[158:159], v[162:163]
	v_mul_f64 v[162:163], v[160:161], v[158:159]
	v_fma_f64 v[156:157], -v[156:157], v[162:163], v[160:161]
	v_div_fmas_f64 v[156:157], v[156:157], v[158:159], v[162:163]
	v_div_fixup_f64 v[156:157], v[156:157], v[154:155], v[152:153]
	v_fmac_f64_e32 v[154:155], v[152:153], v[156:157]
	v_div_scale_f64 v[152:153], s[10:11], v[154:155], v[154:155], 1.0
	v_rcp_f64_e32 v[158:159], v[152:153]
	s_nop 0
	v_fma_f64 v[160:161], -v[152:153], v[158:159], 1.0
	v_fmac_f64_e32 v[158:159], v[158:159], v[160:161]
	v_fma_f64 v[160:161], -v[152:153], v[158:159], 1.0
	v_fmac_f64_e32 v[158:159], v[158:159], v[160:161]
	v_div_scale_f64 v[160:161], vcc, 1.0, v[154:155], 1.0
	v_mul_f64 v[162:163], v[160:161], v[158:159]
	v_fma_f64 v[152:153], -v[152:153], v[162:163], v[160:161]
	s_nop 1
	v_div_fmas_f64 v[152:153], v[152:153], v[158:159], v[162:163]
	v_div_fixup_f64 v[158:159], v[152:153], v[154:155], 1.0
	v_mul_f64 v[156:157], v[156:157], v[158:159]
	v_xor_b32_e32 v159, 0x80000000, v159
                                        ; implicit-def: $vgpr152_vgpr153
.LBB75_95:
	s_andn2_saveexec_b64 s[2:3], s[2:3]
	s_cbranch_execz .LBB75_97
; %bb.96:
	v_div_scale_f64 v[156:157], s[10:11], v[152:153], v[152:153], v[154:155]
	v_rcp_f64_e32 v[158:159], v[156:157]
	v_div_scale_f64 v[160:161], vcc, v[154:155], v[152:153], v[154:155]
	v_fma_f64 v[162:163], -v[156:157], v[158:159], 1.0
	v_fmac_f64_e32 v[158:159], v[158:159], v[162:163]
	v_fma_f64 v[162:163], -v[156:157], v[158:159], 1.0
	v_fmac_f64_e32 v[158:159], v[158:159], v[162:163]
	v_mul_f64 v[162:163], v[160:161], v[158:159]
	v_fma_f64 v[156:157], -v[156:157], v[162:163], v[160:161]
	v_div_fmas_f64 v[156:157], v[156:157], v[158:159], v[162:163]
	v_div_fixup_f64 v[158:159], v[156:157], v[152:153], v[154:155]
	v_fmac_f64_e32 v[152:153], v[154:155], v[158:159]
	v_div_scale_f64 v[154:155], s[10:11], v[152:153], v[152:153], 1.0
	v_rcp_f64_e32 v[156:157], v[154:155]
	s_nop 0
	v_fma_f64 v[160:161], -v[154:155], v[156:157], 1.0
	v_fmac_f64_e32 v[156:157], v[156:157], v[160:161]
	v_fma_f64 v[160:161], -v[154:155], v[156:157], 1.0
	v_fmac_f64_e32 v[156:157], v[156:157], v[160:161]
	v_div_scale_f64 v[160:161], vcc, 1.0, v[152:153], 1.0
	v_mul_f64 v[162:163], v[160:161], v[156:157]
	v_fma_f64 v[154:155], -v[154:155], v[162:163], v[160:161]
	s_nop 1
	v_div_fmas_f64 v[154:155], v[154:155], v[156:157], v[162:163]
	v_div_fixup_f64 v[156:157], v[154:155], v[152:153], 1.0
	v_mul_f64 v[158:159], v[158:159], -v[156:157]
.LBB75_97:
	s_or_b64 exec, exec, s[2:3]
	ds_write2_b64 v203, v[156:157], v[158:159] offset1:1
.LBB75_98:
	s_or_b64 exec, exec, s[4:5]
	s_waitcnt lgkmcnt(0)
	s_barrier
	ds_read2_b64 v[152:155], v203 offset1:1
	v_cmp_lt_u32_e32 vcc, 10, v202
	s_waitcnt lgkmcnt(0)
	scratch_store_dwordx4 off, v[152:155], off offset:272 ; 16-byte Folded Spill
	s_and_saveexec_b64 s[2:3], vcc
	s_cbranch_execz .LBB75_100
; %bb.99:
	scratch_load_dwordx4 v[154:157], off, off offset:272 ; 16-byte Folded Reload
	s_waitcnt vmcnt(0)
	v_mul_f64 v[152:153], v[156:157], v[106:107]
	v_mul_f64 v[106:107], v[154:155], v[106:107]
	v_fma_f64 v[152:153], v[154:155], v[104:105], -v[152:153]
	v_fmac_f64_e32 v[106:107], v[156:157], v[104:105]
	ds_read2_b64 v[154:157], v204 offset0:22 offset1:23
	s_waitcnt lgkmcnt(0)
	v_mul_f64 v[104:105], v[156:157], v[106:107]
	v_fma_f64 v[104:105], v[154:155], v[152:153], -v[104:105]
	v_mul_f64 v[154:155], v[154:155], v[106:107]
	v_fmac_f64_e32 v[154:155], v[156:157], v[152:153]
	v_add_f64 v[102:103], v[102:103], -v[154:155]
	ds_read2_b64 v[154:157], v204 offset0:24 offset1:25
	v_add_f64 v[100:101], v[100:101], -v[104:105]
	s_waitcnt lgkmcnt(0)
	v_mul_f64 v[104:105], v[156:157], v[106:107]
	v_fma_f64 v[104:105], v[154:155], v[152:153], -v[104:105]
	v_mul_f64 v[154:155], v[154:155], v[106:107]
	v_fmac_f64_e32 v[154:155], v[156:157], v[152:153]
	v_add_f64 v[98:99], v[98:99], -v[154:155]
	ds_read2_b64 v[154:157], v204 offset0:26 offset1:27
	v_add_f64 v[96:97], v[96:97], -v[104:105]
	;; [unrolled: 8-line block ×26, first 2 shown]
	s_waitcnt lgkmcnt(0)
	v_mul_f64 v[104:105], v[156:157], v[106:107]
	v_fma_f64 v[104:105], v[154:155], v[152:153], -v[104:105]
	v_mul_f64 v[154:155], v[154:155], v[106:107]
	v_fmac_f64_e32 v[154:155], v[156:157], v[152:153]
	v_add_f64 v[148:149], v[148:149], -v[104:105]
	v_add_f64 v[150:151], v[150:151], -v[154:155]
	v_mov_b64_e32 v[104:105], v[152:153]
.LBB75_100:
	s_or_b64 exec, exec, s[2:3]
	v_cmp_eq_u32_e32 vcc, 11, v202
	s_barrier
	s_and_saveexec_b64 s[4:5], vcc
	s_cbranch_execz .LBB75_107
; %bb.101:
	s_waitcnt vmcnt(50)
	ds_write2_b64 v203, v[100:101], v[102:103] offset1:1
	s_waitcnt vmcnt(49)
	ds_write2_b64 v204, v[96:97], v[98:99] offset0:24 offset1:25
	s_waitcnt vmcnt(48)
	ds_write2_b64 v204, v[92:93], v[94:95] offset0:26 offset1:27
	;; [unrolled: 2-line block ×21, first 2 shown]
	ds_write2_b64 v204, v[12:13], v[14:15] offset0:66 offset1:67
	s_waitcnt vmcnt(16)
	ds_write2_b64 v204, v[8:9], v[10:11] offset0:68 offset1:69
	s_waitcnt vmcnt(15)
	ds_write2_b64 v204, v[4:5], v[6:7] offset0:70 offset1:71
	ds_write2_b64 v204, v[0:1], v[2:3] offset0:72 offset1:73
	s_waitcnt vmcnt(14)
	ds_write2_b64 v204, v[148:149], v[150:151] offset0:74 offset1:75
	ds_read2_b64 v[152:155], v203 offset1:1
	s_waitcnt lgkmcnt(0)
	v_cmp_neq_f64_e32 vcc, 0, v[152:153]
	v_cmp_neq_f64_e64 s[2:3], 0, v[154:155]
	s_or_b64 s[2:3], vcc, s[2:3]
	s_and_b64 exec, exec, s[2:3]
	s_cbranch_execz .LBB75_107
; %bb.102:
	v_cmp_ngt_f64_e64 s[2:3], |v[152:153]|, |v[154:155]|
                                        ; implicit-def: $vgpr156_vgpr157
	s_and_saveexec_b64 s[10:11], s[2:3]
	s_xor_b64 s[2:3], exec, s[10:11]
                                        ; implicit-def: $vgpr158_vgpr159
	s_cbranch_execz .LBB75_104
; %bb.103:
	v_div_scale_f64 v[156:157], s[10:11], v[154:155], v[154:155], v[152:153]
	v_rcp_f64_e32 v[158:159], v[156:157]
	v_div_scale_f64 v[160:161], vcc, v[152:153], v[154:155], v[152:153]
	v_fma_f64 v[162:163], -v[156:157], v[158:159], 1.0
	v_fmac_f64_e32 v[158:159], v[158:159], v[162:163]
	v_fma_f64 v[162:163], -v[156:157], v[158:159], 1.0
	v_fmac_f64_e32 v[158:159], v[158:159], v[162:163]
	v_mul_f64 v[162:163], v[160:161], v[158:159]
	v_fma_f64 v[156:157], -v[156:157], v[162:163], v[160:161]
	v_div_fmas_f64 v[156:157], v[156:157], v[158:159], v[162:163]
	v_div_fixup_f64 v[156:157], v[156:157], v[154:155], v[152:153]
	v_fmac_f64_e32 v[154:155], v[152:153], v[156:157]
	v_div_scale_f64 v[152:153], s[10:11], v[154:155], v[154:155], 1.0
	v_rcp_f64_e32 v[158:159], v[152:153]
	s_nop 0
	v_fma_f64 v[160:161], -v[152:153], v[158:159], 1.0
	v_fmac_f64_e32 v[158:159], v[158:159], v[160:161]
	v_fma_f64 v[160:161], -v[152:153], v[158:159], 1.0
	v_fmac_f64_e32 v[158:159], v[158:159], v[160:161]
	v_div_scale_f64 v[160:161], vcc, 1.0, v[154:155], 1.0
	v_mul_f64 v[162:163], v[160:161], v[158:159]
	v_fma_f64 v[152:153], -v[152:153], v[162:163], v[160:161]
	s_nop 1
	v_div_fmas_f64 v[152:153], v[152:153], v[158:159], v[162:163]
	v_div_fixup_f64 v[158:159], v[152:153], v[154:155], 1.0
	v_mul_f64 v[156:157], v[156:157], v[158:159]
	v_xor_b32_e32 v159, 0x80000000, v159
                                        ; implicit-def: $vgpr152_vgpr153
.LBB75_104:
	s_andn2_saveexec_b64 s[2:3], s[2:3]
	s_cbranch_execz .LBB75_106
; %bb.105:
	v_div_scale_f64 v[156:157], s[10:11], v[152:153], v[152:153], v[154:155]
	v_rcp_f64_e32 v[158:159], v[156:157]
	v_div_scale_f64 v[160:161], vcc, v[154:155], v[152:153], v[154:155]
	v_fma_f64 v[162:163], -v[156:157], v[158:159], 1.0
	v_fmac_f64_e32 v[158:159], v[158:159], v[162:163]
	v_fma_f64 v[162:163], -v[156:157], v[158:159], 1.0
	v_fmac_f64_e32 v[158:159], v[158:159], v[162:163]
	v_mul_f64 v[162:163], v[160:161], v[158:159]
	v_fma_f64 v[156:157], -v[156:157], v[162:163], v[160:161]
	v_div_fmas_f64 v[156:157], v[156:157], v[158:159], v[162:163]
	v_div_fixup_f64 v[158:159], v[156:157], v[152:153], v[154:155]
	v_fmac_f64_e32 v[152:153], v[154:155], v[158:159]
	v_div_scale_f64 v[154:155], s[10:11], v[152:153], v[152:153], 1.0
	v_rcp_f64_e32 v[156:157], v[154:155]
	s_nop 0
	v_fma_f64 v[160:161], -v[154:155], v[156:157], 1.0
	v_fmac_f64_e32 v[156:157], v[156:157], v[160:161]
	v_fma_f64 v[160:161], -v[154:155], v[156:157], 1.0
	v_fmac_f64_e32 v[156:157], v[156:157], v[160:161]
	v_div_scale_f64 v[160:161], vcc, 1.0, v[152:153], 1.0
	v_mul_f64 v[162:163], v[160:161], v[156:157]
	v_fma_f64 v[154:155], -v[154:155], v[162:163], v[160:161]
	s_nop 1
	v_div_fmas_f64 v[154:155], v[154:155], v[156:157], v[162:163]
	v_div_fixup_f64 v[156:157], v[154:155], v[152:153], 1.0
	v_mul_f64 v[158:159], v[158:159], -v[156:157]
.LBB75_106:
	s_or_b64 exec, exec, s[2:3]
	ds_write2_b64 v203, v[156:157], v[158:159] offset1:1
.LBB75_107:
	s_or_b64 exec, exec, s[4:5]
	s_waitcnt lgkmcnt(0)
	s_barrier
	ds_read2_b64 v[152:155], v203 offset1:1
	v_cmp_lt_u32_e32 vcc, 11, v202
	s_waitcnt lgkmcnt(0)
	scratch_store_dwordx4 off, v[152:155], off offset:288 ; 16-byte Folded Spill
	s_and_saveexec_b64 s[2:3], vcc
	s_cbranch_execz .LBB75_109
; %bb.108:
	scratch_load_dwordx4 v[154:157], off, off offset:288 ; 16-byte Folded Reload
	s_waitcnt vmcnt(0)
	v_mul_f64 v[152:153], v[156:157], v[102:103]
	v_mul_f64 v[102:103], v[154:155], v[102:103]
	v_fma_f64 v[152:153], v[154:155], v[100:101], -v[152:153]
	v_fmac_f64_e32 v[102:103], v[156:157], v[100:101]
	ds_read2_b64 v[154:157], v204 offset0:24 offset1:25
	s_waitcnt lgkmcnt(0)
	v_mul_f64 v[100:101], v[156:157], v[102:103]
	v_fma_f64 v[100:101], v[154:155], v[152:153], -v[100:101]
	v_mul_f64 v[154:155], v[154:155], v[102:103]
	v_fmac_f64_e32 v[154:155], v[156:157], v[152:153]
	v_add_f64 v[98:99], v[98:99], -v[154:155]
	ds_read2_b64 v[154:157], v204 offset0:26 offset1:27
	v_add_f64 v[96:97], v[96:97], -v[100:101]
	s_waitcnt lgkmcnt(0)
	v_mul_f64 v[100:101], v[156:157], v[102:103]
	v_fma_f64 v[100:101], v[154:155], v[152:153], -v[100:101]
	v_mul_f64 v[154:155], v[154:155], v[102:103]
	v_fmac_f64_e32 v[154:155], v[156:157], v[152:153]
	v_add_f64 v[94:95], v[94:95], -v[154:155]
	ds_read2_b64 v[154:157], v204 offset0:28 offset1:29
	v_add_f64 v[92:93], v[92:93], -v[100:101]
	;; [unrolled: 8-line block ×25, first 2 shown]
	s_waitcnt lgkmcnt(0)
	v_mul_f64 v[100:101], v[156:157], v[102:103]
	v_fma_f64 v[100:101], v[154:155], v[152:153], -v[100:101]
	v_mul_f64 v[154:155], v[154:155], v[102:103]
	v_fmac_f64_e32 v[154:155], v[156:157], v[152:153]
	v_add_f64 v[148:149], v[148:149], -v[100:101]
	v_add_f64 v[150:151], v[150:151], -v[154:155]
	v_mov_b64_e32 v[100:101], v[152:153]
.LBB75_109:
	s_or_b64 exec, exec, s[2:3]
	v_cmp_eq_u32_e32 vcc, 12, v202
	s_waitcnt vmcnt(63) expcnt(7) lgkmcnt(15)
	s_barrier
	s_and_saveexec_b64 s[4:5], vcc
	s_cbranch_execz .LBB75_116
; %bb.110:
	s_waitcnt vmcnt(50)
	ds_write2_b64 v203, v[96:97], v[98:99] offset1:1
	s_waitcnt vmcnt(49)
	ds_write2_b64 v204, v[92:93], v[94:95] offset0:26 offset1:27
	s_waitcnt vmcnt(48)
	ds_write2_b64 v204, v[88:89], v[90:91] offset0:28 offset1:29
	;; [unrolled: 2-line block ×20, first 2 shown]
	ds_write2_b64 v204, v[12:13], v[14:15] offset0:66 offset1:67
	s_waitcnt vmcnt(17)
	ds_write2_b64 v204, v[8:9], v[10:11] offset0:68 offset1:69
	s_waitcnt vmcnt(16)
	ds_write2_b64 v204, v[4:5], v[6:7] offset0:70 offset1:71
	ds_write2_b64 v204, v[0:1], v[2:3] offset0:72 offset1:73
	s_waitcnt vmcnt(15)
	ds_write2_b64 v204, v[148:149], v[150:151] offset0:74 offset1:75
	ds_read2_b64 v[152:155], v203 offset1:1
	s_waitcnt lgkmcnt(0)
	v_cmp_neq_f64_e32 vcc, 0, v[152:153]
	v_cmp_neq_f64_e64 s[2:3], 0, v[154:155]
	s_or_b64 s[2:3], vcc, s[2:3]
	s_and_b64 exec, exec, s[2:3]
	s_cbranch_execz .LBB75_116
; %bb.111:
	v_cmp_ngt_f64_e64 s[2:3], |v[152:153]|, |v[154:155]|
                                        ; implicit-def: $vgpr156_vgpr157
	s_and_saveexec_b64 s[10:11], s[2:3]
	s_xor_b64 s[2:3], exec, s[10:11]
                                        ; implicit-def: $vgpr158_vgpr159
	s_cbranch_execz .LBB75_113
; %bb.112:
	v_div_scale_f64 v[156:157], s[10:11], v[154:155], v[154:155], v[152:153]
	v_rcp_f64_e32 v[158:159], v[156:157]
	v_div_scale_f64 v[160:161], vcc, v[152:153], v[154:155], v[152:153]
	v_fma_f64 v[162:163], -v[156:157], v[158:159], 1.0
	v_fmac_f64_e32 v[158:159], v[158:159], v[162:163]
	v_fma_f64 v[162:163], -v[156:157], v[158:159], 1.0
	v_fmac_f64_e32 v[158:159], v[158:159], v[162:163]
	v_mul_f64 v[162:163], v[160:161], v[158:159]
	v_fma_f64 v[156:157], -v[156:157], v[162:163], v[160:161]
	v_div_fmas_f64 v[156:157], v[156:157], v[158:159], v[162:163]
	v_div_fixup_f64 v[156:157], v[156:157], v[154:155], v[152:153]
	v_fmac_f64_e32 v[154:155], v[152:153], v[156:157]
	v_div_scale_f64 v[152:153], s[10:11], v[154:155], v[154:155], 1.0
	v_rcp_f64_e32 v[158:159], v[152:153]
	s_nop 0
	v_fma_f64 v[160:161], -v[152:153], v[158:159], 1.0
	v_fmac_f64_e32 v[158:159], v[158:159], v[160:161]
	v_fma_f64 v[160:161], -v[152:153], v[158:159], 1.0
	v_fmac_f64_e32 v[158:159], v[158:159], v[160:161]
	v_div_scale_f64 v[160:161], vcc, 1.0, v[154:155], 1.0
	v_mul_f64 v[162:163], v[160:161], v[158:159]
	v_fma_f64 v[152:153], -v[152:153], v[162:163], v[160:161]
	s_nop 1
	v_div_fmas_f64 v[152:153], v[152:153], v[158:159], v[162:163]
	v_div_fixup_f64 v[158:159], v[152:153], v[154:155], 1.0
	v_mul_f64 v[156:157], v[156:157], v[158:159]
	v_xor_b32_e32 v159, 0x80000000, v159
                                        ; implicit-def: $vgpr152_vgpr153
.LBB75_113:
	s_andn2_saveexec_b64 s[2:3], s[2:3]
	s_cbranch_execz .LBB75_115
; %bb.114:
	v_div_scale_f64 v[156:157], s[10:11], v[152:153], v[152:153], v[154:155]
	v_rcp_f64_e32 v[158:159], v[156:157]
	v_div_scale_f64 v[160:161], vcc, v[154:155], v[152:153], v[154:155]
	v_fma_f64 v[162:163], -v[156:157], v[158:159], 1.0
	v_fmac_f64_e32 v[158:159], v[158:159], v[162:163]
	v_fma_f64 v[162:163], -v[156:157], v[158:159], 1.0
	v_fmac_f64_e32 v[158:159], v[158:159], v[162:163]
	v_mul_f64 v[162:163], v[160:161], v[158:159]
	v_fma_f64 v[156:157], -v[156:157], v[162:163], v[160:161]
	v_div_fmas_f64 v[156:157], v[156:157], v[158:159], v[162:163]
	v_div_fixup_f64 v[158:159], v[156:157], v[152:153], v[154:155]
	v_fmac_f64_e32 v[152:153], v[154:155], v[158:159]
	v_div_scale_f64 v[154:155], s[10:11], v[152:153], v[152:153], 1.0
	v_rcp_f64_e32 v[156:157], v[154:155]
	s_nop 0
	v_fma_f64 v[160:161], -v[154:155], v[156:157], 1.0
	v_fmac_f64_e32 v[156:157], v[156:157], v[160:161]
	v_fma_f64 v[160:161], -v[154:155], v[156:157], 1.0
	v_fmac_f64_e32 v[156:157], v[156:157], v[160:161]
	v_div_scale_f64 v[160:161], vcc, 1.0, v[152:153], 1.0
	v_mul_f64 v[162:163], v[160:161], v[156:157]
	v_fma_f64 v[154:155], -v[154:155], v[162:163], v[160:161]
	s_nop 1
	v_div_fmas_f64 v[154:155], v[154:155], v[156:157], v[162:163]
	v_div_fixup_f64 v[156:157], v[154:155], v[152:153], 1.0
	v_mul_f64 v[158:159], v[158:159], -v[156:157]
.LBB75_115:
	s_or_b64 exec, exec, s[2:3]
	ds_write2_b64 v203, v[156:157], v[158:159] offset1:1
.LBB75_116:
	s_or_b64 exec, exec, s[4:5]
	s_waitcnt lgkmcnt(0)
	s_barrier
	ds_read2_b64 v[152:155], v203 offset1:1
	v_cmp_lt_u32_e32 vcc, 12, v202
	s_waitcnt lgkmcnt(0)
	scratch_store_dwordx4 off, v[152:155], off offset:304 ; 16-byte Folded Spill
	s_and_saveexec_b64 s[2:3], vcc
	s_cbranch_execz .LBB75_118
; %bb.117:
	scratch_load_dwordx4 v[154:157], off, off offset:304 ; 16-byte Folded Reload
	s_waitcnt vmcnt(0)
	v_mul_f64 v[152:153], v[156:157], v[98:99]
	v_mul_f64 v[98:99], v[154:155], v[98:99]
	v_fma_f64 v[152:153], v[154:155], v[96:97], -v[152:153]
	v_fmac_f64_e32 v[98:99], v[156:157], v[96:97]
	ds_read2_b64 v[154:157], v204 offset0:26 offset1:27
	s_waitcnt lgkmcnt(0)
	v_mul_f64 v[96:97], v[156:157], v[98:99]
	v_fma_f64 v[96:97], v[154:155], v[152:153], -v[96:97]
	v_mul_f64 v[154:155], v[154:155], v[98:99]
	v_fmac_f64_e32 v[154:155], v[156:157], v[152:153]
	v_add_f64 v[94:95], v[94:95], -v[154:155]
	ds_read2_b64 v[154:157], v204 offset0:28 offset1:29
	v_add_f64 v[92:93], v[92:93], -v[96:97]
	s_waitcnt lgkmcnt(0)
	v_mul_f64 v[96:97], v[156:157], v[98:99]
	v_fma_f64 v[96:97], v[154:155], v[152:153], -v[96:97]
	v_mul_f64 v[154:155], v[154:155], v[98:99]
	v_fmac_f64_e32 v[154:155], v[156:157], v[152:153]
	v_add_f64 v[90:91], v[90:91], -v[154:155]
	ds_read2_b64 v[154:157], v204 offset0:30 offset1:31
	v_add_f64 v[88:89], v[88:89], -v[96:97]
	;; [unrolled: 8-line block ×24, first 2 shown]
	s_waitcnt lgkmcnt(0)
	v_mul_f64 v[96:97], v[156:157], v[98:99]
	v_fma_f64 v[96:97], v[154:155], v[152:153], -v[96:97]
	v_mul_f64 v[154:155], v[154:155], v[98:99]
	v_fmac_f64_e32 v[154:155], v[156:157], v[152:153]
	v_add_f64 v[148:149], v[148:149], -v[96:97]
	v_add_f64 v[150:151], v[150:151], -v[154:155]
	v_mov_b64_e32 v[96:97], v[152:153]
.LBB75_118:
	s_or_b64 exec, exec, s[2:3]
	v_cmp_eq_u32_e32 vcc, 13, v202
	s_waitcnt vmcnt(63) expcnt(7) lgkmcnt(15)
	s_barrier
	s_and_saveexec_b64 s[4:5], vcc
	s_cbranch_execz .LBB75_125
; %bb.119:
	s_waitcnt vmcnt(50)
	ds_write2_b64 v203, v[92:93], v[94:95] offset1:1
	s_waitcnt vmcnt(49)
	ds_write2_b64 v204, v[88:89], v[90:91] offset0:28 offset1:29
	s_waitcnt vmcnt(48)
	ds_write2_b64 v204, v[84:85], v[86:87] offset0:30 offset1:31
	;; [unrolled: 2-line block ×19, first 2 shown]
	ds_write2_b64 v204, v[12:13], v[14:15] offset0:66 offset1:67
	s_waitcnt vmcnt(18)
	ds_write2_b64 v204, v[8:9], v[10:11] offset0:68 offset1:69
	s_waitcnt vmcnt(17)
	ds_write2_b64 v204, v[4:5], v[6:7] offset0:70 offset1:71
	ds_write2_b64 v204, v[0:1], v[2:3] offset0:72 offset1:73
	s_waitcnt vmcnt(16)
	ds_write2_b64 v204, v[148:149], v[150:151] offset0:74 offset1:75
	ds_read2_b64 v[152:155], v203 offset1:1
	s_waitcnt lgkmcnt(0)
	v_cmp_neq_f64_e32 vcc, 0, v[152:153]
	v_cmp_neq_f64_e64 s[2:3], 0, v[154:155]
	s_or_b64 s[2:3], vcc, s[2:3]
	s_and_b64 exec, exec, s[2:3]
	s_cbranch_execz .LBB75_125
; %bb.120:
	v_cmp_ngt_f64_e64 s[2:3], |v[152:153]|, |v[154:155]|
                                        ; implicit-def: $vgpr156_vgpr157
	s_and_saveexec_b64 s[10:11], s[2:3]
	s_xor_b64 s[2:3], exec, s[10:11]
                                        ; implicit-def: $vgpr158_vgpr159
	s_cbranch_execz .LBB75_122
; %bb.121:
	v_div_scale_f64 v[156:157], s[10:11], v[154:155], v[154:155], v[152:153]
	v_rcp_f64_e32 v[158:159], v[156:157]
	v_div_scale_f64 v[160:161], vcc, v[152:153], v[154:155], v[152:153]
	v_fma_f64 v[162:163], -v[156:157], v[158:159], 1.0
	v_fmac_f64_e32 v[158:159], v[158:159], v[162:163]
	v_fma_f64 v[162:163], -v[156:157], v[158:159], 1.0
	v_fmac_f64_e32 v[158:159], v[158:159], v[162:163]
	v_mul_f64 v[162:163], v[160:161], v[158:159]
	v_fma_f64 v[156:157], -v[156:157], v[162:163], v[160:161]
	v_div_fmas_f64 v[156:157], v[156:157], v[158:159], v[162:163]
	v_div_fixup_f64 v[156:157], v[156:157], v[154:155], v[152:153]
	v_fmac_f64_e32 v[154:155], v[152:153], v[156:157]
	v_div_scale_f64 v[152:153], s[10:11], v[154:155], v[154:155], 1.0
	v_rcp_f64_e32 v[158:159], v[152:153]
	s_nop 0
	v_fma_f64 v[160:161], -v[152:153], v[158:159], 1.0
	v_fmac_f64_e32 v[158:159], v[158:159], v[160:161]
	v_fma_f64 v[160:161], -v[152:153], v[158:159], 1.0
	v_fmac_f64_e32 v[158:159], v[158:159], v[160:161]
	v_div_scale_f64 v[160:161], vcc, 1.0, v[154:155], 1.0
	v_mul_f64 v[162:163], v[160:161], v[158:159]
	v_fma_f64 v[152:153], -v[152:153], v[162:163], v[160:161]
	s_nop 1
	v_div_fmas_f64 v[152:153], v[152:153], v[158:159], v[162:163]
	v_div_fixup_f64 v[158:159], v[152:153], v[154:155], 1.0
	v_mul_f64 v[156:157], v[156:157], v[158:159]
	v_xor_b32_e32 v159, 0x80000000, v159
                                        ; implicit-def: $vgpr152_vgpr153
.LBB75_122:
	s_andn2_saveexec_b64 s[2:3], s[2:3]
	s_cbranch_execz .LBB75_124
; %bb.123:
	v_div_scale_f64 v[156:157], s[10:11], v[152:153], v[152:153], v[154:155]
	v_rcp_f64_e32 v[158:159], v[156:157]
	v_div_scale_f64 v[160:161], vcc, v[154:155], v[152:153], v[154:155]
	v_fma_f64 v[162:163], -v[156:157], v[158:159], 1.0
	v_fmac_f64_e32 v[158:159], v[158:159], v[162:163]
	v_fma_f64 v[162:163], -v[156:157], v[158:159], 1.0
	v_fmac_f64_e32 v[158:159], v[158:159], v[162:163]
	v_mul_f64 v[162:163], v[160:161], v[158:159]
	v_fma_f64 v[156:157], -v[156:157], v[162:163], v[160:161]
	v_div_fmas_f64 v[156:157], v[156:157], v[158:159], v[162:163]
	v_div_fixup_f64 v[158:159], v[156:157], v[152:153], v[154:155]
	v_fmac_f64_e32 v[152:153], v[154:155], v[158:159]
	v_div_scale_f64 v[154:155], s[10:11], v[152:153], v[152:153], 1.0
	v_rcp_f64_e32 v[156:157], v[154:155]
	s_nop 0
	v_fma_f64 v[160:161], -v[154:155], v[156:157], 1.0
	v_fmac_f64_e32 v[156:157], v[156:157], v[160:161]
	v_fma_f64 v[160:161], -v[154:155], v[156:157], 1.0
	v_fmac_f64_e32 v[156:157], v[156:157], v[160:161]
	v_div_scale_f64 v[160:161], vcc, 1.0, v[152:153], 1.0
	v_mul_f64 v[162:163], v[160:161], v[156:157]
	v_fma_f64 v[154:155], -v[154:155], v[162:163], v[160:161]
	s_nop 1
	v_div_fmas_f64 v[154:155], v[154:155], v[156:157], v[162:163]
	v_div_fixup_f64 v[156:157], v[154:155], v[152:153], 1.0
	v_mul_f64 v[158:159], v[158:159], -v[156:157]
.LBB75_124:
	s_or_b64 exec, exec, s[2:3]
	ds_write2_b64 v203, v[156:157], v[158:159] offset1:1
.LBB75_125:
	s_or_b64 exec, exec, s[4:5]
	s_waitcnt lgkmcnt(0)
	s_barrier
	ds_read2_b64 v[152:155], v203 offset1:1
	v_cmp_lt_u32_e32 vcc, 13, v202
	s_waitcnt lgkmcnt(0)
	scratch_store_dwordx4 off, v[152:155], off offset:320 ; 16-byte Folded Spill
	s_and_saveexec_b64 s[2:3], vcc
	s_cbranch_execz .LBB75_127
; %bb.126:
	scratch_load_dwordx4 v[154:157], off, off offset:320 ; 16-byte Folded Reload
	s_waitcnt vmcnt(0)
	v_mul_f64 v[152:153], v[156:157], v[94:95]
	v_mul_f64 v[94:95], v[154:155], v[94:95]
	v_fma_f64 v[152:153], v[154:155], v[92:93], -v[152:153]
	v_fmac_f64_e32 v[94:95], v[156:157], v[92:93]
	ds_read2_b64 v[154:157], v204 offset0:28 offset1:29
	s_waitcnt lgkmcnt(0)
	v_mul_f64 v[92:93], v[156:157], v[94:95]
	v_fma_f64 v[92:93], v[154:155], v[152:153], -v[92:93]
	v_mul_f64 v[154:155], v[154:155], v[94:95]
	v_fmac_f64_e32 v[154:155], v[156:157], v[152:153]
	v_add_f64 v[90:91], v[90:91], -v[154:155]
	ds_read2_b64 v[154:157], v204 offset0:30 offset1:31
	v_add_f64 v[88:89], v[88:89], -v[92:93]
	s_waitcnt lgkmcnt(0)
	v_mul_f64 v[92:93], v[156:157], v[94:95]
	v_fma_f64 v[92:93], v[154:155], v[152:153], -v[92:93]
	v_mul_f64 v[154:155], v[154:155], v[94:95]
	v_fmac_f64_e32 v[154:155], v[156:157], v[152:153]
	v_add_f64 v[86:87], v[86:87], -v[154:155]
	ds_read2_b64 v[154:157], v204 offset0:32 offset1:33
	v_add_f64 v[84:85], v[84:85], -v[92:93]
	;; [unrolled: 8-line block ×23, first 2 shown]
	s_waitcnt lgkmcnt(0)
	v_mul_f64 v[92:93], v[156:157], v[94:95]
	v_fma_f64 v[92:93], v[154:155], v[152:153], -v[92:93]
	v_mul_f64 v[154:155], v[154:155], v[94:95]
	v_fmac_f64_e32 v[154:155], v[156:157], v[152:153]
	v_add_f64 v[148:149], v[148:149], -v[92:93]
	v_add_f64 v[150:151], v[150:151], -v[154:155]
	v_mov_b64_e32 v[92:93], v[152:153]
.LBB75_127:
	s_or_b64 exec, exec, s[2:3]
	v_cmp_eq_u32_e32 vcc, 14, v202
	s_waitcnt vmcnt(63) expcnt(7) lgkmcnt(15)
	s_barrier
	s_and_saveexec_b64 s[4:5], vcc
	s_cbranch_execz .LBB75_134
; %bb.128:
	s_waitcnt vmcnt(50)
	ds_write2_b64 v203, v[88:89], v[90:91] offset1:1
	s_waitcnt vmcnt(49)
	ds_write2_b64 v204, v[84:85], v[86:87] offset0:30 offset1:31
	s_waitcnt vmcnt(48)
	ds_write2_b64 v204, v[80:81], v[82:83] offset0:32 offset1:33
	;; [unrolled: 2-line block ×18, first 2 shown]
	ds_write2_b64 v204, v[12:13], v[14:15] offset0:66 offset1:67
	s_waitcnt vmcnt(19)
	ds_write2_b64 v204, v[8:9], v[10:11] offset0:68 offset1:69
	s_waitcnt vmcnt(18)
	ds_write2_b64 v204, v[4:5], v[6:7] offset0:70 offset1:71
	ds_write2_b64 v204, v[0:1], v[2:3] offset0:72 offset1:73
	s_waitcnt vmcnt(17)
	ds_write2_b64 v204, v[148:149], v[150:151] offset0:74 offset1:75
	ds_read2_b64 v[152:155], v203 offset1:1
	s_waitcnt lgkmcnt(0)
	v_cmp_neq_f64_e32 vcc, 0, v[152:153]
	v_cmp_neq_f64_e64 s[2:3], 0, v[154:155]
	s_or_b64 s[2:3], vcc, s[2:3]
	s_and_b64 exec, exec, s[2:3]
	s_cbranch_execz .LBB75_134
; %bb.129:
	v_cmp_ngt_f64_e64 s[2:3], |v[152:153]|, |v[154:155]|
                                        ; implicit-def: $vgpr156_vgpr157
	s_and_saveexec_b64 s[10:11], s[2:3]
	s_xor_b64 s[2:3], exec, s[10:11]
                                        ; implicit-def: $vgpr158_vgpr159
	s_cbranch_execz .LBB75_131
; %bb.130:
	v_div_scale_f64 v[156:157], s[10:11], v[154:155], v[154:155], v[152:153]
	v_rcp_f64_e32 v[158:159], v[156:157]
	v_div_scale_f64 v[160:161], vcc, v[152:153], v[154:155], v[152:153]
	v_fma_f64 v[162:163], -v[156:157], v[158:159], 1.0
	v_fmac_f64_e32 v[158:159], v[158:159], v[162:163]
	v_fma_f64 v[162:163], -v[156:157], v[158:159], 1.0
	v_fmac_f64_e32 v[158:159], v[158:159], v[162:163]
	v_mul_f64 v[162:163], v[160:161], v[158:159]
	v_fma_f64 v[156:157], -v[156:157], v[162:163], v[160:161]
	v_div_fmas_f64 v[156:157], v[156:157], v[158:159], v[162:163]
	v_div_fixup_f64 v[156:157], v[156:157], v[154:155], v[152:153]
	v_fmac_f64_e32 v[154:155], v[152:153], v[156:157]
	v_div_scale_f64 v[152:153], s[10:11], v[154:155], v[154:155], 1.0
	v_rcp_f64_e32 v[158:159], v[152:153]
	s_nop 0
	v_fma_f64 v[160:161], -v[152:153], v[158:159], 1.0
	v_fmac_f64_e32 v[158:159], v[158:159], v[160:161]
	v_fma_f64 v[160:161], -v[152:153], v[158:159], 1.0
	v_fmac_f64_e32 v[158:159], v[158:159], v[160:161]
	v_div_scale_f64 v[160:161], vcc, 1.0, v[154:155], 1.0
	v_mul_f64 v[162:163], v[160:161], v[158:159]
	v_fma_f64 v[152:153], -v[152:153], v[162:163], v[160:161]
	s_nop 1
	v_div_fmas_f64 v[152:153], v[152:153], v[158:159], v[162:163]
	v_div_fixup_f64 v[158:159], v[152:153], v[154:155], 1.0
	v_mul_f64 v[156:157], v[156:157], v[158:159]
	v_xor_b32_e32 v159, 0x80000000, v159
                                        ; implicit-def: $vgpr152_vgpr153
.LBB75_131:
	s_andn2_saveexec_b64 s[2:3], s[2:3]
	s_cbranch_execz .LBB75_133
; %bb.132:
	v_div_scale_f64 v[156:157], s[10:11], v[152:153], v[152:153], v[154:155]
	v_rcp_f64_e32 v[158:159], v[156:157]
	v_div_scale_f64 v[160:161], vcc, v[154:155], v[152:153], v[154:155]
	v_fma_f64 v[162:163], -v[156:157], v[158:159], 1.0
	v_fmac_f64_e32 v[158:159], v[158:159], v[162:163]
	v_fma_f64 v[162:163], -v[156:157], v[158:159], 1.0
	v_fmac_f64_e32 v[158:159], v[158:159], v[162:163]
	v_mul_f64 v[162:163], v[160:161], v[158:159]
	v_fma_f64 v[156:157], -v[156:157], v[162:163], v[160:161]
	v_div_fmas_f64 v[156:157], v[156:157], v[158:159], v[162:163]
	v_div_fixup_f64 v[158:159], v[156:157], v[152:153], v[154:155]
	v_fmac_f64_e32 v[152:153], v[154:155], v[158:159]
	v_div_scale_f64 v[154:155], s[10:11], v[152:153], v[152:153], 1.0
	v_rcp_f64_e32 v[156:157], v[154:155]
	s_nop 0
	v_fma_f64 v[160:161], -v[154:155], v[156:157], 1.0
	v_fmac_f64_e32 v[156:157], v[156:157], v[160:161]
	v_fma_f64 v[160:161], -v[154:155], v[156:157], 1.0
	v_fmac_f64_e32 v[156:157], v[156:157], v[160:161]
	v_div_scale_f64 v[160:161], vcc, 1.0, v[152:153], 1.0
	v_mul_f64 v[162:163], v[160:161], v[156:157]
	v_fma_f64 v[154:155], -v[154:155], v[162:163], v[160:161]
	s_nop 1
	v_div_fmas_f64 v[154:155], v[154:155], v[156:157], v[162:163]
	v_div_fixup_f64 v[156:157], v[154:155], v[152:153], 1.0
	v_mul_f64 v[158:159], v[158:159], -v[156:157]
.LBB75_133:
	s_or_b64 exec, exec, s[2:3]
	ds_write2_b64 v203, v[156:157], v[158:159] offset1:1
.LBB75_134:
	s_or_b64 exec, exec, s[4:5]
	s_waitcnt lgkmcnt(0)
	s_barrier
	ds_read2_b64 v[152:155], v203 offset1:1
	v_cmp_lt_u32_e32 vcc, 14, v202
	s_waitcnt lgkmcnt(0)
	scratch_store_dwordx4 off, v[152:155], off offset:336 ; 16-byte Folded Spill
	s_and_saveexec_b64 s[2:3], vcc
	s_cbranch_execz .LBB75_136
; %bb.135:
	scratch_load_dwordx4 v[154:157], off, off offset:336 ; 16-byte Folded Reload
	s_waitcnt vmcnt(0)
	v_mul_f64 v[152:153], v[156:157], v[90:91]
	v_mul_f64 v[90:91], v[154:155], v[90:91]
	v_fma_f64 v[152:153], v[154:155], v[88:89], -v[152:153]
	v_fmac_f64_e32 v[90:91], v[156:157], v[88:89]
	ds_read2_b64 v[154:157], v204 offset0:30 offset1:31
	s_waitcnt lgkmcnt(0)
	v_mul_f64 v[88:89], v[156:157], v[90:91]
	v_fma_f64 v[88:89], v[154:155], v[152:153], -v[88:89]
	v_mul_f64 v[154:155], v[154:155], v[90:91]
	v_fmac_f64_e32 v[154:155], v[156:157], v[152:153]
	v_add_f64 v[86:87], v[86:87], -v[154:155]
	ds_read2_b64 v[154:157], v204 offset0:32 offset1:33
	v_add_f64 v[84:85], v[84:85], -v[88:89]
	s_waitcnt lgkmcnt(0)
	v_mul_f64 v[88:89], v[156:157], v[90:91]
	v_fma_f64 v[88:89], v[154:155], v[152:153], -v[88:89]
	v_mul_f64 v[154:155], v[154:155], v[90:91]
	v_fmac_f64_e32 v[154:155], v[156:157], v[152:153]
	v_add_f64 v[82:83], v[82:83], -v[154:155]
	ds_read2_b64 v[154:157], v204 offset0:34 offset1:35
	v_add_f64 v[80:81], v[80:81], -v[88:89]
	;; [unrolled: 8-line block ×22, first 2 shown]
	s_waitcnt lgkmcnt(0)
	v_mul_f64 v[88:89], v[156:157], v[90:91]
	v_fma_f64 v[88:89], v[154:155], v[152:153], -v[88:89]
	v_mul_f64 v[154:155], v[154:155], v[90:91]
	v_fmac_f64_e32 v[154:155], v[156:157], v[152:153]
	v_add_f64 v[148:149], v[148:149], -v[88:89]
	v_add_f64 v[150:151], v[150:151], -v[154:155]
	v_mov_b64_e32 v[88:89], v[152:153]
.LBB75_136:
	s_or_b64 exec, exec, s[2:3]
	v_cmp_eq_u32_e32 vcc, 15, v202
	s_waitcnt vmcnt(63) expcnt(7) lgkmcnt(15)
	s_barrier
	s_and_saveexec_b64 s[4:5], vcc
	s_cbranch_execz .LBB75_143
; %bb.137:
	s_waitcnt vmcnt(50)
	ds_write2_b64 v203, v[84:85], v[86:87] offset1:1
	s_waitcnt vmcnt(49)
	ds_write2_b64 v204, v[80:81], v[82:83] offset0:32 offset1:33
	s_waitcnt vmcnt(48)
	ds_write2_b64 v204, v[76:77], v[78:79] offset0:34 offset1:35
	s_waitcnt vmcnt(47)
	ds_write2_b64 v204, v[72:73], v[74:75] offset0:36 offset1:37
	s_waitcnt vmcnt(46)
	ds_write2_b64 v204, v[68:69], v[70:71] offset0:38 offset1:39
	s_waitcnt vmcnt(45)
	ds_write2_b64 v204, v[64:65], v[66:67] offset0:40 offset1:41
	s_waitcnt vmcnt(44)
	ds_write2_b64 v204, v[60:61], v[62:63] offset0:42 offset1:43
	s_waitcnt vmcnt(43)
	ds_write2_b64 v204, v[56:57], v[58:59] offset0:44 offset1:45
	s_waitcnt vmcnt(42)
	ds_write2_b64 v204, v[52:53], v[54:55] offset0:46 offset1:47
	s_waitcnt vmcnt(41)
	ds_write2_b64 v204, v[48:49], v[50:51] offset0:48 offset1:49
	s_waitcnt vmcnt(40)
	ds_write2_b64 v204, v[44:45], v[46:47] offset0:50 offset1:51
	s_waitcnt vmcnt(39)
	ds_write2_b64 v204, v[40:41], v[42:43] offset0:52 offset1:53
	s_waitcnt vmcnt(38)
	ds_write2_b64 v204, v[36:37], v[38:39] offset0:54 offset1:55
	s_waitcnt vmcnt(37)
	ds_write2_b64 v204, v[32:33], v[34:35] offset0:56 offset1:57
	s_waitcnt vmcnt(36)
	ds_write2_b64 v204, v[28:29], v[30:31] offset0:58 offset1:59
	s_waitcnt vmcnt(35)
	ds_write2_b64 v204, v[24:25], v[26:27] offset0:60 offset1:61
	s_waitcnt vmcnt(34)
	ds_write2_b64 v204, v[20:21], v[22:23] offset0:62 offset1:63
	s_waitcnt vmcnt(22)
	ds_write2_b64 v204, v[16:17], v[18:19] offset0:64 offset1:65
	ds_write2_b64 v204, v[12:13], v[14:15] offset0:66 offset1:67
	s_waitcnt vmcnt(20)
	ds_write2_b64 v204, v[8:9], v[10:11] offset0:68 offset1:69
	s_waitcnt vmcnt(19)
	ds_write2_b64 v204, v[4:5], v[6:7] offset0:70 offset1:71
	ds_write2_b64 v204, v[0:1], v[2:3] offset0:72 offset1:73
	s_waitcnt vmcnt(18)
	ds_write2_b64 v204, v[148:149], v[150:151] offset0:74 offset1:75
	ds_read2_b64 v[152:155], v203 offset1:1
	s_waitcnt lgkmcnt(0)
	v_cmp_neq_f64_e32 vcc, 0, v[152:153]
	v_cmp_neq_f64_e64 s[2:3], 0, v[154:155]
	s_or_b64 s[2:3], vcc, s[2:3]
	s_and_b64 exec, exec, s[2:3]
	s_cbranch_execz .LBB75_143
; %bb.138:
	v_cmp_ngt_f64_e64 s[2:3], |v[152:153]|, |v[154:155]|
                                        ; implicit-def: $vgpr156_vgpr157
	s_and_saveexec_b64 s[10:11], s[2:3]
	s_xor_b64 s[2:3], exec, s[10:11]
                                        ; implicit-def: $vgpr158_vgpr159
	s_cbranch_execz .LBB75_140
; %bb.139:
	v_div_scale_f64 v[156:157], s[10:11], v[154:155], v[154:155], v[152:153]
	v_rcp_f64_e32 v[158:159], v[156:157]
	v_div_scale_f64 v[160:161], vcc, v[152:153], v[154:155], v[152:153]
	v_fma_f64 v[162:163], -v[156:157], v[158:159], 1.0
	v_fmac_f64_e32 v[158:159], v[158:159], v[162:163]
	v_fma_f64 v[162:163], -v[156:157], v[158:159], 1.0
	v_fmac_f64_e32 v[158:159], v[158:159], v[162:163]
	v_mul_f64 v[162:163], v[160:161], v[158:159]
	v_fma_f64 v[156:157], -v[156:157], v[162:163], v[160:161]
	v_div_fmas_f64 v[156:157], v[156:157], v[158:159], v[162:163]
	v_div_fixup_f64 v[156:157], v[156:157], v[154:155], v[152:153]
	v_fmac_f64_e32 v[154:155], v[152:153], v[156:157]
	v_div_scale_f64 v[152:153], s[10:11], v[154:155], v[154:155], 1.0
	v_rcp_f64_e32 v[158:159], v[152:153]
	s_nop 0
	v_fma_f64 v[160:161], -v[152:153], v[158:159], 1.0
	v_fmac_f64_e32 v[158:159], v[158:159], v[160:161]
	v_fma_f64 v[160:161], -v[152:153], v[158:159], 1.0
	v_fmac_f64_e32 v[158:159], v[158:159], v[160:161]
	v_div_scale_f64 v[160:161], vcc, 1.0, v[154:155], 1.0
	v_mul_f64 v[162:163], v[160:161], v[158:159]
	v_fma_f64 v[152:153], -v[152:153], v[162:163], v[160:161]
	s_nop 1
	v_div_fmas_f64 v[152:153], v[152:153], v[158:159], v[162:163]
	v_div_fixup_f64 v[158:159], v[152:153], v[154:155], 1.0
	v_mul_f64 v[156:157], v[156:157], v[158:159]
	v_xor_b32_e32 v159, 0x80000000, v159
                                        ; implicit-def: $vgpr152_vgpr153
.LBB75_140:
	s_andn2_saveexec_b64 s[2:3], s[2:3]
	s_cbranch_execz .LBB75_142
; %bb.141:
	v_div_scale_f64 v[156:157], s[10:11], v[152:153], v[152:153], v[154:155]
	v_rcp_f64_e32 v[158:159], v[156:157]
	v_div_scale_f64 v[160:161], vcc, v[154:155], v[152:153], v[154:155]
	v_fma_f64 v[162:163], -v[156:157], v[158:159], 1.0
	v_fmac_f64_e32 v[158:159], v[158:159], v[162:163]
	v_fma_f64 v[162:163], -v[156:157], v[158:159], 1.0
	v_fmac_f64_e32 v[158:159], v[158:159], v[162:163]
	v_mul_f64 v[162:163], v[160:161], v[158:159]
	v_fma_f64 v[156:157], -v[156:157], v[162:163], v[160:161]
	v_div_fmas_f64 v[156:157], v[156:157], v[158:159], v[162:163]
	v_div_fixup_f64 v[158:159], v[156:157], v[152:153], v[154:155]
	v_fmac_f64_e32 v[152:153], v[154:155], v[158:159]
	v_div_scale_f64 v[154:155], s[10:11], v[152:153], v[152:153], 1.0
	v_rcp_f64_e32 v[156:157], v[154:155]
	s_nop 0
	v_fma_f64 v[160:161], -v[154:155], v[156:157], 1.0
	v_fmac_f64_e32 v[156:157], v[156:157], v[160:161]
	v_fma_f64 v[160:161], -v[154:155], v[156:157], 1.0
	v_fmac_f64_e32 v[156:157], v[156:157], v[160:161]
	v_div_scale_f64 v[160:161], vcc, 1.0, v[152:153], 1.0
	v_mul_f64 v[162:163], v[160:161], v[156:157]
	v_fma_f64 v[154:155], -v[154:155], v[162:163], v[160:161]
	s_nop 1
	v_div_fmas_f64 v[154:155], v[154:155], v[156:157], v[162:163]
	v_div_fixup_f64 v[156:157], v[154:155], v[152:153], 1.0
	v_mul_f64 v[158:159], v[158:159], -v[156:157]
.LBB75_142:
	s_or_b64 exec, exec, s[2:3]
	ds_write2_b64 v203, v[156:157], v[158:159] offset1:1
.LBB75_143:
	s_or_b64 exec, exec, s[4:5]
	s_waitcnt lgkmcnt(0)
	s_barrier
	ds_read2_b64 v[152:155], v203 offset1:1
	v_cmp_lt_u32_e32 vcc, 15, v202
	s_waitcnt lgkmcnt(0)
	scratch_store_dwordx4 off, v[152:155], off offset:352 ; 16-byte Folded Spill
	s_and_saveexec_b64 s[2:3], vcc
	s_cbranch_execz .LBB75_145
; %bb.144:
	scratch_load_dwordx4 v[154:157], off, off offset:352 ; 16-byte Folded Reload
	s_waitcnt vmcnt(0)
	v_mul_f64 v[152:153], v[156:157], v[86:87]
	v_mul_f64 v[86:87], v[154:155], v[86:87]
	v_fma_f64 v[152:153], v[154:155], v[84:85], -v[152:153]
	v_fmac_f64_e32 v[86:87], v[156:157], v[84:85]
	ds_read2_b64 v[154:157], v204 offset0:32 offset1:33
	s_waitcnt lgkmcnt(0)
	v_mul_f64 v[84:85], v[156:157], v[86:87]
	v_fma_f64 v[84:85], v[154:155], v[152:153], -v[84:85]
	v_mul_f64 v[154:155], v[154:155], v[86:87]
	v_fmac_f64_e32 v[154:155], v[156:157], v[152:153]
	v_add_f64 v[82:83], v[82:83], -v[154:155]
	ds_read2_b64 v[154:157], v204 offset0:34 offset1:35
	v_add_f64 v[80:81], v[80:81], -v[84:85]
	s_waitcnt lgkmcnt(0)
	v_mul_f64 v[84:85], v[156:157], v[86:87]
	v_fma_f64 v[84:85], v[154:155], v[152:153], -v[84:85]
	v_mul_f64 v[154:155], v[154:155], v[86:87]
	v_fmac_f64_e32 v[154:155], v[156:157], v[152:153]
	v_add_f64 v[78:79], v[78:79], -v[154:155]
	ds_read2_b64 v[154:157], v204 offset0:36 offset1:37
	v_add_f64 v[76:77], v[76:77], -v[84:85]
	;; [unrolled: 8-line block ×21, first 2 shown]
	s_waitcnt lgkmcnt(0)
	v_mul_f64 v[84:85], v[156:157], v[86:87]
	v_fma_f64 v[84:85], v[154:155], v[152:153], -v[84:85]
	v_mul_f64 v[154:155], v[154:155], v[86:87]
	v_fmac_f64_e32 v[154:155], v[156:157], v[152:153]
	v_add_f64 v[148:149], v[148:149], -v[84:85]
	v_add_f64 v[150:151], v[150:151], -v[154:155]
	v_mov_b64_e32 v[84:85], v[152:153]
.LBB75_145:
	s_or_b64 exec, exec, s[2:3]
	v_cmp_eq_u32_e32 vcc, 16, v202
	s_waitcnt vmcnt(63) expcnt(7) lgkmcnt(15)
	s_barrier
	s_and_saveexec_b64 s[4:5], vcc
	s_cbranch_execz .LBB75_152
; %bb.146:
	s_waitcnt vmcnt(50)
	ds_write2_b64 v203, v[80:81], v[82:83] offset1:1
	s_waitcnt vmcnt(49)
	ds_write2_b64 v204, v[76:77], v[78:79] offset0:34 offset1:35
	s_waitcnt vmcnt(48)
	ds_write2_b64 v204, v[72:73], v[74:75] offset0:36 offset1:37
	;; [unrolled: 2-line block ×16, first 2 shown]
	ds_write2_b64 v204, v[12:13], v[14:15] offset0:66 offset1:67
	s_waitcnt vmcnt(21)
	ds_write2_b64 v204, v[8:9], v[10:11] offset0:68 offset1:69
	s_waitcnt vmcnt(20)
	ds_write2_b64 v204, v[4:5], v[6:7] offset0:70 offset1:71
	ds_write2_b64 v204, v[0:1], v[2:3] offset0:72 offset1:73
	s_waitcnt vmcnt(19)
	ds_write2_b64 v204, v[148:149], v[150:151] offset0:74 offset1:75
	ds_read2_b64 v[152:155], v203 offset1:1
	s_waitcnt lgkmcnt(0)
	v_cmp_neq_f64_e32 vcc, 0, v[152:153]
	v_cmp_neq_f64_e64 s[2:3], 0, v[154:155]
	s_or_b64 s[2:3], vcc, s[2:3]
	s_and_b64 exec, exec, s[2:3]
	s_cbranch_execz .LBB75_152
; %bb.147:
	v_cmp_ngt_f64_e64 s[2:3], |v[152:153]|, |v[154:155]|
                                        ; implicit-def: $vgpr156_vgpr157
	s_and_saveexec_b64 s[10:11], s[2:3]
	s_xor_b64 s[2:3], exec, s[10:11]
                                        ; implicit-def: $vgpr158_vgpr159
	s_cbranch_execz .LBB75_149
; %bb.148:
	v_div_scale_f64 v[156:157], s[10:11], v[154:155], v[154:155], v[152:153]
	v_rcp_f64_e32 v[158:159], v[156:157]
	v_div_scale_f64 v[160:161], vcc, v[152:153], v[154:155], v[152:153]
	v_fma_f64 v[162:163], -v[156:157], v[158:159], 1.0
	v_fmac_f64_e32 v[158:159], v[158:159], v[162:163]
	v_fma_f64 v[162:163], -v[156:157], v[158:159], 1.0
	v_fmac_f64_e32 v[158:159], v[158:159], v[162:163]
	v_mul_f64 v[162:163], v[160:161], v[158:159]
	v_fma_f64 v[156:157], -v[156:157], v[162:163], v[160:161]
	v_div_fmas_f64 v[156:157], v[156:157], v[158:159], v[162:163]
	v_div_fixup_f64 v[156:157], v[156:157], v[154:155], v[152:153]
	v_fmac_f64_e32 v[154:155], v[152:153], v[156:157]
	v_div_scale_f64 v[152:153], s[10:11], v[154:155], v[154:155], 1.0
	v_rcp_f64_e32 v[158:159], v[152:153]
	s_nop 0
	v_fma_f64 v[160:161], -v[152:153], v[158:159], 1.0
	v_fmac_f64_e32 v[158:159], v[158:159], v[160:161]
	v_fma_f64 v[160:161], -v[152:153], v[158:159], 1.0
	v_fmac_f64_e32 v[158:159], v[158:159], v[160:161]
	v_div_scale_f64 v[160:161], vcc, 1.0, v[154:155], 1.0
	v_mul_f64 v[162:163], v[160:161], v[158:159]
	v_fma_f64 v[152:153], -v[152:153], v[162:163], v[160:161]
	s_nop 1
	v_div_fmas_f64 v[152:153], v[152:153], v[158:159], v[162:163]
	v_div_fixup_f64 v[158:159], v[152:153], v[154:155], 1.0
	v_mul_f64 v[156:157], v[156:157], v[158:159]
	v_xor_b32_e32 v159, 0x80000000, v159
                                        ; implicit-def: $vgpr152_vgpr153
.LBB75_149:
	s_andn2_saveexec_b64 s[2:3], s[2:3]
	s_cbranch_execz .LBB75_151
; %bb.150:
	v_div_scale_f64 v[156:157], s[10:11], v[152:153], v[152:153], v[154:155]
	v_rcp_f64_e32 v[158:159], v[156:157]
	v_div_scale_f64 v[160:161], vcc, v[154:155], v[152:153], v[154:155]
	v_fma_f64 v[162:163], -v[156:157], v[158:159], 1.0
	v_fmac_f64_e32 v[158:159], v[158:159], v[162:163]
	v_fma_f64 v[162:163], -v[156:157], v[158:159], 1.0
	v_fmac_f64_e32 v[158:159], v[158:159], v[162:163]
	v_mul_f64 v[162:163], v[160:161], v[158:159]
	v_fma_f64 v[156:157], -v[156:157], v[162:163], v[160:161]
	v_div_fmas_f64 v[156:157], v[156:157], v[158:159], v[162:163]
	v_div_fixup_f64 v[158:159], v[156:157], v[152:153], v[154:155]
	v_fmac_f64_e32 v[152:153], v[154:155], v[158:159]
	v_div_scale_f64 v[154:155], s[10:11], v[152:153], v[152:153], 1.0
	v_rcp_f64_e32 v[156:157], v[154:155]
	s_nop 0
	v_fma_f64 v[160:161], -v[154:155], v[156:157], 1.0
	v_fmac_f64_e32 v[156:157], v[156:157], v[160:161]
	v_fma_f64 v[160:161], -v[154:155], v[156:157], 1.0
	v_fmac_f64_e32 v[156:157], v[156:157], v[160:161]
	v_div_scale_f64 v[160:161], vcc, 1.0, v[152:153], 1.0
	v_mul_f64 v[162:163], v[160:161], v[156:157]
	v_fma_f64 v[154:155], -v[154:155], v[162:163], v[160:161]
	s_nop 1
	v_div_fmas_f64 v[154:155], v[154:155], v[156:157], v[162:163]
	v_div_fixup_f64 v[156:157], v[154:155], v[152:153], 1.0
	v_mul_f64 v[158:159], v[158:159], -v[156:157]
.LBB75_151:
	s_or_b64 exec, exec, s[2:3]
	ds_write2_b64 v203, v[156:157], v[158:159] offset1:1
.LBB75_152:
	s_or_b64 exec, exec, s[4:5]
	s_waitcnt lgkmcnt(0)
	s_barrier
	ds_read2_b64 v[152:155], v203 offset1:1
	v_cmp_lt_u32_e32 vcc, 16, v202
	s_waitcnt lgkmcnt(0)
	scratch_store_dwordx4 off, v[152:155], off offset:368 ; 16-byte Folded Spill
	s_and_saveexec_b64 s[2:3], vcc
	s_cbranch_execz .LBB75_154
; %bb.153:
	scratch_load_dwordx4 v[154:157], off, off offset:368 ; 16-byte Folded Reload
	s_waitcnt vmcnt(0)
	v_mul_f64 v[152:153], v[156:157], v[82:83]
	v_mul_f64 v[82:83], v[154:155], v[82:83]
	v_fma_f64 v[152:153], v[154:155], v[80:81], -v[152:153]
	v_fmac_f64_e32 v[82:83], v[156:157], v[80:81]
	ds_read2_b64 v[154:157], v204 offset0:34 offset1:35
	s_waitcnt lgkmcnt(0)
	v_mul_f64 v[80:81], v[156:157], v[82:83]
	v_fma_f64 v[80:81], v[154:155], v[152:153], -v[80:81]
	v_mul_f64 v[154:155], v[154:155], v[82:83]
	v_fmac_f64_e32 v[154:155], v[156:157], v[152:153]
	v_add_f64 v[78:79], v[78:79], -v[154:155]
	ds_read2_b64 v[154:157], v204 offset0:36 offset1:37
	v_add_f64 v[76:77], v[76:77], -v[80:81]
	s_waitcnt lgkmcnt(0)
	v_mul_f64 v[80:81], v[156:157], v[82:83]
	v_fma_f64 v[80:81], v[154:155], v[152:153], -v[80:81]
	v_mul_f64 v[154:155], v[154:155], v[82:83]
	v_fmac_f64_e32 v[154:155], v[156:157], v[152:153]
	v_add_f64 v[74:75], v[74:75], -v[154:155]
	ds_read2_b64 v[154:157], v204 offset0:38 offset1:39
	v_add_f64 v[72:73], v[72:73], -v[80:81]
	;; [unrolled: 8-line block ×20, first 2 shown]
	s_waitcnt lgkmcnt(0)
	v_mul_f64 v[80:81], v[156:157], v[82:83]
	v_fma_f64 v[80:81], v[154:155], v[152:153], -v[80:81]
	v_mul_f64 v[154:155], v[154:155], v[82:83]
	v_fmac_f64_e32 v[154:155], v[156:157], v[152:153]
	v_add_f64 v[148:149], v[148:149], -v[80:81]
	v_add_f64 v[150:151], v[150:151], -v[154:155]
	v_mov_b64_e32 v[80:81], v[152:153]
.LBB75_154:
	s_or_b64 exec, exec, s[2:3]
	v_cmp_eq_u32_e32 vcc, 17, v202
	s_waitcnt vmcnt(63) expcnt(7) lgkmcnt(15)
	s_barrier
	s_and_saveexec_b64 s[4:5], vcc
	s_cbranch_execz .LBB75_161
; %bb.155:
	s_waitcnt vmcnt(50)
	ds_write2_b64 v203, v[76:77], v[78:79] offset1:1
	s_waitcnt vmcnt(49)
	ds_write2_b64 v204, v[72:73], v[74:75] offset0:36 offset1:37
	s_waitcnt vmcnt(48)
	ds_write2_b64 v204, v[68:69], v[70:71] offset0:38 offset1:39
	s_waitcnt vmcnt(47)
	ds_write2_b64 v204, v[64:65], v[66:67] offset0:40 offset1:41
	s_waitcnt vmcnt(46)
	ds_write2_b64 v204, v[60:61], v[62:63] offset0:42 offset1:43
	s_waitcnt vmcnt(45)
	ds_write2_b64 v204, v[56:57], v[58:59] offset0:44 offset1:45
	s_waitcnt vmcnt(44)
	ds_write2_b64 v204, v[52:53], v[54:55] offset0:46 offset1:47
	s_waitcnt vmcnt(43)
	ds_write2_b64 v204, v[48:49], v[50:51] offset0:48 offset1:49
	s_waitcnt vmcnt(42)
	ds_write2_b64 v204, v[44:45], v[46:47] offset0:50 offset1:51
	s_waitcnt vmcnt(41)
	ds_write2_b64 v204, v[40:41], v[42:43] offset0:52 offset1:53
	s_waitcnt vmcnt(40)
	ds_write2_b64 v204, v[36:37], v[38:39] offset0:54 offset1:55
	s_waitcnt vmcnt(39)
	ds_write2_b64 v204, v[32:33], v[34:35] offset0:56 offset1:57
	s_waitcnt vmcnt(38)
	ds_write2_b64 v204, v[28:29], v[30:31] offset0:58 offset1:59
	s_waitcnt vmcnt(37)
	ds_write2_b64 v204, v[24:25], v[26:27] offset0:60 offset1:61
	s_waitcnt vmcnt(36)
	ds_write2_b64 v204, v[20:21], v[22:23] offset0:62 offset1:63
	s_waitcnt vmcnt(24)
	ds_write2_b64 v204, v[16:17], v[18:19] offset0:64 offset1:65
	ds_write2_b64 v204, v[12:13], v[14:15] offset0:66 offset1:67
	s_waitcnt vmcnt(22)
	ds_write2_b64 v204, v[8:9], v[10:11] offset0:68 offset1:69
	s_waitcnt vmcnt(21)
	ds_write2_b64 v204, v[4:5], v[6:7] offset0:70 offset1:71
	ds_write2_b64 v204, v[0:1], v[2:3] offset0:72 offset1:73
	s_waitcnt vmcnt(20)
	ds_write2_b64 v204, v[148:149], v[150:151] offset0:74 offset1:75
	ds_read2_b64 v[152:155], v203 offset1:1
	s_waitcnt lgkmcnt(0)
	v_cmp_neq_f64_e32 vcc, 0, v[152:153]
	v_cmp_neq_f64_e64 s[2:3], 0, v[154:155]
	s_or_b64 s[2:3], vcc, s[2:3]
	s_and_b64 exec, exec, s[2:3]
	s_cbranch_execz .LBB75_161
; %bb.156:
	v_cmp_ngt_f64_e64 s[2:3], |v[152:153]|, |v[154:155]|
                                        ; implicit-def: $vgpr156_vgpr157
	s_and_saveexec_b64 s[10:11], s[2:3]
	s_xor_b64 s[2:3], exec, s[10:11]
                                        ; implicit-def: $vgpr158_vgpr159
	s_cbranch_execz .LBB75_158
; %bb.157:
	v_div_scale_f64 v[156:157], s[10:11], v[154:155], v[154:155], v[152:153]
	v_rcp_f64_e32 v[158:159], v[156:157]
	v_div_scale_f64 v[160:161], vcc, v[152:153], v[154:155], v[152:153]
	v_fma_f64 v[162:163], -v[156:157], v[158:159], 1.0
	v_fmac_f64_e32 v[158:159], v[158:159], v[162:163]
	v_fma_f64 v[162:163], -v[156:157], v[158:159], 1.0
	v_fmac_f64_e32 v[158:159], v[158:159], v[162:163]
	v_mul_f64 v[162:163], v[160:161], v[158:159]
	v_fma_f64 v[156:157], -v[156:157], v[162:163], v[160:161]
	v_div_fmas_f64 v[156:157], v[156:157], v[158:159], v[162:163]
	v_div_fixup_f64 v[156:157], v[156:157], v[154:155], v[152:153]
	v_fmac_f64_e32 v[154:155], v[152:153], v[156:157]
	v_div_scale_f64 v[152:153], s[10:11], v[154:155], v[154:155], 1.0
	v_rcp_f64_e32 v[158:159], v[152:153]
	s_nop 0
	v_fma_f64 v[160:161], -v[152:153], v[158:159], 1.0
	v_fmac_f64_e32 v[158:159], v[158:159], v[160:161]
	v_fma_f64 v[160:161], -v[152:153], v[158:159], 1.0
	v_fmac_f64_e32 v[158:159], v[158:159], v[160:161]
	v_div_scale_f64 v[160:161], vcc, 1.0, v[154:155], 1.0
	v_mul_f64 v[162:163], v[160:161], v[158:159]
	v_fma_f64 v[152:153], -v[152:153], v[162:163], v[160:161]
	s_nop 1
	v_div_fmas_f64 v[152:153], v[152:153], v[158:159], v[162:163]
	v_div_fixup_f64 v[158:159], v[152:153], v[154:155], 1.0
	v_mul_f64 v[156:157], v[156:157], v[158:159]
	v_xor_b32_e32 v159, 0x80000000, v159
                                        ; implicit-def: $vgpr152_vgpr153
.LBB75_158:
	s_andn2_saveexec_b64 s[2:3], s[2:3]
	s_cbranch_execz .LBB75_160
; %bb.159:
	v_div_scale_f64 v[156:157], s[10:11], v[152:153], v[152:153], v[154:155]
	v_rcp_f64_e32 v[158:159], v[156:157]
	v_div_scale_f64 v[160:161], vcc, v[154:155], v[152:153], v[154:155]
	v_fma_f64 v[162:163], -v[156:157], v[158:159], 1.0
	v_fmac_f64_e32 v[158:159], v[158:159], v[162:163]
	v_fma_f64 v[162:163], -v[156:157], v[158:159], 1.0
	v_fmac_f64_e32 v[158:159], v[158:159], v[162:163]
	v_mul_f64 v[162:163], v[160:161], v[158:159]
	v_fma_f64 v[156:157], -v[156:157], v[162:163], v[160:161]
	v_div_fmas_f64 v[156:157], v[156:157], v[158:159], v[162:163]
	v_div_fixup_f64 v[158:159], v[156:157], v[152:153], v[154:155]
	v_fmac_f64_e32 v[152:153], v[154:155], v[158:159]
	v_div_scale_f64 v[154:155], s[10:11], v[152:153], v[152:153], 1.0
	v_rcp_f64_e32 v[156:157], v[154:155]
	s_nop 0
	v_fma_f64 v[160:161], -v[154:155], v[156:157], 1.0
	v_fmac_f64_e32 v[156:157], v[156:157], v[160:161]
	v_fma_f64 v[160:161], -v[154:155], v[156:157], 1.0
	v_fmac_f64_e32 v[156:157], v[156:157], v[160:161]
	v_div_scale_f64 v[160:161], vcc, 1.0, v[152:153], 1.0
	v_mul_f64 v[162:163], v[160:161], v[156:157]
	v_fma_f64 v[154:155], -v[154:155], v[162:163], v[160:161]
	s_nop 1
	v_div_fmas_f64 v[154:155], v[154:155], v[156:157], v[162:163]
	v_div_fixup_f64 v[156:157], v[154:155], v[152:153], 1.0
	v_mul_f64 v[158:159], v[158:159], -v[156:157]
.LBB75_160:
	s_or_b64 exec, exec, s[2:3]
	ds_write2_b64 v203, v[156:157], v[158:159] offset1:1
.LBB75_161:
	s_or_b64 exec, exec, s[4:5]
	s_waitcnt lgkmcnt(0)
	s_barrier
	ds_read2_b64 v[152:155], v203 offset1:1
	v_cmp_lt_u32_e32 vcc, 17, v202
	s_waitcnt lgkmcnt(0)
	scratch_store_dwordx4 off, v[152:155], off offset:384 ; 16-byte Folded Spill
	s_and_saveexec_b64 s[2:3], vcc
	s_cbranch_execz .LBB75_163
; %bb.162:
	scratch_load_dwordx4 v[154:157], off, off offset:384 ; 16-byte Folded Reload
	s_waitcnt vmcnt(0)
	v_mul_f64 v[152:153], v[156:157], v[78:79]
	v_mul_f64 v[78:79], v[154:155], v[78:79]
	v_fma_f64 v[152:153], v[154:155], v[76:77], -v[152:153]
	v_fmac_f64_e32 v[78:79], v[156:157], v[76:77]
	ds_read2_b64 v[154:157], v204 offset0:36 offset1:37
	s_waitcnt lgkmcnt(0)
	v_mul_f64 v[76:77], v[156:157], v[78:79]
	v_fma_f64 v[76:77], v[154:155], v[152:153], -v[76:77]
	v_mul_f64 v[154:155], v[154:155], v[78:79]
	v_fmac_f64_e32 v[154:155], v[156:157], v[152:153]
	v_add_f64 v[74:75], v[74:75], -v[154:155]
	ds_read2_b64 v[154:157], v204 offset0:38 offset1:39
	v_add_f64 v[72:73], v[72:73], -v[76:77]
	s_waitcnt lgkmcnt(0)
	v_mul_f64 v[76:77], v[156:157], v[78:79]
	v_fma_f64 v[76:77], v[154:155], v[152:153], -v[76:77]
	v_mul_f64 v[154:155], v[154:155], v[78:79]
	v_fmac_f64_e32 v[154:155], v[156:157], v[152:153]
	v_add_f64 v[70:71], v[70:71], -v[154:155]
	ds_read2_b64 v[154:157], v204 offset0:40 offset1:41
	v_add_f64 v[68:69], v[68:69], -v[76:77]
	;; [unrolled: 8-line block ×19, first 2 shown]
	s_waitcnt lgkmcnt(0)
	v_mul_f64 v[76:77], v[156:157], v[78:79]
	v_fma_f64 v[76:77], v[154:155], v[152:153], -v[76:77]
	v_mul_f64 v[154:155], v[154:155], v[78:79]
	v_fmac_f64_e32 v[154:155], v[156:157], v[152:153]
	v_add_f64 v[148:149], v[148:149], -v[76:77]
	v_add_f64 v[150:151], v[150:151], -v[154:155]
	v_mov_b64_e32 v[76:77], v[152:153]
.LBB75_163:
	s_or_b64 exec, exec, s[2:3]
	v_cmp_eq_u32_e32 vcc, 18, v202
	s_waitcnt vmcnt(63) expcnt(7) lgkmcnt(15)
	s_barrier
	s_and_saveexec_b64 s[4:5], vcc
	s_cbranch_execz .LBB75_170
; %bb.164:
	s_waitcnt vmcnt(50)
	ds_write2_b64 v203, v[72:73], v[74:75] offset1:1
	s_waitcnt vmcnt(49)
	ds_write2_b64 v204, v[68:69], v[70:71] offset0:38 offset1:39
	s_waitcnt vmcnt(48)
	ds_write2_b64 v204, v[64:65], v[66:67] offset0:40 offset1:41
	;; [unrolled: 2-line block ×14, first 2 shown]
	ds_write2_b64 v204, v[12:13], v[14:15] offset0:66 offset1:67
	s_waitcnt vmcnt(23)
	ds_write2_b64 v204, v[8:9], v[10:11] offset0:68 offset1:69
	s_waitcnt vmcnt(22)
	ds_write2_b64 v204, v[4:5], v[6:7] offset0:70 offset1:71
	ds_write2_b64 v204, v[0:1], v[2:3] offset0:72 offset1:73
	s_waitcnt vmcnt(21)
	ds_write2_b64 v204, v[148:149], v[150:151] offset0:74 offset1:75
	ds_read2_b64 v[152:155], v203 offset1:1
	s_waitcnt lgkmcnt(0)
	v_cmp_neq_f64_e32 vcc, 0, v[152:153]
	v_cmp_neq_f64_e64 s[2:3], 0, v[154:155]
	s_or_b64 s[2:3], vcc, s[2:3]
	s_and_b64 exec, exec, s[2:3]
	s_cbranch_execz .LBB75_170
; %bb.165:
	v_cmp_ngt_f64_e64 s[2:3], |v[152:153]|, |v[154:155]|
                                        ; implicit-def: $vgpr156_vgpr157
	s_and_saveexec_b64 s[10:11], s[2:3]
	s_xor_b64 s[2:3], exec, s[10:11]
                                        ; implicit-def: $vgpr158_vgpr159
	s_cbranch_execz .LBB75_167
; %bb.166:
	v_div_scale_f64 v[156:157], s[10:11], v[154:155], v[154:155], v[152:153]
	v_rcp_f64_e32 v[158:159], v[156:157]
	v_div_scale_f64 v[160:161], vcc, v[152:153], v[154:155], v[152:153]
	v_fma_f64 v[162:163], -v[156:157], v[158:159], 1.0
	v_fmac_f64_e32 v[158:159], v[158:159], v[162:163]
	v_fma_f64 v[162:163], -v[156:157], v[158:159], 1.0
	v_fmac_f64_e32 v[158:159], v[158:159], v[162:163]
	v_mul_f64 v[162:163], v[160:161], v[158:159]
	v_fma_f64 v[156:157], -v[156:157], v[162:163], v[160:161]
	v_div_fmas_f64 v[156:157], v[156:157], v[158:159], v[162:163]
	v_div_fixup_f64 v[156:157], v[156:157], v[154:155], v[152:153]
	v_fmac_f64_e32 v[154:155], v[152:153], v[156:157]
	v_div_scale_f64 v[152:153], s[10:11], v[154:155], v[154:155], 1.0
	v_rcp_f64_e32 v[158:159], v[152:153]
	s_nop 0
	v_fma_f64 v[160:161], -v[152:153], v[158:159], 1.0
	v_fmac_f64_e32 v[158:159], v[158:159], v[160:161]
	v_fma_f64 v[160:161], -v[152:153], v[158:159], 1.0
	v_fmac_f64_e32 v[158:159], v[158:159], v[160:161]
	v_div_scale_f64 v[160:161], vcc, 1.0, v[154:155], 1.0
	v_mul_f64 v[162:163], v[160:161], v[158:159]
	v_fma_f64 v[152:153], -v[152:153], v[162:163], v[160:161]
	s_nop 1
	v_div_fmas_f64 v[152:153], v[152:153], v[158:159], v[162:163]
	v_div_fixup_f64 v[158:159], v[152:153], v[154:155], 1.0
	v_mul_f64 v[156:157], v[156:157], v[158:159]
	v_xor_b32_e32 v159, 0x80000000, v159
                                        ; implicit-def: $vgpr152_vgpr153
.LBB75_167:
	s_andn2_saveexec_b64 s[2:3], s[2:3]
	s_cbranch_execz .LBB75_169
; %bb.168:
	v_div_scale_f64 v[156:157], s[10:11], v[152:153], v[152:153], v[154:155]
	v_rcp_f64_e32 v[158:159], v[156:157]
	v_div_scale_f64 v[160:161], vcc, v[154:155], v[152:153], v[154:155]
	v_fma_f64 v[162:163], -v[156:157], v[158:159], 1.0
	v_fmac_f64_e32 v[158:159], v[158:159], v[162:163]
	v_fma_f64 v[162:163], -v[156:157], v[158:159], 1.0
	v_fmac_f64_e32 v[158:159], v[158:159], v[162:163]
	v_mul_f64 v[162:163], v[160:161], v[158:159]
	v_fma_f64 v[156:157], -v[156:157], v[162:163], v[160:161]
	v_div_fmas_f64 v[156:157], v[156:157], v[158:159], v[162:163]
	v_div_fixup_f64 v[158:159], v[156:157], v[152:153], v[154:155]
	v_fmac_f64_e32 v[152:153], v[154:155], v[158:159]
	v_div_scale_f64 v[154:155], s[10:11], v[152:153], v[152:153], 1.0
	v_rcp_f64_e32 v[156:157], v[154:155]
	s_nop 0
	v_fma_f64 v[160:161], -v[154:155], v[156:157], 1.0
	v_fmac_f64_e32 v[156:157], v[156:157], v[160:161]
	v_fma_f64 v[160:161], -v[154:155], v[156:157], 1.0
	v_fmac_f64_e32 v[156:157], v[156:157], v[160:161]
	v_div_scale_f64 v[160:161], vcc, 1.0, v[152:153], 1.0
	v_mul_f64 v[162:163], v[160:161], v[156:157]
	v_fma_f64 v[154:155], -v[154:155], v[162:163], v[160:161]
	s_nop 1
	v_div_fmas_f64 v[154:155], v[154:155], v[156:157], v[162:163]
	v_div_fixup_f64 v[156:157], v[154:155], v[152:153], 1.0
	v_mul_f64 v[158:159], v[158:159], -v[156:157]
.LBB75_169:
	s_or_b64 exec, exec, s[2:3]
	ds_write2_b64 v203, v[156:157], v[158:159] offset1:1
.LBB75_170:
	s_or_b64 exec, exec, s[4:5]
	s_waitcnt lgkmcnt(0)
	s_barrier
	ds_read2_b64 v[152:155], v203 offset1:1
	v_cmp_lt_u32_e32 vcc, 18, v202
	s_waitcnt lgkmcnt(0)
	scratch_store_dwordx4 off, v[152:155], off offset:400 ; 16-byte Folded Spill
	s_and_saveexec_b64 s[2:3], vcc
	s_cbranch_execz .LBB75_172
; %bb.171:
	scratch_load_dwordx4 v[154:157], off, off offset:400 ; 16-byte Folded Reload
	s_waitcnt vmcnt(0)
	v_mul_f64 v[152:153], v[156:157], v[74:75]
	v_mul_f64 v[74:75], v[154:155], v[74:75]
	v_fma_f64 v[152:153], v[154:155], v[72:73], -v[152:153]
	v_fmac_f64_e32 v[74:75], v[156:157], v[72:73]
	ds_read2_b64 v[154:157], v204 offset0:38 offset1:39
	s_waitcnt lgkmcnt(0)
	v_mul_f64 v[72:73], v[156:157], v[74:75]
	v_fma_f64 v[72:73], v[154:155], v[152:153], -v[72:73]
	v_mul_f64 v[154:155], v[154:155], v[74:75]
	v_fmac_f64_e32 v[154:155], v[156:157], v[152:153]
	v_add_f64 v[70:71], v[70:71], -v[154:155]
	ds_read2_b64 v[154:157], v204 offset0:40 offset1:41
	v_add_f64 v[68:69], v[68:69], -v[72:73]
	s_waitcnt lgkmcnt(0)
	v_mul_f64 v[72:73], v[156:157], v[74:75]
	v_fma_f64 v[72:73], v[154:155], v[152:153], -v[72:73]
	v_mul_f64 v[154:155], v[154:155], v[74:75]
	v_fmac_f64_e32 v[154:155], v[156:157], v[152:153]
	v_add_f64 v[66:67], v[66:67], -v[154:155]
	ds_read2_b64 v[154:157], v204 offset0:42 offset1:43
	v_add_f64 v[64:65], v[64:65], -v[72:73]
	s_waitcnt lgkmcnt(0)
	v_mul_f64 v[72:73], v[156:157], v[74:75]
	v_fma_f64 v[72:73], v[154:155], v[152:153], -v[72:73]
	v_mul_f64 v[154:155], v[154:155], v[74:75]
	v_fmac_f64_e32 v[154:155], v[156:157], v[152:153]
	v_add_f64 v[62:63], v[62:63], -v[154:155]
	ds_read2_b64 v[154:157], v204 offset0:44 offset1:45
	v_add_f64 v[60:61], v[60:61], -v[72:73]
	s_waitcnt lgkmcnt(0)
	v_mul_f64 v[72:73], v[156:157], v[74:75]
	v_fma_f64 v[72:73], v[154:155], v[152:153], -v[72:73]
	v_mul_f64 v[154:155], v[154:155], v[74:75]
	v_fmac_f64_e32 v[154:155], v[156:157], v[152:153]
	v_add_f64 v[58:59], v[58:59], -v[154:155]
	ds_read2_b64 v[154:157], v204 offset0:46 offset1:47
	v_add_f64 v[56:57], v[56:57], -v[72:73]
	s_waitcnt lgkmcnt(0)
	v_mul_f64 v[72:73], v[156:157], v[74:75]
	v_fma_f64 v[72:73], v[154:155], v[152:153], -v[72:73]
	v_mul_f64 v[154:155], v[154:155], v[74:75]
	v_fmac_f64_e32 v[154:155], v[156:157], v[152:153]
	v_add_f64 v[54:55], v[54:55], -v[154:155]
	ds_read2_b64 v[154:157], v204 offset0:48 offset1:49
	v_add_f64 v[52:53], v[52:53], -v[72:73]
	s_waitcnt lgkmcnt(0)
	v_mul_f64 v[72:73], v[156:157], v[74:75]
	v_fma_f64 v[72:73], v[154:155], v[152:153], -v[72:73]
	v_mul_f64 v[154:155], v[154:155], v[74:75]
	v_fmac_f64_e32 v[154:155], v[156:157], v[152:153]
	v_add_f64 v[50:51], v[50:51], -v[154:155]
	ds_read2_b64 v[154:157], v204 offset0:50 offset1:51
	v_add_f64 v[48:49], v[48:49], -v[72:73]
	s_waitcnt lgkmcnt(0)
	v_mul_f64 v[72:73], v[156:157], v[74:75]
	v_fma_f64 v[72:73], v[154:155], v[152:153], -v[72:73]
	v_mul_f64 v[154:155], v[154:155], v[74:75]
	v_fmac_f64_e32 v[154:155], v[156:157], v[152:153]
	v_add_f64 v[46:47], v[46:47], -v[154:155]
	ds_read2_b64 v[154:157], v204 offset0:52 offset1:53
	v_add_f64 v[44:45], v[44:45], -v[72:73]
	s_waitcnt lgkmcnt(0)
	v_mul_f64 v[72:73], v[156:157], v[74:75]
	v_fma_f64 v[72:73], v[154:155], v[152:153], -v[72:73]
	v_mul_f64 v[154:155], v[154:155], v[74:75]
	v_fmac_f64_e32 v[154:155], v[156:157], v[152:153]
	v_add_f64 v[42:43], v[42:43], -v[154:155]
	ds_read2_b64 v[154:157], v204 offset0:54 offset1:55
	v_add_f64 v[40:41], v[40:41], -v[72:73]
	s_waitcnt lgkmcnt(0)
	v_mul_f64 v[72:73], v[156:157], v[74:75]
	v_fma_f64 v[72:73], v[154:155], v[152:153], -v[72:73]
	v_mul_f64 v[154:155], v[154:155], v[74:75]
	v_fmac_f64_e32 v[154:155], v[156:157], v[152:153]
	v_add_f64 v[38:39], v[38:39], -v[154:155]
	ds_read2_b64 v[154:157], v204 offset0:56 offset1:57
	v_add_f64 v[36:37], v[36:37], -v[72:73]
	s_waitcnt lgkmcnt(0)
	v_mul_f64 v[72:73], v[156:157], v[74:75]
	v_fma_f64 v[72:73], v[154:155], v[152:153], -v[72:73]
	v_mul_f64 v[154:155], v[154:155], v[74:75]
	v_fmac_f64_e32 v[154:155], v[156:157], v[152:153]
	v_add_f64 v[34:35], v[34:35], -v[154:155]
	ds_read2_b64 v[154:157], v204 offset0:58 offset1:59
	v_add_f64 v[32:33], v[32:33], -v[72:73]
	s_waitcnt lgkmcnt(0)
	v_mul_f64 v[72:73], v[156:157], v[74:75]
	v_fma_f64 v[72:73], v[154:155], v[152:153], -v[72:73]
	v_mul_f64 v[154:155], v[154:155], v[74:75]
	v_fmac_f64_e32 v[154:155], v[156:157], v[152:153]
	v_add_f64 v[30:31], v[30:31], -v[154:155]
	ds_read2_b64 v[154:157], v204 offset0:60 offset1:61
	v_add_f64 v[28:29], v[28:29], -v[72:73]
	s_waitcnt lgkmcnt(0)
	v_mul_f64 v[72:73], v[156:157], v[74:75]
	v_fma_f64 v[72:73], v[154:155], v[152:153], -v[72:73]
	v_mul_f64 v[154:155], v[154:155], v[74:75]
	v_fmac_f64_e32 v[154:155], v[156:157], v[152:153]
	v_add_f64 v[26:27], v[26:27], -v[154:155]
	ds_read2_b64 v[154:157], v204 offset0:62 offset1:63
	v_add_f64 v[24:25], v[24:25], -v[72:73]
	s_waitcnt lgkmcnt(0)
	v_mul_f64 v[72:73], v[156:157], v[74:75]
	v_fma_f64 v[72:73], v[154:155], v[152:153], -v[72:73]
	v_mul_f64 v[154:155], v[154:155], v[74:75]
	v_fmac_f64_e32 v[154:155], v[156:157], v[152:153]
	v_add_f64 v[22:23], v[22:23], -v[154:155]
	ds_read2_b64 v[154:157], v204 offset0:64 offset1:65
	v_add_f64 v[20:21], v[20:21], -v[72:73]
	s_waitcnt lgkmcnt(0)
	v_mul_f64 v[72:73], v[156:157], v[74:75]
	v_fma_f64 v[72:73], v[154:155], v[152:153], -v[72:73]
	v_mul_f64 v[154:155], v[154:155], v[74:75]
	v_fmac_f64_e32 v[154:155], v[156:157], v[152:153]
	v_add_f64 v[18:19], v[18:19], -v[154:155]
	ds_read2_b64 v[154:157], v204 offset0:66 offset1:67
	v_add_f64 v[16:17], v[16:17], -v[72:73]
	s_waitcnt lgkmcnt(0)
	v_mul_f64 v[72:73], v[156:157], v[74:75]
	v_fma_f64 v[72:73], v[154:155], v[152:153], -v[72:73]
	v_mul_f64 v[154:155], v[154:155], v[74:75]
	v_fmac_f64_e32 v[154:155], v[156:157], v[152:153]
	v_add_f64 v[14:15], v[14:15], -v[154:155]
	ds_read2_b64 v[154:157], v204 offset0:68 offset1:69
	v_add_f64 v[12:13], v[12:13], -v[72:73]
	s_waitcnt lgkmcnt(0)
	v_mul_f64 v[72:73], v[156:157], v[74:75]
	v_fma_f64 v[72:73], v[154:155], v[152:153], -v[72:73]
	v_mul_f64 v[154:155], v[154:155], v[74:75]
	v_fmac_f64_e32 v[154:155], v[156:157], v[152:153]
	v_add_f64 v[10:11], v[10:11], -v[154:155]
	ds_read2_b64 v[154:157], v204 offset0:70 offset1:71
	v_add_f64 v[8:9], v[8:9], -v[72:73]
	s_waitcnt lgkmcnt(0)
	v_mul_f64 v[72:73], v[156:157], v[74:75]
	v_fma_f64 v[72:73], v[154:155], v[152:153], -v[72:73]
	v_mul_f64 v[154:155], v[154:155], v[74:75]
	v_fmac_f64_e32 v[154:155], v[156:157], v[152:153]
	v_add_f64 v[6:7], v[6:7], -v[154:155]
	ds_read2_b64 v[154:157], v204 offset0:72 offset1:73
	v_add_f64 v[4:5], v[4:5], -v[72:73]
	s_waitcnt lgkmcnt(0)
	v_mul_f64 v[72:73], v[156:157], v[74:75]
	v_fma_f64 v[72:73], v[154:155], v[152:153], -v[72:73]
	v_mul_f64 v[154:155], v[154:155], v[74:75]
	v_fmac_f64_e32 v[154:155], v[156:157], v[152:153]
	v_add_f64 v[2:3], v[2:3], -v[154:155]
	ds_read2_b64 v[154:157], v204 offset0:74 offset1:75
	v_add_f64 v[0:1], v[0:1], -v[72:73]
	s_waitcnt lgkmcnt(0)
	v_mul_f64 v[72:73], v[156:157], v[74:75]
	v_fma_f64 v[72:73], v[154:155], v[152:153], -v[72:73]
	v_mul_f64 v[154:155], v[154:155], v[74:75]
	v_fmac_f64_e32 v[154:155], v[156:157], v[152:153]
	v_add_f64 v[148:149], v[148:149], -v[72:73]
	v_add_f64 v[150:151], v[150:151], -v[154:155]
	v_mov_b64_e32 v[72:73], v[152:153]
.LBB75_172:
	s_or_b64 exec, exec, s[2:3]
	v_cmp_eq_u32_e32 vcc, 19, v202
	s_waitcnt vmcnt(63) expcnt(7) lgkmcnt(15)
	s_barrier
	s_and_saveexec_b64 s[4:5], vcc
	s_cbranch_execz .LBB75_179
; %bb.173:
	s_waitcnt vmcnt(50)
	ds_write2_b64 v203, v[68:69], v[70:71] offset1:1
	s_waitcnt vmcnt(49)
	ds_write2_b64 v204, v[64:65], v[66:67] offset0:40 offset1:41
	s_waitcnt vmcnt(48)
	ds_write2_b64 v204, v[60:61], v[62:63] offset0:42 offset1:43
	;; [unrolled: 2-line block ×13, first 2 shown]
	ds_write2_b64 v204, v[12:13], v[14:15] offset0:66 offset1:67
	s_waitcnt vmcnt(24)
	ds_write2_b64 v204, v[8:9], v[10:11] offset0:68 offset1:69
	s_waitcnt vmcnt(23)
	ds_write2_b64 v204, v[4:5], v[6:7] offset0:70 offset1:71
	ds_write2_b64 v204, v[0:1], v[2:3] offset0:72 offset1:73
	s_waitcnt vmcnt(22)
	ds_write2_b64 v204, v[148:149], v[150:151] offset0:74 offset1:75
	ds_read2_b64 v[152:155], v203 offset1:1
	s_waitcnt lgkmcnt(0)
	v_cmp_neq_f64_e32 vcc, 0, v[152:153]
	v_cmp_neq_f64_e64 s[2:3], 0, v[154:155]
	s_or_b64 s[2:3], vcc, s[2:3]
	s_and_b64 exec, exec, s[2:3]
	s_cbranch_execz .LBB75_179
; %bb.174:
	v_cmp_ngt_f64_e64 s[2:3], |v[152:153]|, |v[154:155]|
                                        ; implicit-def: $vgpr156_vgpr157
	s_and_saveexec_b64 s[10:11], s[2:3]
	s_xor_b64 s[2:3], exec, s[10:11]
                                        ; implicit-def: $vgpr158_vgpr159
	s_cbranch_execz .LBB75_176
; %bb.175:
	v_div_scale_f64 v[156:157], s[10:11], v[154:155], v[154:155], v[152:153]
	v_rcp_f64_e32 v[158:159], v[156:157]
	v_div_scale_f64 v[160:161], vcc, v[152:153], v[154:155], v[152:153]
	v_fma_f64 v[162:163], -v[156:157], v[158:159], 1.0
	v_fmac_f64_e32 v[158:159], v[158:159], v[162:163]
	v_fma_f64 v[162:163], -v[156:157], v[158:159], 1.0
	v_fmac_f64_e32 v[158:159], v[158:159], v[162:163]
	v_mul_f64 v[162:163], v[160:161], v[158:159]
	v_fma_f64 v[156:157], -v[156:157], v[162:163], v[160:161]
	v_div_fmas_f64 v[156:157], v[156:157], v[158:159], v[162:163]
	v_div_fixup_f64 v[156:157], v[156:157], v[154:155], v[152:153]
	v_fmac_f64_e32 v[154:155], v[152:153], v[156:157]
	v_div_scale_f64 v[152:153], s[10:11], v[154:155], v[154:155], 1.0
	v_rcp_f64_e32 v[158:159], v[152:153]
	s_nop 0
	v_fma_f64 v[160:161], -v[152:153], v[158:159], 1.0
	v_fmac_f64_e32 v[158:159], v[158:159], v[160:161]
	v_fma_f64 v[160:161], -v[152:153], v[158:159], 1.0
	v_fmac_f64_e32 v[158:159], v[158:159], v[160:161]
	v_div_scale_f64 v[160:161], vcc, 1.0, v[154:155], 1.0
	v_mul_f64 v[162:163], v[160:161], v[158:159]
	v_fma_f64 v[152:153], -v[152:153], v[162:163], v[160:161]
	s_nop 1
	v_div_fmas_f64 v[152:153], v[152:153], v[158:159], v[162:163]
	v_div_fixup_f64 v[158:159], v[152:153], v[154:155], 1.0
	v_mul_f64 v[156:157], v[156:157], v[158:159]
	v_xor_b32_e32 v159, 0x80000000, v159
                                        ; implicit-def: $vgpr152_vgpr153
.LBB75_176:
	s_andn2_saveexec_b64 s[2:3], s[2:3]
	s_cbranch_execz .LBB75_178
; %bb.177:
	v_div_scale_f64 v[156:157], s[10:11], v[152:153], v[152:153], v[154:155]
	v_rcp_f64_e32 v[158:159], v[156:157]
	v_div_scale_f64 v[160:161], vcc, v[154:155], v[152:153], v[154:155]
	v_fma_f64 v[162:163], -v[156:157], v[158:159], 1.0
	v_fmac_f64_e32 v[158:159], v[158:159], v[162:163]
	v_fma_f64 v[162:163], -v[156:157], v[158:159], 1.0
	v_fmac_f64_e32 v[158:159], v[158:159], v[162:163]
	v_mul_f64 v[162:163], v[160:161], v[158:159]
	v_fma_f64 v[156:157], -v[156:157], v[162:163], v[160:161]
	v_div_fmas_f64 v[156:157], v[156:157], v[158:159], v[162:163]
	v_div_fixup_f64 v[158:159], v[156:157], v[152:153], v[154:155]
	v_fmac_f64_e32 v[152:153], v[154:155], v[158:159]
	v_div_scale_f64 v[154:155], s[10:11], v[152:153], v[152:153], 1.0
	v_rcp_f64_e32 v[156:157], v[154:155]
	s_nop 0
	v_fma_f64 v[160:161], -v[154:155], v[156:157], 1.0
	v_fmac_f64_e32 v[156:157], v[156:157], v[160:161]
	v_fma_f64 v[160:161], -v[154:155], v[156:157], 1.0
	v_fmac_f64_e32 v[156:157], v[156:157], v[160:161]
	v_div_scale_f64 v[160:161], vcc, 1.0, v[152:153], 1.0
	v_mul_f64 v[162:163], v[160:161], v[156:157]
	v_fma_f64 v[154:155], -v[154:155], v[162:163], v[160:161]
	s_nop 1
	v_div_fmas_f64 v[154:155], v[154:155], v[156:157], v[162:163]
	v_div_fixup_f64 v[156:157], v[154:155], v[152:153], 1.0
	v_mul_f64 v[158:159], v[158:159], -v[156:157]
.LBB75_178:
	s_or_b64 exec, exec, s[2:3]
	ds_write2_b64 v203, v[156:157], v[158:159] offset1:1
.LBB75_179:
	s_or_b64 exec, exec, s[4:5]
	s_waitcnt lgkmcnt(0)
	s_barrier
	ds_read2_b64 v[152:155], v203 offset1:1
	v_cmp_lt_u32_e32 vcc, 19, v202
	s_waitcnt lgkmcnt(0)
	scratch_store_dwordx4 off, v[152:155], off offset:416 ; 16-byte Folded Spill
	s_and_saveexec_b64 s[2:3], vcc
	s_cbranch_execz .LBB75_181
; %bb.180:
	scratch_load_dwordx4 v[154:157], off, off offset:416 ; 16-byte Folded Reload
	s_waitcnt vmcnt(0)
	v_mul_f64 v[152:153], v[156:157], v[70:71]
	v_mul_f64 v[70:71], v[154:155], v[70:71]
	v_fma_f64 v[152:153], v[154:155], v[68:69], -v[152:153]
	v_fmac_f64_e32 v[70:71], v[156:157], v[68:69]
	ds_read2_b64 v[154:157], v204 offset0:40 offset1:41
	s_waitcnt lgkmcnt(0)
	v_mul_f64 v[68:69], v[156:157], v[70:71]
	v_fma_f64 v[68:69], v[154:155], v[152:153], -v[68:69]
	v_mul_f64 v[154:155], v[154:155], v[70:71]
	v_fmac_f64_e32 v[154:155], v[156:157], v[152:153]
	v_add_f64 v[66:67], v[66:67], -v[154:155]
	ds_read2_b64 v[154:157], v204 offset0:42 offset1:43
	v_add_f64 v[64:65], v[64:65], -v[68:69]
	s_waitcnt lgkmcnt(0)
	v_mul_f64 v[68:69], v[156:157], v[70:71]
	v_fma_f64 v[68:69], v[154:155], v[152:153], -v[68:69]
	v_mul_f64 v[154:155], v[154:155], v[70:71]
	v_fmac_f64_e32 v[154:155], v[156:157], v[152:153]
	v_add_f64 v[62:63], v[62:63], -v[154:155]
	ds_read2_b64 v[154:157], v204 offset0:44 offset1:45
	v_add_f64 v[60:61], v[60:61], -v[68:69]
	;; [unrolled: 8-line block ×17, first 2 shown]
	s_waitcnt lgkmcnt(0)
	v_mul_f64 v[68:69], v[156:157], v[70:71]
	v_fma_f64 v[68:69], v[154:155], v[152:153], -v[68:69]
	v_mul_f64 v[154:155], v[154:155], v[70:71]
	v_fmac_f64_e32 v[154:155], v[156:157], v[152:153]
	v_add_f64 v[148:149], v[148:149], -v[68:69]
	v_add_f64 v[150:151], v[150:151], -v[154:155]
	v_mov_b64_e32 v[68:69], v[152:153]
.LBB75_181:
	s_or_b64 exec, exec, s[2:3]
	v_cmp_eq_u32_e32 vcc, 20, v202
	s_waitcnt vmcnt(63) expcnt(7) lgkmcnt(15)
	s_barrier
	s_and_saveexec_b64 s[4:5], vcc
	s_cbranch_execz .LBB75_188
; %bb.182:
	s_waitcnt vmcnt(50)
	ds_write2_b64 v203, v[64:65], v[66:67] offset1:1
	s_waitcnt vmcnt(49)
	ds_write2_b64 v204, v[60:61], v[62:63] offset0:42 offset1:43
	s_waitcnt vmcnt(48)
	ds_write2_b64 v204, v[56:57], v[58:59] offset0:44 offset1:45
	;; [unrolled: 2-line block ×12, first 2 shown]
	ds_write2_b64 v204, v[12:13], v[14:15] offset0:66 offset1:67
	s_waitcnt vmcnt(25)
	ds_write2_b64 v204, v[8:9], v[10:11] offset0:68 offset1:69
	s_waitcnt vmcnt(24)
	ds_write2_b64 v204, v[4:5], v[6:7] offset0:70 offset1:71
	ds_write2_b64 v204, v[0:1], v[2:3] offset0:72 offset1:73
	s_waitcnt vmcnt(23)
	ds_write2_b64 v204, v[148:149], v[150:151] offset0:74 offset1:75
	ds_read2_b64 v[152:155], v203 offset1:1
	s_waitcnt lgkmcnt(0)
	v_cmp_neq_f64_e32 vcc, 0, v[152:153]
	v_cmp_neq_f64_e64 s[2:3], 0, v[154:155]
	s_or_b64 s[2:3], vcc, s[2:3]
	s_and_b64 exec, exec, s[2:3]
	s_cbranch_execz .LBB75_188
; %bb.183:
	v_cmp_ngt_f64_e64 s[2:3], |v[152:153]|, |v[154:155]|
                                        ; implicit-def: $vgpr156_vgpr157
	s_and_saveexec_b64 s[10:11], s[2:3]
	s_xor_b64 s[2:3], exec, s[10:11]
                                        ; implicit-def: $vgpr158_vgpr159
	s_cbranch_execz .LBB75_185
; %bb.184:
	v_div_scale_f64 v[156:157], s[10:11], v[154:155], v[154:155], v[152:153]
	v_rcp_f64_e32 v[158:159], v[156:157]
	v_div_scale_f64 v[160:161], vcc, v[152:153], v[154:155], v[152:153]
	v_fma_f64 v[162:163], -v[156:157], v[158:159], 1.0
	v_fmac_f64_e32 v[158:159], v[158:159], v[162:163]
	v_fma_f64 v[162:163], -v[156:157], v[158:159], 1.0
	v_fmac_f64_e32 v[158:159], v[158:159], v[162:163]
	v_mul_f64 v[162:163], v[160:161], v[158:159]
	v_fma_f64 v[156:157], -v[156:157], v[162:163], v[160:161]
	v_div_fmas_f64 v[156:157], v[156:157], v[158:159], v[162:163]
	v_div_fixup_f64 v[156:157], v[156:157], v[154:155], v[152:153]
	v_fmac_f64_e32 v[154:155], v[152:153], v[156:157]
	v_div_scale_f64 v[152:153], s[10:11], v[154:155], v[154:155], 1.0
	v_rcp_f64_e32 v[158:159], v[152:153]
	s_nop 0
	v_fma_f64 v[160:161], -v[152:153], v[158:159], 1.0
	v_fmac_f64_e32 v[158:159], v[158:159], v[160:161]
	v_fma_f64 v[160:161], -v[152:153], v[158:159], 1.0
	v_fmac_f64_e32 v[158:159], v[158:159], v[160:161]
	v_div_scale_f64 v[160:161], vcc, 1.0, v[154:155], 1.0
	v_mul_f64 v[162:163], v[160:161], v[158:159]
	v_fma_f64 v[152:153], -v[152:153], v[162:163], v[160:161]
	s_nop 1
	v_div_fmas_f64 v[152:153], v[152:153], v[158:159], v[162:163]
	v_div_fixup_f64 v[158:159], v[152:153], v[154:155], 1.0
	v_mul_f64 v[156:157], v[156:157], v[158:159]
	v_xor_b32_e32 v159, 0x80000000, v159
                                        ; implicit-def: $vgpr152_vgpr153
.LBB75_185:
	s_andn2_saveexec_b64 s[2:3], s[2:3]
	s_cbranch_execz .LBB75_187
; %bb.186:
	v_div_scale_f64 v[156:157], s[10:11], v[152:153], v[152:153], v[154:155]
	v_rcp_f64_e32 v[158:159], v[156:157]
	v_div_scale_f64 v[160:161], vcc, v[154:155], v[152:153], v[154:155]
	v_fma_f64 v[162:163], -v[156:157], v[158:159], 1.0
	v_fmac_f64_e32 v[158:159], v[158:159], v[162:163]
	v_fma_f64 v[162:163], -v[156:157], v[158:159], 1.0
	v_fmac_f64_e32 v[158:159], v[158:159], v[162:163]
	v_mul_f64 v[162:163], v[160:161], v[158:159]
	v_fma_f64 v[156:157], -v[156:157], v[162:163], v[160:161]
	v_div_fmas_f64 v[156:157], v[156:157], v[158:159], v[162:163]
	v_div_fixup_f64 v[158:159], v[156:157], v[152:153], v[154:155]
	v_fmac_f64_e32 v[152:153], v[154:155], v[158:159]
	v_div_scale_f64 v[154:155], s[10:11], v[152:153], v[152:153], 1.0
	v_rcp_f64_e32 v[156:157], v[154:155]
	s_nop 0
	v_fma_f64 v[160:161], -v[154:155], v[156:157], 1.0
	v_fmac_f64_e32 v[156:157], v[156:157], v[160:161]
	v_fma_f64 v[160:161], -v[154:155], v[156:157], 1.0
	v_fmac_f64_e32 v[156:157], v[156:157], v[160:161]
	v_div_scale_f64 v[160:161], vcc, 1.0, v[152:153], 1.0
	v_mul_f64 v[162:163], v[160:161], v[156:157]
	v_fma_f64 v[154:155], -v[154:155], v[162:163], v[160:161]
	s_nop 1
	v_div_fmas_f64 v[154:155], v[154:155], v[156:157], v[162:163]
	v_div_fixup_f64 v[156:157], v[154:155], v[152:153], 1.0
	v_mul_f64 v[158:159], v[158:159], -v[156:157]
.LBB75_187:
	s_or_b64 exec, exec, s[2:3]
	ds_write2_b64 v203, v[156:157], v[158:159] offset1:1
.LBB75_188:
	s_or_b64 exec, exec, s[4:5]
	s_waitcnt lgkmcnt(0)
	s_barrier
	ds_read2_b64 v[152:155], v203 offset1:1
	v_cmp_lt_u32_e32 vcc, 20, v202
	s_waitcnt lgkmcnt(0)
	scratch_store_dwordx4 off, v[152:155], off offset:432 ; 16-byte Folded Spill
	s_and_saveexec_b64 s[2:3], vcc
	s_cbranch_execz .LBB75_190
; %bb.189:
	scratch_load_dwordx4 v[154:157], off, off offset:432 ; 16-byte Folded Reload
	s_waitcnt vmcnt(0)
	v_mul_f64 v[152:153], v[156:157], v[66:67]
	v_mul_f64 v[66:67], v[154:155], v[66:67]
	v_fma_f64 v[152:153], v[154:155], v[64:65], -v[152:153]
	v_fmac_f64_e32 v[66:67], v[156:157], v[64:65]
	ds_read2_b64 v[154:157], v204 offset0:42 offset1:43
	s_waitcnt lgkmcnt(0)
	v_mul_f64 v[64:65], v[156:157], v[66:67]
	v_fma_f64 v[64:65], v[154:155], v[152:153], -v[64:65]
	v_mul_f64 v[154:155], v[154:155], v[66:67]
	v_fmac_f64_e32 v[154:155], v[156:157], v[152:153]
	v_add_f64 v[62:63], v[62:63], -v[154:155]
	ds_read2_b64 v[154:157], v204 offset0:44 offset1:45
	v_add_f64 v[60:61], v[60:61], -v[64:65]
	s_waitcnt lgkmcnt(0)
	v_mul_f64 v[64:65], v[156:157], v[66:67]
	v_fma_f64 v[64:65], v[154:155], v[152:153], -v[64:65]
	v_mul_f64 v[154:155], v[154:155], v[66:67]
	v_fmac_f64_e32 v[154:155], v[156:157], v[152:153]
	v_add_f64 v[58:59], v[58:59], -v[154:155]
	ds_read2_b64 v[154:157], v204 offset0:46 offset1:47
	v_add_f64 v[56:57], v[56:57], -v[64:65]
	;; [unrolled: 8-line block ×16, first 2 shown]
	s_waitcnt lgkmcnt(0)
	v_mul_f64 v[64:65], v[156:157], v[66:67]
	v_fma_f64 v[64:65], v[154:155], v[152:153], -v[64:65]
	v_mul_f64 v[154:155], v[154:155], v[66:67]
	v_fmac_f64_e32 v[154:155], v[156:157], v[152:153]
	v_add_f64 v[148:149], v[148:149], -v[64:65]
	v_add_f64 v[150:151], v[150:151], -v[154:155]
	v_mov_b64_e32 v[64:65], v[152:153]
.LBB75_190:
	s_or_b64 exec, exec, s[2:3]
	v_cmp_eq_u32_e32 vcc, 21, v202
	s_waitcnt vmcnt(63) expcnt(7) lgkmcnt(15)
	s_barrier
	s_and_saveexec_b64 s[4:5], vcc
	s_cbranch_execz .LBB75_197
; %bb.191:
	s_waitcnt vmcnt(50)
	ds_write2_b64 v203, v[60:61], v[62:63] offset1:1
	s_waitcnt vmcnt(49)
	ds_write2_b64 v204, v[56:57], v[58:59] offset0:44 offset1:45
	s_waitcnt vmcnt(48)
	ds_write2_b64 v204, v[52:53], v[54:55] offset0:46 offset1:47
	s_waitcnt vmcnt(47)
	ds_write2_b64 v204, v[48:49], v[50:51] offset0:48 offset1:49
	s_waitcnt vmcnt(46)
	ds_write2_b64 v204, v[44:45], v[46:47] offset0:50 offset1:51
	s_waitcnt vmcnt(45)
	ds_write2_b64 v204, v[40:41], v[42:43] offset0:52 offset1:53
	s_waitcnt vmcnt(44)
	ds_write2_b64 v204, v[36:37], v[38:39] offset0:54 offset1:55
	s_waitcnt vmcnt(43)
	ds_write2_b64 v204, v[32:33], v[34:35] offset0:56 offset1:57
	s_waitcnt vmcnt(42)
	ds_write2_b64 v204, v[28:29], v[30:31] offset0:58 offset1:59
	s_waitcnt vmcnt(41)
	ds_write2_b64 v204, v[24:25], v[26:27] offset0:60 offset1:61
	s_waitcnt vmcnt(40)
	ds_write2_b64 v204, v[20:21], v[22:23] offset0:62 offset1:63
	s_waitcnt vmcnt(28)
	ds_write2_b64 v204, v[16:17], v[18:19] offset0:64 offset1:65
	ds_write2_b64 v204, v[12:13], v[14:15] offset0:66 offset1:67
	s_waitcnt vmcnt(26)
	ds_write2_b64 v204, v[8:9], v[10:11] offset0:68 offset1:69
	s_waitcnt vmcnt(25)
	ds_write2_b64 v204, v[4:5], v[6:7] offset0:70 offset1:71
	ds_write2_b64 v204, v[0:1], v[2:3] offset0:72 offset1:73
	s_waitcnt vmcnt(24)
	ds_write2_b64 v204, v[148:149], v[150:151] offset0:74 offset1:75
	ds_read2_b64 v[152:155], v203 offset1:1
	s_waitcnt lgkmcnt(0)
	v_cmp_neq_f64_e32 vcc, 0, v[152:153]
	v_cmp_neq_f64_e64 s[2:3], 0, v[154:155]
	s_or_b64 s[2:3], vcc, s[2:3]
	s_and_b64 exec, exec, s[2:3]
	s_cbranch_execz .LBB75_197
; %bb.192:
	v_cmp_ngt_f64_e64 s[2:3], |v[152:153]|, |v[154:155]|
                                        ; implicit-def: $vgpr156_vgpr157
	s_and_saveexec_b64 s[10:11], s[2:3]
	s_xor_b64 s[2:3], exec, s[10:11]
                                        ; implicit-def: $vgpr158_vgpr159
	s_cbranch_execz .LBB75_194
; %bb.193:
	v_div_scale_f64 v[156:157], s[10:11], v[154:155], v[154:155], v[152:153]
	v_rcp_f64_e32 v[158:159], v[156:157]
	v_div_scale_f64 v[160:161], vcc, v[152:153], v[154:155], v[152:153]
	v_fma_f64 v[162:163], -v[156:157], v[158:159], 1.0
	v_fmac_f64_e32 v[158:159], v[158:159], v[162:163]
	v_fma_f64 v[162:163], -v[156:157], v[158:159], 1.0
	v_fmac_f64_e32 v[158:159], v[158:159], v[162:163]
	v_mul_f64 v[162:163], v[160:161], v[158:159]
	v_fma_f64 v[156:157], -v[156:157], v[162:163], v[160:161]
	v_div_fmas_f64 v[156:157], v[156:157], v[158:159], v[162:163]
	v_div_fixup_f64 v[156:157], v[156:157], v[154:155], v[152:153]
	v_fmac_f64_e32 v[154:155], v[152:153], v[156:157]
	v_div_scale_f64 v[152:153], s[10:11], v[154:155], v[154:155], 1.0
	v_rcp_f64_e32 v[158:159], v[152:153]
	s_nop 0
	v_fma_f64 v[160:161], -v[152:153], v[158:159], 1.0
	v_fmac_f64_e32 v[158:159], v[158:159], v[160:161]
	v_fma_f64 v[160:161], -v[152:153], v[158:159], 1.0
	v_fmac_f64_e32 v[158:159], v[158:159], v[160:161]
	v_div_scale_f64 v[160:161], vcc, 1.0, v[154:155], 1.0
	v_mul_f64 v[162:163], v[160:161], v[158:159]
	v_fma_f64 v[152:153], -v[152:153], v[162:163], v[160:161]
	s_nop 1
	v_div_fmas_f64 v[152:153], v[152:153], v[158:159], v[162:163]
	v_div_fixup_f64 v[158:159], v[152:153], v[154:155], 1.0
	v_mul_f64 v[156:157], v[156:157], v[158:159]
	v_xor_b32_e32 v159, 0x80000000, v159
                                        ; implicit-def: $vgpr152_vgpr153
.LBB75_194:
	s_andn2_saveexec_b64 s[2:3], s[2:3]
	s_cbranch_execz .LBB75_196
; %bb.195:
	v_div_scale_f64 v[156:157], s[10:11], v[152:153], v[152:153], v[154:155]
	v_rcp_f64_e32 v[158:159], v[156:157]
	v_div_scale_f64 v[160:161], vcc, v[154:155], v[152:153], v[154:155]
	v_fma_f64 v[162:163], -v[156:157], v[158:159], 1.0
	v_fmac_f64_e32 v[158:159], v[158:159], v[162:163]
	v_fma_f64 v[162:163], -v[156:157], v[158:159], 1.0
	v_fmac_f64_e32 v[158:159], v[158:159], v[162:163]
	v_mul_f64 v[162:163], v[160:161], v[158:159]
	v_fma_f64 v[156:157], -v[156:157], v[162:163], v[160:161]
	v_div_fmas_f64 v[156:157], v[156:157], v[158:159], v[162:163]
	v_div_fixup_f64 v[158:159], v[156:157], v[152:153], v[154:155]
	v_fmac_f64_e32 v[152:153], v[154:155], v[158:159]
	v_div_scale_f64 v[154:155], s[10:11], v[152:153], v[152:153], 1.0
	v_rcp_f64_e32 v[156:157], v[154:155]
	s_nop 0
	v_fma_f64 v[160:161], -v[154:155], v[156:157], 1.0
	v_fmac_f64_e32 v[156:157], v[156:157], v[160:161]
	v_fma_f64 v[160:161], -v[154:155], v[156:157], 1.0
	v_fmac_f64_e32 v[156:157], v[156:157], v[160:161]
	v_div_scale_f64 v[160:161], vcc, 1.0, v[152:153], 1.0
	v_mul_f64 v[162:163], v[160:161], v[156:157]
	v_fma_f64 v[154:155], -v[154:155], v[162:163], v[160:161]
	s_nop 1
	v_div_fmas_f64 v[154:155], v[154:155], v[156:157], v[162:163]
	v_div_fixup_f64 v[156:157], v[154:155], v[152:153], 1.0
	v_mul_f64 v[158:159], v[158:159], -v[156:157]
.LBB75_196:
	s_or_b64 exec, exec, s[2:3]
	ds_write2_b64 v203, v[156:157], v[158:159] offset1:1
.LBB75_197:
	s_or_b64 exec, exec, s[4:5]
	s_waitcnt lgkmcnt(0)
	s_barrier
	ds_read2_b64 v[152:155], v203 offset1:1
	v_cmp_lt_u32_e32 vcc, 21, v202
	s_waitcnt lgkmcnt(0)
	scratch_store_dwordx4 off, v[152:155], off offset:448 ; 16-byte Folded Spill
	s_and_saveexec_b64 s[2:3], vcc
	s_cbranch_execz .LBB75_199
; %bb.198:
	scratch_load_dwordx4 v[154:157], off, off offset:448 ; 16-byte Folded Reload
	s_waitcnt vmcnt(0)
	v_mul_f64 v[152:153], v[154:155], v[62:63]
	v_mul_f64 v[62:63], v[156:157], v[62:63]
	v_fmac_f64_e32 v[152:153], v[156:157], v[60:61]
	v_fma_f64 v[60:61], v[154:155], v[60:61], -v[62:63]
	ds_read2_b64 v[154:157], v204 offset0:44 offset1:45
	s_waitcnt lgkmcnt(0)
	v_mul_f64 v[62:63], v[156:157], v[152:153]
	v_fma_f64 v[62:63], v[154:155], v[60:61], -v[62:63]
	v_mul_f64 v[154:155], v[154:155], v[152:153]
	v_fmac_f64_e32 v[154:155], v[156:157], v[60:61]
	v_add_f64 v[58:59], v[58:59], -v[154:155]
	ds_read2_b64 v[154:157], v204 offset0:46 offset1:47
	v_add_f64 v[56:57], v[56:57], -v[62:63]
	s_waitcnt lgkmcnt(0)
	v_mul_f64 v[62:63], v[156:157], v[152:153]
	v_fma_f64 v[62:63], v[154:155], v[60:61], -v[62:63]
	v_mul_f64 v[154:155], v[154:155], v[152:153]
	v_fmac_f64_e32 v[154:155], v[156:157], v[60:61]
	v_add_f64 v[54:55], v[54:55], -v[154:155]
	ds_read2_b64 v[154:157], v204 offset0:48 offset1:49
	v_add_f64 v[52:53], v[52:53], -v[62:63]
	;; [unrolled: 8-line block ×15, first 2 shown]
	s_waitcnt lgkmcnt(0)
	v_mul_f64 v[62:63], v[156:157], v[152:153]
	v_fma_f64 v[62:63], v[154:155], v[60:61], -v[62:63]
	v_mul_f64 v[154:155], v[154:155], v[152:153]
	v_fmac_f64_e32 v[154:155], v[156:157], v[60:61]
	v_add_f64 v[148:149], v[148:149], -v[62:63]
	v_add_f64 v[150:151], v[150:151], -v[154:155]
	v_mov_b64_e32 v[62:63], v[152:153]
.LBB75_199:
	s_or_b64 exec, exec, s[2:3]
	v_cmp_eq_u32_e32 vcc, 22, v202
	s_waitcnt vmcnt(63) expcnt(7) lgkmcnt(15)
	s_barrier
	s_and_saveexec_b64 s[4:5], vcc
	s_cbranch_execz .LBB75_206
; %bb.200:
	s_waitcnt vmcnt(50)
	ds_write2_b64 v203, v[56:57], v[58:59] offset1:1
	s_waitcnt vmcnt(49)
	ds_write2_b64 v204, v[52:53], v[54:55] offset0:46 offset1:47
	s_waitcnt vmcnt(48)
	ds_write2_b64 v204, v[48:49], v[50:51] offset0:48 offset1:49
	;; [unrolled: 2-line block ×10, first 2 shown]
	ds_write2_b64 v204, v[12:13], v[14:15] offset0:66 offset1:67
	s_waitcnt vmcnt(27)
	ds_write2_b64 v204, v[8:9], v[10:11] offset0:68 offset1:69
	s_waitcnt vmcnt(26)
	ds_write2_b64 v204, v[4:5], v[6:7] offset0:70 offset1:71
	ds_write2_b64 v204, v[0:1], v[2:3] offset0:72 offset1:73
	s_waitcnt vmcnt(25)
	ds_write2_b64 v204, v[148:149], v[150:151] offset0:74 offset1:75
	ds_read2_b64 v[152:155], v203 offset1:1
	s_waitcnt lgkmcnt(0)
	v_cmp_neq_f64_e32 vcc, 0, v[152:153]
	v_cmp_neq_f64_e64 s[2:3], 0, v[154:155]
	s_or_b64 s[2:3], vcc, s[2:3]
	s_and_b64 exec, exec, s[2:3]
	s_cbranch_execz .LBB75_206
; %bb.201:
	v_cmp_ngt_f64_e64 s[2:3], |v[152:153]|, |v[154:155]|
                                        ; implicit-def: $vgpr156_vgpr157
	s_and_saveexec_b64 s[10:11], s[2:3]
	s_xor_b64 s[2:3], exec, s[10:11]
                                        ; implicit-def: $vgpr158_vgpr159
	s_cbranch_execz .LBB75_203
; %bb.202:
	v_div_scale_f64 v[156:157], s[10:11], v[154:155], v[154:155], v[152:153]
	v_rcp_f64_e32 v[158:159], v[156:157]
	v_div_scale_f64 v[160:161], vcc, v[152:153], v[154:155], v[152:153]
	v_fma_f64 v[162:163], -v[156:157], v[158:159], 1.0
	v_fmac_f64_e32 v[158:159], v[158:159], v[162:163]
	v_fma_f64 v[162:163], -v[156:157], v[158:159], 1.0
	v_fmac_f64_e32 v[158:159], v[158:159], v[162:163]
	v_mul_f64 v[162:163], v[160:161], v[158:159]
	v_fma_f64 v[156:157], -v[156:157], v[162:163], v[160:161]
	v_div_fmas_f64 v[156:157], v[156:157], v[158:159], v[162:163]
	v_div_fixup_f64 v[156:157], v[156:157], v[154:155], v[152:153]
	v_fmac_f64_e32 v[154:155], v[152:153], v[156:157]
	v_div_scale_f64 v[152:153], s[10:11], v[154:155], v[154:155], 1.0
	v_rcp_f64_e32 v[158:159], v[152:153]
	s_nop 0
	v_fma_f64 v[160:161], -v[152:153], v[158:159], 1.0
	v_fmac_f64_e32 v[158:159], v[158:159], v[160:161]
	v_fma_f64 v[160:161], -v[152:153], v[158:159], 1.0
	v_fmac_f64_e32 v[158:159], v[158:159], v[160:161]
	v_div_scale_f64 v[160:161], vcc, 1.0, v[154:155], 1.0
	v_mul_f64 v[162:163], v[160:161], v[158:159]
	v_fma_f64 v[152:153], -v[152:153], v[162:163], v[160:161]
	s_nop 1
	v_div_fmas_f64 v[152:153], v[152:153], v[158:159], v[162:163]
	v_div_fixup_f64 v[158:159], v[152:153], v[154:155], 1.0
	v_mul_f64 v[156:157], v[156:157], v[158:159]
	v_xor_b32_e32 v159, 0x80000000, v159
                                        ; implicit-def: $vgpr152_vgpr153
.LBB75_203:
	s_andn2_saveexec_b64 s[2:3], s[2:3]
	s_cbranch_execz .LBB75_205
; %bb.204:
	v_div_scale_f64 v[156:157], s[10:11], v[152:153], v[152:153], v[154:155]
	v_rcp_f64_e32 v[158:159], v[156:157]
	v_div_scale_f64 v[160:161], vcc, v[154:155], v[152:153], v[154:155]
	v_fma_f64 v[162:163], -v[156:157], v[158:159], 1.0
	v_fmac_f64_e32 v[158:159], v[158:159], v[162:163]
	v_fma_f64 v[162:163], -v[156:157], v[158:159], 1.0
	v_fmac_f64_e32 v[158:159], v[158:159], v[162:163]
	v_mul_f64 v[162:163], v[160:161], v[158:159]
	v_fma_f64 v[156:157], -v[156:157], v[162:163], v[160:161]
	v_div_fmas_f64 v[156:157], v[156:157], v[158:159], v[162:163]
	v_div_fixup_f64 v[158:159], v[156:157], v[152:153], v[154:155]
	v_fmac_f64_e32 v[152:153], v[154:155], v[158:159]
	v_div_scale_f64 v[154:155], s[10:11], v[152:153], v[152:153], 1.0
	v_rcp_f64_e32 v[156:157], v[154:155]
	s_nop 0
	v_fma_f64 v[160:161], -v[154:155], v[156:157], 1.0
	v_fmac_f64_e32 v[156:157], v[156:157], v[160:161]
	v_fma_f64 v[160:161], -v[154:155], v[156:157], 1.0
	v_fmac_f64_e32 v[156:157], v[156:157], v[160:161]
	v_div_scale_f64 v[160:161], vcc, 1.0, v[152:153], 1.0
	v_mul_f64 v[162:163], v[160:161], v[156:157]
	v_fma_f64 v[154:155], -v[154:155], v[162:163], v[160:161]
	s_nop 1
	v_div_fmas_f64 v[154:155], v[154:155], v[156:157], v[162:163]
	v_div_fixup_f64 v[156:157], v[154:155], v[152:153], 1.0
	v_mul_f64 v[158:159], v[158:159], -v[156:157]
.LBB75_205:
	s_or_b64 exec, exec, s[2:3]
	ds_write2_b64 v203, v[156:157], v[158:159] offset1:1
.LBB75_206:
	s_or_b64 exec, exec, s[4:5]
	s_waitcnt lgkmcnt(0)
	s_barrier
	ds_read2_b64 v[152:155], v203 offset1:1
	v_cmp_lt_u32_e32 vcc, 22, v202
	s_waitcnt lgkmcnt(0)
	scratch_store_dwordx4 off, v[152:155], off offset:464 ; 16-byte Folded Spill
	s_and_saveexec_b64 s[2:3], vcc
	s_cbranch_execz .LBB75_208
; %bb.207:
	scratch_load_dwordx4 v[154:157], off, off offset:464 ; 16-byte Folded Reload
	s_waitcnt vmcnt(0)
	v_mul_f64 v[152:153], v[154:155], v[58:59]
	v_mul_f64 v[58:59], v[156:157], v[58:59]
	v_fmac_f64_e32 v[152:153], v[156:157], v[56:57]
	v_fma_f64 v[56:57], v[154:155], v[56:57], -v[58:59]
	ds_read2_b64 v[154:157], v204 offset0:46 offset1:47
	s_waitcnt lgkmcnt(0)
	v_mul_f64 v[58:59], v[156:157], v[152:153]
	v_fma_f64 v[58:59], v[154:155], v[56:57], -v[58:59]
	v_mul_f64 v[154:155], v[154:155], v[152:153]
	v_fmac_f64_e32 v[154:155], v[156:157], v[56:57]
	v_add_f64 v[54:55], v[54:55], -v[154:155]
	ds_read2_b64 v[154:157], v204 offset0:48 offset1:49
	v_add_f64 v[52:53], v[52:53], -v[58:59]
	s_waitcnt lgkmcnt(0)
	v_mul_f64 v[58:59], v[156:157], v[152:153]
	v_fma_f64 v[58:59], v[154:155], v[56:57], -v[58:59]
	v_mul_f64 v[154:155], v[154:155], v[152:153]
	v_fmac_f64_e32 v[154:155], v[156:157], v[56:57]
	v_add_f64 v[50:51], v[50:51], -v[154:155]
	ds_read2_b64 v[154:157], v204 offset0:50 offset1:51
	v_add_f64 v[48:49], v[48:49], -v[58:59]
	;; [unrolled: 8-line block ×14, first 2 shown]
	s_waitcnt lgkmcnt(0)
	v_mul_f64 v[58:59], v[156:157], v[152:153]
	v_fma_f64 v[58:59], v[154:155], v[56:57], -v[58:59]
	v_mul_f64 v[154:155], v[154:155], v[152:153]
	v_fmac_f64_e32 v[154:155], v[156:157], v[56:57]
	v_add_f64 v[148:149], v[148:149], -v[58:59]
	v_add_f64 v[150:151], v[150:151], -v[154:155]
	v_mov_b64_e32 v[58:59], v[152:153]
.LBB75_208:
	s_or_b64 exec, exec, s[2:3]
	v_cmp_eq_u32_e32 vcc, 23, v202
	s_waitcnt vmcnt(63) expcnt(7) lgkmcnt(15)
	s_barrier
	s_and_saveexec_b64 s[4:5], vcc
	s_cbranch_execz .LBB75_215
; %bb.209:
	s_waitcnt vmcnt(50)
	ds_write2_b64 v203, v[52:53], v[54:55] offset1:1
	s_waitcnt vmcnt(49)
	ds_write2_b64 v204, v[48:49], v[50:51] offset0:48 offset1:49
	s_waitcnt vmcnt(48)
	ds_write2_b64 v204, v[44:45], v[46:47] offset0:50 offset1:51
	;; [unrolled: 2-line block ×9, first 2 shown]
	ds_write2_b64 v204, v[12:13], v[14:15] offset0:66 offset1:67
	s_waitcnt vmcnt(28)
	ds_write2_b64 v204, v[8:9], v[10:11] offset0:68 offset1:69
	s_waitcnt vmcnt(27)
	ds_write2_b64 v204, v[4:5], v[6:7] offset0:70 offset1:71
	ds_write2_b64 v204, v[0:1], v[2:3] offset0:72 offset1:73
	s_waitcnt vmcnt(26)
	ds_write2_b64 v204, v[148:149], v[150:151] offset0:74 offset1:75
	ds_read2_b64 v[152:155], v203 offset1:1
	s_waitcnt lgkmcnt(0)
	v_cmp_neq_f64_e32 vcc, 0, v[152:153]
	v_cmp_neq_f64_e64 s[2:3], 0, v[154:155]
	s_or_b64 s[2:3], vcc, s[2:3]
	s_and_b64 exec, exec, s[2:3]
	s_cbranch_execz .LBB75_215
; %bb.210:
	v_cmp_ngt_f64_e64 s[2:3], |v[152:153]|, |v[154:155]|
                                        ; implicit-def: $vgpr156_vgpr157
	s_and_saveexec_b64 s[10:11], s[2:3]
	s_xor_b64 s[2:3], exec, s[10:11]
                                        ; implicit-def: $vgpr158_vgpr159
	s_cbranch_execz .LBB75_212
; %bb.211:
	v_div_scale_f64 v[156:157], s[10:11], v[154:155], v[154:155], v[152:153]
	v_rcp_f64_e32 v[158:159], v[156:157]
	v_div_scale_f64 v[160:161], vcc, v[152:153], v[154:155], v[152:153]
	v_fma_f64 v[162:163], -v[156:157], v[158:159], 1.0
	v_fmac_f64_e32 v[158:159], v[158:159], v[162:163]
	v_fma_f64 v[162:163], -v[156:157], v[158:159], 1.0
	v_fmac_f64_e32 v[158:159], v[158:159], v[162:163]
	v_mul_f64 v[162:163], v[160:161], v[158:159]
	v_fma_f64 v[156:157], -v[156:157], v[162:163], v[160:161]
	v_div_fmas_f64 v[156:157], v[156:157], v[158:159], v[162:163]
	v_div_fixup_f64 v[156:157], v[156:157], v[154:155], v[152:153]
	v_fmac_f64_e32 v[154:155], v[152:153], v[156:157]
	v_div_scale_f64 v[152:153], s[10:11], v[154:155], v[154:155], 1.0
	v_rcp_f64_e32 v[158:159], v[152:153]
	s_nop 0
	v_fma_f64 v[160:161], -v[152:153], v[158:159], 1.0
	v_fmac_f64_e32 v[158:159], v[158:159], v[160:161]
	v_fma_f64 v[160:161], -v[152:153], v[158:159], 1.0
	v_fmac_f64_e32 v[158:159], v[158:159], v[160:161]
	v_div_scale_f64 v[160:161], vcc, 1.0, v[154:155], 1.0
	v_mul_f64 v[162:163], v[160:161], v[158:159]
	v_fma_f64 v[152:153], -v[152:153], v[162:163], v[160:161]
	s_nop 1
	v_div_fmas_f64 v[152:153], v[152:153], v[158:159], v[162:163]
	v_div_fixup_f64 v[158:159], v[152:153], v[154:155], 1.0
	v_mul_f64 v[156:157], v[156:157], v[158:159]
	v_xor_b32_e32 v159, 0x80000000, v159
                                        ; implicit-def: $vgpr152_vgpr153
.LBB75_212:
	s_andn2_saveexec_b64 s[2:3], s[2:3]
	s_cbranch_execz .LBB75_214
; %bb.213:
	v_div_scale_f64 v[156:157], s[10:11], v[152:153], v[152:153], v[154:155]
	v_rcp_f64_e32 v[158:159], v[156:157]
	v_div_scale_f64 v[160:161], vcc, v[154:155], v[152:153], v[154:155]
	v_fma_f64 v[162:163], -v[156:157], v[158:159], 1.0
	v_fmac_f64_e32 v[158:159], v[158:159], v[162:163]
	v_fma_f64 v[162:163], -v[156:157], v[158:159], 1.0
	v_fmac_f64_e32 v[158:159], v[158:159], v[162:163]
	v_mul_f64 v[162:163], v[160:161], v[158:159]
	v_fma_f64 v[156:157], -v[156:157], v[162:163], v[160:161]
	v_div_fmas_f64 v[156:157], v[156:157], v[158:159], v[162:163]
	v_div_fixup_f64 v[158:159], v[156:157], v[152:153], v[154:155]
	v_fmac_f64_e32 v[152:153], v[154:155], v[158:159]
	v_div_scale_f64 v[154:155], s[10:11], v[152:153], v[152:153], 1.0
	v_rcp_f64_e32 v[156:157], v[154:155]
	s_nop 0
	v_fma_f64 v[160:161], -v[154:155], v[156:157], 1.0
	v_fmac_f64_e32 v[156:157], v[156:157], v[160:161]
	v_fma_f64 v[160:161], -v[154:155], v[156:157], 1.0
	v_fmac_f64_e32 v[156:157], v[156:157], v[160:161]
	v_div_scale_f64 v[160:161], vcc, 1.0, v[152:153], 1.0
	v_mul_f64 v[162:163], v[160:161], v[156:157]
	v_fma_f64 v[154:155], -v[154:155], v[162:163], v[160:161]
	s_nop 1
	v_div_fmas_f64 v[154:155], v[154:155], v[156:157], v[162:163]
	v_div_fixup_f64 v[156:157], v[154:155], v[152:153], 1.0
	v_mul_f64 v[158:159], v[158:159], -v[156:157]
.LBB75_214:
	s_or_b64 exec, exec, s[2:3]
	ds_write2_b64 v203, v[156:157], v[158:159] offset1:1
.LBB75_215:
	s_or_b64 exec, exec, s[4:5]
	s_waitcnt lgkmcnt(0)
	s_barrier
	ds_read2_b64 v[152:155], v203 offset1:1
	v_cmp_lt_u32_e32 vcc, 23, v202
	s_waitcnt lgkmcnt(0)
	scratch_store_dwordx4 off, v[152:155], off offset:480 ; 16-byte Folded Spill
	s_and_saveexec_b64 s[2:3], vcc
	s_cbranch_execz .LBB75_217
; %bb.216:
	scratch_load_dwordx4 v[154:157], off, off offset:480 ; 16-byte Folded Reload
	s_waitcnt vmcnt(0)
	v_mul_f64 v[152:153], v[154:155], v[54:55]
	v_mul_f64 v[54:55], v[156:157], v[54:55]
	v_fmac_f64_e32 v[152:153], v[156:157], v[52:53]
	v_fma_f64 v[52:53], v[154:155], v[52:53], -v[54:55]
	ds_read2_b64 v[154:157], v204 offset0:48 offset1:49
	s_waitcnt lgkmcnt(0)
	v_mul_f64 v[54:55], v[156:157], v[152:153]
	v_fma_f64 v[54:55], v[154:155], v[52:53], -v[54:55]
	v_mul_f64 v[154:155], v[154:155], v[152:153]
	v_fmac_f64_e32 v[154:155], v[156:157], v[52:53]
	v_add_f64 v[50:51], v[50:51], -v[154:155]
	ds_read2_b64 v[154:157], v204 offset0:50 offset1:51
	v_add_f64 v[48:49], v[48:49], -v[54:55]
	s_waitcnt lgkmcnt(0)
	v_mul_f64 v[54:55], v[156:157], v[152:153]
	v_fma_f64 v[54:55], v[154:155], v[52:53], -v[54:55]
	v_mul_f64 v[154:155], v[154:155], v[152:153]
	v_fmac_f64_e32 v[154:155], v[156:157], v[52:53]
	v_add_f64 v[46:47], v[46:47], -v[154:155]
	ds_read2_b64 v[154:157], v204 offset0:52 offset1:53
	v_add_f64 v[44:45], v[44:45], -v[54:55]
	;; [unrolled: 8-line block ×13, first 2 shown]
	s_waitcnt lgkmcnt(0)
	v_mul_f64 v[54:55], v[156:157], v[152:153]
	v_fma_f64 v[54:55], v[154:155], v[52:53], -v[54:55]
	v_mul_f64 v[154:155], v[154:155], v[152:153]
	v_fmac_f64_e32 v[154:155], v[156:157], v[52:53]
	v_add_f64 v[148:149], v[148:149], -v[54:55]
	v_add_f64 v[150:151], v[150:151], -v[154:155]
	v_mov_b64_e32 v[54:55], v[152:153]
.LBB75_217:
	s_or_b64 exec, exec, s[2:3]
	v_cmp_eq_u32_e32 vcc, 24, v202
	s_waitcnt vmcnt(63) expcnt(7) lgkmcnt(15)
	s_barrier
	s_and_saveexec_b64 s[4:5], vcc
	s_cbranch_execz .LBB75_224
; %bb.218:
	s_waitcnt vmcnt(50)
	ds_write2_b64 v203, v[48:49], v[50:51] offset1:1
	s_waitcnt vmcnt(49)
	ds_write2_b64 v204, v[44:45], v[46:47] offset0:50 offset1:51
	s_waitcnt vmcnt(48)
	ds_write2_b64 v204, v[40:41], v[42:43] offset0:52 offset1:53
	;; [unrolled: 2-line block ×8, first 2 shown]
	ds_write2_b64 v204, v[12:13], v[14:15] offset0:66 offset1:67
	s_waitcnt vmcnt(29)
	ds_write2_b64 v204, v[8:9], v[10:11] offset0:68 offset1:69
	s_waitcnt vmcnt(28)
	ds_write2_b64 v204, v[4:5], v[6:7] offset0:70 offset1:71
	ds_write2_b64 v204, v[0:1], v[2:3] offset0:72 offset1:73
	s_waitcnt vmcnt(27)
	ds_write2_b64 v204, v[148:149], v[150:151] offset0:74 offset1:75
	ds_read2_b64 v[152:155], v203 offset1:1
	s_waitcnt lgkmcnt(0)
	v_cmp_neq_f64_e32 vcc, 0, v[152:153]
	v_cmp_neq_f64_e64 s[2:3], 0, v[154:155]
	s_or_b64 s[2:3], vcc, s[2:3]
	s_and_b64 exec, exec, s[2:3]
	s_cbranch_execz .LBB75_224
; %bb.219:
	v_cmp_ngt_f64_e64 s[2:3], |v[152:153]|, |v[154:155]|
                                        ; implicit-def: $vgpr156_vgpr157
	s_and_saveexec_b64 s[10:11], s[2:3]
	s_xor_b64 s[2:3], exec, s[10:11]
                                        ; implicit-def: $vgpr158_vgpr159
	s_cbranch_execz .LBB75_221
; %bb.220:
	v_div_scale_f64 v[156:157], s[10:11], v[154:155], v[154:155], v[152:153]
	v_rcp_f64_e32 v[158:159], v[156:157]
	v_div_scale_f64 v[160:161], vcc, v[152:153], v[154:155], v[152:153]
	v_fma_f64 v[162:163], -v[156:157], v[158:159], 1.0
	v_fmac_f64_e32 v[158:159], v[158:159], v[162:163]
	v_fma_f64 v[162:163], -v[156:157], v[158:159], 1.0
	v_fmac_f64_e32 v[158:159], v[158:159], v[162:163]
	v_mul_f64 v[162:163], v[160:161], v[158:159]
	v_fma_f64 v[156:157], -v[156:157], v[162:163], v[160:161]
	v_div_fmas_f64 v[156:157], v[156:157], v[158:159], v[162:163]
	v_div_fixup_f64 v[156:157], v[156:157], v[154:155], v[152:153]
	v_fmac_f64_e32 v[154:155], v[152:153], v[156:157]
	v_div_scale_f64 v[152:153], s[10:11], v[154:155], v[154:155], 1.0
	v_rcp_f64_e32 v[158:159], v[152:153]
	s_nop 0
	v_fma_f64 v[160:161], -v[152:153], v[158:159], 1.0
	v_fmac_f64_e32 v[158:159], v[158:159], v[160:161]
	v_fma_f64 v[160:161], -v[152:153], v[158:159], 1.0
	v_fmac_f64_e32 v[158:159], v[158:159], v[160:161]
	v_div_scale_f64 v[160:161], vcc, 1.0, v[154:155], 1.0
	v_mul_f64 v[162:163], v[160:161], v[158:159]
	v_fma_f64 v[152:153], -v[152:153], v[162:163], v[160:161]
	s_nop 1
	v_div_fmas_f64 v[152:153], v[152:153], v[158:159], v[162:163]
	v_div_fixup_f64 v[158:159], v[152:153], v[154:155], 1.0
	v_mul_f64 v[156:157], v[156:157], v[158:159]
	v_xor_b32_e32 v159, 0x80000000, v159
                                        ; implicit-def: $vgpr152_vgpr153
.LBB75_221:
	s_andn2_saveexec_b64 s[2:3], s[2:3]
	s_cbranch_execz .LBB75_223
; %bb.222:
	v_div_scale_f64 v[156:157], s[10:11], v[152:153], v[152:153], v[154:155]
	v_rcp_f64_e32 v[158:159], v[156:157]
	v_div_scale_f64 v[160:161], vcc, v[154:155], v[152:153], v[154:155]
	v_fma_f64 v[162:163], -v[156:157], v[158:159], 1.0
	v_fmac_f64_e32 v[158:159], v[158:159], v[162:163]
	v_fma_f64 v[162:163], -v[156:157], v[158:159], 1.0
	v_fmac_f64_e32 v[158:159], v[158:159], v[162:163]
	v_mul_f64 v[162:163], v[160:161], v[158:159]
	v_fma_f64 v[156:157], -v[156:157], v[162:163], v[160:161]
	v_div_fmas_f64 v[156:157], v[156:157], v[158:159], v[162:163]
	v_div_fixup_f64 v[158:159], v[156:157], v[152:153], v[154:155]
	v_fmac_f64_e32 v[152:153], v[154:155], v[158:159]
	v_div_scale_f64 v[154:155], s[10:11], v[152:153], v[152:153], 1.0
	v_rcp_f64_e32 v[156:157], v[154:155]
	s_nop 0
	v_fma_f64 v[160:161], -v[154:155], v[156:157], 1.0
	v_fmac_f64_e32 v[156:157], v[156:157], v[160:161]
	v_fma_f64 v[160:161], -v[154:155], v[156:157], 1.0
	v_fmac_f64_e32 v[156:157], v[156:157], v[160:161]
	v_div_scale_f64 v[160:161], vcc, 1.0, v[152:153], 1.0
	v_mul_f64 v[162:163], v[160:161], v[156:157]
	v_fma_f64 v[154:155], -v[154:155], v[162:163], v[160:161]
	s_nop 1
	v_div_fmas_f64 v[154:155], v[154:155], v[156:157], v[162:163]
	v_div_fixup_f64 v[156:157], v[154:155], v[152:153], 1.0
	v_mul_f64 v[158:159], v[158:159], -v[156:157]
.LBB75_223:
	s_or_b64 exec, exec, s[2:3]
	ds_write2_b64 v203, v[156:157], v[158:159] offset1:1
.LBB75_224:
	s_or_b64 exec, exec, s[4:5]
	s_waitcnt lgkmcnt(0)
	s_barrier
	ds_read2_b64 v[152:155], v203 offset1:1
	v_cmp_lt_u32_e32 vcc, 24, v202
	s_waitcnt lgkmcnt(0)
	scratch_store_dwordx4 off, v[152:155], off offset:496 ; 16-byte Folded Spill
	s_and_saveexec_b64 s[2:3], vcc
	s_cbranch_execz .LBB75_226
; %bb.225:
	scratch_load_dwordx4 v[154:157], off, off offset:496 ; 16-byte Folded Reload
	s_waitcnt vmcnt(0)
	v_mul_f64 v[152:153], v[154:155], v[50:51]
	v_mul_f64 v[50:51], v[156:157], v[50:51]
	v_fmac_f64_e32 v[152:153], v[156:157], v[48:49]
	v_fma_f64 v[48:49], v[154:155], v[48:49], -v[50:51]
	ds_read2_b64 v[154:157], v204 offset0:50 offset1:51
	s_waitcnt lgkmcnt(0)
	v_mul_f64 v[50:51], v[156:157], v[152:153]
	v_fma_f64 v[50:51], v[154:155], v[48:49], -v[50:51]
	v_mul_f64 v[154:155], v[154:155], v[152:153]
	v_fmac_f64_e32 v[154:155], v[156:157], v[48:49]
	v_add_f64 v[46:47], v[46:47], -v[154:155]
	ds_read2_b64 v[154:157], v204 offset0:52 offset1:53
	v_add_f64 v[44:45], v[44:45], -v[50:51]
	s_waitcnt lgkmcnt(0)
	v_mul_f64 v[50:51], v[156:157], v[152:153]
	v_fma_f64 v[50:51], v[154:155], v[48:49], -v[50:51]
	v_mul_f64 v[154:155], v[154:155], v[152:153]
	v_fmac_f64_e32 v[154:155], v[156:157], v[48:49]
	v_add_f64 v[42:43], v[42:43], -v[154:155]
	ds_read2_b64 v[154:157], v204 offset0:54 offset1:55
	v_add_f64 v[40:41], v[40:41], -v[50:51]
	;; [unrolled: 8-line block ×12, first 2 shown]
	s_waitcnt lgkmcnt(0)
	v_mul_f64 v[50:51], v[156:157], v[152:153]
	v_fma_f64 v[50:51], v[154:155], v[48:49], -v[50:51]
	v_mul_f64 v[154:155], v[154:155], v[152:153]
	v_fmac_f64_e32 v[154:155], v[156:157], v[48:49]
	v_add_f64 v[148:149], v[148:149], -v[50:51]
	v_add_f64 v[150:151], v[150:151], -v[154:155]
	v_mov_b64_e32 v[50:51], v[152:153]
.LBB75_226:
	s_or_b64 exec, exec, s[2:3]
	v_cmp_eq_u32_e32 vcc, 25, v202
	s_waitcnt vmcnt(63) expcnt(7) lgkmcnt(15)
	s_barrier
	s_and_saveexec_b64 s[4:5], vcc
	s_cbranch_execz .LBB75_233
; %bb.227:
	s_waitcnt vmcnt(50)
	ds_write2_b64 v203, v[44:45], v[46:47] offset1:1
	s_waitcnt vmcnt(49)
	ds_write2_b64 v204, v[40:41], v[42:43] offset0:52 offset1:53
	s_waitcnt vmcnt(48)
	ds_write2_b64 v204, v[36:37], v[38:39] offset0:54 offset1:55
	;; [unrolled: 2-line block ×7, first 2 shown]
	ds_write2_b64 v204, v[12:13], v[14:15] offset0:66 offset1:67
	s_waitcnt vmcnt(30)
	ds_write2_b64 v204, v[8:9], v[10:11] offset0:68 offset1:69
	s_waitcnt vmcnt(29)
	ds_write2_b64 v204, v[4:5], v[6:7] offset0:70 offset1:71
	ds_write2_b64 v204, v[0:1], v[2:3] offset0:72 offset1:73
	s_waitcnt vmcnt(28)
	ds_write2_b64 v204, v[148:149], v[150:151] offset0:74 offset1:75
	ds_read2_b64 v[152:155], v203 offset1:1
	s_waitcnt lgkmcnt(0)
	v_cmp_neq_f64_e32 vcc, 0, v[152:153]
	v_cmp_neq_f64_e64 s[2:3], 0, v[154:155]
	s_or_b64 s[2:3], vcc, s[2:3]
	s_and_b64 exec, exec, s[2:3]
	s_cbranch_execz .LBB75_233
; %bb.228:
	v_cmp_ngt_f64_e64 s[2:3], |v[152:153]|, |v[154:155]|
                                        ; implicit-def: $vgpr156_vgpr157
	s_and_saveexec_b64 s[10:11], s[2:3]
	s_xor_b64 s[2:3], exec, s[10:11]
                                        ; implicit-def: $vgpr158_vgpr159
	s_cbranch_execz .LBB75_230
; %bb.229:
	v_div_scale_f64 v[156:157], s[10:11], v[154:155], v[154:155], v[152:153]
	v_rcp_f64_e32 v[158:159], v[156:157]
	v_div_scale_f64 v[160:161], vcc, v[152:153], v[154:155], v[152:153]
	v_fma_f64 v[162:163], -v[156:157], v[158:159], 1.0
	v_fmac_f64_e32 v[158:159], v[158:159], v[162:163]
	v_fma_f64 v[162:163], -v[156:157], v[158:159], 1.0
	v_fmac_f64_e32 v[158:159], v[158:159], v[162:163]
	v_mul_f64 v[162:163], v[160:161], v[158:159]
	v_fma_f64 v[156:157], -v[156:157], v[162:163], v[160:161]
	v_div_fmas_f64 v[156:157], v[156:157], v[158:159], v[162:163]
	v_div_fixup_f64 v[156:157], v[156:157], v[154:155], v[152:153]
	v_fmac_f64_e32 v[154:155], v[152:153], v[156:157]
	v_div_scale_f64 v[152:153], s[10:11], v[154:155], v[154:155], 1.0
	v_rcp_f64_e32 v[158:159], v[152:153]
	s_nop 0
	v_fma_f64 v[160:161], -v[152:153], v[158:159], 1.0
	v_fmac_f64_e32 v[158:159], v[158:159], v[160:161]
	v_fma_f64 v[160:161], -v[152:153], v[158:159], 1.0
	v_fmac_f64_e32 v[158:159], v[158:159], v[160:161]
	v_div_scale_f64 v[160:161], vcc, 1.0, v[154:155], 1.0
	v_mul_f64 v[162:163], v[160:161], v[158:159]
	v_fma_f64 v[152:153], -v[152:153], v[162:163], v[160:161]
	s_nop 1
	v_div_fmas_f64 v[152:153], v[152:153], v[158:159], v[162:163]
	v_div_fixup_f64 v[158:159], v[152:153], v[154:155], 1.0
	v_mul_f64 v[156:157], v[156:157], v[158:159]
	v_xor_b32_e32 v159, 0x80000000, v159
                                        ; implicit-def: $vgpr152_vgpr153
.LBB75_230:
	s_andn2_saveexec_b64 s[2:3], s[2:3]
	s_cbranch_execz .LBB75_232
; %bb.231:
	v_div_scale_f64 v[156:157], s[10:11], v[152:153], v[152:153], v[154:155]
	v_rcp_f64_e32 v[158:159], v[156:157]
	v_div_scale_f64 v[160:161], vcc, v[154:155], v[152:153], v[154:155]
	v_fma_f64 v[162:163], -v[156:157], v[158:159], 1.0
	v_fmac_f64_e32 v[158:159], v[158:159], v[162:163]
	v_fma_f64 v[162:163], -v[156:157], v[158:159], 1.0
	v_fmac_f64_e32 v[158:159], v[158:159], v[162:163]
	v_mul_f64 v[162:163], v[160:161], v[158:159]
	v_fma_f64 v[156:157], -v[156:157], v[162:163], v[160:161]
	v_div_fmas_f64 v[156:157], v[156:157], v[158:159], v[162:163]
	v_div_fixup_f64 v[158:159], v[156:157], v[152:153], v[154:155]
	v_fmac_f64_e32 v[152:153], v[154:155], v[158:159]
	v_div_scale_f64 v[154:155], s[10:11], v[152:153], v[152:153], 1.0
	v_rcp_f64_e32 v[156:157], v[154:155]
	s_nop 0
	v_fma_f64 v[160:161], -v[154:155], v[156:157], 1.0
	v_fmac_f64_e32 v[156:157], v[156:157], v[160:161]
	v_fma_f64 v[160:161], -v[154:155], v[156:157], 1.0
	v_fmac_f64_e32 v[156:157], v[156:157], v[160:161]
	v_div_scale_f64 v[160:161], vcc, 1.0, v[152:153], 1.0
	v_mul_f64 v[162:163], v[160:161], v[156:157]
	v_fma_f64 v[154:155], -v[154:155], v[162:163], v[160:161]
	s_nop 1
	v_div_fmas_f64 v[154:155], v[154:155], v[156:157], v[162:163]
	v_div_fixup_f64 v[156:157], v[154:155], v[152:153], 1.0
	v_mul_f64 v[158:159], v[158:159], -v[156:157]
.LBB75_232:
	s_or_b64 exec, exec, s[2:3]
	ds_write2_b64 v203, v[156:157], v[158:159] offset1:1
.LBB75_233:
	s_or_b64 exec, exec, s[4:5]
	s_waitcnt lgkmcnt(0)
	s_barrier
	ds_read2_b64 v[152:155], v203 offset1:1
	v_cmp_lt_u32_e32 vcc, 25, v202
	s_waitcnt lgkmcnt(0)
	scratch_store_dwordx4 off, v[152:155], off offset:512 ; 16-byte Folded Spill
	s_and_saveexec_b64 s[2:3], vcc
	s_cbranch_execz .LBB75_235
; %bb.234:
	scratch_load_dwordx4 v[154:157], off, off offset:512 ; 16-byte Folded Reload
	s_waitcnt vmcnt(0)
	v_mul_f64 v[152:153], v[154:155], v[46:47]
	v_mul_f64 v[46:47], v[156:157], v[46:47]
	v_fmac_f64_e32 v[152:153], v[156:157], v[44:45]
	v_fma_f64 v[44:45], v[154:155], v[44:45], -v[46:47]
	ds_read2_b64 v[154:157], v204 offset0:52 offset1:53
	s_waitcnt lgkmcnt(0)
	v_mul_f64 v[46:47], v[156:157], v[152:153]
	v_fma_f64 v[46:47], v[154:155], v[44:45], -v[46:47]
	v_mul_f64 v[154:155], v[154:155], v[152:153]
	v_fmac_f64_e32 v[154:155], v[156:157], v[44:45]
	v_add_f64 v[42:43], v[42:43], -v[154:155]
	ds_read2_b64 v[154:157], v204 offset0:54 offset1:55
	v_add_f64 v[40:41], v[40:41], -v[46:47]
	s_waitcnt lgkmcnt(0)
	v_mul_f64 v[46:47], v[156:157], v[152:153]
	v_fma_f64 v[46:47], v[154:155], v[44:45], -v[46:47]
	v_mul_f64 v[154:155], v[154:155], v[152:153]
	v_fmac_f64_e32 v[154:155], v[156:157], v[44:45]
	v_add_f64 v[38:39], v[38:39], -v[154:155]
	ds_read2_b64 v[154:157], v204 offset0:56 offset1:57
	v_add_f64 v[36:37], v[36:37], -v[46:47]
	;; [unrolled: 8-line block ×11, first 2 shown]
	s_waitcnt lgkmcnt(0)
	v_mul_f64 v[46:47], v[156:157], v[152:153]
	v_fma_f64 v[46:47], v[154:155], v[44:45], -v[46:47]
	v_mul_f64 v[154:155], v[154:155], v[152:153]
	v_fmac_f64_e32 v[154:155], v[156:157], v[44:45]
	v_add_f64 v[148:149], v[148:149], -v[46:47]
	v_add_f64 v[150:151], v[150:151], -v[154:155]
	v_mov_b64_e32 v[46:47], v[152:153]
.LBB75_235:
	s_or_b64 exec, exec, s[2:3]
	v_cmp_eq_u32_e32 vcc, 26, v202
	s_waitcnt vmcnt(63) expcnt(7) lgkmcnt(15)
	s_barrier
	s_and_saveexec_b64 s[4:5], vcc
	s_cbranch_execz .LBB75_242
; %bb.236:
	s_waitcnt vmcnt(50)
	ds_write2_b64 v203, v[40:41], v[42:43] offset1:1
	s_waitcnt vmcnt(49)
	ds_write2_b64 v204, v[36:37], v[38:39] offset0:54 offset1:55
	s_waitcnt vmcnt(48)
	ds_write2_b64 v204, v[32:33], v[34:35] offset0:56 offset1:57
	;; [unrolled: 2-line block ×6, first 2 shown]
	ds_write2_b64 v204, v[12:13], v[14:15] offset0:66 offset1:67
	s_waitcnt vmcnt(31)
	ds_write2_b64 v204, v[8:9], v[10:11] offset0:68 offset1:69
	s_waitcnt vmcnt(30)
	ds_write2_b64 v204, v[4:5], v[6:7] offset0:70 offset1:71
	ds_write2_b64 v204, v[0:1], v[2:3] offset0:72 offset1:73
	s_waitcnt vmcnt(29)
	ds_write2_b64 v204, v[148:149], v[150:151] offset0:74 offset1:75
	ds_read2_b64 v[152:155], v203 offset1:1
	s_waitcnt lgkmcnt(0)
	v_cmp_neq_f64_e32 vcc, 0, v[152:153]
	v_cmp_neq_f64_e64 s[2:3], 0, v[154:155]
	s_or_b64 s[2:3], vcc, s[2:3]
	s_and_b64 exec, exec, s[2:3]
	s_cbranch_execz .LBB75_242
; %bb.237:
	v_cmp_ngt_f64_e64 s[2:3], |v[152:153]|, |v[154:155]|
                                        ; implicit-def: $vgpr156_vgpr157
	s_and_saveexec_b64 s[10:11], s[2:3]
	s_xor_b64 s[2:3], exec, s[10:11]
                                        ; implicit-def: $vgpr158_vgpr159
	s_cbranch_execz .LBB75_239
; %bb.238:
	v_div_scale_f64 v[156:157], s[10:11], v[154:155], v[154:155], v[152:153]
	v_rcp_f64_e32 v[158:159], v[156:157]
	v_div_scale_f64 v[160:161], vcc, v[152:153], v[154:155], v[152:153]
	v_fma_f64 v[162:163], -v[156:157], v[158:159], 1.0
	v_fmac_f64_e32 v[158:159], v[158:159], v[162:163]
	v_fma_f64 v[162:163], -v[156:157], v[158:159], 1.0
	v_fmac_f64_e32 v[158:159], v[158:159], v[162:163]
	v_mul_f64 v[162:163], v[160:161], v[158:159]
	v_fma_f64 v[156:157], -v[156:157], v[162:163], v[160:161]
	v_div_fmas_f64 v[156:157], v[156:157], v[158:159], v[162:163]
	v_div_fixup_f64 v[156:157], v[156:157], v[154:155], v[152:153]
	v_fmac_f64_e32 v[154:155], v[152:153], v[156:157]
	v_div_scale_f64 v[152:153], s[10:11], v[154:155], v[154:155], 1.0
	v_rcp_f64_e32 v[158:159], v[152:153]
	s_nop 0
	v_fma_f64 v[160:161], -v[152:153], v[158:159], 1.0
	v_fmac_f64_e32 v[158:159], v[158:159], v[160:161]
	v_fma_f64 v[160:161], -v[152:153], v[158:159], 1.0
	v_fmac_f64_e32 v[158:159], v[158:159], v[160:161]
	v_div_scale_f64 v[160:161], vcc, 1.0, v[154:155], 1.0
	v_mul_f64 v[162:163], v[160:161], v[158:159]
	v_fma_f64 v[152:153], -v[152:153], v[162:163], v[160:161]
	s_nop 1
	v_div_fmas_f64 v[152:153], v[152:153], v[158:159], v[162:163]
	v_div_fixup_f64 v[158:159], v[152:153], v[154:155], 1.0
	v_mul_f64 v[156:157], v[156:157], v[158:159]
	v_xor_b32_e32 v159, 0x80000000, v159
                                        ; implicit-def: $vgpr152_vgpr153
.LBB75_239:
	s_andn2_saveexec_b64 s[2:3], s[2:3]
	s_cbranch_execz .LBB75_241
; %bb.240:
	v_div_scale_f64 v[156:157], s[10:11], v[152:153], v[152:153], v[154:155]
	v_rcp_f64_e32 v[158:159], v[156:157]
	v_div_scale_f64 v[160:161], vcc, v[154:155], v[152:153], v[154:155]
	v_fma_f64 v[162:163], -v[156:157], v[158:159], 1.0
	v_fmac_f64_e32 v[158:159], v[158:159], v[162:163]
	v_fma_f64 v[162:163], -v[156:157], v[158:159], 1.0
	v_fmac_f64_e32 v[158:159], v[158:159], v[162:163]
	v_mul_f64 v[162:163], v[160:161], v[158:159]
	v_fma_f64 v[156:157], -v[156:157], v[162:163], v[160:161]
	v_div_fmas_f64 v[156:157], v[156:157], v[158:159], v[162:163]
	v_div_fixup_f64 v[158:159], v[156:157], v[152:153], v[154:155]
	v_fmac_f64_e32 v[152:153], v[154:155], v[158:159]
	v_div_scale_f64 v[154:155], s[10:11], v[152:153], v[152:153], 1.0
	v_rcp_f64_e32 v[156:157], v[154:155]
	s_nop 0
	v_fma_f64 v[160:161], -v[154:155], v[156:157], 1.0
	v_fmac_f64_e32 v[156:157], v[156:157], v[160:161]
	v_fma_f64 v[160:161], -v[154:155], v[156:157], 1.0
	v_fmac_f64_e32 v[156:157], v[156:157], v[160:161]
	v_div_scale_f64 v[160:161], vcc, 1.0, v[152:153], 1.0
	v_mul_f64 v[162:163], v[160:161], v[156:157]
	v_fma_f64 v[154:155], -v[154:155], v[162:163], v[160:161]
	s_nop 1
	v_div_fmas_f64 v[154:155], v[154:155], v[156:157], v[162:163]
	v_div_fixup_f64 v[156:157], v[154:155], v[152:153], 1.0
	v_mul_f64 v[158:159], v[158:159], -v[156:157]
.LBB75_241:
	s_or_b64 exec, exec, s[2:3]
	ds_write2_b64 v203, v[156:157], v[158:159] offset1:1
.LBB75_242:
	s_or_b64 exec, exec, s[4:5]
	s_waitcnt lgkmcnt(0)
	s_barrier
	ds_read2_b64 v[152:155], v203 offset1:1
	v_cmp_lt_u32_e32 vcc, 26, v202
	s_waitcnt lgkmcnt(0)
	scratch_store_dwordx4 off, v[152:155], off offset:528 ; 16-byte Folded Spill
	s_and_saveexec_b64 s[2:3], vcc
	s_cbranch_execz .LBB75_244
; %bb.243:
	scratch_load_dwordx4 v[152:155], off, off offset:528 ; 16-byte Folded Reload
	ds_read2_b64 v[158:161], v204 offset0:54 offset1:55
	s_waitcnt vmcnt(0)
	v_mul_f64 v[156:157], v[152:153], v[42:43]
	v_fmac_f64_e32 v[156:157], v[154:155], v[40:41]
	v_mul_f64 v[42:43], v[154:155], v[42:43]
	v_fma_f64 v[40:41], v[152:153], v[40:41], -v[42:43]
	s_waitcnt lgkmcnt(0)
	v_mul_f64 v[42:43], v[160:161], v[156:157]
	v_fma_f64 v[42:43], v[158:159], v[40:41], -v[42:43]
	v_mul_f64 v[158:159], v[158:159], v[156:157]
	v_fmac_f64_e32 v[158:159], v[160:161], v[40:41]
	v_add_f64 v[38:39], v[38:39], -v[158:159]
	ds_read2_b64 v[158:161], v204 offset0:56 offset1:57
	v_add_f64 v[36:37], v[36:37], -v[42:43]
	s_waitcnt lgkmcnt(0)
	v_mul_f64 v[42:43], v[160:161], v[156:157]
	v_fma_f64 v[42:43], v[158:159], v[40:41], -v[42:43]
	v_mul_f64 v[158:159], v[158:159], v[156:157]
	v_fmac_f64_e32 v[158:159], v[160:161], v[40:41]
	v_add_f64 v[34:35], v[34:35], -v[158:159]
	ds_read2_b64 v[158:161], v204 offset0:58 offset1:59
	v_add_f64 v[32:33], v[32:33], -v[42:43]
	;; [unrolled: 8-line block ×10, first 2 shown]
	s_waitcnt lgkmcnt(0)
	v_mul_f64 v[42:43], v[160:161], v[156:157]
	v_fma_f64 v[42:43], v[158:159], v[40:41], -v[42:43]
	v_mul_f64 v[158:159], v[158:159], v[156:157]
	v_fmac_f64_e32 v[158:159], v[160:161], v[40:41]
	v_add_f64 v[148:149], v[148:149], -v[42:43]
	v_add_f64 v[150:151], v[150:151], -v[158:159]
	v_mov_b64_e32 v[42:43], v[156:157]
.LBB75_244:
	s_or_b64 exec, exec, s[2:3]
	v_cmp_eq_u32_e32 vcc, 27, v202
	s_waitcnt vmcnt(63) expcnt(7) lgkmcnt(15)
	s_barrier
	s_and_saveexec_b64 s[4:5], vcc
	s_cbranch_execz .LBB75_251
; %bb.245:
	s_waitcnt vmcnt(50)
	ds_write2_b64 v203, v[36:37], v[38:39] offset1:1
	s_waitcnt vmcnt(49)
	ds_write2_b64 v204, v[32:33], v[34:35] offset0:56 offset1:57
	s_waitcnt vmcnt(48)
	ds_write2_b64 v204, v[28:29], v[30:31] offset0:58 offset1:59
	;; [unrolled: 2-line block ×5, first 2 shown]
	ds_write2_b64 v204, v[12:13], v[14:15] offset0:66 offset1:67
	s_waitcnt vmcnt(32)
	ds_write2_b64 v204, v[8:9], v[10:11] offset0:68 offset1:69
	s_waitcnt vmcnt(31)
	ds_write2_b64 v204, v[4:5], v[6:7] offset0:70 offset1:71
	ds_write2_b64 v204, v[0:1], v[2:3] offset0:72 offset1:73
	s_waitcnt vmcnt(30)
	ds_write2_b64 v204, v[148:149], v[150:151] offset0:74 offset1:75
	ds_read2_b64 v[156:159], v203 offset1:1
	s_waitcnt lgkmcnt(0)
	v_cmp_neq_f64_e32 vcc, 0, v[156:157]
	v_cmp_neq_f64_e64 s[2:3], 0, v[158:159]
	s_or_b64 s[2:3], vcc, s[2:3]
	s_and_b64 exec, exec, s[2:3]
	s_cbranch_execz .LBB75_251
; %bb.246:
	v_cmp_ngt_f64_e64 s[2:3], |v[156:157]|, |v[158:159]|
                                        ; implicit-def: $vgpr160_vgpr161
	s_and_saveexec_b64 s[10:11], s[2:3]
	s_xor_b64 s[2:3], exec, s[10:11]
                                        ; implicit-def: $vgpr162_vgpr163
	s_cbranch_execz .LBB75_248
; %bb.247:
	v_div_scale_f64 v[160:161], s[10:11], v[158:159], v[158:159], v[156:157]
	v_rcp_f64_e32 v[162:163], v[160:161]
	v_div_scale_f64 v[164:165], vcc, v[156:157], v[158:159], v[156:157]
	v_fma_f64 v[166:167], -v[160:161], v[162:163], 1.0
	v_fmac_f64_e32 v[162:163], v[162:163], v[166:167]
	v_fma_f64 v[166:167], -v[160:161], v[162:163], 1.0
	v_fmac_f64_e32 v[162:163], v[162:163], v[166:167]
	v_mul_f64 v[166:167], v[164:165], v[162:163]
	v_fma_f64 v[160:161], -v[160:161], v[166:167], v[164:165]
	v_div_fmas_f64 v[160:161], v[160:161], v[162:163], v[166:167]
	v_div_fixup_f64 v[160:161], v[160:161], v[158:159], v[156:157]
	v_fmac_f64_e32 v[158:159], v[156:157], v[160:161]
	v_div_scale_f64 v[156:157], s[10:11], v[158:159], v[158:159], 1.0
	v_rcp_f64_e32 v[162:163], v[156:157]
	s_nop 0
	v_fma_f64 v[164:165], -v[156:157], v[162:163], 1.0
	v_fmac_f64_e32 v[162:163], v[162:163], v[164:165]
	v_fma_f64 v[164:165], -v[156:157], v[162:163], 1.0
	v_fmac_f64_e32 v[162:163], v[162:163], v[164:165]
	v_div_scale_f64 v[164:165], vcc, 1.0, v[158:159], 1.0
	v_mul_f64 v[166:167], v[164:165], v[162:163]
	v_fma_f64 v[156:157], -v[156:157], v[166:167], v[164:165]
	s_nop 1
	v_div_fmas_f64 v[156:157], v[156:157], v[162:163], v[166:167]
	v_div_fixup_f64 v[162:163], v[156:157], v[158:159], 1.0
	v_mul_f64 v[160:161], v[160:161], v[162:163]
	v_xor_b32_e32 v163, 0x80000000, v163
                                        ; implicit-def: $vgpr156_vgpr157
.LBB75_248:
	s_andn2_saveexec_b64 s[2:3], s[2:3]
	s_cbranch_execz .LBB75_250
; %bb.249:
	v_div_scale_f64 v[160:161], s[10:11], v[156:157], v[156:157], v[158:159]
	v_rcp_f64_e32 v[162:163], v[160:161]
	v_div_scale_f64 v[164:165], vcc, v[158:159], v[156:157], v[158:159]
	v_fma_f64 v[166:167], -v[160:161], v[162:163], 1.0
	v_fmac_f64_e32 v[162:163], v[162:163], v[166:167]
	v_fma_f64 v[166:167], -v[160:161], v[162:163], 1.0
	v_fmac_f64_e32 v[162:163], v[162:163], v[166:167]
	v_mul_f64 v[166:167], v[164:165], v[162:163]
	v_fma_f64 v[160:161], -v[160:161], v[166:167], v[164:165]
	v_div_fmas_f64 v[160:161], v[160:161], v[162:163], v[166:167]
	v_div_fixup_f64 v[162:163], v[160:161], v[156:157], v[158:159]
	v_fmac_f64_e32 v[156:157], v[158:159], v[162:163]
	v_div_scale_f64 v[158:159], s[10:11], v[156:157], v[156:157], 1.0
	v_rcp_f64_e32 v[160:161], v[158:159]
	s_nop 0
	v_fma_f64 v[164:165], -v[158:159], v[160:161], 1.0
	v_fmac_f64_e32 v[160:161], v[160:161], v[164:165]
	v_fma_f64 v[164:165], -v[158:159], v[160:161], 1.0
	v_fmac_f64_e32 v[160:161], v[160:161], v[164:165]
	v_div_scale_f64 v[164:165], vcc, 1.0, v[156:157], 1.0
	v_mul_f64 v[166:167], v[164:165], v[160:161]
	v_fma_f64 v[158:159], -v[158:159], v[166:167], v[164:165]
	s_nop 1
	v_div_fmas_f64 v[158:159], v[158:159], v[160:161], v[166:167]
	v_div_fixup_f64 v[160:161], v[158:159], v[156:157], 1.0
	v_mul_f64 v[162:163], v[162:163], -v[160:161]
.LBB75_250:
	s_or_b64 exec, exec, s[2:3]
	ds_write2_b64 v203, v[160:161], v[162:163] offset1:1
.LBB75_251:
	s_or_b64 exec, exec, s[4:5]
	s_waitcnt lgkmcnt(0)
	s_barrier
	ds_read2_b64 v[156:159], v203 offset1:1
	v_cmp_lt_u32_e32 vcc, 27, v202
	s_and_saveexec_b64 s[2:3], vcc
	s_cbranch_execz .LBB75_253
; %bb.252:
	ds_read2_b64 v[162:165], v204 offset0:56 offset1:57
	s_waitcnt vmcnt(50) lgkmcnt(1)
	v_mul_f64 v[160:161], v[156:157], v[38:39]
	v_fmac_f64_e32 v[160:161], v[158:159], v[36:37]
	v_mul_f64 v[38:39], v[158:159], v[38:39]
	v_fma_f64 v[36:37], v[156:157], v[36:37], -v[38:39]
	s_waitcnt lgkmcnt(0)
	v_mul_f64 v[38:39], v[164:165], v[160:161]
	v_fma_f64 v[38:39], v[162:163], v[36:37], -v[38:39]
	v_mul_f64 v[162:163], v[162:163], v[160:161]
	v_fmac_f64_e32 v[162:163], v[164:165], v[36:37]
	s_waitcnt vmcnt(49)
	v_add_f64 v[34:35], v[34:35], -v[162:163]
	ds_read2_b64 v[162:165], v204 offset0:58 offset1:59
	v_add_f64 v[32:33], v[32:33], -v[38:39]
	s_waitcnt lgkmcnt(0)
	v_mul_f64 v[38:39], v[164:165], v[160:161]
	v_fma_f64 v[38:39], v[162:163], v[36:37], -v[38:39]
	v_mul_f64 v[162:163], v[162:163], v[160:161]
	v_fmac_f64_e32 v[162:163], v[164:165], v[36:37]
	s_waitcnt vmcnt(48)
	v_add_f64 v[30:31], v[30:31], -v[162:163]
	ds_read2_b64 v[162:165], v204 offset0:60 offset1:61
	v_add_f64 v[28:29], v[28:29], -v[38:39]
	;; [unrolled: 9-line block ×5, first 2 shown]
	s_waitcnt lgkmcnt(0)
	v_mul_f64 v[38:39], v[164:165], v[160:161]
	v_fma_f64 v[38:39], v[162:163], v[36:37], -v[38:39]
	v_mul_f64 v[162:163], v[162:163], v[160:161]
	v_fmac_f64_e32 v[162:163], v[164:165], v[36:37]
	v_add_f64 v[14:15], v[14:15], -v[162:163]
	ds_read2_b64 v[162:165], v204 offset0:68 offset1:69
	v_add_f64 v[12:13], v[12:13], -v[38:39]
	s_waitcnt lgkmcnt(0)
	v_mul_f64 v[38:39], v[164:165], v[160:161]
	v_fma_f64 v[38:39], v[162:163], v[36:37], -v[38:39]
	v_mul_f64 v[162:163], v[162:163], v[160:161]
	v_fmac_f64_e32 v[162:163], v[164:165], v[36:37]
	s_waitcnt vmcnt(32)
	v_add_f64 v[10:11], v[10:11], -v[162:163]
	ds_read2_b64 v[162:165], v204 offset0:70 offset1:71
	v_add_f64 v[8:9], v[8:9], -v[38:39]
	s_waitcnt lgkmcnt(0)
	v_mul_f64 v[38:39], v[164:165], v[160:161]
	v_fma_f64 v[38:39], v[162:163], v[36:37], -v[38:39]
	v_mul_f64 v[162:163], v[162:163], v[160:161]
	v_fmac_f64_e32 v[162:163], v[164:165], v[36:37]
	s_waitcnt vmcnt(31)
	v_add_f64 v[6:7], v[6:7], -v[162:163]
	ds_read2_b64 v[162:165], v204 offset0:72 offset1:73
	v_add_f64 v[4:5], v[4:5], -v[38:39]
	s_waitcnt lgkmcnt(0)
	v_mul_f64 v[38:39], v[164:165], v[160:161]
	v_fma_f64 v[38:39], v[162:163], v[36:37], -v[38:39]
	v_mul_f64 v[162:163], v[162:163], v[160:161]
	v_fmac_f64_e32 v[162:163], v[164:165], v[36:37]
	v_add_f64 v[2:3], v[2:3], -v[162:163]
	ds_read2_b64 v[162:165], v204 offset0:74 offset1:75
	v_add_f64 v[0:1], v[0:1], -v[38:39]
	s_waitcnt lgkmcnt(0)
	v_mul_f64 v[38:39], v[164:165], v[160:161]
	v_fma_f64 v[38:39], v[162:163], v[36:37], -v[38:39]
	v_mul_f64 v[162:163], v[162:163], v[160:161]
	v_fmac_f64_e32 v[162:163], v[164:165], v[36:37]
	s_waitcnt vmcnt(30)
	v_add_f64 v[148:149], v[148:149], -v[38:39]
	v_add_f64 v[150:151], v[150:151], -v[162:163]
	v_mov_b64_e32 v[38:39], v[160:161]
.LBB75_253:
	s_or_b64 exec, exec, s[2:3]
	v_cmp_eq_u32_e32 vcc, 28, v202
	s_waitcnt lgkmcnt(0)
	s_barrier
	s_and_saveexec_b64 s[4:5], vcc
	s_cbranch_execz .LBB75_260
; %bb.254:
	s_waitcnt vmcnt(49)
	ds_write2_b64 v203, v[32:33], v[34:35] offset1:1
	s_waitcnt vmcnt(48)
	ds_write2_b64 v204, v[28:29], v[30:31] offset0:58 offset1:59
	s_waitcnt vmcnt(47)
	ds_write2_b64 v204, v[24:25], v[26:27] offset0:60 offset1:61
	;; [unrolled: 2-line block ×4, first 2 shown]
	ds_write2_b64 v204, v[12:13], v[14:15] offset0:66 offset1:67
	s_waitcnt vmcnt(32)
	ds_write2_b64 v204, v[8:9], v[10:11] offset0:68 offset1:69
	s_waitcnt vmcnt(31)
	ds_write2_b64 v204, v[4:5], v[6:7] offset0:70 offset1:71
	ds_write2_b64 v204, v[0:1], v[2:3] offset0:72 offset1:73
	s_waitcnt vmcnt(30)
	ds_write2_b64 v204, v[148:149], v[150:151] offset0:74 offset1:75
	ds_read2_b64 v[160:163], v203 offset1:1
	s_waitcnt lgkmcnt(0)
	v_cmp_neq_f64_e32 vcc, 0, v[160:161]
	v_cmp_neq_f64_e64 s[2:3], 0, v[162:163]
	s_or_b64 s[2:3], vcc, s[2:3]
	s_and_b64 exec, exec, s[2:3]
	s_cbranch_execz .LBB75_260
; %bb.255:
	v_cmp_ngt_f64_e64 s[2:3], |v[160:161]|, |v[162:163]|
                                        ; implicit-def: $vgpr164_vgpr165
	s_and_saveexec_b64 s[10:11], s[2:3]
	s_xor_b64 s[2:3], exec, s[10:11]
                                        ; implicit-def: $vgpr166_vgpr167
	s_cbranch_execz .LBB75_257
; %bb.256:
	v_div_scale_f64 v[164:165], s[10:11], v[162:163], v[162:163], v[160:161]
	v_rcp_f64_e32 v[166:167], v[164:165]
	v_div_scale_f64 v[168:169], vcc, v[160:161], v[162:163], v[160:161]
	v_fma_f64 v[170:171], -v[164:165], v[166:167], 1.0
	v_fmac_f64_e32 v[166:167], v[166:167], v[170:171]
	v_fma_f64 v[170:171], -v[164:165], v[166:167], 1.0
	v_fmac_f64_e32 v[166:167], v[166:167], v[170:171]
	v_mul_f64 v[170:171], v[168:169], v[166:167]
	v_fma_f64 v[164:165], -v[164:165], v[170:171], v[168:169]
	v_div_fmas_f64 v[164:165], v[164:165], v[166:167], v[170:171]
	v_div_fixup_f64 v[164:165], v[164:165], v[162:163], v[160:161]
	v_fmac_f64_e32 v[162:163], v[160:161], v[164:165]
	v_div_scale_f64 v[160:161], s[10:11], v[162:163], v[162:163], 1.0
	v_rcp_f64_e32 v[166:167], v[160:161]
	s_nop 0
	v_fma_f64 v[168:169], -v[160:161], v[166:167], 1.0
	v_fmac_f64_e32 v[166:167], v[166:167], v[168:169]
	v_fma_f64 v[168:169], -v[160:161], v[166:167], 1.0
	v_fmac_f64_e32 v[166:167], v[166:167], v[168:169]
	v_div_scale_f64 v[168:169], vcc, 1.0, v[162:163], 1.0
	v_mul_f64 v[170:171], v[168:169], v[166:167]
	v_fma_f64 v[160:161], -v[160:161], v[170:171], v[168:169]
	s_nop 1
	v_div_fmas_f64 v[160:161], v[160:161], v[166:167], v[170:171]
	v_div_fixup_f64 v[166:167], v[160:161], v[162:163], 1.0
	v_mul_f64 v[164:165], v[164:165], v[166:167]
	v_xor_b32_e32 v167, 0x80000000, v167
                                        ; implicit-def: $vgpr160_vgpr161
.LBB75_257:
	s_andn2_saveexec_b64 s[2:3], s[2:3]
	s_cbranch_execz .LBB75_259
; %bb.258:
	v_div_scale_f64 v[164:165], s[10:11], v[160:161], v[160:161], v[162:163]
	v_rcp_f64_e32 v[166:167], v[164:165]
	v_div_scale_f64 v[168:169], vcc, v[162:163], v[160:161], v[162:163]
	v_fma_f64 v[170:171], -v[164:165], v[166:167], 1.0
	v_fmac_f64_e32 v[166:167], v[166:167], v[170:171]
	v_fma_f64 v[170:171], -v[164:165], v[166:167], 1.0
	v_fmac_f64_e32 v[166:167], v[166:167], v[170:171]
	v_mul_f64 v[170:171], v[168:169], v[166:167]
	v_fma_f64 v[164:165], -v[164:165], v[170:171], v[168:169]
	v_div_fmas_f64 v[164:165], v[164:165], v[166:167], v[170:171]
	v_div_fixup_f64 v[166:167], v[164:165], v[160:161], v[162:163]
	v_fmac_f64_e32 v[160:161], v[162:163], v[166:167]
	v_div_scale_f64 v[162:163], s[10:11], v[160:161], v[160:161], 1.0
	v_rcp_f64_e32 v[164:165], v[162:163]
	s_nop 0
	v_fma_f64 v[168:169], -v[162:163], v[164:165], 1.0
	v_fmac_f64_e32 v[164:165], v[164:165], v[168:169]
	v_fma_f64 v[168:169], -v[162:163], v[164:165], 1.0
	v_fmac_f64_e32 v[164:165], v[164:165], v[168:169]
	v_div_scale_f64 v[168:169], vcc, 1.0, v[160:161], 1.0
	v_mul_f64 v[170:171], v[168:169], v[164:165]
	v_fma_f64 v[162:163], -v[162:163], v[170:171], v[168:169]
	s_nop 1
	v_div_fmas_f64 v[162:163], v[162:163], v[164:165], v[170:171]
	v_div_fixup_f64 v[164:165], v[162:163], v[160:161], 1.0
	v_mul_f64 v[166:167], v[166:167], -v[164:165]
.LBB75_259:
	s_or_b64 exec, exec, s[2:3]
	ds_write2_b64 v203, v[164:165], v[166:167] offset1:1
.LBB75_260:
	s_or_b64 exec, exec, s[4:5]
	s_waitcnt lgkmcnt(0)
	s_barrier
	ds_read2_b64 v[160:163], v203 offset1:1
	v_cmp_lt_u32_e32 vcc, 28, v202
	s_and_saveexec_b64 s[2:3], vcc
	s_cbranch_execz .LBB75_262
; %bb.261:
	ds_read2_b64 v[166:169], v204 offset0:58 offset1:59
	s_waitcnt vmcnt(49) lgkmcnt(1)
	v_mul_f64 v[164:165], v[160:161], v[34:35]
	v_fmac_f64_e32 v[164:165], v[162:163], v[32:33]
	v_mul_f64 v[34:35], v[162:163], v[34:35]
	v_fma_f64 v[32:33], v[160:161], v[32:33], -v[34:35]
	s_waitcnt lgkmcnt(0)
	v_mul_f64 v[34:35], v[168:169], v[164:165]
	v_fma_f64 v[34:35], v[166:167], v[32:33], -v[34:35]
	v_mul_f64 v[166:167], v[166:167], v[164:165]
	v_fmac_f64_e32 v[166:167], v[168:169], v[32:33]
	s_waitcnt vmcnt(48)
	v_add_f64 v[30:31], v[30:31], -v[166:167]
	ds_read2_b64 v[166:169], v204 offset0:60 offset1:61
	v_add_f64 v[28:29], v[28:29], -v[34:35]
	s_waitcnt lgkmcnt(0)
	v_mul_f64 v[34:35], v[168:169], v[164:165]
	v_fma_f64 v[34:35], v[166:167], v[32:33], -v[34:35]
	v_mul_f64 v[166:167], v[166:167], v[164:165]
	v_fmac_f64_e32 v[166:167], v[168:169], v[32:33]
	s_waitcnt vmcnt(47)
	v_add_f64 v[26:27], v[26:27], -v[166:167]
	ds_read2_b64 v[166:169], v204 offset0:62 offset1:63
	v_add_f64 v[24:25], v[24:25], -v[34:35]
	;; [unrolled: 9-line block ×4, first 2 shown]
	s_waitcnt lgkmcnt(0)
	v_mul_f64 v[34:35], v[168:169], v[164:165]
	v_fma_f64 v[34:35], v[166:167], v[32:33], -v[34:35]
	v_mul_f64 v[166:167], v[166:167], v[164:165]
	v_fmac_f64_e32 v[166:167], v[168:169], v[32:33]
	v_add_f64 v[14:15], v[14:15], -v[166:167]
	ds_read2_b64 v[166:169], v204 offset0:68 offset1:69
	v_add_f64 v[12:13], v[12:13], -v[34:35]
	s_waitcnt lgkmcnt(0)
	v_mul_f64 v[34:35], v[168:169], v[164:165]
	v_fma_f64 v[34:35], v[166:167], v[32:33], -v[34:35]
	v_mul_f64 v[166:167], v[166:167], v[164:165]
	v_fmac_f64_e32 v[166:167], v[168:169], v[32:33]
	s_waitcnt vmcnt(32)
	v_add_f64 v[10:11], v[10:11], -v[166:167]
	ds_read2_b64 v[166:169], v204 offset0:70 offset1:71
	v_add_f64 v[8:9], v[8:9], -v[34:35]
	s_waitcnt lgkmcnt(0)
	v_mul_f64 v[34:35], v[168:169], v[164:165]
	v_fma_f64 v[34:35], v[166:167], v[32:33], -v[34:35]
	v_mul_f64 v[166:167], v[166:167], v[164:165]
	v_fmac_f64_e32 v[166:167], v[168:169], v[32:33]
	s_waitcnt vmcnt(31)
	v_add_f64 v[6:7], v[6:7], -v[166:167]
	ds_read2_b64 v[166:169], v204 offset0:72 offset1:73
	v_add_f64 v[4:5], v[4:5], -v[34:35]
	s_waitcnt lgkmcnt(0)
	v_mul_f64 v[34:35], v[168:169], v[164:165]
	v_fma_f64 v[34:35], v[166:167], v[32:33], -v[34:35]
	v_mul_f64 v[166:167], v[166:167], v[164:165]
	v_fmac_f64_e32 v[166:167], v[168:169], v[32:33]
	v_add_f64 v[2:3], v[2:3], -v[166:167]
	ds_read2_b64 v[166:169], v204 offset0:74 offset1:75
	v_add_f64 v[0:1], v[0:1], -v[34:35]
	s_waitcnt lgkmcnt(0)
	v_mul_f64 v[34:35], v[168:169], v[164:165]
	v_fma_f64 v[34:35], v[166:167], v[32:33], -v[34:35]
	v_mul_f64 v[166:167], v[166:167], v[164:165]
	v_fmac_f64_e32 v[166:167], v[168:169], v[32:33]
	s_waitcnt vmcnt(30)
	v_add_f64 v[148:149], v[148:149], -v[34:35]
	v_add_f64 v[150:151], v[150:151], -v[166:167]
	v_mov_b64_e32 v[34:35], v[164:165]
.LBB75_262:
	s_or_b64 exec, exec, s[2:3]
	v_cmp_eq_u32_e32 vcc, 29, v202
	s_waitcnt lgkmcnt(0)
	s_barrier
	s_and_saveexec_b64 s[4:5], vcc
	s_cbranch_execz .LBB75_269
; %bb.263:
	s_waitcnt vmcnt(48)
	ds_write2_b64 v203, v[28:29], v[30:31] offset1:1
	s_waitcnt vmcnt(47)
	ds_write2_b64 v204, v[24:25], v[26:27] offset0:60 offset1:61
	s_waitcnt vmcnt(46)
	ds_write2_b64 v204, v[20:21], v[22:23] offset0:62 offset1:63
	;; [unrolled: 2-line block ×3, first 2 shown]
	ds_write2_b64 v204, v[12:13], v[14:15] offset0:66 offset1:67
	s_waitcnt vmcnt(32)
	ds_write2_b64 v204, v[8:9], v[10:11] offset0:68 offset1:69
	s_waitcnt vmcnt(31)
	ds_write2_b64 v204, v[4:5], v[6:7] offset0:70 offset1:71
	ds_write2_b64 v204, v[0:1], v[2:3] offset0:72 offset1:73
	s_waitcnt vmcnt(30)
	ds_write2_b64 v204, v[148:149], v[150:151] offset0:74 offset1:75
	ds_read2_b64 v[164:167], v203 offset1:1
	s_waitcnt lgkmcnt(0)
	v_cmp_neq_f64_e32 vcc, 0, v[164:165]
	v_cmp_neq_f64_e64 s[2:3], 0, v[166:167]
	s_or_b64 s[2:3], vcc, s[2:3]
	s_and_b64 exec, exec, s[2:3]
	s_cbranch_execz .LBB75_269
; %bb.264:
	v_cmp_ngt_f64_e64 s[2:3], |v[164:165]|, |v[166:167]|
                                        ; implicit-def: $vgpr168_vgpr169
	s_and_saveexec_b64 s[10:11], s[2:3]
	s_xor_b64 s[2:3], exec, s[10:11]
                                        ; implicit-def: $vgpr170_vgpr171
	s_cbranch_execz .LBB75_266
; %bb.265:
	v_div_scale_f64 v[168:169], s[10:11], v[166:167], v[166:167], v[164:165]
	v_rcp_f64_e32 v[170:171], v[168:169]
	v_div_scale_f64 v[172:173], vcc, v[164:165], v[166:167], v[164:165]
	v_fma_f64 v[174:175], -v[168:169], v[170:171], 1.0
	v_fmac_f64_e32 v[170:171], v[170:171], v[174:175]
	v_fma_f64 v[174:175], -v[168:169], v[170:171], 1.0
	v_fmac_f64_e32 v[170:171], v[170:171], v[174:175]
	v_mul_f64 v[174:175], v[172:173], v[170:171]
	v_fma_f64 v[168:169], -v[168:169], v[174:175], v[172:173]
	v_div_fmas_f64 v[168:169], v[168:169], v[170:171], v[174:175]
	v_div_fixup_f64 v[168:169], v[168:169], v[166:167], v[164:165]
	v_fmac_f64_e32 v[166:167], v[164:165], v[168:169]
	v_div_scale_f64 v[164:165], s[10:11], v[166:167], v[166:167], 1.0
	v_rcp_f64_e32 v[170:171], v[164:165]
	s_nop 0
	v_fma_f64 v[172:173], -v[164:165], v[170:171], 1.0
	v_fmac_f64_e32 v[170:171], v[170:171], v[172:173]
	v_fma_f64 v[172:173], -v[164:165], v[170:171], 1.0
	v_fmac_f64_e32 v[170:171], v[170:171], v[172:173]
	v_div_scale_f64 v[172:173], vcc, 1.0, v[166:167], 1.0
	v_mul_f64 v[174:175], v[172:173], v[170:171]
	v_fma_f64 v[164:165], -v[164:165], v[174:175], v[172:173]
	s_nop 1
	v_div_fmas_f64 v[164:165], v[164:165], v[170:171], v[174:175]
	v_div_fixup_f64 v[170:171], v[164:165], v[166:167], 1.0
	v_mul_f64 v[168:169], v[168:169], v[170:171]
	v_xor_b32_e32 v171, 0x80000000, v171
                                        ; implicit-def: $vgpr164_vgpr165
.LBB75_266:
	s_andn2_saveexec_b64 s[2:3], s[2:3]
	s_cbranch_execz .LBB75_268
; %bb.267:
	v_div_scale_f64 v[168:169], s[10:11], v[164:165], v[164:165], v[166:167]
	v_rcp_f64_e32 v[170:171], v[168:169]
	v_div_scale_f64 v[172:173], vcc, v[166:167], v[164:165], v[166:167]
	v_fma_f64 v[174:175], -v[168:169], v[170:171], 1.0
	v_fmac_f64_e32 v[170:171], v[170:171], v[174:175]
	v_fma_f64 v[174:175], -v[168:169], v[170:171], 1.0
	v_fmac_f64_e32 v[170:171], v[170:171], v[174:175]
	v_mul_f64 v[174:175], v[172:173], v[170:171]
	v_fma_f64 v[168:169], -v[168:169], v[174:175], v[172:173]
	v_div_fmas_f64 v[168:169], v[168:169], v[170:171], v[174:175]
	v_div_fixup_f64 v[170:171], v[168:169], v[164:165], v[166:167]
	v_fmac_f64_e32 v[164:165], v[166:167], v[170:171]
	v_div_scale_f64 v[166:167], s[10:11], v[164:165], v[164:165], 1.0
	v_rcp_f64_e32 v[168:169], v[166:167]
	s_nop 0
	v_fma_f64 v[172:173], -v[166:167], v[168:169], 1.0
	v_fmac_f64_e32 v[168:169], v[168:169], v[172:173]
	v_fma_f64 v[172:173], -v[166:167], v[168:169], 1.0
	v_fmac_f64_e32 v[168:169], v[168:169], v[172:173]
	v_div_scale_f64 v[172:173], vcc, 1.0, v[164:165], 1.0
	v_mul_f64 v[174:175], v[172:173], v[168:169]
	v_fma_f64 v[166:167], -v[166:167], v[174:175], v[172:173]
	s_nop 1
	v_div_fmas_f64 v[166:167], v[166:167], v[168:169], v[174:175]
	v_div_fixup_f64 v[168:169], v[166:167], v[164:165], 1.0
	v_mul_f64 v[170:171], v[170:171], -v[168:169]
.LBB75_268:
	s_or_b64 exec, exec, s[2:3]
	ds_write2_b64 v203, v[168:169], v[170:171] offset1:1
.LBB75_269:
	s_or_b64 exec, exec, s[4:5]
	s_waitcnt lgkmcnt(0)
	s_barrier
	ds_read2_b64 v[164:167], v203 offset1:1
	v_cmp_lt_u32_e32 vcc, 29, v202
	s_and_saveexec_b64 s[2:3], vcc
	s_cbranch_execz .LBB75_271
; %bb.270:
	ds_read2_b64 v[170:173], v204 offset0:60 offset1:61
	s_waitcnt vmcnt(48) lgkmcnt(1)
	v_mul_f64 v[168:169], v[164:165], v[30:31]
	v_fmac_f64_e32 v[168:169], v[166:167], v[28:29]
	v_mul_f64 v[30:31], v[166:167], v[30:31]
	v_fma_f64 v[28:29], v[164:165], v[28:29], -v[30:31]
	s_waitcnt lgkmcnt(0)
	v_mul_f64 v[30:31], v[172:173], v[168:169]
	v_fma_f64 v[30:31], v[170:171], v[28:29], -v[30:31]
	v_mul_f64 v[170:171], v[170:171], v[168:169]
	v_fmac_f64_e32 v[170:171], v[172:173], v[28:29]
	s_waitcnt vmcnt(47)
	v_add_f64 v[26:27], v[26:27], -v[170:171]
	ds_read2_b64 v[170:173], v204 offset0:62 offset1:63
	v_add_f64 v[24:25], v[24:25], -v[30:31]
	s_waitcnt lgkmcnt(0)
	v_mul_f64 v[30:31], v[172:173], v[168:169]
	v_fma_f64 v[30:31], v[170:171], v[28:29], -v[30:31]
	v_mul_f64 v[170:171], v[170:171], v[168:169]
	v_fmac_f64_e32 v[170:171], v[172:173], v[28:29]
	s_waitcnt vmcnt(46)
	v_add_f64 v[22:23], v[22:23], -v[170:171]
	ds_read2_b64 v[170:173], v204 offset0:64 offset1:65
	v_add_f64 v[20:21], v[20:21], -v[30:31]
	;; [unrolled: 9-line block ×3, first 2 shown]
	s_waitcnt lgkmcnt(0)
	v_mul_f64 v[30:31], v[172:173], v[168:169]
	v_fma_f64 v[30:31], v[170:171], v[28:29], -v[30:31]
	v_mul_f64 v[170:171], v[170:171], v[168:169]
	v_fmac_f64_e32 v[170:171], v[172:173], v[28:29]
	v_add_f64 v[14:15], v[14:15], -v[170:171]
	ds_read2_b64 v[170:173], v204 offset0:68 offset1:69
	v_add_f64 v[12:13], v[12:13], -v[30:31]
	s_waitcnt lgkmcnt(0)
	v_mul_f64 v[30:31], v[172:173], v[168:169]
	v_fma_f64 v[30:31], v[170:171], v[28:29], -v[30:31]
	v_mul_f64 v[170:171], v[170:171], v[168:169]
	v_fmac_f64_e32 v[170:171], v[172:173], v[28:29]
	s_waitcnt vmcnt(32)
	v_add_f64 v[10:11], v[10:11], -v[170:171]
	ds_read2_b64 v[170:173], v204 offset0:70 offset1:71
	v_add_f64 v[8:9], v[8:9], -v[30:31]
	s_waitcnt lgkmcnt(0)
	v_mul_f64 v[30:31], v[172:173], v[168:169]
	v_fma_f64 v[30:31], v[170:171], v[28:29], -v[30:31]
	v_mul_f64 v[170:171], v[170:171], v[168:169]
	v_fmac_f64_e32 v[170:171], v[172:173], v[28:29]
	s_waitcnt vmcnt(31)
	v_add_f64 v[6:7], v[6:7], -v[170:171]
	ds_read2_b64 v[170:173], v204 offset0:72 offset1:73
	v_add_f64 v[4:5], v[4:5], -v[30:31]
	s_waitcnt lgkmcnt(0)
	v_mul_f64 v[30:31], v[172:173], v[168:169]
	v_fma_f64 v[30:31], v[170:171], v[28:29], -v[30:31]
	v_mul_f64 v[170:171], v[170:171], v[168:169]
	v_fmac_f64_e32 v[170:171], v[172:173], v[28:29]
	v_add_f64 v[2:3], v[2:3], -v[170:171]
	ds_read2_b64 v[170:173], v204 offset0:74 offset1:75
	v_add_f64 v[0:1], v[0:1], -v[30:31]
	s_waitcnt lgkmcnt(0)
	v_mul_f64 v[30:31], v[172:173], v[168:169]
	v_fma_f64 v[30:31], v[170:171], v[28:29], -v[30:31]
	v_mul_f64 v[170:171], v[170:171], v[168:169]
	v_fmac_f64_e32 v[170:171], v[172:173], v[28:29]
	s_waitcnt vmcnt(30)
	v_add_f64 v[148:149], v[148:149], -v[30:31]
	v_add_f64 v[150:151], v[150:151], -v[170:171]
	v_mov_b64_e32 v[30:31], v[168:169]
.LBB75_271:
	s_or_b64 exec, exec, s[2:3]
	v_cmp_eq_u32_e32 vcc, 30, v202
	s_waitcnt lgkmcnt(0)
	s_barrier
	s_and_saveexec_b64 s[4:5], vcc
	s_cbranch_execz .LBB75_278
; %bb.272:
	s_waitcnt vmcnt(47)
	ds_write2_b64 v203, v[24:25], v[26:27] offset1:1
	s_waitcnt vmcnt(46)
	ds_write2_b64 v204, v[20:21], v[22:23] offset0:62 offset1:63
	s_waitcnt vmcnt(34)
	ds_write2_b64 v204, v[16:17], v[18:19] offset0:64 offset1:65
	ds_write2_b64 v204, v[12:13], v[14:15] offset0:66 offset1:67
	s_waitcnt vmcnt(32)
	ds_write2_b64 v204, v[8:9], v[10:11] offset0:68 offset1:69
	s_waitcnt vmcnt(31)
	ds_write2_b64 v204, v[4:5], v[6:7] offset0:70 offset1:71
	ds_write2_b64 v204, v[0:1], v[2:3] offset0:72 offset1:73
	s_waitcnt vmcnt(30)
	ds_write2_b64 v204, v[148:149], v[150:151] offset0:74 offset1:75
	ds_read2_b64 v[168:171], v203 offset1:1
	s_waitcnt lgkmcnt(0)
	v_cmp_neq_f64_e32 vcc, 0, v[168:169]
	v_cmp_neq_f64_e64 s[2:3], 0, v[170:171]
	s_or_b64 s[2:3], vcc, s[2:3]
	s_and_b64 exec, exec, s[2:3]
	s_cbranch_execz .LBB75_278
; %bb.273:
	v_cmp_ngt_f64_e64 s[2:3], |v[168:169]|, |v[170:171]|
                                        ; implicit-def: $vgpr172_vgpr173
	s_and_saveexec_b64 s[10:11], s[2:3]
	s_xor_b64 s[2:3], exec, s[10:11]
                                        ; implicit-def: $vgpr174_vgpr175
	s_cbranch_execz .LBB75_275
; %bb.274:
	v_div_scale_f64 v[172:173], s[10:11], v[170:171], v[170:171], v[168:169]
	v_rcp_f64_e32 v[174:175], v[172:173]
	v_div_scale_f64 v[176:177], vcc, v[168:169], v[170:171], v[168:169]
	v_fma_f64 v[178:179], -v[172:173], v[174:175], 1.0
	v_fmac_f64_e32 v[174:175], v[174:175], v[178:179]
	v_fma_f64 v[178:179], -v[172:173], v[174:175], 1.0
	v_fmac_f64_e32 v[174:175], v[174:175], v[178:179]
	v_mul_f64 v[178:179], v[176:177], v[174:175]
	v_fma_f64 v[172:173], -v[172:173], v[178:179], v[176:177]
	v_div_fmas_f64 v[172:173], v[172:173], v[174:175], v[178:179]
	v_div_fixup_f64 v[172:173], v[172:173], v[170:171], v[168:169]
	v_fmac_f64_e32 v[170:171], v[168:169], v[172:173]
	v_div_scale_f64 v[168:169], s[10:11], v[170:171], v[170:171], 1.0
	v_rcp_f64_e32 v[174:175], v[168:169]
	s_nop 0
	v_fma_f64 v[176:177], -v[168:169], v[174:175], 1.0
	v_fmac_f64_e32 v[174:175], v[174:175], v[176:177]
	v_fma_f64 v[176:177], -v[168:169], v[174:175], 1.0
	v_fmac_f64_e32 v[174:175], v[174:175], v[176:177]
	v_div_scale_f64 v[176:177], vcc, 1.0, v[170:171], 1.0
	v_mul_f64 v[178:179], v[176:177], v[174:175]
	v_fma_f64 v[168:169], -v[168:169], v[178:179], v[176:177]
	s_nop 1
	v_div_fmas_f64 v[168:169], v[168:169], v[174:175], v[178:179]
	v_div_fixup_f64 v[174:175], v[168:169], v[170:171], 1.0
	v_mul_f64 v[172:173], v[172:173], v[174:175]
	v_xor_b32_e32 v175, 0x80000000, v175
                                        ; implicit-def: $vgpr168_vgpr169
.LBB75_275:
	s_andn2_saveexec_b64 s[2:3], s[2:3]
	s_cbranch_execz .LBB75_277
; %bb.276:
	v_div_scale_f64 v[172:173], s[10:11], v[168:169], v[168:169], v[170:171]
	v_rcp_f64_e32 v[174:175], v[172:173]
	v_div_scale_f64 v[176:177], vcc, v[170:171], v[168:169], v[170:171]
	v_fma_f64 v[178:179], -v[172:173], v[174:175], 1.0
	v_fmac_f64_e32 v[174:175], v[174:175], v[178:179]
	v_fma_f64 v[178:179], -v[172:173], v[174:175], 1.0
	v_fmac_f64_e32 v[174:175], v[174:175], v[178:179]
	v_mul_f64 v[178:179], v[176:177], v[174:175]
	v_fma_f64 v[172:173], -v[172:173], v[178:179], v[176:177]
	v_div_fmas_f64 v[172:173], v[172:173], v[174:175], v[178:179]
	v_div_fixup_f64 v[174:175], v[172:173], v[168:169], v[170:171]
	v_fmac_f64_e32 v[168:169], v[170:171], v[174:175]
	v_div_scale_f64 v[170:171], s[10:11], v[168:169], v[168:169], 1.0
	v_rcp_f64_e32 v[172:173], v[170:171]
	s_nop 0
	v_fma_f64 v[176:177], -v[170:171], v[172:173], 1.0
	v_fmac_f64_e32 v[172:173], v[172:173], v[176:177]
	v_fma_f64 v[176:177], -v[170:171], v[172:173], 1.0
	v_fmac_f64_e32 v[172:173], v[172:173], v[176:177]
	v_div_scale_f64 v[176:177], vcc, 1.0, v[168:169], 1.0
	v_mul_f64 v[178:179], v[176:177], v[172:173]
	v_fma_f64 v[170:171], -v[170:171], v[178:179], v[176:177]
	s_nop 1
	v_div_fmas_f64 v[170:171], v[170:171], v[172:173], v[178:179]
	v_div_fixup_f64 v[172:173], v[170:171], v[168:169], 1.0
	v_mul_f64 v[174:175], v[174:175], -v[172:173]
.LBB75_277:
	s_or_b64 exec, exec, s[2:3]
	ds_write2_b64 v203, v[172:173], v[174:175] offset1:1
.LBB75_278:
	s_or_b64 exec, exec, s[4:5]
	s_waitcnt lgkmcnt(0)
	s_barrier
	ds_read2_b64 v[168:171], v203 offset1:1
	v_cmp_lt_u32_e32 vcc, 30, v202
	s_and_saveexec_b64 s[2:3], vcc
	s_cbranch_execz .LBB75_280
; %bb.279:
	ds_read2_b64 v[174:177], v204 offset0:62 offset1:63
	s_waitcnt vmcnt(47) lgkmcnt(1)
	v_mul_f64 v[172:173], v[168:169], v[26:27]
	v_fmac_f64_e32 v[172:173], v[170:171], v[24:25]
	v_mul_f64 v[26:27], v[170:171], v[26:27]
	v_fma_f64 v[24:25], v[168:169], v[24:25], -v[26:27]
	s_waitcnt lgkmcnt(0)
	v_mul_f64 v[26:27], v[176:177], v[172:173]
	v_fma_f64 v[26:27], v[174:175], v[24:25], -v[26:27]
	v_mul_f64 v[174:175], v[174:175], v[172:173]
	v_fmac_f64_e32 v[174:175], v[176:177], v[24:25]
	s_waitcnt vmcnt(46)
	v_add_f64 v[22:23], v[22:23], -v[174:175]
	ds_read2_b64 v[174:177], v204 offset0:64 offset1:65
	v_add_f64 v[20:21], v[20:21], -v[26:27]
	s_waitcnt lgkmcnt(0)
	v_mul_f64 v[26:27], v[176:177], v[172:173]
	v_fma_f64 v[26:27], v[174:175], v[24:25], -v[26:27]
	v_mul_f64 v[174:175], v[174:175], v[172:173]
	v_fmac_f64_e32 v[174:175], v[176:177], v[24:25]
	s_waitcnt vmcnt(34)
	v_add_f64 v[18:19], v[18:19], -v[174:175]
	ds_read2_b64 v[174:177], v204 offset0:66 offset1:67
	v_add_f64 v[16:17], v[16:17], -v[26:27]
	s_waitcnt lgkmcnt(0)
	v_mul_f64 v[26:27], v[176:177], v[172:173]
	v_fma_f64 v[26:27], v[174:175], v[24:25], -v[26:27]
	v_mul_f64 v[174:175], v[174:175], v[172:173]
	v_fmac_f64_e32 v[174:175], v[176:177], v[24:25]
	v_add_f64 v[14:15], v[14:15], -v[174:175]
	ds_read2_b64 v[174:177], v204 offset0:68 offset1:69
	v_add_f64 v[12:13], v[12:13], -v[26:27]
	s_waitcnt lgkmcnt(0)
	v_mul_f64 v[26:27], v[176:177], v[172:173]
	v_fma_f64 v[26:27], v[174:175], v[24:25], -v[26:27]
	v_mul_f64 v[174:175], v[174:175], v[172:173]
	v_fmac_f64_e32 v[174:175], v[176:177], v[24:25]
	s_waitcnt vmcnt(32)
	v_add_f64 v[10:11], v[10:11], -v[174:175]
	ds_read2_b64 v[174:177], v204 offset0:70 offset1:71
	v_add_f64 v[8:9], v[8:9], -v[26:27]
	s_waitcnt lgkmcnt(0)
	v_mul_f64 v[26:27], v[176:177], v[172:173]
	v_fma_f64 v[26:27], v[174:175], v[24:25], -v[26:27]
	v_mul_f64 v[174:175], v[174:175], v[172:173]
	v_fmac_f64_e32 v[174:175], v[176:177], v[24:25]
	s_waitcnt vmcnt(31)
	v_add_f64 v[6:7], v[6:7], -v[174:175]
	ds_read2_b64 v[174:177], v204 offset0:72 offset1:73
	v_add_f64 v[4:5], v[4:5], -v[26:27]
	s_waitcnt lgkmcnt(0)
	v_mul_f64 v[26:27], v[176:177], v[172:173]
	v_fma_f64 v[26:27], v[174:175], v[24:25], -v[26:27]
	v_mul_f64 v[174:175], v[174:175], v[172:173]
	v_fmac_f64_e32 v[174:175], v[176:177], v[24:25]
	v_add_f64 v[2:3], v[2:3], -v[174:175]
	ds_read2_b64 v[174:177], v204 offset0:74 offset1:75
	v_add_f64 v[0:1], v[0:1], -v[26:27]
	s_waitcnt lgkmcnt(0)
	v_mul_f64 v[26:27], v[176:177], v[172:173]
	v_fma_f64 v[26:27], v[174:175], v[24:25], -v[26:27]
	v_mul_f64 v[174:175], v[174:175], v[172:173]
	v_fmac_f64_e32 v[174:175], v[176:177], v[24:25]
	s_waitcnt vmcnt(30)
	v_add_f64 v[148:149], v[148:149], -v[26:27]
	v_add_f64 v[150:151], v[150:151], -v[174:175]
	v_mov_b64_e32 v[26:27], v[172:173]
.LBB75_280:
	s_or_b64 exec, exec, s[2:3]
	v_cmp_eq_u32_e32 vcc, 31, v202
	s_waitcnt lgkmcnt(0)
	s_barrier
	s_and_saveexec_b64 s[4:5], vcc
	s_cbranch_execz .LBB75_287
; %bb.281:
	s_waitcnt vmcnt(46)
	ds_write2_b64 v203, v[20:21], v[22:23] offset1:1
	s_waitcnt vmcnt(34)
	ds_write2_b64 v204, v[16:17], v[18:19] offset0:64 offset1:65
	ds_write2_b64 v204, v[12:13], v[14:15] offset0:66 offset1:67
	s_waitcnt vmcnt(32)
	ds_write2_b64 v204, v[8:9], v[10:11] offset0:68 offset1:69
	s_waitcnt vmcnt(31)
	ds_write2_b64 v204, v[4:5], v[6:7] offset0:70 offset1:71
	ds_write2_b64 v204, v[0:1], v[2:3] offset0:72 offset1:73
	s_waitcnt vmcnt(30)
	ds_write2_b64 v204, v[148:149], v[150:151] offset0:74 offset1:75
	ds_read2_b64 v[172:175], v203 offset1:1
	s_waitcnt lgkmcnt(0)
	v_cmp_neq_f64_e32 vcc, 0, v[172:173]
	v_cmp_neq_f64_e64 s[2:3], 0, v[174:175]
	s_or_b64 s[2:3], vcc, s[2:3]
	s_and_b64 exec, exec, s[2:3]
	s_cbranch_execz .LBB75_287
; %bb.282:
	v_cmp_ngt_f64_e64 s[2:3], |v[172:173]|, |v[174:175]|
                                        ; implicit-def: $vgpr176_vgpr177
	s_and_saveexec_b64 s[10:11], s[2:3]
	s_xor_b64 s[2:3], exec, s[10:11]
                                        ; implicit-def: $vgpr178_vgpr179
	s_cbranch_execz .LBB75_284
; %bb.283:
	v_div_scale_f64 v[176:177], s[10:11], v[174:175], v[174:175], v[172:173]
	v_rcp_f64_e32 v[178:179], v[176:177]
	v_div_scale_f64 v[180:181], vcc, v[172:173], v[174:175], v[172:173]
	v_fma_f64 v[182:183], -v[176:177], v[178:179], 1.0
	v_fmac_f64_e32 v[178:179], v[178:179], v[182:183]
	v_fma_f64 v[182:183], -v[176:177], v[178:179], 1.0
	v_fmac_f64_e32 v[178:179], v[178:179], v[182:183]
	v_mul_f64 v[182:183], v[180:181], v[178:179]
	v_fma_f64 v[176:177], -v[176:177], v[182:183], v[180:181]
	v_div_fmas_f64 v[176:177], v[176:177], v[178:179], v[182:183]
	v_div_fixup_f64 v[176:177], v[176:177], v[174:175], v[172:173]
	v_fmac_f64_e32 v[174:175], v[172:173], v[176:177]
	v_div_scale_f64 v[172:173], s[10:11], v[174:175], v[174:175], 1.0
	v_rcp_f64_e32 v[178:179], v[172:173]
	s_nop 0
	v_fma_f64 v[180:181], -v[172:173], v[178:179], 1.0
	v_fmac_f64_e32 v[178:179], v[178:179], v[180:181]
	v_fma_f64 v[180:181], -v[172:173], v[178:179], 1.0
	v_fmac_f64_e32 v[178:179], v[178:179], v[180:181]
	v_div_scale_f64 v[180:181], vcc, 1.0, v[174:175], 1.0
	v_mul_f64 v[182:183], v[180:181], v[178:179]
	v_fma_f64 v[172:173], -v[172:173], v[182:183], v[180:181]
	s_nop 1
	v_div_fmas_f64 v[172:173], v[172:173], v[178:179], v[182:183]
	v_div_fixup_f64 v[178:179], v[172:173], v[174:175], 1.0
	v_mul_f64 v[176:177], v[176:177], v[178:179]
	v_xor_b32_e32 v179, 0x80000000, v179
                                        ; implicit-def: $vgpr172_vgpr173
.LBB75_284:
	s_andn2_saveexec_b64 s[2:3], s[2:3]
	s_cbranch_execz .LBB75_286
; %bb.285:
	v_div_scale_f64 v[176:177], s[10:11], v[172:173], v[172:173], v[174:175]
	v_rcp_f64_e32 v[178:179], v[176:177]
	v_div_scale_f64 v[180:181], vcc, v[174:175], v[172:173], v[174:175]
	v_fma_f64 v[182:183], -v[176:177], v[178:179], 1.0
	v_fmac_f64_e32 v[178:179], v[178:179], v[182:183]
	v_fma_f64 v[182:183], -v[176:177], v[178:179], 1.0
	v_fmac_f64_e32 v[178:179], v[178:179], v[182:183]
	v_mul_f64 v[182:183], v[180:181], v[178:179]
	v_fma_f64 v[176:177], -v[176:177], v[182:183], v[180:181]
	v_div_fmas_f64 v[176:177], v[176:177], v[178:179], v[182:183]
	v_div_fixup_f64 v[178:179], v[176:177], v[172:173], v[174:175]
	v_fmac_f64_e32 v[172:173], v[174:175], v[178:179]
	v_div_scale_f64 v[174:175], s[10:11], v[172:173], v[172:173], 1.0
	v_rcp_f64_e32 v[176:177], v[174:175]
	s_nop 0
	v_fma_f64 v[180:181], -v[174:175], v[176:177], 1.0
	v_fmac_f64_e32 v[176:177], v[176:177], v[180:181]
	v_fma_f64 v[180:181], -v[174:175], v[176:177], 1.0
	v_fmac_f64_e32 v[176:177], v[176:177], v[180:181]
	v_div_scale_f64 v[180:181], vcc, 1.0, v[172:173], 1.0
	v_mul_f64 v[182:183], v[180:181], v[176:177]
	v_fma_f64 v[174:175], -v[174:175], v[182:183], v[180:181]
	s_nop 1
	v_div_fmas_f64 v[174:175], v[174:175], v[176:177], v[182:183]
	v_div_fixup_f64 v[176:177], v[174:175], v[172:173], 1.0
	v_mul_f64 v[178:179], v[178:179], -v[176:177]
.LBB75_286:
	s_or_b64 exec, exec, s[2:3]
	ds_write2_b64 v203, v[176:177], v[178:179] offset1:1
.LBB75_287:
	s_or_b64 exec, exec, s[4:5]
	s_waitcnt lgkmcnt(0)
	s_barrier
	ds_read2_b64 v[172:175], v203 offset1:1
	v_cmp_lt_u32_e32 vcc, 31, v202
	s_and_saveexec_b64 s[2:3], vcc
	s_cbranch_execz .LBB75_289
; %bb.288:
	ds_read2_b64 v[176:179], v204 offset0:64 offset1:65
	s_waitcnt vmcnt(46) lgkmcnt(1)
	v_mul_f64 v[180:181], v[172:173], v[22:23]
	v_fmac_f64_e32 v[180:181], v[174:175], v[20:21]
	v_mul_f64 v[22:23], v[174:175], v[22:23]
	v_fma_f64 v[20:21], v[172:173], v[20:21], -v[22:23]
	s_waitcnt lgkmcnt(0)
	v_mul_f64 v[22:23], v[178:179], v[180:181]
	v_fma_f64 v[22:23], v[176:177], v[20:21], -v[22:23]
	v_mul_f64 v[176:177], v[176:177], v[180:181]
	v_fmac_f64_e32 v[176:177], v[178:179], v[20:21]
	s_waitcnt vmcnt(34)
	v_add_f64 v[18:19], v[18:19], -v[176:177]
	ds_read2_b64 v[176:179], v204 offset0:66 offset1:67
	v_add_f64 v[16:17], v[16:17], -v[22:23]
	s_waitcnt lgkmcnt(0)
	v_mul_f64 v[22:23], v[178:179], v[180:181]
	v_fma_f64 v[22:23], v[176:177], v[20:21], -v[22:23]
	v_mul_f64 v[176:177], v[176:177], v[180:181]
	v_fmac_f64_e32 v[176:177], v[178:179], v[20:21]
	v_add_f64 v[14:15], v[14:15], -v[176:177]
	ds_read2_b64 v[176:179], v204 offset0:68 offset1:69
	v_add_f64 v[12:13], v[12:13], -v[22:23]
	s_waitcnt lgkmcnt(0)
	v_mul_f64 v[22:23], v[178:179], v[180:181]
	v_fma_f64 v[22:23], v[176:177], v[20:21], -v[22:23]
	v_mul_f64 v[176:177], v[176:177], v[180:181]
	v_fmac_f64_e32 v[176:177], v[178:179], v[20:21]
	s_waitcnt vmcnt(32)
	v_add_f64 v[10:11], v[10:11], -v[176:177]
	ds_read2_b64 v[176:179], v204 offset0:70 offset1:71
	v_add_f64 v[8:9], v[8:9], -v[22:23]
	s_waitcnt lgkmcnt(0)
	v_mul_f64 v[22:23], v[178:179], v[180:181]
	v_fma_f64 v[22:23], v[176:177], v[20:21], -v[22:23]
	v_mul_f64 v[176:177], v[176:177], v[180:181]
	v_fmac_f64_e32 v[176:177], v[178:179], v[20:21]
	s_waitcnt vmcnt(31)
	v_add_f64 v[6:7], v[6:7], -v[176:177]
	ds_read2_b64 v[176:179], v204 offset0:72 offset1:73
	v_add_f64 v[4:5], v[4:5], -v[22:23]
	s_waitcnt lgkmcnt(0)
	v_mul_f64 v[22:23], v[178:179], v[180:181]
	v_fma_f64 v[22:23], v[176:177], v[20:21], -v[22:23]
	v_mul_f64 v[176:177], v[176:177], v[180:181]
	v_fmac_f64_e32 v[176:177], v[178:179], v[20:21]
	v_add_f64 v[2:3], v[2:3], -v[176:177]
	ds_read2_b64 v[176:179], v204 offset0:74 offset1:75
	v_add_f64 v[0:1], v[0:1], -v[22:23]
	s_waitcnt lgkmcnt(0)
	v_mul_f64 v[22:23], v[178:179], v[180:181]
	v_fma_f64 v[22:23], v[176:177], v[20:21], -v[22:23]
	v_mul_f64 v[176:177], v[176:177], v[180:181]
	v_fmac_f64_e32 v[176:177], v[178:179], v[20:21]
	s_waitcnt vmcnt(30)
	v_add_f64 v[148:149], v[148:149], -v[22:23]
	v_add_f64 v[150:151], v[150:151], -v[176:177]
	v_mov_b64_e32 v[22:23], v[180:181]
.LBB75_289:
	s_or_b64 exec, exec, s[2:3]
	v_cmp_eq_u32_e32 vcc, 32, v202
	s_waitcnt lgkmcnt(0)
	s_barrier
	s_and_saveexec_b64 s[4:5], vcc
	s_cbranch_execz .LBB75_296
; %bb.290:
	s_waitcnt vmcnt(34)
	ds_write2_b64 v203, v[16:17], v[18:19] offset1:1
	ds_write2_b64 v204, v[12:13], v[14:15] offset0:66 offset1:67
	s_waitcnt vmcnt(32)
	ds_write2_b64 v204, v[8:9], v[10:11] offset0:68 offset1:69
	s_waitcnt vmcnt(31)
	ds_write2_b64 v204, v[4:5], v[6:7] offset0:70 offset1:71
	ds_write2_b64 v204, v[0:1], v[2:3] offset0:72 offset1:73
	s_waitcnt vmcnt(30)
	ds_write2_b64 v204, v[148:149], v[150:151] offset0:74 offset1:75
	ds_read2_b64 v[176:179], v203 offset1:1
	s_waitcnt lgkmcnt(0)
	v_cmp_neq_f64_e32 vcc, 0, v[176:177]
	v_cmp_neq_f64_e64 s[2:3], 0, v[178:179]
	s_or_b64 s[2:3], vcc, s[2:3]
	s_and_b64 exec, exec, s[2:3]
	s_cbranch_execz .LBB75_296
; %bb.291:
	v_cmp_ngt_f64_e64 s[2:3], |v[176:177]|, |v[178:179]|
                                        ; implicit-def: $vgpr180_vgpr181
	s_and_saveexec_b64 s[10:11], s[2:3]
	s_xor_b64 s[2:3], exec, s[10:11]
                                        ; implicit-def: $vgpr182_vgpr183
	s_cbranch_execz .LBB75_293
; %bb.292:
	v_div_scale_f64 v[180:181], s[10:11], v[178:179], v[178:179], v[176:177]
	v_rcp_f64_e32 v[182:183], v[180:181]
	v_div_scale_f64 v[184:185], vcc, v[176:177], v[178:179], v[176:177]
	v_fma_f64 v[186:187], -v[180:181], v[182:183], 1.0
	v_fmac_f64_e32 v[182:183], v[182:183], v[186:187]
	v_fma_f64 v[186:187], -v[180:181], v[182:183], 1.0
	v_fmac_f64_e32 v[182:183], v[182:183], v[186:187]
	v_mul_f64 v[186:187], v[184:185], v[182:183]
	v_fma_f64 v[180:181], -v[180:181], v[186:187], v[184:185]
	v_div_fmas_f64 v[180:181], v[180:181], v[182:183], v[186:187]
	v_div_fixup_f64 v[180:181], v[180:181], v[178:179], v[176:177]
	v_fmac_f64_e32 v[178:179], v[176:177], v[180:181]
	v_div_scale_f64 v[176:177], s[10:11], v[178:179], v[178:179], 1.0
	v_rcp_f64_e32 v[182:183], v[176:177]
	s_nop 0
	v_fma_f64 v[184:185], -v[176:177], v[182:183], 1.0
	v_fmac_f64_e32 v[182:183], v[182:183], v[184:185]
	v_fma_f64 v[184:185], -v[176:177], v[182:183], 1.0
	v_fmac_f64_e32 v[182:183], v[182:183], v[184:185]
	v_div_scale_f64 v[184:185], vcc, 1.0, v[178:179], 1.0
	v_mul_f64 v[186:187], v[184:185], v[182:183]
	v_fma_f64 v[176:177], -v[176:177], v[186:187], v[184:185]
	s_nop 1
	v_div_fmas_f64 v[176:177], v[176:177], v[182:183], v[186:187]
	v_div_fixup_f64 v[182:183], v[176:177], v[178:179], 1.0
	v_mul_f64 v[180:181], v[180:181], v[182:183]
	v_xor_b32_e32 v183, 0x80000000, v183
                                        ; implicit-def: $vgpr176_vgpr177
.LBB75_293:
	s_andn2_saveexec_b64 s[2:3], s[2:3]
	s_cbranch_execz .LBB75_295
; %bb.294:
	v_div_scale_f64 v[180:181], s[10:11], v[176:177], v[176:177], v[178:179]
	v_rcp_f64_e32 v[182:183], v[180:181]
	v_div_scale_f64 v[184:185], vcc, v[178:179], v[176:177], v[178:179]
	v_fma_f64 v[186:187], -v[180:181], v[182:183], 1.0
	v_fmac_f64_e32 v[182:183], v[182:183], v[186:187]
	v_fma_f64 v[186:187], -v[180:181], v[182:183], 1.0
	v_fmac_f64_e32 v[182:183], v[182:183], v[186:187]
	v_mul_f64 v[186:187], v[184:185], v[182:183]
	v_fma_f64 v[180:181], -v[180:181], v[186:187], v[184:185]
	v_div_fmas_f64 v[180:181], v[180:181], v[182:183], v[186:187]
	v_div_fixup_f64 v[182:183], v[180:181], v[176:177], v[178:179]
	v_fmac_f64_e32 v[176:177], v[178:179], v[182:183]
	v_div_scale_f64 v[178:179], s[10:11], v[176:177], v[176:177], 1.0
	v_rcp_f64_e32 v[180:181], v[178:179]
	s_nop 0
	v_fma_f64 v[184:185], -v[178:179], v[180:181], 1.0
	v_fmac_f64_e32 v[180:181], v[180:181], v[184:185]
	v_fma_f64 v[184:185], -v[178:179], v[180:181], 1.0
	v_fmac_f64_e32 v[180:181], v[180:181], v[184:185]
	v_div_scale_f64 v[184:185], vcc, 1.0, v[176:177], 1.0
	v_mul_f64 v[186:187], v[184:185], v[180:181]
	v_fma_f64 v[178:179], -v[178:179], v[186:187], v[184:185]
	s_nop 1
	v_div_fmas_f64 v[178:179], v[178:179], v[180:181], v[186:187]
	v_div_fixup_f64 v[180:181], v[178:179], v[176:177], 1.0
	v_mul_f64 v[182:183], v[182:183], -v[180:181]
.LBB75_295:
	s_or_b64 exec, exec, s[2:3]
	ds_write2_b64 v203, v[180:181], v[182:183] offset1:1
.LBB75_296:
	s_or_b64 exec, exec, s[4:5]
	s_waitcnt lgkmcnt(0)
	s_barrier
	ds_read2_b64 v[176:179], v203 offset1:1
	v_cmp_lt_u32_e32 vcc, 32, v202
	s_and_saveexec_b64 s[2:3], vcc
	s_cbranch_execz .LBB75_298
; %bb.297:
	ds_read2_b64 v[180:183], v204 offset0:66 offset1:67
	s_waitcnt vmcnt(34) lgkmcnt(1)
	v_mul_f64 v[184:185], v[176:177], v[18:19]
	v_fmac_f64_e32 v[184:185], v[178:179], v[16:17]
	v_mul_f64 v[18:19], v[178:179], v[18:19]
	v_fma_f64 v[16:17], v[176:177], v[16:17], -v[18:19]
	s_waitcnt lgkmcnt(0)
	v_mul_f64 v[18:19], v[182:183], v[184:185]
	v_fma_f64 v[18:19], v[180:181], v[16:17], -v[18:19]
	v_mul_f64 v[180:181], v[180:181], v[184:185]
	v_fmac_f64_e32 v[180:181], v[182:183], v[16:17]
	v_add_f64 v[14:15], v[14:15], -v[180:181]
	ds_read2_b64 v[180:183], v204 offset0:68 offset1:69
	v_add_f64 v[12:13], v[12:13], -v[18:19]
	s_waitcnt lgkmcnt(0)
	v_mul_f64 v[18:19], v[182:183], v[184:185]
	v_fma_f64 v[18:19], v[180:181], v[16:17], -v[18:19]
	v_mul_f64 v[180:181], v[180:181], v[184:185]
	v_fmac_f64_e32 v[180:181], v[182:183], v[16:17]
	s_waitcnt vmcnt(32)
	v_add_f64 v[10:11], v[10:11], -v[180:181]
	ds_read2_b64 v[180:183], v204 offset0:70 offset1:71
	v_add_f64 v[8:9], v[8:9], -v[18:19]
	s_waitcnt lgkmcnt(0)
	v_mul_f64 v[18:19], v[182:183], v[184:185]
	v_fma_f64 v[18:19], v[180:181], v[16:17], -v[18:19]
	v_mul_f64 v[180:181], v[180:181], v[184:185]
	v_fmac_f64_e32 v[180:181], v[182:183], v[16:17]
	s_waitcnt vmcnt(31)
	v_add_f64 v[6:7], v[6:7], -v[180:181]
	ds_read2_b64 v[180:183], v204 offset0:72 offset1:73
	v_add_f64 v[4:5], v[4:5], -v[18:19]
	s_waitcnt lgkmcnt(0)
	v_mul_f64 v[18:19], v[182:183], v[184:185]
	v_fma_f64 v[18:19], v[180:181], v[16:17], -v[18:19]
	v_mul_f64 v[180:181], v[180:181], v[184:185]
	v_fmac_f64_e32 v[180:181], v[182:183], v[16:17]
	v_add_f64 v[2:3], v[2:3], -v[180:181]
	ds_read2_b64 v[180:183], v204 offset0:74 offset1:75
	v_add_f64 v[0:1], v[0:1], -v[18:19]
	s_waitcnt lgkmcnt(0)
	v_mul_f64 v[18:19], v[182:183], v[184:185]
	v_fma_f64 v[18:19], v[180:181], v[16:17], -v[18:19]
	v_mul_f64 v[180:181], v[180:181], v[184:185]
	v_fmac_f64_e32 v[180:181], v[182:183], v[16:17]
	s_waitcnt vmcnt(30)
	v_add_f64 v[148:149], v[148:149], -v[18:19]
	v_add_f64 v[150:151], v[150:151], -v[180:181]
	v_mov_b64_e32 v[18:19], v[184:185]
.LBB75_298:
	s_or_b64 exec, exec, s[2:3]
	v_cmp_eq_u32_e32 vcc, 33, v202
	s_waitcnt lgkmcnt(0)
	s_barrier
	s_and_saveexec_b64 s[4:5], vcc
	s_cbranch_execz .LBB75_305
; %bb.299:
	s_waitcnt vmcnt(35)
	ds_write2_b64 v203, v[12:13], v[14:15] offset1:1
	s_waitcnt vmcnt(32)
	ds_write2_b64 v204, v[8:9], v[10:11] offset0:68 offset1:69
	s_waitcnt vmcnt(31)
	ds_write2_b64 v204, v[4:5], v[6:7] offset0:70 offset1:71
	ds_write2_b64 v204, v[0:1], v[2:3] offset0:72 offset1:73
	s_waitcnt vmcnt(30)
	ds_write2_b64 v204, v[148:149], v[150:151] offset0:74 offset1:75
	ds_read2_b64 v[180:183], v203 offset1:1
	s_waitcnt lgkmcnt(0)
	v_cmp_neq_f64_e32 vcc, 0, v[180:181]
	v_cmp_neq_f64_e64 s[2:3], 0, v[182:183]
	s_or_b64 s[2:3], vcc, s[2:3]
	s_and_b64 exec, exec, s[2:3]
	s_cbranch_execz .LBB75_305
; %bb.300:
	v_cmp_ngt_f64_e64 s[2:3], |v[180:181]|, |v[182:183]|
                                        ; implicit-def: $vgpr184_vgpr185
	s_and_saveexec_b64 s[10:11], s[2:3]
	s_xor_b64 s[2:3], exec, s[10:11]
                                        ; implicit-def: $vgpr186_vgpr187
	s_cbranch_execz .LBB75_302
; %bb.301:
	v_div_scale_f64 v[184:185], s[10:11], v[182:183], v[182:183], v[180:181]
	v_rcp_f64_e32 v[186:187], v[184:185]
	v_div_scale_f64 v[188:189], vcc, v[180:181], v[182:183], v[180:181]
	v_fma_f64 v[190:191], -v[184:185], v[186:187], 1.0
	v_fmac_f64_e32 v[186:187], v[186:187], v[190:191]
	v_fma_f64 v[190:191], -v[184:185], v[186:187], 1.0
	v_fmac_f64_e32 v[186:187], v[186:187], v[190:191]
	v_mul_f64 v[190:191], v[188:189], v[186:187]
	v_fma_f64 v[184:185], -v[184:185], v[190:191], v[188:189]
	v_div_fmas_f64 v[184:185], v[184:185], v[186:187], v[190:191]
	v_div_fixup_f64 v[184:185], v[184:185], v[182:183], v[180:181]
	v_fmac_f64_e32 v[182:183], v[180:181], v[184:185]
	v_div_scale_f64 v[180:181], s[10:11], v[182:183], v[182:183], 1.0
	v_rcp_f64_e32 v[186:187], v[180:181]
	s_nop 0
	v_fma_f64 v[188:189], -v[180:181], v[186:187], 1.0
	v_fmac_f64_e32 v[186:187], v[186:187], v[188:189]
	v_fma_f64 v[188:189], -v[180:181], v[186:187], 1.0
	v_fmac_f64_e32 v[186:187], v[186:187], v[188:189]
	v_div_scale_f64 v[188:189], vcc, 1.0, v[182:183], 1.0
	v_mul_f64 v[190:191], v[188:189], v[186:187]
	v_fma_f64 v[180:181], -v[180:181], v[190:191], v[188:189]
	s_nop 1
	v_div_fmas_f64 v[180:181], v[180:181], v[186:187], v[190:191]
	v_div_fixup_f64 v[186:187], v[180:181], v[182:183], 1.0
	v_mul_f64 v[184:185], v[184:185], v[186:187]
	v_xor_b32_e32 v187, 0x80000000, v187
                                        ; implicit-def: $vgpr180_vgpr181
.LBB75_302:
	s_andn2_saveexec_b64 s[2:3], s[2:3]
	s_cbranch_execz .LBB75_304
; %bb.303:
	v_div_scale_f64 v[184:185], s[10:11], v[180:181], v[180:181], v[182:183]
	v_rcp_f64_e32 v[186:187], v[184:185]
	v_div_scale_f64 v[188:189], vcc, v[182:183], v[180:181], v[182:183]
	v_fma_f64 v[190:191], -v[184:185], v[186:187], 1.0
	v_fmac_f64_e32 v[186:187], v[186:187], v[190:191]
	v_fma_f64 v[190:191], -v[184:185], v[186:187], 1.0
	v_fmac_f64_e32 v[186:187], v[186:187], v[190:191]
	v_mul_f64 v[190:191], v[188:189], v[186:187]
	v_fma_f64 v[184:185], -v[184:185], v[190:191], v[188:189]
	v_div_fmas_f64 v[184:185], v[184:185], v[186:187], v[190:191]
	v_div_fixup_f64 v[186:187], v[184:185], v[180:181], v[182:183]
	v_fmac_f64_e32 v[180:181], v[182:183], v[186:187]
	v_div_scale_f64 v[182:183], s[10:11], v[180:181], v[180:181], 1.0
	v_rcp_f64_e32 v[184:185], v[182:183]
	s_nop 0
	v_fma_f64 v[188:189], -v[182:183], v[184:185], 1.0
	v_fmac_f64_e32 v[184:185], v[184:185], v[188:189]
	v_fma_f64 v[188:189], -v[182:183], v[184:185], 1.0
	v_fmac_f64_e32 v[184:185], v[184:185], v[188:189]
	v_div_scale_f64 v[188:189], vcc, 1.0, v[180:181], 1.0
	v_mul_f64 v[190:191], v[188:189], v[184:185]
	v_fma_f64 v[182:183], -v[182:183], v[190:191], v[188:189]
	s_nop 1
	v_div_fmas_f64 v[182:183], v[182:183], v[184:185], v[190:191]
	v_div_fixup_f64 v[184:185], v[182:183], v[180:181], 1.0
	v_mul_f64 v[186:187], v[186:187], -v[184:185]
.LBB75_304:
	s_or_b64 exec, exec, s[2:3]
	ds_write2_b64 v203, v[184:185], v[186:187] offset1:1
.LBB75_305:
	s_or_b64 exec, exec, s[4:5]
	s_waitcnt lgkmcnt(0)
	s_barrier
	ds_read2_b64 v[180:183], v203 offset1:1
	v_cmp_lt_u32_e32 vcc, 33, v202
	s_and_saveexec_b64 s[2:3], vcc
	s_cbranch_execz .LBB75_307
; %bb.306:
	ds_read2_b64 v[184:187], v204 offset0:68 offset1:69
	s_waitcnt vmcnt(35) lgkmcnt(1)
	v_mul_f64 v[188:189], v[180:181], v[14:15]
	v_fmac_f64_e32 v[188:189], v[182:183], v[12:13]
	v_mul_f64 v[14:15], v[182:183], v[14:15]
	v_fma_f64 v[12:13], v[180:181], v[12:13], -v[14:15]
	s_waitcnt lgkmcnt(0)
	v_mul_f64 v[14:15], v[186:187], v[188:189]
	v_fma_f64 v[14:15], v[184:185], v[12:13], -v[14:15]
	v_mul_f64 v[184:185], v[184:185], v[188:189]
	v_fmac_f64_e32 v[184:185], v[186:187], v[12:13]
	s_waitcnt vmcnt(32)
	v_add_f64 v[10:11], v[10:11], -v[184:185]
	ds_read2_b64 v[184:187], v204 offset0:70 offset1:71
	v_add_f64 v[8:9], v[8:9], -v[14:15]
	s_waitcnt lgkmcnt(0)
	v_mul_f64 v[14:15], v[186:187], v[188:189]
	v_fma_f64 v[14:15], v[184:185], v[12:13], -v[14:15]
	v_mul_f64 v[184:185], v[184:185], v[188:189]
	v_fmac_f64_e32 v[184:185], v[186:187], v[12:13]
	s_waitcnt vmcnt(31)
	v_add_f64 v[6:7], v[6:7], -v[184:185]
	ds_read2_b64 v[184:187], v204 offset0:72 offset1:73
	v_add_f64 v[4:5], v[4:5], -v[14:15]
	s_waitcnt lgkmcnt(0)
	v_mul_f64 v[14:15], v[186:187], v[188:189]
	v_fma_f64 v[14:15], v[184:185], v[12:13], -v[14:15]
	v_mul_f64 v[184:185], v[184:185], v[188:189]
	v_fmac_f64_e32 v[184:185], v[186:187], v[12:13]
	v_add_f64 v[2:3], v[2:3], -v[184:185]
	ds_read2_b64 v[184:187], v204 offset0:74 offset1:75
	v_add_f64 v[0:1], v[0:1], -v[14:15]
	s_waitcnt lgkmcnt(0)
	v_mul_f64 v[14:15], v[186:187], v[188:189]
	v_fma_f64 v[14:15], v[184:185], v[12:13], -v[14:15]
	v_mul_f64 v[184:185], v[184:185], v[188:189]
	v_fmac_f64_e32 v[184:185], v[186:187], v[12:13]
	s_waitcnt vmcnt(30)
	v_add_f64 v[148:149], v[148:149], -v[14:15]
	v_add_f64 v[150:151], v[150:151], -v[184:185]
	v_mov_b64_e32 v[14:15], v[188:189]
.LBB75_307:
	s_or_b64 exec, exec, s[2:3]
	v_cmp_eq_u32_e32 vcc, 34, v202
	s_waitcnt lgkmcnt(0)
	s_barrier
	s_and_saveexec_b64 s[4:5], vcc
	s_cbranch_execz .LBB75_314
; %bb.308:
	s_waitcnt vmcnt(32)
	ds_write2_b64 v203, v[8:9], v[10:11] offset1:1
	s_waitcnt vmcnt(31)
	ds_write2_b64 v204, v[4:5], v[6:7] offset0:70 offset1:71
	ds_write2_b64 v204, v[0:1], v[2:3] offset0:72 offset1:73
	s_waitcnt vmcnt(30)
	ds_write2_b64 v204, v[148:149], v[150:151] offset0:74 offset1:75
	ds_read2_b64 v[184:187], v203 offset1:1
	s_waitcnt lgkmcnt(0)
	v_cmp_neq_f64_e32 vcc, 0, v[184:185]
	v_cmp_neq_f64_e64 s[2:3], 0, v[186:187]
	s_or_b64 s[2:3], vcc, s[2:3]
	s_and_b64 exec, exec, s[2:3]
	s_cbranch_execz .LBB75_314
; %bb.309:
	v_cmp_ngt_f64_e64 s[2:3], |v[184:185]|, |v[186:187]|
                                        ; implicit-def: $vgpr188_vgpr189
	s_and_saveexec_b64 s[10:11], s[2:3]
	s_xor_b64 s[2:3], exec, s[10:11]
                                        ; implicit-def: $vgpr190_vgpr191
	s_cbranch_execz .LBB75_311
; %bb.310:
	v_div_scale_f64 v[188:189], s[10:11], v[186:187], v[186:187], v[184:185]
	v_rcp_f64_e32 v[190:191], v[188:189]
	v_div_scale_f64 v[192:193], vcc, v[184:185], v[186:187], v[184:185]
	v_fma_f64 v[194:195], -v[188:189], v[190:191], 1.0
	v_fmac_f64_e32 v[190:191], v[190:191], v[194:195]
	v_fma_f64 v[194:195], -v[188:189], v[190:191], 1.0
	v_fmac_f64_e32 v[190:191], v[190:191], v[194:195]
	v_mul_f64 v[194:195], v[192:193], v[190:191]
	v_fma_f64 v[188:189], -v[188:189], v[194:195], v[192:193]
	v_div_fmas_f64 v[188:189], v[188:189], v[190:191], v[194:195]
	v_div_fixup_f64 v[188:189], v[188:189], v[186:187], v[184:185]
	v_fmac_f64_e32 v[186:187], v[184:185], v[188:189]
	v_div_scale_f64 v[184:185], s[10:11], v[186:187], v[186:187], 1.0
	v_rcp_f64_e32 v[190:191], v[184:185]
	s_nop 0
	v_fma_f64 v[192:193], -v[184:185], v[190:191], 1.0
	v_fmac_f64_e32 v[190:191], v[190:191], v[192:193]
	v_fma_f64 v[192:193], -v[184:185], v[190:191], 1.0
	v_fmac_f64_e32 v[190:191], v[190:191], v[192:193]
	v_div_scale_f64 v[192:193], vcc, 1.0, v[186:187], 1.0
	v_mul_f64 v[194:195], v[192:193], v[190:191]
	v_fma_f64 v[184:185], -v[184:185], v[194:195], v[192:193]
	s_nop 1
	v_div_fmas_f64 v[184:185], v[184:185], v[190:191], v[194:195]
	v_div_fixup_f64 v[190:191], v[184:185], v[186:187], 1.0
	v_mul_f64 v[188:189], v[188:189], v[190:191]
	v_xor_b32_e32 v191, 0x80000000, v191
                                        ; implicit-def: $vgpr184_vgpr185
.LBB75_311:
	s_andn2_saveexec_b64 s[2:3], s[2:3]
	s_cbranch_execz .LBB75_313
; %bb.312:
	v_div_scale_f64 v[188:189], s[10:11], v[184:185], v[184:185], v[186:187]
	v_rcp_f64_e32 v[190:191], v[188:189]
	v_div_scale_f64 v[192:193], vcc, v[186:187], v[184:185], v[186:187]
	v_fma_f64 v[194:195], -v[188:189], v[190:191], 1.0
	v_fmac_f64_e32 v[190:191], v[190:191], v[194:195]
	v_fma_f64 v[194:195], -v[188:189], v[190:191], 1.0
	v_fmac_f64_e32 v[190:191], v[190:191], v[194:195]
	v_mul_f64 v[194:195], v[192:193], v[190:191]
	v_fma_f64 v[188:189], -v[188:189], v[194:195], v[192:193]
	v_div_fmas_f64 v[188:189], v[188:189], v[190:191], v[194:195]
	v_div_fixup_f64 v[190:191], v[188:189], v[184:185], v[186:187]
	v_fmac_f64_e32 v[184:185], v[186:187], v[190:191]
	v_div_scale_f64 v[186:187], s[10:11], v[184:185], v[184:185], 1.0
	v_rcp_f64_e32 v[188:189], v[186:187]
	s_nop 0
	v_fma_f64 v[192:193], -v[186:187], v[188:189], 1.0
	v_fmac_f64_e32 v[188:189], v[188:189], v[192:193]
	v_fma_f64 v[192:193], -v[186:187], v[188:189], 1.0
	v_fmac_f64_e32 v[188:189], v[188:189], v[192:193]
	v_div_scale_f64 v[192:193], vcc, 1.0, v[184:185], 1.0
	v_mul_f64 v[194:195], v[192:193], v[188:189]
	v_fma_f64 v[186:187], -v[186:187], v[194:195], v[192:193]
	s_nop 1
	v_div_fmas_f64 v[186:187], v[186:187], v[188:189], v[194:195]
	v_div_fixup_f64 v[188:189], v[186:187], v[184:185], 1.0
	v_mul_f64 v[190:191], v[190:191], -v[188:189]
.LBB75_313:
	s_or_b64 exec, exec, s[2:3]
	ds_write2_b64 v203, v[188:189], v[190:191] offset1:1
.LBB75_314:
	s_or_b64 exec, exec, s[4:5]
	s_waitcnt lgkmcnt(0)
	s_barrier
	ds_read2_b64 v[184:187], v203 offset1:1
	v_cmp_lt_u32_e32 vcc, 34, v202
	s_and_saveexec_b64 s[2:3], vcc
	s_cbranch_execz .LBB75_316
; %bb.315:
	ds_read2_b64 v[188:191], v204 offset0:70 offset1:71
	s_waitcnt vmcnt(32) lgkmcnt(1)
	v_mul_f64 v[192:193], v[184:185], v[10:11]
	v_fmac_f64_e32 v[192:193], v[186:187], v[8:9]
	v_mul_f64 v[10:11], v[186:187], v[10:11]
	v_fma_f64 v[8:9], v[184:185], v[8:9], -v[10:11]
	s_waitcnt lgkmcnt(0)
	v_mul_f64 v[10:11], v[190:191], v[192:193]
	v_fma_f64 v[10:11], v[188:189], v[8:9], -v[10:11]
	v_mul_f64 v[188:189], v[188:189], v[192:193]
	v_fmac_f64_e32 v[188:189], v[190:191], v[8:9]
	s_waitcnt vmcnt(31)
	v_add_f64 v[6:7], v[6:7], -v[188:189]
	ds_read2_b64 v[188:191], v204 offset0:72 offset1:73
	v_add_f64 v[4:5], v[4:5], -v[10:11]
	s_waitcnt lgkmcnt(0)
	v_mul_f64 v[10:11], v[190:191], v[192:193]
	v_fma_f64 v[10:11], v[188:189], v[8:9], -v[10:11]
	v_mul_f64 v[188:189], v[188:189], v[192:193]
	v_fmac_f64_e32 v[188:189], v[190:191], v[8:9]
	v_add_f64 v[2:3], v[2:3], -v[188:189]
	ds_read2_b64 v[188:191], v204 offset0:74 offset1:75
	v_add_f64 v[0:1], v[0:1], -v[10:11]
	s_waitcnt lgkmcnt(0)
	v_mul_f64 v[10:11], v[190:191], v[192:193]
	v_fma_f64 v[10:11], v[188:189], v[8:9], -v[10:11]
	v_mul_f64 v[188:189], v[188:189], v[192:193]
	v_fmac_f64_e32 v[188:189], v[190:191], v[8:9]
	s_waitcnt vmcnt(30)
	v_add_f64 v[148:149], v[148:149], -v[10:11]
	v_add_f64 v[150:151], v[150:151], -v[188:189]
	v_mov_b64_e32 v[10:11], v[192:193]
.LBB75_316:
	s_or_b64 exec, exec, s[2:3]
	v_cmp_eq_u32_e32 vcc, 35, v202
	s_waitcnt lgkmcnt(0)
	s_barrier
	s_and_saveexec_b64 s[4:5], vcc
	s_cbranch_execz .LBB75_323
; %bb.317:
	s_waitcnt vmcnt(31)
	ds_write2_b64 v203, v[4:5], v[6:7] offset1:1
	ds_write2_b64 v204, v[0:1], v[2:3] offset0:72 offset1:73
	s_waitcnt vmcnt(30)
	ds_write2_b64 v204, v[148:149], v[150:151] offset0:74 offset1:75
	ds_read2_b64 v[188:191], v203 offset1:1
	s_waitcnt lgkmcnt(0)
	v_cmp_neq_f64_e32 vcc, 0, v[188:189]
	v_cmp_neq_f64_e64 s[2:3], 0, v[190:191]
	s_or_b64 s[2:3], vcc, s[2:3]
	s_and_b64 exec, exec, s[2:3]
	s_cbranch_execz .LBB75_323
; %bb.318:
	v_cmp_ngt_f64_e64 s[2:3], |v[188:189]|, |v[190:191]|
                                        ; implicit-def: $vgpr192_vgpr193
	s_and_saveexec_b64 s[10:11], s[2:3]
	s_xor_b64 s[2:3], exec, s[10:11]
                                        ; implicit-def: $vgpr194_vgpr195
	s_cbranch_execz .LBB75_320
; %bb.319:
	v_div_scale_f64 v[192:193], s[10:11], v[190:191], v[190:191], v[188:189]
	v_rcp_f64_e32 v[194:195], v[192:193]
	v_div_scale_f64 v[196:197], vcc, v[188:189], v[190:191], v[188:189]
	v_fma_f64 v[198:199], -v[192:193], v[194:195], 1.0
	v_fmac_f64_e32 v[194:195], v[194:195], v[198:199]
	v_fma_f64 v[198:199], -v[192:193], v[194:195], 1.0
	v_fmac_f64_e32 v[194:195], v[194:195], v[198:199]
	v_mul_f64 v[198:199], v[196:197], v[194:195]
	v_fma_f64 v[192:193], -v[192:193], v[198:199], v[196:197]
	v_div_fmas_f64 v[192:193], v[192:193], v[194:195], v[198:199]
	v_div_fixup_f64 v[192:193], v[192:193], v[190:191], v[188:189]
	v_fmac_f64_e32 v[190:191], v[188:189], v[192:193]
	v_div_scale_f64 v[188:189], s[10:11], v[190:191], v[190:191], 1.0
	v_rcp_f64_e32 v[194:195], v[188:189]
	s_nop 0
	v_fma_f64 v[196:197], -v[188:189], v[194:195], 1.0
	v_fmac_f64_e32 v[194:195], v[194:195], v[196:197]
	v_fma_f64 v[196:197], -v[188:189], v[194:195], 1.0
	v_fmac_f64_e32 v[194:195], v[194:195], v[196:197]
	v_div_scale_f64 v[196:197], vcc, 1.0, v[190:191], 1.0
	v_mul_f64 v[198:199], v[196:197], v[194:195]
	v_fma_f64 v[188:189], -v[188:189], v[198:199], v[196:197]
	s_nop 1
	v_div_fmas_f64 v[188:189], v[188:189], v[194:195], v[198:199]
	v_div_fixup_f64 v[194:195], v[188:189], v[190:191], 1.0
	v_mul_f64 v[192:193], v[192:193], v[194:195]
	v_xor_b32_e32 v195, 0x80000000, v195
                                        ; implicit-def: $vgpr188_vgpr189
.LBB75_320:
	s_andn2_saveexec_b64 s[2:3], s[2:3]
	s_cbranch_execz .LBB75_322
; %bb.321:
	v_div_scale_f64 v[192:193], s[10:11], v[188:189], v[188:189], v[190:191]
	v_rcp_f64_e32 v[194:195], v[192:193]
	v_div_scale_f64 v[196:197], vcc, v[190:191], v[188:189], v[190:191]
	v_fma_f64 v[198:199], -v[192:193], v[194:195], 1.0
	v_fmac_f64_e32 v[194:195], v[194:195], v[198:199]
	v_fma_f64 v[198:199], -v[192:193], v[194:195], 1.0
	v_fmac_f64_e32 v[194:195], v[194:195], v[198:199]
	v_mul_f64 v[198:199], v[196:197], v[194:195]
	v_fma_f64 v[192:193], -v[192:193], v[198:199], v[196:197]
	v_div_fmas_f64 v[192:193], v[192:193], v[194:195], v[198:199]
	v_div_fixup_f64 v[194:195], v[192:193], v[188:189], v[190:191]
	v_fmac_f64_e32 v[188:189], v[190:191], v[194:195]
	v_div_scale_f64 v[190:191], s[10:11], v[188:189], v[188:189], 1.0
	v_rcp_f64_e32 v[192:193], v[190:191]
	s_nop 0
	v_fma_f64 v[196:197], -v[190:191], v[192:193], 1.0
	v_fmac_f64_e32 v[192:193], v[192:193], v[196:197]
	v_fma_f64 v[196:197], -v[190:191], v[192:193], 1.0
	v_fmac_f64_e32 v[192:193], v[192:193], v[196:197]
	v_div_scale_f64 v[196:197], vcc, 1.0, v[188:189], 1.0
	v_mul_f64 v[198:199], v[196:197], v[192:193]
	v_fma_f64 v[190:191], -v[190:191], v[198:199], v[196:197]
	s_nop 1
	v_div_fmas_f64 v[190:191], v[190:191], v[192:193], v[198:199]
	v_div_fixup_f64 v[192:193], v[190:191], v[188:189], 1.0
	v_mul_f64 v[194:195], v[194:195], -v[192:193]
.LBB75_322:
	s_or_b64 exec, exec, s[2:3]
	ds_write2_b64 v203, v[192:193], v[194:195] offset1:1
.LBB75_323:
	s_or_b64 exec, exec, s[4:5]
	s_waitcnt lgkmcnt(0)
	s_barrier
	ds_read2_b64 v[188:191], v203 offset1:1
	v_cmp_lt_u32_e32 vcc, 35, v202
	s_and_saveexec_b64 s[2:3], vcc
	s_cbranch_execz .LBB75_325
; %bb.324:
	ds_read2_b64 v[192:195], v204 offset0:72 offset1:73
	s_waitcnt vmcnt(31) lgkmcnt(1)
	v_mul_f64 v[196:197], v[188:189], v[6:7]
	v_fmac_f64_e32 v[196:197], v[190:191], v[4:5]
	v_mul_f64 v[6:7], v[190:191], v[6:7]
	v_fma_f64 v[4:5], v[188:189], v[4:5], -v[6:7]
	s_waitcnt lgkmcnt(0)
	v_mul_f64 v[6:7], v[194:195], v[196:197]
	v_fma_f64 v[6:7], v[192:193], v[4:5], -v[6:7]
	v_mul_f64 v[192:193], v[192:193], v[196:197]
	v_fmac_f64_e32 v[192:193], v[194:195], v[4:5]
	v_add_f64 v[2:3], v[2:3], -v[192:193]
	ds_read2_b64 v[192:195], v204 offset0:74 offset1:75
	v_add_f64 v[0:1], v[0:1], -v[6:7]
	s_waitcnt lgkmcnt(0)
	v_mul_f64 v[6:7], v[194:195], v[196:197]
	v_fma_f64 v[6:7], v[192:193], v[4:5], -v[6:7]
	v_mul_f64 v[192:193], v[192:193], v[196:197]
	v_fmac_f64_e32 v[192:193], v[194:195], v[4:5]
	s_waitcnt vmcnt(30)
	v_add_f64 v[148:149], v[148:149], -v[6:7]
	v_add_f64 v[150:151], v[150:151], -v[192:193]
	v_mov_b64_e32 v[6:7], v[196:197]
.LBB75_325:
	s_or_b64 exec, exec, s[2:3]
	v_cmp_eq_u32_e32 vcc, 36, v202
	s_waitcnt lgkmcnt(0)
	s_barrier
	s_and_saveexec_b64 s[4:5], vcc
	s_cbranch_execz .LBB75_332
; %bb.326:
	s_waitcnt vmcnt(45)
	ds_write2_b64 v203, v[0:1], v[2:3] offset1:1
	s_waitcnt vmcnt(30)
	ds_write2_b64 v204, v[148:149], v[150:151] offset0:74 offset1:75
	ds_read2_b64 v[192:195], v203 offset1:1
	s_waitcnt lgkmcnt(0)
	v_cmp_neq_f64_e32 vcc, 0, v[192:193]
	v_cmp_neq_f64_e64 s[2:3], 0, v[194:195]
	s_or_b64 s[2:3], vcc, s[2:3]
	s_and_b64 exec, exec, s[2:3]
	s_cbranch_execz .LBB75_332
; %bb.327:
	v_cmp_ngt_f64_e64 s[2:3], |v[192:193]|, |v[194:195]|
                                        ; implicit-def: $vgpr196_vgpr197
	s_and_saveexec_b64 s[10:11], s[2:3]
	s_xor_b64 s[2:3], exec, s[10:11]
                                        ; implicit-def: $vgpr198_vgpr199
	s_cbranch_execz .LBB75_329
; %bb.328:
	v_div_scale_f64 v[196:197], s[10:11], v[194:195], v[194:195], v[192:193]
	v_rcp_f64_e32 v[198:199], v[196:197]
	v_mov_b64_e32 v[152:153], v[208:209]
	v_mov_b64_e32 v[200:201], v[206:207]
	v_div_scale_f64 v[206:207], vcc, v[192:193], v[194:195], v[192:193]
	v_fma_f64 v[208:209], -v[196:197], v[198:199], 1.0
	v_fmac_f64_e32 v[198:199], v[198:199], v[208:209]
	v_fma_f64 v[208:209], -v[196:197], v[198:199], 1.0
	v_fmac_f64_e32 v[198:199], v[198:199], v[208:209]
	v_mul_f64 v[208:209], v[206:207], v[198:199]
	v_fma_f64 v[196:197], -v[196:197], v[208:209], v[206:207]
	v_div_fmas_f64 v[196:197], v[196:197], v[198:199], v[208:209]
	v_div_fixup_f64 v[196:197], v[196:197], v[194:195], v[192:193]
	v_fmac_f64_e32 v[194:195], v[192:193], v[196:197]
	v_div_scale_f64 v[192:193], s[10:11], v[194:195], v[194:195], 1.0
	v_rcp_f64_e32 v[198:199], v[192:193]
	s_nop 0
	v_fma_f64 v[206:207], -v[192:193], v[198:199], 1.0
	v_fmac_f64_e32 v[198:199], v[198:199], v[206:207]
	v_fma_f64 v[206:207], -v[192:193], v[198:199], 1.0
	v_fmac_f64_e32 v[198:199], v[198:199], v[206:207]
	v_div_scale_f64 v[206:207], vcc, 1.0, v[194:195], 1.0
	v_mul_f64 v[208:209], v[206:207], v[198:199]
	v_fma_f64 v[192:193], -v[192:193], v[208:209], v[206:207]
	v_mov_b64_e32 v[206:207], v[200:201]
	s_nop 0
	v_div_fmas_f64 v[192:193], v[192:193], v[198:199], v[208:209]
	v_div_fixup_f64 v[198:199], v[192:193], v[194:195], 1.0
	v_mov_b64_e32 v[208:209], v[152:153]
	v_mul_f64 v[196:197], v[196:197], v[198:199]
	v_xor_b32_e32 v199, 0x80000000, v199
                                        ; implicit-def: $vgpr192_vgpr193
.LBB75_329:
	s_andn2_saveexec_b64 s[2:3], s[2:3]
	s_cbranch_execz .LBB75_331
; %bb.330:
	v_div_scale_f64 v[196:197], s[10:11], v[192:193], v[192:193], v[194:195]
	v_rcp_f64_e32 v[198:199], v[196:197]
	v_mov_b64_e32 v[152:153], v[208:209]
	v_mov_b64_e32 v[200:201], v[206:207]
	v_div_scale_f64 v[206:207], vcc, v[194:195], v[192:193], v[194:195]
	v_fma_f64 v[208:209], -v[196:197], v[198:199], 1.0
	v_fmac_f64_e32 v[198:199], v[198:199], v[208:209]
	v_fma_f64 v[208:209], -v[196:197], v[198:199], 1.0
	v_fmac_f64_e32 v[198:199], v[198:199], v[208:209]
	v_mul_f64 v[208:209], v[206:207], v[198:199]
	v_fma_f64 v[196:197], -v[196:197], v[208:209], v[206:207]
	v_div_fmas_f64 v[196:197], v[196:197], v[198:199], v[208:209]
	v_div_fixup_f64 v[198:199], v[196:197], v[192:193], v[194:195]
	v_fmac_f64_e32 v[192:193], v[194:195], v[198:199]
	v_div_scale_f64 v[194:195], s[10:11], v[192:193], v[192:193], 1.0
	v_rcp_f64_e32 v[196:197], v[194:195]
	s_nop 0
	v_fma_f64 v[206:207], -v[194:195], v[196:197], 1.0
	v_fmac_f64_e32 v[196:197], v[196:197], v[206:207]
	v_fma_f64 v[206:207], -v[194:195], v[196:197], 1.0
	v_fmac_f64_e32 v[196:197], v[196:197], v[206:207]
	v_div_scale_f64 v[206:207], vcc, 1.0, v[192:193], 1.0
	v_mul_f64 v[208:209], v[206:207], v[196:197]
	v_fma_f64 v[194:195], -v[194:195], v[208:209], v[206:207]
	v_mov_b64_e32 v[206:207], v[200:201]
	s_nop 0
	v_div_fmas_f64 v[194:195], v[194:195], v[196:197], v[208:209]
	v_div_fixup_f64 v[196:197], v[194:195], v[192:193], 1.0
	v_mov_b64_e32 v[208:209], v[152:153]
	v_mul_f64 v[198:199], v[198:199], -v[196:197]
.LBB75_331:
	s_or_b64 exec, exec, s[2:3]
	ds_write2_b64 v203, v[196:197], v[198:199] offset1:1
.LBB75_332:
	s_or_b64 exec, exec, s[4:5]
	s_waitcnt lgkmcnt(0)
	s_barrier
	ds_read2_b64 v[192:195], v203 offset1:1
	v_cmp_lt_u32_e32 vcc, 36, v202
	s_and_saveexec_b64 s[2:3], vcc
	s_cbranch_execz .LBB75_334
; %bb.333:
	ds_read2_b64 v[196:199], v204 offset0:74 offset1:75
	s_waitcnt vmcnt(45) lgkmcnt(1)
	v_mul_f64 v[204:205], v[192:193], v[2:3]
	v_mul_f64 v[2:3], v[194:195], v[2:3]
	v_fmac_f64_e32 v[204:205], v[194:195], v[0:1]
	v_fma_f64 v[0:1], v[192:193], v[0:1], -v[2:3]
	s_waitcnt lgkmcnt(0)
	v_mul_f64 v[2:3], v[198:199], v[204:205]
	v_fma_f64 v[2:3], v[196:197], v[0:1], -v[2:3]
	v_mul_f64 v[196:197], v[196:197], v[204:205]
	v_fmac_f64_e32 v[196:197], v[198:199], v[0:1]
	s_waitcnt vmcnt(30)
	v_add_f64 v[148:149], v[148:149], -v[2:3]
	v_add_f64 v[150:151], v[150:151], -v[196:197]
	v_mov_b64_e32 v[2:3], v[204:205]
.LBB75_334:
	s_or_b64 exec, exec, s[2:3]
	v_cmp_eq_u32_e32 vcc, 37, v202
	s_waitcnt lgkmcnt(0)
	s_barrier
	s_and_saveexec_b64 s[4:5], vcc
	s_cbranch_execz .LBB75_341
; %bb.335:
	s_waitcnt vmcnt(30)
	v_cmp_neq_f64_e32 vcc, 0, v[148:149]
	v_cmp_neq_f64_e64 s[2:3], 0, v[150:151]
	s_or_b64 s[2:3], vcc, s[2:3]
	ds_write2_b64 v203, v[148:149], v[150:151] offset1:1
	s_and_b64 exec, exec, s[2:3]
	s_cbranch_execz .LBB75_341
; %bb.336:
	v_cmp_ngt_f64_e64 s[2:3], |v[148:149]|, |v[150:151]|
                                        ; implicit-def: $vgpr196_vgpr197
	s_and_saveexec_b64 s[10:11], s[2:3]
	s_xor_b64 s[2:3], exec, s[10:11]
                                        ; implicit-def: $vgpr198_vgpr199
	s_cbranch_execz .LBB75_338
; %bb.337:
	v_div_scale_f64 v[196:197], s[10:11], v[150:151], v[150:151], v[148:149]
	v_rcp_f64_e32 v[198:199], v[196:197]
	v_mov_b64_e32 v[152:153], v[254:255]
	v_mov_b64_e32 v[254:255], v[252:253]
	;; [unrolled: 1-line block ×23, first 2 shown]
	v_fma_f64 v[206:207], -v[196:197], v[198:199], 1.0
	v_fmac_f64_e32 v[198:199], v[198:199], v[206:207]
	v_fma_f64 v[206:207], -v[196:197], v[198:199], 1.0
	v_div_scale_f64 v[204:205], vcc, v[148:149], v[150:151], v[148:149]
	v_fmac_f64_e32 v[198:199], v[198:199], v[206:207]
	v_mul_f64 v[206:207], v[204:205], v[198:199]
	v_fma_f64 v[196:197], -v[196:197], v[206:207], v[204:205]
	s_nop 0
	v_div_fmas_f64 v[196:197], v[196:197], v[198:199], v[206:207]
	v_div_fixup_f64 v[196:197], v[196:197], v[150:151], v[148:149]
	v_fma_f64 v[198:199], v[148:149], v[196:197], v[150:151]
	v_div_scale_f64 v[204:205], s[10:11], v[198:199], v[198:199], 1.0
	v_rcp_f64_e32 v[206:207], v[204:205]
	v_mov_b64_e32 v[154:155], v[208:209]
	v_mov_b64_e32 v[200:201], v[210:211]
	v_fma_f64 v[208:209], -v[204:205], v[206:207], 1.0
	v_fmac_f64_e32 v[206:207], v[206:207], v[208:209]
	v_fma_f64 v[208:209], -v[204:205], v[206:207], 1.0
	v_fmac_f64_e32 v[206:207], v[206:207], v[208:209]
	v_div_scale_f64 v[208:209], vcc, 1.0, v[198:199], 1.0
	v_mul_f64 v[210:211], v[208:209], v[206:207]
	v_fma_f64 v[204:205], -v[204:205], v[210:211], v[208:209]
	v_mov_b64_e32 v[208:209], v[154:155]
	s_nop 0
	v_div_fmas_f64 v[204:205], v[204:205], v[206:207], v[210:211]
	v_div_fixup_f64 v[198:199], v[204:205], v[198:199], 1.0
	v_mov_b64_e32 v[206:207], v[212:213]
	v_mov_b64_e32 v[212:213], v[214:215]
	;; [unrolled: 1-line block ×24, first 2 shown]
	v_mul_f64 v[196:197], v[196:197], v[198:199]
	v_xor_b32_e32 v199, 0x80000000, v199
.LBB75_338:
	s_andn2_saveexec_b64 s[2:3], s[2:3]
	s_cbranch_execz .LBB75_340
; %bb.339:
	v_div_scale_f64 v[196:197], s[10:11], v[148:149], v[148:149], v[150:151]
	v_rcp_f64_e32 v[198:199], v[196:197]
	v_mov_b64_e32 v[152:153], v[254:255]
	v_mov_b64_e32 v[254:255], v[252:253]
	;; [unrolled: 1-line block ×23, first 2 shown]
	v_fma_f64 v[206:207], -v[196:197], v[198:199], 1.0
	v_fmac_f64_e32 v[198:199], v[198:199], v[206:207]
	v_fma_f64 v[206:207], -v[196:197], v[198:199], 1.0
	v_div_scale_f64 v[204:205], vcc, v[150:151], v[148:149], v[150:151]
	v_fmac_f64_e32 v[198:199], v[198:199], v[206:207]
	v_mul_f64 v[206:207], v[204:205], v[198:199]
	v_fma_f64 v[196:197], -v[196:197], v[206:207], v[204:205]
	s_nop 0
	v_div_fmas_f64 v[196:197], v[196:197], v[198:199], v[206:207]
	v_div_fixup_f64 v[198:199], v[196:197], v[148:149], v[150:151]
	v_fma_f64 v[196:197], v[150:151], v[198:199], v[148:149]
	v_div_scale_f64 v[204:205], s[10:11], v[196:197], v[196:197], 1.0
	v_rcp_f64_e32 v[206:207], v[204:205]
	v_mov_b64_e32 v[154:155], v[208:209]
	v_mov_b64_e32 v[200:201], v[210:211]
	v_fma_f64 v[208:209], -v[204:205], v[206:207], 1.0
	v_fmac_f64_e32 v[206:207], v[206:207], v[208:209]
	v_fma_f64 v[208:209], -v[204:205], v[206:207], 1.0
	v_fmac_f64_e32 v[206:207], v[206:207], v[208:209]
	v_div_scale_f64 v[208:209], vcc, 1.0, v[196:197], 1.0
	v_mul_f64 v[210:211], v[208:209], v[206:207]
	v_fma_f64 v[204:205], -v[204:205], v[210:211], v[208:209]
	v_mov_b64_e32 v[208:209], v[154:155]
	s_nop 0
	v_div_fmas_f64 v[204:205], v[204:205], v[206:207], v[210:211]
	v_div_fixup_f64 v[196:197], v[204:205], v[196:197], 1.0
	v_mov_b64_e32 v[206:207], v[212:213]
	v_mov_b64_e32 v[212:213], v[214:215]
	;; [unrolled: 1-line block ×24, first 2 shown]
	v_mul_f64 v[198:199], v[198:199], -v[196:197]
.LBB75_340:
	s_or_b64 exec, exec, s[2:3]
	ds_write2_b64 v203, v[196:197], v[198:199] offset1:1
.LBB75_341:
	s_or_b64 exec, exec, s[4:5]
	s_waitcnt lgkmcnt(0)
	s_barrier
	ds_read2_b64 v[196:199], v203 offset1:1
	s_waitcnt lgkmcnt(0)
	s_barrier
	s_and_saveexec_b64 s[2:3], s[0:1]
	s_cbranch_execz .LBB75_344
; %bb.342:
	scratch_load_dwordx4 v[152:155], off, off offset:112 ; 16-byte Folded Reload
	v_mov_b32_e32 v204, s6
	v_mov_b32_e32 v205, s7
	v_lshl_add_u64 v[200:201], v[230:231], 2, v[204:205]
	global_load_dword v204, v[200:201], off
	s_waitcnt vmcnt(1)
	v_cmp_eq_f64_e32 vcc, 0, v[152:153]
	v_cmp_eq_f64_e64 s[0:1], 0, v[154:155]
	scratch_load_dwordx4 v[152:155], off, off offset:128 ; 16-byte Folded Reload
	s_and_b64 s[4:5], vcc, s[0:1]
	v_cndmask_b32_e64 v203, 0, 1, s[4:5]
	s_waitcnt vmcnt(0)
	v_cmp_neq_f64_e32 vcc, 0, v[152:153]
	v_cmp_neq_f64_e64 s[0:1], 0, v[154:155]
	scratch_load_dwordx4 v[152:155], off, off offset:144 ; 16-byte Folded Reload
	s_or_b64 s[0:1], vcc, s[0:1]
	s_or_b64 vcc, s[0:1], s[4:5]
	v_cndmask_b32_e32 v203, 2, v203, vcc
	s_waitcnt vmcnt(0)
	v_cmp_eq_f64_e32 vcc, 0, v[152:153]
	v_cmp_eq_f64_e64 s[0:1], 0, v[154:155]
	scratch_load_dwordx4 v[152:155], off, off offset:160 ; 16-byte Folded Reload
	s_and_b64 s[0:1], vcc, s[0:1]
	v_cmp_eq_u32_e32 vcc, 0, v203
	s_and_b64 s[0:1], s[0:1], vcc
	v_cndmask_b32_e64 v203, v203, 3, s[0:1]
	s_waitcnt vmcnt(0)
	v_cmp_eq_f64_e32 vcc, 0, v[152:153]
	v_cmp_eq_f64_e64 s[0:1], 0, v[154:155]
	scratch_load_dwordx4 v[152:155], off, off offset:176 ; 16-byte Folded Reload
	s_and_b64 s[0:1], vcc, s[0:1]
	v_cmp_eq_u32_e32 vcc, 0, v203
	s_and_b64 s[0:1], s[0:1], vcc
	v_cndmask_b32_e64 v203, v203, 4, s[0:1]
	;; [unrolled: 8-line block ×24, first 2 shown]
	s_waitcnt vmcnt(0)
	v_cmp_eq_f64_e32 vcc, 0, v[152:153]
	v_cmp_eq_f64_e64 s[0:1], 0, v[154:155]
	s_and_b64 s[0:1], vcc, s[0:1]
	v_cmp_eq_u32_e32 vcc, 0, v203
	s_and_b64 s[0:1], s[0:1], vcc
	v_cndmask_b32_e64 v152, v203, 27, s[0:1]
	v_cmp_eq_f64_e32 vcc, 0, v[156:157]
	v_cmp_eq_f64_e64 s[0:1], 0, v[158:159]
	s_and_b64 s[0:1], vcc, s[0:1]
	v_cmp_eq_u32_e32 vcc, 0, v152
	s_and_b64 s[0:1], s[0:1], vcc
	v_cndmask_b32_e64 v152, v152, 28, s[0:1]
	;; [unrolled: 6-line block ×12, first 2 shown]
	v_cmp_eq_u32_e32 vcc, 0, v204
	v_cmp_ne_u32_e64 s[0:1], 0, v152
	s_and_b64 s[0:1], vcc, s[0:1]
	s_and_b64 exec, exec, s[0:1]
	s_cbranch_execz .LBB75_344
; %bb.343:
	v_add_u32_e32 v152, s9, v152
	global_store_dword v[200:201], v152, off
.LBB75_344:
	s_or_b64 exec, exec, s[2:3]
	global_store_dwordx4 v[210:211], v[144:147], off
	scratch_load_dwordx2 v[144:145], off, off offset:104 ; 8-byte Folded Reload
	s_waitcnt vmcnt(32)
	v_mul_f64 v[152:153], v[198:199], v[150:151]
	v_mul_f64 v[154:155], v[196:197], v[150:151]
	v_fma_f64 v[152:153], v[196:197], v[148:149], -v[152:153]
	v_fmac_f64_e32 v[154:155], v[198:199], v[148:149]
	v_cmp_lt_u32_e32 vcc, 37, v202
	s_waitcnt vmcnt(0)
	global_store_dwordx4 v[144:145], v[140:143], off
	global_store_dwordx4 v[206:207], v[136:139], off
	;; [unrolled: 1-line block ×24, first 2 shown]
	scratch_load_dwordx2 v[48:49], off, off ; 8-byte Folded Reload
	v_cndmask_b32_e32 v151, v151, v155, vcc
	v_cndmask_b32_e32 v150, v150, v154, vcc
	;; [unrolled: 1-line block ×4, first 2 shown]
	s_waitcnt vmcnt(0)
	global_store_dwordx4 v[48:49], v[44:47], off
	scratch_load_dwordx2 v[44:45], off, off offset:8 ; 8-byte Folded Reload
	s_waitcnt vmcnt(0)
	global_store_dwordx4 v[44:45], v[40:43], off
	scratch_load_dwordx2 v[40:41], off, off offset:16 ; 8-byte Folded Reload
	s_waitcnt vmcnt(0)
	global_store_dwordx4 v[40:41], v[36:39], off
	scratch_load_dwordx2 v[36:37], off, off offset:24 ; 8-byte Folded Reload
	s_waitcnt vmcnt(0)
	global_store_dwordx4 v[36:37], v[32:35], off
	scratch_load_dwordx2 v[32:33], off, off offset:32 ; 8-byte Folded Reload
	s_waitcnt vmcnt(0)
	global_store_dwordx4 v[32:33], v[28:31], off
	scratch_load_dwordx2 v[28:29], off, off offset:40 ; 8-byte Folded Reload
	s_waitcnt vmcnt(0)
	global_store_dwordx4 v[28:29], v[24:27], off
	scratch_load_dwordx2 v[24:25], off, off offset:48 ; 8-byte Folded Reload
	s_waitcnt vmcnt(0)
	global_store_dwordx4 v[24:25], v[20:23], off
	scratch_load_dwordx2 v[20:21], off, off offset:56 ; 8-byte Folded Reload
	s_waitcnt vmcnt(0)
	global_store_dwordx4 v[20:21], v[16:19], off
	scratch_load_dwordx2 v[16:17], off, off offset:64 ; 8-byte Folded Reload
	s_waitcnt vmcnt(0)
	global_store_dwordx4 v[16:17], v[12:15], off
	scratch_load_dwordx2 v[12:13], off, off offset:72 ; 8-byte Folded Reload
	s_waitcnt vmcnt(0)
	global_store_dwordx4 v[12:13], v[8:11], off
	scratch_load_dwordx2 v[8:9], off, off offset:80 ; 8-byte Folded Reload
	s_waitcnt vmcnt(0)
	global_store_dwordx4 v[8:9], v[4:7], off
	scratch_load_dwordx2 v[4:5], off, off offset:88 ; 8-byte Folded Reload
	s_waitcnt vmcnt(0)
	global_store_dwordx4 v[4:5], v[0:3], off
	scratch_load_dwordx2 v[0:1], off, off offset:96 ; 8-byte Folded Reload
	s_waitcnt vmcnt(0)
	global_store_dwordx4 v[0:1], v[148:151], off
.LBB75_345:
	s_endpgm
	.section	.rodata,"a",@progbits
	.p2align	6, 0x0
	.amdhsa_kernel _ZN9rocsolver6v33100L23getf2_npvt_small_kernelILi38E19rocblas_complex_numIdEiiPS3_EEvT1_T3_lS5_lPT2_S5_S5_
		.amdhsa_group_segment_fixed_size 0
		.amdhsa_private_segment_fixed_size 548
		.amdhsa_kernarg_size 312
		.amdhsa_user_sgpr_count 2
		.amdhsa_user_sgpr_dispatch_ptr 0
		.amdhsa_user_sgpr_queue_ptr 0
		.amdhsa_user_sgpr_kernarg_segment_ptr 1
		.amdhsa_user_sgpr_dispatch_id 0
		.amdhsa_user_sgpr_kernarg_preload_length 0
		.amdhsa_user_sgpr_kernarg_preload_offset 0
		.amdhsa_user_sgpr_private_segment_size 0
		.amdhsa_uses_dynamic_stack 0
		.amdhsa_enable_private_segment 1
		.amdhsa_system_sgpr_workgroup_id_x 1
		.amdhsa_system_sgpr_workgroup_id_y 1
		.amdhsa_system_sgpr_workgroup_id_z 0
		.amdhsa_system_sgpr_workgroup_info 0
		.amdhsa_system_vgpr_workitem_id 1
		.amdhsa_next_free_vgpr 256
		.amdhsa_next_free_sgpr 16
		.amdhsa_accum_offset 256
		.amdhsa_reserve_vcc 1
		.amdhsa_float_round_mode_32 0
		.amdhsa_float_round_mode_16_64 0
		.amdhsa_float_denorm_mode_32 3
		.amdhsa_float_denorm_mode_16_64 3
		.amdhsa_dx10_clamp 1
		.amdhsa_ieee_mode 1
		.amdhsa_fp16_overflow 0
		.amdhsa_tg_split 0
		.amdhsa_exception_fp_ieee_invalid_op 0
		.amdhsa_exception_fp_denorm_src 0
		.amdhsa_exception_fp_ieee_div_zero 0
		.amdhsa_exception_fp_ieee_overflow 0
		.amdhsa_exception_fp_ieee_underflow 0
		.amdhsa_exception_fp_ieee_inexact 0
		.amdhsa_exception_int_div_zero 0
	.end_amdhsa_kernel
	.section	.text._ZN9rocsolver6v33100L23getf2_npvt_small_kernelILi38E19rocblas_complex_numIdEiiPS3_EEvT1_T3_lS5_lPT2_S5_S5_,"axG",@progbits,_ZN9rocsolver6v33100L23getf2_npvt_small_kernelILi38E19rocblas_complex_numIdEiiPS3_EEvT1_T3_lS5_lPT2_S5_S5_,comdat
.Lfunc_end75:
	.size	_ZN9rocsolver6v33100L23getf2_npvt_small_kernelILi38E19rocblas_complex_numIdEiiPS3_EEvT1_T3_lS5_lPT2_S5_S5_, .Lfunc_end75-_ZN9rocsolver6v33100L23getf2_npvt_small_kernelILi38E19rocblas_complex_numIdEiiPS3_EEvT1_T3_lS5_lPT2_S5_S5_
                                        ; -- End function
	.set _ZN9rocsolver6v33100L23getf2_npvt_small_kernelILi38E19rocblas_complex_numIdEiiPS3_EEvT1_T3_lS5_lPT2_S5_S5_.num_vgpr, 256
	.set _ZN9rocsolver6v33100L23getf2_npvt_small_kernelILi38E19rocblas_complex_numIdEiiPS3_EEvT1_T3_lS5_lPT2_S5_S5_.num_agpr, 0
	.set _ZN9rocsolver6v33100L23getf2_npvt_small_kernelILi38E19rocblas_complex_numIdEiiPS3_EEvT1_T3_lS5_lPT2_S5_S5_.numbered_sgpr, 16
	.set _ZN9rocsolver6v33100L23getf2_npvt_small_kernelILi38E19rocblas_complex_numIdEiiPS3_EEvT1_T3_lS5_lPT2_S5_S5_.num_named_barrier, 0
	.set _ZN9rocsolver6v33100L23getf2_npvt_small_kernelILi38E19rocblas_complex_numIdEiiPS3_EEvT1_T3_lS5_lPT2_S5_S5_.private_seg_size, 548
	.set _ZN9rocsolver6v33100L23getf2_npvt_small_kernelILi38E19rocblas_complex_numIdEiiPS3_EEvT1_T3_lS5_lPT2_S5_S5_.uses_vcc, 1
	.set _ZN9rocsolver6v33100L23getf2_npvt_small_kernelILi38E19rocblas_complex_numIdEiiPS3_EEvT1_T3_lS5_lPT2_S5_S5_.uses_flat_scratch, 0
	.set _ZN9rocsolver6v33100L23getf2_npvt_small_kernelILi38E19rocblas_complex_numIdEiiPS3_EEvT1_T3_lS5_lPT2_S5_S5_.has_dyn_sized_stack, 0
	.set _ZN9rocsolver6v33100L23getf2_npvt_small_kernelILi38E19rocblas_complex_numIdEiiPS3_EEvT1_T3_lS5_lPT2_S5_S5_.has_recursion, 0
	.set _ZN9rocsolver6v33100L23getf2_npvt_small_kernelILi38E19rocblas_complex_numIdEiiPS3_EEvT1_T3_lS5_lPT2_S5_S5_.has_indirect_call, 0
	.section	.AMDGPU.csdata,"",@progbits
; Kernel info:
; codeLenInByte = 72108
; TotalNumSgprs: 22
; NumVgprs: 256
; NumAgprs: 0
; TotalNumVgprs: 256
; ScratchSize: 548
; MemoryBound: 1
; FloatMode: 240
; IeeeMode: 1
; LDSByteSize: 0 bytes/workgroup (compile time only)
; SGPRBlocks: 2
; VGPRBlocks: 31
; NumSGPRsForWavesPerEU: 22
; NumVGPRsForWavesPerEU: 256
; AccumOffset: 256
; Occupancy: 2
; WaveLimiterHint : 0
; COMPUTE_PGM_RSRC2:SCRATCH_EN: 1
; COMPUTE_PGM_RSRC2:USER_SGPR: 2
; COMPUTE_PGM_RSRC2:TRAP_HANDLER: 0
; COMPUTE_PGM_RSRC2:TGID_X_EN: 1
; COMPUTE_PGM_RSRC2:TGID_Y_EN: 1
; COMPUTE_PGM_RSRC2:TGID_Z_EN: 0
; COMPUTE_PGM_RSRC2:TIDIG_COMP_CNT: 1
; COMPUTE_PGM_RSRC3_GFX90A:ACCUM_OFFSET: 63
; COMPUTE_PGM_RSRC3_GFX90A:TG_SPLIT: 0
	.section	.text._ZN9rocsolver6v33100L18getf2_small_kernelILi39E19rocblas_complex_numIdEiiPS3_EEvT1_T3_lS5_lPS5_llPT2_S5_S5_S7_l,"axG",@progbits,_ZN9rocsolver6v33100L18getf2_small_kernelILi39E19rocblas_complex_numIdEiiPS3_EEvT1_T3_lS5_lPS5_llPT2_S5_S5_S7_l,comdat
	.globl	_ZN9rocsolver6v33100L18getf2_small_kernelILi39E19rocblas_complex_numIdEiiPS3_EEvT1_T3_lS5_lPS5_llPT2_S5_S5_S7_l ; -- Begin function _ZN9rocsolver6v33100L18getf2_small_kernelILi39E19rocblas_complex_numIdEiiPS3_EEvT1_T3_lS5_lPS5_llPT2_S5_S5_S7_l
	.p2align	8
	.type	_ZN9rocsolver6v33100L18getf2_small_kernelILi39E19rocblas_complex_numIdEiiPS3_EEvT1_T3_lS5_lPS5_llPT2_S5_S5_S7_l,@function
_ZN9rocsolver6v33100L18getf2_small_kernelILi39E19rocblas_complex_numIdEiiPS3_EEvT1_T3_lS5_lPS5_llPT2_S5_S5_S7_l: ; @_ZN9rocsolver6v33100L18getf2_small_kernelILi39E19rocblas_complex_numIdEiiPS3_EEvT1_T3_lS5_lPS5_llPT2_S5_S5_S7_l
; %bb.0:
	s_load_dword s2, s[0:1], 0x6c
	s_load_dwordx2 s[12:13], s[0:1], 0x48
	v_bfe_u32 v156, v0, 10, 10
	s_waitcnt lgkmcnt(0)
	s_lshr_b32 s2, s2, 16
	s_mul_i32 s3, s3, s2
	v_add_u32_e32 v162, s3, v156
	v_cmp_gt_i32_e32 vcc, s12, v162
	s_and_saveexec_b64 s[2:3], vcc
	s_cbranch_execz .LBB76_820
; %bb.1:
	s_load_dwordx4 s[4:7], s[0:1], 0x50
	v_ashrrev_i32_e32 v163, 31, v162
	v_mov_b64_e32 v[164:165], 0
	s_waitcnt lgkmcnt(0)
	s_cmp_eq_u64 s[4:5], 0
	s_cselect_b64 s[14:15], -1, 0
	s_and_b64 vcc, exec, s[14:15]
	s_cbranch_vccnz .LBB76_3
; %bb.2:
	v_mul_lo_u32 v1, s7, v162
	v_mul_lo_u32 v4, s6, v163
	v_mad_u64_u32 v[2:3], s[2:3], s6, v162, 0
	v_add3_u32 v3, v3, v4, v1
	v_lshl_add_u64 v[164:165], v[2:3], 2, s[4:5]
.LBB76_3:
	s_load_dwordx4 s[16:19], s[0:1], 0x8
	s_load_dwordx8 s[4:11], s[0:1], 0x20
	s_load_dword s2, s[0:1], 0x18
	s_load_dword s20, s[0:1], 0x0
	v_and_b32_e32 v171, 0x3ff, v0
	s_waitcnt lgkmcnt(0)
	v_mov_b32_e32 v2, s16
	v_mul_lo_u32 v1, s5, v162
	v_mul_lo_u32 v6, s4, v163
	v_mad_u64_u32 v[4:5], s[4:5], s4, v162, 0
	v_mov_b32_e32 v3, s17
	v_add3_u32 v5, v5, v6, v1
	v_lshl_add_u64 v[2:3], v[4:5], 4, v[2:3]
	s_add_i32 s12, s2, s2
	v_lshl_add_u64 v[160:161], s[18:19], 4, v[2:3]
	v_add_u32_e32 v2, s12, v171
	v_add_u32_e32 v4, s2, v2
	;; [unrolled: 1-line block ×3, first 2 shown]
	v_lshlrev_b32_e32 v166, 4, v171
	v_mov_b32_e32 v167, 0
	v_add_u32_e32 v8, s2, v6
	v_lshl_add_u64 v[0:1], v[160:161], 0, v[166:167]
	s_ashr_i32 s3, s2, 31
	v_ashrrev_i32_e32 v9, 31, v8
	v_add_u32_e32 v12, s2, v8
	v_lshl_add_u64 v[10:11], s[2:3], 4, v[0:1]
	global_load_dwordx4 v[104:107], v[0:1], off
	global_load_dwordx4 v[96:99], v[10:11], off
	v_lshl_add_u64 v[0:1], v[8:9], 4, v[160:161]
	v_ashrrev_i32_e32 v13, 31, v12
	v_add_u32_e32 v8, s2, v12
	v_lshl_add_u64 v[10:11], v[12:13], 4, v[160:161]
	v_add_u32_e32 v12, s2, v8
	v_add_u32_e32 v14, s2, v12
	;; [unrolled: 1-line block ×15, first 2 shown]
	v_ashrrev_i32_e32 v41, 31, v40
	v_lshl_add_u64 v[42:43], v[40:41], 4, v[160:161]
	v_add_u32_e32 v40, s2, v40
	v_ashrrev_i32_e32 v41, 31, v40
	v_lshl_add_u64 v[44:45], v[40:41], 4, v[160:161]
	v_add_u32_e32 v40, s2, v40
	;; [unrolled: 3-line block ×15, first 2 shown]
	v_ashrrev_i32_e32 v41, 31, v40
	v_ashrrev_i32_e32 v3, 31, v2
	;; [unrolled: 1-line block ×19, first 2 shown]
	v_lshl_add_u64 v[186:187], v[40:41], 4, v[160:161]
	v_add_u32_e32 v40, s2, v40
	v_lshl_add_u64 v[2:3], v[2:3], 4, v[160:161]
	v_lshl_add_u64 v[4:5], v[4:5], 4, v[160:161]
	;; [unrolled: 1-line block ×18, first 2 shown]
	v_ashrrev_i32_e32 v41, 31, v40
	v_lshl_add_u64 v[188:189], v[40:41], 4, v[160:161]
	global_load_dwordx4 v[148:151], v[2:3], off
	global_load_dwordx4 v[144:147], v[4:5], off
	;; [unrolled: 1-line block ×9, first 2 shown]
                                        ; kill: killed $vgpr8_vgpr9
                                        ; kill: killed $vgpr12_vgpr13
                                        ; kill: killed $vgpr14_vgpr15
                                        ; kill: killed $vgpr16_vgpr17
                                        ; kill: killed $vgpr2_vgpr3
                                        ; kill: killed $vgpr4_vgpr5
                                        ; kill: killed $vgpr6_vgpr7
                                        ; kill: killed $vgpr0_vgpr1
                                        ; kill: killed $vgpr10_vgpr11
	global_load_dwordx4 v[112:115], v[18:19], off
	global_load_dwordx4 v[108:111], v[20:21], off
	;; [unrolled: 1-line block ×4, first 2 shown]
                                        ; kill: killed $vgpr18_vgpr19
                                        ; kill: killed $vgpr20_vgpr21
                                        ; kill: killed $vgpr22_vgpr23
                                        ; kill: killed $vgpr24_vgpr25
	global_load_dwordx4 v[88:91], v[26:27], off
	global_load_dwordx4 v[84:87], v[28:29], off
                                        ; kill: killed $vgpr28_vgpr29
                                        ; kill: killed $vgpr26_vgpr27
	global_load_dwordx4 v[80:83], v[30:31], off
	global_load_dwordx4 v[76:79], v[32:33], off
	;; [unrolled: 1-line block ×8, first 2 shown]
	s_nop 0
	global_load_dwordx4 v[48:51], v[48:49], off
	s_nop 0
	global_load_dwordx4 v[44:47], v[152:153], off
	global_load_dwordx4 v[40:43], v[154:155], off
	;; [unrolled: 1-line block ×13, first 2 shown]
	s_load_dwordx2 s[4:5], s[0:1], 0x40
	s_max_i32 s0, s20, 39
	v_mul_lo_u32 v169, s0, v156
	v_lshl_add_u32 v168, v169, 4, 0
	v_add_u32_e32 v156, v168, v166
	s_waitcnt vmcnt(38)
	ds_write2_b64 v156, v[104:105], v[106:107] offset1:1
	s_waitcnt lgkmcnt(0)
	s_barrier
	ds_read2_b64 v[156:159], v168 offset1:1
	s_cmp_lt_i32 s20, 2
	v_lshlrev_b32_e32 v172, 4, v169
	s_cbranch_scc1 .LBB76_6
; %bb.4:
	v_add3_u32 v166, v172, 0, 16
	s_mov_b32 s16, 1
	v_mov_b32_e32 v167, 0
.LBB76_5:                               ; =>This Inner Loop Header: Depth=1
	ds_read2_b64 v[174:177], v166 offset1:1
	s_waitcnt lgkmcnt(1)
	v_xor_b32_e32 v169, 0x80000000, v157
	v_xor_b32_e32 v170, 0x80000000, v159
	v_cmp_gt_f64_e32 vcc, 0, v[158:159]
	v_cmp_gt_f64_e64 s[0:1], 0, v[156:157]
	v_mov_b32_e32 v178, v156
	v_mov_b32_e32 v180, v158
	v_cndmask_b32_e64 v179, v157, v169, s[0:1]
	v_cndmask_b32_e32 v181, v159, v170, vcc
	s_waitcnt lgkmcnt(0)
	v_xor_b32_e32 v169, 0x80000000, v175
	v_xor_b32_e32 v170, 0x80000000, v177
	v_cmp_gt_f64_e32 vcc, 0, v[176:177]
	v_cmp_gt_f64_e64 s[0:1], 0, v[174:175]
	v_add_f64 v[178:179], v[178:179], v[180:181]
	v_mov_b32_e32 v180, v174
	v_mov_b32_e32 v182, v176
	v_cndmask_b32_e64 v181, v175, v169, s[0:1]
	v_cndmask_b32_e32 v183, v177, v170, vcc
	v_add_f64 v[180:181], v[180:181], v[182:183]
	v_mov_b32_e32 v173, s16
	s_add_i32 s16, s16, 1
	v_cmp_lt_f64_e32 vcc, v[178:179], v[180:181]
	v_add_u32_e32 v166, 16, v166
	s_cmp_eq_u32 s20, s16
	v_cndmask_b32_e32 v157, v157, v175, vcc
	v_cndmask_b32_e32 v156, v156, v174, vcc
	;; [unrolled: 1-line block ×5, first 2 shown]
	s_cbranch_scc0 .LBB76_5
.LBB76_6:
	s_waitcnt lgkmcnt(0)
	v_cmp_neq_f64_e32 vcc, 0, v[156:157]
	v_cmp_neq_f64_e64 s[0:1], 0, v[158:159]
	s_or_b64 s[16:17], vcc, s[0:1]
	v_mov_b32_e32 v170, 1
	v_mov_b32_e32 v173, 1
	s_and_saveexec_b64 s[0:1], s[16:17]
	s_cbranch_execz .LBB76_12
; %bb.7:
	v_cmp_ngt_f64_e64 s[16:17], |v[156:157]|, |v[158:159]|
	s_and_saveexec_b64 s[18:19], s[16:17]
	s_xor_b64 s[16:17], exec, s[18:19]
	s_cbranch_execz .LBB76_9
; %bb.8:
	v_div_scale_f64 v[174:175], s[18:19], v[158:159], v[158:159], v[156:157]
	v_rcp_f64_e32 v[176:177], v[174:175]
	v_div_scale_f64 v[178:179], vcc, v[156:157], v[158:159], v[156:157]
	v_fma_f64 v[180:181], -v[174:175], v[176:177], 1.0
	v_fmac_f64_e32 v[176:177], v[176:177], v[180:181]
	v_fma_f64 v[180:181], -v[174:175], v[176:177], 1.0
	v_fmac_f64_e32 v[176:177], v[176:177], v[180:181]
	v_mul_f64 v[180:181], v[178:179], v[176:177]
	v_fma_f64 v[174:175], -v[174:175], v[180:181], v[178:179]
	v_div_fmas_f64 v[174:175], v[174:175], v[176:177], v[180:181]
	v_div_fixup_f64 v[174:175], v[174:175], v[158:159], v[156:157]
	v_fmac_f64_e32 v[158:159], v[156:157], v[174:175]
	v_div_scale_f64 v[156:157], s[18:19], v[158:159], v[158:159], 1.0
	v_rcp_f64_e32 v[176:177], v[156:157]
	s_nop 0
	v_fma_f64 v[178:179], -v[156:157], v[176:177], 1.0
	v_fmac_f64_e32 v[176:177], v[176:177], v[178:179]
	v_fma_f64 v[178:179], -v[156:157], v[176:177], 1.0
	v_fmac_f64_e32 v[176:177], v[176:177], v[178:179]
	v_div_scale_f64 v[178:179], vcc, 1.0, v[158:159], 1.0
	v_mul_f64 v[180:181], v[178:179], v[176:177]
	v_fma_f64 v[156:157], -v[156:157], v[180:181], v[178:179]
	s_nop 1
	v_div_fmas_f64 v[156:157], v[156:157], v[176:177], v[180:181]
	v_div_fixup_f64 v[158:159], v[156:157], v[158:159], 1.0
	v_mul_f64 v[156:157], v[174:175], v[158:159]
	v_xor_b32_e32 v159, 0x80000000, v159
.LBB76_9:
	s_andn2_saveexec_b64 s[16:17], s[16:17]
	s_cbranch_execz .LBB76_11
; %bb.10:
	v_div_scale_f64 v[174:175], s[18:19], v[156:157], v[156:157], v[158:159]
	v_rcp_f64_e32 v[176:177], v[174:175]
	v_div_scale_f64 v[178:179], vcc, v[158:159], v[156:157], v[158:159]
	v_fma_f64 v[180:181], -v[174:175], v[176:177], 1.0
	v_fmac_f64_e32 v[176:177], v[176:177], v[180:181]
	v_fma_f64 v[180:181], -v[174:175], v[176:177], 1.0
	v_fmac_f64_e32 v[176:177], v[176:177], v[180:181]
	v_mul_f64 v[180:181], v[178:179], v[176:177]
	v_fma_f64 v[174:175], -v[174:175], v[180:181], v[178:179]
	v_div_fmas_f64 v[174:175], v[174:175], v[176:177], v[180:181]
	v_div_fixup_f64 v[174:175], v[174:175], v[156:157], v[158:159]
	v_fmac_f64_e32 v[156:157], v[158:159], v[174:175]
	v_div_scale_f64 v[158:159], s[18:19], v[156:157], v[156:157], 1.0
	v_rcp_f64_e32 v[176:177], v[158:159]
	s_nop 0
	v_fma_f64 v[178:179], -v[158:159], v[176:177], 1.0
	v_fmac_f64_e32 v[176:177], v[176:177], v[178:179]
	v_fma_f64 v[178:179], -v[158:159], v[176:177], 1.0
	v_fmac_f64_e32 v[176:177], v[176:177], v[178:179]
	v_div_scale_f64 v[178:179], vcc, 1.0, v[156:157], 1.0
	v_mul_f64 v[180:181], v[178:179], v[176:177]
	v_fma_f64 v[158:159], -v[158:159], v[180:181], v[178:179]
	s_nop 1
	v_div_fmas_f64 v[158:159], v[158:159], v[176:177], v[180:181]
	v_div_fixup_f64 v[156:157], v[158:159], v[156:157], 1.0
	v_mul_f64 v[158:159], v[174:175], -v[156:157]
.LBB76_11:
	s_or_b64 exec, exec, s[16:17]
	v_mov_b32_e32 v173, 0
	v_mov_b32_e32 v170, 2
.LBB76_12:
	s_or_b64 exec, exec, s[0:1]
	v_cmp_ne_u32_e32 vcc, v171, v167
	s_and_saveexec_b64 s[0:1], vcc
	s_xor_b64 s[0:1], exec, s[0:1]
	s_cbranch_execz .LBB76_18
; %bb.13:
	v_cmp_eq_u32_e32 vcc, 0, v171
	s_and_saveexec_b64 s[16:17], vcc
	s_cbranch_execz .LBB76_17
; %bb.14:
	v_cmp_ne_u32_e32 vcc, 0, v167
	s_xor_b64 s[18:19], s[14:15], -1
	s_and_b64 s[22:23], s[18:19], vcc
	s_and_saveexec_b64 s[18:19], s[22:23]
	s_cbranch_execz .LBB76_16
; %bb.15:
	v_ashrrev_i32_e32 v175, 31, v167
	v_mov_b32_e32 v174, v167
	v_lshl_add_u64 v[174:175], v[174:175], 2, v[164:165]
	global_load_dword v166, v[174:175], off
	global_load_dword v169, v[164:165], off
	s_waitcnt vmcnt(1)
	global_store_dword v[164:165], v166, off
	s_waitcnt vmcnt(1)
	global_store_dword v[174:175], v169, off
.LBB76_16:
	s_or_b64 exec, exec, s[18:19]
	v_mov_b32_e32 v171, v167
.LBB76_17:
	s_or_b64 exec, exec, s[16:17]
.LBB76_18:
	s_or_saveexec_b64 s[0:1], s[0:1]
	v_mov_b32_e32 v169, v171
	s_xor_b64 exec, exec, s[0:1]
	s_cbranch_execz .LBB76_20
; %bb.19:
	v_mov_b32_e32 v169, 0
	s_waitcnt vmcnt(37)
	ds_write2_b64 v168, v[96:97], v[98:99] offset0:2 offset1:3
	s_waitcnt vmcnt(36)
	ds_write2_b64 v168, v[148:149], v[150:151] offset0:4 offset1:5
	;; [unrolled: 2-line block ×38, first 2 shown]
.LBB76_20:
	s_or_b64 exec, exec, s[0:1]
	v_cmp_lt_i32_e32 vcc, 0, v169
	s_waitcnt lgkmcnt(0)
	s_barrier
	s_and_saveexec_b64 s[0:1], vcc
	s_cbranch_execz .LBB76_22
; %bb.21:
	ds_read2_b64 v[174:177], v168 offset0:2 offset1:3
	v_mul_f64 v[166:167], v[158:159], v[106:107]
	v_mul_f64 v[106:107], v[156:157], v[106:107]
	v_fma_f64 v[166:167], v[156:157], v[104:105], -v[166:167]
	v_fmac_f64_e32 v[106:107], v[158:159], v[104:105]
	ds_read2_b64 v[156:159], v168 offset0:4 offset1:5
	s_waitcnt lgkmcnt(1)
	v_mul_f64 v[104:105], v[176:177], v[106:107]
	v_fma_f64 v[104:105], v[174:175], v[166:167], -v[104:105]
	v_mul_f64 v[174:175], v[174:175], v[106:107]
	v_fmac_f64_e32 v[174:175], v[176:177], v[166:167]
	s_waitcnt vmcnt(37)
	v_add_f64 v[96:97], v[96:97], -v[104:105]
	s_waitcnt lgkmcnt(0)
	v_mul_f64 v[104:105], v[158:159], v[106:107]
	v_add_f64 v[98:99], v[98:99], -v[174:175]
	v_fma_f64 v[104:105], v[156:157], v[166:167], -v[104:105]
	v_mul_f64 v[156:157], v[156:157], v[106:107]
	ds_read2_b64 v[174:177], v168 offset0:6 offset1:7
	v_fmac_f64_e32 v[156:157], v[158:159], v[166:167]
	s_waitcnt vmcnt(36)
	v_add_f64 v[150:151], v[150:151], -v[156:157]
	ds_read2_b64 v[156:159], v168 offset0:8 offset1:9
	v_add_f64 v[148:149], v[148:149], -v[104:105]
	s_waitcnt lgkmcnt(1)
	v_mul_f64 v[104:105], v[176:177], v[106:107]
	v_fma_f64 v[104:105], v[174:175], v[166:167], -v[104:105]
	v_mul_f64 v[174:175], v[174:175], v[106:107]
	v_fmac_f64_e32 v[174:175], v[176:177], v[166:167]
	s_waitcnt vmcnt(35)
	v_add_f64 v[144:145], v[144:145], -v[104:105]
	s_waitcnt lgkmcnt(0)
	v_mul_f64 v[104:105], v[158:159], v[106:107]
	v_add_f64 v[146:147], v[146:147], -v[174:175]
	v_fma_f64 v[104:105], v[156:157], v[166:167], -v[104:105]
	v_mul_f64 v[156:157], v[156:157], v[106:107]
	ds_read2_b64 v[174:177], v168 offset0:10 offset1:11
	v_fmac_f64_e32 v[156:157], v[158:159], v[166:167]
	s_waitcnt vmcnt(34)
	v_add_f64 v[142:143], v[142:143], -v[156:157]
	ds_read2_b64 v[156:159], v168 offset0:12 offset1:13
	v_add_f64 v[140:141], v[140:141], -v[104:105]
	s_waitcnt lgkmcnt(1)
	v_mul_f64 v[104:105], v[176:177], v[106:107]
	v_fma_f64 v[104:105], v[174:175], v[166:167], -v[104:105]
	v_mul_f64 v[174:175], v[174:175], v[106:107]
	v_fmac_f64_e32 v[174:175], v[176:177], v[166:167]
	s_waitcnt vmcnt(33)
	v_add_f64 v[136:137], v[136:137], -v[104:105]
	s_waitcnt lgkmcnt(0)
	v_mul_f64 v[104:105], v[158:159], v[106:107]
	v_add_f64 v[138:139], v[138:139], -v[174:175]
	v_fma_f64 v[104:105], v[156:157], v[166:167], -v[104:105]
	v_mul_f64 v[156:157], v[156:157], v[106:107]
	ds_read2_b64 v[174:177], v168 offset0:14 offset1:15
	v_fmac_f64_e32 v[156:157], v[158:159], v[166:167]
	s_waitcnt vmcnt(32)
	v_add_f64 v[134:135], v[134:135], -v[156:157]
	ds_read2_b64 v[156:159], v168 offset0:16 offset1:17
	v_add_f64 v[132:133], v[132:133], -v[104:105]
	s_waitcnt lgkmcnt(1)
	v_mul_f64 v[104:105], v[176:177], v[106:107]
	v_fma_f64 v[104:105], v[174:175], v[166:167], -v[104:105]
	v_mul_f64 v[174:175], v[174:175], v[106:107]
	v_fmac_f64_e32 v[174:175], v[176:177], v[166:167]
	s_waitcnt vmcnt(31)
	v_add_f64 v[128:129], v[128:129], -v[104:105]
	s_waitcnt lgkmcnt(0)
	v_mul_f64 v[104:105], v[158:159], v[106:107]
	v_add_f64 v[130:131], v[130:131], -v[174:175]
	v_fma_f64 v[104:105], v[156:157], v[166:167], -v[104:105]
	v_mul_f64 v[156:157], v[156:157], v[106:107]
	ds_read2_b64 v[174:177], v168 offset0:18 offset1:19
	v_fmac_f64_e32 v[156:157], v[158:159], v[166:167]
	s_waitcnt vmcnt(30)
	v_add_f64 v[126:127], v[126:127], -v[156:157]
	ds_read2_b64 v[156:159], v168 offset0:20 offset1:21
	v_add_f64 v[124:125], v[124:125], -v[104:105]
	s_waitcnt lgkmcnt(1)
	v_mul_f64 v[104:105], v[176:177], v[106:107]
	v_fma_f64 v[104:105], v[174:175], v[166:167], -v[104:105]
	v_mul_f64 v[174:175], v[174:175], v[106:107]
	v_fmac_f64_e32 v[174:175], v[176:177], v[166:167]
	s_waitcnt vmcnt(29)
	v_add_f64 v[120:121], v[120:121], -v[104:105]
	s_waitcnt lgkmcnt(0)
	v_mul_f64 v[104:105], v[158:159], v[106:107]
	v_add_f64 v[122:123], v[122:123], -v[174:175]
	v_fma_f64 v[104:105], v[156:157], v[166:167], -v[104:105]
	v_mul_f64 v[156:157], v[156:157], v[106:107]
	ds_read2_b64 v[174:177], v168 offset0:22 offset1:23
	v_fmac_f64_e32 v[156:157], v[158:159], v[166:167]
	s_waitcnt vmcnt(28)
	v_add_f64 v[118:119], v[118:119], -v[156:157]
	ds_read2_b64 v[156:159], v168 offset0:24 offset1:25
	v_add_f64 v[116:117], v[116:117], -v[104:105]
	s_waitcnt lgkmcnt(1)
	v_mul_f64 v[104:105], v[176:177], v[106:107]
	v_fma_f64 v[104:105], v[174:175], v[166:167], -v[104:105]
	v_mul_f64 v[174:175], v[174:175], v[106:107]
	v_fmac_f64_e32 v[174:175], v[176:177], v[166:167]
	s_waitcnt vmcnt(27)
	v_add_f64 v[112:113], v[112:113], -v[104:105]
	s_waitcnt lgkmcnt(0)
	v_mul_f64 v[104:105], v[158:159], v[106:107]
	v_add_f64 v[114:115], v[114:115], -v[174:175]
	v_fma_f64 v[104:105], v[156:157], v[166:167], -v[104:105]
	v_mul_f64 v[156:157], v[156:157], v[106:107]
	ds_read2_b64 v[174:177], v168 offset0:26 offset1:27
	v_fmac_f64_e32 v[156:157], v[158:159], v[166:167]
	s_waitcnt vmcnt(26)
	v_add_f64 v[110:111], v[110:111], -v[156:157]
	ds_read2_b64 v[156:159], v168 offset0:28 offset1:29
	v_add_f64 v[108:109], v[108:109], -v[104:105]
	s_waitcnt lgkmcnt(1)
	v_mul_f64 v[104:105], v[176:177], v[106:107]
	v_fma_f64 v[104:105], v[174:175], v[166:167], -v[104:105]
	v_mul_f64 v[174:175], v[174:175], v[106:107]
	v_fmac_f64_e32 v[174:175], v[176:177], v[166:167]
	s_waitcnt vmcnt(25)
	v_add_f64 v[100:101], v[100:101], -v[104:105]
	s_waitcnt lgkmcnt(0)
	v_mul_f64 v[104:105], v[158:159], v[106:107]
	v_add_f64 v[102:103], v[102:103], -v[174:175]
	v_fma_f64 v[104:105], v[156:157], v[166:167], -v[104:105]
	v_mul_f64 v[156:157], v[156:157], v[106:107]
	ds_read2_b64 v[174:177], v168 offset0:30 offset1:31
	v_fmac_f64_e32 v[156:157], v[158:159], v[166:167]
	s_waitcnt vmcnt(24)
	v_add_f64 v[94:95], v[94:95], -v[156:157]
	ds_read2_b64 v[156:159], v168 offset0:32 offset1:33
	v_add_f64 v[92:93], v[92:93], -v[104:105]
	s_waitcnt lgkmcnt(1)
	v_mul_f64 v[104:105], v[176:177], v[106:107]
	v_fma_f64 v[104:105], v[174:175], v[166:167], -v[104:105]
	v_mul_f64 v[174:175], v[174:175], v[106:107]
	v_fmac_f64_e32 v[174:175], v[176:177], v[166:167]
	s_waitcnt vmcnt(23)
	v_add_f64 v[88:89], v[88:89], -v[104:105]
	s_waitcnt lgkmcnt(0)
	v_mul_f64 v[104:105], v[158:159], v[106:107]
	v_add_f64 v[90:91], v[90:91], -v[174:175]
	v_fma_f64 v[104:105], v[156:157], v[166:167], -v[104:105]
	v_mul_f64 v[156:157], v[156:157], v[106:107]
	ds_read2_b64 v[174:177], v168 offset0:34 offset1:35
	v_fmac_f64_e32 v[156:157], v[158:159], v[166:167]
	s_waitcnt vmcnt(22)
	v_add_f64 v[86:87], v[86:87], -v[156:157]
	ds_read2_b64 v[156:159], v168 offset0:36 offset1:37
	v_add_f64 v[84:85], v[84:85], -v[104:105]
	s_waitcnt lgkmcnt(1)
	v_mul_f64 v[104:105], v[176:177], v[106:107]
	v_fma_f64 v[104:105], v[174:175], v[166:167], -v[104:105]
	v_mul_f64 v[174:175], v[174:175], v[106:107]
	v_fmac_f64_e32 v[174:175], v[176:177], v[166:167]
	s_waitcnt vmcnt(21)
	v_add_f64 v[80:81], v[80:81], -v[104:105]
	s_waitcnt lgkmcnt(0)
	v_mul_f64 v[104:105], v[158:159], v[106:107]
	v_add_f64 v[82:83], v[82:83], -v[174:175]
	v_fma_f64 v[104:105], v[156:157], v[166:167], -v[104:105]
	v_mul_f64 v[156:157], v[156:157], v[106:107]
	ds_read2_b64 v[174:177], v168 offset0:38 offset1:39
	v_fmac_f64_e32 v[156:157], v[158:159], v[166:167]
	s_waitcnt vmcnt(20)
	v_add_f64 v[78:79], v[78:79], -v[156:157]
	ds_read2_b64 v[156:159], v168 offset0:40 offset1:41
	v_add_f64 v[76:77], v[76:77], -v[104:105]
	s_waitcnt lgkmcnt(1)
	v_mul_f64 v[104:105], v[176:177], v[106:107]
	v_fma_f64 v[104:105], v[174:175], v[166:167], -v[104:105]
	v_mul_f64 v[174:175], v[174:175], v[106:107]
	v_fmac_f64_e32 v[174:175], v[176:177], v[166:167]
	s_waitcnt vmcnt(19)
	v_add_f64 v[72:73], v[72:73], -v[104:105]
	s_waitcnt lgkmcnt(0)
	v_mul_f64 v[104:105], v[158:159], v[106:107]
	v_add_f64 v[74:75], v[74:75], -v[174:175]
	v_fma_f64 v[104:105], v[156:157], v[166:167], -v[104:105]
	v_mul_f64 v[156:157], v[156:157], v[106:107]
	ds_read2_b64 v[174:177], v168 offset0:42 offset1:43
	v_fmac_f64_e32 v[156:157], v[158:159], v[166:167]
	s_waitcnt vmcnt(18)
	v_add_f64 v[70:71], v[70:71], -v[156:157]
	ds_read2_b64 v[156:159], v168 offset0:44 offset1:45
	v_add_f64 v[68:69], v[68:69], -v[104:105]
	s_waitcnt lgkmcnt(1)
	v_mul_f64 v[104:105], v[176:177], v[106:107]
	v_fma_f64 v[104:105], v[174:175], v[166:167], -v[104:105]
	v_mul_f64 v[174:175], v[174:175], v[106:107]
	v_fmac_f64_e32 v[174:175], v[176:177], v[166:167]
	s_waitcnt vmcnt(17)
	v_add_f64 v[64:65], v[64:65], -v[104:105]
	s_waitcnt lgkmcnt(0)
	v_mul_f64 v[104:105], v[158:159], v[106:107]
	v_add_f64 v[66:67], v[66:67], -v[174:175]
	v_fma_f64 v[104:105], v[156:157], v[166:167], -v[104:105]
	v_mul_f64 v[156:157], v[156:157], v[106:107]
	ds_read2_b64 v[174:177], v168 offset0:46 offset1:47
	v_fmac_f64_e32 v[156:157], v[158:159], v[166:167]
	s_waitcnt vmcnt(16)
	v_add_f64 v[62:63], v[62:63], -v[156:157]
	ds_read2_b64 v[156:159], v168 offset0:48 offset1:49
	v_add_f64 v[60:61], v[60:61], -v[104:105]
	s_waitcnt lgkmcnt(1)
	v_mul_f64 v[104:105], v[176:177], v[106:107]
	v_fma_f64 v[104:105], v[174:175], v[166:167], -v[104:105]
	v_mul_f64 v[174:175], v[174:175], v[106:107]
	v_fmac_f64_e32 v[174:175], v[176:177], v[166:167]
	s_waitcnt vmcnt(15)
	v_add_f64 v[56:57], v[56:57], -v[104:105]
	s_waitcnt lgkmcnt(0)
	v_mul_f64 v[104:105], v[158:159], v[106:107]
	v_add_f64 v[58:59], v[58:59], -v[174:175]
	v_fma_f64 v[104:105], v[156:157], v[166:167], -v[104:105]
	v_mul_f64 v[156:157], v[156:157], v[106:107]
	ds_read2_b64 v[174:177], v168 offset0:50 offset1:51
	v_fmac_f64_e32 v[156:157], v[158:159], v[166:167]
	s_waitcnt vmcnt(14)
	v_add_f64 v[54:55], v[54:55], -v[156:157]
	ds_read2_b64 v[156:159], v168 offset0:52 offset1:53
	v_add_f64 v[52:53], v[52:53], -v[104:105]
	s_waitcnt lgkmcnt(1)
	v_mul_f64 v[104:105], v[176:177], v[106:107]
	v_fma_f64 v[104:105], v[174:175], v[166:167], -v[104:105]
	v_mul_f64 v[174:175], v[174:175], v[106:107]
	v_fmac_f64_e32 v[174:175], v[176:177], v[166:167]
	s_waitcnt vmcnt(13)
	v_add_f64 v[48:49], v[48:49], -v[104:105]
	s_waitcnt lgkmcnt(0)
	v_mul_f64 v[104:105], v[158:159], v[106:107]
	v_add_f64 v[50:51], v[50:51], -v[174:175]
	v_fma_f64 v[104:105], v[156:157], v[166:167], -v[104:105]
	v_mul_f64 v[156:157], v[156:157], v[106:107]
	ds_read2_b64 v[174:177], v168 offset0:54 offset1:55
	v_fmac_f64_e32 v[156:157], v[158:159], v[166:167]
	s_waitcnt vmcnt(12)
	v_add_f64 v[46:47], v[46:47], -v[156:157]
	ds_read2_b64 v[156:159], v168 offset0:56 offset1:57
	v_add_f64 v[44:45], v[44:45], -v[104:105]
	s_waitcnt lgkmcnt(1)
	v_mul_f64 v[104:105], v[176:177], v[106:107]
	v_fma_f64 v[104:105], v[174:175], v[166:167], -v[104:105]
	v_mul_f64 v[174:175], v[174:175], v[106:107]
	v_fmac_f64_e32 v[174:175], v[176:177], v[166:167]
	s_waitcnt vmcnt(11)
	v_add_f64 v[40:41], v[40:41], -v[104:105]
	s_waitcnt lgkmcnt(0)
	v_mul_f64 v[104:105], v[158:159], v[106:107]
	v_add_f64 v[42:43], v[42:43], -v[174:175]
	v_fma_f64 v[104:105], v[156:157], v[166:167], -v[104:105]
	v_mul_f64 v[156:157], v[156:157], v[106:107]
	ds_read2_b64 v[174:177], v168 offset0:58 offset1:59
	v_fmac_f64_e32 v[156:157], v[158:159], v[166:167]
	s_waitcnt vmcnt(10)
	v_add_f64 v[38:39], v[38:39], -v[156:157]
	ds_read2_b64 v[156:159], v168 offset0:60 offset1:61
	v_add_f64 v[36:37], v[36:37], -v[104:105]
	s_waitcnt lgkmcnt(1)
	v_mul_f64 v[104:105], v[176:177], v[106:107]
	v_fma_f64 v[104:105], v[174:175], v[166:167], -v[104:105]
	v_mul_f64 v[174:175], v[174:175], v[106:107]
	v_fmac_f64_e32 v[174:175], v[176:177], v[166:167]
	s_waitcnt vmcnt(9)
	v_add_f64 v[32:33], v[32:33], -v[104:105]
	s_waitcnt lgkmcnt(0)
	v_mul_f64 v[104:105], v[158:159], v[106:107]
	v_add_f64 v[34:35], v[34:35], -v[174:175]
	v_fma_f64 v[104:105], v[156:157], v[166:167], -v[104:105]
	v_mul_f64 v[156:157], v[156:157], v[106:107]
	ds_read2_b64 v[174:177], v168 offset0:62 offset1:63
	v_fmac_f64_e32 v[156:157], v[158:159], v[166:167]
	s_waitcnt vmcnt(8)
	v_add_f64 v[30:31], v[30:31], -v[156:157]
	ds_read2_b64 v[156:159], v168 offset0:64 offset1:65
	v_add_f64 v[28:29], v[28:29], -v[104:105]
	s_waitcnt lgkmcnt(1)
	v_mul_f64 v[104:105], v[176:177], v[106:107]
	v_fma_f64 v[104:105], v[174:175], v[166:167], -v[104:105]
	v_mul_f64 v[174:175], v[174:175], v[106:107]
	v_fmac_f64_e32 v[174:175], v[176:177], v[166:167]
	s_waitcnt vmcnt(7)
	v_add_f64 v[24:25], v[24:25], -v[104:105]
	s_waitcnt lgkmcnt(0)
	v_mul_f64 v[104:105], v[158:159], v[106:107]
	v_add_f64 v[26:27], v[26:27], -v[174:175]
	v_fma_f64 v[104:105], v[156:157], v[166:167], -v[104:105]
	v_mul_f64 v[156:157], v[156:157], v[106:107]
	ds_read2_b64 v[174:177], v168 offset0:66 offset1:67
	v_fmac_f64_e32 v[156:157], v[158:159], v[166:167]
	s_waitcnt vmcnt(6)
	v_add_f64 v[22:23], v[22:23], -v[156:157]
	ds_read2_b64 v[156:159], v168 offset0:68 offset1:69
	v_add_f64 v[20:21], v[20:21], -v[104:105]
	s_waitcnt lgkmcnt(1)
	v_mul_f64 v[104:105], v[176:177], v[106:107]
	v_fma_f64 v[104:105], v[174:175], v[166:167], -v[104:105]
	v_mul_f64 v[174:175], v[174:175], v[106:107]
	v_fmac_f64_e32 v[174:175], v[176:177], v[166:167]
	s_waitcnt vmcnt(5)
	v_add_f64 v[16:17], v[16:17], -v[104:105]
	s_waitcnt lgkmcnt(0)
	v_mul_f64 v[104:105], v[158:159], v[106:107]
	v_add_f64 v[18:19], v[18:19], -v[174:175]
	v_fma_f64 v[104:105], v[156:157], v[166:167], -v[104:105]
	v_mul_f64 v[156:157], v[156:157], v[106:107]
	ds_read2_b64 v[174:177], v168 offset0:70 offset1:71
	v_fmac_f64_e32 v[156:157], v[158:159], v[166:167]
	s_waitcnt vmcnt(4)
	v_add_f64 v[14:15], v[14:15], -v[156:157]
	ds_read2_b64 v[156:159], v168 offset0:72 offset1:73
	v_add_f64 v[12:13], v[12:13], -v[104:105]
	s_waitcnt lgkmcnt(1)
	v_mul_f64 v[104:105], v[176:177], v[106:107]
	v_fma_f64 v[104:105], v[174:175], v[166:167], -v[104:105]
	v_mul_f64 v[174:175], v[174:175], v[106:107]
	v_fmac_f64_e32 v[174:175], v[176:177], v[166:167]
	s_waitcnt vmcnt(3)
	v_add_f64 v[8:9], v[8:9], -v[104:105]
	s_waitcnt lgkmcnt(0)
	v_mul_f64 v[104:105], v[158:159], v[106:107]
	v_add_f64 v[10:11], v[10:11], -v[174:175]
	v_fma_f64 v[104:105], v[156:157], v[166:167], -v[104:105]
	v_mul_f64 v[156:157], v[156:157], v[106:107]
	ds_read2_b64 v[174:177], v168 offset0:74 offset1:75
	v_fmac_f64_e32 v[156:157], v[158:159], v[166:167]
	s_waitcnt vmcnt(2)
	v_add_f64 v[6:7], v[6:7], -v[156:157]
	ds_read2_b64 v[156:159], v168 offset0:76 offset1:77
	v_add_f64 v[4:5], v[4:5], -v[104:105]
	s_waitcnt lgkmcnt(1)
	v_mul_f64 v[104:105], v[176:177], v[106:107]
	v_fma_f64 v[104:105], v[174:175], v[166:167], -v[104:105]
	s_waitcnt vmcnt(1)
	v_add_f64 v[0:1], v[0:1], -v[104:105]
	s_waitcnt lgkmcnt(0)
	v_mul_f64 v[104:105], v[158:159], v[106:107]
	v_mul_f64 v[174:175], v[174:175], v[106:107]
	v_fma_f64 v[104:105], v[156:157], v[166:167], -v[104:105]
	v_mul_f64 v[156:157], v[156:157], v[106:107]
	v_fmac_f64_e32 v[174:175], v[176:177], v[166:167]
	v_fmac_f64_e32 v[156:157], v[158:159], v[166:167]
	v_add_f64 v[2:3], v[2:3], -v[174:175]
	s_waitcnt vmcnt(0)
	v_add_f64 v[152:153], v[152:153], -v[104:105]
	v_add_f64 v[154:155], v[154:155], -v[156:157]
	v_mov_b64_e32 v[104:105], v[166:167]
.LBB76_22:
	s_or_b64 exec, exec, s[0:1]
	v_lshl_add_u32 v156, v169, 4, v168
	s_barrier
	s_waitcnt vmcnt(37)
	ds_write2_b64 v156, v[96:97], v[98:99] offset1:1
	s_waitcnt lgkmcnt(0)
	s_barrier
	ds_read2_b64 v[156:159], v168 offset0:2 offset1:3
	s_cmp_lt_i32 s20, 3
	v_mov_b32_e32 v166, 1
	s_cbranch_scc1 .LBB76_25
; %bb.23:
	v_add3_u32 v167, v172, 0, 32
	s_mov_b32 s16, 2
	v_mov_b32_e32 v166, 1
.LBB76_24:                              ; =>This Inner Loop Header: Depth=1
	ds_read2_b64 v[174:177], v167 offset1:1
	s_waitcnt lgkmcnt(1)
	v_xor_b32_e32 v179, 0x80000000, v157
	v_xor_b32_e32 v181, 0x80000000, v159
	v_cmp_gt_f64_e32 vcc, 0, v[158:159]
	v_cmp_gt_f64_e64 s[0:1], 0, v[156:157]
	v_mov_b32_e32 v178, v156
	v_mov_b32_e32 v180, v158
	v_cndmask_b32_e64 v179, v157, v179, s[0:1]
	v_cndmask_b32_e32 v181, v159, v181, vcc
	v_add_f64 v[178:179], v[178:179], v[180:181]
	s_waitcnt lgkmcnt(0)
	v_xor_b32_e32 v181, 0x80000000, v175
	v_xor_b32_e32 v183, 0x80000000, v177
	v_cmp_gt_f64_e32 vcc, 0, v[176:177]
	v_cmp_gt_f64_e64 s[0:1], 0, v[174:175]
	v_mov_b32_e32 v180, v174
	v_mov_b32_e32 v182, v176
	v_cndmask_b32_e64 v181, v175, v181, s[0:1]
	v_cndmask_b32_e32 v183, v177, v183, vcc
	v_add_f64 v[180:181], v[180:181], v[182:183]
	v_mov_b32_e32 v184, s16
	s_add_i32 s16, s16, 1
	v_cmp_lt_f64_e32 vcc, v[178:179], v[180:181]
	v_add_u32_e32 v167, 16, v167
	s_cmp_lg_u32 s20, s16
	v_cndmask_b32_e32 v157, v157, v175, vcc
	v_cndmask_b32_e32 v156, v156, v174, vcc
	;; [unrolled: 1-line block ×5, first 2 shown]
	s_cbranch_scc1 .LBB76_24
.LBB76_25:
	s_waitcnt lgkmcnt(0)
	v_cmp_neq_f64_e32 vcc, 0, v[156:157]
	v_cmp_neq_f64_e64 s[0:1], 0, v[158:159]
	s_or_b64 s[16:17], vcc, s[0:1]
	s_and_saveexec_b64 s[0:1], s[16:17]
	s_cbranch_execz .LBB76_31
; %bb.26:
	v_cmp_ngt_f64_e64 s[16:17], |v[156:157]|, |v[158:159]|
	s_and_saveexec_b64 s[18:19], s[16:17]
	s_xor_b64 s[16:17], exec, s[18:19]
	s_cbranch_execz .LBB76_28
; %bb.27:
	v_div_scale_f64 v[174:175], s[18:19], v[158:159], v[158:159], v[156:157]
	v_rcp_f64_e32 v[176:177], v[174:175]
	v_div_scale_f64 v[178:179], vcc, v[156:157], v[158:159], v[156:157]
	v_fma_f64 v[180:181], -v[174:175], v[176:177], 1.0
	v_fmac_f64_e32 v[176:177], v[176:177], v[180:181]
	v_fma_f64 v[180:181], -v[174:175], v[176:177], 1.0
	v_fmac_f64_e32 v[176:177], v[176:177], v[180:181]
	v_mul_f64 v[180:181], v[178:179], v[176:177]
	v_fma_f64 v[174:175], -v[174:175], v[180:181], v[178:179]
	v_div_fmas_f64 v[174:175], v[174:175], v[176:177], v[180:181]
	v_div_fixup_f64 v[174:175], v[174:175], v[158:159], v[156:157]
	v_fmac_f64_e32 v[158:159], v[156:157], v[174:175]
	v_div_scale_f64 v[156:157], s[18:19], v[158:159], v[158:159], 1.0
	v_rcp_f64_e32 v[176:177], v[156:157]
	s_nop 0
	v_fma_f64 v[178:179], -v[156:157], v[176:177], 1.0
	v_fmac_f64_e32 v[176:177], v[176:177], v[178:179]
	v_fma_f64 v[178:179], -v[156:157], v[176:177], 1.0
	v_fmac_f64_e32 v[176:177], v[176:177], v[178:179]
	v_div_scale_f64 v[178:179], vcc, 1.0, v[158:159], 1.0
	v_mul_f64 v[180:181], v[178:179], v[176:177]
	v_fma_f64 v[156:157], -v[156:157], v[180:181], v[178:179]
	s_nop 1
	v_div_fmas_f64 v[156:157], v[156:157], v[176:177], v[180:181]
	v_div_fixup_f64 v[158:159], v[156:157], v[158:159], 1.0
	v_mul_f64 v[156:157], v[174:175], v[158:159]
	v_xor_b32_e32 v159, 0x80000000, v159
.LBB76_28:
	s_andn2_saveexec_b64 s[16:17], s[16:17]
	s_cbranch_execz .LBB76_30
; %bb.29:
	v_div_scale_f64 v[174:175], s[18:19], v[156:157], v[156:157], v[158:159]
	v_rcp_f64_e32 v[176:177], v[174:175]
	v_div_scale_f64 v[178:179], vcc, v[158:159], v[156:157], v[158:159]
	v_fma_f64 v[180:181], -v[174:175], v[176:177], 1.0
	v_fmac_f64_e32 v[176:177], v[176:177], v[180:181]
	v_fma_f64 v[180:181], -v[174:175], v[176:177], 1.0
	v_fmac_f64_e32 v[176:177], v[176:177], v[180:181]
	v_mul_f64 v[180:181], v[178:179], v[176:177]
	v_fma_f64 v[174:175], -v[174:175], v[180:181], v[178:179]
	v_div_fmas_f64 v[174:175], v[174:175], v[176:177], v[180:181]
	v_div_fixup_f64 v[174:175], v[174:175], v[156:157], v[158:159]
	v_fmac_f64_e32 v[156:157], v[158:159], v[174:175]
	v_div_scale_f64 v[158:159], s[18:19], v[156:157], v[156:157], 1.0
	v_rcp_f64_e32 v[176:177], v[158:159]
	s_nop 0
	v_fma_f64 v[178:179], -v[158:159], v[176:177], 1.0
	v_fmac_f64_e32 v[176:177], v[176:177], v[178:179]
	v_fma_f64 v[178:179], -v[158:159], v[176:177], 1.0
	v_fmac_f64_e32 v[176:177], v[176:177], v[178:179]
	v_div_scale_f64 v[178:179], vcc, 1.0, v[156:157], 1.0
	v_mul_f64 v[180:181], v[178:179], v[176:177]
	v_fma_f64 v[158:159], -v[158:159], v[180:181], v[178:179]
	s_nop 1
	v_div_fmas_f64 v[158:159], v[158:159], v[176:177], v[180:181]
	v_div_fixup_f64 v[156:157], v[158:159], v[156:157], 1.0
	v_mul_f64 v[158:159], v[174:175], -v[156:157]
.LBB76_30:
	s_or_b64 exec, exec, s[16:17]
	v_mov_b32_e32 v170, v173
.LBB76_31:
	s_or_b64 exec, exec, s[0:1]
	v_cmp_ne_u32_e32 vcc, v169, v166
	s_and_saveexec_b64 s[0:1], vcc
	s_xor_b64 s[0:1], exec, s[0:1]
	s_cbranch_execz .LBB76_37
; %bb.32:
	v_cmp_eq_u32_e32 vcc, 1, v169
	s_and_saveexec_b64 s[16:17], vcc
	s_cbranch_execz .LBB76_36
; %bb.33:
	v_cmp_ne_u32_e32 vcc, 1, v166
	s_xor_b64 s[18:19], s[14:15], -1
	s_and_b64 s[22:23], s[18:19], vcc
	s_and_saveexec_b64 s[18:19], s[22:23]
	s_cbranch_execz .LBB76_35
; %bb.34:
	v_ashrrev_i32_e32 v167, 31, v166
	v_lshl_add_u64 v[174:175], v[166:167], 2, v[164:165]
	global_load_dword v167, v[174:175], off
	global_load_dword v169, v[164:165], off offset:4
	s_waitcnt vmcnt(1)
	global_store_dword v[164:165], v167, off offset:4
	s_waitcnt vmcnt(1)
	global_store_dword v[174:175], v169, off
.LBB76_35:
	s_or_b64 exec, exec, s[18:19]
	v_mov_b32_e32 v169, v166
	v_mov_b32_e32 v171, v166
.LBB76_36:
	s_or_b64 exec, exec, s[16:17]
.LBB76_37:
	s_andn2_saveexec_b64 s[0:1], s[0:1]
	s_cbranch_execz .LBB76_39
; %bb.38:
	v_mov_b32_e32 v169, 1
	s_waitcnt vmcnt(36)
	ds_write2_b64 v168, v[148:149], v[150:151] offset0:4 offset1:5
	s_waitcnt vmcnt(35)
	ds_write2_b64 v168, v[144:145], v[146:147] offset0:6 offset1:7
	s_waitcnt vmcnt(34)
	ds_write2_b64 v168, v[140:141], v[142:143] offset0:8 offset1:9
	s_waitcnt vmcnt(33)
	ds_write2_b64 v168, v[136:137], v[138:139] offset0:10 offset1:11
	s_waitcnt vmcnt(32)
	ds_write2_b64 v168, v[132:133], v[134:135] offset0:12 offset1:13
	s_waitcnt vmcnt(31)
	ds_write2_b64 v168, v[128:129], v[130:131] offset0:14 offset1:15
	s_waitcnt vmcnt(30)
	ds_write2_b64 v168, v[124:125], v[126:127] offset0:16 offset1:17
	s_waitcnt vmcnt(29)
	ds_write2_b64 v168, v[120:121], v[122:123] offset0:18 offset1:19
	s_waitcnt vmcnt(28)
	ds_write2_b64 v168, v[116:117], v[118:119] offset0:20 offset1:21
	s_waitcnt vmcnt(27)
	ds_write2_b64 v168, v[112:113], v[114:115] offset0:22 offset1:23
	s_waitcnt vmcnt(26)
	ds_write2_b64 v168, v[108:109], v[110:111] offset0:24 offset1:25
	s_waitcnt vmcnt(25)
	ds_write2_b64 v168, v[100:101], v[102:103] offset0:26 offset1:27
	s_waitcnt vmcnt(24)
	ds_write2_b64 v168, v[92:93], v[94:95] offset0:28 offset1:29
	s_waitcnt vmcnt(23)
	ds_write2_b64 v168, v[88:89], v[90:91] offset0:30 offset1:31
	s_waitcnt vmcnt(22)
	ds_write2_b64 v168, v[84:85], v[86:87] offset0:32 offset1:33
	s_waitcnt vmcnt(21)
	ds_write2_b64 v168, v[80:81], v[82:83] offset0:34 offset1:35
	s_waitcnt vmcnt(20)
	ds_write2_b64 v168, v[76:77], v[78:79] offset0:36 offset1:37
	s_waitcnt vmcnt(19)
	ds_write2_b64 v168, v[72:73], v[74:75] offset0:38 offset1:39
	s_waitcnt vmcnt(18)
	ds_write2_b64 v168, v[68:69], v[70:71] offset0:40 offset1:41
	s_waitcnt vmcnt(17)
	ds_write2_b64 v168, v[64:65], v[66:67] offset0:42 offset1:43
	s_waitcnt vmcnt(16)
	ds_write2_b64 v168, v[60:61], v[62:63] offset0:44 offset1:45
	s_waitcnt vmcnt(15)
	ds_write2_b64 v168, v[56:57], v[58:59] offset0:46 offset1:47
	s_waitcnt vmcnt(14)
	ds_write2_b64 v168, v[52:53], v[54:55] offset0:48 offset1:49
	s_waitcnt vmcnt(13)
	ds_write2_b64 v168, v[48:49], v[50:51] offset0:50 offset1:51
	s_waitcnt vmcnt(12)
	ds_write2_b64 v168, v[44:45], v[46:47] offset0:52 offset1:53
	s_waitcnt vmcnt(11)
	ds_write2_b64 v168, v[40:41], v[42:43] offset0:54 offset1:55
	s_waitcnt vmcnt(10)
	ds_write2_b64 v168, v[36:37], v[38:39] offset0:56 offset1:57
	s_waitcnt vmcnt(9)
	ds_write2_b64 v168, v[32:33], v[34:35] offset0:58 offset1:59
	s_waitcnt vmcnt(8)
	ds_write2_b64 v168, v[28:29], v[30:31] offset0:60 offset1:61
	s_waitcnt vmcnt(7)
	ds_write2_b64 v168, v[24:25], v[26:27] offset0:62 offset1:63
	s_waitcnt vmcnt(6)
	ds_write2_b64 v168, v[20:21], v[22:23] offset0:64 offset1:65
	s_waitcnt vmcnt(5)
	ds_write2_b64 v168, v[16:17], v[18:19] offset0:66 offset1:67
	s_waitcnt vmcnt(4)
	ds_write2_b64 v168, v[12:13], v[14:15] offset0:68 offset1:69
	s_waitcnt vmcnt(3)
	ds_write2_b64 v168, v[8:9], v[10:11] offset0:70 offset1:71
	s_waitcnt vmcnt(2)
	ds_write2_b64 v168, v[4:5], v[6:7] offset0:72 offset1:73
	s_waitcnt vmcnt(1)
	ds_write2_b64 v168, v[0:1], v[2:3] offset0:74 offset1:75
	s_waitcnt vmcnt(0)
	ds_write2_b64 v168, v[152:153], v[154:155] offset0:76 offset1:77
.LBB76_39:
	s_or_b64 exec, exec, s[0:1]
	v_cmp_lt_i32_e32 vcc, 1, v169
	s_waitcnt lgkmcnt(0)
	s_barrier
	s_and_saveexec_b64 s[0:1], vcc
	s_cbranch_execz .LBB76_41
; %bb.40:
	ds_read2_b64 v[174:177], v168 offset0:4 offset1:5
	v_mul_f64 v[166:167], v[158:159], v[98:99]
	v_mul_f64 v[98:99], v[156:157], v[98:99]
	v_fmac_f64_e32 v[98:99], v[158:159], v[96:97]
	v_fma_f64 v[166:167], v[156:157], v[96:97], -v[166:167]
	ds_read2_b64 v[156:159], v168 offset0:6 offset1:7
	s_waitcnt lgkmcnt(1)
	v_mul_f64 v[96:97], v[176:177], v[98:99]
	v_fma_f64 v[96:97], v[174:175], v[166:167], -v[96:97]
	v_mul_f64 v[174:175], v[174:175], v[98:99]
	v_fmac_f64_e32 v[174:175], v[176:177], v[166:167]
	s_waitcnt vmcnt(36)
	v_add_f64 v[150:151], v[150:151], -v[174:175]
	ds_read2_b64 v[174:177], v168 offset0:8 offset1:9
	v_add_f64 v[148:149], v[148:149], -v[96:97]
	s_waitcnt lgkmcnt(1)
	v_mul_f64 v[96:97], v[158:159], v[98:99]
	v_fma_f64 v[96:97], v[156:157], v[166:167], -v[96:97]
	v_mul_f64 v[156:157], v[156:157], v[98:99]
	v_fmac_f64_e32 v[156:157], v[158:159], v[166:167]
	s_waitcnt vmcnt(35)
	v_add_f64 v[144:145], v[144:145], -v[96:97]
	v_add_f64 v[146:147], v[146:147], -v[156:157]
	ds_read2_b64 v[156:159], v168 offset0:10 offset1:11
	s_waitcnt lgkmcnt(1)
	v_mul_f64 v[96:97], v[176:177], v[98:99]
	v_fma_f64 v[96:97], v[174:175], v[166:167], -v[96:97]
	v_mul_f64 v[174:175], v[174:175], v[98:99]
	v_fmac_f64_e32 v[174:175], v[176:177], v[166:167]
	s_waitcnt vmcnt(34)
	v_add_f64 v[142:143], v[142:143], -v[174:175]
	ds_read2_b64 v[174:177], v168 offset0:12 offset1:13
	v_add_f64 v[140:141], v[140:141], -v[96:97]
	s_waitcnt lgkmcnt(1)
	v_mul_f64 v[96:97], v[158:159], v[98:99]
	v_fma_f64 v[96:97], v[156:157], v[166:167], -v[96:97]
	v_mul_f64 v[156:157], v[156:157], v[98:99]
	v_fmac_f64_e32 v[156:157], v[158:159], v[166:167]
	s_waitcnt vmcnt(33)
	v_add_f64 v[136:137], v[136:137], -v[96:97]
	v_add_f64 v[138:139], v[138:139], -v[156:157]
	;; [unrolled: 18-line block ×18, first 2 shown]
	s_waitcnt lgkmcnt(0)
	v_mul_f64 v[96:97], v[176:177], v[98:99]
	v_mul_f64 v[156:157], v[174:175], v[98:99]
	v_fma_f64 v[96:97], v[174:175], v[166:167], -v[96:97]
	v_fmac_f64_e32 v[156:157], v[176:177], v[166:167]
	s_waitcnt vmcnt(0)
	v_add_f64 v[152:153], v[152:153], -v[96:97]
	v_add_f64 v[154:155], v[154:155], -v[156:157]
	v_mov_b64_e32 v[96:97], v[166:167]
.LBB76_41:
	s_or_b64 exec, exec, s[0:1]
	v_lshl_add_u32 v156, v169, 4, v168
	s_barrier
	s_waitcnt vmcnt(36)
	ds_write2_b64 v156, v[148:149], v[150:151] offset1:1
	s_waitcnt lgkmcnt(0)
	s_barrier
	ds_read2_b64 v[156:159], v168 offset0:4 offset1:5
	s_cmp_lt_i32 s20, 4
	v_mov_b32_e32 v166, 2
	s_cbranch_scc1 .LBB76_44
; %bb.42:
	v_add3_u32 v167, v172, 0, 48
	s_mov_b32 s16, 3
	v_mov_b32_e32 v166, 2
.LBB76_43:                              ; =>This Inner Loop Header: Depth=1
	ds_read2_b64 v[174:177], v167 offset1:1
	s_waitcnt lgkmcnt(1)
	v_xor_b32_e32 v173, 0x80000000, v157
	v_xor_b32_e32 v181, 0x80000000, v159
	v_cmp_gt_f64_e32 vcc, 0, v[158:159]
	v_cmp_gt_f64_e64 s[0:1], 0, v[156:157]
	v_mov_b32_e32 v178, v156
	v_mov_b32_e32 v180, v158
	v_cndmask_b32_e64 v179, v157, v173, s[0:1]
	v_cndmask_b32_e32 v181, v159, v181, vcc
	s_waitcnt lgkmcnt(0)
	v_xor_b32_e32 v173, 0x80000000, v175
	v_xor_b32_e32 v183, 0x80000000, v177
	v_cmp_gt_f64_e32 vcc, 0, v[176:177]
	v_cmp_gt_f64_e64 s[0:1], 0, v[174:175]
	v_add_f64 v[178:179], v[178:179], v[180:181]
	v_mov_b32_e32 v180, v174
	v_mov_b32_e32 v182, v176
	v_cndmask_b32_e64 v181, v175, v173, s[0:1]
	v_cndmask_b32_e32 v183, v177, v183, vcc
	v_add_f64 v[180:181], v[180:181], v[182:183]
	v_mov_b32_e32 v184, s16
	s_add_i32 s16, s16, 1
	v_cmp_lt_f64_e32 vcc, v[178:179], v[180:181]
	v_add_u32_e32 v167, 16, v167
	s_cmp_lg_u32 s20, s16
	v_cndmask_b32_e32 v157, v157, v175, vcc
	v_cndmask_b32_e32 v156, v156, v174, vcc
	;; [unrolled: 1-line block ×5, first 2 shown]
	s_cbranch_scc1 .LBB76_43
.LBB76_44:
	s_waitcnt lgkmcnt(0)
	v_cmp_eq_f64_e32 vcc, 0, v[156:157]
	v_cmp_eq_f64_e64 s[0:1], 0, v[158:159]
	s_and_b64 s[0:1], vcc, s[0:1]
	s_and_saveexec_b64 s[16:17], s[0:1]
	s_xor_b64 s[0:1], exec, s[16:17]
; %bb.45:
	v_cmp_ne_u32_e32 vcc, 0, v170
	s_nop 1
	v_cndmask_b32_e32 v170, 3, v170, vcc
; %bb.46:
	s_andn2_saveexec_b64 s[0:1], s[0:1]
	s_cbranch_execz .LBB76_52
; %bb.47:
	v_cmp_ngt_f64_e64 s[16:17], |v[156:157]|, |v[158:159]|
	s_and_saveexec_b64 s[18:19], s[16:17]
	s_xor_b64 s[16:17], exec, s[18:19]
	s_cbranch_execz .LBB76_49
; %bb.48:
	v_div_scale_f64 v[174:175], s[18:19], v[158:159], v[158:159], v[156:157]
	v_rcp_f64_e32 v[176:177], v[174:175]
	v_div_scale_f64 v[178:179], vcc, v[156:157], v[158:159], v[156:157]
	v_fma_f64 v[180:181], -v[174:175], v[176:177], 1.0
	v_fmac_f64_e32 v[176:177], v[176:177], v[180:181]
	v_fma_f64 v[180:181], -v[174:175], v[176:177], 1.0
	v_fmac_f64_e32 v[176:177], v[176:177], v[180:181]
	v_mul_f64 v[180:181], v[178:179], v[176:177]
	v_fma_f64 v[174:175], -v[174:175], v[180:181], v[178:179]
	v_div_fmas_f64 v[174:175], v[174:175], v[176:177], v[180:181]
	v_div_fixup_f64 v[174:175], v[174:175], v[158:159], v[156:157]
	v_fmac_f64_e32 v[158:159], v[156:157], v[174:175]
	v_div_scale_f64 v[156:157], s[18:19], v[158:159], v[158:159], 1.0
	v_rcp_f64_e32 v[176:177], v[156:157]
	s_nop 0
	v_fma_f64 v[178:179], -v[156:157], v[176:177], 1.0
	v_fmac_f64_e32 v[176:177], v[176:177], v[178:179]
	v_fma_f64 v[178:179], -v[156:157], v[176:177], 1.0
	v_fmac_f64_e32 v[176:177], v[176:177], v[178:179]
	v_div_scale_f64 v[178:179], vcc, 1.0, v[158:159], 1.0
	v_mul_f64 v[180:181], v[178:179], v[176:177]
	v_fma_f64 v[156:157], -v[156:157], v[180:181], v[178:179]
	s_nop 1
	v_div_fmas_f64 v[156:157], v[156:157], v[176:177], v[180:181]
	v_div_fixup_f64 v[158:159], v[156:157], v[158:159], 1.0
	v_mul_f64 v[156:157], v[174:175], v[158:159]
	v_xor_b32_e32 v159, 0x80000000, v159
.LBB76_49:
	s_andn2_saveexec_b64 s[16:17], s[16:17]
	s_cbranch_execz .LBB76_51
; %bb.50:
	v_div_scale_f64 v[174:175], s[18:19], v[156:157], v[156:157], v[158:159]
	v_rcp_f64_e32 v[176:177], v[174:175]
	v_div_scale_f64 v[178:179], vcc, v[158:159], v[156:157], v[158:159]
	v_fma_f64 v[180:181], -v[174:175], v[176:177], 1.0
	v_fmac_f64_e32 v[176:177], v[176:177], v[180:181]
	v_fma_f64 v[180:181], -v[174:175], v[176:177], 1.0
	v_fmac_f64_e32 v[176:177], v[176:177], v[180:181]
	v_mul_f64 v[180:181], v[178:179], v[176:177]
	v_fma_f64 v[174:175], -v[174:175], v[180:181], v[178:179]
	v_div_fmas_f64 v[174:175], v[174:175], v[176:177], v[180:181]
	v_div_fixup_f64 v[174:175], v[174:175], v[156:157], v[158:159]
	v_fmac_f64_e32 v[156:157], v[158:159], v[174:175]
	v_div_scale_f64 v[158:159], s[18:19], v[156:157], v[156:157], 1.0
	v_rcp_f64_e32 v[176:177], v[158:159]
	s_nop 0
	v_fma_f64 v[178:179], -v[158:159], v[176:177], 1.0
	v_fmac_f64_e32 v[176:177], v[176:177], v[178:179]
	v_fma_f64 v[178:179], -v[158:159], v[176:177], 1.0
	v_fmac_f64_e32 v[176:177], v[176:177], v[178:179]
	v_div_scale_f64 v[178:179], vcc, 1.0, v[156:157], 1.0
	v_mul_f64 v[180:181], v[178:179], v[176:177]
	v_fma_f64 v[158:159], -v[158:159], v[180:181], v[178:179]
	s_nop 1
	v_div_fmas_f64 v[158:159], v[158:159], v[176:177], v[180:181]
	v_div_fixup_f64 v[156:157], v[158:159], v[156:157], 1.0
	v_mul_f64 v[158:159], v[174:175], -v[156:157]
.LBB76_51:
	s_or_b64 exec, exec, s[16:17]
.LBB76_52:
	s_or_b64 exec, exec, s[0:1]
	v_cmp_ne_u32_e32 vcc, v169, v166
	s_and_saveexec_b64 s[0:1], vcc
	s_xor_b64 s[0:1], exec, s[0:1]
	s_cbranch_execz .LBB76_58
; %bb.53:
	v_cmp_eq_u32_e32 vcc, 2, v169
	s_and_saveexec_b64 s[16:17], vcc
	s_cbranch_execz .LBB76_57
; %bb.54:
	v_cmp_ne_u32_e32 vcc, 2, v166
	s_xor_b64 s[18:19], s[14:15], -1
	s_and_b64 s[22:23], s[18:19], vcc
	s_and_saveexec_b64 s[18:19], s[22:23]
	s_cbranch_execz .LBB76_56
; %bb.55:
	v_ashrrev_i32_e32 v167, 31, v166
	v_lshl_add_u64 v[174:175], v[166:167], 2, v[164:165]
	global_load_dword v167, v[174:175], off
	global_load_dword v169, v[164:165], off offset:8
	s_waitcnt vmcnt(1)
	global_store_dword v[164:165], v167, off offset:8
	s_waitcnt vmcnt(1)
	global_store_dword v[174:175], v169, off
.LBB76_56:
	s_or_b64 exec, exec, s[18:19]
	v_mov_b32_e32 v169, v166
	v_mov_b32_e32 v171, v166
.LBB76_57:
	s_or_b64 exec, exec, s[16:17]
.LBB76_58:
	s_andn2_saveexec_b64 s[0:1], s[0:1]
	s_cbranch_execz .LBB76_60
; %bb.59:
	v_mov_b32_e32 v169, 2
	s_waitcnt vmcnt(35)
	ds_write2_b64 v168, v[144:145], v[146:147] offset0:6 offset1:7
	s_waitcnt vmcnt(34)
	ds_write2_b64 v168, v[140:141], v[142:143] offset0:8 offset1:9
	;; [unrolled: 2-line block ×36, first 2 shown]
.LBB76_60:
	s_or_b64 exec, exec, s[0:1]
	v_cmp_lt_i32_e32 vcc, 2, v169
	s_waitcnt lgkmcnt(0)
	s_barrier
	s_and_saveexec_b64 s[0:1], vcc
	s_cbranch_execz .LBB76_62
; %bb.61:
	ds_read2_b64 v[174:177], v168 offset0:6 offset1:7
	v_mul_f64 v[166:167], v[158:159], v[150:151]
	v_mul_f64 v[150:151], v[156:157], v[150:151]
	v_fma_f64 v[166:167], v[156:157], v[148:149], -v[166:167]
	v_fmac_f64_e32 v[150:151], v[158:159], v[148:149]
	ds_read2_b64 v[156:159], v168 offset0:8 offset1:9
	s_waitcnt lgkmcnt(1)
	v_mul_f64 v[148:149], v[176:177], v[150:151]
	v_fma_f64 v[148:149], v[174:175], v[166:167], -v[148:149]
	v_mul_f64 v[174:175], v[174:175], v[150:151]
	v_fmac_f64_e32 v[174:175], v[176:177], v[166:167]
	s_waitcnt vmcnt(35)
	v_add_f64 v[144:145], v[144:145], -v[148:149]
	s_waitcnt lgkmcnt(0)
	v_mul_f64 v[148:149], v[158:159], v[150:151]
	v_add_f64 v[146:147], v[146:147], -v[174:175]
	v_fma_f64 v[148:149], v[156:157], v[166:167], -v[148:149]
	v_mul_f64 v[156:157], v[156:157], v[150:151]
	ds_read2_b64 v[174:177], v168 offset0:10 offset1:11
	v_fmac_f64_e32 v[156:157], v[158:159], v[166:167]
	s_waitcnt vmcnt(34)
	v_add_f64 v[142:143], v[142:143], -v[156:157]
	ds_read2_b64 v[156:159], v168 offset0:12 offset1:13
	v_add_f64 v[140:141], v[140:141], -v[148:149]
	s_waitcnt lgkmcnt(1)
	v_mul_f64 v[148:149], v[176:177], v[150:151]
	v_fma_f64 v[148:149], v[174:175], v[166:167], -v[148:149]
	v_mul_f64 v[174:175], v[174:175], v[150:151]
	v_fmac_f64_e32 v[174:175], v[176:177], v[166:167]
	s_waitcnt vmcnt(33)
	v_add_f64 v[136:137], v[136:137], -v[148:149]
	s_waitcnt lgkmcnt(0)
	v_mul_f64 v[148:149], v[158:159], v[150:151]
	v_add_f64 v[138:139], v[138:139], -v[174:175]
	v_fma_f64 v[148:149], v[156:157], v[166:167], -v[148:149]
	v_mul_f64 v[156:157], v[156:157], v[150:151]
	ds_read2_b64 v[174:177], v168 offset0:14 offset1:15
	v_fmac_f64_e32 v[156:157], v[158:159], v[166:167]
	s_waitcnt vmcnt(32)
	v_add_f64 v[134:135], v[134:135], -v[156:157]
	ds_read2_b64 v[156:159], v168 offset0:16 offset1:17
	v_add_f64 v[132:133], v[132:133], -v[148:149]
	;; [unrolled: 18-line block ×17, first 2 shown]
	s_waitcnt lgkmcnt(1)
	v_mul_f64 v[148:149], v[176:177], v[150:151]
	v_fma_f64 v[148:149], v[174:175], v[166:167], -v[148:149]
	s_waitcnt vmcnt(1)
	v_add_f64 v[0:1], v[0:1], -v[148:149]
	s_waitcnt lgkmcnt(0)
	v_mul_f64 v[148:149], v[158:159], v[150:151]
	v_mul_f64 v[174:175], v[174:175], v[150:151]
	v_fma_f64 v[148:149], v[156:157], v[166:167], -v[148:149]
	v_mul_f64 v[156:157], v[156:157], v[150:151]
	v_fmac_f64_e32 v[174:175], v[176:177], v[166:167]
	v_fmac_f64_e32 v[156:157], v[158:159], v[166:167]
	v_add_f64 v[2:3], v[2:3], -v[174:175]
	s_waitcnt vmcnt(0)
	v_add_f64 v[152:153], v[152:153], -v[148:149]
	v_add_f64 v[154:155], v[154:155], -v[156:157]
	v_mov_b64_e32 v[148:149], v[166:167]
.LBB76_62:
	s_or_b64 exec, exec, s[0:1]
	v_lshl_add_u32 v156, v169, 4, v168
	s_barrier
	s_waitcnt vmcnt(35)
	ds_write2_b64 v156, v[144:145], v[146:147] offset1:1
	s_waitcnt lgkmcnt(0)
	s_barrier
	ds_read2_b64 v[156:159], v168 offset0:6 offset1:7
	s_mov_b32 s16, 4
	s_cmp_lt_i32 s20, 5
	v_mov_b32_e32 v166, 3
	s_cbranch_scc1 .LBB76_65
; %bb.63:
	v_add3_u32 v167, v172, 0, 64
	v_mov_b32_e32 v166, 3
.LBB76_64:                              ; =>This Inner Loop Header: Depth=1
	ds_read2_b64 v[172:175], v167 offset1:1
	s_waitcnt lgkmcnt(1)
	v_xor_b32_e32 v177, 0x80000000, v157
	v_xor_b32_e32 v179, 0x80000000, v159
	v_cmp_gt_f64_e32 vcc, 0, v[158:159]
	v_cmp_gt_f64_e64 s[0:1], 0, v[156:157]
	v_mov_b32_e32 v176, v156
	v_mov_b32_e32 v178, v158
	v_cndmask_b32_e64 v177, v157, v177, s[0:1]
	v_cndmask_b32_e32 v179, v159, v179, vcc
	v_add_f64 v[176:177], v[176:177], v[178:179]
	s_waitcnt lgkmcnt(0)
	v_xor_b32_e32 v179, 0x80000000, v173
	v_xor_b32_e32 v181, 0x80000000, v175
	v_cmp_gt_f64_e32 vcc, 0, v[174:175]
	v_cmp_gt_f64_e64 s[0:1], 0, v[172:173]
	v_mov_b32_e32 v178, v172
	v_mov_b32_e32 v180, v174
	v_cndmask_b32_e64 v179, v173, v179, s[0:1]
	v_cndmask_b32_e32 v181, v175, v181, vcc
	v_add_f64 v[178:179], v[178:179], v[180:181]
	v_mov_b32_e32 v182, s16
	s_add_i32 s16, s16, 1
	v_cmp_lt_f64_e32 vcc, v[176:177], v[178:179]
	v_add_u32_e32 v167, 16, v167
	s_cmp_lg_u32 s20, s16
	v_cndmask_b32_e32 v157, v157, v173, vcc
	v_cndmask_b32_e32 v156, v156, v172, vcc
	;; [unrolled: 1-line block ×5, first 2 shown]
	s_cbranch_scc1 .LBB76_64
.LBB76_65:
	s_waitcnt lgkmcnt(0)
	v_cmp_eq_f64_e32 vcc, 0, v[156:157]
	v_cmp_eq_f64_e64 s[0:1], 0, v[158:159]
	s_and_b64 s[0:1], vcc, s[0:1]
	s_and_saveexec_b64 s[16:17], s[0:1]
	s_xor_b64 s[0:1], exec, s[16:17]
; %bb.66:
	v_cmp_ne_u32_e32 vcc, 0, v170
	s_nop 1
	v_cndmask_b32_e32 v170, 4, v170, vcc
; %bb.67:
	s_andn2_saveexec_b64 s[0:1], s[0:1]
	s_cbranch_execz .LBB76_73
; %bb.68:
	v_cmp_ngt_f64_e64 s[16:17], |v[156:157]|, |v[158:159]|
	s_and_saveexec_b64 s[18:19], s[16:17]
	s_xor_b64 s[16:17], exec, s[18:19]
	s_cbranch_execz .LBB76_70
; %bb.69:
	v_div_scale_f64 v[172:173], s[18:19], v[158:159], v[158:159], v[156:157]
	v_rcp_f64_e32 v[174:175], v[172:173]
	v_div_scale_f64 v[176:177], vcc, v[156:157], v[158:159], v[156:157]
	v_fma_f64 v[178:179], -v[172:173], v[174:175], 1.0
	v_fmac_f64_e32 v[174:175], v[174:175], v[178:179]
	v_fma_f64 v[178:179], -v[172:173], v[174:175], 1.0
	v_fmac_f64_e32 v[174:175], v[174:175], v[178:179]
	v_mul_f64 v[178:179], v[176:177], v[174:175]
	v_fma_f64 v[172:173], -v[172:173], v[178:179], v[176:177]
	v_div_fmas_f64 v[172:173], v[172:173], v[174:175], v[178:179]
	v_div_fixup_f64 v[172:173], v[172:173], v[158:159], v[156:157]
	v_fmac_f64_e32 v[158:159], v[156:157], v[172:173]
	v_div_scale_f64 v[156:157], s[18:19], v[158:159], v[158:159], 1.0
	v_rcp_f64_e32 v[174:175], v[156:157]
	s_nop 0
	v_fma_f64 v[176:177], -v[156:157], v[174:175], 1.0
	v_fmac_f64_e32 v[174:175], v[174:175], v[176:177]
	v_fma_f64 v[176:177], -v[156:157], v[174:175], 1.0
	v_fmac_f64_e32 v[174:175], v[174:175], v[176:177]
	v_div_scale_f64 v[176:177], vcc, 1.0, v[158:159], 1.0
	v_mul_f64 v[178:179], v[176:177], v[174:175]
	v_fma_f64 v[156:157], -v[156:157], v[178:179], v[176:177]
	s_nop 1
	v_div_fmas_f64 v[156:157], v[156:157], v[174:175], v[178:179]
	v_div_fixup_f64 v[158:159], v[156:157], v[158:159], 1.0
	v_mul_f64 v[156:157], v[172:173], v[158:159]
	v_xor_b32_e32 v159, 0x80000000, v159
.LBB76_70:
	s_andn2_saveexec_b64 s[16:17], s[16:17]
	s_cbranch_execz .LBB76_72
; %bb.71:
	v_div_scale_f64 v[172:173], s[18:19], v[156:157], v[156:157], v[158:159]
	v_rcp_f64_e32 v[174:175], v[172:173]
	v_div_scale_f64 v[176:177], vcc, v[158:159], v[156:157], v[158:159]
	v_fma_f64 v[178:179], -v[172:173], v[174:175], 1.0
	v_fmac_f64_e32 v[174:175], v[174:175], v[178:179]
	v_fma_f64 v[178:179], -v[172:173], v[174:175], 1.0
	v_fmac_f64_e32 v[174:175], v[174:175], v[178:179]
	v_mul_f64 v[178:179], v[176:177], v[174:175]
	v_fma_f64 v[172:173], -v[172:173], v[178:179], v[176:177]
	v_div_fmas_f64 v[172:173], v[172:173], v[174:175], v[178:179]
	v_div_fixup_f64 v[172:173], v[172:173], v[156:157], v[158:159]
	v_fmac_f64_e32 v[156:157], v[158:159], v[172:173]
	v_div_scale_f64 v[158:159], s[18:19], v[156:157], v[156:157], 1.0
	v_rcp_f64_e32 v[174:175], v[158:159]
	s_nop 0
	v_fma_f64 v[176:177], -v[158:159], v[174:175], 1.0
	v_fmac_f64_e32 v[174:175], v[174:175], v[176:177]
	v_fma_f64 v[176:177], -v[158:159], v[174:175], 1.0
	v_fmac_f64_e32 v[174:175], v[174:175], v[176:177]
	v_div_scale_f64 v[176:177], vcc, 1.0, v[156:157], 1.0
	v_mul_f64 v[178:179], v[176:177], v[174:175]
	v_fma_f64 v[158:159], -v[158:159], v[178:179], v[176:177]
	s_nop 1
	v_div_fmas_f64 v[158:159], v[158:159], v[174:175], v[178:179]
	v_div_fixup_f64 v[156:157], v[158:159], v[156:157], 1.0
	v_mul_f64 v[158:159], v[172:173], -v[156:157]
.LBB76_72:
	s_or_b64 exec, exec, s[16:17]
.LBB76_73:
	s_or_b64 exec, exec, s[0:1]
	v_cmp_ne_u32_e32 vcc, v169, v166
	s_and_saveexec_b64 s[0:1], vcc
	s_xor_b64 s[0:1], exec, s[0:1]
	s_cbranch_execz .LBB76_79
; %bb.74:
	v_cmp_eq_u32_e32 vcc, 3, v169
	s_and_saveexec_b64 s[16:17], vcc
	s_cbranch_execz .LBB76_78
; %bb.75:
	v_cmp_ne_u32_e32 vcc, 3, v166
	s_xor_b64 s[18:19], s[14:15], -1
	s_and_b64 s[22:23], s[18:19], vcc
	s_and_saveexec_b64 s[18:19], s[22:23]
	s_cbranch_execz .LBB76_77
; %bb.76:
	v_ashrrev_i32_e32 v167, 31, v166
	v_lshl_add_u64 v[172:173], v[166:167], 2, v[164:165]
	global_load_dword v167, v[172:173], off
	global_load_dword v169, v[164:165], off offset:12
	s_waitcnt vmcnt(1)
	global_store_dword v[164:165], v167, off offset:12
	s_waitcnt vmcnt(1)
	global_store_dword v[172:173], v169, off
.LBB76_77:
	s_or_b64 exec, exec, s[18:19]
	v_mov_b32_e32 v169, v166
	v_mov_b32_e32 v171, v166
.LBB76_78:
	s_or_b64 exec, exec, s[16:17]
.LBB76_79:
	s_andn2_saveexec_b64 s[0:1], s[0:1]
	s_cbranch_execz .LBB76_81
; %bb.80:
	v_mov_b32_e32 v169, 3
	s_waitcnt vmcnt(34)
	ds_write2_b64 v168, v[140:141], v[142:143] offset0:8 offset1:9
	s_waitcnt vmcnt(33)
	ds_write2_b64 v168, v[136:137], v[138:139] offset0:10 offset1:11
	;; [unrolled: 2-line block ×35, first 2 shown]
.LBB76_81:
	s_or_b64 exec, exec, s[0:1]
	v_cmp_lt_i32_e32 vcc, 3, v169
	s_waitcnt lgkmcnt(0)
	s_barrier
	s_and_saveexec_b64 s[0:1], vcc
	s_cbranch_execz .LBB76_83
; %bb.82:
	ds_read2_b64 v[172:175], v168 offset0:8 offset1:9
	v_mul_f64 v[166:167], v[158:159], v[146:147]
	v_mul_f64 v[146:147], v[156:157], v[146:147]
	v_fmac_f64_e32 v[146:147], v[158:159], v[144:145]
	v_fma_f64 v[166:167], v[156:157], v[144:145], -v[166:167]
	ds_read2_b64 v[156:159], v168 offset0:10 offset1:11
	s_waitcnt lgkmcnt(1)
	v_mul_f64 v[144:145], v[174:175], v[146:147]
	v_fma_f64 v[144:145], v[172:173], v[166:167], -v[144:145]
	v_mul_f64 v[172:173], v[172:173], v[146:147]
	v_fmac_f64_e32 v[172:173], v[174:175], v[166:167]
	s_waitcnt vmcnt(34)
	v_add_f64 v[142:143], v[142:143], -v[172:173]
	ds_read2_b64 v[172:175], v168 offset0:12 offset1:13
	v_add_f64 v[140:141], v[140:141], -v[144:145]
	s_waitcnt lgkmcnt(1)
	v_mul_f64 v[144:145], v[158:159], v[146:147]
	v_fma_f64 v[144:145], v[156:157], v[166:167], -v[144:145]
	v_mul_f64 v[156:157], v[156:157], v[146:147]
	v_fmac_f64_e32 v[156:157], v[158:159], v[166:167]
	s_waitcnt vmcnt(33)
	v_add_f64 v[136:137], v[136:137], -v[144:145]
	v_add_f64 v[138:139], v[138:139], -v[156:157]
	ds_read2_b64 v[156:159], v168 offset0:14 offset1:15
	s_waitcnt lgkmcnt(1)
	v_mul_f64 v[144:145], v[174:175], v[146:147]
	v_fma_f64 v[144:145], v[172:173], v[166:167], -v[144:145]
	v_mul_f64 v[172:173], v[172:173], v[146:147]
	v_fmac_f64_e32 v[172:173], v[174:175], v[166:167]
	s_waitcnt vmcnt(32)
	v_add_f64 v[134:135], v[134:135], -v[172:173]
	ds_read2_b64 v[172:175], v168 offset0:16 offset1:17
	v_add_f64 v[132:133], v[132:133], -v[144:145]
	s_waitcnt lgkmcnt(1)
	v_mul_f64 v[144:145], v[158:159], v[146:147]
	v_fma_f64 v[144:145], v[156:157], v[166:167], -v[144:145]
	v_mul_f64 v[156:157], v[156:157], v[146:147]
	v_fmac_f64_e32 v[156:157], v[158:159], v[166:167]
	s_waitcnt vmcnt(31)
	v_add_f64 v[128:129], v[128:129], -v[144:145]
	v_add_f64 v[130:131], v[130:131], -v[156:157]
	;; [unrolled: 18-line block ×17, first 2 shown]
	s_waitcnt lgkmcnt(0)
	v_mul_f64 v[144:145], v[174:175], v[146:147]
	v_mul_f64 v[156:157], v[172:173], v[146:147]
	v_fma_f64 v[144:145], v[172:173], v[166:167], -v[144:145]
	v_fmac_f64_e32 v[156:157], v[174:175], v[166:167]
	s_waitcnt vmcnt(0)
	v_add_f64 v[152:153], v[152:153], -v[144:145]
	v_add_f64 v[154:155], v[154:155], -v[156:157]
	v_mov_b64_e32 v[144:145], v[166:167]
.LBB76_83:
	s_or_b64 exec, exec, s[0:1]
	v_lshl_add_u32 v156, v169, 4, v168
	s_barrier
	s_waitcnt vmcnt(34)
	ds_write2_b64 v156, v[140:141], v[142:143] offset1:1
	s_waitcnt lgkmcnt(0)
	s_barrier
	ds_read2_b64 v[156:159], v168 offset0:8 offset1:9
	s_cmp_lt_i32 s20, 6
	v_mov_b32_e32 v166, 4
	s_cbranch_scc1 .LBB76_86
; %bb.84:
	v_mov_b32_e32 v166, 4
	v_add_u32_e32 v167, 0x50, v168
	s_mov_b32 s16, 5
.LBB76_85:                              ; =>This Inner Loop Header: Depth=1
	ds_read2_b64 v[172:175], v167 offset1:1
	s_waitcnt lgkmcnt(1)
	v_xor_b32_e32 v177, 0x80000000, v157
	v_xor_b32_e32 v179, 0x80000000, v159
	v_cmp_gt_f64_e32 vcc, 0, v[158:159]
	v_cmp_gt_f64_e64 s[0:1], 0, v[156:157]
	v_mov_b32_e32 v176, v156
	v_mov_b32_e32 v178, v158
	v_cndmask_b32_e64 v177, v157, v177, s[0:1]
	v_cndmask_b32_e32 v179, v159, v179, vcc
	v_add_f64 v[176:177], v[176:177], v[178:179]
	s_waitcnt lgkmcnt(0)
	v_xor_b32_e32 v179, 0x80000000, v173
	v_xor_b32_e32 v181, 0x80000000, v175
	v_cmp_gt_f64_e32 vcc, 0, v[174:175]
	v_cmp_gt_f64_e64 s[0:1], 0, v[172:173]
	v_mov_b32_e32 v178, v172
	v_mov_b32_e32 v180, v174
	v_cndmask_b32_e64 v179, v173, v179, s[0:1]
	v_cndmask_b32_e32 v181, v175, v181, vcc
	v_add_f64 v[178:179], v[178:179], v[180:181]
	v_mov_b32_e32 v182, s16
	s_add_i32 s16, s16, 1
	v_cmp_lt_f64_e32 vcc, v[176:177], v[178:179]
	v_add_u32_e32 v167, 16, v167
	s_cmp_lg_u32 s20, s16
	v_cndmask_b32_e32 v157, v157, v173, vcc
	v_cndmask_b32_e32 v156, v156, v172, vcc
	;; [unrolled: 1-line block ×5, first 2 shown]
	s_cbranch_scc1 .LBB76_85
.LBB76_86:
	s_waitcnt lgkmcnt(0)
	v_cmp_eq_f64_e32 vcc, 0, v[156:157]
	v_cmp_eq_f64_e64 s[0:1], 0, v[158:159]
	s_and_b64 s[0:1], vcc, s[0:1]
	s_and_saveexec_b64 s[16:17], s[0:1]
	s_xor_b64 s[0:1], exec, s[16:17]
; %bb.87:
	v_cmp_ne_u32_e32 vcc, 0, v170
	s_nop 1
	v_cndmask_b32_e32 v170, 5, v170, vcc
; %bb.88:
	s_andn2_saveexec_b64 s[0:1], s[0:1]
	s_cbranch_execz .LBB76_94
; %bb.89:
	v_cmp_ngt_f64_e64 s[16:17], |v[156:157]|, |v[158:159]|
	s_and_saveexec_b64 s[18:19], s[16:17]
	s_xor_b64 s[16:17], exec, s[18:19]
	s_cbranch_execz .LBB76_91
; %bb.90:
	v_div_scale_f64 v[172:173], s[18:19], v[158:159], v[158:159], v[156:157]
	v_rcp_f64_e32 v[174:175], v[172:173]
	v_div_scale_f64 v[176:177], vcc, v[156:157], v[158:159], v[156:157]
	v_fma_f64 v[178:179], -v[172:173], v[174:175], 1.0
	v_fmac_f64_e32 v[174:175], v[174:175], v[178:179]
	v_fma_f64 v[178:179], -v[172:173], v[174:175], 1.0
	v_fmac_f64_e32 v[174:175], v[174:175], v[178:179]
	v_mul_f64 v[178:179], v[176:177], v[174:175]
	v_fma_f64 v[172:173], -v[172:173], v[178:179], v[176:177]
	v_div_fmas_f64 v[172:173], v[172:173], v[174:175], v[178:179]
	v_div_fixup_f64 v[172:173], v[172:173], v[158:159], v[156:157]
	v_fmac_f64_e32 v[158:159], v[156:157], v[172:173]
	v_div_scale_f64 v[156:157], s[18:19], v[158:159], v[158:159], 1.0
	v_rcp_f64_e32 v[174:175], v[156:157]
	s_nop 0
	v_fma_f64 v[176:177], -v[156:157], v[174:175], 1.0
	v_fmac_f64_e32 v[174:175], v[174:175], v[176:177]
	v_fma_f64 v[176:177], -v[156:157], v[174:175], 1.0
	v_fmac_f64_e32 v[174:175], v[174:175], v[176:177]
	v_div_scale_f64 v[176:177], vcc, 1.0, v[158:159], 1.0
	v_mul_f64 v[178:179], v[176:177], v[174:175]
	v_fma_f64 v[156:157], -v[156:157], v[178:179], v[176:177]
	s_nop 1
	v_div_fmas_f64 v[156:157], v[156:157], v[174:175], v[178:179]
	v_div_fixup_f64 v[158:159], v[156:157], v[158:159], 1.0
	v_mul_f64 v[156:157], v[172:173], v[158:159]
	v_xor_b32_e32 v159, 0x80000000, v159
.LBB76_91:
	s_andn2_saveexec_b64 s[16:17], s[16:17]
	s_cbranch_execz .LBB76_93
; %bb.92:
	v_div_scale_f64 v[172:173], s[18:19], v[156:157], v[156:157], v[158:159]
	v_rcp_f64_e32 v[174:175], v[172:173]
	v_div_scale_f64 v[176:177], vcc, v[158:159], v[156:157], v[158:159]
	v_fma_f64 v[178:179], -v[172:173], v[174:175], 1.0
	v_fmac_f64_e32 v[174:175], v[174:175], v[178:179]
	v_fma_f64 v[178:179], -v[172:173], v[174:175], 1.0
	v_fmac_f64_e32 v[174:175], v[174:175], v[178:179]
	v_mul_f64 v[178:179], v[176:177], v[174:175]
	v_fma_f64 v[172:173], -v[172:173], v[178:179], v[176:177]
	v_div_fmas_f64 v[172:173], v[172:173], v[174:175], v[178:179]
	v_div_fixup_f64 v[172:173], v[172:173], v[156:157], v[158:159]
	v_fmac_f64_e32 v[156:157], v[158:159], v[172:173]
	v_div_scale_f64 v[158:159], s[18:19], v[156:157], v[156:157], 1.0
	v_rcp_f64_e32 v[174:175], v[158:159]
	s_nop 0
	v_fma_f64 v[176:177], -v[158:159], v[174:175], 1.0
	v_fmac_f64_e32 v[174:175], v[174:175], v[176:177]
	v_fma_f64 v[176:177], -v[158:159], v[174:175], 1.0
	v_fmac_f64_e32 v[174:175], v[174:175], v[176:177]
	v_div_scale_f64 v[176:177], vcc, 1.0, v[156:157], 1.0
	v_mul_f64 v[178:179], v[176:177], v[174:175]
	v_fma_f64 v[158:159], -v[158:159], v[178:179], v[176:177]
	s_nop 1
	v_div_fmas_f64 v[158:159], v[158:159], v[174:175], v[178:179]
	v_div_fixup_f64 v[156:157], v[158:159], v[156:157], 1.0
	v_mul_f64 v[158:159], v[172:173], -v[156:157]
.LBB76_93:
	s_or_b64 exec, exec, s[16:17]
.LBB76_94:
	s_or_b64 exec, exec, s[0:1]
	v_cmp_ne_u32_e32 vcc, v169, v166
	s_and_saveexec_b64 s[0:1], vcc
	s_xor_b64 s[0:1], exec, s[0:1]
	s_cbranch_execz .LBB76_100
; %bb.95:
	v_cmp_eq_u32_e32 vcc, 4, v169
	s_and_saveexec_b64 s[16:17], vcc
	s_cbranch_execz .LBB76_99
; %bb.96:
	v_cmp_ne_u32_e32 vcc, 4, v166
	s_xor_b64 s[18:19], s[14:15], -1
	s_and_b64 s[22:23], s[18:19], vcc
	s_and_saveexec_b64 s[18:19], s[22:23]
	s_cbranch_execz .LBB76_98
; %bb.97:
	v_ashrrev_i32_e32 v167, 31, v166
	v_lshl_add_u64 v[172:173], v[166:167], 2, v[164:165]
	global_load_dword v167, v[172:173], off
	global_load_dword v169, v[164:165], off offset:16
	s_waitcnt vmcnt(1)
	global_store_dword v[164:165], v167, off offset:16
	s_waitcnt vmcnt(1)
	global_store_dword v[172:173], v169, off
.LBB76_98:
	s_or_b64 exec, exec, s[18:19]
	v_mov_b32_e32 v169, v166
	v_mov_b32_e32 v171, v166
.LBB76_99:
	s_or_b64 exec, exec, s[16:17]
.LBB76_100:
	s_andn2_saveexec_b64 s[0:1], s[0:1]
	s_cbranch_execz .LBB76_102
; %bb.101:
	v_mov_b32_e32 v169, 4
	s_waitcnt vmcnt(33)
	ds_write2_b64 v168, v[136:137], v[138:139] offset0:10 offset1:11
	s_waitcnt vmcnt(32)
	ds_write2_b64 v168, v[132:133], v[134:135] offset0:12 offset1:13
	;; [unrolled: 2-line block ×34, first 2 shown]
.LBB76_102:
	s_or_b64 exec, exec, s[0:1]
	v_cmp_lt_i32_e32 vcc, 4, v169
	s_waitcnt lgkmcnt(0)
	s_barrier
	s_and_saveexec_b64 s[0:1], vcc
	s_cbranch_execz .LBB76_104
; %bb.103:
	ds_read2_b64 v[172:175], v168 offset0:10 offset1:11
	v_mul_f64 v[166:167], v[158:159], v[142:143]
	v_mul_f64 v[142:143], v[156:157], v[142:143]
	v_fma_f64 v[166:167], v[156:157], v[140:141], -v[166:167]
	v_fmac_f64_e32 v[142:143], v[158:159], v[140:141]
	ds_read2_b64 v[156:159], v168 offset0:12 offset1:13
	s_waitcnt lgkmcnt(1)
	v_mul_f64 v[140:141], v[174:175], v[142:143]
	v_fma_f64 v[140:141], v[172:173], v[166:167], -v[140:141]
	v_mul_f64 v[172:173], v[172:173], v[142:143]
	v_fmac_f64_e32 v[172:173], v[174:175], v[166:167]
	s_waitcnt vmcnt(33)
	v_add_f64 v[136:137], v[136:137], -v[140:141]
	s_waitcnt lgkmcnt(0)
	v_mul_f64 v[140:141], v[158:159], v[142:143]
	v_add_f64 v[138:139], v[138:139], -v[172:173]
	v_fma_f64 v[140:141], v[156:157], v[166:167], -v[140:141]
	v_mul_f64 v[156:157], v[156:157], v[142:143]
	ds_read2_b64 v[172:175], v168 offset0:14 offset1:15
	v_fmac_f64_e32 v[156:157], v[158:159], v[166:167]
	s_waitcnt vmcnt(32)
	v_add_f64 v[134:135], v[134:135], -v[156:157]
	ds_read2_b64 v[156:159], v168 offset0:16 offset1:17
	v_add_f64 v[132:133], v[132:133], -v[140:141]
	s_waitcnt lgkmcnt(1)
	v_mul_f64 v[140:141], v[174:175], v[142:143]
	v_fma_f64 v[140:141], v[172:173], v[166:167], -v[140:141]
	v_mul_f64 v[172:173], v[172:173], v[142:143]
	v_fmac_f64_e32 v[172:173], v[174:175], v[166:167]
	s_waitcnt vmcnt(31)
	v_add_f64 v[128:129], v[128:129], -v[140:141]
	s_waitcnt lgkmcnt(0)
	v_mul_f64 v[140:141], v[158:159], v[142:143]
	v_add_f64 v[130:131], v[130:131], -v[172:173]
	v_fma_f64 v[140:141], v[156:157], v[166:167], -v[140:141]
	v_mul_f64 v[156:157], v[156:157], v[142:143]
	ds_read2_b64 v[172:175], v168 offset0:18 offset1:19
	v_fmac_f64_e32 v[156:157], v[158:159], v[166:167]
	s_waitcnt vmcnt(30)
	v_add_f64 v[126:127], v[126:127], -v[156:157]
	ds_read2_b64 v[156:159], v168 offset0:20 offset1:21
	v_add_f64 v[124:125], v[124:125], -v[140:141]
	;; [unrolled: 18-line block ×16, first 2 shown]
	s_waitcnt lgkmcnt(1)
	v_mul_f64 v[140:141], v[174:175], v[142:143]
	v_fma_f64 v[140:141], v[172:173], v[166:167], -v[140:141]
	s_waitcnt vmcnt(1)
	v_add_f64 v[0:1], v[0:1], -v[140:141]
	s_waitcnt lgkmcnt(0)
	v_mul_f64 v[140:141], v[158:159], v[142:143]
	v_mul_f64 v[172:173], v[172:173], v[142:143]
	v_fma_f64 v[140:141], v[156:157], v[166:167], -v[140:141]
	v_mul_f64 v[156:157], v[156:157], v[142:143]
	v_fmac_f64_e32 v[172:173], v[174:175], v[166:167]
	v_fmac_f64_e32 v[156:157], v[158:159], v[166:167]
	v_add_f64 v[2:3], v[2:3], -v[172:173]
	s_waitcnt vmcnt(0)
	v_add_f64 v[152:153], v[152:153], -v[140:141]
	v_add_f64 v[154:155], v[154:155], -v[156:157]
	v_mov_b64_e32 v[140:141], v[166:167]
.LBB76_104:
	s_or_b64 exec, exec, s[0:1]
	v_lshl_add_u32 v156, v169, 4, v168
	s_barrier
	s_waitcnt vmcnt(33)
	ds_write2_b64 v156, v[136:137], v[138:139] offset1:1
	s_waitcnt lgkmcnt(0)
	s_barrier
	ds_read2_b64 v[156:159], v168 offset0:10 offset1:11
	s_cmp_lt_i32 s20, 7
	v_mov_b32_e32 v166, 5
	s_cbranch_scc1 .LBB76_107
; %bb.105:
	v_add_u32_e32 v167, 0x60, v168
	s_mov_b32 s16, 6
	v_mov_b32_e32 v166, 5
.LBB76_106:                             ; =>This Inner Loop Header: Depth=1
	ds_read2_b64 v[172:175], v167 offset1:1
	s_waitcnt lgkmcnt(1)
	v_xor_b32_e32 v177, 0x80000000, v157
	v_xor_b32_e32 v179, 0x80000000, v159
	v_cmp_gt_f64_e32 vcc, 0, v[158:159]
	v_cmp_gt_f64_e64 s[0:1], 0, v[156:157]
	v_mov_b32_e32 v176, v156
	v_mov_b32_e32 v178, v158
	v_cndmask_b32_e64 v177, v157, v177, s[0:1]
	v_cndmask_b32_e32 v179, v159, v179, vcc
	v_add_f64 v[176:177], v[176:177], v[178:179]
	s_waitcnt lgkmcnt(0)
	v_xor_b32_e32 v179, 0x80000000, v173
	v_xor_b32_e32 v181, 0x80000000, v175
	v_cmp_gt_f64_e32 vcc, 0, v[174:175]
	v_cmp_gt_f64_e64 s[0:1], 0, v[172:173]
	v_mov_b32_e32 v178, v172
	v_mov_b32_e32 v180, v174
	v_cndmask_b32_e64 v179, v173, v179, s[0:1]
	v_cndmask_b32_e32 v181, v175, v181, vcc
	v_add_f64 v[178:179], v[178:179], v[180:181]
	v_mov_b32_e32 v182, s16
	s_add_i32 s16, s16, 1
	v_cmp_lt_f64_e32 vcc, v[176:177], v[178:179]
	v_add_u32_e32 v167, 16, v167
	s_cmp_lg_u32 s20, s16
	v_cndmask_b32_e32 v157, v157, v173, vcc
	v_cndmask_b32_e32 v156, v156, v172, vcc
	;; [unrolled: 1-line block ×5, first 2 shown]
	s_cbranch_scc1 .LBB76_106
.LBB76_107:
	s_waitcnt lgkmcnt(0)
	v_cmp_eq_f64_e32 vcc, 0, v[156:157]
	v_cmp_eq_f64_e64 s[0:1], 0, v[158:159]
	s_and_b64 s[0:1], vcc, s[0:1]
	s_and_saveexec_b64 s[16:17], s[0:1]
	s_xor_b64 s[0:1], exec, s[16:17]
; %bb.108:
	v_cmp_ne_u32_e32 vcc, 0, v170
	s_nop 1
	v_cndmask_b32_e32 v170, 6, v170, vcc
; %bb.109:
	s_andn2_saveexec_b64 s[0:1], s[0:1]
	s_cbranch_execz .LBB76_115
; %bb.110:
	v_cmp_ngt_f64_e64 s[16:17], |v[156:157]|, |v[158:159]|
	s_and_saveexec_b64 s[18:19], s[16:17]
	s_xor_b64 s[16:17], exec, s[18:19]
	s_cbranch_execz .LBB76_112
; %bb.111:
	v_div_scale_f64 v[172:173], s[18:19], v[158:159], v[158:159], v[156:157]
	v_rcp_f64_e32 v[174:175], v[172:173]
	v_div_scale_f64 v[176:177], vcc, v[156:157], v[158:159], v[156:157]
	v_fma_f64 v[178:179], -v[172:173], v[174:175], 1.0
	v_fmac_f64_e32 v[174:175], v[174:175], v[178:179]
	v_fma_f64 v[178:179], -v[172:173], v[174:175], 1.0
	v_fmac_f64_e32 v[174:175], v[174:175], v[178:179]
	v_mul_f64 v[178:179], v[176:177], v[174:175]
	v_fma_f64 v[172:173], -v[172:173], v[178:179], v[176:177]
	v_div_fmas_f64 v[172:173], v[172:173], v[174:175], v[178:179]
	v_div_fixup_f64 v[172:173], v[172:173], v[158:159], v[156:157]
	v_fmac_f64_e32 v[158:159], v[156:157], v[172:173]
	v_div_scale_f64 v[156:157], s[18:19], v[158:159], v[158:159], 1.0
	v_rcp_f64_e32 v[174:175], v[156:157]
	s_nop 0
	v_fma_f64 v[176:177], -v[156:157], v[174:175], 1.0
	v_fmac_f64_e32 v[174:175], v[174:175], v[176:177]
	v_fma_f64 v[176:177], -v[156:157], v[174:175], 1.0
	v_fmac_f64_e32 v[174:175], v[174:175], v[176:177]
	v_div_scale_f64 v[176:177], vcc, 1.0, v[158:159], 1.0
	v_mul_f64 v[178:179], v[176:177], v[174:175]
	v_fma_f64 v[156:157], -v[156:157], v[178:179], v[176:177]
	s_nop 1
	v_div_fmas_f64 v[156:157], v[156:157], v[174:175], v[178:179]
	v_div_fixup_f64 v[158:159], v[156:157], v[158:159], 1.0
	v_mul_f64 v[156:157], v[172:173], v[158:159]
	v_xor_b32_e32 v159, 0x80000000, v159
.LBB76_112:
	s_andn2_saveexec_b64 s[16:17], s[16:17]
	s_cbranch_execz .LBB76_114
; %bb.113:
	v_div_scale_f64 v[172:173], s[18:19], v[156:157], v[156:157], v[158:159]
	v_rcp_f64_e32 v[174:175], v[172:173]
	v_div_scale_f64 v[176:177], vcc, v[158:159], v[156:157], v[158:159]
	v_fma_f64 v[178:179], -v[172:173], v[174:175], 1.0
	v_fmac_f64_e32 v[174:175], v[174:175], v[178:179]
	v_fma_f64 v[178:179], -v[172:173], v[174:175], 1.0
	v_fmac_f64_e32 v[174:175], v[174:175], v[178:179]
	v_mul_f64 v[178:179], v[176:177], v[174:175]
	v_fma_f64 v[172:173], -v[172:173], v[178:179], v[176:177]
	v_div_fmas_f64 v[172:173], v[172:173], v[174:175], v[178:179]
	v_div_fixup_f64 v[172:173], v[172:173], v[156:157], v[158:159]
	v_fmac_f64_e32 v[156:157], v[158:159], v[172:173]
	v_div_scale_f64 v[158:159], s[18:19], v[156:157], v[156:157], 1.0
	v_rcp_f64_e32 v[174:175], v[158:159]
	s_nop 0
	v_fma_f64 v[176:177], -v[158:159], v[174:175], 1.0
	v_fmac_f64_e32 v[174:175], v[174:175], v[176:177]
	v_fma_f64 v[176:177], -v[158:159], v[174:175], 1.0
	v_fmac_f64_e32 v[174:175], v[174:175], v[176:177]
	v_div_scale_f64 v[176:177], vcc, 1.0, v[156:157], 1.0
	v_mul_f64 v[178:179], v[176:177], v[174:175]
	v_fma_f64 v[158:159], -v[158:159], v[178:179], v[176:177]
	s_nop 1
	v_div_fmas_f64 v[158:159], v[158:159], v[174:175], v[178:179]
	v_div_fixup_f64 v[156:157], v[158:159], v[156:157], 1.0
	v_mul_f64 v[158:159], v[172:173], -v[156:157]
.LBB76_114:
	s_or_b64 exec, exec, s[16:17]
.LBB76_115:
	s_or_b64 exec, exec, s[0:1]
	v_cmp_ne_u32_e32 vcc, v169, v166
	s_and_saveexec_b64 s[0:1], vcc
	s_xor_b64 s[0:1], exec, s[0:1]
	s_cbranch_execz .LBB76_121
; %bb.116:
	v_cmp_eq_u32_e32 vcc, 5, v169
	s_and_saveexec_b64 s[16:17], vcc
	s_cbranch_execz .LBB76_120
; %bb.117:
	v_cmp_ne_u32_e32 vcc, 5, v166
	s_xor_b64 s[18:19], s[14:15], -1
	s_and_b64 s[22:23], s[18:19], vcc
	s_and_saveexec_b64 s[18:19], s[22:23]
	s_cbranch_execz .LBB76_119
; %bb.118:
	v_ashrrev_i32_e32 v167, 31, v166
	v_lshl_add_u64 v[172:173], v[166:167], 2, v[164:165]
	global_load_dword v167, v[172:173], off
	global_load_dword v169, v[164:165], off offset:20
	s_waitcnt vmcnt(1)
	global_store_dword v[164:165], v167, off offset:20
	s_waitcnt vmcnt(1)
	global_store_dword v[172:173], v169, off
.LBB76_119:
	s_or_b64 exec, exec, s[18:19]
	v_mov_b32_e32 v169, v166
	v_mov_b32_e32 v171, v166
.LBB76_120:
	s_or_b64 exec, exec, s[16:17]
.LBB76_121:
	s_andn2_saveexec_b64 s[0:1], s[0:1]
	s_cbranch_execz .LBB76_123
; %bb.122:
	v_mov_b32_e32 v169, 5
	s_waitcnt vmcnt(32)
	ds_write2_b64 v168, v[132:133], v[134:135] offset0:12 offset1:13
	s_waitcnt vmcnt(31)
	ds_write2_b64 v168, v[128:129], v[130:131] offset0:14 offset1:15
	;; [unrolled: 2-line block ×33, first 2 shown]
.LBB76_123:
	s_or_b64 exec, exec, s[0:1]
	v_cmp_lt_i32_e32 vcc, 5, v169
	s_waitcnt lgkmcnt(0)
	s_barrier
	s_and_saveexec_b64 s[0:1], vcc
	s_cbranch_execz .LBB76_125
; %bb.124:
	ds_read2_b64 v[172:175], v168 offset0:12 offset1:13
	v_mul_f64 v[166:167], v[158:159], v[138:139]
	v_mul_f64 v[138:139], v[156:157], v[138:139]
	v_fmac_f64_e32 v[138:139], v[158:159], v[136:137]
	v_fma_f64 v[166:167], v[156:157], v[136:137], -v[166:167]
	ds_read2_b64 v[156:159], v168 offset0:14 offset1:15
	s_waitcnt lgkmcnt(1)
	v_mul_f64 v[136:137], v[174:175], v[138:139]
	v_fma_f64 v[136:137], v[172:173], v[166:167], -v[136:137]
	v_mul_f64 v[172:173], v[172:173], v[138:139]
	v_fmac_f64_e32 v[172:173], v[174:175], v[166:167]
	s_waitcnt vmcnt(32)
	v_add_f64 v[134:135], v[134:135], -v[172:173]
	ds_read2_b64 v[172:175], v168 offset0:16 offset1:17
	v_add_f64 v[132:133], v[132:133], -v[136:137]
	s_waitcnt lgkmcnt(1)
	v_mul_f64 v[136:137], v[158:159], v[138:139]
	v_fma_f64 v[136:137], v[156:157], v[166:167], -v[136:137]
	v_mul_f64 v[156:157], v[156:157], v[138:139]
	v_fmac_f64_e32 v[156:157], v[158:159], v[166:167]
	s_waitcnt vmcnt(31)
	v_add_f64 v[128:129], v[128:129], -v[136:137]
	v_add_f64 v[130:131], v[130:131], -v[156:157]
	ds_read2_b64 v[156:159], v168 offset0:18 offset1:19
	s_waitcnt lgkmcnt(1)
	v_mul_f64 v[136:137], v[174:175], v[138:139]
	v_fma_f64 v[136:137], v[172:173], v[166:167], -v[136:137]
	v_mul_f64 v[172:173], v[172:173], v[138:139]
	v_fmac_f64_e32 v[172:173], v[174:175], v[166:167]
	s_waitcnt vmcnt(30)
	v_add_f64 v[126:127], v[126:127], -v[172:173]
	ds_read2_b64 v[172:175], v168 offset0:20 offset1:21
	v_add_f64 v[124:125], v[124:125], -v[136:137]
	s_waitcnt lgkmcnt(1)
	v_mul_f64 v[136:137], v[158:159], v[138:139]
	v_fma_f64 v[136:137], v[156:157], v[166:167], -v[136:137]
	v_mul_f64 v[156:157], v[156:157], v[138:139]
	v_fmac_f64_e32 v[156:157], v[158:159], v[166:167]
	s_waitcnt vmcnt(29)
	v_add_f64 v[120:121], v[120:121], -v[136:137]
	v_add_f64 v[122:123], v[122:123], -v[156:157]
	;; [unrolled: 18-line block ×16, first 2 shown]
	s_waitcnt lgkmcnt(0)
	v_mul_f64 v[136:137], v[174:175], v[138:139]
	v_mul_f64 v[156:157], v[172:173], v[138:139]
	v_fma_f64 v[136:137], v[172:173], v[166:167], -v[136:137]
	v_fmac_f64_e32 v[156:157], v[174:175], v[166:167]
	s_waitcnt vmcnt(0)
	v_add_f64 v[152:153], v[152:153], -v[136:137]
	v_add_f64 v[154:155], v[154:155], -v[156:157]
	v_mov_b64_e32 v[136:137], v[166:167]
.LBB76_125:
	s_or_b64 exec, exec, s[0:1]
	v_lshl_add_u32 v156, v169, 4, v168
	s_barrier
	s_waitcnt vmcnt(32)
	ds_write2_b64 v156, v[132:133], v[134:135] offset1:1
	s_waitcnt lgkmcnt(0)
	s_barrier
	ds_read2_b64 v[156:159], v168 offset0:12 offset1:13
	s_cmp_lt_i32 s20, 8
	v_mov_b32_e32 v166, 6
	s_cbranch_scc1 .LBB76_128
; %bb.126:
	v_add_u32_e32 v167, 0x70, v168
	s_mov_b32 s16, 7
	v_mov_b32_e32 v166, 6
.LBB76_127:                             ; =>This Inner Loop Header: Depth=1
	ds_read2_b64 v[172:175], v167 offset1:1
	s_waitcnt lgkmcnt(1)
	v_xor_b32_e32 v177, 0x80000000, v157
	v_xor_b32_e32 v179, 0x80000000, v159
	v_cmp_gt_f64_e32 vcc, 0, v[158:159]
	v_cmp_gt_f64_e64 s[0:1], 0, v[156:157]
	v_mov_b32_e32 v176, v156
	v_mov_b32_e32 v178, v158
	v_cndmask_b32_e64 v177, v157, v177, s[0:1]
	v_cndmask_b32_e32 v179, v159, v179, vcc
	v_add_f64 v[176:177], v[176:177], v[178:179]
	s_waitcnt lgkmcnt(0)
	v_xor_b32_e32 v179, 0x80000000, v173
	v_xor_b32_e32 v181, 0x80000000, v175
	v_cmp_gt_f64_e32 vcc, 0, v[174:175]
	v_cmp_gt_f64_e64 s[0:1], 0, v[172:173]
	v_mov_b32_e32 v178, v172
	v_mov_b32_e32 v180, v174
	v_cndmask_b32_e64 v179, v173, v179, s[0:1]
	v_cndmask_b32_e32 v181, v175, v181, vcc
	v_add_f64 v[178:179], v[178:179], v[180:181]
	v_mov_b32_e32 v182, s16
	s_add_i32 s16, s16, 1
	v_cmp_lt_f64_e32 vcc, v[176:177], v[178:179]
	v_add_u32_e32 v167, 16, v167
	s_cmp_lg_u32 s20, s16
	v_cndmask_b32_e32 v157, v157, v173, vcc
	v_cndmask_b32_e32 v156, v156, v172, vcc
	;; [unrolled: 1-line block ×5, first 2 shown]
	s_cbranch_scc1 .LBB76_127
.LBB76_128:
	s_waitcnt lgkmcnt(0)
	v_cmp_eq_f64_e32 vcc, 0, v[156:157]
	v_cmp_eq_f64_e64 s[0:1], 0, v[158:159]
	s_and_b64 s[0:1], vcc, s[0:1]
	s_and_saveexec_b64 s[16:17], s[0:1]
	s_xor_b64 s[0:1], exec, s[16:17]
; %bb.129:
	v_cmp_ne_u32_e32 vcc, 0, v170
	s_nop 1
	v_cndmask_b32_e32 v170, 7, v170, vcc
; %bb.130:
	s_andn2_saveexec_b64 s[0:1], s[0:1]
	s_cbranch_execz .LBB76_136
; %bb.131:
	v_cmp_ngt_f64_e64 s[16:17], |v[156:157]|, |v[158:159]|
	s_and_saveexec_b64 s[18:19], s[16:17]
	s_xor_b64 s[16:17], exec, s[18:19]
	s_cbranch_execz .LBB76_133
; %bb.132:
	v_div_scale_f64 v[172:173], s[18:19], v[158:159], v[158:159], v[156:157]
	v_rcp_f64_e32 v[174:175], v[172:173]
	v_div_scale_f64 v[176:177], vcc, v[156:157], v[158:159], v[156:157]
	v_fma_f64 v[178:179], -v[172:173], v[174:175], 1.0
	v_fmac_f64_e32 v[174:175], v[174:175], v[178:179]
	v_fma_f64 v[178:179], -v[172:173], v[174:175], 1.0
	v_fmac_f64_e32 v[174:175], v[174:175], v[178:179]
	v_mul_f64 v[178:179], v[176:177], v[174:175]
	v_fma_f64 v[172:173], -v[172:173], v[178:179], v[176:177]
	v_div_fmas_f64 v[172:173], v[172:173], v[174:175], v[178:179]
	v_div_fixup_f64 v[172:173], v[172:173], v[158:159], v[156:157]
	v_fmac_f64_e32 v[158:159], v[156:157], v[172:173]
	v_div_scale_f64 v[156:157], s[18:19], v[158:159], v[158:159], 1.0
	v_rcp_f64_e32 v[174:175], v[156:157]
	s_nop 0
	v_fma_f64 v[176:177], -v[156:157], v[174:175], 1.0
	v_fmac_f64_e32 v[174:175], v[174:175], v[176:177]
	v_fma_f64 v[176:177], -v[156:157], v[174:175], 1.0
	v_fmac_f64_e32 v[174:175], v[174:175], v[176:177]
	v_div_scale_f64 v[176:177], vcc, 1.0, v[158:159], 1.0
	v_mul_f64 v[178:179], v[176:177], v[174:175]
	v_fma_f64 v[156:157], -v[156:157], v[178:179], v[176:177]
	s_nop 1
	v_div_fmas_f64 v[156:157], v[156:157], v[174:175], v[178:179]
	v_div_fixup_f64 v[158:159], v[156:157], v[158:159], 1.0
	v_mul_f64 v[156:157], v[172:173], v[158:159]
	v_xor_b32_e32 v159, 0x80000000, v159
.LBB76_133:
	s_andn2_saveexec_b64 s[16:17], s[16:17]
	s_cbranch_execz .LBB76_135
; %bb.134:
	v_div_scale_f64 v[172:173], s[18:19], v[156:157], v[156:157], v[158:159]
	v_rcp_f64_e32 v[174:175], v[172:173]
	v_div_scale_f64 v[176:177], vcc, v[158:159], v[156:157], v[158:159]
	v_fma_f64 v[178:179], -v[172:173], v[174:175], 1.0
	v_fmac_f64_e32 v[174:175], v[174:175], v[178:179]
	v_fma_f64 v[178:179], -v[172:173], v[174:175], 1.0
	v_fmac_f64_e32 v[174:175], v[174:175], v[178:179]
	v_mul_f64 v[178:179], v[176:177], v[174:175]
	v_fma_f64 v[172:173], -v[172:173], v[178:179], v[176:177]
	v_div_fmas_f64 v[172:173], v[172:173], v[174:175], v[178:179]
	v_div_fixup_f64 v[172:173], v[172:173], v[156:157], v[158:159]
	v_fmac_f64_e32 v[156:157], v[158:159], v[172:173]
	v_div_scale_f64 v[158:159], s[18:19], v[156:157], v[156:157], 1.0
	v_rcp_f64_e32 v[174:175], v[158:159]
	s_nop 0
	v_fma_f64 v[176:177], -v[158:159], v[174:175], 1.0
	v_fmac_f64_e32 v[174:175], v[174:175], v[176:177]
	v_fma_f64 v[176:177], -v[158:159], v[174:175], 1.0
	v_fmac_f64_e32 v[174:175], v[174:175], v[176:177]
	v_div_scale_f64 v[176:177], vcc, 1.0, v[156:157], 1.0
	v_mul_f64 v[178:179], v[176:177], v[174:175]
	v_fma_f64 v[158:159], -v[158:159], v[178:179], v[176:177]
	s_nop 1
	v_div_fmas_f64 v[158:159], v[158:159], v[174:175], v[178:179]
	v_div_fixup_f64 v[156:157], v[158:159], v[156:157], 1.0
	v_mul_f64 v[158:159], v[172:173], -v[156:157]
.LBB76_135:
	s_or_b64 exec, exec, s[16:17]
.LBB76_136:
	s_or_b64 exec, exec, s[0:1]
	v_cmp_ne_u32_e32 vcc, v169, v166
	s_and_saveexec_b64 s[0:1], vcc
	s_xor_b64 s[0:1], exec, s[0:1]
	s_cbranch_execz .LBB76_142
; %bb.137:
	v_cmp_eq_u32_e32 vcc, 6, v169
	s_and_saveexec_b64 s[16:17], vcc
	s_cbranch_execz .LBB76_141
; %bb.138:
	v_cmp_ne_u32_e32 vcc, 6, v166
	s_xor_b64 s[18:19], s[14:15], -1
	s_and_b64 s[22:23], s[18:19], vcc
	s_and_saveexec_b64 s[18:19], s[22:23]
	s_cbranch_execz .LBB76_140
; %bb.139:
	v_ashrrev_i32_e32 v167, 31, v166
	v_lshl_add_u64 v[172:173], v[166:167], 2, v[164:165]
	global_load_dword v167, v[172:173], off
	global_load_dword v169, v[164:165], off offset:24
	s_waitcnt vmcnt(1)
	global_store_dword v[164:165], v167, off offset:24
	s_waitcnt vmcnt(1)
	global_store_dword v[172:173], v169, off
.LBB76_140:
	s_or_b64 exec, exec, s[18:19]
	v_mov_b32_e32 v169, v166
	v_mov_b32_e32 v171, v166
.LBB76_141:
	s_or_b64 exec, exec, s[16:17]
.LBB76_142:
	s_andn2_saveexec_b64 s[0:1], s[0:1]
	s_cbranch_execz .LBB76_144
; %bb.143:
	v_mov_b32_e32 v169, 6
	s_waitcnt vmcnt(31)
	ds_write2_b64 v168, v[128:129], v[130:131] offset0:14 offset1:15
	s_waitcnt vmcnt(30)
	ds_write2_b64 v168, v[124:125], v[126:127] offset0:16 offset1:17
	s_waitcnt vmcnt(29)
	ds_write2_b64 v168, v[120:121], v[122:123] offset0:18 offset1:19
	s_waitcnt vmcnt(28)
	ds_write2_b64 v168, v[116:117], v[118:119] offset0:20 offset1:21
	s_waitcnt vmcnt(27)
	ds_write2_b64 v168, v[112:113], v[114:115] offset0:22 offset1:23
	s_waitcnt vmcnt(26)
	ds_write2_b64 v168, v[108:109], v[110:111] offset0:24 offset1:25
	s_waitcnt vmcnt(25)
	ds_write2_b64 v168, v[100:101], v[102:103] offset0:26 offset1:27
	s_waitcnt vmcnt(24)
	ds_write2_b64 v168, v[92:93], v[94:95] offset0:28 offset1:29
	s_waitcnt vmcnt(23)
	ds_write2_b64 v168, v[88:89], v[90:91] offset0:30 offset1:31
	s_waitcnt vmcnt(22)
	ds_write2_b64 v168, v[84:85], v[86:87] offset0:32 offset1:33
	s_waitcnt vmcnt(21)
	ds_write2_b64 v168, v[80:81], v[82:83] offset0:34 offset1:35
	s_waitcnt vmcnt(20)
	ds_write2_b64 v168, v[76:77], v[78:79] offset0:36 offset1:37
	s_waitcnt vmcnt(19)
	ds_write2_b64 v168, v[72:73], v[74:75] offset0:38 offset1:39
	s_waitcnt vmcnt(18)
	ds_write2_b64 v168, v[68:69], v[70:71] offset0:40 offset1:41
	s_waitcnt vmcnt(17)
	ds_write2_b64 v168, v[64:65], v[66:67] offset0:42 offset1:43
	s_waitcnt vmcnt(16)
	ds_write2_b64 v168, v[60:61], v[62:63] offset0:44 offset1:45
	s_waitcnt vmcnt(15)
	ds_write2_b64 v168, v[56:57], v[58:59] offset0:46 offset1:47
	s_waitcnt vmcnt(14)
	ds_write2_b64 v168, v[52:53], v[54:55] offset0:48 offset1:49
	s_waitcnt vmcnt(13)
	ds_write2_b64 v168, v[48:49], v[50:51] offset0:50 offset1:51
	s_waitcnt vmcnt(12)
	ds_write2_b64 v168, v[44:45], v[46:47] offset0:52 offset1:53
	s_waitcnt vmcnt(11)
	ds_write2_b64 v168, v[40:41], v[42:43] offset0:54 offset1:55
	s_waitcnt vmcnt(10)
	ds_write2_b64 v168, v[36:37], v[38:39] offset0:56 offset1:57
	s_waitcnt vmcnt(9)
	ds_write2_b64 v168, v[32:33], v[34:35] offset0:58 offset1:59
	s_waitcnt vmcnt(8)
	ds_write2_b64 v168, v[28:29], v[30:31] offset0:60 offset1:61
	s_waitcnt vmcnt(7)
	ds_write2_b64 v168, v[24:25], v[26:27] offset0:62 offset1:63
	s_waitcnt vmcnt(6)
	ds_write2_b64 v168, v[20:21], v[22:23] offset0:64 offset1:65
	s_waitcnt vmcnt(5)
	ds_write2_b64 v168, v[16:17], v[18:19] offset0:66 offset1:67
	s_waitcnt vmcnt(4)
	ds_write2_b64 v168, v[12:13], v[14:15] offset0:68 offset1:69
	s_waitcnt vmcnt(3)
	ds_write2_b64 v168, v[8:9], v[10:11] offset0:70 offset1:71
	s_waitcnt vmcnt(2)
	ds_write2_b64 v168, v[4:5], v[6:7] offset0:72 offset1:73
	s_waitcnt vmcnt(1)
	ds_write2_b64 v168, v[0:1], v[2:3] offset0:74 offset1:75
	s_waitcnt vmcnt(0)
	ds_write2_b64 v168, v[152:153], v[154:155] offset0:76 offset1:77
.LBB76_144:
	s_or_b64 exec, exec, s[0:1]
	v_cmp_lt_i32_e32 vcc, 6, v169
	s_waitcnt lgkmcnt(0)
	s_barrier
	s_and_saveexec_b64 s[0:1], vcc
	s_cbranch_execz .LBB76_146
; %bb.145:
	ds_read2_b64 v[172:175], v168 offset0:14 offset1:15
	v_mul_f64 v[166:167], v[158:159], v[134:135]
	v_mul_f64 v[134:135], v[156:157], v[134:135]
	v_fma_f64 v[166:167], v[156:157], v[132:133], -v[166:167]
	v_fmac_f64_e32 v[134:135], v[158:159], v[132:133]
	ds_read2_b64 v[156:159], v168 offset0:16 offset1:17
	s_waitcnt lgkmcnt(1)
	v_mul_f64 v[132:133], v[174:175], v[134:135]
	v_fma_f64 v[132:133], v[172:173], v[166:167], -v[132:133]
	v_mul_f64 v[172:173], v[172:173], v[134:135]
	v_fmac_f64_e32 v[172:173], v[174:175], v[166:167]
	s_waitcnt vmcnt(31)
	v_add_f64 v[128:129], v[128:129], -v[132:133]
	s_waitcnt lgkmcnt(0)
	v_mul_f64 v[132:133], v[158:159], v[134:135]
	v_add_f64 v[130:131], v[130:131], -v[172:173]
	v_fma_f64 v[132:133], v[156:157], v[166:167], -v[132:133]
	v_mul_f64 v[156:157], v[156:157], v[134:135]
	ds_read2_b64 v[172:175], v168 offset0:18 offset1:19
	v_fmac_f64_e32 v[156:157], v[158:159], v[166:167]
	s_waitcnt vmcnt(30)
	v_add_f64 v[126:127], v[126:127], -v[156:157]
	ds_read2_b64 v[156:159], v168 offset0:20 offset1:21
	v_add_f64 v[124:125], v[124:125], -v[132:133]
	s_waitcnt lgkmcnt(1)
	v_mul_f64 v[132:133], v[174:175], v[134:135]
	v_fma_f64 v[132:133], v[172:173], v[166:167], -v[132:133]
	v_mul_f64 v[172:173], v[172:173], v[134:135]
	v_fmac_f64_e32 v[172:173], v[174:175], v[166:167]
	s_waitcnt vmcnt(29)
	v_add_f64 v[120:121], v[120:121], -v[132:133]
	s_waitcnt lgkmcnt(0)
	v_mul_f64 v[132:133], v[158:159], v[134:135]
	v_add_f64 v[122:123], v[122:123], -v[172:173]
	v_fma_f64 v[132:133], v[156:157], v[166:167], -v[132:133]
	v_mul_f64 v[156:157], v[156:157], v[134:135]
	ds_read2_b64 v[172:175], v168 offset0:22 offset1:23
	v_fmac_f64_e32 v[156:157], v[158:159], v[166:167]
	s_waitcnt vmcnt(28)
	v_add_f64 v[118:119], v[118:119], -v[156:157]
	ds_read2_b64 v[156:159], v168 offset0:24 offset1:25
	v_add_f64 v[116:117], v[116:117], -v[132:133]
	;; [unrolled: 18-line block ×15, first 2 shown]
	s_waitcnt lgkmcnt(1)
	v_mul_f64 v[132:133], v[174:175], v[134:135]
	v_fma_f64 v[132:133], v[172:173], v[166:167], -v[132:133]
	s_waitcnt vmcnt(1)
	v_add_f64 v[0:1], v[0:1], -v[132:133]
	s_waitcnt lgkmcnt(0)
	v_mul_f64 v[132:133], v[158:159], v[134:135]
	v_mul_f64 v[172:173], v[172:173], v[134:135]
	v_fma_f64 v[132:133], v[156:157], v[166:167], -v[132:133]
	v_mul_f64 v[156:157], v[156:157], v[134:135]
	v_fmac_f64_e32 v[172:173], v[174:175], v[166:167]
	v_fmac_f64_e32 v[156:157], v[158:159], v[166:167]
	v_add_f64 v[2:3], v[2:3], -v[172:173]
	s_waitcnt vmcnt(0)
	v_add_f64 v[152:153], v[152:153], -v[132:133]
	v_add_f64 v[154:155], v[154:155], -v[156:157]
	v_mov_b64_e32 v[132:133], v[166:167]
.LBB76_146:
	s_or_b64 exec, exec, s[0:1]
	v_lshl_add_u32 v156, v169, 4, v168
	s_barrier
	s_waitcnt vmcnt(31)
	ds_write2_b64 v156, v[128:129], v[130:131] offset1:1
	s_waitcnt lgkmcnt(0)
	s_barrier
	ds_read2_b64 v[156:159], v168 offset0:14 offset1:15
	s_cmp_lt_i32 s20, 9
	v_mov_b32_e32 v166, 7
	s_cbranch_scc1 .LBB76_149
; %bb.147:
	v_add_u32_e32 v167, 0x80, v168
	s_mov_b32 s16, 8
	v_mov_b32_e32 v166, 7
.LBB76_148:                             ; =>This Inner Loop Header: Depth=1
	ds_read2_b64 v[172:175], v167 offset1:1
	s_waitcnt lgkmcnt(1)
	v_xor_b32_e32 v177, 0x80000000, v157
	v_xor_b32_e32 v179, 0x80000000, v159
	v_cmp_gt_f64_e32 vcc, 0, v[158:159]
	v_cmp_gt_f64_e64 s[0:1], 0, v[156:157]
	v_mov_b32_e32 v176, v156
	v_mov_b32_e32 v178, v158
	v_cndmask_b32_e64 v177, v157, v177, s[0:1]
	v_cndmask_b32_e32 v179, v159, v179, vcc
	v_add_f64 v[176:177], v[176:177], v[178:179]
	s_waitcnt lgkmcnt(0)
	v_xor_b32_e32 v179, 0x80000000, v173
	v_xor_b32_e32 v181, 0x80000000, v175
	v_cmp_gt_f64_e32 vcc, 0, v[174:175]
	v_cmp_gt_f64_e64 s[0:1], 0, v[172:173]
	v_mov_b32_e32 v178, v172
	v_mov_b32_e32 v180, v174
	v_cndmask_b32_e64 v179, v173, v179, s[0:1]
	v_cndmask_b32_e32 v181, v175, v181, vcc
	v_add_f64 v[178:179], v[178:179], v[180:181]
	v_mov_b32_e32 v182, s16
	s_add_i32 s16, s16, 1
	v_cmp_lt_f64_e32 vcc, v[176:177], v[178:179]
	v_add_u32_e32 v167, 16, v167
	s_cmp_lg_u32 s20, s16
	v_cndmask_b32_e32 v157, v157, v173, vcc
	v_cndmask_b32_e32 v156, v156, v172, vcc
	;; [unrolled: 1-line block ×5, first 2 shown]
	s_cbranch_scc1 .LBB76_148
.LBB76_149:
	s_waitcnt lgkmcnt(0)
	v_cmp_eq_f64_e32 vcc, 0, v[156:157]
	v_cmp_eq_f64_e64 s[0:1], 0, v[158:159]
	s_and_b64 s[0:1], vcc, s[0:1]
	s_and_saveexec_b64 s[16:17], s[0:1]
	s_xor_b64 s[0:1], exec, s[16:17]
; %bb.150:
	v_cmp_ne_u32_e32 vcc, 0, v170
	s_nop 1
	v_cndmask_b32_e32 v170, 8, v170, vcc
; %bb.151:
	s_andn2_saveexec_b64 s[0:1], s[0:1]
	s_cbranch_execz .LBB76_157
; %bb.152:
	v_cmp_ngt_f64_e64 s[16:17], |v[156:157]|, |v[158:159]|
	s_and_saveexec_b64 s[18:19], s[16:17]
	s_xor_b64 s[16:17], exec, s[18:19]
	s_cbranch_execz .LBB76_154
; %bb.153:
	v_div_scale_f64 v[172:173], s[18:19], v[158:159], v[158:159], v[156:157]
	v_rcp_f64_e32 v[174:175], v[172:173]
	v_div_scale_f64 v[176:177], vcc, v[156:157], v[158:159], v[156:157]
	v_fma_f64 v[178:179], -v[172:173], v[174:175], 1.0
	v_fmac_f64_e32 v[174:175], v[174:175], v[178:179]
	v_fma_f64 v[178:179], -v[172:173], v[174:175], 1.0
	v_fmac_f64_e32 v[174:175], v[174:175], v[178:179]
	v_mul_f64 v[178:179], v[176:177], v[174:175]
	v_fma_f64 v[172:173], -v[172:173], v[178:179], v[176:177]
	v_div_fmas_f64 v[172:173], v[172:173], v[174:175], v[178:179]
	v_div_fixup_f64 v[172:173], v[172:173], v[158:159], v[156:157]
	v_fmac_f64_e32 v[158:159], v[156:157], v[172:173]
	v_div_scale_f64 v[156:157], s[18:19], v[158:159], v[158:159], 1.0
	v_rcp_f64_e32 v[174:175], v[156:157]
	s_nop 0
	v_fma_f64 v[176:177], -v[156:157], v[174:175], 1.0
	v_fmac_f64_e32 v[174:175], v[174:175], v[176:177]
	v_fma_f64 v[176:177], -v[156:157], v[174:175], 1.0
	v_fmac_f64_e32 v[174:175], v[174:175], v[176:177]
	v_div_scale_f64 v[176:177], vcc, 1.0, v[158:159], 1.0
	v_mul_f64 v[178:179], v[176:177], v[174:175]
	v_fma_f64 v[156:157], -v[156:157], v[178:179], v[176:177]
	s_nop 1
	v_div_fmas_f64 v[156:157], v[156:157], v[174:175], v[178:179]
	v_div_fixup_f64 v[158:159], v[156:157], v[158:159], 1.0
	v_mul_f64 v[156:157], v[172:173], v[158:159]
	v_xor_b32_e32 v159, 0x80000000, v159
.LBB76_154:
	s_andn2_saveexec_b64 s[16:17], s[16:17]
	s_cbranch_execz .LBB76_156
; %bb.155:
	v_div_scale_f64 v[172:173], s[18:19], v[156:157], v[156:157], v[158:159]
	v_rcp_f64_e32 v[174:175], v[172:173]
	v_div_scale_f64 v[176:177], vcc, v[158:159], v[156:157], v[158:159]
	v_fma_f64 v[178:179], -v[172:173], v[174:175], 1.0
	v_fmac_f64_e32 v[174:175], v[174:175], v[178:179]
	v_fma_f64 v[178:179], -v[172:173], v[174:175], 1.0
	v_fmac_f64_e32 v[174:175], v[174:175], v[178:179]
	v_mul_f64 v[178:179], v[176:177], v[174:175]
	v_fma_f64 v[172:173], -v[172:173], v[178:179], v[176:177]
	v_div_fmas_f64 v[172:173], v[172:173], v[174:175], v[178:179]
	v_div_fixup_f64 v[172:173], v[172:173], v[156:157], v[158:159]
	v_fmac_f64_e32 v[156:157], v[158:159], v[172:173]
	v_div_scale_f64 v[158:159], s[18:19], v[156:157], v[156:157], 1.0
	v_rcp_f64_e32 v[174:175], v[158:159]
	s_nop 0
	v_fma_f64 v[176:177], -v[158:159], v[174:175], 1.0
	v_fmac_f64_e32 v[174:175], v[174:175], v[176:177]
	v_fma_f64 v[176:177], -v[158:159], v[174:175], 1.0
	v_fmac_f64_e32 v[174:175], v[174:175], v[176:177]
	v_div_scale_f64 v[176:177], vcc, 1.0, v[156:157], 1.0
	v_mul_f64 v[178:179], v[176:177], v[174:175]
	v_fma_f64 v[158:159], -v[158:159], v[178:179], v[176:177]
	s_nop 1
	v_div_fmas_f64 v[158:159], v[158:159], v[174:175], v[178:179]
	v_div_fixup_f64 v[156:157], v[158:159], v[156:157], 1.0
	v_mul_f64 v[158:159], v[172:173], -v[156:157]
.LBB76_156:
	s_or_b64 exec, exec, s[16:17]
.LBB76_157:
	s_or_b64 exec, exec, s[0:1]
	v_cmp_ne_u32_e32 vcc, v169, v166
	s_and_saveexec_b64 s[0:1], vcc
	s_xor_b64 s[0:1], exec, s[0:1]
	s_cbranch_execz .LBB76_163
; %bb.158:
	v_cmp_eq_u32_e32 vcc, 7, v169
	s_and_saveexec_b64 s[16:17], vcc
	s_cbranch_execz .LBB76_162
; %bb.159:
	v_cmp_ne_u32_e32 vcc, 7, v166
	s_xor_b64 s[18:19], s[14:15], -1
	s_and_b64 s[22:23], s[18:19], vcc
	s_and_saveexec_b64 s[18:19], s[22:23]
	s_cbranch_execz .LBB76_161
; %bb.160:
	v_ashrrev_i32_e32 v167, 31, v166
	v_lshl_add_u64 v[172:173], v[166:167], 2, v[164:165]
	global_load_dword v167, v[172:173], off
	global_load_dword v169, v[164:165], off offset:28
	s_waitcnt vmcnt(1)
	global_store_dword v[164:165], v167, off offset:28
	s_waitcnt vmcnt(1)
	global_store_dword v[172:173], v169, off
.LBB76_161:
	s_or_b64 exec, exec, s[18:19]
	v_mov_b32_e32 v169, v166
	v_mov_b32_e32 v171, v166
.LBB76_162:
	s_or_b64 exec, exec, s[16:17]
.LBB76_163:
	s_andn2_saveexec_b64 s[0:1], s[0:1]
	s_cbranch_execz .LBB76_165
; %bb.164:
	v_mov_b32_e32 v169, 7
	s_waitcnt vmcnt(30)
	ds_write2_b64 v168, v[124:125], v[126:127] offset0:16 offset1:17
	s_waitcnt vmcnt(29)
	ds_write2_b64 v168, v[120:121], v[122:123] offset0:18 offset1:19
	;; [unrolled: 2-line block ×31, first 2 shown]
.LBB76_165:
	s_or_b64 exec, exec, s[0:1]
	v_cmp_lt_i32_e32 vcc, 7, v169
	s_waitcnt lgkmcnt(0)
	s_barrier
	s_and_saveexec_b64 s[0:1], vcc
	s_cbranch_execz .LBB76_167
; %bb.166:
	ds_read2_b64 v[172:175], v168 offset0:16 offset1:17
	v_mul_f64 v[166:167], v[158:159], v[130:131]
	v_mul_f64 v[130:131], v[156:157], v[130:131]
	v_fmac_f64_e32 v[130:131], v[158:159], v[128:129]
	v_fma_f64 v[166:167], v[156:157], v[128:129], -v[166:167]
	ds_read2_b64 v[156:159], v168 offset0:18 offset1:19
	s_waitcnt lgkmcnt(1)
	v_mul_f64 v[128:129], v[174:175], v[130:131]
	v_fma_f64 v[128:129], v[172:173], v[166:167], -v[128:129]
	v_mul_f64 v[172:173], v[172:173], v[130:131]
	v_fmac_f64_e32 v[172:173], v[174:175], v[166:167]
	s_waitcnt vmcnt(30)
	v_add_f64 v[126:127], v[126:127], -v[172:173]
	ds_read2_b64 v[172:175], v168 offset0:20 offset1:21
	v_add_f64 v[124:125], v[124:125], -v[128:129]
	s_waitcnt lgkmcnt(1)
	v_mul_f64 v[128:129], v[158:159], v[130:131]
	v_fma_f64 v[128:129], v[156:157], v[166:167], -v[128:129]
	v_mul_f64 v[156:157], v[156:157], v[130:131]
	v_fmac_f64_e32 v[156:157], v[158:159], v[166:167]
	s_waitcnt vmcnt(29)
	v_add_f64 v[120:121], v[120:121], -v[128:129]
	v_add_f64 v[122:123], v[122:123], -v[156:157]
	ds_read2_b64 v[156:159], v168 offset0:22 offset1:23
	s_waitcnt lgkmcnt(1)
	v_mul_f64 v[128:129], v[174:175], v[130:131]
	v_fma_f64 v[128:129], v[172:173], v[166:167], -v[128:129]
	v_mul_f64 v[172:173], v[172:173], v[130:131]
	v_fmac_f64_e32 v[172:173], v[174:175], v[166:167]
	s_waitcnt vmcnt(28)
	v_add_f64 v[118:119], v[118:119], -v[172:173]
	ds_read2_b64 v[172:175], v168 offset0:24 offset1:25
	v_add_f64 v[116:117], v[116:117], -v[128:129]
	s_waitcnt lgkmcnt(1)
	v_mul_f64 v[128:129], v[158:159], v[130:131]
	v_fma_f64 v[128:129], v[156:157], v[166:167], -v[128:129]
	v_mul_f64 v[156:157], v[156:157], v[130:131]
	v_fmac_f64_e32 v[156:157], v[158:159], v[166:167]
	s_waitcnt vmcnt(27)
	v_add_f64 v[112:113], v[112:113], -v[128:129]
	v_add_f64 v[114:115], v[114:115], -v[156:157]
	;; [unrolled: 18-line block ×15, first 2 shown]
	s_waitcnt lgkmcnt(0)
	v_mul_f64 v[128:129], v[174:175], v[130:131]
	v_mul_f64 v[156:157], v[172:173], v[130:131]
	v_fma_f64 v[128:129], v[172:173], v[166:167], -v[128:129]
	v_fmac_f64_e32 v[156:157], v[174:175], v[166:167]
	s_waitcnt vmcnt(0)
	v_add_f64 v[152:153], v[152:153], -v[128:129]
	v_add_f64 v[154:155], v[154:155], -v[156:157]
	v_mov_b64_e32 v[128:129], v[166:167]
.LBB76_167:
	s_or_b64 exec, exec, s[0:1]
	v_lshl_add_u32 v156, v169, 4, v168
	s_barrier
	s_waitcnt vmcnt(30)
	ds_write2_b64 v156, v[124:125], v[126:127] offset1:1
	s_waitcnt lgkmcnt(0)
	s_barrier
	ds_read2_b64 v[156:159], v168 offset0:16 offset1:17
	s_cmp_lt_i32 s20, 10
	v_mov_b32_e32 v166, 8
	s_cbranch_scc1 .LBB76_170
; %bb.168:
	v_add_u32_e32 v167, 0x90, v168
	s_mov_b32 s16, 9
	v_mov_b32_e32 v166, 8
.LBB76_169:                             ; =>This Inner Loop Header: Depth=1
	ds_read2_b64 v[172:175], v167 offset1:1
	s_waitcnt lgkmcnt(1)
	v_xor_b32_e32 v177, 0x80000000, v157
	v_xor_b32_e32 v179, 0x80000000, v159
	v_cmp_gt_f64_e32 vcc, 0, v[158:159]
	v_cmp_gt_f64_e64 s[0:1], 0, v[156:157]
	v_mov_b32_e32 v176, v156
	v_mov_b32_e32 v178, v158
	v_cndmask_b32_e64 v177, v157, v177, s[0:1]
	v_cndmask_b32_e32 v179, v159, v179, vcc
	v_add_f64 v[176:177], v[176:177], v[178:179]
	s_waitcnt lgkmcnt(0)
	v_xor_b32_e32 v179, 0x80000000, v173
	v_xor_b32_e32 v181, 0x80000000, v175
	v_cmp_gt_f64_e32 vcc, 0, v[174:175]
	v_cmp_gt_f64_e64 s[0:1], 0, v[172:173]
	v_mov_b32_e32 v178, v172
	v_mov_b32_e32 v180, v174
	v_cndmask_b32_e64 v179, v173, v179, s[0:1]
	v_cndmask_b32_e32 v181, v175, v181, vcc
	v_add_f64 v[178:179], v[178:179], v[180:181]
	v_mov_b32_e32 v182, s16
	s_add_i32 s16, s16, 1
	v_cmp_lt_f64_e32 vcc, v[176:177], v[178:179]
	v_add_u32_e32 v167, 16, v167
	s_cmp_lg_u32 s20, s16
	v_cndmask_b32_e32 v157, v157, v173, vcc
	v_cndmask_b32_e32 v156, v156, v172, vcc
	v_cndmask_b32_e32 v159, v159, v175, vcc
	v_cndmask_b32_e32 v158, v158, v174, vcc
	v_cndmask_b32_e32 v166, v166, v182, vcc
	s_cbranch_scc1 .LBB76_169
.LBB76_170:
	s_waitcnt lgkmcnt(0)
	v_cmp_eq_f64_e32 vcc, 0, v[156:157]
	v_cmp_eq_f64_e64 s[0:1], 0, v[158:159]
	s_and_b64 s[0:1], vcc, s[0:1]
	s_and_saveexec_b64 s[16:17], s[0:1]
	s_xor_b64 s[0:1], exec, s[16:17]
; %bb.171:
	v_cmp_ne_u32_e32 vcc, 0, v170
	s_nop 1
	v_cndmask_b32_e32 v170, 9, v170, vcc
; %bb.172:
	s_andn2_saveexec_b64 s[0:1], s[0:1]
	s_cbranch_execz .LBB76_178
; %bb.173:
	v_cmp_ngt_f64_e64 s[16:17], |v[156:157]|, |v[158:159]|
	s_and_saveexec_b64 s[18:19], s[16:17]
	s_xor_b64 s[16:17], exec, s[18:19]
	s_cbranch_execz .LBB76_175
; %bb.174:
	v_div_scale_f64 v[172:173], s[18:19], v[158:159], v[158:159], v[156:157]
	v_rcp_f64_e32 v[174:175], v[172:173]
	v_div_scale_f64 v[176:177], vcc, v[156:157], v[158:159], v[156:157]
	v_fma_f64 v[178:179], -v[172:173], v[174:175], 1.0
	v_fmac_f64_e32 v[174:175], v[174:175], v[178:179]
	v_fma_f64 v[178:179], -v[172:173], v[174:175], 1.0
	v_fmac_f64_e32 v[174:175], v[174:175], v[178:179]
	v_mul_f64 v[178:179], v[176:177], v[174:175]
	v_fma_f64 v[172:173], -v[172:173], v[178:179], v[176:177]
	v_div_fmas_f64 v[172:173], v[172:173], v[174:175], v[178:179]
	v_div_fixup_f64 v[172:173], v[172:173], v[158:159], v[156:157]
	v_fmac_f64_e32 v[158:159], v[156:157], v[172:173]
	v_div_scale_f64 v[156:157], s[18:19], v[158:159], v[158:159], 1.0
	v_rcp_f64_e32 v[174:175], v[156:157]
	s_nop 0
	v_fma_f64 v[176:177], -v[156:157], v[174:175], 1.0
	v_fmac_f64_e32 v[174:175], v[174:175], v[176:177]
	v_fma_f64 v[176:177], -v[156:157], v[174:175], 1.0
	v_fmac_f64_e32 v[174:175], v[174:175], v[176:177]
	v_div_scale_f64 v[176:177], vcc, 1.0, v[158:159], 1.0
	v_mul_f64 v[178:179], v[176:177], v[174:175]
	v_fma_f64 v[156:157], -v[156:157], v[178:179], v[176:177]
	s_nop 1
	v_div_fmas_f64 v[156:157], v[156:157], v[174:175], v[178:179]
	v_div_fixup_f64 v[158:159], v[156:157], v[158:159], 1.0
	v_mul_f64 v[156:157], v[172:173], v[158:159]
	v_xor_b32_e32 v159, 0x80000000, v159
.LBB76_175:
	s_andn2_saveexec_b64 s[16:17], s[16:17]
	s_cbranch_execz .LBB76_177
; %bb.176:
	v_div_scale_f64 v[172:173], s[18:19], v[156:157], v[156:157], v[158:159]
	v_rcp_f64_e32 v[174:175], v[172:173]
	v_div_scale_f64 v[176:177], vcc, v[158:159], v[156:157], v[158:159]
	v_fma_f64 v[178:179], -v[172:173], v[174:175], 1.0
	v_fmac_f64_e32 v[174:175], v[174:175], v[178:179]
	v_fma_f64 v[178:179], -v[172:173], v[174:175], 1.0
	v_fmac_f64_e32 v[174:175], v[174:175], v[178:179]
	v_mul_f64 v[178:179], v[176:177], v[174:175]
	v_fma_f64 v[172:173], -v[172:173], v[178:179], v[176:177]
	v_div_fmas_f64 v[172:173], v[172:173], v[174:175], v[178:179]
	v_div_fixup_f64 v[172:173], v[172:173], v[156:157], v[158:159]
	v_fmac_f64_e32 v[156:157], v[158:159], v[172:173]
	v_div_scale_f64 v[158:159], s[18:19], v[156:157], v[156:157], 1.0
	v_rcp_f64_e32 v[174:175], v[158:159]
	s_nop 0
	v_fma_f64 v[176:177], -v[158:159], v[174:175], 1.0
	v_fmac_f64_e32 v[174:175], v[174:175], v[176:177]
	v_fma_f64 v[176:177], -v[158:159], v[174:175], 1.0
	v_fmac_f64_e32 v[174:175], v[174:175], v[176:177]
	v_div_scale_f64 v[176:177], vcc, 1.0, v[156:157], 1.0
	v_mul_f64 v[178:179], v[176:177], v[174:175]
	v_fma_f64 v[158:159], -v[158:159], v[178:179], v[176:177]
	s_nop 1
	v_div_fmas_f64 v[158:159], v[158:159], v[174:175], v[178:179]
	v_div_fixup_f64 v[156:157], v[158:159], v[156:157], 1.0
	v_mul_f64 v[158:159], v[172:173], -v[156:157]
.LBB76_177:
	s_or_b64 exec, exec, s[16:17]
.LBB76_178:
	s_or_b64 exec, exec, s[0:1]
	v_cmp_ne_u32_e32 vcc, v169, v166
	s_and_saveexec_b64 s[0:1], vcc
	s_xor_b64 s[0:1], exec, s[0:1]
	s_cbranch_execz .LBB76_184
; %bb.179:
	v_cmp_eq_u32_e32 vcc, 8, v169
	s_and_saveexec_b64 s[16:17], vcc
	s_cbranch_execz .LBB76_183
; %bb.180:
	v_cmp_ne_u32_e32 vcc, 8, v166
	s_xor_b64 s[18:19], s[14:15], -1
	s_and_b64 s[22:23], s[18:19], vcc
	s_and_saveexec_b64 s[18:19], s[22:23]
	s_cbranch_execz .LBB76_182
; %bb.181:
	v_ashrrev_i32_e32 v167, 31, v166
	v_lshl_add_u64 v[172:173], v[166:167], 2, v[164:165]
	global_load_dword v167, v[172:173], off
	global_load_dword v169, v[164:165], off offset:32
	s_waitcnt vmcnt(1)
	global_store_dword v[164:165], v167, off offset:32
	s_waitcnt vmcnt(1)
	global_store_dword v[172:173], v169, off
.LBB76_182:
	s_or_b64 exec, exec, s[18:19]
	v_mov_b32_e32 v169, v166
	v_mov_b32_e32 v171, v166
.LBB76_183:
	s_or_b64 exec, exec, s[16:17]
.LBB76_184:
	s_andn2_saveexec_b64 s[0:1], s[0:1]
	s_cbranch_execz .LBB76_186
; %bb.185:
	v_mov_b32_e32 v169, 8
	s_waitcnt vmcnt(29)
	ds_write2_b64 v168, v[120:121], v[122:123] offset0:18 offset1:19
	s_waitcnt vmcnt(28)
	ds_write2_b64 v168, v[116:117], v[118:119] offset0:20 offset1:21
	;; [unrolled: 2-line block ×30, first 2 shown]
.LBB76_186:
	s_or_b64 exec, exec, s[0:1]
	v_cmp_lt_i32_e32 vcc, 8, v169
	s_waitcnt lgkmcnt(0)
	s_barrier
	s_and_saveexec_b64 s[0:1], vcc
	s_cbranch_execz .LBB76_188
; %bb.187:
	ds_read2_b64 v[172:175], v168 offset0:18 offset1:19
	v_mul_f64 v[166:167], v[158:159], v[126:127]
	v_mul_f64 v[126:127], v[156:157], v[126:127]
	v_fma_f64 v[166:167], v[156:157], v[124:125], -v[166:167]
	v_fmac_f64_e32 v[126:127], v[158:159], v[124:125]
	ds_read2_b64 v[156:159], v168 offset0:20 offset1:21
	s_waitcnt lgkmcnt(1)
	v_mul_f64 v[124:125], v[174:175], v[126:127]
	v_fma_f64 v[124:125], v[172:173], v[166:167], -v[124:125]
	v_mul_f64 v[172:173], v[172:173], v[126:127]
	v_fmac_f64_e32 v[172:173], v[174:175], v[166:167]
	s_waitcnt vmcnt(29)
	v_add_f64 v[120:121], v[120:121], -v[124:125]
	s_waitcnt lgkmcnt(0)
	v_mul_f64 v[124:125], v[158:159], v[126:127]
	v_add_f64 v[122:123], v[122:123], -v[172:173]
	v_fma_f64 v[124:125], v[156:157], v[166:167], -v[124:125]
	v_mul_f64 v[156:157], v[156:157], v[126:127]
	ds_read2_b64 v[172:175], v168 offset0:22 offset1:23
	v_fmac_f64_e32 v[156:157], v[158:159], v[166:167]
	s_waitcnt vmcnt(28)
	v_add_f64 v[118:119], v[118:119], -v[156:157]
	ds_read2_b64 v[156:159], v168 offset0:24 offset1:25
	v_add_f64 v[116:117], v[116:117], -v[124:125]
	s_waitcnt lgkmcnt(1)
	v_mul_f64 v[124:125], v[174:175], v[126:127]
	v_fma_f64 v[124:125], v[172:173], v[166:167], -v[124:125]
	v_mul_f64 v[172:173], v[172:173], v[126:127]
	v_fmac_f64_e32 v[172:173], v[174:175], v[166:167]
	s_waitcnt vmcnt(27)
	v_add_f64 v[112:113], v[112:113], -v[124:125]
	s_waitcnt lgkmcnt(0)
	v_mul_f64 v[124:125], v[158:159], v[126:127]
	v_add_f64 v[114:115], v[114:115], -v[172:173]
	v_fma_f64 v[124:125], v[156:157], v[166:167], -v[124:125]
	v_mul_f64 v[156:157], v[156:157], v[126:127]
	ds_read2_b64 v[172:175], v168 offset0:26 offset1:27
	v_fmac_f64_e32 v[156:157], v[158:159], v[166:167]
	s_waitcnt vmcnt(26)
	v_add_f64 v[110:111], v[110:111], -v[156:157]
	ds_read2_b64 v[156:159], v168 offset0:28 offset1:29
	v_add_f64 v[108:109], v[108:109], -v[124:125]
	;; [unrolled: 18-line block ×14, first 2 shown]
	s_waitcnt lgkmcnt(1)
	v_mul_f64 v[124:125], v[174:175], v[126:127]
	v_fma_f64 v[124:125], v[172:173], v[166:167], -v[124:125]
	s_waitcnt vmcnt(1)
	v_add_f64 v[0:1], v[0:1], -v[124:125]
	s_waitcnt lgkmcnt(0)
	v_mul_f64 v[124:125], v[158:159], v[126:127]
	v_mul_f64 v[172:173], v[172:173], v[126:127]
	v_fma_f64 v[124:125], v[156:157], v[166:167], -v[124:125]
	v_mul_f64 v[156:157], v[156:157], v[126:127]
	v_fmac_f64_e32 v[172:173], v[174:175], v[166:167]
	v_fmac_f64_e32 v[156:157], v[158:159], v[166:167]
	v_add_f64 v[2:3], v[2:3], -v[172:173]
	s_waitcnt vmcnt(0)
	v_add_f64 v[152:153], v[152:153], -v[124:125]
	v_add_f64 v[154:155], v[154:155], -v[156:157]
	v_mov_b64_e32 v[124:125], v[166:167]
.LBB76_188:
	s_or_b64 exec, exec, s[0:1]
	v_lshl_add_u32 v156, v169, 4, v168
	s_barrier
	s_waitcnt vmcnt(29)
	ds_write2_b64 v156, v[120:121], v[122:123] offset1:1
	s_waitcnt lgkmcnt(0)
	s_barrier
	ds_read2_b64 v[156:159], v168 offset0:18 offset1:19
	s_cmp_lt_i32 s20, 11
	v_mov_b32_e32 v166, 9
	s_cbranch_scc1 .LBB76_191
; %bb.189:
	v_add_u32_e32 v167, 0xa0, v168
	s_mov_b32 s16, 10
	v_mov_b32_e32 v166, 9
.LBB76_190:                             ; =>This Inner Loop Header: Depth=1
	ds_read2_b64 v[172:175], v167 offset1:1
	s_waitcnt lgkmcnt(1)
	v_xor_b32_e32 v177, 0x80000000, v157
	v_xor_b32_e32 v179, 0x80000000, v159
	v_cmp_gt_f64_e32 vcc, 0, v[158:159]
	v_cmp_gt_f64_e64 s[0:1], 0, v[156:157]
	v_mov_b32_e32 v176, v156
	v_mov_b32_e32 v178, v158
	v_cndmask_b32_e64 v177, v157, v177, s[0:1]
	v_cndmask_b32_e32 v179, v159, v179, vcc
	v_add_f64 v[176:177], v[176:177], v[178:179]
	s_waitcnt lgkmcnt(0)
	v_xor_b32_e32 v179, 0x80000000, v173
	v_xor_b32_e32 v181, 0x80000000, v175
	v_cmp_gt_f64_e32 vcc, 0, v[174:175]
	v_cmp_gt_f64_e64 s[0:1], 0, v[172:173]
	v_mov_b32_e32 v178, v172
	v_mov_b32_e32 v180, v174
	v_cndmask_b32_e64 v179, v173, v179, s[0:1]
	v_cndmask_b32_e32 v181, v175, v181, vcc
	v_add_f64 v[178:179], v[178:179], v[180:181]
	v_mov_b32_e32 v182, s16
	s_add_i32 s16, s16, 1
	v_cmp_lt_f64_e32 vcc, v[176:177], v[178:179]
	v_add_u32_e32 v167, 16, v167
	s_cmp_lg_u32 s20, s16
	v_cndmask_b32_e32 v157, v157, v173, vcc
	v_cndmask_b32_e32 v156, v156, v172, vcc
	;; [unrolled: 1-line block ×5, first 2 shown]
	s_cbranch_scc1 .LBB76_190
.LBB76_191:
	s_waitcnt lgkmcnt(0)
	v_cmp_eq_f64_e32 vcc, 0, v[156:157]
	v_cmp_eq_f64_e64 s[0:1], 0, v[158:159]
	s_and_b64 s[0:1], vcc, s[0:1]
	s_and_saveexec_b64 s[16:17], s[0:1]
	s_xor_b64 s[0:1], exec, s[16:17]
; %bb.192:
	v_cmp_ne_u32_e32 vcc, 0, v170
	s_nop 1
	v_cndmask_b32_e32 v170, 10, v170, vcc
; %bb.193:
	s_andn2_saveexec_b64 s[0:1], s[0:1]
	s_cbranch_execz .LBB76_199
; %bb.194:
	v_cmp_ngt_f64_e64 s[16:17], |v[156:157]|, |v[158:159]|
	s_and_saveexec_b64 s[18:19], s[16:17]
	s_xor_b64 s[16:17], exec, s[18:19]
	s_cbranch_execz .LBB76_196
; %bb.195:
	v_div_scale_f64 v[172:173], s[18:19], v[158:159], v[158:159], v[156:157]
	v_rcp_f64_e32 v[174:175], v[172:173]
	v_div_scale_f64 v[176:177], vcc, v[156:157], v[158:159], v[156:157]
	v_fma_f64 v[178:179], -v[172:173], v[174:175], 1.0
	v_fmac_f64_e32 v[174:175], v[174:175], v[178:179]
	v_fma_f64 v[178:179], -v[172:173], v[174:175], 1.0
	v_fmac_f64_e32 v[174:175], v[174:175], v[178:179]
	v_mul_f64 v[178:179], v[176:177], v[174:175]
	v_fma_f64 v[172:173], -v[172:173], v[178:179], v[176:177]
	v_div_fmas_f64 v[172:173], v[172:173], v[174:175], v[178:179]
	v_div_fixup_f64 v[172:173], v[172:173], v[158:159], v[156:157]
	v_fmac_f64_e32 v[158:159], v[156:157], v[172:173]
	v_div_scale_f64 v[156:157], s[18:19], v[158:159], v[158:159], 1.0
	v_rcp_f64_e32 v[174:175], v[156:157]
	s_nop 0
	v_fma_f64 v[176:177], -v[156:157], v[174:175], 1.0
	v_fmac_f64_e32 v[174:175], v[174:175], v[176:177]
	v_fma_f64 v[176:177], -v[156:157], v[174:175], 1.0
	v_fmac_f64_e32 v[174:175], v[174:175], v[176:177]
	v_div_scale_f64 v[176:177], vcc, 1.0, v[158:159], 1.0
	v_mul_f64 v[178:179], v[176:177], v[174:175]
	v_fma_f64 v[156:157], -v[156:157], v[178:179], v[176:177]
	s_nop 1
	v_div_fmas_f64 v[156:157], v[156:157], v[174:175], v[178:179]
	v_div_fixup_f64 v[158:159], v[156:157], v[158:159], 1.0
	v_mul_f64 v[156:157], v[172:173], v[158:159]
	v_xor_b32_e32 v159, 0x80000000, v159
.LBB76_196:
	s_andn2_saveexec_b64 s[16:17], s[16:17]
	s_cbranch_execz .LBB76_198
; %bb.197:
	v_div_scale_f64 v[172:173], s[18:19], v[156:157], v[156:157], v[158:159]
	v_rcp_f64_e32 v[174:175], v[172:173]
	v_div_scale_f64 v[176:177], vcc, v[158:159], v[156:157], v[158:159]
	v_fma_f64 v[178:179], -v[172:173], v[174:175], 1.0
	v_fmac_f64_e32 v[174:175], v[174:175], v[178:179]
	v_fma_f64 v[178:179], -v[172:173], v[174:175], 1.0
	v_fmac_f64_e32 v[174:175], v[174:175], v[178:179]
	v_mul_f64 v[178:179], v[176:177], v[174:175]
	v_fma_f64 v[172:173], -v[172:173], v[178:179], v[176:177]
	v_div_fmas_f64 v[172:173], v[172:173], v[174:175], v[178:179]
	v_div_fixup_f64 v[172:173], v[172:173], v[156:157], v[158:159]
	v_fmac_f64_e32 v[156:157], v[158:159], v[172:173]
	v_div_scale_f64 v[158:159], s[18:19], v[156:157], v[156:157], 1.0
	v_rcp_f64_e32 v[174:175], v[158:159]
	s_nop 0
	v_fma_f64 v[176:177], -v[158:159], v[174:175], 1.0
	v_fmac_f64_e32 v[174:175], v[174:175], v[176:177]
	v_fma_f64 v[176:177], -v[158:159], v[174:175], 1.0
	v_fmac_f64_e32 v[174:175], v[174:175], v[176:177]
	v_div_scale_f64 v[176:177], vcc, 1.0, v[156:157], 1.0
	v_mul_f64 v[178:179], v[176:177], v[174:175]
	v_fma_f64 v[158:159], -v[158:159], v[178:179], v[176:177]
	s_nop 1
	v_div_fmas_f64 v[158:159], v[158:159], v[174:175], v[178:179]
	v_div_fixup_f64 v[156:157], v[158:159], v[156:157], 1.0
	v_mul_f64 v[158:159], v[172:173], -v[156:157]
.LBB76_198:
	s_or_b64 exec, exec, s[16:17]
.LBB76_199:
	s_or_b64 exec, exec, s[0:1]
	v_cmp_ne_u32_e32 vcc, v169, v166
	s_and_saveexec_b64 s[0:1], vcc
	s_xor_b64 s[0:1], exec, s[0:1]
	s_cbranch_execz .LBB76_205
; %bb.200:
	v_cmp_eq_u32_e32 vcc, 9, v169
	s_and_saveexec_b64 s[16:17], vcc
	s_cbranch_execz .LBB76_204
; %bb.201:
	v_cmp_ne_u32_e32 vcc, 9, v166
	s_xor_b64 s[18:19], s[14:15], -1
	s_and_b64 s[22:23], s[18:19], vcc
	s_and_saveexec_b64 s[18:19], s[22:23]
	s_cbranch_execz .LBB76_203
; %bb.202:
	v_ashrrev_i32_e32 v167, 31, v166
	v_lshl_add_u64 v[172:173], v[166:167], 2, v[164:165]
	global_load_dword v167, v[172:173], off
	global_load_dword v169, v[164:165], off offset:36
	s_waitcnt vmcnt(1)
	global_store_dword v[164:165], v167, off offset:36
	s_waitcnt vmcnt(1)
	global_store_dword v[172:173], v169, off
.LBB76_203:
	s_or_b64 exec, exec, s[18:19]
	v_mov_b32_e32 v169, v166
	v_mov_b32_e32 v171, v166
.LBB76_204:
	s_or_b64 exec, exec, s[16:17]
.LBB76_205:
	s_andn2_saveexec_b64 s[0:1], s[0:1]
	s_cbranch_execz .LBB76_207
; %bb.206:
	v_mov_b32_e32 v169, 9
	s_waitcnt vmcnt(28)
	ds_write2_b64 v168, v[116:117], v[118:119] offset0:20 offset1:21
	s_waitcnt vmcnt(27)
	ds_write2_b64 v168, v[112:113], v[114:115] offset0:22 offset1:23
	;; [unrolled: 2-line block ×29, first 2 shown]
.LBB76_207:
	s_or_b64 exec, exec, s[0:1]
	v_cmp_lt_i32_e32 vcc, 9, v169
	s_waitcnt lgkmcnt(0)
	s_barrier
	s_and_saveexec_b64 s[0:1], vcc
	s_cbranch_execz .LBB76_209
; %bb.208:
	ds_read2_b64 v[172:175], v168 offset0:20 offset1:21
	v_mul_f64 v[166:167], v[158:159], v[122:123]
	v_mul_f64 v[122:123], v[156:157], v[122:123]
	v_fmac_f64_e32 v[122:123], v[158:159], v[120:121]
	v_fma_f64 v[166:167], v[156:157], v[120:121], -v[166:167]
	ds_read2_b64 v[156:159], v168 offset0:22 offset1:23
	s_waitcnt lgkmcnt(1)
	v_mul_f64 v[120:121], v[174:175], v[122:123]
	v_fma_f64 v[120:121], v[172:173], v[166:167], -v[120:121]
	v_mul_f64 v[172:173], v[172:173], v[122:123]
	v_fmac_f64_e32 v[172:173], v[174:175], v[166:167]
	s_waitcnt vmcnt(28)
	v_add_f64 v[118:119], v[118:119], -v[172:173]
	ds_read2_b64 v[172:175], v168 offset0:24 offset1:25
	v_add_f64 v[116:117], v[116:117], -v[120:121]
	s_waitcnt lgkmcnt(1)
	v_mul_f64 v[120:121], v[158:159], v[122:123]
	v_fma_f64 v[120:121], v[156:157], v[166:167], -v[120:121]
	v_mul_f64 v[156:157], v[156:157], v[122:123]
	v_fmac_f64_e32 v[156:157], v[158:159], v[166:167]
	s_waitcnt vmcnt(27)
	v_add_f64 v[112:113], v[112:113], -v[120:121]
	v_add_f64 v[114:115], v[114:115], -v[156:157]
	ds_read2_b64 v[156:159], v168 offset0:26 offset1:27
	s_waitcnt lgkmcnt(1)
	v_mul_f64 v[120:121], v[174:175], v[122:123]
	v_fma_f64 v[120:121], v[172:173], v[166:167], -v[120:121]
	v_mul_f64 v[172:173], v[172:173], v[122:123]
	v_fmac_f64_e32 v[172:173], v[174:175], v[166:167]
	s_waitcnt vmcnt(26)
	v_add_f64 v[110:111], v[110:111], -v[172:173]
	ds_read2_b64 v[172:175], v168 offset0:28 offset1:29
	v_add_f64 v[108:109], v[108:109], -v[120:121]
	s_waitcnt lgkmcnt(1)
	v_mul_f64 v[120:121], v[158:159], v[122:123]
	v_fma_f64 v[120:121], v[156:157], v[166:167], -v[120:121]
	v_mul_f64 v[156:157], v[156:157], v[122:123]
	v_fmac_f64_e32 v[156:157], v[158:159], v[166:167]
	s_waitcnt vmcnt(25)
	v_add_f64 v[100:101], v[100:101], -v[120:121]
	v_add_f64 v[102:103], v[102:103], -v[156:157]
	;; [unrolled: 18-line block ×14, first 2 shown]
	s_waitcnt lgkmcnt(0)
	v_mul_f64 v[120:121], v[174:175], v[122:123]
	v_mul_f64 v[156:157], v[172:173], v[122:123]
	v_fma_f64 v[120:121], v[172:173], v[166:167], -v[120:121]
	v_fmac_f64_e32 v[156:157], v[174:175], v[166:167]
	s_waitcnt vmcnt(0)
	v_add_f64 v[152:153], v[152:153], -v[120:121]
	v_add_f64 v[154:155], v[154:155], -v[156:157]
	v_mov_b64_e32 v[120:121], v[166:167]
.LBB76_209:
	s_or_b64 exec, exec, s[0:1]
	v_lshl_add_u32 v156, v169, 4, v168
	s_barrier
	s_waitcnt vmcnt(28)
	ds_write2_b64 v156, v[116:117], v[118:119] offset1:1
	s_waitcnt lgkmcnt(0)
	s_barrier
	ds_read2_b64 v[156:159], v168 offset0:20 offset1:21
	s_cmp_lt_i32 s20, 12
	v_mov_b32_e32 v166, 10
	s_cbranch_scc1 .LBB76_212
; %bb.210:
	v_add_u32_e32 v167, 0xb0, v168
	s_mov_b32 s16, 11
	v_mov_b32_e32 v166, 10
.LBB76_211:                             ; =>This Inner Loop Header: Depth=1
	ds_read2_b64 v[172:175], v167 offset1:1
	s_waitcnt lgkmcnt(1)
	v_xor_b32_e32 v177, 0x80000000, v157
	v_xor_b32_e32 v179, 0x80000000, v159
	v_cmp_gt_f64_e32 vcc, 0, v[158:159]
	v_cmp_gt_f64_e64 s[0:1], 0, v[156:157]
	v_mov_b32_e32 v176, v156
	v_mov_b32_e32 v178, v158
	v_cndmask_b32_e64 v177, v157, v177, s[0:1]
	v_cndmask_b32_e32 v179, v159, v179, vcc
	v_add_f64 v[176:177], v[176:177], v[178:179]
	s_waitcnt lgkmcnt(0)
	v_xor_b32_e32 v179, 0x80000000, v173
	v_xor_b32_e32 v181, 0x80000000, v175
	v_cmp_gt_f64_e32 vcc, 0, v[174:175]
	v_cmp_gt_f64_e64 s[0:1], 0, v[172:173]
	v_mov_b32_e32 v178, v172
	v_mov_b32_e32 v180, v174
	v_cndmask_b32_e64 v179, v173, v179, s[0:1]
	v_cndmask_b32_e32 v181, v175, v181, vcc
	v_add_f64 v[178:179], v[178:179], v[180:181]
	v_mov_b32_e32 v182, s16
	s_add_i32 s16, s16, 1
	v_cmp_lt_f64_e32 vcc, v[176:177], v[178:179]
	v_add_u32_e32 v167, 16, v167
	s_cmp_lg_u32 s20, s16
	v_cndmask_b32_e32 v157, v157, v173, vcc
	v_cndmask_b32_e32 v156, v156, v172, vcc
	;; [unrolled: 1-line block ×5, first 2 shown]
	s_cbranch_scc1 .LBB76_211
.LBB76_212:
	s_waitcnt lgkmcnt(0)
	v_cmp_eq_f64_e32 vcc, 0, v[156:157]
	v_cmp_eq_f64_e64 s[0:1], 0, v[158:159]
	s_and_b64 s[0:1], vcc, s[0:1]
	s_and_saveexec_b64 s[16:17], s[0:1]
	s_xor_b64 s[0:1], exec, s[16:17]
; %bb.213:
	v_cmp_ne_u32_e32 vcc, 0, v170
	s_nop 1
	v_cndmask_b32_e32 v170, 11, v170, vcc
; %bb.214:
	s_andn2_saveexec_b64 s[0:1], s[0:1]
	s_cbranch_execz .LBB76_220
; %bb.215:
	v_cmp_ngt_f64_e64 s[16:17], |v[156:157]|, |v[158:159]|
	s_and_saveexec_b64 s[18:19], s[16:17]
	s_xor_b64 s[16:17], exec, s[18:19]
	s_cbranch_execz .LBB76_217
; %bb.216:
	v_div_scale_f64 v[172:173], s[18:19], v[158:159], v[158:159], v[156:157]
	v_rcp_f64_e32 v[174:175], v[172:173]
	v_div_scale_f64 v[176:177], vcc, v[156:157], v[158:159], v[156:157]
	v_fma_f64 v[178:179], -v[172:173], v[174:175], 1.0
	v_fmac_f64_e32 v[174:175], v[174:175], v[178:179]
	v_fma_f64 v[178:179], -v[172:173], v[174:175], 1.0
	v_fmac_f64_e32 v[174:175], v[174:175], v[178:179]
	v_mul_f64 v[178:179], v[176:177], v[174:175]
	v_fma_f64 v[172:173], -v[172:173], v[178:179], v[176:177]
	v_div_fmas_f64 v[172:173], v[172:173], v[174:175], v[178:179]
	v_div_fixup_f64 v[172:173], v[172:173], v[158:159], v[156:157]
	v_fmac_f64_e32 v[158:159], v[156:157], v[172:173]
	v_div_scale_f64 v[156:157], s[18:19], v[158:159], v[158:159], 1.0
	v_rcp_f64_e32 v[174:175], v[156:157]
	s_nop 0
	v_fma_f64 v[176:177], -v[156:157], v[174:175], 1.0
	v_fmac_f64_e32 v[174:175], v[174:175], v[176:177]
	v_fma_f64 v[176:177], -v[156:157], v[174:175], 1.0
	v_fmac_f64_e32 v[174:175], v[174:175], v[176:177]
	v_div_scale_f64 v[176:177], vcc, 1.0, v[158:159], 1.0
	v_mul_f64 v[178:179], v[176:177], v[174:175]
	v_fma_f64 v[156:157], -v[156:157], v[178:179], v[176:177]
	s_nop 1
	v_div_fmas_f64 v[156:157], v[156:157], v[174:175], v[178:179]
	v_div_fixup_f64 v[158:159], v[156:157], v[158:159], 1.0
	v_mul_f64 v[156:157], v[172:173], v[158:159]
	v_xor_b32_e32 v159, 0x80000000, v159
.LBB76_217:
	s_andn2_saveexec_b64 s[16:17], s[16:17]
	s_cbranch_execz .LBB76_219
; %bb.218:
	v_div_scale_f64 v[172:173], s[18:19], v[156:157], v[156:157], v[158:159]
	v_rcp_f64_e32 v[174:175], v[172:173]
	v_div_scale_f64 v[176:177], vcc, v[158:159], v[156:157], v[158:159]
	v_fma_f64 v[178:179], -v[172:173], v[174:175], 1.0
	v_fmac_f64_e32 v[174:175], v[174:175], v[178:179]
	v_fma_f64 v[178:179], -v[172:173], v[174:175], 1.0
	v_fmac_f64_e32 v[174:175], v[174:175], v[178:179]
	v_mul_f64 v[178:179], v[176:177], v[174:175]
	v_fma_f64 v[172:173], -v[172:173], v[178:179], v[176:177]
	v_div_fmas_f64 v[172:173], v[172:173], v[174:175], v[178:179]
	v_div_fixup_f64 v[172:173], v[172:173], v[156:157], v[158:159]
	v_fmac_f64_e32 v[156:157], v[158:159], v[172:173]
	v_div_scale_f64 v[158:159], s[18:19], v[156:157], v[156:157], 1.0
	v_rcp_f64_e32 v[174:175], v[158:159]
	s_nop 0
	v_fma_f64 v[176:177], -v[158:159], v[174:175], 1.0
	v_fmac_f64_e32 v[174:175], v[174:175], v[176:177]
	v_fma_f64 v[176:177], -v[158:159], v[174:175], 1.0
	v_fmac_f64_e32 v[174:175], v[174:175], v[176:177]
	v_div_scale_f64 v[176:177], vcc, 1.0, v[156:157], 1.0
	v_mul_f64 v[178:179], v[176:177], v[174:175]
	v_fma_f64 v[158:159], -v[158:159], v[178:179], v[176:177]
	s_nop 1
	v_div_fmas_f64 v[158:159], v[158:159], v[174:175], v[178:179]
	v_div_fixup_f64 v[156:157], v[158:159], v[156:157], 1.0
	v_mul_f64 v[158:159], v[172:173], -v[156:157]
.LBB76_219:
	s_or_b64 exec, exec, s[16:17]
.LBB76_220:
	s_or_b64 exec, exec, s[0:1]
	v_cmp_ne_u32_e32 vcc, v169, v166
	s_and_saveexec_b64 s[0:1], vcc
	s_xor_b64 s[0:1], exec, s[0:1]
	s_cbranch_execz .LBB76_226
; %bb.221:
	v_cmp_eq_u32_e32 vcc, 10, v169
	s_and_saveexec_b64 s[16:17], vcc
	s_cbranch_execz .LBB76_225
; %bb.222:
	v_cmp_ne_u32_e32 vcc, 10, v166
	s_xor_b64 s[18:19], s[14:15], -1
	s_and_b64 s[22:23], s[18:19], vcc
	s_and_saveexec_b64 s[18:19], s[22:23]
	s_cbranch_execz .LBB76_224
; %bb.223:
	v_ashrrev_i32_e32 v167, 31, v166
	v_lshl_add_u64 v[172:173], v[166:167], 2, v[164:165]
	global_load_dword v167, v[172:173], off
	global_load_dword v169, v[164:165], off offset:40
	s_waitcnt vmcnt(1)
	global_store_dword v[164:165], v167, off offset:40
	s_waitcnt vmcnt(1)
	global_store_dword v[172:173], v169, off
.LBB76_224:
	s_or_b64 exec, exec, s[18:19]
	v_mov_b32_e32 v169, v166
	v_mov_b32_e32 v171, v166
.LBB76_225:
	s_or_b64 exec, exec, s[16:17]
.LBB76_226:
	s_andn2_saveexec_b64 s[0:1], s[0:1]
	s_cbranch_execz .LBB76_228
; %bb.227:
	v_mov_b32_e32 v169, 10
	s_waitcnt vmcnt(27)
	ds_write2_b64 v168, v[112:113], v[114:115] offset0:22 offset1:23
	s_waitcnt vmcnt(26)
	ds_write2_b64 v168, v[108:109], v[110:111] offset0:24 offset1:25
	;; [unrolled: 2-line block ×28, first 2 shown]
.LBB76_228:
	s_or_b64 exec, exec, s[0:1]
	v_cmp_lt_i32_e32 vcc, 10, v169
	s_waitcnt lgkmcnt(0)
	s_barrier
	s_and_saveexec_b64 s[0:1], vcc
	s_cbranch_execz .LBB76_230
; %bb.229:
	ds_read2_b64 v[172:175], v168 offset0:22 offset1:23
	v_mul_f64 v[166:167], v[158:159], v[118:119]
	v_mul_f64 v[118:119], v[156:157], v[118:119]
	v_fma_f64 v[166:167], v[156:157], v[116:117], -v[166:167]
	v_fmac_f64_e32 v[118:119], v[158:159], v[116:117]
	ds_read2_b64 v[156:159], v168 offset0:24 offset1:25
	s_waitcnt lgkmcnt(1)
	v_mul_f64 v[116:117], v[174:175], v[118:119]
	v_fma_f64 v[116:117], v[172:173], v[166:167], -v[116:117]
	v_mul_f64 v[172:173], v[172:173], v[118:119]
	v_fmac_f64_e32 v[172:173], v[174:175], v[166:167]
	s_waitcnt vmcnt(27)
	v_add_f64 v[112:113], v[112:113], -v[116:117]
	s_waitcnt lgkmcnt(0)
	v_mul_f64 v[116:117], v[158:159], v[118:119]
	v_add_f64 v[114:115], v[114:115], -v[172:173]
	v_fma_f64 v[116:117], v[156:157], v[166:167], -v[116:117]
	v_mul_f64 v[156:157], v[156:157], v[118:119]
	ds_read2_b64 v[172:175], v168 offset0:26 offset1:27
	v_fmac_f64_e32 v[156:157], v[158:159], v[166:167]
	s_waitcnt vmcnt(26)
	v_add_f64 v[110:111], v[110:111], -v[156:157]
	ds_read2_b64 v[156:159], v168 offset0:28 offset1:29
	v_add_f64 v[108:109], v[108:109], -v[116:117]
	s_waitcnt lgkmcnt(1)
	v_mul_f64 v[116:117], v[174:175], v[118:119]
	v_fma_f64 v[116:117], v[172:173], v[166:167], -v[116:117]
	v_mul_f64 v[172:173], v[172:173], v[118:119]
	v_fmac_f64_e32 v[172:173], v[174:175], v[166:167]
	s_waitcnt vmcnt(25)
	v_add_f64 v[100:101], v[100:101], -v[116:117]
	s_waitcnt lgkmcnt(0)
	v_mul_f64 v[116:117], v[158:159], v[118:119]
	v_add_f64 v[102:103], v[102:103], -v[172:173]
	v_fma_f64 v[116:117], v[156:157], v[166:167], -v[116:117]
	v_mul_f64 v[156:157], v[156:157], v[118:119]
	ds_read2_b64 v[172:175], v168 offset0:30 offset1:31
	v_fmac_f64_e32 v[156:157], v[158:159], v[166:167]
	s_waitcnt vmcnt(24)
	v_add_f64 v[94:95], v[94:95], -v[156:157]
	ds_read2_b64 v[156:159], v168 offset0:32 offset1:33
	v_add_f64 v[92:93], v[92:93], -v[116:117]
	;; [unrolled: 18-line block ×13, first 2 shown]
	s_waitcnt lgkmcnt(1)
	v_mul_f64 v[116:117], v[174:175], v[118:119]
	v_fma_f64 v[116:117], v[172:173], v[166:167], -v[116:117]
	s_waitcnt vmcnt(1)
	v_add_f64 v[0:1], v[0:1], -v[116:117]
	s_waitcnt lgkmcnt(0)
	v_mul_f64 v[116:117], v[158:159], v[118:119]
	v_mul_f64 v[172:173], v[172:173], v[118:119]
	v_fma_f64 v[116:117], v[156:157], v[166:167], -v[116:117]
	v_mul_f64 v[156:157], v[156:157], v[118:119]
	v_fmac_f64_e32 v[172:173], v[174:175], v[166:167]
	v_fmac_f64_e32 v[156:157], v[158:159], v[166:167]
	v_add_f64 v[2:3], v[2:3], -v[172:173]
	s_waitcnt vmcnt(0)
	v_add_f64 v[152:153], v[152:153], -v[116:117]
	v_add_f64 v[154:155], v[154:155], -v[156:157]
	v_mov_b64_e32 v[116:117], v[166:167]
.LBB76_230:
	s_or_b64 exec, exec, s[0:1]
	v_lshl_add_u32 v156, v169, 4, v168
	s_barrier
	s_waitcnt vmcnt(27)
	ds_write2_b64 v156, v[112:113], v[114:115] offset1:1
	s_waitcnt lgkmcnt(0)
	s_barrier
	ds_read2_b64 v[156:159], v168 offset0:22 offset1:23
	s_cmp_lt_i32 s20, 13
	v_mov_b32_e32 v166, 11
	s_cbranch_scc1 .LBB76_233
; %bb.231:
	v_add_u32_e32 v167, 0xc0, v168
	s_mov_b32 s16, 12
	v_mov_b32_e32 v166, 11
.LBB76_232:                             ; =>This Inner Loop Header: Depth=1
	ds_read2_b64 v[172:175], v167 offset1:1
	s_waitcnt lgkmcnt(1)
	v_xor_b32_e32 v177, 0x80000000, v157
	v_xor_b32_e32 v179, 0x80000000, v159
	v_cmp_gt_f64_e32 vcc, 0, v[158:159]
	v_cmp_gt_f64_e64 s[0:1], 0, v[156:157]
	v_mov_b32_e32 v176, v156
	v_mov_b32_e32 v178, v158
	v_cndmask_b32_e64 v177, v157, v177, s[0:1]
	v_cndmask_b32_e32 v179, v159, v179, vcc
	v_add_f64 v[176:177], v[176:177], v[178:179]
	s_waitcnt lgkmcnt(0)
	v_xor_b32_e32 v179, 0x80000000, v173
	v_xor_b32_e32 v181, 0x80000000, v175
	v_cmp_gt_f64_e32 vcc, 0, v[174:175]
	v_cmp_gt_f64_e64 s[0:1], 0, v[172:173]
	v_mov_b32_e32 v178, v172
	v_mov_b32_e32 v180, v174
	v_cndmask_b32_e64 v179, v173, v179, s[0:1]
	v_cndmask_b32_e32 v181, v175, v181, vcc
	v_add_f64 v[178:179], v[178:179], v[180:181]
	v_mov_b32_e32 v182, s16
	s_add_i32 s16, s16, 1
	v_cmp_lt_f64_e32 vcc, v[176:177], v[178:179]
	v_add_u32_e32 v167, 16, v167
	s_cmp_lg_u32 s20, s16
	v_cndmask_b32_e32 v157, v157, v173, vcc
	v_cndmask_b32_e32 v156, v156, v172, vcc
	;; [unrolled: 1-line block ×5, first 2 shown]
	s_cbranch_scc1 .LBB76_232
.LBB76_233:
	s_waitcnt lgkmcnt(0)
	v_cmp_eq_f64_e32 vcc, 0, v[156:157]
	v_cmp_eq_f64_e64 s[0:1], 0, v[158:159]
	s_and_b64 s[0:1], vcc, s[0:1]
	s_and_saveexec_b64 s[16:17], s[0:1]
	s_xor_b64 s[0:1], exec, s[16:17]
; %bb.234:
	v_cmp_ne_u32_e32 vcc, 0, v170
	s_nop 1
	v_cndmask_b32_e32 v170, 12, v170, vcc
; %bb.235:
	s_andn2_saveexec_b64 s[0:1], s[0:1]
	s_cbranch_execz .LBB76_241
; %bb.236:
	v_cmp_ngt_f64_e64 s[16:17], |v[156:157]|, |v[158:159]|
	s_and_saveexec_b64 s[18:19], s[16:17]
	s_xor_b64 s[16:17], exec, s[18:19]
	s_cbranch_execz .LBB76_238
; %bb.237:
	v_div_scale_f64 v[172:173], s[18:19], v[158:159], v[158:159], v[156:157]
	v_rcp_f64_e32 v[174:175], v[172:173]
	v_div_scale_f64 v[176:177], vcc, v[156:157], v[158:159], v[156:157]
	v_fma_f64 v[178:179], -v[172:173], v[174:175], 1.0
	v_fmac_f64_e32 v[174:175], v[174:175], v[178:179]
	v_fma_f64 v[178:179], -v[172:173], v[174:175], 1.0
	v_fmac_f64_e32 v[174:175], v[174:175], v[178:179]
	v_mul_f64 v[178:179], v[176:177], v[174:175]
	v_fma_f64 v[172:173], -v[172:173], v[178:179], v[176:177]
	v_div_fmas_f64 v[172:173], v[172:173], v[174:175], v[178:179]
	v_div_fixup_f64 v[172:173], v[172:173], v[158:159], v[156:157]
	v_fmac_f64_e32 v[158:159], v[156:157], v[172:173]
	v_div_scale_f64 v[156:157], s[18:19], v[158:159], v[158:159], 1.0
	v_rcp_f64_e32 v[174:175], v[156:157]
	s_nop 0
	v_fma_f64 v[176:177], -v[156:157], v[174:175], 1.0
	v_fmac_f64_e32 v[174:175], v[174:175], v[176:177]
	v_fma_f64 v[176:177], -v[156:157], v[174:175], 1.0
	v_fmac_f64_e32 v[174:175], v[174:175], v[176:177]
	v_div_scale_f64 v[176:177], vcc, 1.0, v[158:159], 1.0
	v_mul_f64 v[178:179], v[176:177], v[174:175]
	v_fma_f64 v[156:157], -v[156:157], v[178:179], v[176:177]
	s_nop 1
	v_div_fmas_f64 v[156:157], v[156:157], v[174:175], v[178:179]
	v_div_fixup_f64 v[158:159], v[156:157], v[158:159], 1.0
	v_mul_f64 v[156:157], v[172:173], v[158:159]
	v_xor_b32_e32 v159, 0x80000000, v159
.LBB76_238:
	s_andn2_saveexec_b64 s[16:17], s[16:17]
	s_cbranch_execz .LBB76_240
; %bb.239:
	v_div_scale_f64 v[172:173], s[18:19], v[156:157], v[156:157], v[158:159]
	v_rcp_f64_e32 v[174:175], v[172:173]
	v_div_scale_f64 v[176:177], vcc, v[158:159], v[156:157], v[158:159]
	v_fma_f64 v[178:179], -v[172:173], v[174:175], 1.0
	v_fmac_f64_e32 v[174:175], v[174:175], v[178:179]
	v_fma_f64 v[178:179], -v[172:173], v[174:175], 1.0
	v_fmac_f64_e32 v[174:175], v[174:175], v[178:179]
	v_mul_f64 v[178:179], v[176:177], v[174:175]
	v_fma_f64 v[172:173], -v[172:173], v[178:179], v[176:177]
	v_div_fmas_f64 v[172:173], v[172:173], v[174:175], v[178:179]
	v_div_fixup_f64 v[172:173], v[172:173], v[156:157], v[158:159]
	v_fmac_f64_e32 v[156:157], v[158:159], v[172:173]
	v_div_scale_f64 v[158:159], s[18:19], v[156:157], v[156:157], 1.0
	v_rcp_f64_e32 v[174:175], v[158:159]
	s_nop 0
	v_fma_f64 v[176:177], -v[158:159], v[174:175], 1.0
	v_fmac_f64_e32 v[174:175], v[174:175], v[176:177]
	v_fma_f64 v[176:177], -v[158:159], v[174:175], 1.0
	v_fmac_f64_e32 v[174:175], v[174:175], v[176:177]
	v_div_scale_f64 v[176:177], vcc, 1.0, v[156:157], 1.0
	v_mul_f64 v[178:179], v[176:177], v[174:175]
	v_fma_f64 v[158:159], -v[158:159], v[178:179], v[176:177]
	s_nop 1
	v_div_fmas_f64 v[158:159], v[158:159], v[174:175], v[178:179]
	v_div_fixup_f64 v[156:157], v[158:159], v[156:157], 1.0
	v_mul_f64 v[158:159], v[172:173], -v[156:157]
.LBB76_240:
	s_or_b64 exec, exec, s[16:17]
.LBB76_241:
	s_or_b64 exec, exec, s[0:1]
	v_cmp_ne_u32_e32 vcc, v169, v166
	s_and_saveexec_b64 s[0:1], vcc
	s_xor_b64 s[0:1], exec, s[0:1]
	s_cbranch_execz .LBB76_247
; %bb.242:
	v_cmp_eq_u32_e32 vcc, 11, v169
	s_and_saveexec_b64 s[16:17], vcc
	s_cbranch_execz .LBB76_246
; %bb.243:
	v_cmp_ne_u32_e32 vcc, 11, v166
	s_xor_b64 s[18:19], s[14:15], -1
	s_and_b64 s[22:23], s[18:19], vcc
	s_and_saveexec_b64 s[18:19], s[22:23]
	s_cbranch_execz .LBB76_245
; %bb.244:
	v_ashrrev_i32_e32 v167, 31, v166
	v_lshl_add_u64 v[172:173], v[166:167], 2, v[164:165]
	global_load_dword v167, v[172:173], off
	global_load_dword v169, v[164:165], off offset:44
	s_waitcnt vmcnt(1)
	global_store_dword v[164:165], v167, off offset:44
	s_waitcnt vmcnt(1)
	global_store_dword v[172:173], v169, off
.LBB76_245:
	s_or_b64 exec, exec, s[18:19]
	v_mov_b32_e32 v169, v166
	v_mov_b32_e32 v171, v166
.LBB76_246:
	s_or_b64 exec, exec, s[16:17]
.LBB76_247:
	s_andn2_saveexec_b64 s[0:1], s[0:1]
	s_cbranch_execz .LBB76_249
; %bb.248:
	v_mov_b32_e32 v169, 11
	s_waitcnt vmcnt(26)
	ds_write2_b64 v168, v[108:109], v[110:111] offset0:24 offset1:25
	s_waitcnt vmcnt(25)
	ds_write2_b64 v168, v[100:101], v[102:103] offset0:26 offset1:27
	;; [unrolled: 2-line block ×27, first 2 shown]
.LBB76_249:
	s_or_b64 exec, exec, s[0:1]
	v_cmp_lt_i32_e32 vcc, 11, v169
	s_waitcnt lgkmcnt(0)
	s_barrier
	s_and_saveexec_b64 s[0:1], vcc
	s_cbranch_execz .LBB76_251
; %bb.250:
	ds_read2_b64 v[172:175], v168 offset0:24 offset1:25
	v_mul_f64 v[166:167], v[158:159], v[114:115]
	v_mul_f64 v[114:115], v[156:157], v[114:115]
	v_fmac_f64_e32 v[114:115], v[158:159], v[112:113]
	v_fma_f64 v[166:167], v[156:157], v[112:113], -v[166:167]
	ds_read2_b64 v[156:159], v168 offset0:26 offset1:27
	s_waitcnt lgkmcnt(1)
	v_mul_f64 v[112:113], v[174:175], v[114:115]
	v_fma_f64 v[112:113], v[172:173], v[166:167], -v[112:113]
	v_mul_f64 v[172:173], v[172:173], v[114:115]
	v_fmac_f64_e32 v[172:173], v[174:175], v[166:167]
	s_waitcnt vmcnt(26)
	v_add_f64 v[110:111], v[110:111], -v[172:173]
	ds_read2_b64 v[172:175], v168 offset0:28 offset1:29
	v_add_f64 v[108:109], v[108:109], -v[112:113]
	s_waitcnt lgkmcnt(1)
	v_mul_f64 v[112:113], v[158:159], v[114:115]
	v_fma_f64 v[112:113], v[156:157], v[166:167], -v[112:113]
	v_mul_f64 v[156:157], v[156:157], v[114:115]
	v_fmac_f64_e32 v[156:157], v[158:159], v[166:167]
	s_waitcnt vmcnt(25)
	v_add_f64 v[100:101], v[100:101], -v[112:113]
	v_add_f64 v[102:103], v[102:103], -v[156:157]
	ds_read2_b64 v[156:159], v168 offset0:30 offset1:31
	s_waitcnt lgkmcnt(1)
	v_mul_f64 v[112:113], v[174:175], v[114:115]
	v_fma_f64 v[112:113], v[172:173], v[166:167], -v[112:113]
	v_mul_f64 v[172:173], v[172:173], v[114:115]
	v_fmac_f64_e32 v[172:173], v[174:175], v[166:167]
	s_waitcnt vmcnt(24)
	v_add_f64 v[94:95], v[94:95], -v[172:173]
	ds_read2_b64 v[172:175], v168 offset0:32 offset1:33
	v_add_f64 v[92:93], v[92:93], -v[112:113]
	s_waitcnt lgkmcnt(1)
	v_mul_f64 v[112:113], v[158:159], v[114:115]
	v_fma_f64 v[112:113], v[156:157], v[166:167], -v[112:113]
	v_mul_f64 v[156:157], v[156:157], v[114:115]
	v_fmac_f64_e32 v[156:157], v[158:159], v[166:167]
	s_waitcnt vmcnt(23)
	v_add_f64 v[88:89], v[88:89], -v[112:113]
	v_add_f64 v[90:91], v[90:91], -v[156:157]
	;; [unrolled: 18-line block ×13, first 2 shown]
	s_waitcnt lgkmcnt(0)
	v_mul_f64 v[112:113], v[174:175], v[114:115]
	v_mul_f64 v[156:157], v[172:173], v[114:115]
	v_fma_f64 v[112:113], v[172:173], v[166:167], -v[112:113]
	v_fmac_f64_e32 v[156:157], v[174:175], v[166:167]
	s_waitcnt vmcnt(0)
	v_add_f64 v[152:153], v[152:153], -v[112:113]
	v_add_f64 v[154:155], v[154:155], -v[156:157]
	v_mov_b64_e32 v[112:113], v[166:167]
.LBB76_251:
	s_or_b64 exec, exec, s[0:1]
	v_lshl_add_u32 v156, v169, 4, v168
	s_barrier
	s_waitcnt vmcnt(26)
	ds_write2_b64 v156, v[108:109], v[110:111] offset1:1
	s_waitcnt lgkmcnt(0)
	s_barrier
	ds_read2_b64 v[156:159], v168 offset0:24 offset1:25
	s_cmp_lt_i32 s20, 14
	v_mov_b32_e32 v166, 12
	s_cbranch_scc1 .LBB76_254
; %bb.252:
	v_add_u32_e32 v167, 0xd0, v168
	s_mov_b32 s16, 13
	v_mov_b32_e32 v166, 12
.LBB76_253:                             ; =>This Inner Loop Header: Depth=1
	ds_read2_b64 v[172:175], v167 offset1:1
	s_waitcnt lgkmcnt(1)
	v_xor_b32_e32 v177, 0x80000000, v157
	v_xor_b32_e32 v179, 0x80000000, v159
	v_cmp_gt_f64_e32 vcc, 0, v[158:159]
	v_cmp_gt_f64_e64 s[0:1], 0, v[156:157]
	v_mov_b32_e32 v176, v156
	v_mov_b32_e32 v178, v158
	v_cndmask_b32_e64 v177, v157, v177, s[0:1]
	v_cndmask_b32_e32 v179, v159, v179, vcc
	v_add_f64 v[176:177], v[176:177], v[178:179]
	s_waitcnt lgkmcnt(0)
	v_xor_b32_e32 v179, 0x80000000, v173
	v_xor_b32_e32 v181, 0x80000000, v175
	v_cmp_gt_f64_e32 vcc, 0, v[174:175]
	v_cmp_gt_f64_e64 s[0:1], 0, v[172:173]
	v_mov_b32_e32 v178, v172
	v_mov_b32_e32 v180, v174
	v_cndmask_b32_e64 v179, v173, v179, s[0:1]
	v_cndmask_b32_e32 v181, v175, v181, vcc
	v_add_f64 v[178:179], v[178:179], v[180:181]
	v_mov_b32_e32 v182, s16
	s_add_i32 s16, s16, 1
	v_cmp_lt_f64_e32 vcc, v[176:177], v[178:179]
	v_add_u32_e32 v167, 16, v167
	s_cmp_lg_u32 s20, s16
	v_cndmask_b32_e32 v157, v157, v173, vcc
	v_cndmask_b32_e32 v156, v156, v172, vcc
	;; [unrolled: 1-line block ×5, first 2 shown]
	s_cbranch_scc1 .LBB76_253
.LBB76_254:
	s_waitcnt lgkmcnt(0)
	v_cmp_eq_f64_e32 vcc, 0, v[156:157]
	v_cmp_eq_f64_e64 s[0:1], 0, v[158:159]
	s_and_b64 s[0:1], vcc, s[0:1]
	s_and_saveexec_b64 s[16:17], s[0:1]
	s_xor_b64 s[0:1], exec, s[16:17]
; %bb.255:
	v_cmp_ne_u32_e32 vcc, 0, v170
	s_nop 1
	v_cndmask_b32_e32 v170, 13, v170, vcc
; %bb.256:
	s_andn2_saveexec_b64 s[0:1], s[0:1]
	s_cbranch_execz .LBB76_262
; %bb.257:
	v_cmp_ngt_f64_e64 s[16:17], |v[156:157]|, |v[158:159]|
	s_and_saveexec_b64 s[18:19], s[16:17]
	s_xor_b64 s[16:17], exec, s[18:19]
	s_cbranch_execz .LBB76_259
; %bb.258:
	v_div_scale_f64 v[172:173], s[18:19], v[158:159], v[158:159], v[156:157]
	v_rcp_f64_e32 v[174:175], v[172:173]
	v_div_scale_f64 v[176:177], vcc, v[156:157], v[158:159], v[156:157]
	v_fma_f64 v[178:179], -v[172:173], v[174:175], 1.0
	v_fmac_f64_e32 v[174:175], v[174:175], v[178:179]
	v_fma_f64 v[178:179], -v[172:173], v[174:175], 1.0
	v_fmac_f64_e32 v[174:175], v[174:175], v[178:179]
	v_mul_f64 v[178:179], v[176:177], v[174:175]
	v_fma_f64 v[172:173], -v[172:173], v[178:179], v[176:177]
	v_div_fmas_f64 v[172:173], v[172:173], v[174:175], v[178:179]
	v_div_fixup_f64 v[172:173], v[172:173], v[158:159], v[156:157]
	v_fmac_f64_e32 v[158:159], v[156:157], v[172:173]
	v_div_scale_f64 v[156:157], s[18:19], v[158:159], v[158:159], 1.0
	v_rcp_f64_e32 v[174:175], v[156:157]
	s_nop 0
	v_fma_f64 v[176:177], -v[156:157], v[174:175], 1.0
	v_fmac_f64_e32 v[174:175], v[174:175], v[176:177]
	v_fma_f64 v[176:177], -v[156:157], v[174:175], 1.0
	v_fmac_f64_e32 v[174:175], v[174:175], v[176:177]
	v_div_scale_f64 v[176:177], vcc, 1.0, v[158:159], 1.0
	v_mul_f64 v[178:179], v[176:177], v[174:175]
	v_fma_f64 v[156:157], -v[156:157], v[178:179], v[176:177]
	s_nop 1
	v_div_fmas_f64 v[156:157], v[156:157], v[174:175], v[178:179]
	v_div_fixup_f64 v[158:159], v[156:157], v[158:159], 1.0
	v_mul_f64 v[156:157], v[172:173], v[158:159]
	v_xor_b32_e32 v159, 0x80000000, v159
.LBB76_259:
	s_andn2_saveexec_b64 s[16:17], s[16:17]
	s_cbranch_execz .LBB76_261
; %bb.260:
	v_div_scale_f64 v[172:173], s[18:19], v[156:157], v[156:157], v[158:159]
	v_rcp_f64_e32 v[174:175], v[172:173]
	v_div_scale_f64 v[176:177], vcc, v[158:159], v[156:157], v[158:159]
	v_fma_f64 v[178:179], -v[172:173], v[174:175], 1.0
	v_fmac_f64_e32 v[174:175], v[174:175], v[178:179]
	v_fma_f64 v[178:179], -v[172:173], v[174:175], 1.0
	v_fmac_f64_e32 v[174:175], v[174:175], v[178:179]
	v_mul_f64 v[178:179], v[176:177], v[174:175]
	v_fma_f64 v[172:173], -v[172:173], v[178:179], v[176:177]
	v_div_fmas_f64 v[172:173], v[172:173], v[174:175], v[178:179]
	v_div_fixup_f64 v[172:173], v[172:173], v[156:157], v[158:159]
	v_fmac_f64_e32 v[156:157], v[158:159], v[172:173]
	v_div_scale_f64 v[158:159], s[18:19], v[156:157], v[156:157], 1.0
	v_rcp_f64_e32 v[174:175], v[158:159]
	s_nop 0
	v_fma_f64 v[176:177], -v[158:159], v[174:175], 1.0
	v_fmac_f64_e32 v[174:175], v[174:175], v[176:177]
	v_fma_f64 v[176:177], -v[158:159], v[174:175], 1.0
	v_fmac_f64_e32 v[174:175], v[174:175], v[176:177]
	v_div_scale_f64 v[176:177], vcc, 1.0, v[156:157], 1.0
	v_mul_f64 v[178:179], v[176:177], v[174:175]
	v_fma_f64 v[158:159], -v[158:159], v[178:179], v[176:177]
	s_nop 1
	v_div_fmas_f64 v[158:159], v[158:159], v[174:175], v[178:179]
	v_div_fixup_f64 v[156:157], v[158:159], v[156:157], 1.0
	v_mul_f64 v[158:159], v[172:173], -v[156:157]
.LBB76_261:
	s_or_b64 exec, exec, s[16:17]
.LBB76_262:
	s_or_b64 exec, exec, s[0:1]
	v_cmp_ne_u32_e32 vcc, v169, v166
	s_and_saveexec_b64 s[0:1], vcc
	s_xor_b64 s[0:1], exec, s[0:1]
	s_cbranch_execz .LBB76_268
; %bb.263:
	v_cmp_eq_u32_e32 vcc, 12, v169
	s_and_saveexec_b64 s[16:17], vcc
	s_cbranch_execz .LBB76_267
; %bb.264:
	v_cmp_ne_u32_e32 vcc, 12, v166
	s_xor_b64 s[18:19], s[14:15], -1
	s_and_b64 s[22:23], s[18:19], vcc
	s_and_saveexec_b64 s[18:19], s[22:23]
	s_cbranch_execz .LBB76_266
; %bb.265:
	v_ashrrev_i32_e32 v167, 31, v166
	v_lshl_add_u64 v[172:173], v[166:167], 2, v[164:165]
	global_load_dword v167, v[172:173], off
	global_load_dword v169, v[164:165], off offset:48
	s_waitcnt vmcnt(1)
	global_store_dword v[164:165], v167, off offset:48
	s_waitcnt vmcnt(1)
	global_store_dword v[172:173], v169, off
.LBB76_266:
	s_or_b64 exec, exec, s[18:19]
	v_mov_b32_e32 v169, v166
	v_mov_b32_e32 v171, v166
.LBB76_267:
	s_or_b64 exec, exec, s[16:17]
.LBB76_268:
	s_andn2_saveexec_b64 s[0:1], s[0:1]
	s_cbranch_execz .LBB76_270
; %bb.269:
	v_mov_b32_e32 v169, 12
	s_waitcnt vmcnt(25)
	ds_write2_b64 v168, v[100:101], v[102:103] offset0:26 offset1:27
	s_waitcnt vmcnt(24)
	ds_write2_b64 v168, v[92:93], v[94:95] offset0:28 offset1:29
	s_waitcnt vmcnt(23)
	ds_write2_b64 v168, v[88:89], v[90:91] offset0:30 offset1:31
	s_waitcnt vmcnt(22)
	ds_write2_b64 v168, v[84:85], v[86:87] offset0:32 offset1:33
	s_waitcnt vmcnt(21)
	ds_write2_b64 v168, v[80:81], v[82:83] offset0:34 offset1:35
	s_waitcnt vmcnt(20)
	ds_write2_b64 v168, v[76:77], v[78:79] offset0:36 offset1:37
	s_waitcnt vmcnt(19)
	ds_write2_b64 v168, v[72:73], v[74:75] offset0:38 offset1:39
	s_waitcnt vmcnt(18)
	ds_write2_b64 v168, v[68:69], v[70:71] offset0:40 offset1:41
	s_waitcnt vmcnt(17)
	ds_write2_b64 v168, v[64:65], v[66:67] offset0:42 offset1:43
	s_waitcnt vmcnt(16)
	ds_write2_b64 v168, v[60:61], v[62:63] offset0:44 offset1:45
	s_waitcnt vmcnt(15)
	ds_write2_b64 v168, v[56:57], v[58:59] offset0:46 offset1:47
	s_waitcnt vmcnt(14)
	ds_write2_b64 v168, v[52:53], v[54:55] offset0:48 offset1:49
	s_waitcnt vmcnt(13)
	ds_write2_b64 v168, v[48:49], v[50:51] offset0:50 offset1:51
	s_waitcnt vmcnt(12)
	ds_write2_b64 v168, v[44:45], v[46:47] offset0:52 offset1:53
	s_waitcnt vmcnt(11)
	ds_write2_b64 v168, v[40:41], v[42:43] offset0:54 offset1:55
	s_waitcnt vmcnt(10)
	ds_write2_b64 v168, v[36:37], v[38:39] offset0:56 offset1:57
	s_waitcnt vmcnt(9)
	ds_write2_b64 v168, v[32:33], v[34:35] offset0:58 offset1:59
	s_waitcnt vmcnt(8)
	ds_write2_b64 v168, v[28:29], v[30:31] offset0:60 offset1:61
	s_waitcnt vmcnt(7)
	ds_write2_b64 v168, v[24:25], v[26:27] offset0:62 offset1:63
	s_waitcnt vmcnt(6)
	ds_write2_b64 v168, v[20:21], v[22:23] offset0:64 offset1:65
	s_waitcnt vmcnt(5)
	ds_write2_b64 v168, v[16:17], v[18:19] offset0:66 offset1:67
	s_waitcnt vmcnt(4)
	ds_write2_b64 v168, v[12:13], v[14:15] offset0:68 offset1:69
	s_waitcnt vmcnt(3)
	ds_write2_b64 v168, v[8:9], v[10:11] offset0:70 offset1:71
	s_waitcnt vmcnt(2)
	ds_write2_b64 v168, v[4:5], v[6:7] offset0:72 offset1:73
	s_waitcnt vmcnt(1)
	ds_write2_b64 v168, v[0:1], v[2:3] offset0:74 offset1:75
	s_waitcnt vmcnt(0)
	ds_write2_b64 v168, v[152:153], v[154:155] offset0:76 offset1:77
.LBB76_270:
	s_or_b64 exec, exec, s[0:1]
	v_cmp_lt_i32_e32 vcc, 12, v169
	s_waitcnt lgkmcnt(0)
	s_barrier
	s_and_saveexec_b64 s[0:1], vcc
	s_cbranch_execz .LBB76_272
; %bb.271:
	ds_read2_b64 v[172:175], v168 offset0:26 offset1:27
	v_mul_f64 v[166:167], v[158:159], v[110:111]
	v_mul_f64 v[110:111], v[156:157], v[110:111]
	v_fma_f64 v[166:167], v[156:157], v[108:109], -v[166:167]
	v_fmac_f64_e32 v[110:111], v[158:159], v[108:109]
	ds_read2_b64 v[156:159], v168 offset0:28 offset1:29
	s_waitcnt lgkmcnt(1)
	v_mul_f64 v[108:109], v[174:175], v[110:111]
	v_fma_f64 v[108:109], v[172:173], v[166:167], -v[108:109]
	v_mul_f64 v[172:173], v[172:173], v[110:111]
	v_fmac_f64_e32 v[172:173], v[174:175], v[166:167]
	s_waitcnt vmcnt(25)
	v_add_f64 v[100:101], v[100:101], -v[108:109]
	s_waitcnt lgkmcnt(0)
	v_mul_f64 v[108:109], v[158:159], v[110:111]
	v_add_f64 v[102:103], v[102:103], -v[172:173]
	v_fma_f64 v[108:109], v[156:157], v[166:167], -v[108:109]
	v_mul_f64 v[156:157], v[156:157], v[110:111]
	ds_read2_b64 v[172:175], v168 offset0:30 offset1:31
	v_fmac_f64_e32 v[156:157], v[158:159], v[166:167]
	s_waitcnt vmcnt(24)
	v_add_f64 v[94:95], v[94:95], -v[156:157]
	ds_read2_b64 v[156:159], v168 offset0:32 offset1:33
	v_add_f64 v[92:93], v[92:93], -v[108:109]
	s_waitcnt lgkmcnt(1)
	v_mul_f64 v[108:109], v[174:175], v[110:111]
	v_fma_f64 v[108:109], v[172:173], v[166:167], -v[108:109]
	v_mul_f64 v[172:173], v[172:173], v[110:111]
	v_fmac_f64_e32 v[172:173], v[174:175], v[166:167]
	s_waitcnt vmcnt(23)
	v_add_f64 v[88:89], v[88:89], -v[108:109]
	s_waitcnt lgkmcnt(0)
	v_mul_f64 v[108:109], v[158:159], v[110:111]
	v_add_f64 v[90:91], v[90:91], -v[172:173]
	v_fma_f64 v[108:109], v[156:157], v[166:167], -v[108:109]
	v_mul_f64 v[156:157], v[156:157], v[110:111]
	ds_read2_b64 v[172:175], v168 offset0:34 offset1:35
	v_fmac_f64_e32 v[156:157], v[158:159], v[166:167]
	s_waitcnt vmcnt(22)
	v_add_f64 v[86:87], v[86:87], -v[156:157]
	ds_read2_b64 v[156:159], v168 offset0:36 offset1:37
	v_add_f64 v[84:85], v[84:85], -v[108:109]
	;; [unrolled: 18-line block ×12, first 2 shown]
	s_waitcnt lgkmcnt(1)
	v_mul_f64 v[108:109], v[174:175], v[110:111]
	v_fma_f64 v[108:109], v[172:173], v[166:167], -v[108:109]
	s_waitcnt vmcnt(1)
	v_add_f64 v[0:1], v[0:1], -v[108:109]
	s_waitcnt lgkmcnt(0)
	v_mul_f64 v[108:109], v[158:159], v[110:111]
	v_mul_f64 v[172:173], v[172:173], v[110:111]
	v_fma_f64 v[108:109], v[156:157], v[166:167], -v[108:109]
	v_mul_f64 v[156:157], v[156:157], v[110:111]
	v_fmac_f64_e32 v[172:173], v[174:175], v[166:167]
	v_fmac_f64_e32 v[156:157], v[158:159], v[166:167]
	v_add_f64 v[2:3], v[2:3], -v[172:173]
	s_waitcnt vmcnt(0)
	v_add_f64 v[152:153], v[152:153], -v[108:109]
	v_add_f64 v[154:155], v[154:155], -v[156:157]
	v_mov_b64_e32 v[108:109], v[166:167]
.LBB76_272:
	s_or_b64 exec, exec, s[0:1]
	v_lshl_add_u32 v156, v169, 4, v168
	s_barrier
	s_waitcnt vmcnt(25)
	ds_write2_b64 v156, v[100:101], v[102:103] offset1:1
	s_waitcnt lgkmcnt(0)
	s_barrier
	ds_read2_b64 v[156:159], v168 offset0:26 offset1:27
	s_cmp_lt_i32 s20, 15
	v_mov_b32_e32 v166, 13
	s_cbranch_scc1 .LBB76_275
; %bb.273:
	v_add_u32_e32 v167, 0xe0, v168
	s_mov_b32 s16, 14
	v_mov_b32_e32 v166, 13
.LBB76_274:                             ; =>This Inner Loop Header: Depth=1
	ds_read2_b64 v[172:175], v167 offset1:1
	s_waitcnt lgkmcnt(1)
	v_xor_b32_e32 v177, 0x80000000, v157
	v_xor_b32_e32 v179, 0x80000000, v159
	v_cmp_gt_f64_e32 vcc, 0, v[158:159]
	v_cmp_gt_f64_e64 s[0:1], 0, v[156:157]
	v_mov_b32_e32 v176, v156
	v_mov_b32_e32 v178, v158
	v_cndmask_b32_e64 v177, v157, v177, s[0:1]
	v_cndmask_b32_e32 v179, v159, v179, vcc
	v_add_f64 v[176:177], v[176:177], v[178:179]
	s_waitcnt lgkmcnt(0)
	v_xor_b32_e32 v179, 0x80000000, v173
	v_xor_b32_e32 v181, 0x80000000, v175
	v_cmp_gt_f64_e32 vcc, 0, v[174:175]
	v_cmp_gt_f64_e64 s[0:1], 0, v[172:173]
	v_mov_b32_e32 v178, v172
	v_mov_b32_e32 v180, v174
	v_cndmask_b32_e64 v179, v173, v179, s[0:1]
	v_cndmask_b32_e32 v181, v175, v181, vcc
	v_add_f64 v[178:179], v[178:179], v[180:181]
	v_mov_b32_e32 v182, s16
	s_add_i32 s16, s16, 1
	v_cmp_lt_f64_e32 vcc, v[176:177], v[178:179]
	v_add_u32_e32 v167, 16, v167
	s_cmp_lg_u32 s20, s16
	v_cndmask_b32_e32 v157, v157, v173, vcc
	v_cndmask_b32_e32 v156, v156, v172, vcc
	;; [unrolled: 1-line block ×5, first 2 shown]
	s_cbranch_scc1 .LBB76_274
.LBB76_275:
	s_waitcnt lgkmcnt(0)
	v_cmp_eq_f64_e32 vcc, 0, v[156:157]
	v_cmp_eq_f64_e64 s[0:1], 0, v[158:159]
	s_and_b64 s[0:1], vcc, s[0:1]
	s_and_saveexec_b64 s[16:17], s[0:1]
	s_xor_b64 s[0:1], exec, s[16:17]
; %bb.276:
	v_cmp_ne_u32_e32 vcc, 0, v170
	s_nop 1
	v_cndmask_b32_e32 v170, 14, v170, vcc
; %bb.277:
	s_andn2_saveexec_b64 s[0:1], s[0:1]
	s_cbranch_execz .LBB76_283
; %bb.278:
	v_cmp_ngt_f64_e64 s[16:17], |v[156:157]|, |v[158:159]|
	s_and_saveexec_b64 s[18:19], s[16:17]
	s_xor_b64 s[16:17], exec, s[18:19]
	s_cbranch_execz .LBB76_280
; %bb.279:
	v_div_scale_f64 v[172:173], s[18:19], v[158:159], v[158:159], v[156:157]
	v_rcp_f64_e32 v[174:175], v[172:173]
	v_div_scale_f64 v[176:177], vcc, v[156:157], v[158:159], v[156:157]
	v_fma_f64 v[178:179], -v[172:173], v[174:175], 1.0
	v_fmac_f64_e32 v[174:175], v[174:175], v[178:179]
	v_fma_f64 v[178:179], -v[172:173], v[174:175], 1.0
	v_fmac_f64_e32 v[174:175], v[174:175], v[178:179]
	v_mul_f64 v[178:179], v[176:177], v[174:175]
	v_fma_f64 v[172:173], -v[172:173], v[178:179], v[176:177]
	v_div_fmas_f64 v[172:173], v[172:173], v[174:175], v[178:179]
	v_div_fixup_f64 v[172:173], v[172:173], v[158:159], v[156:157]
	v_fmac_f64_e32 v[158:159], v[156:157], v[172:173]
	v_div_scale_f64 v[156:157], s[18:19], v[158:159], v[158:159], 1.0
	v_rcp_f64_e32 v[174:175], v[156:157]
	s_nop 0
	v_fma_f64 v[176:177], -v[156:157], v[174:175], 1.0
	v_fmac_f64_e32 v[174:175], v[174:175], v[176:177]
	v_fma_f64 v[176:177], -v[156:157], v[174:175], 1.0
	v_fmac_f64_e32 v[174:175], v[174:175], v[176:177]
	v_div_scale_f64 v[176:177], vcc, 1.0, v[158:159], 1.0
	v_mul_f64 v[178:179], v[176:177], v[174:175]
	v_fma_f64 v[156:157], -v[156:157], v[178:179], v[176:177]
	s_nop 1
	v_div_fmas_f64 v[156:157], v[156:157], v[174:175], v[178:179]
	v_div_fixup_f64 v[158:159], v[156:157], v[158:159], 1.0
	v_mul_f64 v[156:157], v[172:173], v[158:159]
	v_xor_b32_e32 v159, 0x80000000, v159
.LBB76_280:
	s_andn2_saveexec_b64 s[16:17], s[16:17]
	s_cbranch_execz .LBB76_282
; %bb.281:
	v_div_scale_f64 v[172:173], s[18:19], v[156:157], v[156:157], v[158:159]
	v_rcp_f64_e32 v[174:175], v[172:173]
	v_div_scale_f64 v[176:177], vcc, v[158:159], v[156:157], v[158:159]
	v_fma_f64 v[178:179], -v[172:173], v[174:175], 1.0
	v_fmac_f64_e32 v[174:175], v[174:175], v[178:179]
	v_fma_f64 v[178:179], -v[172:173], v[174:175], 1.0
	v_fmac_f64_e32 v[174:175], v[174:175], v[178:179]
	v_mul_f64 v[178:179], v[176:177], v[174:175]
	v_fma_f64 v[172:173], -v[172:173], v[178:179], v[176:177]
	v_div_fmas_f64 v[172:173], v[172:173], v[174:175], v[178:179]
	v_div_fixup_f64 v[172:173], v[172:173], v[156:157], v[158:159]
	v_fmac_f64_e32 v[156:157], v[158:159], v[172:173]
	v_div_scale_f64 v[158:159], s[18:19], v[156:157], v[156:157], 1.0
	v_rcp_f64_e32 v[174:175], v[158:159]
	s_nop 0
	v_fma_f64 v[176:177], -v[158:159], v[174:175], 1.0
	v_fmac_f64_e32 v[174:175], v[174:175], v[176:177]
	v_fma_f64 v[176:177], -v[158:159], v[174:175], 1.0
	v_fmac_f64_e32 v[174:175], v[174:175], v[176:177]
	v_div_scale_f64 v[176:177], vcc, 1.0, v[156:157], 1.0
	v_mul_f64 v[178:179], v[176:177], v[174:175]
	v_fma_f64 v[158:159], -v[158:159], v[178:179], v[176:177]
	s_nop 1
	v_div_fmas_f64 v[158:159], v[158:159], v[174:175], v[178:179]
	v_div_fixup_f64 v[156:157], v[158:159], v[156:157], 1.0
	v_mul_f64 v[158:159], v[172:173], -v[156:157]
.LBB76_282:
	s_or_b64 exec, exec, s[16:17]
.LBB76_283:
	s_or_b64 exec, exec, s[0:1]
	v_cmp_ne_u32_e32 vcc, v169, v166
	s_and_saveexec_b64 s[0:1], vcc
	s_xor_b64 s[0:1], exec, s[0:1]
	s_cbranch_execz .LBB76_289
; %bb.284:
	v_cmp_eq_u32_e32 vcc, 13, v169
	s_and_saveexec_b64 s[16:17], vcc
	s_cbranch_execz .LBB76_288
; %bb.285:
	v_cmp_ne_u32_e32 vcc, 13, v166
	s_xor_b64 s[18:19], s[14:15], -1
	s_and_b64 s[22:23], s[18:19], vcc
	s_and_saveexec_b64 s[18:19], s[22:23]
	s_cbranch_execz .LBB76_287
; %bb.286:
	v_ashrrev_i32_e32 v167, 31, v166
	v_lshl_add_u64 v[172:173], v[166:167], 2, v[164:165]
	global_load_dword v167, v[172:173], off
	global_load_dword v169, v[164:165], off offset:52
	s_waitcnt vmcnt(1)
	global_store_dword v[164:165], v167, off offset:52
	s_waitcnt vmcnt(1)
	global_store_dword v[172:173], v169, off
.LBB76_287:
	s_or_b64 exec, exec, s[18:19]
	v_mov_b32_e32 v169, v166
	v_mov_b32_e32 v171, v166
.LBB76_288:
	s_or_b64 exec, exec, s[16:17]
.LBB76_289:
	s_andn2_saveexec_b64 s[0:1], s[0:1]
	s_cbranch_execz .LBB76_291
; %bb.290:
	v_mov_b32_e32 v169, 13
	s_waitcnt vmcnt(24)
	ds_write2_b64 v168, v[92:93], v[94:95] offset0:28 offset1:29
	s_waitcnt vmcnt(23)
	ds_write2_b64 v168, v[88:89], v[90:91] offset0:30 offset1:31
	s_waitcnt vmcnt(22)
	ds_write2_b64 v168, v[84:85], v[86:87] offset0:32 offset1:33
	s_waitcnt vmcnt(21)
	ds_write2_b64 v168, v[80:81], v[82:83] offset0:34 offset1:35
	s_waitcnt vmcnt(20)
	ds_write2_b64 v168, v[76:77], v[78:79] offset0:36 offset1:37
	s_waitcnt vmcnt(19)
	ds_write2_b64 v168, v[72:73], v[74:75] offset0:38 offset1:39
	s_waitcnt vmcnt(18)
	ds_write2_b64 v168, v[68:69], v[70:71] offset0:40 offset1:41
	s_waitcnt vmcnt(17)
	ds_write2_b64 v168, v[64:65], v[66:67] offset0:42 offset1:43
	s_waitcnt vmcnt(16)
	ds_write2_b64 v168, v[60:61], v[62:63] offset0:44 offset1:45
	s_waitcnt vmcnt(15)
	ds_write2_b64 v168, v[56:57], v[58:59] offset0:46 offset1:47
	s_waitcnt vmcnt(14)
	ds_write2_b64 v168, v[52:53], v[54:55] offset0:48 offset1:49
	s_waitcnt vmcnt(13)
	ds_write2_b64 v168, v[48:49], v[50:51] offset0:50 offset1:51
	s_waitcnt vmcnt(12)
	ds_write2_b64 v168, v[44:45], v[46:47] offset0:52 offset1:53
	s_waitcnt vmcnt(11)
	ds_write2_b64 v168, v[40:41], v[42:43] offset0:54 offset1:55
	s_waitcnt vmcnt(10)
	ds_write2_b64 v168, v[36:37], v[38:39] offset0:56 offset1:57
	s_waitcnt vmcnt(9)
	ds_write2_b64 v168, v[32:33], v[34:35] offset0:58 offset1:59
	s_waitcnt vmcnt(8)
	ds_write2_b64 v168, v[28:29], v[30:31] offset0:60 offset1:61
	s_waitcnt vmcnt(7)
	ds_write2_b64 v168, v[24:25], v[26:27] offset0:62 offset1:63
	s_waitcnt vmcnt(6)
	ds_write2_b64 v168, v[20:21], v[22:23] offset0:64 offset1:65
	s_waitcnt vmcnt(5)
	ds_write2_b64 v168, v[16:17], v[18:19] offset0:66 offset1:67
	s_waitcnt vmcnt(4)
	ds_write2_b64 v168, v[12:13], v[14:15] offset0:68 offset1:69
	s_waitcnt vmcnt(3)
	ds_write2_b64 v168, v[8:9], v[10:11] offset0:70 offset1:71
	s_waitcnt vmcnt(2)
	ds_write2_b64 v168, v[4:5], v[6:7] offset0:72 offset1:73
	s_waitcnt vmcnt(1)
	ds_write2_b64 v168, v[0:1], v[2:3] offset0:74 offset1:75
	s_waitcnt vmcnt(0)
	ds_write2_b64 v168, v[152:153], v[154:155] offset0:76 offset1:77
.LBB76_291:
	s_or_b64 exec, exec, s[0:1]
	v_cmp_lt_i32_e32 vcc, 13, v169
	s_waitcnt lgkmcnt(0)
	s_barrier
	s_and_saveexec_b64 s[0:1], vcc
	s_cbranch_execz .LBB76_293
; %bb.292:
	ds_read2_b64 v[172:175], v168 offset0:28 offset1:29
	v_mul_f64 v[166:167], v[158:159], v[102:103]
	v_mul_f64 v[102:103], v[156:157], v[102:103]
	v_fmac_f64_e32 v[102:103], v[158:159], v[100:101]
	v_fma_f64 v[166:167], v[156:157], v[100:101], -v[166:167]
	ds_read2_b64 v[156:159], v168 offset0:30 offset1:31
	s_waitcnt lgkmcnt(1)
	v_mul_f64 v[100:101], v[174:175], v[102:103]
	v_fma_f64 v[100:101], v[172:173], v[166:167], -v[100:101]
	v_mul_f64 v[172:173], v[172:173], v[102:103]
	v_fmac_f64_e32 v[172:173], v[174:175], v[166:167]
	s_waitcnt vmcnt(24)
	v_add_f64 v[94:95], v[94:95], -v[172:173]
	ds_read2_b64 v[172:175], v168 offset0:32 offset1:33
	v_add_f64 v[92:93], v[92:93], -v[100:101]
	s_waitcnt lgkmcnt(1)
	v_mul_f64 v[100:101], v[158:159], v[102:103]
	v_fma_f64 v[100:101], v[156:157], v[166:167], -v[100:101]
	v_mul_f64 v[156:157], v[156:157], v[102:103]
	v_fmac_f64_e32 v[156:157], v[158:159], v[166:167]
	s_waitcnt vmcnt(23)
	v_add_f64 v[88:89], v[88:89], -v[100:101]
	v_add_f64 v[90:91], v[90:91], -v[156:157]
	ds_read2_b64 v[156:159], v168 offset0:34 offset1:35
	s_waitcnt lgkmcnt(1)
	v_mul_f64 v[100:101], v[174:175], v[102:103]
	v_fma_f64 v[100:101], v[172:173], v[166:167], -v[100:101]
	v_mul_f64 v[172:173], v[172:173], v[102:103]
	v_fmac_f64_e32 v[172:173], v[174:175], v[166:167]
	s_waitcnt vmcnt(22)
	v_add_f64 v[86:87], v[86:87], -v[172:173]
	ds_read2_b64 v[172:175], v168 offset0:36 offset1:37
	v_add_f64 v[84:85], v[84:85], -v[100:101]
	s_waitcnt lgkmcnt(1)
	v_mul_f64 v[100:101], v[158:159], v[102:103]
	v_fma_f64 v[100:101], v[156:157], v[166:167], -v[100:101]
	v_mul_f64 v[156:157], v[156:157], v[102:103]
	v_fmac_f64_e32 v[156:157], v[158:159], v[166:167]
	s_waitcnt vmcnt(21)
	v_add_f64 v[80:81], v[80:81], -v[100:101]
	v_add_f64 v[82:83], v[82:83], -v[156:157]
	;; [unrolled: 18-line block ×12, first 2 shown]
	s_waitcnt lgkmcnt(0)
	v_mul_f64 v[100:101], v[174:175], v[102:103]
	v_mul_f64 v[156:157], v[172:173], v[102:103]
	v_fma_f64 v[100:101], v[172:173], v[166:167], -v[100:101]
	v_fmac_f64_e32 v[156:157], v[174:175], v[166:167]
	s_waitcnt vmcnt(0)
	v_add_f64 v[152:153], v[152:153], -v[100:101]
	v_add_f64 v[154:155], v[154:155], -v[156:157]
	v_mov_b64_e32 v[100:101], v[166:167]
.LBB76_293:
	s_or_b64 exec, exec, s[0:1]
	v_lshl_add_u32 v156, v169, 4, v168
	s_barrier
	s_waitcnt vmcnt(24)
	ds_write2_b64 v156, v[92:93], v[94:95] offset1:1
	s_waitcnt lgkmcnt(0)
	s_barrier
	ds_read2_b64 v[156:159], v168 offset0:28 offset1:29
	s_cmp_lt_i32 s20, 16
	v_mov_b32_e32 v166, 14
	s_cbranch_scc1 .LBB76_296
; %bb.294:
	v_add_u32_e32 v167, 0xf0, v168
	s_mov_b32 s16, 15
	v_mov_b32_e32 v166, 14
.LBB76_295:                             ; =>This Inner Loop Header: Depth=1
	ds_read2_b64 v[172:175], v167 offset1:1
	s_waitcnt lgkmcnt(1)
	v_xor_b32_e32 v177, 0x80000000, v157
	v_xor_b32_e32 v179, 0x80000000, v159
	v_cmp_gt_f64_e32 vcc, 0, v[158:159]
	v_cmp_gt_f64_e64 s[0:1], 0, v[156:157]
	v_mov_b32_e32 v176, v156
	v_mov_b32_e32 v178, v158
	v_cndmask_b32_e64 v177, v157, v177, s[0:1]
	v_cndmask_b32_e32 v179, v159, v179, vcc
	v_add_f64 v[176:177], v[176:177], v[178:179]
	s_waitcnt lgkmcnt(0)
	v_xor_b32_e32 v179, 0x80000000, v173
	v_xor_b32_e32 v181, 0x80000000, v175
	v_cmp_gt_f64_e32 vcc, 0, v[174:175]
	v_cmp_gt_f64_e64 s[0:1], 0, v[172:173]
	v_mov_b32_e32 v178, v172
	v_mov_b32_e32 v180, v174
	v_cndmask_b32_e64 v179, v173, v179, s[0:1]
	v_cndmask_b32_e32 v181, v175, v181, vcc
	v_add_f64 v[178:179], v[178:179], v[180:181]
	v_mov_b32_e32 v182, s16
	s_add_i32 s16, s16, 1
	v_cmp_lt_f64_e32 vcc, v[176:177], v[178:179]
	v_add_u32_e32 v167, 16, v167
	s_cmp_lg_u32 s20, s16
	v_cndmask_b32_e32 v157, v157, v173, vcc
	v_cndmask_b32_e32 v156, v156, v172, vcc
	;; [unrolled: 1-line block ×5, first 2 shown]
	s_cbranch_scc1 .LBB76_295
.LBB76_296:
	s_waitcnt lgkmcnt(0)
	v_cmp_eq_f64_e32 vcc, 0, v[156:157]
	v_cmp_eq_f64_e64 s[0:1], 0, v[158:159]
	s_and_b64 s[0:1], vcc, s[0:1]
	s_and_saveexec_b64 s[16:17], s[0:1]
	s_xor_b64 s[0:1], exec, s[16:17]
; %bb.297:
	v_cmp_ne_u32_e32 vcc, 0, v170
	s_nop 1
	v_cndmask_b32_e32 v170, 15, v170, vcc
; %bb.298:
	s_andn2_saveexec_b64 s[0:1], s[0:1]
	s_cbranch_execz .LBB76_304
; %bb.299:
	v_cmp_ngt_f64_e64 s[16:17], |v[156:157]|, |v[158:159]|
	s_and_saveexec_b64 s[18:19], s[16:17]
	s_xor_b64 s[16:17], exec, s[18:19]
	s_cbranch_execz .LBB76_301
; %bb.300:
	v_div_scale_f64 v[172:173], s[18:19], v[158:159], v[158:159], v[156:157]
	v_rcp_f64_e32 v[174:175], v[172:173]
	v_div_scale_f64 v[176:177], vcc, v[156:157], v[158:159], v[156:157]
	v_fma_f64 v[178:179], -v[172:173], v[174:175], 1.0
	v_fmac_f64_e32 v[174:175], v[174:175], v[178:179]
	v_fma_f64 v[178:179], -v[172:173], v[174:175], 1.0
	v_fmac_f64_e32 v[174:175], v[174:175], v[178:179]
	v_mul_f64 v[178:179], v[176:177], v[174:175]
	v_fma_f64 v[172:173], -v[172:173], v[178:179], v[176:177]
	v_div_fmas_f64 v[172:173], v[172:173], v[174:175], v[178:179]
	v_div_fixup_f64 v[172:173], v[172:173], v[158:159], v[156:157]
	v_fmac_f64_e32 v[158:159], v[156:157], v[172:173]
	v_div_scale_f64 v[156:157], s[18:19], v[158:159], v[158:159], 1.0
	v_rcp_f64_e32 v[174:175], v[156:157]
	s_nop 0
	v_fma_f64 v[176:177], -v[156:157], v[174:175], 1.0
	v_fmac_f64_e32 v[174:175], v[174:175], v[176:177]
	v_fma_f64 v[176:177], -v[156:157], v[174:175], 1.0
	v_fmac_f64_e32 v[174:175], v[174:175], v[176:177]
	v_div_scale_f64 v[176:177], vcc, 1.0, v[158:159], 1.0
	v_mul_f64 v[178:179], v[176:177], v[174:175]
	v_fma_f64 v[156:157], -v[156:157], v[178:179], v[176:177]
	s_nop 1
	v_div_fmas_f64 v[156:157], v[156:157], v[174:175], v[178:179]
	v_div_fixup_f64 v[158:159], v[156:157], v[158:159], 1.0
	v_mul_f64 v[156:157], v[172:173], v[158:159]
	v_xor_b32_e32 v159, 0x80000000, v159
.LBB76_301:
	s_andn2_saveexec_b64 s[16:17], s[16:17]
	s_cbranch_execz .LBB76_303
; %bb.302:
	v_div_scale_f64 v[172:173], s[18:19], v[156:157], v[156:157], v[158:159]
	v_rcp_f64_e32 v[174:175], v[172:173]
	v_div_scale_f64 v[176:177], vcc, v[158:159], v[156:157], v[158:159]
	v_fma_f64 v[178:179], -v[172:173], v[174:175], 1.0
	v_fmac_f64_e32 v[174:175], v[174:175], v[178:179]
	v_fma_f64 v[178:179], -v[172:173], v[174:175], 1.0
	v_fmac_f64_e32 v[174:175], v[174:175], v[178:179]
	v_mul_f64 v[178:179], v[176:177], v[174:175]
	v_fma_f64 v[172:173], -v[172:173], v[178:179], v[176:177]
	v_div_fmas_f64 v[172:173], v[172:173], v[174:175], v[178:179]
	v_div_fixup_f64 v[172:173], v[172:173], v[156:157], v[158:159]
	v_fmac_f64_e32 v[156:157], v[158:159], v[172:173]
	v_div_scale_f64 v[158:159], s[18:19], v[156:157], v[156:157], 1.0
	v_rcp_f64_e32 v[174:175], v[158:159]
	s_nop 0
	v_fma_f64 v[176:177], -v[158:159], v[174:175], 1.0
	v_fmac_f64_e32 v[174:175], v[174:175], v[176:177]
	v_fma_f64 v[176:177], -v[158:159], v[174:175], 1.0
	v_fmac_f64_e32 v[174:175], v[174:175], v[176:177]
	v_div_scale_f64 v[176:177], vcc, 1.0, v[156:157], 1.0
	v_mul_f64 v[178:179], v[176:177], v[174:175]
	v_fma_f64 v[158:159], -v[158:159], v[178:179], v[176:177]
	s_nop 1
	v_div_fmas_f64 v[158:159], v[158:159], v[174:175], v[178:179]
	v_div_fixup_f64 v[156:157], v[158:159], v[156:157], 1.0
	v_mul_f64 v[158:159], v[172:173], -v[156:157]
.LBB76_303:
	s_or_b64 exec, exec, s[16:17]
.LBB76_304:
	s_or_b64 exec, exec, s[0:1]
	v_cmp_ne_u32_e32 vcc, v169, v166
	s_and_saveexec_b64 s[0:1], vcc
	s_xor_b64 s[0:1], exec, s[0:1]
	s_cbranch_execz .LBB76_310
; %bb.305:
	v_cmp_eq_u32_e32 vcc, 14, v169
	s_and_saveexec_b64 s[16:17], vcc
	s_cbranch_execz .LBB76_309
; %bb.306:
	v_cmp_ne_u32_e32 vcc, 14, v166
	s_xor_b64 s[18:19], s[14:15], -1
	s_and_b64 s[22:23], s[18:19], vcc
	s_and_saveexec_b64 s[18:19], s[22:23]
	s_cbranch_execz .LBB76_308
; %bb.307:
	v_ashrrev_i32_e32 v167, 31, v166
	v_lshl_add_u64 v[172:173], v[166:167], 2, v[164:165]
	global_load_dword v167, v[172:173], off
	global_load_dword v169, v[164:165], off offset:56
	s_waitcnt vmcnt(1)
	global_store_dword v[164:165], v167, off offset:56
	s_waitcnt vmcnt(1)
	global_store_dword v[172:173], v169, off
.LBB76_308:
	s_or_b64 exec, exec, s[18:19]
	v_mov_b32_e32 v169, v166
	v_mov_b32_e32 v171, v166
.LBB76_309:
	s_or_b64 exec, exec, s[16:17]
.LBB76_310:
	s_andn2_saveexec_b64 s[0:1], s[0:1]
	s_cbranch_execz .LBB76_312
; %bb.311:
	v_mov_b32_e32 v169, 14
	s_waitcnt vmcnt(23)
	ds_write2_b64 v168, v[88:89], v[90:91] offset0:30 offset1:31
	s_waitcnt vmcnt(22)
	ds_write2_b64 v168, v[84:85], v[86:87] offset0:32 offset1:33
	;; [unrolled: 2-line block ×24, first 2 shown]
.LBB76_312:
	s_or_b64 exec, exec, s[0:1]
	v_cmp_lt_i32_e32 vcc, 14, v169
	s_waitcnt lgkmcnt(0)
	s_barrier
	s_and_saveexec_b64 s[0:1], vcc
	s_cbranch_execz .LBB76_314
; %bb.313:
	ds_read2_b64 v[172:175], v168 offset0:30 offset1:31
	v_mul_f64 v[166:167], v[158:159], v[94:95]
	v_mul_f64 v[94:95], v[156:157], v[94:95]
	v_fma_f64 v[166:167], v[156:157], v[92:93], -v[166:167]
	v_fmac_f64_e32 v[94:95], v[158:159], v[92:93]
	ds_read2_b64 v[156:159], v168 offset0:32 offset1:33
	s_waitcnt lgkmcnt(1)
	v_mul_f64 v[92:93], v[174:175], v[94:95]
	v_fma_f64 v[92:93], v[172:173], v[166:167], -v[92:93]
	v_mul_f64 v[172:173], v[172:173], v[94:95]
	v_fmac_f64_e32 v[172:173], v[174:175], v[166:167]
	s_waitcnt vmcnt(23)
	v_add_f64 v[88:89], v[88:89], -v[92:93]
	s_waitcnt lgkmcnt(0)
	v_mul_f64 v[92:93], v[158:159], v[94:95]
	v_add_f64 v[90:91], v[90:91], -v[172:173]
	v_fma_f64 v[92:93], v[156:157], v[166:167], -v[92:93]
	v_mul_f64 v[156:157], v[156:157], v[94:95]
	ds_read2_b64 v[172:175], v168 offset0:34 offset1:35
	v_fmac_f64_e32 v[156:157], v[158:159], v[166:167]
	s_waitcnt vmcnt(22)
	v_add_f64 v[86:87], v[86:87], -v[156:157]
	ds_read2_b64 v[156:159], v168 offset0:36 offset1:37
	v_add_f64 v[84:85], v[84:85], -v[92:93]
	s_waitcnt lgkmcnt(1)
	v_mul_f64 v[92:93], v[174:175], v[94:95]
	v_fma_f64 v[92:93], v[172:173], v[166:167], -v[92:93]
	v_mul_f64 v[172:173], v[172:173], v[94:95]
	v_fmac_f64_e32 v[172:173], v[174:175], v[166:167]
	s_waitcnt vmcnt(21)
	v_add_f64 v[80:81], v[80:81], -v[92:93]
	s_waitcnt lgkmcnt(0)
	v_mul_f64 v[92:93], v[158:159], v[94:95]
	v_add_f64 v[82:83], v[82:83], -v[172:173]
	v_fma_f64 v[92:93], v[156:157], v[166:167], -v[92:93]
	v_mul_f64 v[156:157], v[156:157], v[94:95]
	ds_read2_b64 v[172:175], v168 offset0:38 offset1:39
	v_fmac_f64_e32 v[156:157], v[158:159], v[166:167]
	s_waitcnt vmcnt(20)
	v_add_f64 v[78:79], v[78:79], -v[156:157]
	ds_read2_b64 v[156:159], v168 offset0:40 offset1:41
	v_add_f64 v[76:77], v[76:77], -v[92:93]
	;; [unrolled: 18-line block ×11, first 2 shown]
	s_waitcnt lgkmcnt(1)
	v_mul_f64 v[92:93], v[174:175], v[94:95]
	v_fma_f64 v[92:93], v[172:173], v[166:167], -v[92:93]
	s_waitcnt vmcnt(1)
	v_add_f64 v[0:1], v[0:1], -v[92:93]
	s_waitcnt lgkmcnt(0)
	v_mul_f64 v[92:93], v[158:159], v[94:95]
	v_mul_f64 v[172:173], v[172:173], v[94:95]
	v_fma_f64 v[92:93], v[156:157], v[166:167], -v[92:93]
	v_mul_f64 v[156:157], v[156:157], v[94:95]
	v_fmac_f64_e32 v[172:173], v[174:175], v[166:167]
	v_fmac_f64_e32 v[156:157], v[158:159], v[166:167]
	v_add_f64 v[2:3], v[2:3], -v[172:173]
	s_waitcnt vmcnt(0)
	v_add_f64 v[152:153], v[152:153], -v[92:93]
	v_add_f64 v[154:155], v[154:155], -v[156:157]
	v_mov_b64_e32 v[92:93], v[166:167]
.LBB76_314:
	s_or_b64 exec, exec, s[0:1]
	v_lshl_add_u32 v156, v169, 4, v168
	s_barrier
	s_waitcnt vmcnt(23)
	ds_write2_b64 v156, v[88:89], v[90:91] offset1:1
	s_waitcnt lgkmcnt(0)
	s_barrier
	ds_read2_b64 v[156:159], v168 offset0:30 offset1:31
	s_cmp_lt_i32 s20, 17
	v_mov_b32_e32 v166, 15
	s_cbranch_scc1 .LBB76_317
; %bb.315:
	v_add_u32_e32 v167, 0x100, v168
	s_mov_b32 s16, 16
	v_mov_b32_e32 v166, 15
.LBB76_316:                             ; =>This Inner Loop Header: Depth=1
	ds_read2_b64 v[172:175], v167 offset1:1
	s_waitcnt lgkmcnt(1)
	v_xor_b32_e32 v177, 0x80000000, v157
	v_xor_b32_e32 v179, 0x80000000, v159
	v_cmp_gt_f64_e32 vcc, 0, v[158:159]
	v_cmp_gt_f64_e64 s[0:1], 0, v[156:157]
	v_mov_b32_e32 v176, v156
	v_mov_b32_e32 v178, v158
	v_cndmask_b32_e64 v177, v157, v177, s[0:1]
	v_cndmask_b32_e32 v179, v159, v179, vcc
	v_add_f64 v[176:177], v[176:177], v[178:179]
	s_waitcnt lgkmcnt(0)
	v_xor_b32_e32 v179, 0x80000000, v173
	v_xor_b32_e32 v181, 0x80000000, v175
	v_cmp_gt_f64_e32 vcc, 0, v[174:175]
	v_cmp_gt_f64_e64 s[0:1], 0, v[172:173]
	v_mov_b32_e32 v178, v172
	v_mov_b32_e32 v180, v174
	v_cndmask_b32_e64 v179, v173, v179, s[0:1]
	v_cndmask_b32_e32 v181, v175, v181, vcc
	v_add_f64 v[178:179], v[178:179], v[180:181]
	v_mov_b32_e32 v182, s16
	s_add_i32 s16, s16, 1
	v_cmp_lt_f64_e32 vcc, v[176:177], v[178:179]
	v_add_u32_e32 v167, 16, v167
	s_cmp_lg_u32 s20, s16
	v_cndmask_b32_e32 v157, v157, v173, vcc
	v_cndmask_b32_e32 v156, v156, v172, vcc
	;; [unrolled: 1-line block ×5, first 2 shown]
	s_cbranch_scc1 .LBB76_316
.LBB76_317:
	s_waitcnt lgkmcnt(0)
	v_cmp_eq_f64_e32 vcc, 0, v[156:157]
	v_cmp_eq_f64_e64 s[0:1], 0, v[158:159]
	s_and_b64 s[0:1], vcc, s[0:1]
	s_and_saveexec_b64 s[16:17], s[0:1]
	s_xor_b64 s[0:1], exec, s[16:17]
; %bb.318:
	v_cmp_ne_u32_e32 vcc, 0, v170
	s_nop 1
	v_cndmask_b32_e32 v170, 16, v170, vcc
; %bb.319:
	s_andn2_saveexec_b64 s[0:1], s[0:1]
	s_cbranch_execz .LBB76_325
; %bb.320:
	v_cmp_ngt_f64_e64 s[16:17], |v[156:157]|, |v[158:159]|
	s_and_saveexec_b64 s[18:19], s[16:17]
	s_xor_b64 s[16:17], exec, s[18:19]
	s_cbranch_execz .LBB76_322
; %bb.321:
	v_div_scale_f64 v[172:173], s[18:19], v[158:159], v[158:159], v[156:157]
	v_rcp_f64_e32 v[174:175], v[172:173]
	v_div_scale_f64 v[176:177], vcc, v[156:157], v[158:159], v[156:157]
	v_fma_f64 v[178:179], -v[172:173], v[174:175], 1.0
	v_fmac_f64_e32 v[174:175], v[174:175], v[178:179]
	v_fma_f64 v[178:179], -v[172:173], v[174:175], 1.0
	v_fmac_f64_e32 v[174:175], v[174:175], v[178:179]
	v_mul_f64 v[178:179], v[176:177], v[174:175]
	v_fma_f64 v[172:173], -v[172:173], v[178:179], v[176:177]
	v_div_fmas_f64 v[172:173], v[172:173], v[174:175], v[178:179]
	v_div_fixup_f64 v[172:173], v[172:173], v[158:159], v[156:157]
	v_fmac_f64_e32 v[158:159], v[156:157], v[172:173]
	v_div_scale_f64 v[156:157], s[18:19], v[158:159], v[158:159], 1.0
	v_rcp_f64_e32 v[174:175], v[156:157]
	s_nop 0
	v_fma_f64 v[176:177], -v[156:157], v[174:175], 1.0
	v_fmac_f64_e32 v[174:175], v[174:175], v[176:177]
	v_fma_f64 v[176:177], -v[156:157], v[174:175], 1.0
	v_fmac_f64_e32 v[174:175], v[174:175], v[176:177]
	v_div_scale_f64 v[176:177], vcc, 1.0, v[158:159], 1.0
	v_mul_f64 v[178:179], v[176:177], v[174:175]
	v_fma_f64 v[156:157], -v[156:157], v[178:179], v[176:177]
	s_nop 1
	v_div_fmas_f64 v[156:157], v[156:157], v[174:175], v[178:179]
	v_div_fixup_f64 v[158:159], v[156:157], v[158:159], 1.0
	v_mul_f64 v[156:157], v[172:173], v[158:159]
	v_xor_b32_e32 v159, 0x80000000, v159
.LBB76_322:
	s_andn2_saveexec_b64 s[16:17], s[16:17]
	s_cbranch_execz .LBB76_324
; %bb.323:
	v_div_scale_f64 v[172:173], s[18:19], v[156:157], v[156:157], v[158:159]
	v_rcp_f64_e32 v[174:175], v[172:173]
	v_div_scale_f64 v[176:177], vcc, v[158:159], v[156:157], v[158:159]
	v_fma_f64 v[178:179], -v[172:173], v[174:175], 1.0
	v_fmac_f64_e32 v[174:175], v[174:175], v[178:179]
	v_fma_f64 v[178:179], -v[172:173], v[174:175], 1.0
	v_fmac_f64_e32 v[174:175], v[174:175], v[178:179]
	v_mul_f64 v[178:179], v[176:177], v[174:175]
	v_fma_f64 v[172:173], -v[172:173], v[178:179], v[176:177]
	v_div_fmas_f64 v[172:173], v[172:173], v[174:175], v[178:179]
	v_div_fixup_f64 v[172:173], v[172:173], v[156:157], v[158:159]
	v_fmac_f64_e32 v[156:157], v[158:159], v[172:173]
	v_div_scale_f64 v[158:159], s[18:19], v[156:157], v[156:157], 1.0
	v_rcp_f64_e32 v[174:175], v[158:159]
	s_nop 0
	v_fma_f64 v[176:177], -v[158:159], v[174:175], 1.0
	v_fmac_f64_e32 v[174:175], v[174:175], v[176:177]
	v_fma_f64 v[176:177], -v[158:159], v[174:175], 1.0
	v_fmac_f64_e32 v[174:175], v[174:175], v[176:177]
	v_div_scale_f64 v[176:177], vcc, 1.0, v[156:157], 1.0
	v_mul_f64 v[178:179], v[176:177], v[174:175]
	v_fma_f64 v[158:159], -v[158:159], v[178:179], v[176:177]
	s_nop 1
	v_div_fmas_f64 v[158:159], v[158:159], v[174:175], v[178:179]
	v_div_fixup_f64 v[156:157], v[158:159], v[156:157], 1.0
	v_mul_f64 v[158:159], v[172:173], -v[156:157]
.LBB76_324:
	s_or_b64 exec, exec, s[16:17]
.LBB76_325:
	s_or_b64 exec, exec, s[0:1]
	v_cmp_ne_u32_e32 vcc, v169, v166
	s_and_saveexec_b64 s[0:1], vcc
	s_xor_b64 s[0:1], exec, s[0:1]
	s_cbranch_execz .LBB76_331
; %bb.326:
	v_cmp_eq_u32_e32 vcc, 15, v169
	s_and_saveexec_b64 s[16:17], vcc
	s_cbranch_execz .LBB76_330
; %bb.327:
	v_cmp_ne_u32_e32 vcc, 15, v166
	s_xor_b64 s[18:19], s[14:15], -1
	s_and_b64 s[22:23], s[18:19], vcc
	s_and_saveexec_b64 s[18:19], s[22:23]
	s_cbranch_execz .LBB76_329
; %bb.328:
	v_ashrrev_i32_e32 v167, 31, v166
	v_lshl_add_u64 v[172:173], v[166:167], 2, v[164:165]
	global_load_dword v167, v[172:173], off
	global_load_dword v169, v[164:165], off offset:60
	s_waitcnt vmcnt(1)
	global_store_dword v[164:165], v167, off offset:60
	s_waitcnt vmcnt(1)
	global_store_dword v[172:173], v169, off
.LBB76_329:
	s_or_b64 exec, exec, s[18:19]
	v_mov_b32_e32 v169, v166
	v_mov_b32_e32 v171, v166
.LBB76_330:
	s_or_b64 exec, exec, s[16:17]
.LBB76_331:
	s_andn2_saveexec_b64 s[0:1], s[0:1]
	s_cbranch_execz .LBB76_333
; %bb.332:
	v_mov_b32_e32 v169, 15
	s_waitcnt vmcnt(22)
	ds_write2_b64 v168, v[84:85], v[86:87] offset0:32 offset1:33
	s_waitcnt vmcnt(21)
	ds_write2_b64 v168, v[80:81], v[82:83] offset0:34 offset1:35
	;; [unrolled: 2-line block ×23, first 2 shown]
.LBB76_333:
	s_or_b64 exec, exec, s[0:1]
	v_cmp_lt_i32_e32 vcc, 15, v169
	s_waitcnt lgkmcnt(0)
	s_barrier
	s_and_saveexec_b64 s[0:1], vcc
	s_cbranch_execz .LBB76_335
; %bb.334:
	ds_read2_b64 v[172:175], v168 offset0:32 offset1:33
	v_mul_f64 v[166:167], v[158:159], v[90:91]
	v_mul_f64 v[90:91], v[156:157], v[90:91]
	v_fmac_f64_e32 v[90:91], v[158:159], v[88:89]
	v_fma_f64 v[166:167], v[156:157], v[88:89], -v[166:167]
	ds_read2_b64 v[156:159], v168 offset0:34 offset1:35
	s_waitcnt lgkmcnt(1)
	v_mul_f64 v[88:89], v[174:175], v[90:91]
	v_fma_f64 v[88:89], v[172:173], v[166:167], -v[88:89]
	v_mul_f64 v[172:173], v[172:173], v[90:91]
	v_fmac_f64_e32 v[172:173], v[174:175], v[166:167]
	s_waitcnt vmcnt(22)
	v_add_f64 v[86:87], v[86:87], -v[172:173]
	ds_read2_b64 v[172:175], v168 offset0:36 offset1:37
	v_add_f64 v[84:85], v[84:85], -v[88:89]
	s_waitcnt lgkmcnt(1)
	v_mul_f64 v[88:89], v[158:159], v[90:91]
	v_fma_f64 v[88:89], v[156:157], v[166:167], -v[88:89]
	v_mul_f64 v[156:157], v[156:157], v[90:91]
	v_fmac_f64_e32 v[156:157], v[158:159], v[166:167]
	s_waitcnt vmcnt(21)
	v_add_f64 v[80:81], v[80:81], -v[88:89]
	v_add_f64 v[82:83], v[82:83], -v[156:157]
	ds_read2_b64 v[156:159], v168 offset0:38 offset1:39
	s_waitcnt lgkmcnt(1)
	v_mul_f64 v[88:89], v[174:175], v[90:91]
	v_fma_f64 v[88:89], v[172:173], v[166:167], -v[88:89]
	v_mul_f64 v[172:173], v[172:173], v[90:91]
	v_fmac_f64_e32 v[172:173], v[174:175], v[166:167]
	s_waitcnt vmcnt(20)
	v_add_f64 v[78:79], v[78:79], -v[172:173]
	ds_read2_b64 v[172:175], v168 offset0:40 offset1:41
	v_add_f64 v[76:77], v[76:77], -v[88:89]
	s_waitcnt lgkmcnt(1)
	v_mul_f64 v[88:89], v[158:159], v[90:91]
	v_fma_f64 v[88:89], v[156:157], v[166:167], -v[88:89]
	v_mul_f64 v[156:157], v[156:157], v[90:91]
	v_fmac_f64_e32 v[156:157], v[158:159], v[166:167]
	s_waitcnt vmcnt(19)
	v_add_f64 v[72:73], v[72:73], -v[88:89]
	v_add_f64 v[74:75], v[74:75], -v[156:157]
	;; [unrolled: 18-line block ×11, first 2 shown]
	s_waitcnt lgkmcnt(0)
	v_mul_f64 v[88:89], v[174:175], v[90:91]
	v_mul_f64 v[156:157], v[172:173], v[90:91]
	v_fma_f64 v[88:89], v[172:173], v[166:167], -v[88:89]
	v_fmac_f64_e32 v[156:157], v[174:175], v[166:167]
	s_waitcnt vmcnt(0)
	v_add_f64 v[152:153], v[152:153], -v[88:89]
	v_add_f64 v[154:155], v[154:155], -v[156:157]
	v_mov_b64_e32 v[88:89], v[166:167]
.LBB76_335:
	s_or_b64 exec, exec, s[0:1]
	v_lshl_add_u32 v156, v169, 4, v168
	s_barrier
	s_waitcnt vmcnt(22)
	ds_write2_b64 v156, v[84:85], v[86:87] offset1:1
	s_waitcnt lgkmcnt(0)
	s_barrier
	ds_read2_b64 v[156:159], v168 offset0:32 offset1:33
	s_cmp_lt_i32 s20, 18
	v_mov_b32_e32 v166, 16
	s_cbranch_scc1 .LBB76_338
; %bb.336:
	v_add_u32_e32 v167, 0x110, v168
	s_mov_b32 s16, 17
	v_mov_b32_e32 v166, 16
.LBB76_337:                             ; =>This Inner Loop Header: Depth=1
	ds_read2_b64 v[172:175], v167 offset1:1
	s_waitcnt lgkmcnt(1)
	v_xor_b32_e32 v177, 0x80000000, v157
	v_xor_b32_e32 v179, 0x80000000, v159
	v_cmp_gt_f64_e32 vcc, 0, v[158:159]
	v_cmp_gt_f64_e64 s[0:1], 0, v[156:157]
	v_mov_b32_e32 v176, v156
	v_mov_b32_e32 v178, v158
	v_cndmask_b32_e64 v177, v157, v177, s[0:1]
	v_cndmask_b32_e32 v179, v159, v179, vcc
	v_add_f64 v[176:177], v[176:177], v[178:179]
	s_waitcnt lgkmcnt(0)
	v_xor_b32_e32 v179, 0x80000000, v173
	v_xor_b32_e32 v181, 0x80000000, v175
	v_cmp_gt_f64_e32 vcc, 0, v[174:175]
	v_cmp_gt_f64_e64 s[0:1], 0, v[172:173]
	v_mov_b32_e32 v178, v172
	v_mov_b32_e32 v180, v174
	v_cndmask_b32_e64 v179, v173, v179, s[0:1]
	v_cndmask_b32_e32 v181, v175, v181, vcc
	v_add_f64 v[178:179], v[178:179], v[180:181]
	v_mov_b32_e32 v182, s16
	s_add_i32 s16, s16, 1
	v_cmp_lt_f64_e32 vcc, v[176:177], v[178:179]
	v_add_u32_e32 v167, 16, v167
	s_cmp_lg_u32 s20, s16
	v_cndmask_b32_e32 v157, v157, v173, vcc
	v_cndmask_b32_e32 v156, v156, v172, vcc
	;; [unrolled: 1-line block ×5, first 2 shown]
	s_cbranch_scc1 .LBB76_337
.LBB76_338:
	s_waitcnt lgkmcnt(0)
	v_cmp_eq_f64_e32 vcc, 0, v[156:157]
	v_cmp_eq_f64_e64 s[0:1], 0, v[158:159]
	s_and_b64 s[0:1], vcc, s[0:1]
	s_and_saveexec_b64 s[16:17], s[0:1]
	s_xor_b64 s[0:1], exec, s[16:17]
; %bb.339:
	v_cmp_ne_u32_e32 vcc, 0, v170
	s_nop 1
	v_cndmask_b32_e32 v170, 17, v170, vcc
; %bb.340:
	s_andn2_saveexec_b64 s[0:1], s[0:1]
	s_cbranch_execz .LBB76_346
; %bb.341:
	v_cmp_ngt_f64_e64 s[16:17], |v[156:157]|, |v[158:159]|
	s_and_saveexec_b64 s[18:19], s[16:17]
	s_xor_b64 s[16:17], exec, s[18:19]
	s_cbranch_execz .LBB76_343
; %bb.342:
	v_div_scale_f64 v[172:173], s[18:19], v[158:159], v[158:159], v[156:157]
	v_rcp_f64_e32 v[174:175], v[172:173]
	v_div_scale_f64 v[176:177], vcc, v[156:157], v[158:159], v[156:157]
	v_fma_f64 v[178:179], -v[172:173], v[174:175], 1.0
	v_fmac_f64_e32 v[174:175], v[174:175], v[178:179]
	v_fma_f64 v[178:179], -v[172:173], v[174:175], 1.0
	v_fmac_f64_e32 v[174:175], v[174:175], v[178:179]
	v_mul_f64 v[178:179], v[176:177], v[174:175]
	v_fma_f64 v[172:173], -v[172:173], v[178:179], v[176:177]
	v_div_fmas_f64 v[172:173], v[172:173], v[174:175], v[178:179]
	v_div_fixup_f64 v[172:173], v[172:173], v[158:159], v[156:157]
	v_fmac_f64_e32 v[158:159], v[156:157], v[172:173]
	v_div_scale_f64 v[156:157], s[18:19], v[158:159], v[158:159], 1.0
	v_rcp_f64_e32 v[174:175], v[156:157]
	s_nop 0
	v_fma_f64 v[176:177], -v[156:157], v[174:175], 1.0
	v_fmac_f64_e32 v[174:175], v[174:175], v[176:177]
	v_fma_f64 v[176:177], -v[156:157], v[174:175], 1.0
	v_fmac_f64_e32 v[174:175], v[174:175], v[176:177]
	v_div_scale_f64 v[176:177], vcc, 1.0, v[158:159], 1.0
	v_mul_f64 v[178:179], v[176:177], v[174:175]
	v_fma_f64 v[156:157], -v[156:157], v[178:179], v[176:177]
	s_nop 1
	v_div_fmas_f64 v[156:157], v[156:157], v[174:175], v[178:179]
	v_div_fixup_f64 v[158:159], v[156:157], v[158:159], 1.0
	v_mul_f64 v[156:157], v[172:173], v[158:159]
	v_xor_b32_e32 v159, 0x80000000, v159
.LBB76_343:
	s_andn2_saveexec_b64 s[16:17], s[16:17]
	s_cbranch_execz .LBB76_345
; %bb.344:
	v_div_scale_f64 v[172:173], s[18:19], v[156:157], v[156:157], v[158:159]
	v_rcp_f64_e32 v[174:175], v[172:173]
	v_div_scale_f64 v[176:177], vcc, v[158:159], v[156:157], v[158:159]
	v_fma_f64 v[178:179], -v[172:173], v[174:175], 1.0
	v_fmac_f64_e32 v[174:175], v[174:175], v[178:179]
	v_fma_f64 v[178:179], -v[172:173], v[174:175], 1.0
	v_fmac_f64_e32 v[174:175], v[174:175], v[178:179]
	v_mul_f64 v[178:179], v[176:177], v[174:175]
	v_fma_f64 v[172:173], -v[172:173], v[178:179], v[176:177]
	v_div_fmas_f64 v[172:173], v[172:173], v[174:175], v[178:179]
	v_div_fixup_f64 v[172:173], v[172:173], v[156:157], v[158:159]
	v_fmac_f64_e32 v[156:157], v[158:159], v[172:173]
	v_div_scale_f64 v[158:159], s[18:19], v[156:157], v[156:157], 1.0
	v_rcp_f64_e32 v[174:175], v[158:159]
	s_nop 0
	v_fma_f64 v[176:177], -v[158:159], v[174:175], 1.0
	v_fmac_f64_e32 v[174:175], v[174:175], v[176:177]
	v_fma_f64 v[176:177], -v[158:159], v[174:175], 1.0
	v_fmac_f64_e32 v[174:175], v[174:175], v[176:177]
	v_div_scale_f64 v[176:177], vcc, 1.0, v[156:157], 1.0
	v_mul_f64 v[178:179], v[176:177], v[174:175]
	v_fma_f64 v[158:159], -v[158:159], v[178:179], v[176:177]
	s_nop 1
	v_div_fmas_f64 v[158:159], v[158:159], v[174:175], v[178:179]
	v_div_fixup_f64 v[156:157], v[158:159], v[156:157], 1.0
	v_mul_f64 v[158:159], v[172:173], -v[156:157]
.LBB76_345:
	s_or_b64 exec, exec, s[16:17]
.LBB76_346:
	s_or_b64 exec, exec, s[0:1]
	v_cmp_ne_u32_e32 vcc, v169, v166
	s_and_saveexec_b64 s[0:1], vcc
	s_xor_b64 s[0:1], exec, s[0:1]
	s_cbranch_execz .LBB76_352
; %bb.347:
	v_cmp_eq_u32_e32 vcc, 16, v169
	s_and_saveexec_b64 s[16:17], vcc
	s_cbranch_execz .LBB76_351
; %bb.348:
	v_cmp_ne_u32_e32 vcc, 16, v166
	s_xor_b64 s[18:19], s[14:15], -1
	s_and_b64 s[22:23], s[18:19], vcc
	s_and_saveexec_b64 s[18:19], s[22:23]
	s_cbranch_execz .LBB76_350
; %bb.349:
	v_ashrrev_i32_e32 v167, 31, v166
	v_lshl_add_u64 v[172:173], v[166:167], 2, v[164:165]
	global_load_dword v167, v[172:173], off
	global_load_dword v169, v[164:165], off offset:64
	s_waitcnt vmcnt(1)
	global_store_dword v[164:165], v167, off offset:64
	s_waitcnt vmcnt(1)
	global_store_dword v[172:173], v169, off
.LBB76_350:
	s_or_b64 exec, exec, s[18:19]
	v_mov_b32_e32 v169, v166
	v_mov_b32_e32 v171, v166
.LBB76_351:
	s_or_b64 exec, exec, s[16:17]
.LBB76_352:
	s_andn2_saveexec_b64 s[0:1], s[0:1]
	s_cbranch_execz .LBB76_354
; %bb.353:
	v_mov_b32_e32 v169, 16
	s_waitcnt vmcnt(21)
	ds_write2_b64 v168, v[80:81], v[82:83] offset0:34 offset1:35
	s_waitcnt vmcnt(20)
	ds_write2_b64 v168, v[76:77], v[78:79] offset0:36 offset1:37
	;; [unrolled: 2-line block ×22, first 2 shown]
.LBB76_354:
	s_or_b64 exec, exec, s[0:1]
	v_cmp_lt_i32_e32 vcc, 16, v169
	s_waitcnt lgkmcnt(0)
	s_barrier
	s_and_saveexec_b64 s[0:1], vcc
	s_cbranch_execz .LBB76_356
; %bb.355:
	ds_read2_b64 v[172:175], v168 offset0:34 offset1:35
	v_mul_f64 v[166:167], v[158:159], v[86:87]
	v_mul_f64 v[86:87], v[156:157], v[86:87]
	v_fma_f64 v[166:167], v[156:157], v[84:85], -v[166:167]
	v_fmac_f64_e32 v[86:87], v[158:159], v[84:85]
	ds_read2_b64 v[156:159], v168 offset0:36 offset1:37
	s_waitcnt lgkmcnt(1)
	v_mul_f64 v[84:85], v[174:175], v[86:87]
	v_fma_f64 v[84:85], v[172:173], v[166:167], -v[84:85]
	v_mul_f64 v[172:173], v[172:173], v[86:87]
	v_fmac_f64_e32 v[172:173], v[174:175], v[166:167]
	s_waitcnt vmcnt(21)
	v_add_f64 v[80:81], v[80:81], -v[84:85]
	s_waitcnt lgkmcnt(0)
	v_mul_f64 v[84:85], v[158:159], v[86:87]
	v_add_f64 v[82:83], v[82:83], -v[172:173]
	v_fma_f64 v[84:85], v[156:157], v[166:167], -v[84:85]
	v_mul_f64 v[156:157], v[156:157], v[86:87]
	ds_read2_b64 v[172:175], v168 offset0:38 offset1:39
	v_fmac_f64_e32 v[156:157], v[158:159], v[166:167]
	s_waitcnt vmcnt(20)
	v_add_f64 v[78:79], v[78:79], -v[156:157]
	ds_read2_b64 v[156:159], v168 offset0:40 offset1:41
	v_add_f64 v[76:77], v[76:77], -v[84:85]
	s_waitcnt lgkmcnt(1)
	v_mul_f64 v[84:85], v[174:175], v[86:87]
	v_fma_f64 v[84:85], v[172:173], v[166:167], -v[84:85]
	v_mul_f64 v[172:173], v[172:173], v[86:87]
	v_fmac_f64_e32 v[172:173], v[174:175], v[166:167]
	s_waitcnt vmcnt(19)
	v_add_f64 v[72:73], v[72:73], -v[84:85]
	s_waitcnt lgkmcnt(0)
	v_mul_f64 v[84:85], v[158:159], v[86:87]
	v_add_f64 v[74:75], v[74:75], -v[172:173]
	v_fma_f64 v[84:85], v[156:157], v[166:167], -v[84:85]
	v_mul_f64 v[156:157], v[156:157], v[86:87]
	ds_read2_b64 v[172:175], v168 offset0:42 offset1:43
	v_fmac_f64_e32 v[156:157], v[158:159], v[166:167]
	s_waitcnt vmcnt(18)
	v_add_f64 v[70:71], v[70:71], -v[156:157]
	ds_read2_b64 v[156:159], v168 offset0:44 offset1:45
	v_add_f64 v[68:69], v[68:69], -v[84:85]
	;; [unrolled: 18-line block ×10, first 2 shown]
	s_waitcnt lgkmcnt(1)
	v_mul_f64 v[84:85], v[174:175], v[86:87]
	v_fma_f64 v[84:85], v[172:173], v[166:167], -v[84:85]
	s_waitcnt vmcnt(1)
	v_add_f64 v[0:1], v[0:1], -v[84:85]
	s_waitcnt lgkmcnt(0)
	v_mul_f64 v[84:85], v[158:159], v[86:87]
	v_mul_f64 v[172:173], v[172:173], v[86:87]
	v_fma_f64 v[84:85], v[156:157], v[166:167], -v[84:85]
	v_mul_f64 v[156:157], v[156:157], v[86:87]
	v_fmac_f64_e32 v[172:173], v[174:175], v[166:167]
	v_fmac_f64_e32 v[156:157], v[158:159], v[166:167]
	v_add_f64 v[2:3], v[2:3], -v[172:173]
	s_waitcnt vmcnt(0)
	v_add_f64 v[152:153], v[152:153], -v[84:85]
	v_add_f64 v[154:155], v[154:155], -v[156:157]
	v_mov_b64_e32 v[84:85], v[166:167]
.LBB76_356:
	s_or_b64 exec, exec, s[0:1]
	v_lshl_add_u32 v156, v169, 4, v168
	s_barrier
	s_waitcnt vmcnt(21)
	ds_write2_b64 v156, v[80:81], v[82:83] offset1:1
	s_waitcnt lgkmcnt(0)
	s_barrier
	ds_read2_b64 v[156:159], v168 offset0:34 offset1:35
	s_cmp_lt_i32 s20, 19
	v_mov_b32_e32 v166, 17
	s_cbranch_scc1 .LBB76_359
; %bb.357:
	v_add_u32_e32 v167, 0x120, v168
	s_mov_b32 s16, 18
	v_mov_b32_e32 v166, 17
.LBB76_358:                             ; =>This Inner Loop Header: Depth=1
	ds_read2_b64 v[172:175], v167 offset1:1
	s_waitcnt lgkmcnt(1)
	v_xor_b32_e32 v177, 0x80000000, v157
	v_xor_b32_e32 v179, 0x80000000, v159
	v_cmp_gt_f64_e32 vcc, 0, v[158:159]
	v_cmp_gt_f64_e64 s[0:1], 0, v[156:157]
	v_mov_b32_e32 v176, v156
	v_mov_b32_e32 v178, v158
	v_cndmask_b32_e64 v177, v157, v177, s[0:1]
	v_cndmask_b32_e32 v179, v159, v179, vcc
	v_add_f64 v[176:177], v[176:177], v[178:179]
	s_waitcnt lgkmcnt(0)
	v_xor_b32_e32 v179, 0x80000000, v173
	v_xor_b32_e32 v181, 0x80000000, v175
	v_cmp_gt_f64_e32 vcc, 0, v[174:175]
	v_cmp_gt_f64_e64 s[0:1], 0, v[172:173]
	v_mov_b32_e32 v178, v172
	v_mov_b32_e32 v180, v174
	v_cndmask_b32_e64 v179, v173, v179, s[0:1]
	v_cndmask_b32_e32 v181, v175, v181, vcc
	v_add_f64 v[178:179], v[178:179], v[180:181]
	v_mov_b32_e32 v182, s16
	s_add_i32 s16, s16, 1
	v_cmp_lt_f64_e32 vcc, v[176:177], v[178:179]
	v_add_u32_e32 v167, 16, v167
	s_cmp_lg_u32 s20, s16
	v_cndmask_b32_e32 v157, v157, v173, vcc
	v_cndmask_b32_e32 v156, v156, v172, vcc
	;; [unrolled: 1-line block ×5, first 2 shown]
	s_cbranch_scc1 .LBB76_358
.LBB76_359:
	s_waitcnt lgkmcnt(0)
	v_cmp_eq_f64_e32 vcc, 0, v[156:157]
	v_cmp_eq_f64_e64 s[0:1], 0, v[158:159]
	s_and_b64 s[0:1], vcc, s[0:1]
	s_and_saveexec_b64 s[16:17], s[0:1]
	s_xor_b64 s[0:1], exec, s[16:17]
; %bb.360:
	v_cmp_ne_u32_e32 vcc, 0, v170
	s_nop 1
	v_cndmask_b32_e32 v170, 18, v170, vcc
; %bb.361:
	s_andn2_saveexec_b64 s[0:1], s[0:1]
	s_cbranch_execz .LBB76_367
; %bb.362:
	v_cmp_ngt_f64_e64 s[16:17], |v[156:157]|, |v[158:159]|
	s_and_saveexec_b64 s[18:19], s[16:17]
	s_xor_b64 s[16:17], exec, s[18:19]
	s_cbranch_execz .LBB76_364
; %bb.363:
	v_div_scale_f64 v[172:173], s[18:19], v[158:159], v[158:159], v[156:157]
	v_rcp_f64_e32 v[174:175], v[172:173]
	v_div_scale_f64 v[176:177], vcc, v[156:157], v[158:159], v[156:157]
	v_fma_f64 v[178:179], -v[172:173], v[174:175], 1.0
	v_fmac_f64_e32 v[174:175], v[174:175], v[178:179]
	v_fma_f64 v[178:179], -v[172:173], v[174:175], 1.0
	v_fmac_f64_e32 v[174:175], v[174:175], v[178:179]
	v_mul_f64 v[178:179], v[176:177], v[174:175]
	v_fma_f64 v[172:173], -v[172:173], v[178:179], v[176:177]
	v_div_fmas_f64 v[172:173], v[172:173], v[174:175], v[178:179]
	v_div_fixup_f64 v[172:173], v[172:173], v[158:159], v[156:157]
	v_fmac_f64_e32 v[158:159], v[156:157], v[172:173]
	v_div_scale_f64 v[156:157], s[18:19], v[158:159], v[158:159], 1.0
	v_rcp_f64_e32 v[174:175], v[156:157]
	s_nop 0
	v_fma_f64 v[176:177], -v[156:157], v[174:175], 1.0
	v_fmac_f64_e32 v[174:175], v[174:175], v[176:177]
	v_fma_f64 v[176:177], -v[156:157], v[174:175], 1.0
	v_fmac_f64_e32 v[174:175], v[174:175], v[176:177]
	v_div_scale_f64 v[176:177], vcc, 1.0, v[158:159], 1.0
	v_mul_f64 v[178:179], v[176:177], v[174:175]
	v_fma_f64 v[156:157], -v[156:157], v[178:179], v[176:177]
	s_nop 1
	v_div_fmas_f64 v[156:157], v[156:157], v[174:175], v[178:179]
	v_div_fixup_f64 v[158:159], v[156:157], v[158:159], 1.0
	v_mul_f64 v[156:157], v[172:173], v[158:159]
	v_xor_b32_e32 v159, 0x80000000, v159
.LBB76_364:
	s_andn2_saveexec_b64 s[16:17], s[16:17]
	s_cbranch_execz .LBB76_366
; %bb.365:
	v_div_scale_f64 v[172:173], s[18:19], v[156:157], v[156:157], v[158:159]
	v_rcp_f64_e32 v[174:175], v[172:173]
	v_div_scale_f64 v[176:177], vcc, v[158:159], v[156:157], v[158:159]
	v_fma_f64 v[178:179], -v[172:173], v[174:175], 1.0
	v_fmac_f64_e32 v[174:175], v[174:175], v[178:179]
	v_fma_f64 v[178:179], -v[172:173], v[174:175], 1.0
	v_fmac_f64_e32 v[174:175], v[174:175], v[178:179]
	v_mul_f64 v[178:179], v[176:177], v[174:175]
	v_fma_f64 v[172:173], -v[172:173], v[178:179], v[176:177]
	v_div_fmas_f64 v[172:173], v[172:173], v[174:175], v[178:179]
	v_div_fixup_f64 v[172:173], v[172:173], v[156:157], v[158:159]
	v_fmac_f64_e32 v[156:157], v[158:159], v[172:173]
	v_div_scale_f64 v[158:159], s[18:19], v[156:157], v[156:157], 1.0
	v_rcp_f64_e32 v[174:175], v[158:159]
	s_nop 0
	v_fma_f64 v[176:177], -v[158:159], v[174:175], 1.0
	v_fmac_f64_e32 v[174:175], v[174:175], v[176:177]
	v_fma_f64 v[176:177], -v[158:159], v[174:175], 1.0
	v_fmac_f64_e32 v[174:175], v[174:175], v[176:177]
	v_div_scale_f64 v[176:177], vcc, 1.0, v[156:157], 1.0
	v_mul_f64 v[178:179], v[176:177], v[174:175]
	v_fma_f64 v[158:159], -v[158:159], v[178:179], v[176:177]
	s_nop 1
	v_div_fmas_f64 v[158:159], v[158:159], v[174:175], v[178:179]
	v_div_fixup_f64 v[156:157], v[158:159], v[156:157], 1.0
	v_mul_f64 v[158:159], v[172:173], -v[156:157]
.LBB76_366:
	s_or_b64 exec, exec, s[16:17]
.LBB76_367:
	s_or_b64 exec, exec, s[0:1]
	v_cmp_ne_u32_e32 vcc, v169, v166
	s_and_saveexec_b64 s[0:1], vcc
	s_xor_b64 s[0:1], exec, s[0:1]
	s_cbranch_execz .LBB76_373
; %bb.368:
	v_cmp_eq_u32_e32 vcc, 17, v169
	s_and_saveexec_b64 s[16:17], vcc
	s_cbranch_execz .LBB76_372
; %bb.369:
	v_cmp_ne_u32_e32 vcc, 17, v166
	s_xor_b64 s[18:19], s[14:15], -1
	s_and_b64 s[22:23], s[18:19], vcc
	s_and_saveexec_b64 s[18:19], s[22:23]
	s_cbranch_execz .LBB76_371
; %bb.370:
	v_ashrrev_i32_e32 v167, 31, v166
	v_lshl_add_u64 v[172:173], v[166:167], 2, v[164:165]
	global_load_dword v167, v[172:173], off
	global_load_dword v169, v[164:165], off offset:68
	s_waitcnt vmcnt(1)
	global_store_dword v[164:165], v167, off offset:68
	s_waitcnt vmcnt(1)
	global_store_dword v[172:173], v169, off
.LBB76_371:
	s_or_b64 exec, exec, s[18:19]
	v_mov_b32_e32 v169, v166
	v_mov_b32_e32 v171, v166
.LBB76_372:
	s_or_b64 exec, exec, s[16:17]
.LBB76_373:
	s_andn2_saveexec_b64 s[0:1], s[0:1]
	s_cbranch_execz .LBB76_375
; %bb.374:
	v_mov_b32_e32 v169, 17
	s_waitcnt vmcnt(20)
	ds_write2_b64 v168, v[76:77], v[78:79] offset0:36 offset1:37
	s_waitcnt vmcnt(19)
	ds_write2_b64 v168, v[72:73], v[74:75] offset0:38 offset1:39
	;; [unrolled: 2-line block ×21, first 2 shown]
.LBB76_375:
	s_or_b64 exec, exec, s[0:1]
	v_cmp_lt_i32_e32 vcc, 17, v169
	s_waitcnt lgkmcnt(0)
	s_barrier
	s_and_saveexec_b64 s[0:1], vcc
	s_cbranch_execz .LBB76_377
; %bb.376:
	ds_read2_b64 v[172:175], v168 offset0:36 offset1:37
	v_mul_f64 v[166:167], v[158:159], v[82:83]
	v_mul_f64 v[82:83], v[156:157], v[82:83]
	v_fmac_f64_e32 v[82:83], v[158:159], v[80:81]
	v_fma_f64 v[166:167], v[156:157], v[80:81], -v[166:167]
	ds_read2_b64 v[156:159], v168 offset0:38 offset1:39
	s_waitcnt lgkmcnt(1)
	v_mul_f64 v[80:81], v[174:175], v[82:83]
	v_fma_f64 v[80:81], v[172:173], v[166:167], -v[80:81]
	v_mul_f64 v[172:173], v[172:173], v[82:83]
	v_fmac_f64_e32 v[172:173], v[174:175], v[166:167]
	s_waitcnt vmcnt(20)
	v_add_f64 v[78:79], v[78:79], -v[172:173]
	ds_read2_b64 v[172:175], v168 offset0:40 offset1:41
	v_add_f64 v[76:77], v[76:77], -v[80:81]
	s_waitcnt lgkmcnt(1)
	v_mul_f64 v[80:81], v[158:159], v[82:83]
	v_fma_f64 v[80:81], v[156:157], v[166:167], -v[80:81]
	v_mul_f64 v[156:157], v[156:157], v[82:83]
	v_fmac_f64_e32 v[156:157], v[158:159], v[166:167]
	s_waitcnt vmcnt(19)
	v_add_f64 v[72:73], v[72:73], -v[80:81]
	v_add_f64 v[74:75], v[74:75], -v[156:157]
	ds_read2_b64 v[156:159], v168 offset0:42 offset1:43
	s_waitcnt lgkmcnt(1)
	v_mul_f64 v[80:81], v[174:175], v[82:83]
	v_fma_f64 v[80:81], v[172:173], v[166:167], -v[80:81]
	v_mul_f64 v[172:173], v[172:173], v[82:83]
	v_fmac_f64_e32 v[172:173], v[174:175], v[166:167]
	s_waitcnt vmcnt(18)
	v_add_f64 v[70:71], v[70:71], -v[172:173]
	ds_read2_b64 v[172:175], v168 offset0:44 offset1:45
	v_add_f64 v[68:69], v[68:69], -v[80:81]
	s_waitcnt lgkmcnt(1)
	v_mul_f64 v[80:81], v[158:159], v[82:83]
	v_fma_f64 v[80:81], v[156:157], v[166:167], -v[80:81]
	v_mul_f64 v[156:157], v[156:157], v[82:83]
	v_fmac_f64_e32 v[156:157], v[158:159], v[166:167]
	s_waitcnt vmcnt(17)
	v_add_f64 v[64:65], v[64:65], -v[80:81]
	v_add_f64 v[66:67], v[66:67], -v[156:157]
	;; [unrolled: 18-line block ×10, first 2 shown]
	s_waitcnt lgkmcnt(0)
	v_mul_f64 v[80:81], v[174:175], v[82:83]
	v_mul_f64 v[156:157], v[172:173], v[82:83]
	v_fma_f64 v[80:81], v[172:173], v[166:167], -v[80:81]
	v_fmac_f64_e32 v[156:157], v[174:175], v[166:167]
	s_waitcnt vmcnt(0)
	v_add_f64 v[152:153], v[152:153], -v[80:81]
	v_add_f64 v[154:155], v[154:155], -v[156:157]
	v_mov_b64_e32 v[80:81], v[166:167]
.LBB76_377:
	s_or_b64 exec, exec, s[0:1]
	v_lshl_add_u32 v156, v169, 4, v168
	s_barrier
	s_waitcnt vmcnt(20)
	ds_write2_b64 v156, v[76:77], v[78:79] offset1:1
	s_waitcnt lgkmcnt(0)
	s_barrier
	ds_read2_b64 v[156:159], v168 offset0:36 offset1:37
	s_cmp_lt_i32 s20, 20
	v_mov_b32_e32 v166, 18
	s_cbranch_scc1 .LBB76_380
; %bb.378:
	v_add_u32_e32 v167, 0x130, v168
	s_mov_b32 s16, 19
	v_mov_b32_e32 v166, 18
.LBB76_379:                             ; =>This Inner Loop Header: Depth=1
	ds_read2_b64 v[172:175], v167 offset1:1
	s_waitcnt lgkmcnt(1)
	v_xor_b32_e32 v177, 0x80000000, v157
	v_xor_b32_e32 v179, 0x80000000, v159
	v_cmp_gt_f64_e32 vcc, 0, v[158:159]
	v_cmp_gt_f64_e64 s[0:1], 0, v[156:157]
	v_mov_b32_e32 v176, v156
	v_mov_b32_e32 v178, v158
	v_cndmask_b32_e64 v177, v157, v177, s[0:1]
	v_cndmask_b32_e32 v179, v159, v179, vcc
	v_add_f64 v[176:177], v[176:177], v[178:179]
	s_waitcnt lgkmcnt(0)
	v_xor_b32_e32 v179, 0x80000000, v173
	v_xor_b32_e32 v181, 0x80000000, v175
	v_cmp_gt_f64_e32 vcc, 0, v[174:175]
	v_cmp_gt_f64_e64 s[0:1], 0, v[172:173]
	v_mov_b32_e32 v178, v172
	v_mov_b32_e32 v180, v174
	v_cndmask_b32_e64 v179, v173, v179, s[0:1]
	v_cndmask_b32_e32 v181, v175, v181, vcc
	v_add_f64 v[178:179], v[178:179], v[180:181]
	v_mov_b32_e32 v182, s16
	s_add_i32 s16, s16, 1
	v_cmp_lt_f64_e32 vcc, v[176:177], v[178:179]
	v_add_u32_e32 v167, 16, v167
	s_cmp_lg_u32 s20, s16
	v_cndmask_b32_e32 v157, v157, v173, vcc
	v_cndmask_b32_e32 v156, v156, v172, vcc
	;; [unrolled: 1-line block ×5, first 2 shown]
	s_cbranch_scc1 .LBB76_379
.LBB76_380:
	s_waitcnt lgkmcnt(0)
	v_cmp_eq_f64_e32 vcc, 0, v[156:157]
	v_cmp_eq_f64_e64 s[0:1], 0, v[158:159]
	s_and_b64 s[0:1], vcc, s[0:1]
	s_and_saveexec_b64 s[16:17], s[0:1]
	s_xor_b64 s[0:1], exec, s[16:17]
; %bb.381:
	v_cmp_ne_u32_e32 vcc, 0, v170
	s_nop 1
	v_cndmask_b32_e32 v170, 19, v170, vcc
; %bb.382:
	s_andn2_saveexec_b64 s[0:1], s[0:1]
	s_cbranch_execz .LBB76_388
; %bb.383:
	v_cmp_ngt_f64_e64 s[16:17], |v[156:157]|, |v[158:159]|
	s_and_saveexec_b64 s[18:19], s[16:17]
	s_xor_b64 s[16:17], exec, s[18:19]
	s_cbranch_execz .LBB76_385
; %bb.384:
	v_div_scale_f64 v[172:173], s[18:19], v[158:159], v[158:159], v[156:157]
	v_rcp_f64_e32 v[174:175], v[172:173]
	v_div_scale_f64 v[176:177], vcc, v[156:157], v[158:159], v[156:157]
	v_fma_f64 v[178:179], -v[172:173], v[174:175], 1.0
	v_fmac_f64_e32 v[174:175], v[174:175], v[178:179]
	v_fma_f64 v[178:179], -v[172:173], v[174:175], 1.0
	v_fmac_f64_e32 v[174:175], v[174:175], v[178:179]
	v_mul_f64 v[178:179], v[176:177], v[174:175]
	v_fma_f64 v[172:173], -v[172:173], v[178:179], v[176:177]
	v_div_fmas_f64 v[172:173], v[172:173], v[174:175], v[178:179]
	v_div_fixup_f64 v[172:173], v[172:173], v[158:159], v[156:157]
	v_fmac_f64_e32 v[158:159], v[156:157], v[172:173]
	v_div_scale_f64 v[156:157], s[18:19], v[158:159], v[158:159], 1.0
	v_rcp_f64_e32 v[174:175], v[156:157]
	s_nop 0
	v_fma_f64 v[176:177], -v[156:157], v[174:175], 1.0
	v_fmac_f64_e32 v[174:175], v[174:175], v[176:177]
	v_fma_f64 v[176:177], -v[156:157], v[174:175], 1.0
	v_fmac_f64_e32 v[174:175], v[174:175], v[176:177]
	v_div_scale_f64 v[176:177], vcc, 1.0, v[158:159], 1.0
	v_mul_f64 v[178:179], v[176:177], v[174:175]
	v_fma_f64 v[156:157], -v[156:157], v[178:179], v[176:177]
	s_nop 1
	v_div_fmas_f64 v[156:157], v[156:157], v[174:175], v[178:179]
	v_div_fixup_f64 v[158:159], v[156:157], v[158:159], 1.0
	v_mul_f64 v[156:157], v[172:173], v[158:159]
	v_xor_b32_e32 v159, 0x80000000, v159
.LBB76_385:
	s_andn2_saveexec_b64 s[16:17], s[16:17]
	s_cbranch_execz .LBB76_387
; %bb.386:
	v_div_scale_f64 v[172:173], s[18:19], v[156:157], v[156:157], v[158:159]
	v_rcp_f64_e32 v[174:175], v[172:173]
	v_div_scale_f64 v[176:177], vcc, v[158:159], v[156:157], v[158:159]
	v_fma_f64 v[178:179], -v[172:173], v[174:175], 1.0
	v_fmac_f64_e32 v[174:175], v[174:175], v[178:179]
	v_fma_f64 v[178:179], -v[172:173], v[174:175], 1.0
	v_fmac_f64_e32 v[174:175], v[174:175], v[178:179]
	v_mul_f64 v[178:179], v[176:177], v[174:175]
	v_fma_f64 v[172:173], -v[172:173], v[178:179], v[176:177]
	v_div_fmas_f64 v[172:173], v[172:173], v[174:175], v[178:179]
	v_div_fixup_f64 v[172:173], v[172:173], v[156:157], v[158:159]
	v_fmac_f64_e32 v[156:157], v[158:159], v[172:173]
	v_div_scale_f64 v[158:159], s[18:19], v[156:157], v[156:157], 1.0
	v_rcp_f64_e32 v[174:175], v[158:159]
	s_nop 0
	v_fma_f64 v[176:177], -v[158:159], v[174:175], 1.0
	v_fmac_f64_e32 v[174:175], v[174:175], v[176:177]
	v_fma_f64 v[176:177], -v[158:159], v[174:175], 1.0
	v_fmac_f64_e32 v[174:175], v[174:175], v[176:177]
	v_div_scale_f64 v[176:177], vcc, 1.0, v[156:157], 1.0
	v_mul_f64 v[178:179], v[176:177], v[174:175]
	v_fma_f64 v[158:159], -v[158:159], v[178:179], v[176:177]
	s_nop 1
	v_div_fmas_f64 v[158:159], v[158:159], v[174:175], v[178:179]
	v_div_fixup_f64 v[156:157], v[158:159], v[156:157], 1.0
	v_mul_f64 v[158:159], v[172:173], -v[156:157]
.LBB76_387:
	s_or_b64 exec, exec, s[16:17]
.LBB76_388:
	s_or_b64 exec, exec, s[0:1]
	v_cmp_ne_u32_e32 vcc, v169, v166
	s_and_saveexec_b64 s[0:1], vcc
	s_xor_b64 s[0:1], exec, s[0:1]
	s_cbranch_execz .LBB76_394
; %bb.389:
	v_cmp_eq_u32_e32 vcc, 18, v169
	s_and_saveexec_b64 s[16:17], vcc
	s_cbranch_execz .LBB76_393
; %bb.390:
	v_cmp_ne_u32_e32 vcc, 18, v166
	s_xor_b64 s[18:19], s[14:15], -1
	s_and_b64 s[22:23], s[18:19], vcc
	s_and_saveexec_b64 s[18:19], s[22:23]
	s_cbranch_execz .LBB76_392
; %bb.391:
	v_ashrrev_i32_e32 v167, 31, v166
	v_lshl_add_u64 v[172:173], v[166:167], 2, v[164:165]
	global_load_dword v167, v[172:173], off
	global_load_dword v169, v[164:165], off offset:72
	s_waitcnt vmcnt(1)
	global_store_dword v[164:165], v167, off offset:72
	s_waitcnt vmcnt(1)
	global_store_dword v[172:173], v169, off
.LBB76_392:
	s_or_b64 exec, exec, s[18:19]
	v_mov_b32_e32 v169, v166
	v_mov_b32_e32 v171, v166
.LBB76_393:
	s_or_b64 exec, exec, s[16:17]
.LBB76_394:
	s_andn2_saveexec_b64 s[0:1], s[0:1]
	s_cbranch_execz .LBB76_396
; %bb.395:
	v_mov_b32_e32 v169, 18
	s_waitcnt vmcnt(19)
	ds_write2_b64 v168, v[72:73], v[74:75] offset0:38 offset1:39
	s_waitcnt vmcnt(18)
	ds_write2_b64 v168, v[68:69], v[70:71] offset0:40 offset1:41
	;; [unrolled: 2-line block ×20, first 2 shown]
.LBB76_396:
	s_or_b64 exec, exec, s[0:1]
	v_cmp_lt_i32_e32 vcc, 18, v169
	s_waitcnt lgkmcnt(0)
	s_barrier
	s_and_saveexec_b64 s[0:1], vcc
	s_cbranch_execz .LBB76_398
; %bb.397:
	ds_read2_b64 v[172:175], v168 offset0:38 offset1:39
	v_mul_f64 v[166:167], v[158:159], v[78:79]
	v_mul_f64 v[78:79], v[156:157], v[78:79]
	v_fma_f64 v[166:167], v[156:157], v[76:77], -v[166:167]
	v_fmac_f64_e32 v[78:79], v[158:159], v[76:77]
	ds_read2_b64 v[156:159], v168 offset0:40 offset1:41
	s_waitcnt lgkmcnt(1)
	v_mul_f64 v[76:77], v[174:175], v[78:79]
	v_fma_f64 v[76:77], v[172:173], v[166:167], -v[76:77]
	v_mul_f64 v[172:173], v[172:173], v[78:79]
	v_fmac_f64_e32 v[172:173], v[174:175], v[166:167]
	s_waitcnt vmcnt(19)
	v_add_f64 v[72:73], v[72:73], -v[76:77]
	s_waitcnt lgkmcnt(0)
	v_mul_f64 v[76:77], v[158:159], v[78:79]
	v_add_f64 v[74:75], v[74:75], -v[172:173]
	v_fma_f64 v[76:77], v[156:157], v[166:167], -v[76:77]
	v_mul_f64 v[156:157], v[156:157], v[78:79]
	ds_read2_b64 v[172:175], v168 offset0:42 offset1:43
	v_fmac_f64_e32 v[156:157], v[158:159], v[166:167]
	s_waitcnt vmcnt(18)
	v_add_f64 v[70:71], v[70:71], -v[156:157]
	ds_read2_b64 v[156:159], v168 offset0:44 offset1:45
	v_add_f64 v[68:69], v[68:69], -v[76:77]
	s_waitcnt lgkmcnt(1)
	v_mul_f64 v[76:77], v[174:175], v[78:79]
	v_fma_f64 v[76:77], v[172:173], v[166:167], -v[76:77]
	v_mul_f64 v[172:173], v[172:173], v[78:79]
	v_fmac_f64_e32 v[172:173], v[174:175], v[166:167]
	s_waitcnt vmcnt(17)
	v_add_f64 v[64:65], v[64:65], -v[76:77]
	s_waitcnt lgkmcnt(0)
	v_mul_f64 v[76:77], v[158:159], v[78:79]
	v_add_f64 v[66:67], v[66:67], -v[172:173]
	v_fma_f64 v[76:77], v[156:157], v[166:167], -v[76:77]
	v_mul_f64 v[156:157], v[156:157], v[78:79]
	ds_read2_b64 v[172:175], v168 offset0:46 offset1:47
	v_fmac_f64_e32 v[156:157], v[158:159], v[166:167]
	s_waitcnt vmcnt(16)
	v_add_f64 v[62:63], v[62:63], -v[156:157]
	ds_read2_b64 v[156:159], v168 offset0:48 offset1:49
	v_add_f64 v[60:61], v[60:61], -v[76:77]
	;; [unrolled: 18-line block ×9, first 2 shown]
	s_waitcnt lgkmcnt(1)
	v_mul_f64 v[76:77], v[174:175], v[78:79]
	v_fma_f64 v[76:77], v[172:173], v[166:167], -v[76:77]
	s_waitcnt vmcnt(1)
	v_add_f64 v[0:1], v[0:1], -v[76:77]
	s_waitcnt lgkmcnt(0)
	v_mul_f64 v[76:77], v[158:159], v[78:79]
	v_mul_f64 v[172:173], v[172:173], v[78:79]
	v_fma_f64 v[76:77], v[156:157], v[166:167], -v[76:77]
	v_mul_f64 v[156:157], v[156:157], v[78:79]
	v_fmac_f64_e32 v[172:173], v[174:175], v[166:167]
	v_fmac_f64_e32 v[156:157], v[158:159], v[166:167]
	v_add_f64 v[2:3], v[2:3], -v[172:173]
	s_waitcnt vmcnt(0)
	v_add_f64 v[152:153], v[152:153], -v[76:77]
	v_add_f64 v[154:155], v[154:155], -v[156:157]
	v_mov_b64_e32 v[76:77], v[166:167]
.LBB76_398:
	s_or_b64 exec, exec, s[0:1]
	v_lshl_add_u32 v156, v169, 4, v168
	s_barrier
	s_waitcnt vmcnt(19)
	ds_write2_b64 v156, v[72:73], v[74:75] offset1:1
	s_waitcnt lgkmcnt(0)
	s_barrier
	ds_read2_b64 v[156:159], v168 offset0:38 offset1:39
	s_cmp_lt_i32 s20, 21
	v_mov_b32_e32 v166, 19
	s_cbranch_scc1 .LBB76_401
; %bb.399:
	v_add_u32_e32 v167, 0x140, v168
	s_mov_b32 s16, 20
	v_mov_b32_e32 v166, 19
.LBB76_400:                             ; =>This Inner Loop Header: Depth=1
	ds_read2_b64 v[172:175], v167 offset1:1
	s_waitcnt lgkmcnt(1)
	v_xor_b32_e32 v177, 0x80000000, v157
	v_xor_b32_e32 v179, 0x80000000, v159
	v_cmp_gt_f64_e32 vcc, 0, v[158:159]
	v_cmp_gt_f64_e64 s[0:1], 0, v[156:157]
	v_mov_b32_e32 v176, v156
	v_mov_b32_e32 v178, v158
	v_cndmask_b32_e64 v177, v157, v177, s[0:1]
	v_cndmask_b32_e32 v179, v159, v179, vcc
	v_add_f64 v[176:177], v[176:177], v[178:179]
	s_waitcnt lgkmcnt(0)
	v_xor_b32_e32 v179, 0x80000000, v173
	v_xor_b32_e32 v181, 0x80000000, v175
	v_cmp_gt_f64_e32 vcc, 0, v[174:175]
	v_cmp_gt_f64_e64 s[0:1], 0, v[172:173]
	v_mov_b32_e32 v178, v172
	v_mov_b32_e32 v180, v174
	v_cndmask_b32_e64 v179, v173, v179, s[0:1]
	v_cndmask_b32_e32 v181, v175, v181, vcc
	v_add_f64 v[178:179], v[178:179], v[180:181]
	v_mov_b32_e32 v182, s16
	s_add_i32 s16, s16, 1
	v_cmp_lt_f64_e32 vcc, v[176:177], v[178:179]
	v_add_u32_e32 v167, 16, v167
	s_cmp_lg_u32 s20, s16
	v_cndmask_b32_e32 v157, v157, v173, vcc
	v_cndmask_b32_e32 v156, v156, v172, vcc
	;; [unrolled: 1-line block ×5, first 2 shown]
	s_cbranch_scc1 .LBB76_400
.LBB76_401:
	s_waitcnt lgkmcnt(0)
	v_cmp_eq_f64_e32 vcc, 0, v[156:157]
	v_cmp_eq_f64_e64 s[0:1], 0, v[158:159]
	s_and_b64 s[0:1], vcc, s[0:1]
	s_and_saveexec_b64 s[16:17], s[0:1]
	s_xor_b64 s[0:1], exec, s[16:17]
; %bb.402:
	v_cmp_ne_u32_e32 vcc, 0, v170
	s_nop 1
	v_cndmask_b32_e32 v170, 20, v170, vcc
; %bb.403:
	s_andn2_saveexec_b64 s[0:1], s[0:1]
	s_cbranch_execz .LBB76_409
; %bb.404:
	v_cmp_ngt_f64_e64 s[16:17], |v[156:157]|, |v[158:159]|
	s_and_saveexec_b64 s[18:19], s[16:17]
	s_xor_b64 s[16:17], exec, s[18:19]
	s_cbranch_execz .LBB76_406
; %bb.405:
	v_div_scale_f64 v[172:173], s[18:19], v[158:159], v[158:159], v[156:157]
	v_rcp_f64_e32 v[174:175], v[172:173]
	v_div_scale_f64 v[176:177], vcc, v[156:157], v[158:159], v[156:157]
	v_fma_f64 v[178:179], -v[172:173], v[174:175], 1.0
	v_fmac_f64_e32 v[174:175], v[174:175], v[178:179]
	v_fma_f64 v[178:179], -v[172:173], v[174:175], 1.0
	v_fmac_f64_e32 v[174:175], v[174:175], v[178:179]
	v_mul_f64 v[178:179], v[176:177], v[174:175]
	v_fma_f64 v[172:173], -v[172:173], v[178:179], v[176:177]
	v_div_fmas_f64 v[172:173], v[172:173], v[174:175], v[178:179]
	v_div_fixup_f64 v[172:173], v[172:173], v[158:159], v[156:157]
	v_fmac_f64_e32 v[158:159], v[156:157], v[172:173]
	v_div_scale_f64 v[156:157], s[18:19], v[158:159], v[158:159], 1.0
	v_rcp_f64_e32 v[174:175], v[156:157]
	s_nop 0
	v_fma_f64 v[176:177], -v[156:157], v[174:175], 1.0
	v_fmac_f64_e32 v[174:175], v[174:175], v[176:177]
	v_fma_f64 v[176:177], -v[156:157], v[174:175], 1.0
	v_fmac_f64_e32 v[174:175], v[174:175], v[176:177]
	v_div_scale_f64 v[176:177], vcc, 1.0, v[158:159], 1.0
	v_mul_f64 v[178:179], v[176:177], v[174:175]
	v_fma_f64 v[156:157], -v[156:157], v[178:179], v[176:177]
	s_nop 1
	v_div_fmas_f64 v[156:157], v[156:157], v[174:175], v[178:179]
	v_div_fixup_f64 v[158:159], v[156:157], v[158:159], 1.0
	v_mul_f64 v[156:157], v[172:173], v[158:159]
	v_xor_b32_e32 v159, 0x80000000, v159
.LBB76_406:
	s_andn2_saveexec_b64 s[16:17], s[16:17]
	s_cbranch_execz .LBB76_408
; %bb.407:
	v_div_scale_f64 v[172:173], s[18:19], v[156:157], v[156:157], v[158:159]
	v_rcp_f64_e32 v[174:175], v[172:173]
	v_div_scale_f64 v[176:177], vcc, v[158:159], v[156:157], v[158:159]
	v_fma_f64 v[178:179], -v[172:173], v[174:175], 1.0
	v_fmac_f64_e32 v[174:175], v[174:175], v[178:179]
	v_fma_f64 v[178:179], -v[172:173], v[174:175], 1.0
	v_fmac_f64_e32 v[174:175], v[174:175], v[178:179]
	v_mul_f64 v[178:179], v[176:177], v[174:175]
	v_fma_f64 v[172:173], -v[172:173], v[178:179], v[176:177]
	v_div_fmas_f64 v[172:173], v[172:173], v[174:175], v[178:179]
	v_div_fixup_f64 v[172:173], v[172:173], v[156:157], v[158:159]
	v_fmac_f64_e32 v[156:157], v[158:159], v[172:173]
	v_div_scale_f64 v[158:159], s[18:19], v[156:157], v[156:157], 1.0
	v_rcp_f64_e32 v[174:175], v[158:159]
	s_nop 0
	v_fma_f64 v[176:177], -v[158:159], v[174:175], 1.0
	v_fmac_f64_e32 v[174:175], v[174:175], v[176:177]
	v_fma_f64 v[176:177], -v[158:159], v[174:175], 1.0
	v_fmac_f64_e32 v[174:175], v[174:175], v[176:177]
	v_div_scale_f64 v[176:177], vcc, 1.0, v[156:157], 1.0
	v_mul_f64 v[178:179], v[176:177], v[174:175]
	v_fma_f64 v[158:159], -v[158:159], v[178:179], v[176:177]
	s_nop 1
	v_div_fmas_f64 v[158:159], v[158:159], v[174:175], v[178:179]
	v_div_fixup_f64 v[156:157], v[158:159], v[156:157], 1.0
	v_mul_f64 v[158:159], v[172:173], -v[156:157]
.LBB76_408:
	s_or_b64 exec, exec, s[16:17]
.LBB76_409:
	s_or_b64 exec, exec, s[0:1]
	v_cmp_ne_u32_e32 vcc, v169, v166
	s_and_saveexec_b64 s[0:1], vcc
	s_xor_b64 s[0:1], exec, s[0:1]
	s_cbranch_execz .LBB76_415
; %bb.410:
	v_cmp_eq_u32_e32 vcc, 19, v169
	s_and_saveexec_b64 s[16:17], vcc
	s_cbranch_execz .LBB76_414
; %bb.411:
	v_cmp_ne_u32_e32 vcc, 19, v166
	s_xor_b64 s[18:19], s[14:15], -1
	s_and_b64 s[22:23], s[18:19], vcc
	s_and_saveexec_b64 s[18:19], s[22:23]
	s_cbranch_execz .LBB76_413
; %bb.412:
	v_ashrrev_i32_e32 v167, 31, v166
	v_lshl_add_u64 v[172:173], v[166:167], 2, v[164:165]
	global_load_dword v167, v[172:173], off
	global_load_dword v169, v[164:165], off offset:76
	s_waitcnt vmcnt(1)
	global_store_dword v[164:165], v167, off offset:76
	s_waitcnt vmcnt(1)
	global_store_dword v[172:173], v169, off
.LBB76_413:
	s_or_b64 exec, exec, s[18:19]
	v_mov_b32_e32 v169, v166
	v_mov_b32_e32 v171, v166
.LBB76_414:
	s_or_b64 exec, exec, s[16:17]
.LBB76_415:
	s_andn2_saveexec_b64 s[0:1], s[0:1]
	s_cbranch_execz .LBB76_417
; %bb.416:
	v_mov_b32_e32 v169, 19
	s_waitcnt vmcnt(18)
	ds_write2_b64 v168, v[68:69], v[70:71] offset0:40 offset1:41
	s_waitcnt vmcnt(17)
	ds_write2_b64 v168, v[64:65], v[66:67] offset0:42 offset1:43
	s_waitcnt vmcnt(16)
	ds_write2_b64 v168, v[60:61], v[62:63] offset0:44 offset1:45
	s_waitcnt vmcnt(15)
	ds_write2_b64 v168, v[56:57], v[58:59] offset0:46 offset1:47
	s_waitcnt vmcnt(14)
	ds_write2_b64 v168, v[52:53], v[54:55] offset0:48 offset1:49
	s_waitcnt vmcnt(13)
	ds_write2_b64 v168, v[48:49], v[50:51] offset0:50 offset1:51
	s_waitcnt vmcnt(12)
	ds_write2_b64 v168, v[44:45], v[46:47] offset0:52 offset1:53
	s_waitcnt vmcnt(11)
	ds_write2_b64 v168, v[40:41], v[42:43] offset0:54 offset1:55
	s_waitcnt vmcnt(10)
	ds_write2_b64 v168, v[36:37], v[38:39] offset0:56 offset1:57
	s_waitcnt vmcnt(9)
	ds_write2_b64 v168, v[32:33], v[34:35] offset0:58 offset1:59
	s_waitcnt vmcnt(8)
	ds_write2_b64 v168, v[28:29], v[30:31] offset0:60 offset1:61
	s_waitcnt vmcnt(7)
	ds_write2_b64 v168, v[24:25], v[26:27] offset0:62 offset1:63
	s_waitcnt vmcnt(6)
	ds_write2_b64 v168, v[20:21], v[22:23] offset0:64 offset1:65
	s_waitcnt vmcnt(5)
	ds_write2_b64 v168, v[16:17], v[18:19] offset0:66 offset1:67
	s_waitcnt vmcnt(4)
	ds_write2_b64 v168, v[12:13], v[14:15] offset0:68 offset1:69
	s_waitcnt vmcnt(3)
	ds_write2_b64 v168, v[8:9], v[10:11] offset0:70 offset1:71
	s_waitcnt vmcnt(2)
	ds_write2_b64 v168, v[4:5], v[6:7] offset0:72 offset1:73
	s_waitcnt vmcnt(1)
	ds_write2_b64 v168, v[0:1], v[2:3] offset0:74 offset1:75
	s_waitcnt vmcnt(0)
	ds_write2_b64 v168, v[152:153], v[154:155] offset0:76 offset1:77
.LBB76_417:
	s_or_b64 exec, exec, s[0:1]
	v_cmp_lt_i32_e32 vcc, 19, v169
	s_waitcnt lgkmcnt(0)
	s_barrier
	s_and_saveexec_b64 s[0:1], vcc
	s_cbranch_execz .LBB76_419
; %bb.418:
	ds_read2_b64 v[172:175], v168 offset0:40 offset1:41
	v_mul_f64 v[166:167], v[158:159], v[74:75]
	v_mul_f64 v[74:75], v[156:157], v[74:75]
	v_fmac_f64_e32 v[74:75], v[158:159], v[72:73]
	v_fma_f64 v[166:167], v[156:157], v[72:73], -v[166:167]
	ds_read2_b64 v[156:159], v168 offset0:42 offset1:43
	s_waitcnt lgkmcnt(1)
	v_mul_f64 v[72:73], v[174:175], v[74:75]
	v_fma_f64 v[72:73], v[172:173], v[166:167], -v[72:73]
	v_mul_f64 v[172:173], v[172:173], v[74:75]
	v_fmac_f64_e32 v[172:173], v[174:175], v[166:167]
	s_waitcnt vmcnt(18)
	v_add_f64 v[70:71], v[70:71], -v[172:173]
	ds_read2_b64 v[172:175], v168 offset0:44 offset1:45
	v_add_f64 v[68:69], v[68:69], -v[72:73]
	s_waitcnt lgkmcnt(1)
	v_mul_f64 v[72:73], v[158:159], v[74:75]
	v_fma_f64 v[72:73], v[156:157], v[166:167], -v[72:73]
	v_mul_f64 v[156:157], v[156:157], v[74:75]
	v_fmac_f64_e32 v[156:157], v[158:159], v[166:167]
	s_waitcnt vmcnt(17)
	v_add_f64 v[64:65], v[64:65], -v[72:73]
	v_add_f64 v[66:67], v[66:67], -v[156:157]
	ds_read2_b64 v[156:159], v168 offset0:46 offset1:47
	s_waitcnt lgkmcnt(1)
	v_mul_f64 v[72:73], v[174:175], v[74:75]
	v_fma_f64 v[72:73], v[172:173], v[166:167], -v[72:73]
	v_mul_f64 v[172:173], v[172:173], v[74:75]
	v_fmac_f64_e32 v[172:173], v[174:175], v[166:167]
	s_waitcnt vmcnt(16)
	v_add_f64 v[62:63], v[62:63], -v[172:173]
	ds_read2_b64 v[172:175], v168 offset0:48 offset1:49
	v_add_f64 v[60:61], v[60:61], -v[72:73]
	s_waitcnt lgkmcnt(1)
	v_mul_f64 v[72:73], v[158:159], v[74:75]
	v_fma_f64 v[72:73], v[156:157], v[166:167], -v[72:73]
	v_mul_f64 v[156:157], v[156:157], v[74:75]
	v_fmac_f64_e32 v[156:157], v[158:159], v[166:167]
	s_waitcnt vmcnt(15)
	v_add_f64 v[56:57], v[56:57], -v[72:73]
	v_add_f64 v[58:59], v[58:59], -v[156:157]
	ds_read2_b64 v[156:159], v168 offset0:50 offset1:51
	s_waitcnt lgkmcnt(1)
	v_mul_f64 v[72:73], v[174:175], v[74:75]
	v_fma_f64 v[72:73], v[172:173], v[166:167], -v[72:73]
	v_mul_f64 v[172:173], v[172:173], v[74:75]
	v_fmac_f64_e32 v[172:173], v[174:175], v[166:167]
	s_waitcnt vmcnt(14)
	v_add_f64 v[54:55], v[54:55], -v[172:173]
	ds_read2_b64 v[172:175], v168 offset0:52 offset1:53
	v_add_f64 v[52:53], v[52:53], -v[72:73]
	s_waitcnt lgkmcnt(1)
	v_mul_f64 v[72:73], v[158:159], v[74:75]
	v_fma_f64 v[72:73], v[156:157], v[166:167], -v[72:73]
	v_mul_f64 v[156:157], v[156:157], v[74:75]
	v_fmac_f64_e32 v[156:157], v[158:159], v[166:167]
	s_waitcnt vmcnt(13)
	v_add_f64 v[48:49], v[48:49], -v[72:73]
	v_add_f64 v[50:51], v[50:51], -v[156:157]
	ds_read2_b64 v[156:159], v168 offset0:54 offset1:55
	s_waitcnt lgkmcnt(1)
	v_mul_f64 v[72:73], v[174:175], v[74:75]
	v_fma_f64 v[72:73], v[172:173], v[166:167], -v[72:73]
	v_mul_f64 v[172:173], v[172:173], v[74:75]
	v_fmac_f64_e32 v[172:173], v[174:175], v[166:167]
	s_waitcnt vmcnt(12)
	v_add_f64 v[46:47], v[46:47], -v[172:173]
	ds_read2_b64 v[172:175], v168 offset0:56 offset1:57
	v_add_f64 v[44:45], v[44:45], -v[72:73]
	s_waitcnt lgkmcnt(1)
	v_mul_f64 v[72:73], v[158:159], v[74:75]
	v_fma_f64 v[72:73], v[156:157], v[166:167], -v[72:73]
	v_mul_f64 v[156:157], v[156:157], v[74:75]
	v_fmac_f64_e32 v[156:157], v[158:159], v[166:167]
	s_waitcnt vmcnt(11)
	v_add_f64 v[40:41], v[40:41], -v[72:73]
	v_add_f64 v[42:43], v[42:43], -v[156:157]
	ds_read2_b64 v[156:159], v168 offset0:58 offset1:59
	s_waitcnt lgkmcnt(1)
	v_mul_f64 v[72:73], v[174:175], v[74:75]
	v_fma_f64 v[72:73], v[172:173], v[166:167], -v[72:73]
	v_mul_f64 v[172:173], v[172:173], v[74:75]
	v_fmac_f64_e32 v[172:173], v[174:175], v[166:167]
	s_waitcnt vmcnt(10)
	v_add_f64 v[38:39], v[38:39], -v[172:173]
	ds_read2_b64 v[172:175], v168 offset0:60 offset1:61
	v_add_f64 v[36:37], v[36:37], -v[72:73]
	s_waitcnt lgkmcnt(1)
	v_mul_f64 v[72:73], v[158:159], v[74:75]
	v_fma_f64 v[72:73], v[156:157], v[166:167], -v[72:73]
	v_mul_f64 v[156:157], v[156:157], v[74:75]
	v_fmac_f64_e32 v[156:157], v[158:159], v[166:167]
	s_waitcnt vmcnt(9)
	v_add_f64 v[32:33], v[32:33], -v[72:73]
	v_add_f64 v[34:35], v[34:35], -v[156:157]
	ds_read2_b64 v[156:159], v168 offset0:62 offset1:63
	s_waitcnt lgkmcnt(1)
	v_mul_f64 v[72:73], v[174:175], v[74:75]
	v_fma_f64 v[72:73], v[172:173], v[166:167], -v[72:73]
	v_mul_f64 v[172:173], v[172:173], v[74:75]
	v_fmac_f64_e32 v[172:173], v[174:175], v[166:167]
	s_waitcnt vmcnt(8)
	v_add_f64 v[30:31], v[30:31], -v[172:173]
	ds_read2_b64 v[172:175], v168 offset0:64 offset1:65
	v_add_f64 v[28:29], v[28:29], -v[72:73]
	s_waitcnt lgkmcnt(1)
	v_mul_f64 v[72:73], v[158:159], v[74:75]
	v_fma_f64 v[72:73], v[156:157], v[166:167], -v[72:73]
	v_mul_f64 v[156:157], v[156:157], v[74:75]
	v_fmac_f64_e32 v[156:157], v[158:159], v[166:167]
	s_waitcnt vmcnt(7)
	v_add_f64 v[24:25], v[24:25], -v[72:73]
	v_add_f64 v[26:27], v[26:27], -v[156:157]
	ds_read2_b64 v[156:159], v168 offset0:66 offset1:67
	s_waitcnt lgkmcnt(1)
	v_mul_f64 v[72:73], v[174:175], v[74:75]
	v_fma_f64 v[72:73], v[172:173], v[166:167], -v[72:73]
	v_mul_f64 v[172:173], v[172:173], v[74:75]
	v_fmac_f64_e32 v[172:173], v[174:175], v[166:167]
	s_waitcnt vmcnt(6)
	v_add_f64 v[22:23], v[22:23], -v[172:173]
	ds_read2_b64 v[172:175], v168 offset0:68 offset1:69
	v_add_f64 v[20:21], v[20:21], -v[72:73]
	s_waitcnt lgkmcnt(1)
	v_mul_f64 v[72:73], v[158:159], v[74:75]
	v_fma_f64 v[72:73], v[156:157], v[166:167], -v[72:73]
	v_mul_f64 v[156:157], v[156:157], v[74:75]
	v_fmac_f64_e32 v[156:157], v[158:159], v[166:167]
	s_waitcnt vmcnt(5)
	v_add_f64 v[16:17], v[16:17], -v[72:73]
	v_add_f64 v[18:19], v[18:19], -v[156:157]
	ds_read2_b64 v[156:159], v168 offset0:70 offset1:71
	s_waitcnt lgkmcnt(1)
	v_mul_f64 v[72:73], v[174:175], v[74:75]
	v_fma_f64 v[72:73], v[172:173], v[166:167], -v[72:73]
	v_mul_f64 v[172:173], v[172:173], v[74:75]
	v_fmac_f64_e32 v[172:173], v[174:175], v[166:167]
	s_waitcnt vmcnt(4)
	v_add_f64 v[14:15], v[14:15], -v[172:173]
	ds_read2_b64 v[172:175], v168 offset0:72 offset1:73
	v_add_f64 v[12:13], v[12:13], -v[72:73]
	s_waitcnt lgkmcnt(1)
	v_mul_f64 v[72:73], v[158:159], v[74:75]
	v_fma_f64 v[72:73], v[156:157], v[166:167], -v[72:73]
	v_mul_f64 v[156:157], v[156:157], v[74:75]
	v_fmac_f64_e32 v[156:157], v[158:159], v[166:167]
	s_waitcnt vmcnt(3)
	v_add_f64 v[8:9], v[8:9], -v[72:73]
	v_add_f64 v[10:11], v[10:11], -v[156:157]
	ds_read2_b64 v[156:159], v168 offset0:74 offset1:75
	s_waitcnt lgkmcnt(1)
	v_mul_f64 v[72:73], v[174:175], v[74:75]
	v_fma_f64 v[72:73], v[172:173], v[166:167], -v[72:73]
	v_mul_f64 v[172:173], v[172:173], v[74:75]
	v_fmac_f64_e32 v[172:173], v[174:175], v[166:167]
	s_waitcnt vmcnt(2)
	v_add_f64 v[6:7], v[6:7], -v[172:173]
	ds_read2_b64 v[172:175], v168 offset0:76 offset1:77
	v_add_f64 v[4:5], v[4:5], -v[72:73]
	s_waitcnt lgkmcnt(1)
	v_mul_f64 v[72:73], v[158:159], v[74:75]
	v_fma_f64 v[72:73], v[156:157], v[166:167], -v[72:73]
	v_mul_f64 v[156:157], v[156:157], v[74:75]
	v_fmac_f64_e32 v[156:157], v[158:159], v[166:167]
	s_waitcnt vmcnt(1)
	v_add_f64 v[0:1], v[0:1], -v[72:73]
	v_add_f64 v[2:3], v[2:3], -v[156:157]
	s_waitcnt lgkmcnt(0)
	v_mul_f64 v[72:73], v[174:175], v[74:75]
	v_mul_f64 v[156:157], v[172:173], v[74:75]
	v_fma_f64 v[72:73], v[172:173], v[166:167], -v[72:73]
	v_fmac_f64_e32 v[156:157], v[174:175], v[166:167]
	s_waitcnt vmcnt(0)
	v_add_f64 v[152:153], v[152:153], -v[72:73]
	v_add_f64 v[154:155], v[154:155], -v[156:157]
	v_mov_b64_e32 v[72:73], v[166:167]
.LBB76_419:
	s_or_b64 exec, exec, s[0:1]
	v_lshl_add_u32 v156, v169, 4, v168
	s_barrier
	s_waitcnt vmcnt(18)
	ds_write2_b64 v156, v[68:69], v[70:71] offset1:1
	s_waitcnt lgkmcnt(0)
	s_barrier
	ds_read2_b64 v[156:159], v168 offset0:40 offset1:41
	s_cmp_lt_i32 s20, 22
	v_mov_b32_e32 v166, 20
	s_cbranch_scc1 .LBB76_422
; %bb.420:
	v_add_u32_e32 v167, 0x150, v168
	s_mov_b32 s16, 21
	v_mov_b32_e32 v166, 20
.LBB76_421:                             ; =>This Inner Loop Header: Depth=1
	ds_read2_b64 v[172:175], v167 offset1:1
	s_waitcnt lgkmcnt(1)
	v_xor_b32_e32 v177, 0x80000000, v157
	v_xor_b32_e32 v179, 0x80000000, v159
	v_cmp_gt_f64_e32 vcc, 0, v[158:159]
	v_cmp_gt_f64_e64 s[0:1], 0, v[156:157]
	v_mov_b32_e32 v176, v156
	v_mov_b32_e32 v178, v158
	v_cndmask_b32_e64 v177, v157, v177, s[0:1]
	v_cndmask_b32_e32 v179, v159, v179, vcc
	v_add_f64 v[176:177], v[176:177], v[178:179]
	s_waitcnt lgkmcnt(0)
	v_xor_b32_e32 v179, 0x80000000, v173
	v_xor_b32_e32 v181, 0x80000000, v175
	v_cmp_gt_f64_e32 vcc, 0, v[174:175]
	v_cmp_gt_f64_e64 s[0:1], 0, v[172:173]
	v_mov_b32_e32 v178, v172
	v_mov_b32_e32 v180, v174
	v_cndmask_b32_e64 v179, v173, v179, s[0:1]
	v_cndmask_b32_e32 v181, v175, v181, vcc
	v_add_f64 v[178:179], v[178:179], v[180:181]
	v_mov_b32_e32 v182, s16
	s_add_i32 s16, s16, 1
	v_cmp_lt_f64_e32 vcc, v[176:177], v[178:179]
	v_add_u32_e32 v167, 16, v167
	s_cmp_lg_u32 s20, s16
	v_cndmask_b32_e32 v157, v157, v173, vcc
	v_cndmask_b32_e32 v156, v156, v172, vcc
	;; [unrolled: 1-line block ×5, first 2 shown]
	s_cbranch_scc1 .LBB76_421
.LBB76_422:
	s_waitcnt lgkmcnt(0)
	v_cmp_eq_f64_e32 vcc, 0, v[156:157]
	v_cmp_eq_f64_e64 s[0:1], 0, v[158:159]
	s_and_b64 s[0:1], vcc, s[0:1]
	s_and_saveexec_b64 s[16:17], s[0:1]
	s_xor_b64 s[0:1], exec, s[16:17]
; %bb.423:
	v_cmp_ne_u32_e32 vcc, 0, v170
	s_nop 1
	v_cndmask_b32_e32 v170, 21, v170, vcc
; %bb.424:
	s_andn2_saveexec_b64 s[0:1], s[0:1]
	s_cbranch_execz .LBB76_430
; %bb.425:
	v_cmp_ngt_f64_e64 s[16:17], |v[156:157]|, |v[158:159]|
	s_and_saveexec_b64 s[18:19], s[16:17]
	s_xor_b64 s[16:17], exec, s[18:19]
	s_cbranch_execz .LBB76_427
; %bb.426:
	v_div_scale_f64 v[172:173], s[18:19], v[158:159], v[158:159], v[156:157]
	v_rcp_f64_e32 v[174:175], v[172:173]
	v_div_scale_f64 v[176:177], vcc, v[156:157], v[158:159], v[156:157]
	v_fma_f64 v[178:179], -v[172:173], v[174:175], 1.0
	v_fmac_f64_e32 v[174:175], v[174:175], v[178:179]
	v_fma_f64 v[178:179], -v[172:173], v[174:175], 1.0
	v_fmac_f64_e32 v[174:175], v[174:175], v[178:179]
	v_mul_f64 v[178:179], v[176:177], v[174:175]
	v_fma_f64 v[172:173], -v[172:173], v[178:179], v[176:177]
	v_div_fmas_f64 v[172:173], v[172:173], v[174:175], v[178:179]
	v_div_fixup_f64 v[172:173], v[172:173], v[158:159], v[156:157]
	v_fmac_f64_e32 v[158:159], v[156:157], v[172:173]
	v_div_scale_f64 v[156:157], s[18:19], v[158:159], v[158:159], 1.0
	v_rcp_f64_e32 v[174:175], v[156:157]
	s_nop 0
	v_fma_f64 v[176:177], -v[156:157], v[174:175], 1.0
	v_fmac_f64_e32 v[174:175], v[174:175], v[176:177]
	v_fma_f64 v[176:177], -v[156:157], v[174:175], 1.0
	v_fmac_f64_e32 v[174:175], v[174:175], v[176:177]
	v_div_scale_f64 v[176:177], vcc, 1.0, v[158:159], 1.0
	v_mul_f64 v[178:179], v[176:177], v[174:175]
	v_fma_f64 v[156:157], -v[156:157], v[178:179], v[176:177]
	s_nop 1
	v_div_fmas_f64 v[156:157], v[156:157], v[174:175], v[178:179]
	v_div_fixup_f64 v[158:159], v[156:157], v[158:159], 1.0
	v_mul_f64 v[156:157], v[172:173], v[158:159]
	v_xor_b32_e32 v159, 0x80000000, v159
.LBB76_427:
	s_andn2_saveexec_b64 s[16:17], s[16:17]
	s_cbranch_execz .LBB76_429
; %bb.428:
	v_div_scale_f64 v[172:173], s[18:19], v[156:157], v[156:157], v[158:159]
	v_rcp_f64_e32 v[174:175], v[172:173]
	v_div_scale_f64 v[176:177], vcc, v[158:159], v[156:157], v[158:159]
	v_fma_f64 v[178:179], -v[172:173], v[174:175], 1.0
	v_fmac_f64_e32 v[174:175], v[174:175], v[178:179]
	v_fma_f64 v[178:179], -v[172:173], v[174:175], 1.0
	v_fmac_f64_e32 v[174:175], v[174:175], v[178:179]
	v_mul_f64 v[178:179], v[176:177], v[174:175]
	v_fma_f64 v[172:173], -v[172:173], v[178:179], v[176:177]
	v_div_fmas_f64 v[172:173], v[172:173], v[174:175], v[178:179]
	v_div_fixup_f64 v[172:173], v[172:173], v[156:157], v[158:159]
	v_fmac_f64_e32 v[156:157], v[158:159], v[172:173]
	v_div_scale_f64 v[158:159], s[18:19], v[156:157], v[156:157], 1.0
	v_rcp_f64_e32 v[174:175], v[158:159]
	s_nop 0
	v_fma_f64 v[176:177], -v[158:159], v[174:175], 1.0
	v_fmac_f64_e32 v[174:175], v[174:175], v[176:177]
	v_fma_f64 v[176:177], -v[158:159], v[174:175], 1.0
	v_fmac_f64_e32 v[174:175], v[174:175], v[176:177]
	v_div_scale_f64 v[176:177], vcc, 1.0, v[156:157], 1.0
	v_mul_f64 v[178:179], v[176:177], v[174:175]
	v_fma_f64 v[158:159], -v[158:159], v[178:179], v[176:177]
	s_nop 1
	v_div_fmas_f64 v[158:159], v[158:159], v[174:175], v[178:179]
	v_div_fixup_f64 v[156:157], v[158:159], v[156:157], 1.0
	v_mul_f64 v[158:159], v[172:173], -v[156:157]
.LBB76_429:
	s_or_b64 exec, exec, s[16:17]
.LBB76_430:
	s_or_b64 exec, exec, s[0:1]
	v_cmp_ne_u32_e32 vcc, v169, v166
	s_and_saveexec_b64 s[0:1], vcc
	s_xor_b64 s[0:1], exec, s[0:1]
	s_cbranch_execz .LBB76_436
; %bb.431:
	v_cmp_eq_u32_e32 vcc, 20, v169
	s_and_saveexec_b64 s[16:17], vcc
	s_cbranch_execz .LBB76_435
; %bb.432:
	v_cmp_ne_u32_e32 vcc, 20, v166
	s_xor_b64 s[18:19], s[14:15], -1
	s_and_b64 s[22:23], s[18:19], vcc
	s_and_saveexec_b64 s[18:19], s[22:23]
	s_cbranch_execz .LBB76_434
; %bb.433:
	v_ashrrev_i32_e32 v167, 31, v166
	v_lshl_add_u64 v[172:173], v[166:167], 2, v[164:165]
	global_load_dword v167, v[172:173], off
	global_load_dword v169, v[164:165], off offset:80
	s_waitcnt vmcnt(1)
	global_store_dword v[164:165], v167, off offset:80
	s_waitcnt vmcnt(1)
	global_store_dword v[172:173], v169, off
.LBB76_434:
	s_or_b64 exec, exec, s[18:19]
	v_mov_b32_e32 v169, v166
	v_mov_b32_e32 v171, v166
.LBB76_435:
	s_or_b64 exec, exec, s[16:17]
.LBB76_436:
	s_andn2_saveexec_b64 s[0:1], s[0:1]
	s_cbranch_execz .LBB76_438
; %bb.437:
	v_mov_b32_e32 v169, 20
	s_waitcnt vmcnt(17)
	ds_write2_b64 v168, v[64:65], v[66:67] offset0:42 offset1:43
	s_waitcnt vmcnt(16)
	ds_write2_b64 v168, v[60:61], v[62:63] offset0:44 offset1:45
	;; [unrolled: 2-line block ×18, first 2 shown]
.LBB76_438:
	s_or_b64 exec, exec, s[0:1]
	v_cmp_lt_i32_e32 vcc, 20, v169
	s_waitcnt lgkmcnt(0)
	s_barrier
	s_and_saveexec_b64 s[0:1], vcc
	s_cbranch_execz .LBB76_440
; %bb.439:
	ds_read2_b64 v[172:175], v168 offset0:42 offset1:43
	v_mul_f64 v[166:167], v[158:159], v[70:71]
	v_mul_f64 v[70:71], v[156:157], v[70:71]
	v_fma_f64 v[166:167], v[156:157], v[68:69], -v[166:167]
	v_fmac_f64_e32 v[70:71], v[158:159], v[68:69]
	ds_read2_b64 v[156:159], v168 offset0:44 offset1:45
	s_waitcnt lgkmcnt(1)
	v_mul_f64 v[68:69], v[174:175], v[70:71]
	v_fma_f64 v[68:69], v[172:173], v[166:167], -v[68:69]
	v_mul_f64 v[172:173], v[172:173], v[70:71]
	v_fmac_f64_e32 v[172:173], v[174:175], v[166:167]
	s_waitcnt vmcnt(17)
	v_add_f64 v[64:65], v[64:65], -v[68:69]
	s_waitcnt lgkmcnt(0)
	v_mul_f64 v[68:69], v[158:159], v[70:71]
	v_add_f64 v[66:67], v[66:67], -v[172:173]
	v_fma_f64 v[68:69], v[156:157], v[166:167], -v[68:69]
	v_mul_f64 v[156:157], v[156:157], v[70:71]
	ds_read2_b64 v[172:175], v168 offset0:46 offset1:47
	v_fmac_f64_e32 v[156:157], v[158:159], v[166:167]
	s_waitcnt vmcnt(16)
	v_add_f64 v[62:63], v[62:63], -v[156:157]
	ds_read2_b64 v[156:159], v168 offset0:48 offset1:49
	v_add_f64 v[60:61], v[60:61], -v[68:69]
	s_waitcnt lgkmcnt(1)
	v_mul_f64 v[68:69], v[174:175], v[70:71]
	v_fma_f64 v[68:69], v[172:173], v[166:167], -v[68:69]
	v_mul_f64 v[172:173], v[172:173], v[70:71]
	v_fmac_f64_e32 v[172:173], v[174:175], v[166:167]
	s_waitcnt vmcnt(15)
	v_add_f64 v[56:57], v[56:57], -v[68:69]
	s_waitcnt lgkmcnt(0)
	v_mul_f64 v[68:69], v[158:159], v[70:71]
	v_add_f64 v[58:59], v[58:59], -v[172:173]
	v_fma_f64 v[68:69], v[156:157], v[166:167], -v[68:69]
	v_mul_f64 v[156:157], v[156:157], v[70:71]
	ds_read2_b64 v[172:175], v168 offset0:50 offset1:51
	v_fmac_f64_e32 v[156:157], v[158:159], v[166:167]
	s_waitcnt vmcnt(14)
	v_add_f64 v[54:55], v[54:55], -v[156:157]
	ds_read2_b64 v[156:159], v168 offset0:52 offset1:53
	v_add_f64 v[52:53], v[52:53], -v[68:69]
	;; [unrolled: 18-line block ×8, first 2 shown]
	s_waitcnt lgkmcnt(1)
	v_mul_f64 v[68:69], v[174:175], v[70:71]
	v_fma_f64 v[68:69], v[172:173], v[166:167], -v[68:69]
	s_waitcnt vmcnt(1)
	v_add_f64 v[0:1], v[0:1], -v[68:69]
	s_waitcnt lgkmcnt(0)
	v_mul_f64 v[68:69], v[158:159], v[70:71]
	v_mul_f64 v[172:173], v[172:173], v[70:71]
	v_fma_f64 v[68:69], v[156:157], v[166:167], -v[68:69]
	v_mul_f64 v[156:157], v[156:157], v[70:71]
	v_fmac_f64_e32 v[172:173], v[174:175], v[166:167]
	v_fmac_f64_e32 v[156:157], v[158:159], v[166:167]
	v_add_f64 v[2:3], v[2:3], -v[172:173]
	s_waitcnt vmcnt(0)
	v_add_f64 v[152:153], v[152:153], -v[68:69]
	v_add_f64 v[154:155], v[154:155], -v[156:157]
	v_mov_b64_e32 v[68:69], v[166:167]
.LBB76_440:
	s_or_b64 exec, exec, s[0:1]
	v_lshl_add_u32 v156, v169, 4, v168
	s_barrier
	s_waitcnt vmcnt(17)
	ds_write2_b64 v156, v[64:65], v[66:67] offset1:1
	s_waitcnt lgkmcnt(0)
	s_barrier
	ds_read2_b64 v[156:159], v168 offset0:42 offset1:43
	s_cmp_lt_i32 s20, 23
	v_mov_b32_e32 v166, 21
	s_cbranch_scc1 .LBB76_443
; %bb.441:
	v_add_u32_e32 v167, 0x160, v168
	s_mov_b32 s16, 22
	v_mov_b32_e32 v166, 21
.LBB76_442:                             ; =>This Inner Loop Header: Depth=1
	ds_read2_b64 v[172:175], v167 offset1:1
	s_waitcnt lgkmcnt(1)
	v_xor_b32_e32 v177, 0x80000000, v157
	v_xor_b32_e32 v179, 0x80000000, v159
	v_cmp_gt_f64_e32 vcc, 0, v[158:159]
	v_cmp_gt_f64_e64 s[0:1], 0, v[156:157]
	v_mov_b32_e32 v176, v156
	v_mov_b32_e32 v178, v158
	v_cndmask_b32_e64 v177, v157, v177, s[0:1]
	v_cndmask_b32_e32 v179, v159, v179, vcc
	v_add_f64 v[176:177], v[176:177], v[178:179]
	s_waitcnt lgkmcnt(0)
	v_xor_b32_e32 v179, 0x80000000, v173
	v_xor_b32_e32 v181, 0x80000000, v175
	v_cmp_gt_f64_e32 vcc, 0, v[174:175]
	v_cmp_gt_f64_e64 s[0:1], 0, v[172:173]
	v_mov_b32_e32 v178, v172
	v_mov_b32_e32 v180, v174
	v_cndmask_b32_e64 v179, v173, v179, s[0:1]
	v_cndmask_b32_e32 v181, v175, v181, vcc
	v_add_f64 v[178:179], v[178:179], v[180:181]
	v_mov_b32_e32 v182, s16
	s_add_i32 s16, s16, 1
	v_cmp_lt_f64_e32 vcc, v[176:177], v[178:179]
	v_add_u32_e32 v167, 16, v167
	s_cmp_lg_u32 s20, s16
	v_cndmask_b32_e32 v157, v157, v173, vcc
	v_cndmask_b32_e32 v156, v156, v172, vcc
	;; [unrolled: 1-line block ×5, first 2 shown]
	s_cbranch_scc1 .LBB76_442
.LBB76_443:
	s_waitcnt lgkmcnt(0)
	v_cmp_eq_f64_e32 vcc, 0, v[156:157]
	v_cmp_eq_f64_e64 s[0:1], 0, v[158:159]
	s_and_b64 s[0:1], vcc, s[0:1]
	s_and_saveexec_b64 s[16:17], s[0:1]
	s_xor_b64 s[0:1], exec, s[16:17]
; %bb.444:
	v_cmp_ne_u32_e32 vcc, 0, v170
	s_nop 1
	v_cndmask_b32_e32 v170, 22, v170, vcc
; %bb.445:
	s_andn2_saveexec_b64 s[0:1], s[0:1]
	s_cbranch_execz .LBB76_451
; %bb.446:
	v_cmp_ngt_f64_e64 s[16:17], |v[156:157]|, |v[158:159]|
	s_and_saveexec_b64 s[18:19], s[16:17]
	s_xor_b64 s[16:17], exec, s[18:19]
	s_cbranch_execz .LBB76_448
; %bb.447:
	v_div_scale_f64 v[172:173], s[18:19], v[158:159], v[158:159], v[156:157]
	v_rcp_f64_e32 v[174:175], v[172:173]
	v_div_scale_f64 v[176:177], vcc, v[156:157], v[158:159], v[156:157]
	v_fma_f64 v[178:179], -v[172:173], v[174:175], 1.0
	v_fmac_f64_e32 v[174:175], v[174:175], v[178:179]
	v_fma_f64 v[178:179], -v[172:173], v[174:175], 1.0
	v_fmac_f64_e32 v[174:175], v[174:175], v[178:179]
	v_mul_f64 v[178:179], v[176:177], v[174:175]
	v_fma_f64 v[172:173], -v[172:173], v[178:179], v[176:177]
	v_div_fmas_f64 v[172:173], v[172:173], v[174:175], v[178:179]
	v_div_fixup_f64 v[172:173], v[172:173], v[158:159], v[156:157]
	v_fmac_f64_e32 v[158:159], v[156:157], v[172:173]
	v_div_scale_f64 v[156:157], s[18:19], v[158:159], v[158:159], 1.0
	v_rcp_f64_e32 v[174:175], v[156:157]
	s_nop 0
	v_fma_f64 v[176:177], -v[156:157], v[174:175], 1.0
	v_fmac_f64_e32 v[174:175], v[174:175], v[176:177]
	v_fma_f64 v[176:177], -v[156:157], v[174:175], 1.0
	v_fmac_f64_e32 v[174:175], v[174:175], v[176:177]
	v_div_scale_f64 v[176:177], vcc, 1.0, v[158:159], 1.0
	v_mul_f64 v[178:179], v[176:177], v[174:175]
	v_fma_f64 v[156:157], -v[156:157], v[178:179], v[176:177]
	s_nop 1
	v_div_fmas_f64 v[156:157], v[156:157], v[174:175], v[178:179]
	v_div_fixup_f64 v[158:159], v[156:157], v[158:159], 1.0
	v_mul_f64 v[156:157], v[172:173], v[158:159]
	v_xor_b32_e32 v159, 0x80000000, v159
.LBB76_448:
	s_andn2_saveexec_b64 s[16:17], s[16:17]
	s_cbranch_execz .LBB76_450
; %bb.449:
	v_div_scale_f64 v[172:173], s[18:19], v[156:157], v[156:157], v[158:159]
	v_rcp_f64_e32 v[174:175], v[172:173]
	v_div_scale_f64 v[176:177], vcc, v[158:159], v[156:157], v[158:159]
	v_fma_f64 v[178:179], -v[172:173], v[174:175], 1.0
	v_fmac_f64_e32 v[174:175], v[174:175], v[178:179]
	v_fma_f64 v[178:179], -v[172:173], v[174:175], 1.0
	v_fmac_f64_e32 v[174:175], v[174:175], v[178:179]
	v_mul_f64 v[178:179], v[176:177], v[174:175]
	v_fma_f64 v[172:173], -v[172:173], v[178:179], v[176:177]
	v_div_fmas_f64 v[172:173], v[172:173], v[174:175], v[178:179]
	v_div_fixup_f64 v[172:173], v[172:173], v[156:157], v[158:159]
	v_fmac_f64_e32 v[156:157], v[158:159], v[172:173]
	v_div_scale_f64 v[158:159], s[18:19], v[156:157], v[156:157], 1.0
	v_rcp_f64_e32 v[174:175], v[158:159]
	s_nop 0
	v_fma_f64 v[176:177], -v[158:159], v[174:175], 1.0
	v_fmac_f64_e32 v[174:175], v[174:175], v[176:177]
	v_fma_f64 v[176:177], -v[158:159], v[174:175], 1.0
	v_fmac_f64_e32 v[174:175], v[174:175], v[176:177]
	v_div_scale_f64 v[176:177], vcc, 1.0, v[156:157], 1.0
	v_mul_f64 v[178:179], v[176:177], v[174:175]
	v_fma_f64 v[158:159], -v[158:159], v[178:179], v[176:177]
	s_nop 1
	v_div_fmas_f64 v[158:159], v[158:159], v[174:175], v[178:179]
	v_div_fixup_f64 v[156:157], v[158:159], v[156:157], 1.0
	v_mul_f64 v[158:159], v[172:173], -v[156:157]
.LBB76_450:
	s_or_b64 exec, exec, s[16:17]
.LBB76_451:
	s_or_b64 exec, exec, s[0:1]
	v_cmp_ne_u32_e32 vcc, v169, v166
	s_and_saveexec_b64 s[0:1], vcc
	s_xor_b64 s[0:1], exec, s[0:1]
	s_cbranch_execz .LBB76_457
; %bb.452:
	v_cmp_eq_u32_e32 vcc, 21, v169
	s_and_saveexec_b64 s[16:17], vcc
	s_cbranch_execz .LBB76_456
; %bb.453:
	v_cmp_ne_u32_e32 vcc, 21, v166
	s_xor_b64 s[18:19], s[14:15], -1
	s_and_b64 s[22:23], s[18:19], vcc
	s_and_saveexec_b64 s[18:19], s[22:23]
	s_cbranch_execz .LBB76_455
; %bb.454:
	v_ashrrev_i32_e32 v167, 31, v166
	v_lshl_add_u64 v[172:173], v[166:167], 2, v[164:165]
	global_load_dword v167, v[172:173], off
	global_load_dword v169, v[164:165], off offset:84
	s_waitcnt vmcnt(1)
	global_store_dword v[164:165], v167, off offset:84
	s_waitcnt vmcnt(1)
	global_store_dword v[172:173], v169, off
.LBB76_455:
	s_or_b64 exec, exec, s[18:19]
	v_mov_b32_e32 v169, v166
	v_mov_b32_e32 v171, v166
.LBB76_456:
	s_or_b64 exec, exec, s[16:17]
.LBB76_457:
	s_andn2_saveexec_b64 s[0:1], s[0:1]
	s_cbranch_execz .LBB76_459
; %bb.458:
	v_mov_b32_e32 v169, 21
	s_waitcnt vmcnt(16)
	ds_write2_b64 v168, v[60:61], v[62:63] offset0:44 offset1:45
	s_waitcnt vmcnt(15)
	ds_write2_b64 v168, v[56:57], v[58:59] offset0:46 offset1:47
	;; [unrolled: 2-line block ×17, first 2 shown]
.LBB76_459:
	s_or_b64 exec, exec, s[0:1]
	v_cmp_lt_i32_e32 vcc, 21, v169
	s_waitcnt lgkmcnt(0)
	s_barrier
	s_and_saveexec_b64 s[0:1], vcc
	s_cbranch_execz .LBB76_461
; %bb.460:
	ds_read2_b64 v[172:175], v168 offset0:44 offset1:45
	v_mul_f64 v[166:167], v[158:159], v[66:67]
	v_mul_f64 v[66:67], v[156:157], v[66:67]
	v_fmac_f64_e32 v[66:67], v[158:159], v[64:65]
	v_fma_f64 v[166:167], v[156:157], v[64:65], -v[166:167]
	ds_read2_b64 v[156:159], v168 offset0:46 offset1:47
	s_waitcnt lgkmcnt(1)
	v_mul_f64 v[64:65], v[174:175], v[66:67]
	v_fma_f64 v[64:65], v[172:173], v[166:167], -v[64:65]
	v_mul_f64 v[172:173], v[172:173], v[66:67]
	v_fmac_f64_e32 v[172:173], v[174:175], v[166:167]
	s_waitcnt vmcnt(16)
	v_add_f64 v[62:63], v[62:63], -v[172:173]
	ds_read2_b64 v[172:175], v168 offset0:48 offset1:49
	v_add_f64 v[60:61], v[60:61], -v[64:65]
	s_waitcnt lgkmcnt(1)
	v_mul_f64 v[64:65], v[158:159], v[66:67]
	v_fma_f64 v[64:65], v[156:157], v[166:167], -v[64:65]
	v_mul_f64 v[156:157], v[156:157], v[66:67]
	v_fmac_f64_e32 v[156:157], v[158:159], v[166:167]
	s_waitcnt vmcnt(15)
	v_add_f64 v[56:57], v[56:57], -v[64:65]
	v_add_f64 v[58:59], v[58:59], -v[156:157]
	ds_read2_b64 v[156:159], v168 offset0:50 offset1:51
	s_waitcnt lgkmcnt(1)
	v_mul_f64 v[64:65], v[174:175], v[66:67]
	v_fma_f64 v[64:65], v[172:173], v[166:167], -v[64:65]
	v_mul_f64 v[172:173], v[172:173], v[66:67]
	v_fmac_f64_e32 v[172:173], v[174:175], v[166:167]
	s_waitcnt vmcnt(14)
	v_add_f64 v[54:55], v[54:55], -v[172:173]
	ds_read2_b64 v[172:175], v168 offset0:52 offset1:53
	v_add_f64 v[52:53], v[52:53], -v[64:65]
	s_waitcnt lgkmcnt(1)
	v_mul_f64 v[64:65], v[158:159], v[66:67]
	v_fma_f64 v[64:65], v[156:157], v[166:167], -v[64:65]
	v_mul_f64 v[156:157], v[156:157], v[66:67]
	v_fmac_f64_e32 v[156:157], v[158:159], v[166:167]
	s_waitcnt vmcnt(13)
	v_add_f64 v[48:49], v[48:49], -v[64:65]
	v_add_f64 v[50:51], v[50:51], -v[156:157]
	;; [unrolled: 18-line block ×8, first 2 shown]
	s_waitcnt lgkmcnt(0)
	v_mul_f64 v[64:65], v[174:175], v[66:67]
	v_mul_f64 v[156:157], v[172:173], v[66:67]
	v_fma_f64 v[64:65], v[172:173], v[166:167], -v[64:65]
	v_fmac_f64_e32 v[156:157], v[174:175], v[166:167]
	s_waitcnt vmcnt(0)
	v_add_f64 v[152:153], v[152:153], -v[64:65]
	v_add_f64 v[154:155], v[154:155], -v[156:157]
	v_mov_b64_e32 v[64:65], v[166:167]
.LBB76_461:
	s_or_b64 exec, exec, s[0:1]
	v_lshl_add_u32 v156, v169, 4, v168
	s_barrier
	s_waitcnt vmcnt(16)
	ds_write2_b64 v156, v[60:61], v[62:63] offset1:1
	s_waitcnt lgkmcnt(0)
	s_barrier
	ds_read2_b64 v[156:159], v168 offset0:44 offset1:45
	s_cmp_lt_i32 s20, 24
	v_mov_b32_e32 v166, 22
	s_cbranch_scc1 .LBB76_464
; %bb.462:
	v_add_u32_e32 v167, 0x170, v168
	s_mov_b32 s16, 23
	v_mov_b32_e32 v166, 22
.LBB76_463:                             ; =>This Inner Loop Header: Depth=1
	ds_read2_b64 v[172:175], v167 offset1:1
	s_waitcnt lgkmcnt(1)
	v_xor_b32_e32 v177, 0x80000000, v157
	v_xor_b32_e32 v179, 0x80000000, v159
	v_cmp_gt_f64_e32 vcc, 0, v[158:159]
	v_cmp_gt_f64_e64 s[0:1], 0, v[156:157]
	v_mov_b32_e32 v176, v156
	v_mov_b32_e32 v178, v158
	v_cndmask_b32_e64 v177, v157, v177, s[0:1]
	v_cndmask_b32_e32 v179, v159, v179, vcc
	v_add_f64 v[176:177], v[176:177], v[178:179]
	s_waitcnt lgkmcnt(0)
	v_xor_b32_e32 v179, 0x80000000, v173
	v_xor_b32_e32 v181, 0x80000000, v175
	v_cmp_gt_f64_e32 vcc, 0, v[174:175]
	v_cmp_gt_f64_e64 s[0:1], 0, v[172:173]
	v_mov_b32_e32 v178, v172
	v_mov_b32_e32 v180, v174
	v_cndmask_b32_e64 v179, v173, v179, s[0:1]
	v_cndmask_b32_e32 v181, v175, v181, vcc
	v_add_f64 v[178:179], v[178:179], v[180:181]
	v_mov_b32_e32 v182, s16
	s_add_i32 s16, s16, 1
	v_cmp_lt_f64_e32 vcc, v[176:177], v[178:179]
	v_add_u32_e32 v167, 16, v167
	s_cmp_lg_u32 s20, s16
	v_cndmask_b32_e32 v157, v157, v173, vcc
	v_cndmask_b32_e32 v156, v156, v172, vcc
	;; [unrolled: 1-line block ×5, first 2 shown]
	s_cbranch_scc1 .LBB76_463
.LBB76_464:
	s_waitcnt lgkmcnt(0)
	v_cmp_eq_f64_e32 vcc, 0, v[156:157]
	v_cmp_eq_f64_e64 s[0:1], 0, v[158:159]
	s_and_b64 s[0:1], vcc, s[0:1]
	s_and_saveexec_b64 s[16:17], s[0:1]
	s_xor_b64 s[0:1], exec, s[16:17]
; %bb.465:
	v_cmp_ne_u32_e32 vcc, 0, v170
	s_nop 1
	v_cndmask_b32_e32 v170, 23, v170, vcc
; %bb.466:
	s_andn2_saveexec_b64 s[0:1], s[0:1]
	s_cbranch_execz .LBB76_472
; %bb.467:
	v_cmp_ngt_f64_e64 s[16:17], |v[156:157]|, |v[158:159]|
	s_and_saveexec_b64 s[18:19], s[16:17]
	s_xor_b64 s[16:17], exec, s[18:19]
	s_cbranch_execz .LBB76_469
; %bb.468:
	v_div_scale_f64 v[172:173], s[18:19], v[158:159], v[158:159], v[156:157]
	v_rcp_f64_e32 v[174:175], v[172:173]
	v_div_scale_f64 v[176:177], vcc, v[156:157], v[158:159], v[156:157]
	v_fma_f64 v[178:179], -v[172:173], v[174:175], 1.0
	v_fmac_f64_e32 v[174:175], v[174:175], v[178:179]
	v_fma_f64 v[178:179], -v[172:173], v[174:175], 1.0
	v_fmac_f64_e32 v[174:175], v[174:175], v[178:179]
	v_mul_f64 v[178:179], v[176:177], v[174:175]
	v_fma_f64 v[172:173], -v[172:173], v[178:179], v[176:177]
	v_div_fmas_f64 v[172:173], v[172:173], v[174:175], v[178:179]
	v_div_fixup_f64 v[172:173], v[172:173], v[158:159], v[156:157]
	v_fmac_f64_e32 v[158:159], v[156:157], v[172:173]
	v_div_scale_f64 v[156:157], s[18:19], v[158:159], v[158:159], 1.0
	v_rcp_f64_e32 v[174:175], v[156:157]
	s_nop 0
	v_fma_f64 v[176:177], -v[156:157], v[174:175], 1.0
	v_fmac_f64_e32 v[174:175], v[174:175], v[176:177]
	v_fma_f64 v[176:177], -v[156:157], v[174:175], 1.0
	v_fmac_f64_e32 v[174:175], v[174:175], v[176:177]
	v_div_scale_f64 v[176:177], vcc, 1.0, v[158:159], 1.0
	v_mul_f64 v[178:179], v[176:177], v[174:175]
	v_fma_f64 v[156:157], -v[156:157], v[178:179], v[176:177]
	s_nop 1
	v_div_fmas_f64 v[156:157], v[156:157], v[174:175], v[178:179]
	v_div_fixup_f64 v[158:159], v[156:157], v[158:159], 1.0
	v_mul_f64 v[156:157], v[172:173], v[158:159]
	v_xor_b32_e32 v159, 0x80000000, v159
.LBB76_469:
	s_andn2_saveexec_b64 s[16:17], s[16:17]
	s_cbranch_execz .LBB76_471
; %bb.470:
	v_div_scale_f64 v[172:173], s[18:19], v[156:157], v[156:157], v[158:159]
	v_rcp_f64_e32 v[174:175], v[172:173]
	v_div_scale_f64 v[176:177], vcc, v[158:159], v[156:157], v[158:159]
	v_fma_f64 v[178:179], -v[172:173], v[174:175], 1.0
	v_fmac_f64_e32 v[174:175], v[174:175], v[178:179]
	v_fma_f64 v[178:179], -v[172:173], v[174:175], 1.0
	v_fmac_f64_e32 v[174:175], v[174:175], v[178:179]
	v_mul_f64 v[178:179], v[176:177], v[174:175]
	v_fma_f64 v[172:173], -v[172:173], v[178:179], v[176:177]
	v_div_fmas_f64 v[172:173], v[172:173], v[174:175], v[178:179]
	v_div_fixup_f64 v[172:173], v[172:173], v[156:157], v[158:159]
	v_fmac_f64_e32 v[156:157], v[158:159], v[172:173]
	v_div_scale_f64 v[158:159], s[18:19], v[156:157], v[156:157], 1.0
	v_rcp_f64_e32 v[174:175], v[158:159]
	s_nop 0
	v_fma_f64 v[176:177], -v[158:159], v[174:175], 1.0
	v_fmac_f64_e32 v[174:175], v[174:175], v[176:177]
	v_fma_f64 v[176:177], -v[158:159], v[174:175], 1.0
	v_fmac_f64_e32 v[174:175], v[174:175], v[176:177]
	v_div_scale_f64 v[176:177], vcc, 1.0, v[156:157], 1.0
	v_mul_f64 v[178:179], v[176:177], v[174:175]
	v_fma_f64 v[158:159], -v[158:159], v[178:179], v[176:177]
	s_nop 1
	v_div_fmas_f64 v[158:159], v[158:159], v[174:175], v[178:179]
	v_div_fixup_f64 v[156:157], v[158:159], v[156:157], 1.0
	v_mul_f64 v[158:159], v[172:173], -v[156:157]
.LBB76_471:
	s_or_b64 exec, exec, s[16:17]
.LBB76_472:
	s_or_b64 exec, exec, s[0:1]
	v_cmp_ne_u32_e32 vcc, v169, v166
	s_and_saveexec_b64 s[0:1], vcc
	s_xor_b64 s[0:1], exec, s[0:1]
	s_cbranch_execz .LBB76_478
; %bb.473:
	v_cmp_eq_u32_e32 vcc, 22, v169
	s_and_saveexec_b64 s[16:17], vcc
	s_cbranch_execz .LBB76_477
; %bb.474:
	v_cmp_ne_u32_e32 vcc, 22, v166
	s_xor_b64 s[18:19], s[14:15], -1
	s_and_b64 s[22:23], s[18:19], vcc
	s_and_saveexec_b64 s[18:19], s[22:23]
	s_cbranch_execz .LBB76_476
; %bb.475:
	v_ashrrev_i32_e32 v167, 31, v166
	v_lshl_add_u64 v[172:173], v[166:167], 2, v[164:165]
	global_load_dword v167, v[172:173], off
	global_load_dword v169, v[164:165], off offset:88
	s_waitcnt vmcnt(1)
	global_store_dword v[164:165], v167, off offset:88
	s_waitcnt vmcnt(1)
	global_store_dword v[172:173], v169, off
.LBB76_476:
	s_or_b64 exec, exec, s[18:19]
	v_mov_b32_e32 v169, v166
	v_mov_b32_e32 v171, v166
.LBB76_477:
	s_or_b64 exec, exec, s[16:17]
.LBB76_478:
	s_andn2_saveexec_b64 s[0:1], s[0:1]
	s_cbranch_execz .LBB76_480
; %bb.479:
	v_mov_b32_e32 v169, 22
	s_waitcnt vmcnt(15)
	ds_write2_b64 v168, v[56:57], v[58:59] offset0:46 offset1:47
	s_waitcnt vmcnt(14)
	ds_write2_b64 v168, v[52:53], v[54:55] offset0:48 offset1:49
	;; [unrolled: 2-line block ×16, first 2 shown]
.LBB76_480:
	s_or_b64 exec, exec, s[0:1]
	v_cmp_lt_i32_e32 vcc, 22, v169
	s_waitcnt lgkmcnt(0)
	s_barrier
	s_and_saveexec_b64 s[0:1], vcc
	s_cbranch_execz .LBB76_482
; %bb.481:
	ds_read2_b64 v[172:175], v168 offset0:46 offset1:47
	v_mul_f64 v[166:167], v[156:157], v[62:63]
	v_mul_f64 v[62:63], v[158:159], v[62:63]
	v_fmac_f64_e32 v[166:167], v[158:159], v[60:61]
	v_fma_f64 v[60:61], v[156:157], v[60:61], -v[62:63]
	ds_read2_b64 v[156:159], v168 offset0:48 offset1:49
	s_waitcnt lgkmcnt(1)
	v_mul_f64 v[62:63], v[174:175], v[166:167]
	v_fma_f64 v[62:63], v[172:173], v[60:61], -v[62:63]
	v_mul_f64 v[172:173], v[172:173], v[166:167]
	v_fmac_f64_e32 v[172:173], v[174:175], v[60:61]
	s_waitcnt vmcnt(15)
	v_add_f64 v[56:57], v[56:57], -v[62:63]
	s_waitcnt lgkmcnt(0)
	v_mul_f64 v[62:63], v[158:159], v[166:167]
	v_add_f64 v[58:59], v[58:59], -v[172:173]
	v_fma_f64 v[62:63], v[156:157], v[60:61], -v[62:63]
	v_mul_f64 v[156:157], v[156:157], v[166:167]
	ds_read2_b64 v[172:175], v168 offset0:50 offset1:51
	v_fmac_f64_e32 v[156:157], v[158:159], v[60:61]
	s_waitcnt vmcnt(14)
	v_add_f64 v[54:55], v[54:55], -v[156:157]
	ds_read2_b64 v[156:159], v168 offset0:52 offset1:53
	v_add_f64 v[52:53], v[52:53], -v[62:63]
	s_waitcnt lgkmcnt(1)
	v_mul_f64 v[62:63], v[174:175], v[166:167]
	v_fma_f64 v[62:63], v[172:173], v[60:61], -v[62:63]
	v_mul_f64 v[172:173], v[172:173], v[166:167]
	v_fmac_f64_e32 v[172:173], v[174:175], v[60:61]
	s_waitcnt vmcnt(13)
	v_add_f64 v[48:49], v[48:49], -v[62:63]
	s_waitcnt lgkmcnt(0)
	v_mul_f64 v[62:63], v[158:159], v[166:167]
	v_add_f64 v[50:51], v[50:51], -v[172:173]
	v_fma_f64 v[62:63], v[156:157], v[60:61], -v[62:63]
	v_mul_f64 v[156:157], v[156:157], v[166:167]
	ds_read2_b64 v[172:175], v168 offset0:54 offset1:55
	v_fmac_f64_e32 v[156:157], v[158:159], v[60:61]
	s_waitcnt vmcnt(12)
	v_add_f64 v[46:47], v[46:47], -v[156:157]
	ds_read2_b64 v[156:159], v168 offset0:56 offset1:57
	v_add_f64 v[44:45], v[44:45], -v[62:63]
	;; [unrolled: 18-line block ×7, first 2 shown]
	s_waitcnt lgkmcnt(1)
	v_mul_f64 v[62:63], v[174:175], v[166:167]
	v_fma_f64 v[62:63], v[172:173], v[60:61], -v[62:63]
	s_waitcnt vmcnt(1)
	v_add_f64 v[0:1], v[0:1], -v[62:63]
	s_waitcnt lgkmcnt(0)
	v_mul_f64 v[62:63], v[158:159], v[166:167]
	v_mul_f64 v[172:173], v[172:173], v[166:167]
	v_fma_f64 v[62:63], v[156:157], v[60:61], -v[62:63]
	v_mul_f64 v[156:157], v[156:157], v[166:167]
	v_fmac_f64_e32 v[172:173], v[174:175], v[60:61]
	v_fmac_f64_e32 v[156:157], v[158:159], v[60:61]
	v_add_f64 v[2:3], v[2:3], -v[172:173]
	s_waitcnt vmcnt(0)
	v_add_f64 v[152:153], v[152:153], -v[62:63]
	v_add_f64 v[154:155], v[154:155], -v[156:157]
	v_mov_b64_e32 v[62:63], v[166:167]
.LBB76_482:
	s_or_b64 exec, exec, s[0:1]
	v_lshl_add_u32 v156, v169, 4, v168
	s_barrier
	s_waitcnt vmcnt(15)
	ds_write2_b64 v156, v[56:57], v[58:59] offset1:1
	s_waitcnt lgkmcnt(0)
	s_barrier
	ds_read2_b64 v[156:159], v168 offset0:46 offset1:47
	s_cmp_lt_i32 s20, 25
	v_mov_b32_e32 v166, 23
	s_cbranch_scc1 .LBB76_485
; %bb.483:
	v_add_u32_e32 v167, 0x180, v168
	s_mov_b32 s16, 24
	v_mov_b32_e32 v166, 23
.LBB76_484:                             ; =>This Inner Loop Header: Depth=1
	ds_read2_b64 v[172:175], v167 offset1:1
	s_waitcnt lgkmcnt(1)
	v_xor_b32_e32 v177, 0x80000000, v157
	v_xor_b32_e32 v179, 0x80000000, v159
	v_cmp_gt_f64_e32 vcc, 0, v[158:159]
	v_cmp_gt_f64_e64 s[0:1], 0, v[156:157]
	v_mov_b32_e32 v176, v156
	v_mov_b32_e32 v178, v158
	v_cndmask_b32_e64 v177, v157, v177, s[0:1]
	v_cndmask_b32_e32 v179, v159, v179, vcc
	v_add_f64 v[176:177], v[176:177], v[178:179]
	s_waitcnt lgkmcnt(0)
	v_xor_b32_e32 v179, 0x80000000, v173
	v_xor_b32_e32 v181, 0x80000000, v175
	v_cmp_gt_f64_e32 vcc, 0, v[174:175]
	v_cmp_gt_f64_e64 s[0:1], 0, v[172:173]
	v_mov_b32_e32 v178, v172
	v_mov_b32_e32 v180, v174
	v_cndmask_b32_e64 v179, v173, v179, s[0:1]
	v_cndmask_b32_e32 v181, v175, v181, vcc
	v_add_f64 v[178:179], v[178:179], v[180:181]
	v_mov_b32_e32 v182, s16
	s_add_i32 s16, s16, 1
	v_cmp_lt_f64_e32 vcc, v[176:177], v[178:179]
	v_add_u32_e32 v167, 16, v167
	s_cmp_lg_u32 s20, s16
	v_cndmask_b32_e32 v157, v157, v173, vcc
	v_cndmask_b32_e32 v156, v156, v172, vcc
	;; [unrolled: 1-line block ×5, first 2 shown]
	s_cbranch_scc1 .LBB76_484
.LBB76_485:
	s_waitcnt lgkmcnt(0)
	v_cmp_eq_f64_e32 vcc, 0, v[156:157]
	v_cmp_eq_f64_e64 s[0:1], 0, v[158:159]
	s_and_b64 s[0:1], vcc, s[0:1]
	s_and_saveexec_b64 s[16:17], s[0:1]
	s_xor_b64 s[0:1], exec, s[16:17]
; %bb.486:
	v_cmp_ne_u32_e32 vcc, 0, v170
	s_nop 1
	v_cndmask_b32_e32 v170, 24, v170, vcc
; %bb.487:
	s_andn2_saveexec_b64 s[0:1], s[0:1]
	s_cbranch_execz .LBB76_493
; %bb.488:
	v_cmp_ngt_f64_e64 s[16:17], |v[156:157]|, |v[158:159]|
	s_and_saveexec_b64 s[18:19], s[16:17]
	s_xor_b64 s[16:17], exec, s[18:19]
	s_cbranch_execz .LBB76_490
; %bb.489:
	v_div_scale_f64 v[172:173], s[18:19], v[158:159], v[158:159], v[156:157]
	v_rcp_f64_e32 v[174:175], v[172:173]
	v_div_scale_f64 v[176:177], vcc, v[156:157], v[158:159], v[156:157]
	v_fma_f64 v[178:179], -v[172:173], v[174:175], 1.0
	v_fmac_f64_e32 v[174:175], v[174:175], v[178:179]
	v_fma_f64 v[178:179], -v[172:173], v[174:175], 1.0
	v_fmac_f64_e32 v[174:175], v[174:175], v[178:179]
	v_mul_f64 v[178:179], v[176:177], v[174:175]
	v_fma_f64 v[172:173], -v[172:173], v[178:179], v[176:177]
	v_div_fmas_f64 v[172:173], v[172:173], v[174:175], v[178:179]
	v_div_fixup_f64 v[172:173], v[172:173], v[158:159], v[156:157]
	v_fmac_f64_e32 v[158:159], v[156:157], v[172:173]
	v_div_scale_f64 v[156:157], s[18:19], v[158:159], v[158:159], 1.0
	v_rcp_f64_e32 v[174:175], v[156:157]
	s_nop 0
	v_fma_f64 v[176:177], -v[156:157], v[174:175], 1.0
	v_fmac_f64_e32 v[174:175], v[174:175], v[176:177]
	v_fma_f64 v[176:177], -v[156:157], v[174:175], 1.0
	v_fmac_f64_e32 v[174:175], v[174:175], v[176:177]
	v_div_scale_f64 v[176:177], vcc, 1.0, v[158:159], 1.0
	v_mul_f64 v[178:179], v[176:177], v[174:175]
	v_fma_f64 v[156:157], -v[156:157], v[178:179], v[176:177]
	s_nop 1
	v_div_fmas_f64 v[156:157], v[156:157], v[174:175], v[178:179]
	v_div_fixup_f64 v[158:159], v[156:157], v[158:159], 1.0
	v_mul_f64 v[156:157], v[172:173], v[158:159]
	v_xor_b32_e32 v159, 0x80000000, v159
.LBB76_490:
	s_andn2_saveexec_b64 s[16:17], s[16:17]
	s_cbranch_execz .LBB76_492
; %bb.491:
	v_div_scale_f64 v[172:173], s[18:19], v[156:157], v[156:157], v[158:159]
	v_rcp_f64_e32 v[174:175], v[172:173]
	v_div_scale_f64 v[176:177], vcc, v[158:159], v[156:157], v[158:159]
	v_fma_f64 v[178:179], -v[172:173], v[174:175], 1.0
	v_fmac_f64_e32 v[174:175], v[174:175], v[178:179]
	v_fma_f64 v[178:179], -v[172:173], v[174:175], 1.0
	v_fmac_f64_e32 v[174:175], v[174:175], v[178:179]
	v_mul_f64 v[178:179], v[176:177], v[174:175]
	v_fma_f64 v[172:173], -v[172:173], v[178:179], v[176:177]
	v_div_fmas_f64 v[172:173], v[172:173], v[174:175], v[178:179]
	v_div_fixup_f64 v[172:173], v[172:173], v[156:157], v[158:159]
	v_fmac_f64_e32 v[156:157], v[158:159], v[172:173]
	v_div_scale_f64 v[158:159], s[18:19], v[156:157], v[156:157], 1.0
	v_rcp_f64_e32 v[174:175], v[158:159]
	s_nop 0
	v_fma_f64 v[176:177], -v[158:159], v[174:175], 1.0
	v_fmac_f64_e32 v[174:175], v[174:175], v[176:177]
	v_fma_f64 v[176:177], -v[158:159], v[174:175], 1.0
	v_fmac_f64_e32 v[174:175], v[174:175], v[176:177]
	v_div_scale_f64 v[176:177], vcc, 1.0, v[156:157], 1.0
	v_mul_f64 v[178:179], v[176:177], v[174:175]
	v_fma_f64 v[158:159], -v[158:159], v[178:179], v[176:177]
	s_nop 1
	v_div_fmas_f64 v[158:159], v[158:159], v[174:175], v[178:179]
	v_div_fixup_f64 v[156:157], v[158:159], v[156:157], 1.0
	v_mul_f64 v[158:159], v[172:173], -v[156:157]
.LBB76_492:
	s_or_b64 exec, exec, s[16:17]
.LBB76_493:
	s_or_b64 exec, exec, s[0:1]
	v_cmp_ne_u32_e32 vcc, v169, v166
	s_and_saveexec_b64 s[0:1], vcc
	s_xor_b64 s[0:1], exec, s[0:1]
	s_cbranch_execz .LBB76_499
; %bb.494:
	v_cmp_eq_u32_e32 vcc, 23, v169
	s_and_saveexec_b64 s[16:17], vcc
	s_cbranch_execz .LBB76_498
; %bb.495:
	v_cmp_ne_u32_e32 vcc, 23, v166
	s_xor_b64 s[18:19], s[14:15], -1
	s_and_b64 s[22:23], s[18:19], vcc
	s_and_saveexec_b64 s[18:19], s[22:23]
	s_cbranch_execz .LBB76_497
; %bb.496:
	v_ashrrev_i32_e32 v167, 31, v166
	v_lshl_add_u64 v[172:173], v[166:167], 2, v[164:165]
	global_load_dword v167, v[172:173], off
	global_load_dword v169, v[164:165], off offset:92
	s_waitcnt vmcnt(1)
	global_store_dword v[164:165], v167, off offset:92
	s_waitcnt vmcnt(1)
	global_store_dword v[172:173], v169, off
.LBB76_497:
	s_or_b64 exec, exec, s[18:19]
	v_mov_b32_e32 v169, v166
	v_mov_b32_e32 v171, v166
.LBB76_498:
	s_or_b64 exec, exec, s[16:17]
.LBB76_499:
	s_andn2_saveexec_b64 s[0:1], s[0:1]
	s_cbranch_execz .LBB76_501
; %bb.500:
	v_mov_b32_e32 v169, 23
	s_waitcnt vmcnt(14)
	ds_write2_b64 v168, v[52:53], v[54:55] offset0:48 offset1:49
	s_waitcnt vmcnt(13)
	ds_write2_b64 v168, v[48:49], v[50:51] offset0:50 offset1:51
	;; [unrolled: 2-line block ×15, first 2 shown]
.LBB76_501:
	s_or_b64 exec, exec, s[0:1]
	v_cmp_lt_i32_e32 vcc, 23, v169
	s_waitcnt lgkmcnt(0)
	s_barrier
	s_and_saveexec_b64 s[0:1], vcc
	s_cbranch_execz .LBB76_503
; %bb.502:
	ds_read2_b64 v[172:175], v168 offset0:48 offset1:49
	v_mul_f64 v[166:167], v[156:157], v[58:59]
	v_fmac_f64_e32 v[166:167], v[158:159], v[56:57]
	v_mul_f64 v[58:59], v[158:159], v[58:59]
	v_fma_f64 v[56:57], v[156:157], v[56:57], -v[58:59]
	ds_read2_b64 v[156:159], v168 offset0:50 offset1:51
	s_waitcnt lgkmcnt(1)
	v_mul_f64 v[58:59], v[174:175], v[166:167]
	v_fma_f64 v[58:59], v[172:173], v[56:57], -v[58:59]
	v_mul_f64 v[172:173], v[172:173], v[166:167]
	v_fmac_f64_e32 v[172:173], v[174:175], v[56:57]
	s_waitcnt vmcnt(14)
	v_add_f64 v[54:55], v[54:55], -v[172:173]
	ds_read2_b64 v[172:175], v168 offset0:52 offset1:53
	v_add_f64 v[52:53], v[52:53], -v[58:59]
	s_waitcnt lgkmcnt(1)
	v_mul_f64 v[58:59], v[158:159], v[166:167]
	v_fma_f64 v[58:59], v[156:157], v[56:57], -v[58:59]
	v_mul_f64 v[156:157], v[156:157], v[166:167]
	v_fmac_f64_e32 v[156:157], v[158:159], v[56:57]
	s_waitcnt vmcnt(13)
	v_add_f64 v[48:49], v[48:49], -v[58:59]
	v_add_f64 v[50:51], v[50:51], -v[156:157]
	ds_read2_b64 v[156:159], v168 offset0:54 offset1:55
	s_waitcnt lgkmcnt(1)
	v_mul_f64 v[58:59], v[174:175], v[166:167]
	v_fma_f64 v[58:59], v[172:173], v[56:57], -v[58:59]
	v_mul_f64 v[172:173], v[172:173], v[166:167]
	v_fmac_f64_e32 v[172:173], v[174:175], v[56:57]
	s_waitcnt vmcnt(12)
	v_add_f64 v[46:47], v[46:47], -v[172:173]
	ds_read2_b64 v[172:175], v168 offset0:56 offset1:57
	v_add_f64 v[44:45], v[44:45], -v[58:59]
	s_waitcnt lgkmcnt(1)
	v_mul_f64 v[58:59], v[158:159], v[166:167]
	v_fma_f64 v[58:59], v[156:157], v[56:57], -v[58:59]
	v_mul_f64 v[156:157], v[156:157], v[166:167]
	v_fmac_f64_e32 v[156:157], v[158:159], v[56:57]
	s_waitcnt vmcnt(11)
	v_add_f64 v[40:41], v[40:41], -v[58:59]
	v_add_f64 v[42:43], v[42:43], -v[156:157]
	;; [unrolled: 18-line block ×7, first 2 shown]
	s_waitcnt lgkmcnt(0)
	v_mul_f64 v[58:59], v[174:175], v[166:167]
	v_mul_f64 v[156:157], v[172:173], v[166:167]
	v_fma_f64 v[58:59], v[172:173], v[56:57], -v[58:59]
	v_fmac_f64_e32 v[156:157], v[174:175], v[56:57]
	s_waitcnt vmcnt(0)
	v_add_f64 v[152:153], v[152:153], -v[58:59]
	v_add_f64 v[154:155], v[154:155], -v[156:157]
	v_mov_b64_e32 v[58:59], v[166:167]
.LBB76_503:
	s_or_b64 exec, exec, s[0:1]
	v_lshl_add_u32 v156, v169, 4, v168
	s_barrier
	s_waitcnt vmcnt(14)
	ds_write2_b64 v156, v[52:53], v[54:55] offset1:1
	s_waitcnt lgkmcnt(0)
	s_barrier
	ds_read2_b64 v[156:159], v168 offset0:48 offset1:49
	s_cmp_lt_i32 s20, 26
	v_mov_b32_e32 v166, 24
	s_cbranch_scc1 .LBB76_506
; %bb.504:
	v_add_u32_e32 v167, 0x190, v168
	s_mov_b32 s16, 25
	v_mov_b32_e32 v166, 24
.LBB76_505:                             ; =>This Inner Loop Header: Depth=1
	ds_read2_b64 v[172:175], v167 offset1:1
	s_waitcnt lgkmcnt(1)
	v_xor_b32_e32 v177, 0x80000000, v157
	v_xor_b32_e32 v179, 0x80000000, v159
	v_cmp_gt_f64_e32 vcc, 0, v[158:159]
	v_cmp_gt_f64_e64 s[0:1], 0, v[156:157]
	v_mov_b32_e32 v176, v156
	v_mov_b32_e32 v178, v158
	v_cndmask_b32_e64 v177, v157, v177, s[0:1]
	v_cndmask_b32_e32 v179, v159, v179, vcc
	v_add_f64 v[176:177], v[176:177], v[178:179]
	s_waitcnt lgkmcnt(0)
	v_xor_b32_e32 v179, 0x80000000, v173
	v_xor_b32_e32 v181, 0x80000000, v175
	v_cmp_gt_f64_e32 vcc, 0, v[174:175]
	v_cmp_gt_f64_e64 s[0:1], 0, v[172:173]
	v_mov_b32_e32 v178, v172
	v_mov_b32_e32 v180, v174
	v_cndmask_b32_e64 v179, v173, v179, s[0:1]
	v_cndmask_b32_e32 v181, v175, v181, vcc
	v_add_f64 v[178:179], v[178:179], v[180:181]
	v_mov_b32_e32 v182, s16
	s_add_i32 s16, s16, 1
	v_cmp_lt_f64_e32 vcc, v[176:177], v[178:179]
	v_add_u32_e32 v167, 16, v167
	s_cmp_lg_u32 s20, s16
	v_cndmask_b32_e32 v157, v157, v173, vcc
	v_cndmask_b32_e32 v156, v156, v172, vcc
	;; [unrolled: 1-line block ×5, first 2 shown]
	s_cbranch_scc1 .LBB76_505
.LBB76_506:
	s_waitcnt lgkmcnt(0)
	v_cmp_eq_f64_e32 vcc, 0, v[156:157]
	v_cmp_eq_f64_e64 s[0:1], 0, v[158:159]
	s_and_b64 s[0:1], vcc, s[0:1]
	s_and_saveexec_b64 s[16:17], s[0:1]
	s_xor_b64 s[0:1], exec, s[16:17]
; %bb.507:
	v_cmp_ne_u32_e32 vcc, 0, v170
	s_nop 1
	v_cndmask_b32_e32 v170, 25, v170, vcc
; %bb.508:
	s_andn2_saveexec_b64 s[0:1], s[0:1]
	s_cbranch_execz .LBB76_514
; %bb.509:
	v_cmp_ngt_f64_e64 s[16:17], |v[156:157]|, |v[158:159]|
	s_and_saveexec_b64 s[18:19], s[16:17]
	s_xor_b64 s[16:17], exec, s[18:19]
	s_cbranch_execz .LBB76_511
; %bb.510:
	v_div_scale_f64 v[172:173], s[18:19], v[158:159], v[158:159], v[156:157]
	v_rcp_f64_e32 v[174:175], v[172:173]
	v_div_scale_f64 v[176:177], vcc, v[156:157], v[158:159], v[156:157]
	v_fma_f64 v[178:179], -v[172:173], v[174:175], 1.0
	v_fmac_f64_e32 v[174:175], v[174:175], v[178:179]
	v_fma_f64 v[178:179], -v[172:173], v[174:175], 1.0
	v_fmac_f64_e32 v[174:175], v[174:175], v[178:179]
	v_mul_f64 v[178:179], v[176:177], v[174:175]
	v_fma_f64 v[172:173], -v[172:173], v[178:179], v[176:177]
	v_div_fmas_f64 v[172:173], v[172:173], v[174:175], v[178:179]
	v_div_fixup_f64 v[172:173], v[172:173], v[158:159], v[156:157]
	v_fmac_f64_e32 v[158:159], v[156:157], v[172:173]
	v_div_scale_f64 v[156:157], s[18:19], v[158:159], v[158:159], 1.0
	v_rcp_f64_e32 v[174:175], v[156:157]
	s_nop 0
	v_fma_f64 v[176:177], -v[156:157], v[174:175], 1.0
	v_fmac_f64_e32 v[174:175], v[174:175], v[176:177]
	v_fma_f64 v[176:177], -v[156:157], v[174:175], 1.0
	v_fmac_f64_e32 v[174:175], v[174:175], v[176:177]
	v_div_scale_f64 v[176:177], vcc, 1.0, v[158:159], 1.0
	v_mul_f64 v[178:179], v[176:177], v[174:175]
	v_fma_f64 v[156:157], -v[156:157], v[178:179], v[176:177]
	s_nop 1
	v_div_fmas_f64 v[156:157], v[156:157], v[174:175], v[178:179]
	v_div_fixup_f64 v[158:159], v[156:157], v[158:159], 1.0
	v_mul_f64 v[156:157], v[172:173], v[158:159]
	v_xor_b32_e32 v159, 0x80000000, v159
.LBB76_511:
	s_andn2_saveexec_b64 s[16:17], s[16:17]
	s_cbranch_execz .LBB76_513
; %bb.512:
	v_div_scale_f64 v[172:173], s[18:19], v[156:157], v[156:157], v[158:159]
	v_rcp_f64_e32 v[174:175], v[172:173]
	v_div_scale_f64 v[176:177], vcc, v[158:159], v[156:157], v[158:159]
	v_fma_f64 v[178:179], -v[172:173], v[174:175], 1.0
	v_fmac_f64_e32 v[174:175], v[174:175], v[178:179]
	v_fma_f64 v[178:179], -v[172:173], v[174:175], 1.0
	v_fmac_f64_e32 v[174:175], v[174:175], v[178:179]
	v_mul_f64 v[178:179], v[176:177], v[174:175]
	v_fma_f64 v[172:173], -v[172:173], v[178:179], v[176:177]
	v_div_fmas_f64 v[172:173], v[172:173], v[174:175], v[178:179]
	v_div_fixup_f64 v[172:173], v[172:173], v[156:157], v[158:159]
	v_fmac_f64_e32 v[156:157], v[158:159], v[172:173]
	v_div_scale_f64 v[158:159], s[18:19], v[156:157], v[156:157], 1.0
	v_rcp_f64_e32 v[174:175], v[158:159]
	s_nop 0
	v_fma_f64 v[176:177], -v[158:159], v[174:175], 1.0
	v_fmac_f64_e32 v[174:175], v[174:175], v[176:177]
	v_fma_f64 v[176:177], -v[158:159], v[174:175], 1.0
	v_fmac_f64_e32 v[174:175], v[174:175], v[176:177]
	v_div_scale_f64 v[176:177], vcc, 1.0, v[156:157], 1.0
	v_mul_f64 v[178:179], v[176:177], v[174:175]
	v_fma_f64 v[158:159], -v[158:159], v[178:179], v[176:177]
	s_nop 1
	v_div_fmas_f64 v[158:159], v[158:159], v[174:175], v[178:179]
	v_div_fixup_f64 v[156:157], v[158:159], v[156:157], 1.0
	v_mul_f64 v[158:159], v[172:173], -v[156:157]
.LBB76_513:
	s_or_b64 exec, exec, s[16:17]
.LBB76_514:
	s_or_b64 exec, exec, s[0:1]
	v_cmp_ne_u32_e32 vcc, v169, v166
	s_and_saveexec_b64 s[0:1], vcc
	s_xor_b64 s[0:1], exec, s[0:1]
	s_cbranch_execz .LBB76_520
; %bb.515:
	v_cmp_eq_u32_e32 vcc, 24, v169
	s_and_saveexec_b64 s[16:17], vcc
	s_cbranch_execz .LBB76_519
; %bb.516:
	v_cmp_ne_u32_e32 vcc, 24, v166
	s_xor_b64 s[18:19], s[14:15], -1
	s_and_b64 s[22:23], s[18:19], vcc
	s_and_saveexec_b64 s[18:19], s[22:23]
	s_cbranch_execz .LBB76_518
; %bb.517:
	v_ashrrev_i32_e32 v167, 31, v166
	v_lshl_add_u64 v[172:173], v[166:167], 2, v[164:165]
	global_load_dword v167, v[172:173], off
	global_load_dword v169, v[164:165], off offset:96
	s_waitcnt vmcnt(1)
	global_store_dword v[164:165], v167, off offset:96
	s_waitcnt vmcnt(1)
	global_store_dword v[172:173], v169, off
.LBB76_518:
	s_or_b64 exec, exec, s[18:19]
	v_mov_b32_e32 v169, v166
	v_mov_b32_e32 v171, v166
.LBB76_519:
	s_or_b64 exec, exec, s[16:17]
.LBB76_520:
	s_andn2_saveexec_b64 s[0:1], s[0:1]
	s_cbranch_execz .LBB76_522
; %bb.521:
	v_mov_b32_e32 v169, 24
	s_waitcnt vmcnt(13)
	ds_write2_b64 v168, v[48:49], v[50:51] offset0:50 offset1:51
	s_waitcnt vmcnt(12)
	ds_write2_b64 v168, v[44:45], v[46:47] offset0:52 offset1:53
	;; [unrolled: 2-line block ×14, first 2 shown]
.LBB76_522:
	s_or_b64 exec, exec, s[0:1]
	v_cmp_lt_i32_e32 vcc, 24, v169
	s_waitcnt lgkmcnt(0)
	s_barrier
	s_and_saveexec_b64 s[0:1], vcc
	s_cbranch_execz .LBB76_524
; %bb.523:
	ds_read2_b64 v[172:175], v168 offset0:50 offset1:51
	v_mul_f64 v[166:167], v[156:157], v[54:55]
	v_mul_f64 v[54:55], v[158:159], v[54:55]
	v_fmac_f64_e32 v[166:167], v[158:159], v[52:53]
	v_fma_f64 v[52:53], v[156:157], v[52:53], -v[54:55]
	ds_read2_b64 v[156:159], v168 offset0:52 offset1:53
	s_waitcnt lgkmcnt(1)
	v_mul_f64 v[54:55], v[174:175], v[166:167]
	v_fma_f64 v[54:55], v[172:173], v[52:53], -v[54:55]
	v_mul_f64 v[172:173], v[172:173], v[166:167]
	v_fmac_f64_e32 v[172:173], v[174:175], v[52:53]
	s_waitcnt vmcnt(13)
	v_add_f64 v[48:49], v[48:49], -v[54:55]
	s_waitcnt lgkmcnt(0)
	v_mul_f64 v[54:55], v[158:159], v[166:167]
	v_add_f64 v[50:51], v[50:51], -v[172:173]
	v_fma_f64 v[54:55], v[156:157], v[52:53], -v[54:55]
	v_mul_f64 v[156:157], v[156:157], v[166:167]
	ds_read2_b64 v[172:175], v168 offset0:54 offset1:55
	v_fmac_f64_e32 v[156:157], v[158:159], v[52:53]
	s_waitcnt vmcnt(12)
	v_add_f64 v[46:47], v[46:47], -v[156:157]
	ds_read2_b64 v[156:159], v168 offset0:56 offset1:57
	v_add_f64 v[44:45], v[44:45], -v[54:55]
	s_waitcnt lgkmcnt(1)
	v_mul_f64 v[54:55], v[174:175], v[166:167]
	v_fma_f64 v[54:55], v[172:173], v[52:53], -v[54:55]
	v_mul_f64 v[172:173], v[172:173], v[166:167]
	v_fmac_f64_e32 v[172:173], v[174:175], v[52:53]
	s_waitcnt vmcnt(11)
	v_add_f64 v[40:41], v[40:41], -v[54:55]
	s_waitcnt lgkmcnt(0)
	v_mul_f64 v[54:55], v[158:159], v[166:167]
	v_add_f64 v[42:43], v[42:43], -v[172:173]
	v_fma_f64 v[54:55], v[156:157], v[52:53], -v[54:55]
	v_mul_f64 v[156:157], v[156:157], v[166:167]
	ds_read2_b64 v[172:175], v168 offset0:58 offset1:59
	v_fmac_f64_e32 v[156:157], v[158:159], v[52:53]
	s_waitcnt vmcnt(10)
	v_add_f64 v[38:39], v[38:39], -v[156:157]
	ds_read2_b64 v[156:159], v168 offset0:60 offset1:61
	v_add_f64 v[36:37], v[36:37], -v[54:55]
	;; [unrolled: 18-line block ×6, first 2 shown]
	s_waitcnt lgkmcnt(1)
	v_mul_f64 v[54:55], v[174:175], v[166:167]
	v_fma_f64 v[54:55], v[172:173], v[52:53], -v[54:55]
	s_waitcnt vmcnt(1)
	v_add_f64 v[0:1], v[0:1], -v[54:55]
	s_waitcnt lgkmcnt(0)
	v_mul_f64 v[54:55], v[158:159], v[166:167]
	v_mul_f64 v[172:173], v[172:173], v[166:167]
	v_fma_f64 v[54:55], v[156:157], v[52:53], -v[54:55]
	v_mul_f64 v[156:157], v[156:157], v[166:167]
	v_fmac_f64_e32 v[172:173], v[174:175], v[52:53]
	v_fmac_f64_e32 v[156:157], v[158:159], v[52:53]
	v_add_f64 v[2:3], v[2:3], -v[172:173]
	s_waitcnt vmcnt(0)
	v_add_f64 v[152:153], v[152:153], -v[54:55]
	v_add_f64 v[154:155], v[154:155], -v[156:157]
	v_mov_b64_e32 v[54:55], v[166:167]
.LBB76_524:
	s_or_b64 exec, exec, s[0:1]
	v_lshl_add_u32 v156, v169, 4, v168
	s_barrier
	s_waitcnt vmcnt(13)
	ds_write2_b64 v156, v[48:49], v[50:51] offset1:1
	s_waitcnt lgkmcnt(0)
	s_barrier
	ds_read2_b64 v[156:159], v168 offset0:50 offset1:51
	s_cmp_lt_i32 s20, 27
	v_mov_b32_e32 v166, 25
	s_cbranch_scc1 .LBB76_527
; %bb.525:
	v_add_u32_e32 v167, 0x1a0, v168
	s_mov_b32 s16, 26
	v_mov_b32_e32 v166, 25
.LBB76_526:                             ; =>This Inner Loop Header: Depth=1
	ds_read2_b64 v[172:175], v167 offset1:1
	s_waitcnt lgkmcnt(1)
	v_xor_b32_e32 v177, 0x80000000, v157
	v_xor_b32_e32 v179, 0x80000000, v159
	v_cmp_gt_f64_e32 vcc, 0, v[158:159]
	v_cmp_gt_f64_e64 s[0:1], 0, v[156:157]
	v_mov_b32_e32 v176, v156
	v_mov_b32_e32 v178, v158
	v_cndmask_b32_e64 v177, v157, v177, s[0:1]
	v_cndmask_b32_e32 v179, v159, v179, vcc
	v_add_f64 v[176:177], v[176:177], v[178:179]
	s_waitcnt lgkmcnt(0)
	v_xor_b32_e32 v179, 0x80000000, v173
	v_xor_b32_e32 v181, 0x80000000, v175
	v_cmp_gt_f64_e32 vcc, 0, v[174:175]
	v_cmp_gt_f64_e64 s[0:1], 0, v[172:173]
	v_mov_b32_e32 v178, v172
	v_mov_b32_e32 v180, v174
	v_cndmask_b32_e64 v179, v173, v179, s[0:1]
	v_cndmask_b32_e32 v181, v175, v181, vcc
	v_add_f64 v[178:179], v[178:179], v[180:181]
	v_mov_b32_e32 v182, s16
	s_add_i32 s16, s16, 1
	v_cmp_lt_f64_e32 vcc, v[176:177], v[178:179]
	v_add_u32_e32 v167, 16, v167
	s_cmp_lg_u32 s20, s16
	v_cndmask_b32_e32 v157, v157, v173, vcc
	v_cndmask_b32_e32 v156, v156, v172, vcc
	;; [unrolled: 1-line block ×5, first 2 shown]
	s_cbranch_scc1 .LBB76_526
.LBB76_527:
	s_waitcnt lgkmcnt(0)
	v_cmp_eq_f64_e32 vcc, 0, v[156:157]
	v_cmp_eq_f64_e64 s[0:1], 0, v[158:159]
	s_and_b64 s[0:1], vcc, s[0:1]
	s_and_saveexec_b64 s[16:17], s[0:1]
	s_xor_b64 s[0:1], exec, s[16:17]
; %bb.528:
	v_cmp_ne_u32_e32 vcc, 0, v170
	s_nop 1
	v_cndmask_b32_e32 v170, 26, v170, vcc
; %bb.529:
	s_andn2_saveexec_b64 s[0:1], s[0:1]
	s_cbranch_execz .LBB76_535
; %bb.530:
	v_cmp_ngt_f64_e64 s[16:17], |v[156:157]|, |v[158:159]|
	s_and_saveexec_b64 s[18:19], s[16:17]
	s_xor_b64 s[16:17], exec, s[18:19]
	s_cbranch_execz .LBB76_532
; %bb.531:
	v_div_scale_f64 v[172:173], s[18:19], v[158:159], v[158:159], v[156:157]
	v_rcp_f64_e32 v[174:175], v[172:173]
	v_div_scale_f64 v[176:177], vcc, v[156:157], v[158:159], v[156:157]
	v_fma_f64 v[178:179], -v[172:173], v[174:175], 1.0
	v_fmac_f64_e32 v[174:175], v[174:175], v[178:179]
	v_fma_f64 v[178:179], -v[172:173], v[174:175], 1.0
	v_fmac_f64_e32 v[174:175], v[174:175], v[178:179]
	v_mul_f64 v[178:179], v[176:177], v[174:175]
	v_fma_f64 v[172:173], -v[172:173], v[178:179], v[176:177]
	v_div_fmas_f64 v[172:173], v[172:173], v[174:175], v[178:179]
	v_div_fixup_f64 v[172:173], v[172:173], v[158:159], v[156:157]
	v_fmac_f64_e32 v[158:159], v[156:157], v[172:173]
	v_div_scale_f64 v[156:157], s[18:19], v[158:159], v[158:159], 1.0
	v_rcp_f64_e32 v[174:175], v[156:157]
	s_nop 0
	v_fma_f64 v[176:177], -v[156:157], v[174:175], 1.0
	v_fmac_f64_e32 v[174:175], v[174:175], v[176:177]
	v_fma_f64 v[176:177], -v[156:157], v[174:175], 1.0
	v_fmac_f64_e32 v[174:175], v[174:175], v[176:177]
	v_div_scale_f64 v[176:177], vcc, 1.0, v[158:159], 1.0
	v_mul_f64 v[178:179], v[176:177], v[174:175]
	v_fma_f64 v[156:157], -v[156:157], v[178:179], v[176:177]
	s_nop 1
	v_div_fmas_f64 v[156:157], v[156:157], v[174:175], v[178:179]
	v_div_fixup_f64 v[158:159], v[156:157], v[158:159], 1.0
	v_mul_f64 v[156:157], v[172:173], v[158:159]
	v_xor_b32_e32 v159, 0x80000000, v159
.LBB76_532:
	s_andn2_saveexec_b64 s[16:17], s[16:17]
	s_cbranch_execz .LBB76_534
; %bb.533:
	v_div_scale_f64 v[172:173], s[18:19], v[156:157], v[156:157], v[158:159]
	v_rcp_f64_e32 v[174:175], v[172:173]
	v_div_scale_f64 v[176:177], vcc, v[158:159], v[156:157], v[158:159]
	v_fma_f64 v[178:179], -v[172:173], v[174:175], 1.0
	v_fmac_f64_e32 v[174:175], v[174:175], v[178:179]
	v_fma_f64 v[178:179], -v[172:173], v[174:175], 1.0
	v_fmac_f64_e32 v[174:175], v[174:175], v[178:179]
	v_mul_f64 v[178:179], v[176:177], v[174:175]
	v_fma_f64 v[172:173], -v[172:173], v[178:179], v[176:177]
	v_div_fmas_f64 v[172:173], v[172:173], v[174:175], v[178:179]
	v_div_fixup_f64 v[172:173], v[172:173], v[156:157], v[158:159]
	v_fmac_f64_e32 v[156:157], v[158:159], v[172:173]
	v_div_scale_f64 v[158:159], s[18:19], v[156:157], v[156:157], 1.0
	v_rcp_f64_e32 v[174:175], v[158:159]
	s_nop 0
	v_fma_f64 v[176:177], -v[158:159], v[174:175], 1.0
	v_fmac_f64_e32 v[174:175], v[174:175], v[176:177]
	v_fma_f64 v[176:177], -v[158:159], v[174:175], 1.0
	v_fmac_f64_e32 v[174:175], v[174:175], v[176:177]
	v_div_scale_f64 v[176:177], vcc, 1.0, v[156:157], 1.0
	v_mul_f64 v[178:179], v[176:177], v[174:175]
	v_fma_f64 v[158:159], -v[158:159], v[178:179], v[176:177]
	s_nop 1
	v_div_fmas_f64 v[158:159], v[158:159], v[174:175], v[178:179]
	v_div_fixup_f64 v[156:157], v[158:159], v[156:157], 1.0
	v_mul_f64 v[158:159], v[172:173], -v[156:157]
.LBB76_534:
	s_or_b64 exec, exec, s[16:17]
.LBB76_535:
	s_or_b64 exec, exec, s[0:1]
	v_cmp_ne_u32_e32 vcc, v169, v166
	s_and_saveexec_b64 s[0:1], vcc
	s_xor_b64 s[0:1], exec, s[0:1]
	s_cbranch_execz .LBB76_541
; %bb.536:
	v_cmp_eq_u32_e32 vcc, 25, v169
	s_and_saveexec_b64 s[16:17], vcc
	s_cbranch_execz .LBB76_540
; %bb.537:
	v_cmp_ne_u32_e32 vcc, 25, v166
	s_xor_b64 s[18:19], s[14:15], -1
	s_and_b64 s[22:23], s[18:19], vcc
	s_and_saveexec_b64 s[18:19], s[22:23]
	s_cbranch_execz .LBB76_539
; %bb.538:
	v_ashrrev_i32_e32 v167, 31, v166
	v_lshl_add_u64 v[172:173], v[166:167], 2, v[164:165]
	global_load_dword v167, v[172:173], off
	global_load_dword v169, v[164:165], off offset:100
	s_waitcnt vmcnt(1)
	global_store_dword v[164:165], v167, off offset:100
	s_waitcnt vmcnt(1)
	global_store_dword v[172:173], v169, off
.LBB76_539:
	s_or_b64 exec, exec, s[18:19]
	v_mov_b32_e32 v169, v166
	v_mov_b32_e32 v171, v166
.LBB76_540:
	s_or_b64 exec, exec, s[16:17]
.LBB76_541:
	s_andn2_saveexec_b64 s[0:1], s[0:1]
	s_cbranch_execz .LBB76_543
; %bb.542:
	v_mov_b32_e32 v169, 25
	s_waitcnt vmcnt(12)
	ds_write2_b64 v168, v[44:45], v[46:47] offset0:52 offset1:53
	s_waitcnt vmcnt(11)
	ds_write2_b64 v168, v[40:41], v[42:43] offset0:54 offset1:55
	;; [unrolled: 2-line block ×13, first 2 shown]
.LBB76_543:
	s_or_b64 exec, exec, s[0:1]
	v_cmp_lt_i32_e32 vcc, 25, v169
	s_waitcnt lgkmcnt(0)
	s_barrier
	s_and_saveexec_b64 s[0:1], vcc
	s_cbranch_execz .LBB76_545
; %bb.544:
	ds_read2_b64 v[172:175], v168 offset0:52 offset1:53
	v_mul_f64 v[166:167], v[156:157], v[50:51]
	v_fmac_f64_e32 v[166:167], v[158:159], v[48:49]
	v_mul_f64 v[50:51], v[158:159], v[50:51]
	v_fma_f64 v[48:49], v[156:157], v[48:49], -v[50:51]
	ds_read2_b64 v[156:159], v168 offset0:54 offset1:55
	s_waitcnt lgkmcnt(1)
	v_mul_f64 v[50:51], v[174:175], v[166:167]
	v_fma_f64 v[50:51], v[172:173], v[48:49], -v[50:51]
	v_mul_f64 v[172:173], v[172:173], v[166:167]
	v_fmac_f64_e32 v[172:173], v[174:175], v[48:49]
	s_waitcnt vmcnt(12)
	v_add_f64 v[46:47], v[46:47], -v[172:173]
	ds_read2_b64 v[172:175], v168 offset0:56 offset1:57
	v_add_f64 v[44:45], v[44:45], -v[50:51]
	s_waitcnt lgkmcnt(1)
	v_mul_f64 v[50:51], v[158:159], v[166:167]
	v_fma_f64 v[50:51], v[156:157], v[48:49], -v[50:51]
	v_mul_f64 v[156:157], v[156:157], v[166:167]
	v_fmac_f64_e32 v[156:157], v[158:159], v[48:49]
	s_waitcnt vmcnt(11)
	v_add_f64 v[40:41], v[40:41], -v[50:51]
	v_add_f64 v[42:43], v[42:43], -v[156:157]
	ds_read2_b64 v[156:159], v168 offset0:58 offset1:59
	s_waitcnt lgkmcnt(1)
	v_mul_f64 v[50:51], v[174:175], v[166:167]
	v_fma_f64 v[50:51], v[172:173], v[48:49], -v[50:51]
	v_mul_f64 v[172:173], v[172:173], v[166:167]
	v_fmac_f64_e32 v[172:173], v[174:175], v[48:49]
	s_waitcnt vmcnt(10)
	v_add_f64 v[38:39], v[38:39], -v[172:173]
	ds_read2_b64 v[172:175], v168 offset0:60 offset1:61
	v_add_f64 v[36:37], v[36:37], -v[50:51]
	s_waitcnt lgkmcnt(1)
	v_mul_f64 v[50:51], v[158:159], v[166:167]
	v_fma_f64 v[50:51], v[156:157], v[48:49], -v[50:51]
	v_mul_f64 v[156:157], v[156:157], v[166:167]
	v_fmac_f64_e32 v[156:157], v[158:159], v[48:49]
	s_waitcnt vmcnt(9)
	v_add_f64 v[32:33], v[32:33], -v[50:51]
	v_add_f64 v[34:35], v[34:35], -v[156:157]
	;; [unrolled: 18-line block ×6, first 2 shown]
	s_waitcnt lgkmcnt(0)
	v_mul_f64 v[50:51], v[174:175], v[166:167]
	v_mul_f64 v[156:157], v[172:173], v[166:167]
	v_fma_f64 v[50:51], v[172:173], v[48:49], -v[50:51]
	v_fmac_f64_e32 v[156:157], v[174:175], v[48:49]
	s_waitcnt vmcnt(0)
	v_add_f64 v[152:153], v[152:153], -v[50:51]
	v_add_f64 v[154:155], v[154:155], -v[156:157]
	v_mov_b64_e32 v[50:51], v[166:167]
.LBB76_545:
	s_or_b64 exec, exec, s[0:1]
	v_lshl_add_u32 v156, v169, 4, v168
	s_barrier
	s_waitcnt vmcnt(12)
	ds_write2_b64 v156, v[44:45], v[46:47] offset1:1
	s_waitcnt lgkmcnt(0)
	s_barrier
	ds_read2_b64 v[156:159], v168 offset0:52 offset1:53
	s_cmp_lt_i32 s20, 28
	v_mov_b32_e32 v166, 26
	s_cbranch_scc1 .LBB76_548
; %bb.546:
	v_add_u32_e32 v167, 0x1b0, v168
	s_mov_b32 s16, 27
	v_mov_b32_e32 v166, 26
.LBB76_547:                             ; =>This Inner Loop Header: Depth=1
	ds_read2_b64 v[172:175], v167 offset1:1
	s_waitcnt lgkmcnt(1)
	v_xor_b32_e32 v177, 0x80000000, v157
	v_xor_b32_e32 v179, 0x80000000, v159
	v_cmp_gt_f64_e32 vcc, 0, v[158:159]
	v_cmp_gt_f64_e64 s[0:1], 0, v[156:157]
	v_mov_b32_e32 v176, v156
	v_mov_b32_e32 v178, v158
	v_cndmask_b32_e64 v177, v157, v177, s[0:1]
	v_cndmask_b32_e32 v179, v159, v179, vcc
	v_add_f64 v[176:177], v[176:177], v[178:179]
	s_waitcnt lgkmcnt(0)
	v_xor_b32_e32 v179, 0x80000000, v173
	v_xor_b32_e32 v181, 0x80000000, v175
	v_cmp_gt_f64_e32 vcc, 0, v[174:175]
	v_cmp_gt_f64_e64 s[0:1], 0, v[172:173]
	v_mov_b32_e32 v178, v172
	v_mov_b32_e32 v180, v174
	v_cndmask_b32_e64 v179, v173, v179, s[0:1]
	v_cndmask_b32_e32 v181, v175, v181, vcc
	v_add_f64 v[178:179], v[178:179], v[180:181]
	v_mov_b32_e32 v182, s16
	s_add_i32 s16, s16, 1
	v_cmp_lt_f64_e32 vcc, v[176:177], v[178:179]
	v_add_u32_e32 v167, 16, v167
	s_cmp_lg_u32 s20, s16
	v_cndmask_b32_e32 v157, v157, v173, vcc
	v_cndmask_b32_e32 v156, v156, v172, vcc
	;; [unrolled: 1-line block ×5, first 2 shown]
	s_cbranch_scc1 .LBB76_547
.LBB76_548:
	s_waitcnt lgkmcnt(0)
	v_cmp_eq_f64_e32 vcc, 0, v[156:157]
	v_cmp_eq_f64_e64 s[0:1], 0, v[158:159]
	s_and_b64 s[0:1], vcc, s[0:1]
	s_and_saveexec_b64 s[16:17], s[0:1]
	s_xor_b64 s[0:1], exec, s[16:17]
; %bb.549:
	v_cmp_ne_u32_e32 vcc, 0, v170
	s_nop 1
	v_cndmask_b32_e32 v170, 27, v170, vcc
; %bb.550:
	s_andn2_saveexec_b64 s[0:1], s[0:1]
	s_cbranch_execz .LBB76_556
; %bb.551:
	v_cmp_ngt_f64_e64 s[16:17], |v[156:157]|, |v[158:159]|
	s_and_saveexec_b64 s[18:19], s[16:17]
	s_xor_b64 s[16:17], exec, s[18:19]
	s_cbranch_execz .LBB76_553
; %bb.552:
	v_div_scale_f64 v[172:173], s[18:19], v[158:159], v[158:159], v[156:157]
	v_rcp_f64_e32 v[174:175], v[172:173]
	v_div_scale_f64 v[176:177], vcc, v[156:157], v[158:159], v[156:157]
	v_fma_f64 v[178:179], -v[172:173], v[174:175], 1.0
	v_fmac_f64_e32 v[174:175], v[174:175], v[178:179]
	v_fma_f64 v[178:179], -v[172:173], v[174:175], 1.0
	v_fmac_f64_e32 v[174:175], v[174:175], v[178:179]
	v_mul_f64 v[178:179], v[176:177], v[174:175]
	v_fma_f64 v[172:173], -v[172:173], v[178:179], v[176:177]
	v_div_fmas_f64 v[172:173], v[172:173], v[174:175], v[178:179]
	v_div_fixup_f64 v[172:173], v[172:173], v[158:159], v[156:157]
	v_fmac_f64_e32 v[158:159], v[156:157], v[172:173]
	v_div_scale_f64 v[156:157], s[18:19], v[158:159], v[158:159], 1.0
	v_rcp_f64_e32 v[174:175], v[156:157]
	s_nop 0
	v_fma_f64 v[176:177], -v[156:157], v[174:175], 1.0
	v_fmac_f64_e32 v[174:175], v[174:175], v[176:177]
	v_fma_f64 v[176:177], -v[156:157], v[174:175], 1.0
	v_fmac_f64_e32 v[174:175], v[174:175], v[176:177]
	v_div_scale_f64 v[176:177], vcc, 1.0, v[158:159], 1.0
	v_mul_f64 v[178:179], v[176:177], v[174:175]
	v_fma_f64 v[156:157], -v[156:157], v[178:179], v[176:177]
	s_nop 1
	v_div_fmas_f64 v[156:157], v[156:157], v[174:175], v[178:179]
	v_div_fixup_f64 v[158:159], v[156:157], v[158:159], 1.0
	v_mul_f64 v[156:157], v[172:173], v[158:159]
	v_xor_b32_e32 v159, 0x80000000, v159
.LBB76_553:
	s_andn2_saveexec_b64 s[16:17], s[16:17]
	s_cbranch_execz .LBB76_555
; %bb.554:
	v_div_scale_f64 v[172:173], s[18:19], v[156:157], v[156:157], v[158:159]
	v_rcp_f64_e32 v[174:175], v[172:173]
	v_div_scale_f64 v[176:177], vcc, v[158:159], v[156:157], v[158:159]
	v_fma_f64 v[178:179], -v[172:173], v[174:175], 1.0
	v_fmac_f64_e32 v[174:175], v[174:175], v[178:179]
	v_fma_f64 v[178:179], -v[172:173], v[174:175], 1.0
	v_fmac_f64_e32 v[174:175], v[174:175], v[178:179]
	v_mul_f64 v[178:179], v[176:177], v[174:175]
	v_fma_f64 v[172:173], -v[172:173], v[178:179], v[176:177]
	v_div_fmas_f64 v[172:173], v[172:173], v[174:175], v[178:179]
	v_div_fixup_f64 v[172:173], v[172:173], v[156:157], v[158:159]
	v_fmac_f64_e32 v[156:157], v[158:159], v[172:173]
	v_div_scale_f64 v[158:159], s[18:19], v[156:157], v[156:157], 1.0
	v_rcp_f64_e32 v[174:175], v[158:159]
	s_nop 0
	v_fma_f64 v[176:177], -v[158:159], v[174:175], 1.0
	v_fmac_f64_e32 v[174:175], v[174:175], v[176:177]
	v_fma_f64 v[176:177], -v[158:159], v[174:175], 1.0
	v_fmac_f64_e32 v[174:175], v[174:175], v[176:177]
	v_div_scale_f64 v[176:177], vcc, 1.0, v[156:157], 1.0
	v_mul_f64 v[178:179], v[176:177], v[174:175]
	v_fma_f64 v[158:159], -v[158:159], v[178:179], v[176:177]
	s_nop 1
	v_div_fmas_f64 v[158:159], v[158:159], v[174:175], v[178:179]
	v_div_fixup_f64 v[156:157], v[158:159], v[156:157], 1.0
	v_mul_f64 v[158:159], v[172:173], -v[156:157]
.LBB76_555:
	s_or_b64 exec, exec, s[16:17]
.LBB76_556:
	s_or_b64 exec, exec, s[0:1]
	v_cmp_ne_u32_e32 vcc, v169, v166
	s_and_saveexec_b64 s[0:1], vcc
	s_xor_b64 s[0:1], exec, s[0:1]
	s_cbranch_execz .LBB76_562
; %bb.557:
	v_cmp_eq_u32_e32 vcc, 26, v169
	s_and_saveexec_b64 s[16:17], vcc
	s_cbranch_execz .LBB76_561
; %bb.558:
	v_cmp_ne_u32_e32 vcc, 26, v166
	s_xor_b64 s[18:19], s[14:15], -1
	s_and_b64 s[22:23], s[18:19], vcc
	s_and_saveexec_b64 s[18:19], s[22:23]
	s_cbranch_execz .LBB76_560
; %bb.559:
	v_ashrrev_i32_e32 v167, 31, v166
	v_lshl_add_u64 v[172:173], v[166:167], 2, v[164:165]
	global_load_dword v167, v[172:173], off
	global_load_dword v169, v[164:165], off offset:104
	s_waitcnt vmcnt(1)
	global_store_dword v[164:165], v167, off offset:104
	s_waitcnt vmcnt(1)
	global_store_dword v[172:173], v169, off
.LBB76_560:
	s_or_b64 exec, exec, s[18:19]
	v_mov_b32_e32 v169, v166
	v_mov_b32_e32 v171, v166
.LBB76_561:
	s_or_b64 exec, exec, s[16:17]
.LBB76_562:
	s_andn2_saveexec_b64 s[0:1], s[0:1]
	s_cbranch_execz .LBB76_564
; %bb.563:
	v_mov_b32_e32 v169, 26
	s_waitcnt vmcnt(11)
	ds_write2_b64 v168, v[40:41], v[42:43] offset0:54 offset1:55
	s_waitcnt vmcnt(10)
	ds_write2_b64 v168, v[36:37], v[38:39] offset0:56 offset1:57
	;; [unrolled: 2-line block ×12, first 2 shown]
.LBB76_564:
	s_or_b64 exec, exec, s[0:1]
	v_cmp_lt_i32_e32 vcc, 26, v169
	s_waitcnt lgkmcnt(0)
	s_barrier
	s_and_saveexec_b64 s[0:1], vcc
	s_cbranch_execz .LBB76_566
; %bb.565:
	ds_read2_b64 v[172:175], v168 offset0:54 offset1:55
	v_mul_f64 v[166:167], v[156:157], v[46:47]
	v_mul_f64 v[46:47], v[158:159], v[46:47]
	v_fmac_f64_e32 v[166:167], v[158:159], v[44:45]
	v_fma_f64 v[44:45], v[156:157], v[44:45], -v[46:47]
	ds_read2_b64 v[156:159], v168 offset0:56 offset1:57
	s_waitcnt lgkmcnt(1)
	v_mul_f64 v[46:47], v[174:175], v[166:167]
	v_fma_f64 v[46:47], v[172:173], v[44:45], -v[46:47]
	v_mul_f64 v[172:173], v[172:173], v[166:167]
	v_fmac_f64_e32 v[172:173], v[174:175], v[44:45]
	s_waitcnt vmcnt(11)
	v_add_f64 v[40:41], v[40:41], -v[46:47]
	s_waitcnt lgkmcnt(0)
	v_mul_f64 v[46:47], v[158:159], v[166:167]
	v_add_f64 v[42:43], v[42:43], -v[172:173]
	v_fma_f64 v[46:47], v[156:157], v[44:45], -v[46:47]
	v_mul_f64 v[156:157], v[156:157], v[166:167]
	ds_read2_b64 v[172:175], v168 offset0:58 offset1:59
	v_fmac_f64_e32 v[156:157], v[158:159], v[44:45]
	s_waitcnt vmcnt(10)
	v_add_f64 v[38:39], v[38:39], -v[156:157]
	ds_read2_b64 v[156:159], v168 offset0:60 offset1:61
	v_add_f64 v[36:37], v[36:37], -v[46:47]
	s_waitcnt lgkmcnt(1)
	v_mul_f64 v[46:47], v[174:175], v[166:167]
	v_fma_f64 v[46:47], v[172:173], v[44:45], -v[46:47]
	v_mul_f64 v[172:173], v[172:173], v[166:167]
	v_fmac_f64_e32 v[172:173], v[174:175], v[44:45]
	s_waitcnt vmcnt(9)
	v_add_f64 v[32:33], v[32:33], -v[46:47]
	s_waitcnt lgkmcnt(0)
	v_mul_f64 v[46:47], v[158:159], v[166:167]
	v_add_f64 v[34:35], v[34:35], -v[172:173]
	v_fma_f64 v[46:47], v[156:157], v[44:45], -v[46:47]
	v_mul_f64 v[156:157], v[156:157], v[166:167]
	ds_read2_b64 v[172:175], v168 offset0:62 offset1:63
	v_fmac_f64_e32 v[156:157], v[158:159], v[44:45]
	s_waitcnt vmcnt(8)
	v_add_f64 v[30:31], v[30:31], -v[156:157]
	ds_read2_b64 v[156:159], v168 offset0:64 offset1:65
	v_add_f64 v[28:29], v[28:29], -v[46:47]
	s_waitcnt lgkmcnt(1)
	v_mul_f64 v[46:47], v[174:175], v[166:167]
	v_fma_f64 v[46:47], v[172:173], v[44:45], -v[46:47]
	v_mul_f64 v[172:173], v[172:173], v[166:167]
	v_fmac_f64_e32 v[172:173], v[174:175], v[44:45]
	s_waitcnt vmcnt(7)
	v_add_f64 v[24:25], v[24:25], -v[46:47]
	s_waitcnt lgkmcnt(0)
	v_mul_f64 v[46:47], v[158:159], v[166:167]
	v_add_f64 v[26:27], v[26:27], -v[172:173]
	v_fma_f64 v[46:47], v[156:157], v[44:45], -v[46:47]
	v_mul_f64 v[156:157], v[156:157], v[166:167]
	ds_read2_b64 v[172:175], v168 offset0:66 offset1:67
	v_fmac_f64_e32 v[156:157], v[158:159], v[44:45]
	s_waitcnt vmcnt(6)
	v_add_f64 v[22:23], v[22:23], -v[156:157]
	ds_read2_b64 v[156:159], v168 offset0:68 offset1:69
	v_add_f64 v[20:21], v[20:21], -v[46:47]
	s_waitcnt lgkmcnt(1)
	v_mul_f64 v[46:47], v[174:175], v[166:167]
	v_fma_f64 v[46:47], v[172:173], v[44:45], -v[46:47]
	v_mul_f64 v[172:173], v[172:173], v[166:167]
	v_fmac_f64_e32 v[172:173], v[174:175], v[44:45]
	s_waitcnt vmcnt(5)
	v_add_f64 v[16:17], v[16:17], -v[46:47]
	s_waitcnt lgkmcnt(0)
	v_mul_f64 v[46:47], v[158:159], v[166:167]
	v_add_f64 v[18:19], v[18:19], -v[172:173]
	v_fma_f64 v[46:47], v[156:157], v[44:45], -v[46:47]
	v_mul_f64 v[156:157], v[156:157], v[166:167]
	ds_read2_b64 v[172:175], v168 offset0:70 offset1:71
	v_fmac_f64_e32 v[156:157], v[158:159], v[44:45]
	s_waitcnt vmcnt(4)
	v_add_f64 v[14:15], v[14:15], -v[156:157]
	ds_read2_b64 v[156:159], v168 offset0:72 offset1:73
	v_add_f64 v[12:13], v[12:13], -v[46:47]
	s_waitcnt lgkmcnt(1)
	v_mul_f64 v[46:47], v[174:175], v[166:167]
	v_fma_f64 v[46:47], v[172:173], v[44:45], -v[46:47]
	v_mul_f64 v[172:173], v[172:173], v[166:167]
	v_fmac_f64_e32 v[172:173], v[174:175], v[44:45]
	s_waitcnt vmcnt(3)
	v_add_f64 v[8:9], v[8:9], -v[46:47]
	s_waitcnt lgkmcnt(0)
	v_mul_f64 v[46:47], v[158:159], v[166:167]
	v_add_f64 v[10:11], v[10:11], -v[172:173]
	v_fma_f64 v[46:47], v[156:157], v[44:45], -v[46:47]
	v_mul_f64 v[156:157], v[156:157], v[166:167]
	ds_read2_b64 v[172:175], v168 offset0:74 offset1:75
	v_fmac_f64_e32 v[156:157], v[158:159], v[44:45]
	s_waitcnt vmcnt(2)
	v_add_f64 v[6:7], v[6:7], -v[156:157]
	ds_read2_b64 v[156:159], v168 offset0:76 offset1:77
	v_add_f64 v[4:5], v[4:5], -v[46:47]
	s_waitcnt lgkmcnt(1)
	v_mul_f64 v[46:47], v[174:175], v[166:167]
	v_fma_f64 v[46:47], v[172:173], v[44:45], -v[46:47]
	s_waitcnt vmcnt(1)
	v_add_f64 v[0:1], v[0:1], -v[46:47]
	s_waitcnt lgkmcnt(0)
	v_mul_f64 v[46:47], v[158:159], v[166:167]
	v_mul_f64 v[172:173], v[172:173], v[166:167]
	v_fma_f64 v[46:47], v[156:157], v[44:45], -v[46:47]
	v_mul_f64 v[156:157], v[156:157], v[166:167]
	v_fmac_f64_e32 v[172:173], v[174:175], v[44:45]
	v_fmac_f64_e32 v[156:157], v[158:159], v[44:45]
	v_add_f64 v[2:3], v[2:3], -v[172:173]
	s_waitcnt vmcnt(0)
	v_add_f64 v[152:153], v[152:153], -v[46:47]
	v_add_f64 v[154:155], v[154:155], -v[156:157]
	v_mov_b64_e32 v[46:47], v[166:167]
.LBB76_566:
	s_or_b64 exec, exec, s[0:1]
	v_lshl_add_u32 v156, v169, 4, v168
	s_barrier
	s_waitcnt vmcnt(11)
	ds_write2_b64 v156, v[40:41], v[42:43] offset1:1
	s_waitcnt lgkmcnt(0)
	s_barrier
	ds_read2_b64 v[156:159], v168 offset0:54 offset1:55
	s_cmp_lt_i32 s20, 29
	v_mov_b32_e32 v166, 27
	s_cbranch_scc1 .LBB76_569
; %bb.567:
	v_add_u32_e32 v167, 0x1c0, v168
	s_mov_b32 s16, 28
	v_mov_b32_e32 v166, 27
.LBB76_568:                             ; =>This Inner Loop Header: Depth=1
	ds_read2_b64 v[172:175], v167 offset1:1
	s_waitcnt lgkmcnt(1)
	v_xor_b32_e32 v177, 0x80000000, v157
	v_xor_b32_e32 v179, 0x80000000, v159
	v_cmp_gt_f64_e32 vcc, 0, v[158:159]
	v_cmp_gt_f64_e64 s[0:1], 0, v[156:157]
	v_mov_b32_e32 v176, v156
	v_mov_b32_e32 v178, v158
	v_cndmask_b32_e64 v177, v157, v177, s[0:1]
	v_cndmask_b32_e32 v179, v159, v179, vcc
	v_add_f64 v[176:177], v[176:177], v[178:179]
	s_waitcnt lgkmcnt(0)
	v_xor_b32_e32 v179, 0x80000000, v173
	v_xor_b32_e32 v181, 0x80000000, v175
	v_cmp_gt_f64_e32 vcc, 0, v[174:175]
	v_cmp_gt_f64_e64 s[0:1], 0, v[172:173]
	v_mov_b32_e32 v178, v172
	v_mov_b32_e32 v180, v174
	v_cndmask_b32_e64 v179, v173, v179, s[0:1]
	v_cndmask_b32_e32 v181, v175, v181, vcc
	v_add_f64 v[178:179], v[178:179], v[180:181]
	v_mov_b32_e32 v182, s16
	s_add_i32 s16, s16, 1
	v_cmp_lt_f64_e32 vcc, v[176:177], v[178:179]
	v_add_u32_e32 v167, 16, v167
	s_cmp_lg_u32 s20, s16
	v_cndmask_b32_e32 v157, v157, v173, vcc
	v_cndmask_b32_e32 v156, v156, v172, vcc
	;; [unrolled: 1-line block ×5, first 2 shown]
	s_cbranch_scc1 .LBB76_568
.LBB76_569:
	s_waitcnt lgkmcnt(0)
	v_cmp_eq_f64_e32 vcc, 0, v[156:157]
	v_cmp_eq_f64_e64 s[0:1], 0, v[158:159]
	s_and_b64 s[0:1], vcc, s[0:1]
	s_and_saveexec_b64 s[16:17], s[0:1]
	s_xor_b64 s[0:1], exec, s[16:17]
; %bb.570:
	v_cmp_ne_u32_e32 vcc, 0, v170
	s_nop 1
	v_cndmask_b32_e32 v170, 28, v170, vcc
; %bb.571:
	s_andn2_saveexec_b64 s[0:1], s[0:1]
	s_cbranch_execz .LBB76_577
; %bb.572:
	v_cmp_ngt_f64_e64 s[16:17], |v[156:157]|, |v[158:159]|
	s_and_saveexec_b64 s[18:19], s[16:17]
	s_xor_b64 s[16:17], exec, s[18:19]
	s_cbranch_execz .LBB76_574
; %bb.573:
	v_div_scale_f64 v[172:173], s[18:19], v[158:159], v[158:159], v[156:157]
	v_rcp_f64_e32 v[174:175], v[172:173]
	v_div_scale_f64 v[176:177], vcc, v[156:157], v[158:159], v[156:157]
	v_fma_f64 v[178:179], -v[172:173], v[174:175], 1.0
	v_fmac_f64_e32 v[174:175], v[174:175], v[178:179]
	v_fma_f64 v[178:179], -v[172:173], v[174:175], 1.0
	v_fmac_f64_e32 v[174:175], v[174:175], v[178:179]
	v_mul_f64 v[178:179], v[176:177], v[174:175]
	v_fma_f64 v[172:173], -v[172:173], v[178:179], v[176:177]
	v_div_fmas_f64 v[172:173], v[172:173], v[174:175], v[178:179]
	v_div_fixup_f64 v[172:173], v[172:173], v[158:159], v[156:157]
	v_fmac_f64_e32 v[158:159], v[156:157], v[172:173]
	v_div_scale_f64 v[156:157], s[18:19], v[158:159], v[158:159], 1.0
	v_rcp_f64_e32 v[174:175], v[156:157]
	s_nop 0
	v_fma_f64 v[176:177], -v[156:157], v[174:175], 1.0
	v_fmac_f64_e32 v[174:175], v[174:175], v[176:177]
	v_fma_f64 v[176:177], -v[156:157], v[174:175], 1.0
	v_fmac_f64_e32 v[174:175], v[174:175], v[176:177]
	v_div_scale_f64 v[176:177], vcc, 1.0, v[158:159], 1.0
	v_mul_f64 v[178:179], v[176:177], v[174:175]
	v_fma_f64 v[156:157], -v[156:157], v[178:179], v[176:177]
	s_nop 1
	v_div_fmas_f64 v[156:157], v[156:157], v[174:175], v[178:179]
	v_div_fixup_f64 v[158:159], v[156:157], v[158:159], 1.0
	v_mul_f64 v[156:157], v[172:173], v[158:159]
	v_xor_b32_e32 v159, 0x80000000, v159
.LBB76_574:
	s_andn2_saveexec_b64 s[16:17], s[16:17]
	s_cbranch_execz .LBB76_576
; %bb.575:
	v_div_scale_f64 v[172:173], s[18:19], v[156:157], v[156:157], v[158:159]
	v_rcp_f64_e32 v[174:175], v[172:173]
	v_div_scale_f64 v[176:177], vcc, v[158:159], v[156:157], v[158:159]
	v_fma_f64 v[178:179], -v[172:173], v[174:175], 1.0
	v_fmac_f64_e32 v[174:175], v[174:175], v[178:179]
	v_fma_f64 v[178:179], -v[172:173], v[174:175], 1.0
	v_fmac_f64_e32 v[174:175], v[174:175], v[178:179]
	v_mul_f64 v[178:179], v[176:177], v[174:175]
	v_fma_f64 v[172:173], -v[172:173], v[178:179], v[176:177]
	v_div_fmas_f64 v[172:173], v[172:173], v[174:175], v[178:179]
	v_div_fixup_f64 v[172:173], v[172:173], v[156:157], v[158:159]
	v_fmac_f64_e32 v[156:157], v[158:159], v[172:173]
	v_div_scale_f64 v[158:159], s[18:19], v[156:157], v[156:157], 1.0
	v_rcp_f64_e32 v[174:175], v[158:159]
	s_nop 0
	v_fma_f64 v[176:177], -v[158:159], v[174:175], 1.0
	v_fmac_f64_e32 v[174:175], v[174:175], v[176:177]
	v_fma_f64 v[176:177], -v[158:159], v[174:175], 1.0
	v_fmac_f64_e32 v[174:175], v[174:175], v[176:177]
	v_div_scale_f64 v[176:177], vcc, 1.0, v[156:157], 1.0
	v_mul_f64 v[178:179], v[176:177], v[174:175]
	v_fma_f64 v[158:159], -v[158:159], v[178:179], v[176:177]
	s_nop 1
	v_div_fmas_f64 v[158:159], v[158:159], v[174:175], v[178:179]
	v_div_fixup_f64 v[156:157], v[158:159], v[156:157], 1.0
	v_mul_f64 v[158:159], v[172:173], -v[156:157]
.LBB76_576:
	s_or_b64 exec, exec, s[16:17]
.LBB76_577:
	s_or_b64 exec, exec, s[0:1]
	v_cmp_ne_u32_e32 vcc, v169, v166
	s_and_saveexec_b64 s[0:1], vcc
	s_xor_b64 s[0:1], exec, s[0:1]
	s_cbranch_execz .LBB76_583
; %bb.578:
	v_cmp_eq_u32_e32 vcc, 27, v169
	s_and_saveexec_b64 s[16:17], vcc
	s_cbranch_execz .LBB76_582
; %bb.579:
	v_cmp_ne_u32_e32 vcc, 27, v166
	s_xor_b64 s[18:19], s[14:15], -1
	s_and_b64 s[22:23], s[18:19], vcc
	s_and_saveexec_b64 s[18:19], s[22:23]
	s_cbranch_execz .LBB76_581
; %bb.580:
	v_ashrrev_i32_e32 v167, 31, v166
	v_lshl_add_u64 v[172:173], v[166:167], 2, v[164:165]
	global_load_dword v167, v[172:173], off
	global_load_dword v169, v[164:165], off offset:108
	s_waitcnt vmcnt(1)
	global_store_dword v[164:165], v167, off offset:108
	s_waitcnt vmcnt(1)
	global_store_dword v[172:173], v169, off
.LBB76_581:
	s_or_b64 exec, exec, s[18:19]
	v_mov_b32_e32 v169, v166
	v_mov_b32_e32 v171, v166
.LBB76_582:
	s_or_b64 exec, exec, s[16:17]
.LBB76_583:
	s_andn2_saveexec_b64 s[0:1], s[0:1]
	s_cbranch_execz .LBB76_585
; %bb.584:
	v_mov_b32_e32 v169, 27
	s_waitcnt vmcnt(10)
	ds_write2_b64 v168, v[36:37], v[38:39] offset0:56 offset1:57
	s_waitcnt vmcnt(9)
	ds_write2_b64 v168, v[32:33], v[34:35] offset0:58 offset1:59
	;; [unrolled: 2-line block ×11, first 2 shown]
.LBB76_585:
	s_or_b64 exec, exec, s[0:1]
	v_cmp_lt_i32_e32 vcc, 27, v169
	s_waitcnt lgkmcnt(0)
	s_barrier
	s_and_saveexec_b64 s[0:1], vcc
	s_cbranch_execz .LBB76_587
; %bb.586:
	ds_read2_b64 v[172:175], v168 offset0:56 offset1:57
	v_mul_f64 v[166:167], v[156:157], v[42:43]
	v_fmac_f64_e32 v[166:167], v[158:159], v[40:41]
	v_mul_f64 v[42:43], v[158:159], v[42:43]
	v_fma_f64 v[40:41], v[156:157], v[40:41], -v[42:43]
	ds_read2_b64 v[156:159], v168 offset0:58 offset1:59
	s_waitcnt lgkmcnt(1)
	v_mul_f64 v[42:43], v[174:175], v[166:167]
	v_fma_f64 v[42:43], v[172:173], v[40:41], -v[42:43]
	v_mul_f64 v[172:173], v[172:173], v[166:167]
	v_fmac_f64_e32 v[172:173], v[174:175], v[40:41]
	s_waitcnt vmcnt(10)
	v_add_f64 v[38:39], v[38:39], -v[172:173]
	ds_read2_b64 v[172:175], v168 offset0:60 offset1:61
	v_add_f64 v[36:37], v[36:37], -v[42:43]
	s_waitcnt lgkmcnt(1)
	v_mul_f64 v[42:43], v[158:159], v[166:167]
	v_fma_f64 v[42:43], v[156:157], v[40:41], -v[42:43]
	v_mul_f64 v[156:157], v[156:157], v[166:167]
	v_fmac_f64_e32 v[156:157], v[158:159], v[40:41]
	s_waitcnt vmcnt(9)
	v_add_f64 v[32:33], v[32:33], -v[42:43]
	v_add_f64 v[34:35], v[34:35], -v[156:157]
	ds_read2_b64 v[156:159], v168 offset0:62 offset1:63
	s_waitcnt lgkmcnt(1)
	v_mul_f64 v[42:43], v[174:175], v[166:167]
	v_fma_f64 v[42:43], v[172:173], v[40:41], -v[42:43]
	v_mul_f64 v[172:173], v[172:173], v[166:167]
	v_fmac_f64_e32 v[172:173], v[174:175], v[40:41]
	s_waitcnt vmcnt(8)
	v_add_f64 v[30:31], v[30:31], -v[172:173]
	ds_read2_b64 v[172:175], v168 offset0:64 offset1:65
	v_add_f64 v[28:29], v[28:29], -v[42:43]
	s_waitcnt lgkmcnt(1)
	v_mul_f64 v[42:43], v[158:159], v[166:167]
	v_fma_f64 v[42:43], v[156:157], v[40:41], -v[42:43]
	v_mul_f64 v[156:157], v[156:157], v[166:167]
	v_fmac_f64_e32 v[156:157], v[158:159], v[40:41]
	s_waitcnt vmcnt(7)
	v_add_f64 v[24:25], v[24:25], -v[42:43]
	v_add_f64 v[26:27], v[26:27], -v[156:157]
	;; [unrolled: 18-line block ×5, first 2 shown]
	s_waitcnt lgkmcnt(0)
	v_mul_f64 v[42:43], v[174:175], v[166:167]
	v_mul_f64 v[156:157], v[172:173], v[166:167]
	v_fma_f64 v[42:43], v[172:173], v[40:41], -v[42:43]
	v_fmac_f64_e32 v[156:157], v[174:175], v[40:41]
	s_waitcnt vmcnt(0)
	v_add_f64 v[152:153], v[152:153], -v[42:43]
	v_add_f64 v[154:155], v[154:155], -v[156:157]
	v_mov_b64_e32 v[42:43], v[166:167]
.LBB76_587:
	s_or_b64 exec, exec, s[0:1]
	v_lshl_add_u32 v156, v169, 4, v168
	s_barrier
	s_waitcnt vmcnt(10)
	ds_write2_b64 v156, v[36:37], v[38:39] offset1:1
	s_waitcnt lgkmcnt(0)
	s_barrier
	ds_read2_b64 v[156:159], v168 offset0:56 offset1:57
	s_cmp_lt_i32 s20, 30
	v_mov_b32_e32 v166, 28
	s_cbranch_scc1 .LBB76_590
; %bb.588:
	v_add_u32_e32 v167, 0x1d0, v168
	s_mov_b32 s16, 29
	v_mov_b32_e32 v166, 28
.LBB76_589:                             ; =>This Inner Loop Header: Depth=1
	ds_read2_b64 v[172:175], v167 offset1:1
	s_waitcnt lgkmcnt(1)
	v_xor_b32_e32 v177, 0x80000000, v157
	v_xor_b32_e32 v179, 0x80000000, v159
	v_cmp_gt_f64_e32 vcc, 0, v[158:159]
	v_cmp_gt_f64_e64 s[0:1], 0, v[156:157]
	v_mov_b32_e32 v176, v156
	v_mov_b32_e32 v178, v158
	v_cndmask_b32_e64 v177, v157, v177, s[0:1]
	v_cndmask_b32_e32 v179, v159, v179, vcc
	v_add_f64 v[176:177], v[176:177], v[178:179]
	s_waitcnt lgkmcnt(0)
	v_xor_b32_e32 v179, 0x80000000, v173
	v_xor_b32_e32 v181, 0x80000000, v175
	v_cmp_gt_f64_e32 vcc, 0, v[174:175]
	v_cmp_gt_f64_e64 s[0:1], 0, v[172:173]
	v_mov_b32_e32 v178, v172
	v_mov_b32_e32 v180, v174
	v_cndmask_b32_e64 v179, v173, v179, s[0:1]
	v_cndmask_b32_e32 v181, v175, v181, vcc
	v_add_f64 v[178:179], v[178:179], v[180:181]
	v_mov_b32_e32 v182, s16
	s_add_i32 s16, s16, 1
	v_cmp_lt_f64_e32 vcc, v[176:177], v[178:179]
	v_add_u32_e32 v167, 16, v167
	s_cmp_lg_u32 s20, s16
	v_cndmask_b32_e32 v157, v157, v173, vcc
	v_cndmask_b32_e32 v156, v156, v172, vcc
	v_cndmask_b32_e32 v159, v159, v175, vcc
	v_cndmask_b32_e32 v158, v158, v174, vcc
	v_cndmask_b32_e32 v166, v166, v182, vcc
	s_cbranch_scc1 .LBB76_589
.LBB76_590:
	s_waitcnt lgkmcnt(0)
	v_cmp_eq_f64_e32 vcc, 0, v[156:157]
	v_cmp_eq_f64_e64 s[0:1], 0, v[158:159]
	s_and_b64 s[0:1], vcc, s[0:1]
	s_and_saveexec_b64 s[16:17], s[0:1]
	s_xor_b64 s[0:1], exec, s[16:17]
; %bb.591:
	v_cmp_ne_u32_e32 vcc, 0, v170
	s_nop 1
	v_cndmask_b32_e32 v170, 29, v170, vcc
; %bb.592:
	s_andn2_saveexec_b64 s[0:1], s[0:1]
	s_cbranch_execz .LBB76_598
; %bb.593:
	v_cmp_ngt_f64_e64 s[16:17], |v[156:157]|, |v[158:159]|
	s_and_saveexec_b64 s[18:19], s[16:17]
	s_xor_b64 s[16:17], exec, s[18:19]
	s_cbranch_execz .LBB76_595
; %bb.594:
	v_div_scale_f64 v[172:173], s[18:19], v[158:159], v[158:159], v[156:157]
	v_rcp_f64_e32 v[174:175], v[172:173]
	v_div_scale_f64 v[176:177], vcc, v[156:157], v[158:159], v[156:157]
	v_fma_f64 v[178:179], -v[172:173], v[174:175], 1.0
	v_fmac_f64_e32 v[174:175], v[174:175], v[178:179]
	v_fma_f64 v[178:179], -v[172:173], v[174:175], 1.0
	v_fmac_f64_e32 v[174:175], v[174:175], v[178:179]
	v_mul_f64 v[178:179], v[176:177], v[174:175]
	v_fma_f64 v[172:173], -v[172:173], v[178:179], v[176:177]
	v_div_fmas_f64 v[172:173], v[172:173], v[174:175], v[178:179]
	v_div_fixup_f64 v[172:173], v[172:173], v[158:159], v[156:157]
	v_fmac_f64_e32 v[158:159], v[156:157], v[172:173]
	v_div_scale_f64 v[156:157], s[18:19], v[158:159], v[158:159], 1.0
	v_rcp_f64_e32 v[174:175], v[156:157]
	s_nop 0
	v_fma_f64 v[176:177], -v[156:157], v[174:175], 1.0
	v_fmac_f64_e32 v[174:175], v[174:175], v[176:177]
	v_fma_f64 v[176:177], -v[156:157], v[174:175], 1.0
	v_fmac_f64_e32 v[174:175], v[174:175], v[176:177]
	v_div_scale_f64 v[176:177], vcc, 1.0, v[158:159], 1.0
	v_mul_f64 v[178:179], v[176:177], v[174:175]
	v_fma_f64 v[156:157], -v[156:157], v[178:179], v[176:177]
	s_nop 1
	v_div_fmas_f64 v[156:157], v[156:157], v[174:175], v[178:179]
	v_div_fixup_f64 v[158:159], v[156:157], v[158:159], 1.0
	v_mul_f64 v[156:157], v[172:173], v[158:159]
	v_xor_b32_e32 v159, 0x80000000, v159
.LBB76_595:
	s_andn2_saveexec_b64 s[16:17], s[16:17]
	s_cbranch_execz .LBB76_597
; %bb.596:
	v_div_scale_f64 v[172:173], s[18:19], v[156:157], v[156:157], v[158:159]
	v_rcp_f64_e32 v[174:175], v[172:173]
	v_div_scale_f64 v[176:177], vcc, v[158:159], v[156:157], v[158:159]
	v_fma_f64 v[178:179], -v[172:173], v[174:175], 1.0
	v_fmac_f64_e32 v[174:175], v[174:175], v[178:179]
	v_fma_f64 v[178:179], -v[172:173], v[174:175], 1.0
	v_fmac_f64_e32 v[174:175], v[174:175], v[178:179]
	v_mul_f64 v[178:179], v[176:177], v[174:175]
	v_fma_f64 v[172:173], -v[172:173], v[178:179], v[176:177]
	v_div_fmas_f64 v[172:173], v[172:173], v[174:175], v[178:179]
	v_div_fixup_f64 v[172:173], v[172:173], v[156:157], v[158:159]
	v_fmac_f64_e32 v[156:157], v[158:159], v[172:173]
	v_div_scale_f64 v[158:159], s[18:19], v[156:157], v[156:157], 1.0
	v_rcp_f64_e32 v[174:175], v[158:159]
	s_nop 0
	v_fma_f64 v[176:177], -v[158:159], v[174:175], 1.0
	v_fmac_f64_e32 v[174:175], v[174:175], v[176:177]
	v_fma_f64 v[176:177], -v[158:159], v[174:175], 1.0
	v_fmac_f64_e32 v[174:175], v[174:175], v[176:177]
	v_div_scale_f64 v[176:177], vcc, 1.0, v[156:157], 1.0
	v_mul_f64 v[178:179], v[176:177], v[174:175]
	v_fma_f64 v[158:159], -v[158:159], v[178:179], v[176:177]
	s_nop 1
	v_div_fmas_f64 v[158:159], v[158:159], v[174:175], v[178:179]
	v_div_fixup_f64 v[156:157], v[158:159], v[156:157], 1.0
	v_mul_f64 v[158:159], v[172:173], -v[156:157]
.LBB76_597:
	s_or_b64 exec, exec, s[16:17]
.LBB76_598:
	s_or_b64 exec, exec, s[0:1]
	v_cmp_ne_u32_e32 vcc, v169, v166
	s_and_saveexec_b64 s[0:1], vcc
	s_xor_b64 s[0:1], exec, s[0:1]
	s_cbranch_execz .LBB76_604
; %bb.599:
	v_cmp_eq_u32_e32 vcc, 28, v169
	s_and_saveexec_b64 s[16:17], vcc
	s_cbranch_execz .LBB76_603
; %bb.600:
	v_cmp_ne_u32_e32 vcc, 28, v166
	s_xor_b64 s[18:19], s[14:15], -1
	s_and_b64 s[22:23], s[18:19], vcc
	s_and_saveexec_b64 s[18:19], s[22:23]
	s_cbranch_execz .LBB76_602
; %bb.601:
	v_ashrrev_i32_e32 v167, 31, v166
	v_lshl_add_u64 v[172:173], v[166:167], 2, v[164:165]
	global_load_dword v167, v[172:173], off
	global_load_dword v169, v[164:165], off offset:112
	s_waitcnt vmcnt(1)
	global_store_dword v[164:165], v167, off offset:112
	s_waitcnt vmcnt(1)
	global_store_dword v[172:173], v169, off
.LBB76_602:
	s_or_b64 exec, exec, s[18:19]
	v_mov_b32_e32 v169, v166
	v_mov_b32_e32 v171, v166
.LBB76_603:
	s_or_b64 exec, exec, s[16:17]
.LBB76_604:
	s_andn2_saveexec_b64 s[0:1], s[0:1]
	s_cbranch_execz .LBB76_606
; %bb.605:
	v_mov_b32_e32 v169, 28
	s_waitcnt vmcnt(9)
	ds_write2_b64 v168, v[32:33], v[34:35] offset0:58 offset1:59
	s_waitcnt vmcnt(8)
	ds_write2_b64 v168, v[28:29], v[30:31] offset0:60 offset1:61
	;; [unrolled: 2-line block ×10, first 2 shown]
.LBB76_606:
	s_or_b64 exec, exec, s[0:1]
	v_cmp_lt_i32_e32 vcc, 28, v169
	s_waitcnt lgkmcnt(0)
	s_barrier
	s_and_saveexec_b64 s[0:1], vcc
	s_cbranch_execz .LBB76_608
; %bb.607:
	ds_read2_b64 v[172:175], v168 offset0:58 offset1:59
	v_mul_f64 v[166:167], v[156:157], v[38:39]
	v_mul_f64 v[38:39], v[158:159], v[38:39]
	v_fmac_f64_e32 v[166:167], v[158:159], v[36:37]
	v_fma_f64 v[36:37], v[156:157], v[36:37], -v[38:39]
	ds_read2_b64 v[156:159], v168 offset0:60 offset1:61
	s_waitcnt lgkmcnt(1)
	v_mul_f64 v[38:39], v[174:175], v[166:167]
	v_fma_f64 v[38:39], v[172:173], v[36:37], -v[38:39]
	v_mul_f64 v[172:173], v[172:173], v[166:167]
	v_fmac_f64_e32 v[172:173], v[174:175], v[36:37]
	s_waitcnt vmcnt(9)
	v_add_f64 v[32:33], v[32:33], -v[38:39]
	s_waitcnt lgkmcnt(0)
	v_mul_f64 v[38:39], v[158:159], v[166:167]
	v_add_f64 v[34:35], v[34:35], -v[172:173]
	v_fma_f64 v[38:39], v[156:157], v[36:37], -v[38:39]
	v_mul_f64 v[156:157], v[156:157], v[166:167]
	ds_read2_b64 v[172:175], v168 offset0:62 offset1:63
	v_fmac_f64_e32 v[156:157], v[158:159], v[36:37]
	s_waitcnt vmcnt(8)
	v_add_f64 v[30:31], v[30:31], -v[156:157]
	ds_read2_b64 v[156:159], v168 offset0:64 offset1:65
	v_add_f64 v[28:29], v[28:29], -v[38:39]
	s_waitcnt lgkmcnt(1)
	v_mul_f64 v[38:39], v[174:175], v[166:167]
	v_fma_f64 v[38:39], v[172:173], v[36:37], -v[38:39]
	v_mul_f64 v[172:173], v[172:173], v[166:167]
	v_fmac_f64_e32 v[172:173], v[174:175], v[36:37]
	s_waitcnt vmcnt(7)
	v_add_f64 v[24:25], v[24:25], -v[38:39]
	s_waitcnt lgkmcnt(0)
	v_mul_f64 v[38:39], v[158:159], v[166:167]
	v_add_f64 v[26:27], v[26:27], -v[172:173]
	v_fma_f64 v[38:39], v[156:157], v[36:37], -v[38:39]
	v_mul_f64 v[156:157], v[156:157], v[166:167]
	ds_read2_b64 v[172:175], v168 offset0:66 offset1:67
	v_fmac_f64_e32 v[156:157], v[158:159], v[36:37]
	s_waitcnt vmcnt(6)
	v_add_f64 v[22:23], v[22:23], -v[156:157]
	ds_read2_b64 v[156:159], v168 offset0:68 offset1:69
	v_add_f64 v[20:21], v[20:21], -v[38:39]
	;; [unrolled: 18-line block ×4, first 2 shown]
	s_waitcnt lgkmcnt(1)
	v_mul_f64 v[38:39], v[174:175], v[166:167]
	v_fma_f64 v[38:39], v[172:173], v[36:37], -v[38:39]
	s_waitcnt vmcnt(1)
	v_add_f64 v[0:1], v[0:1], -v[38:39]
	s_waitcnt lgkmcnt(0)
	v_mul_f64 v[38:39], v[158:159], v[166:167]
	v_mul_f64 v[172:173], v[172:173], v[166:167]
	v_fma_f64 v[38:39], v[156:157], v[36:37], -v[38:39]
	v_mul_f64 v[156:157], v[156:157], v[166:167]
	v_fmac_f64_e32 v[172:173], v[174:175], v[36:37]
	v_fmac_f64_e32 v[156:157], v[158:159], v[36:37]
	v_add_f64 v[2:3], v[2:3], -v[172:173]
	s_waitcnt vmcnt(0)
	v_add_f64 v[152:153], v[152:153], -v[38:39]
	v_add_f64 v[154:155], v[154:155], -v[156:157]
	v_mov_b64_e32 v[38:39], v[166:167]
.LBB76_608:
	s_or_b64 exec, exec, s[0:1]
	v_lshl_add_u32 v156, v169, 4, v168
	s_barrier
	s_waitcnt vmcnt(9)
	ds_write2_b64 v156, v[32:33], v[34:35] offset1:1
	s_waitcnt lgkmcnt(0)
	s_barrier
	ds_read2_b64 v[156:159], v168 offset0:58 offset1:59
	s_cmp_lt_i32 s20, 31
	v_mov_b32_e32 v166, 29
	s_cbranch_scc1 .LBB76_611
; %bb.609:
	v_add_u32_e32 v167, 0x1e0, v168
	s_mov_b32 s16, 30
	v_mov_b32_e32 v166, 29
.LBB76_610:                             ; =>This Inner Loop Header: Depth=1
	ds_read2_b64 v[172:175], v167 offset1:1
	s_waitcnt lgkmcnt(1)
	v_xor_b32_e32 v177, 0x80000000, v157
	v_xor_b32_e32 v179, 0x80000000, v159
	v_cmp_gt_f64_e32 vcc, 0, v[158:159]
	v_cmp_gt_f64_e64 s[0:1], 0, v[156:157]
	v_mov_b32_e32 v176, v156
	v_mov_b32_e32 v178, v158
	v_cndmask_b32_e64 v177, v157, v177, s[0:1]
	v_cndmask_b32_e32 v179, v159, v179, vcc
	v_add_f64 v[176:177], v[176:177], v[178:179]
	s_waitcnt lgkmcnt(0)
	v_xor_b32_e32 v179, 0x80000000, v173
	v_xor_b32_e32 v181, 0x80000000, v175
	v_cmp_gt_f64_e32 vcc, 0, v[174:175]
	v_cmp_gt_f64_e64 s[0:1], 0, v[172:173]
	v_mov_b32_e32 v178, v172
	v_mov_b32_e32 v180, v174
	v_cndmask_b32_e64 v179, v173, v179, s[0:1]
	v_cndmask_b32_e32 v181, v175, v181, vcc
	v_add_f64 v[178:179], v[178:179], v[180:181]
	v_mov_b32_e32 v182, s16
	s_add_i32 s16, s16, 1
	v_cmp_lt_f64_e32 vcc, v[176:177], v[178:179]
	v_add_u32_e32 v167, 16, v167
	s_cmp_lg_u32 s20, s16
	v_cndmask_b32_e32 v157, v157, v173, vcc
	v_cndmask_b32_e32 v156, v156, v172, vcc
	;; [unrolled: 1-line block ×5, first 2 shown]
	s_cbranch_scc1 .LBB76_610
.LBB76_611:
	s_waitcnt lgkmcnt(0)
	v_cmp_eq_f64_e32 vcc, 0, v[156:157]
	v_cmp_eq_f64_e64 s[0:1], 0, v[158:159]
	s_and_b64 s[0:1], vcc, s[0:1]
	s_and_saveexec_b64 s[16:17], s[0:1]
	s_xor_b64 s[0:1], exec, s[16:17]
; %bb.612:
	v_cmp_ne_u32_e32 vcc, 0, v170
	s_nop 1
	v_cndmask_b32_e32 v170, 30, v170, vcc
; %bb.613:
	s_andn2_saveexec_b64 s[0:1], s[0:1]
	s_cbranch_execz .LBB76_619
; %bb.614:
	v_cmp_ngt_f64_e64 s[16:17], |v[156:157]|, |v[158:159]|
	s_and_saveexec_b64 s[18:19], s[16:17]
	s_xor_b64 s[16:17], exec, s[18:19]
	s_cbranch_execz .LBB76_616
; %bb.615:
	v_div_scale_f64 v[172:173], s[18:19], v[158:159], v[158:159], v[156:157]
	v_rcp_f64_e32 v[174:175], v[172:173]
	v_div_scale_f64 v[176:177], vcc, v[156:157], v[158:159], v[156:157]
	v_fma_f64 v[178:179], -v[172:173], v[174:175], 1.0
	v_fmac_f64_e32 v[174:175], v[174:175], v[178:179]
	v_fma_f64 v[178:179], -v[172:173], v[174:175], 1.0
	v_fmac_f64_e32 v[174:175], v[174:175], v[178:179]
	v_mul_f64 v[178:179], v[176:177], v[174:175]
	v_fma_f64 v[172:173], -v[172:173], v[178:179], v[176:177]
	v_div_fmas_f64 v[172:173], v[172:173], v[174:175], v[178:179]
	v_div_fixup_f64 v[172:173], v[172:173], v[158:159], v[156:157]
	v_fmac_f64_e32 v[158:159], v[156:157], v[172:173]
	v_div_scale_f64 v[156:157], s[18:19], v[158:159], v[158:159], 1.0
	v_rcp_f64_e32 v[174:175], v[156:157]
	s_nop 0
	v_fma_f64 v[176:177], -v[156:157], v[174:175], 1.0
	v_fmac_f64_e32 v[174:175], v[174:175], v[176:177]
	v_fma_f64 v[176:177], -v[156:157], v[174:175], 1.0
	v_fmac_f64_e32 v[174:175], v[174:175], v[176:177]
	v_div_scale_f64 v[176:177], vcc, 1.0, v[158:159], 1.0
	v_mul_f64 v[178:179], v[176:177], v[174:175]
	v_fma_f64 v[156:157], -v[156:157], v[178:179], v[176:177]
	s_nop 1
	v_div_fmas_f64 v[156:157], v[156:157], v[174:175], v[178:179]
	v_div_fixup_f64 v[158:159], v[156:157], v[158:159], 1.0
	v_mul_f64 v[156:157], v[172:173], v[158:159]
	v_xor_b32_e32 v159, 0x80000000, v159
.LBB76_616:
	s_andn2_saveexec_b64 s[16:17], s[16:17]
	s_cbranch_execz .LBB76_618
; %bb.617:
	v_div_scale_f64 v[172:173], s[18:19], v[156:157], v[156:157], v[158:159]
	v_rcp_f64_e32 v[174:175], v[172:173]
	v_div_scale_f64 v[176:177], vcc, v[158:159], v[156:157], v[158:159]
	v_fma_f64 v[178:179], -v[172:173], v[174:175], 1.0
	v_fmac_f64_e32 v[174:175], v[174:175], v[178:179]
	v_fma_f64 v[178:179], -v[172:173], v[174:175], 1.0
	v_fmac_f64_e32 v[174:175], v[174:175], v[178:179]
	v_mul_f64 v[178:179], v[176:177], v[174:175]
	v_fma_f64 v[172:173], -v[172:173], v[178:179], v[176:177]
	v_div_fmas_f64 v[172:173], v[172:173], v[174:175], v[178:179]
	v_div_fixup_f64 v[172:173], v[172:173], v[156:157], v[158:159]
	v_fmac_f64_e32 v[156:157], v[158:159], v[172:173]
	v_div_scale_f64 v[158:159], s[18:19], v[156:157], v[156:157], 1.0
	v_rcp_f64_e32 v[174:175], v[158:159]
	s_nop 0
	v_fma_f64 v[176:177], -v[158:159], v[174:175], 1.0
	v_fmac_f64_e32 v[174:175], v[174:175], v[176:177]
	v_fma_f64 v[176:177], -v[158:159], v[174:175], 1.0
	v_fmac_f64_e32 v[174:175], v[174:175], v[176:177]
	v_div_scale_f64 v[176:177], vcc, 1.0, v[156:157], 1.0
	v_mul_f64 v[178:179], v[176:177], v[174:175]
	v_fma_f64 v[158:159], -v[158:159], v[178:179], v[176:177]
	s_nop 1
	v_div_fmas_f64 v[158:159], v[158:159], v[174:175], v[178:179]
	v_div_fixup_f64 v[156:157], v[158:159], v[156:157], 1.0
	v_mul_f64 v[158:159], v[172:173], -v[156:157]
.LBB76_618:
	s_or_b64 exec, exec, s[16:17]
.LBB76_619:
	s_or_b64 exec, exec, s[0:1]
	v_cmp_ne_u32_e32 vcc, v169, v166
	s_and_saveexec_b64 s[0:1], vcc
	s_xor_b64 s[0:1], exec, s[0:1]
	s_cbranch_execz .LBB76_625
; %bb.620:
	v_cmp_eq_u32_e32 vcc, 29, v169
	s_and_saveexec_b64 s[16:17], vcc
	s_cbranch_execz .LBB76_624
; %bb.621:
	v_cmp_ne_u32_e32 vcc, 29, v166
	s_xor_b64 s[18:19], s[14:15], -1
	s_and_b64 s[22:23], s[18:19], vcc
	s_and_saveexec_b64 s[18:19], s[22:23]
	s_cbranch_execz .LBB76_623
; %bb.622:
	v_ashrrev_i32_e32 v167, 31, v166
	v_lshl_add_u64 v[172:173], v[166:167], 2, v[164:165]
	global_load_dword v167, v[172:173], off
	global_load_dword v169, v[164:165], off offset:116
	s_waitcnt vmcnt(1)
	global_store_dword v[164:165], v167, off offset:116
	s_waitcnt vmcnt(1)
	global_store_dword v[172:173], v169, off
.LBB76_623:
	s_or_b64 exec, exec, s[18:19]
	v_mov_b32_e32 v169, v166
	v_mov_b32_e32 v171, v166
.LBB76_624:
	s_or_b64 exec, exec, s[16:17]
.LBB76_625:
	s_andn2_saveexec_b64 s[0:1], s[0:1]
	s_cbranch_execz .LBB76_627
; %bb.626:
	v_mov_b32_e32 v169, 29
	s_waitcnt vmcnt(8)
	ds_write2_b64 v168, v[28:29], v[30:31] offset0:60 offset1:61
	s_waitcnt vmcnt(7)
	ds_write2_b64 v168, v[24:25], v[26:27] offset0:62 offset1:63
	;; [unrolled: 2-line block ×9, first 2 shown]
.LBB76_627:
	s_or_b64 exec, exec, s[0:1]
	v_cmp_lt_i32_e32 vcc, 29, v169
	s_waitcnt lgkmcnt(0)
	s_barrier
	s_and_saveexec_b64 s[0:1], vcc
	s_cbranch_execz .LBB76_629
; %bb.628:
	ds_read2_b64 v[172:175], v168 offset0:60 offset1:61
	v_mul_f64 v[166:167], v[156:157], v[34:35]
	v_fmac_f64_e32 v[166:167], v[158:159], v[32:33]
	v_mul_f64 v[34:35], v[158:159], v[34:35]
	v_fma_f64 v[32:33], v[156:157], v[32:33], -v[34:35]
	ds_read2_b64 v[156:159], v168 offset0:62 offset1:63
	s_waitcnt lgkmcnt(1)
	v_mul_f64 v[34:35], v[174:175], v[166:167]
	v_fma_f64 v[34:35], v[172:173], v[32:33], -v[34:35]
	v_mul_f64 v[172:173], v[172:173], v[166:167]
	v_fmac_f64_e32 v[172:173], v[174:175], v[32:33]
	s_waitcnt vmcnt(8)
	v_add_f64 v[30:31], v[30:31], -v[172:173]
	ds_read2_b64 v[172:175], v168 offset0:64 offset1:65
	v_add_f64 v[28:29], v[28:29], -v[34:35]
	s_waitcnt lgkmcnt(1)
	v_mul_f64 v[34:35], v[158:159], v[166:167]
	v_fma_f64 v[34:35], v[156:157], v[32:33], -v[34:35]
	v_mul_f64 v[156:157], v[156:157], v[166:167]
	v_fmac_f64_e32 v[156:157], v[158:159], v[32:33]
	s_waitcnt vmcnt(7)
	v_add_f64 v[24:25], v[24:25], -v[34:35]
	v_add_f64 v[26:27], v[26:27], -v[156:157]
	ds_read2_b64 v[156:159], v168 offset0:66 offset1:67
	s_waitcnt lgkmcnt(1)
	v_mul_f64 v[34:35], v[174:175], v[166:167]
	v_fma_f64 v[34:35], v[172:173], v[32:33], -v[34:35]
	v_mul_f64 v[172:173], v[172:173], v[166:167]
	v_fmac_f64_e32 v[172:173], v[174:175], v[32:33]
	s_waitcnt vmcnt(6)
	v_add_f64 v[22:23], v[22:23], -v[172:173]
	ds_read2_b64 v[172:175], v168 offset0:68 offset1:69
	v_add_f64 v[20:21], v[20:21], -v[34:35]
	s_waitcnt lgkmcnt(1)
	v_mul_f64 v[34:35], v[158:159], v[166:167]
	v_fma_f64 v[34:35], v[156:157], v[32:33], -v[34:35]
	v_mul_f64 v[156:157], v[156:157], v[166:167]
	v_fmac_f64_e32 v[156:157], v[158:159], v[32:33]
	s_waitcnt vmcnt(5)
	v_add_f64 v[16:17], v[16:17], -v[34:35]
	v_add_f64 v[18:19], v[18:19], -v[156:157]
	;; [unrolled: 18-line block ×4, first 2 shown]
	s_waitcnt lgkmcnt(0)
	v_mul_f64 v[34:35], v[174:175], v[166:167]
	v_mul_f64 v[156:157], v[172:173], v[166:167]
	v_fma_f64 v[34:35], v[172:173], v[32:33], -v[34:35]
	v_fmac_f64_e32 v[156:157], v[174:175], v[32:33]
	s_waitcnt vmcnt(0)
	v_add_f64 v[152:153], v[152:153], -v[34:35]
	v_add_f64 v[154:155], v[154:155], -v[156:157]
	v_mov_b64_e32 v[34:35], v[166:167]
.LBB76_629:
	s_or_b64 exec, exec, s[0:1]
	v_lshl_add_u32 v156, v169, 4, v168
	s_barrier
	s_waitcnt vmcnt(8)
	ds_write2_b64 v156, v[28:29], v[30:31] offset1:1
	s_waitcnt lgkmcnt(0)
	s_barrier
	ds_read2_b64 v[156:159], v168 offset0:60 offset1:61
	s_cmp_lt_i32 s20, 32
	v_mov_b32_e32 v166, 30
	s_cbranch_scc1 .LBB76_632
; %bb.630:
	v_add_u32_e32 v167, 0x1f0, v168
	s_mov_b32 s16, 31
	v_mov_b32_e32 v166, 30
.LBB76_631:                             ; =>This Inner Loop Header: Depth=1
	ds_read2_b64 v[172:175], v167 offset1:1
	s_waitcnt lgkmcnt(1)
	v_xor_b32_e32 v177, 0x80000000, v157
	v_xor_b32_e32 v179, 0x80000000, v159
	v_cmp_gt_f64_e32 vcc, 0, v[158:159]
	v_cmp_gt_f64_e64 s[0:1], 0, v[156:157]
	v_mov_b32_e32 v176, v156
	v_mov_b32_e32 v178, v158
	v_cndmask_b32_e64 v177, v157, v177, s[0:1]
	v_cndmask_b32_e32 v179, v159, v179, vcc
	v_add_f64 v[176:177], v[176:177], v[178:179]
	s_waitcnt lgkmcnt(0)
	v_xor_b32_e32 v179, 0x80000000, v173
	v_xor_b32_e32 v181, 0x80000000, v175
	v_cmp_gt_f64_e32 vcc, 0, v[174:175]
	v_cmp_gt_f64_e64 s[0:1], 0, v[172:173]
	v_mov_b32_e32 v178, v172
	v_mov_b32_e32 v180, v174
	v_cndmask_b32_e64 v179, v173, v179, s[0:1]
	v_cndmask_b32_e32 v181, v175, v181, vcc
	v_add_f64 v[178:179], v[178:179], v[180:181]
	v_mov_b32_e32 v182, s16
	s_add_i32 s16, s16, 1
	v_cmp_lt_f64_e32 vcc, v[176:177], v[178:179]
	v_add_u32_e32 v167, 16, v167
	s_cmp_lg_u32 s20, s16
	v_cndmask_b32_e32 v157, v157, v173, vcc
	v_cndmask_b32_e32 v156, v156, v172, vcc
	;; [unrolled: 1-line block ×5, first 2 shown]
	s_cbranch_scc1 .LBB76_631
.LBB76_632:
	s_waitcnt lgkmcnt(0)
	v_cmp_eq_f64_e32 vcc, 0, v[156:157]
	v_cmp_eq_f64_e64 s[0:1], 0, v[158:159]
	s_and_b64 s[0:1], vcc, s[0:1]
	s_and_saveexec_b64 s[16:17], s[0:1]
	s_xor_b64 s[0:1], exec, s[16:17]
; %bb.633:
	v_cmp_ne_u32_e32 vcc, 0, v170
	s_nop 1
	v_cndmask_b32_e32 v170, 31, v170, vcc
; %bb.634:
	s_andn2_saveexec_b64 s[0:1], s[0:1]
	s_cbranch_execz .LBB76_640
; %bb.635:
	v_cmp_ngt_f64_e64 s[16:17], |v[156:157]|, |v[158:159]|
	s_and_saveexec_b64 s[18:19], s[16:17]
	s_xor_b64 s[16:17], exec, s[18:19]
	s_cbranch_execz .LBB76_637
; %bb.636:
	v_div_scale_f64 v[172:173], s[18:19], v[158:159], v[158:159], v[156:157]
	v_rcp_f64_e32 v[174:175], v[172:173]
	v_div_scale_f64 v[176:177], vcc, v[156:157], v[158:159], v[156:157]
	v_fma_f64 v[178:179], -v[172:173], v[174:175], 1.0
	v_fmac_f64_e32 v[174:175], v[174:175], v[178:179]
	v_fma_f64 v[178:179], -v[172:173], v[174:175], 1.0
	v_fmac_f64_e32 v[174:175], v[174:175], v[178:179]
	v_mul_f64 v[178:179], v[176:177], v[174:175]
	v_fma_f64 v[172:173], -v[172:173], v[178:179], v[176:177]
	v_div_fmas_f64 v[172:173], v[172:173], v[174:175], v[178:179]
	v_div_fixup_f64 v[172:173], v[172:173], v[158:159], v[156:157]
	v_fmac_f64_e32 v[158:159], v[156:157], v[172:173]
	v_div_scale_f64 v[156:157], s[18:19], v[158:159], v[158:159], 1.0
	v_rcp_f64_e32 v[174:175], v[156:157]
	s_nop 0
	v_fma_f64 v[176:177], -v[156:157], v[174:175], 1.0
	v_fmac_f64_e32 v[174:175], v[174:175], v[176:177]
	v_fma_f64 v[176:177], -v[156:157], v[174:175], 1.0
	v_fmac_f64_e32 v[174:175], v[174:175], v[176:177]
	v_div_scale_f64 v[176:177], vcc, 1.0, v[158:159], 1.0
	v_mul_f64 v[178:179], v[176:177], v[174:175]
	v_fma_f64 v[156:157], -v[156:157], v[178:179], v[176:177]
	s_nop 1
	v_div_fmas_f64 v[156:157], v[156:157], v[174:175], v[178:179]
	v_div_fixup_f64 v[158:159], v[156:157], v[158:159], 1.0
	v_mul_f64 v[156:157], v[172:173], v[158:159]
	v_xor_b32_e32 v159, 0x80000000, v159
.LBB76_637:
	s_andn2_saveexec_b64 s[16:17], s[16:17]
	s_cbranch_execz .LBB76_639
; %bb.638:
	v_div_scale_f64 v[172:173], s[18:19], v[156:157], v[156:157], v[158:159]
	v_rcp_f64_e32 v[174:175], v[172:173]
	v_div_scale_f64 v[176:177], vcc, v[158:159], v[156:157], v[158:159]
	v_fma_f64 v[178:179], -v[172:173], v[174:175], 1.0
	v_fmac_f64_e32 v[174:175], v[174:175], v[178:179]
	v_fma_f64 v[178:179], -v[172:173], v[174:175], 1.0
	v_fmac_f64_e32 v[174:175], v[174:175], v[178:179]
	v_mul_f64 v[178:179], v[176:177], v[174:175]
	v_fma_f64 v[172:173], -v[172:173], v[178:179], v[176:177]
	v_div_fmas_f64 v[172:173], v[172:173], v[174:175], v[178:179]
	v_div_fixup_f64 v[172:173], v[172:173], v[156:157], v[158:159]
	v_fmac_f64_e32 v[156:157], v[158:159], v[172:173]
	v_div_scale_f64 v[158:159], s[18:19], v[156:157], v[156:157], 1.0
	v_rcp_f64_e32 v[174:175], v[158:159]
	s_nop 0
	v_fma_f64 v[176:177], -v[158:159], v[174:175], 1.0
	v_fmac_f64_e32 v[174:175], v[174:175], v[176:177]
	v_fma_f64 v[176:177], -v[158:159], v[174:175], 1.0
	v_fmac_f64_e32 v[174:175], v[174:175], v[176:177]
	v_div_scale_f64 v[176:177], vcc, 1.0, v[156:157], 1.0
	v_mul_f64 v[178:179], v[176:177], v[174:175]
	v_fma_f64 v[158:159], -v[158:159], v[178:179], v[176:177]
	s_nop 1
	v_div_fmas_f64 v[158:159], v[158:159], v[174:175], v[178:179]
	v_div_fixup_f64 v[156:157], v[158:159], v[156:157], 1.0
	v_mul_f64 v[158:159], v[172:173], -v[156:157]
.LBB76_639:
	s_or_b64 exec, exec, s[16:17]
.LBB76_640:
	s_or_b64 exec, exec, s[0:1]
	v_cmp_ne_u32_e32 vcc, v169, v166
	s_and_saveexec_b64 s[0:1], vcc
	s_xor_b64 s[0:1], exec, s[0:1]
	s_cbranch_execz .LBB76_646
; %bb.641:
	v_cmp_eq_u32_e32 vcc, 30, v169
	s_and_saveexec_b64 s[16:17], vcc
	s_cbranch_execz .LBB76_645
; %bb.642:
	v_cmp_ne_u32_e32 vcc, 30, v166
	s_xor_b64 s[18:19], s[14:15], -1
	s_and_b64 s[22:23], s[18:19], vcc
	s_and_saveexec_b64 s[18:19], s[22:23]
	s_cbranch_execz .LBB76_644
; %bb.643:
	v_ashrrev_i32_e32 v167, 31, v166
	v_lshl_add_u64 v[172:173], v[166:167], 2, v[164:165]
	global_load_dword v167, v[172:173], off
	global_load_dword v169, v[164:165], off offset:120
	s_waitcnt vmcnt(1)
	global_store_dword v[164:165], v167, off offset:120
	s_waitcnt vmcnt(1)
	global_store_dword v[172:173], v169, off
.LBB76_644:
	s_or_b64 exec, exec, s[18:19]
	v_mov_b32_e32 v169, v166
	v_mov_b32_e32 v171, v166
.LBB76_645:
	s_or_b64 exec, exec, s[16:17]
.LBB76_646:
	s_andn2_saveexec_b64 s[0:1], s[0:1]
	s_cbranch_execz .LBB76_648
; %bb.647:
	v_mov_b32_e32 v169, 30
	s_waitcnt vmcnt(7)
	ds_write2_b64 v168, v[24:25], v[26:27] offset0:62 offset1:63
	s_waitcnt vmcnt(6)
	ds_write2_b64 v168, v[20:21], v[22:23] offset0:64 offset1:65
	;; [unrolled: 2-line block ×8, first 2 shown]
.LBB76_648:
	s_or_b64 exec, exec, s[0:1]
	v_cmp_lt_i32_e32 vcc, 30, v169
	s_waitcnt lgkmcnt(0)
	s_barrier
	s_and_saveexec_b64 s[0:1], vcc
	s_cbranch_execz .LBB76_650
; %bb.649:
	ds_read2_b64 v[172:175], v168 offset0:62 offset1:63
	v_mul_f64 v[166:167], v[156:157], v[30:31]
	v_mul_f64 v[30:31], v[158:159], v[30:31]
	v_fmac_f64_e32 v[166:167], v[158:159], v[28:29]
	v_fma_f64 v[28:29], v[156:157], v[28:29], -v[30:31]
	ds_read2_b64 v[156:159], v168 offset0:64 offset1:65
	s_waitcnt lgkmcnt(1)
	v_mul_f64 v[30:31], v[174:175], v[166:167]
	v_fma_f64 v[30:31], v[172:173], v[28:29], -v[30:31]
	v_mul_f64 v[172:173], v[172:173], v[166:167]
	v_fmac_f64_e32 v[172:173], v[174:175], v[28:29]
	s_waitcnt vmcnt(7)
	v_add_f64 v[24:25], v[24:25], -v[30:31]
	s_waitcnt lgkmcnt(0)
	v_mul_f64 v[30:31], v[158:159], v[166:167]
	v_add_f64 v[26:27], v[26:27], -v[172:173]
	v_fma_f64 v[30:31], v[156:157], v[28:29], -v[30:31]
	v_mul_f64 v[156:157], v[156:157], v[166:167]
	ds_read2_b64 v[172:175], v168 offset0:66 offset1:67
	v_fmac_f64_e32 v[156:157], v[158:159], v[28:29]
	s_waitcnt vmcnt(6)
	v_add_f64 v[22:23], v[22:23], -v[156:157]
	ds_read2_b64 v[156:159], v168 offset0:68 offset1:69
	v_add_f64 v[20:21], v[20:21], -v[30:31]
	s_waitcnt lgkmcnt(1)
	v_mul_f64 v[30:31], v[174:175], v[166:167]
	v_fma_f64 v[30:31], v[172:173], v[28:29], -v[30:31]
	v_mul_f64 v[172:173], v[172:173], v[166:167]
	v_fmac_f64_e32 v[172:173], v[174:175], v[28:29]
	s_waitcnt vmcnt(5)
	v_add_f64 v[16:17], v[16:17], -v[30:31]
	s_waitcnt lgkmcnt(0)
	v_mul_f64 v[30:31], v[158:159], v[166:167]
	v_add_f64 v[18:19], v[18:19], -v[172:173]
	v_fma_f64 v[30:31], v[156:157], v[28:29], -v[30:31]
	v_mul_f64 v[156:157], v[156:157], v[166:167]
	ds_read2_b64 v[172:175], v168 offset0:70 offset1:71
	v_fmac_f64_e32 v[156:157], v[158:159], v[28:29]
	s_waitcnt vmcnt(4)
	v_add_f64 v[14:15], v[14:15], -v[156:157]
	ds_read2_b64 v[156:159], v168 offset0:72 offset1:73
	v_add_f64 v[12:13], v[12:13], -v[30:31]
	s_waitcnt lgkmcnt(1)
	v_mul_f64 v[30:31], v[174:175], v[166:167]
	v_fma_f64 v[30:31], v[172:173], v[28:29], -v[30:31]
	v_mul_f64 v[172:173], v[172:173], v[166:167]
	v_fmac_f64_e32 v[172:173], v[174:175], v[28:29]
	s_waitcnt vmcnt(3)
	v_add_f64 v[8:9], v[8:9], -v[30:31]
	s_waitcnt lgkmcnt(0)
	v_mul_f64 v[30:31], v[158:159], v[166:167]
	v_add_f64 v[10:11], v[10:11], -v[172:173]
	v_fma_f64 v[30:31], v[156:157], v[28:29], -v[30:31]
	v_mul_f64 v[156:157], v[156:157], v[166:167]
	ds_read2_b64 v[172:175], v168 offset0:74 offset1:75
	v_fmac_f64_e32 v[156:157], v[158:159], v[28:29]
	s_waitcnt vmcnt(2)
	v_add_f64 v[6:7], v[6:7], -v[156:157]
	ds_read2_b64 v[156:159], v168 offset0:76 offset1:77
	v_add_f64 v[4:5], v[4:5], -v[30:31]
	s_waitcnt lgkmcnt(1)
	v_mul_f64 v[30:31], v[174:175], v[166:167]
	v_fma_f64 v[30:31], v[172:173], v[28:29], -v[30:31]
	s_waitcnt vmcnt(1)
	v_add_f64 v[0:1], v[0:1], -v[30:31]
	s_waitcnt lgkmcnt(0)
	v_mul_f64 v[30:31], v[158:159], v[166:167]
	v_mul_f64 v[172:173], v[172:173], v[166:167]
	v_fma_f64 v[30:31], v[156:157], v[28:29], -v[30:31]
	v_mul_f64 v[156:157], v[156:157], v[166:167]
	v_fmac_f64_e32 v[172:173], v[174:175], v[28:29]
	v_fmac_f64_e32 v[156:157], v[158:159], v[28:29]
	v_add_f64 v[2:3], v[2:3], -v[172:173]
	s_waitcnt vmcnt(0)
	v_add_f64 v[152:153], v[152:153], -v[30:31]
	v_add_f64 v[154:155], v[154:155], -v[156:157]
	v_mov_b64_e32 v[30:31], v[166:167]
.LBB76_650:
	s_or_b64 exec, exec, s[0:1]
	v_lshl_add_u32 v156, v169, 4, v168
	s_barrier
	s_waitcnt vmcnt(7)
	ds_write2_b64 v156, v[24:25], v[26:27] offset1:1
	s_waitcnt lgkmcnt(0)
	s_barrier
	ds_read2_b64 v[156:159], v168 offset0:62 offset1:63
	s_cmp_lt_i32 s20, 33
	v_mov_b32_e32 v166, 31
	s_cbranch_scc1 .LBB76_653
; %bb.651:
	v_add_u32_e32 v167, 0x200, v168
	s_mov_b32 s16, 32
	v_mov_b32_e32 v166, 31
.LBB76_652:                             ; =>This Inner Loop Header: Depth=1
	ds_read2_b64 v[172:175], v167 offset1:1
	s_waitcnt lgkmcnt(1)
	v_xor_b32_e32 v177, 0x80000000, v157
	v_xor_b32_e32 v179, 0x80000000, v159
	v_cmp_gt_f64_e32 vcc, 0, v[158:159]
	v_cmp_gt_f64_e64 s[0:1], 0, v[156:157]
	v_mov_b32_e32 v176, v156
	v_mov_b32_e32 v178, v158
	v_cndmask_b32_e64 v177, v157, v177, s[0:1]
	v_cndmask_b32_e32 v179, v159, v179, vcc
	v_add_f64 v[176:177], v[176:177], v[178:179]
	s_waitcnt lgkmcnt(0)
	v_xor_b32_e32 v179, 0x80000000, v173
	v_xor_b32_e32 v181, 0x80000000, v175
	v_cmp_gt_f64_e32 vcc, 0, v[174:175]
	v_cmp_gt_f64_e64 s[0:1], 0, v[172:173]
	v_mov_b32_e32 v178, v172
	v_mov_b32_e32 v180, v174
	v_cndmask_b32_e64 v179, v173, v179, s[0:1]
	v_cndmask_b32_e32 v181, v175, v181, vcc
	v_add_f64 v[178:179], v[178:179], v[180:181]
	v_mov_b32_e32 v182, s16
	s_add_i32 s16, s16, 1
	v_cmp_lt_f64_e32 vcc, v[176:177], v[178:179]
	v_add_u32_e32 v167, 16, v167
	s_cmp_lg_u32 s20, s16
	v_cndmask_b32_e32 v157, v157, v173, vcc
	v_cndmask_b32_e32 v156, v156, v172, vcc
	;; [unrolled: 1-line block ×5, first 2 shown]
	s_cbranch_scc1 .LBB76_652
.LBB76_653:
	s_waitcnt lgkmcnt(0)
	v_cmp_eq_f64_e32 vcc, 0, v[156:157]
	v_cmp_eq_f64_e64 s[0:1], 0, v[158:159]
	s_and_b64 s[0:1], vcc, s[0:1]
	s_and_saveexec_b64 s[16:17], s[0:1]
	s_xor_b64 s[0:1], exec, s[16:17]
; %bb.654:
	v_cmp_ne_u32_e32 vcc, 0, v170
	s_nop 1
	v_cndmask_b32_e32 v170, 32, v170, vcc
; %bb.655:
	s_andn2_saveexec_b64 s[0:1], s[0:1]
	s_cbranch_execz .LBB76_661
; %bb.656:
	v_cmp_ngt_f64_e64 s[16:17], |v[156:157]|, |v[158:159]|
	s_and_saveexec_b64 s[18:19], s[16:17]
	s_xor_b64 s[16:17], exec, s[18:19]
	s_cbranch_execz .LBB76_658
; %bb.657:
	v_div_scale_f64 v[172:173], s[18:19], v[158:159], v[158:159], v[156:157]
	v_rcp_f64_e32 v[174:175], v[172:173]
	v_div_scale_f64 v[176:177], vcc, v[156:157], v[158:159], v[156:157]
	v_fma_f64 v[178:179], -v[172:173], v[174:175], 1.0
	v_fmac_f64_e32 v[174:175], v[174:175], v[178:179]
	v_fma_f64 v[178:179], -v[172:173], v[174:175], 1.0
	v_fmac_f64_e32 v[174:175], v[174:175], v[178:179]
	v_mul_f64 v[178:179], v[176:177], v[174:175]
	v_fma_f64 v[172:173], -v[172:173], v[178:179], v[176:177]
	v_div_fmas_f64 v[172:173], v[172:173], v[174:175], v[178:179]
	v_div_fixup_f64 v[172:173], v[172:173], v[158:159], v[156:157]
	v_fmac_f64_e32 v[158:159], v[156:157], v[172:173]
	v_div_scale_f64 v[156:157], s[18:19], v[158:159], v[158:159], 1.0
	v_rcp_f64_e32 v[174:175], v[156:157]
	s_nop 0
	v_fma_f64 v[176:177], -v[156:157], v[174:175], 1.0
	v_fmac_f64_e32 v[174:175], v[174:175], v[176:177]
	v_fma_f64 v[176:177], -v[156:157], v[174:175], 1.0
	v_fmac_f64_e32 v[174:175], v[174:175], v[176:177]
	v_div_scale_f64 v[176:177], vcc, 1.0, v[158:159], 1.0
	v_mul_f64 v[178:179], v[176:177], v[174:175]
	v_fma_f64 v[156:157], -v[156:157], v[178:179], v[176:177]
	s_nop 1
	v_div_fmas_f64 v[156:157], v[156:157], v[174:175], v[178:179]
	v_div_fixup_f64 v[158:159], v[156:157], v[158:159], 1.0
	v_mul_f64 v[156:157], v[172:173], v[158:159]
	v_xor_b32_e32 v159, 0x80000000, v159
.LBB76_658:
	s_andn2_saveexec_b64 s[16:17], s[16:17]
	s_cbranch_execz .LBB76_660
; %bb.659:
	v_div_scale_f64 v[172:173], s[18:19], v[156:157], v[156:157], v[158:159]
	v_rcp_f64_e32 v[174:175], v[172:173]
	v_div_scale_f64 v[176:177], vcc, v[158:159], v[156:157], v[158:159]
	v_fma_f64 v[178:179], -v[172:173], v[174:175], 1.0
	v_fmac_f64_e32 v[174:175], v[174:175], v[178:179]
	v_fma_f64 v[178:179], -v[172:173], v[174:175], 1.0
	v_fmac_f64_e32 v[174:175], v[174:175], v[178:179]
	v_mul_f64 v[178:179], v[176:177], v[174:175]
	v_fma_f64 v[172:173], -v[172:173], v[178:179], v[176:177]
	v_div_fmas_f64 v[172:173], v[172:173], v[174:175], v[178:179]
	v_div_fixup_f64 v[172:173], v[172:173], v[156:157], v[158:159]
	v_fmac_f64_e32 v[156:157], v[158:159], v[172:173]
	v_div_scale_f64 v[158:159], s[18:19], v[156:157], v[156:157], 1.0
	v_rcp_f64_e32 v[174:175], v[158:159]
	s_nop 0
	v_fma_f64 v[176:177], -v[158:159], v[174:175], 1.0
	v_fmac_f64_e32 v[174:175], v[174:175], v[176:177]
	v_fma_f64 v[176:177], -v[158:159], v[174:175], 1.0
	v_fmac_f64_e32 v[174:175], v[174:175], v[176:177]
	v_div_scale_f64 v[176:177], vcc, 1.0, v[156:157], 1.0
	v_mul_f64 v[178:179], v[176:177], v[174:175]
	v_fma_f64 v[158:159], -v[158:159], v[178:179], v[176:177]
	s_nop 1
	v_div_fmas_f64 v[158:159], v[158:159], v[174:175], v[178:179]
	v_div_fixup_f64 v[156:157], v[158:159], v[156:157], 1.0
	v_mul_f64 v[158:159], v[172:173], -v[156:157]
.LBB76_660:
	s_or_b64 exec, exec, s[16:17]
.LBB76_661:
	s_or_b64 exec, exec, s[0:1]
	v_cmp_ne_u32_e32 vcc, v169, v166
	s_and_saveexec_b64 s[0:1], vcc
	s_xor_b64 s[0:1], exec, s[0:1]
	s_cbranch_execz .LBB76_667
; %bb.662:
	v_cmp_eq_u32_e32 vcc, 31, v169
	s_and_saveexec_b64 s[16:17], vcc
	s_cbranch_execz .LBB76_666
; %bb.663:
	v_cmp_ne_u32_e32 vcc, 31, v166
	s_xor_b64 s[18:19], s[14:15], -1
	s_and_b64 s[22:23], s[18:19], vcc
	s_and_saveexec_b64 s[18:19], s[22:23]
	s_cbranch_execz .LBB76_665
; %bb.664:
	v_ashrrev_i32_e32 v167, 31, v166
	v_lshl_add_u64 v[172:173], v[166:167], 2, v[164:165]
	global_load_dword v167, v[172:173], off
	global_load_dword v169, v[164:165], off offset:124
	s_waitcnt vmcnt(1)
	global_store_dword v[164:165], v167, off offset:124
	s_waitcnt vmcnt(1)
	global_store_dword v[172:173], v169, off
.LBB76_665:
	s_or_b64 exec, exec, s[18:19]
	v_mov_b32_e32 v169, v166
	v_mov_b32_e32 v171, v166
.LBB76_666:
	s_or_b64 exec, exec, s[16:17]
.LBB76_667:
	s_andn2_saveexec_b64 s[0:1], s[0:1]
	s_cbranch_execz .LBB76_669
; %bb.668:
	v_mov_b32_e32 v169, 31
	s_waitcnt vmcnt(6)
	ds_write2_b64 v168, v[20:21], v[22:23] offset0:64 offset1:65
	s_waitcnt vmcnt(5)
	ds_write2_b64 v168, v[16:17], v[18:19] offset0:66 offset1:67
	;; [unrolled: 2-line block ×7, first 2 shown]
.LBB76_669:
	s_or_b64 exec, exec, s[0:1]
	v_cmp_lt_i32_e32 vcc, 31, v169
	s_waitcnt lgkmcnt(0)
	s_barrier
	s_and_saveexec_b64 s[0:1], vcc
	s_cbranch_execz .LBB76_671
; %bb.670:
	ds_read2_b64 v[172:175], v168 offset0:64 offset1:65
	v_mul_f64 v[166:167], v[156:157], v[26:27]
	v_fmac_f64_e32 v[166:167], v[158:159], v[24:25]
	v_mul_f64 v[26:27], v[158:159], v[26:27]
	v_fma_f64 v[24:25], v[156:157], v[24:25], -v[26:27]
	ds_read2_b64 v[156:159], v168 offset0:66 offset1:67
	s_waitcnt lgkmcnt(1)
	v_mul_f64 v[26:27], v[174:175], v[166:167]
	v_fma_f64 v[26:27], v[172:173], v[24:25], -v[26:27]
	v_mul_f64 v[172:173], v[172:173], v[166:167]
	v_fmac_f64_e32 v[172:173], v[174:175], v[24:25]
	s_waitcnt vmcnt(6)
	v_add_f64 v[22:23], v[22:23], -v[172:173]
	ds_read2_b64 v[172:175], v168 offset0:68 offset1:69
	v_add_f64 v[20:21], v[20:21], -v[26:27]
	s_waitcnt lgkmcnt(1)
	v_mul_f64 v[26:27], v[158:159], v[166:167]
	v_fma_f64 v[26:27], v[156:157], v[24:25], -v[26:27]
	v_mul_f64 v[156:157], v[156:157], v[166:167]
	v_fmac_f64_e32 v[156:157], v[158:159], v[24:25]
	s_waitcnt vmcnt(5)
	v_add_f64 v[16:17], v[16:17], -v[26:27]
	v_add_f64 v[18:19], v[18:19], -v[156:157]
	ds_read2_b64 v[156:159], v168 offset0:70 offset1:71
	s_waitcnt lgkmcnt(1)
	v_mul_f64 v[26:27], v[174:175], v[166:167]
	v_fma_f64 v[26:27], v[172:173], v[24:25], -v[26:27]
	v_mul_f64 v[172:173], v[172:173], v[166:167]
	v_fmac_f64_e32 v[172:173], v[174:175], v[24:25]
	s_waitcnt vmcnt(4)
	v_add_f64 v[14:15], v[14:15], -v[172:173]
	ds_read2_b64 v[172:175], v168 offset0:72 offset1:73
	v_add_f64 v[12:13], v[12:13], -v[26:27]
	s_waitcnt lgkmcnt(1)
	v_mul_f64 v[26:27], v[158:159], v[166:167]
	v_fma_f64 v[26:27], v[156:157], v[24:25], -v[26:27]
	v_mul_f64 v[156:157], v[156:157], v[166:167]
	v_fmac_f64_e32 v[156:157], v[158:159], v[24:25]
	s_waitcnt vmcnt(3)
	v_add_f64 v[8:9], v[8:9], -v[26:27]
	v_add_f64 v[10:11], v[10:11], -v[156:157]
	;; [unrolled: 18-line block ×3, first 2 shown]
	s_waitcnt lgkmcnt(0)
	v_mul_f64 v[26:27], v[174:175], v[166:167]
	v_mul_f64 v[156:157], v[172:173], v[166:167]
	v_fma_f64 v[26:27], v[172:173], v[24:25], -v[26:27]
	v_fmac_f64_e32 v[156:157], v[174:175], v[24:25]
	s_waitcnt vmcnt(0)
	v_add_f64 v[152:153], v[152:153], -v[26:27]
	v_add_f64 v[154:155], v[154:155], -v[156:157]
	v_mov_b64_e32 v[26:27], v[166:167]
.LBB76_671:
	s_or_b64 exec, exec, s[0:1]
	v_lshl_add_u32 v156, v169, 4, v168
	s_barrier
	s_waitcnt vmcnt(6)
	ds_write2_b64 v156, v[20:21], v[22:23] offset1:1
	s_waitcnt lgkmcnt(0)
	s_barrier
	ds_read2_b64 v[156:159], v168 offset0:64 offset1:65
	s_cmp_lt_i32 s20, 34
	v_mov_b32_e32 v166, 32
	s_cbranch_scc1 .LBB76_674
; %bb.672:
	v_add_u32_e32 v167, 0x210, v168
	s_mov_b32 s16, 33
	v_mov_b32_e32 v166, 32
.LBB76_673:                             ; =>This Inner Loop Header: Depth=1
	ds_read2_b64 v[172:175], v167 offset1:1
	s_waitcnt lgkmcnt(1)
	v_xor_b32_e32 v177, 0x80000000, v157
	v_xor_b32_e32 v179, 0x80000000, v159
	v_cmp_gt_f64_e32 vcc, 0, v[158:159]
	v_cmp_gt_f64_e64 s[0:1], 0, v[156:157]
	v_mov_b32_e32 v176, v156
	v_mov_b32_e32 v178, v158
	v_cndmask_b32_e64 v177, v157, v177, s[0:1]
	v_cndmask_b32_e32 v179, v159, v179, vcc
	v_add_f64 v[176:177], v[176:177], v[178:179]
	s_waitcnt lgkmcnt(0)
	v_xor_b32_e32 v179, 0x80000000, v173
	v_xor_b32_e32 v181, 0x80000000, v175
	v_cmp_gt_f64_e32 vcc, 0, v[174:175]
	v_cmp_gt_f64_e64 s[0:1], 0, v[172:173]
	v_mov_b32_e32 v178, v172
	v_mov_b32_e32 v180, v174
	v_cndmask_b32_e64 v179, v173, v179, s[0:1]
	v_cndmask_b32_e32 v181, v175, v181, vcc
	v_add_f64 v[178:179], v[178:179], v[180:181]
	v_mov_b32_e32 v182, s16
	s_add_i32 s16, s16, 1
	v_cmp_lt_f64_e32 vcc, v[176:177], v[178:179]
	v_add_u32_e32 v167, 16, v167
	s_cmp_lg_u32 s20, s16
	v_cndmask_b32_e32 v157, v157, v173, vcc
	v_cndmask_b32_e32 v156, v156, v172, vcc
	;; [unrolled: 1-line block ×5, first 2 shown]
	s_cbranch_scc1 .LBB76_673
.LBB76_674:
	s_waitcnt lgkmcnt(0)
	v_cmp_eq_f64_e32 vcc, 0, v[156:157]
	v_cmp_eq_f64_e64 s[0:1], 0, v[158:159]
	s_and_b64 s[0:1], vcc, s[0:1]
	s_and_saveexec_b64 s[16:17], s[0:1]
	s_xor_b64 s[0:1], exec, s[16:17]
; %bb.675:
	v_cmp_ne_u32_e32 vcc, 0, v170
	s_nop 1
	v_cndmask_b32_e32 v170, 33, v170, vcc
; %bb.676:
	s_andn2_saveexec_b64 s[0:1], s[0:1]
	s_cbranch_execz .LBB76_682
; %bb.677:
	v_cmp_ngt_f64_e64 s[16:17], |v[156:157]|, |v[158:159]|
	s_and_saveexec_b64 s[18:19], s[16:17]
	s_xor_b64 s[16:17], exec, s[18:19]
	s_cbranch_execz .LBB76_679
; %bb.678:
	v_div_scale_f64 v[172:173], s[18:19], v[158:159], v[158:159], v[156:157]
	v_rcp_f64_e32 v[174:175], v[172:173]
	v_div_scale_f64 v[176:177], vcc, v[156:157], v[158:159], v[156:157]
	v_fma_f64 v[178:179], -v[172:173], v[174:175], 1.0
	v_fmac_f64_e32 v[174:175], v[174:175], v[178:179]
	v_fma_f64 v[178:179], -v[172:173], v[174:175], 1.0
	v_fmac_f64_e32 v[174:175], v[174:175], v[178:179]
	v_mul_f64 v[178:179], v[176:177], v[174:175]
	v_fma_f64 v[172:173], -v[172:173], v[178:179], v[176:177]
	v_div_fmas_f64 v[172:173], v[172:173], v[174:175], v[178:179]
	v_div_fixup_f64 v[172:173], v[172:173], v[158:159], v[156:157]
	v_fmac_f64_e32 v[158:159], v[156:157], v[172:173]
	v_div_scale_f64 v[156:157], s[18:19], v[158:159], v[158:159], 1.0
	v_rcp_f64_e32 v[174:175], v[156:157]
	s_nop 0
	v_fma_f64 v[176:177], -v[156:157], v[174:175], 1.0
	v_fmac_f64_e32 v[174:175], v[174:175], v[176:177]
	v_fma_f64 v[176:177], -v[156:157], v[174:175], 1.0
	v_fmac_f64_e32 v[174:175], v[174:175], v[176:177]
	v_div_scale_f64 v[176:177], vcc, 1.0, v[158:159], 1.0
	v_mul_f64 v[178:179], v[176:177], v[174:175]
	v_fma_f64 v[156:157], -v[156:157], v[178:179], v[176:177]
	s_nop 1
	v_div_fmas_f64 v[156:157], v[156:157], v[174:175], v[178:179]
	v_div_fixup_f64 v[158:159], v[156:157], v[158:159], 1.0
	v_mul_f64 v[156:157], v[172:173], v[158:159]
	v_xor_b32_e32 v159, 0x80000000, v159
.LBB76_679:
	s_andn2_saveexec_b64 s[16:17], s[16:17]
	s_cbranch_execz .LBB76_681
; %bb.680:
	v_div_scale_f64 v[172:173], s[18:19], v[156:157], v[156:157], v[158:159]
	v_rcp_f64_e32 v[174:175], v[172:173]
	v_div_scale_f64 v[176:177], vcc, v[158:159], v[156:157], v[158:159]
	v_fma_f64 v[178:179], -v[172:173], v[174:175], 1.0
	v_fmac_f64_e32 v[174:175], v[174:175], v[178:179]
	v_fma_f64 v[178:179], -v[172:173], v[174:175], 1.0
	v_fmac_f64_e32 v[174:175], v[174:175], v[178:179]
	v_mul_f64 v[178:179], v[176:177], v[174:175]
	v_fma_f64 v[172:173], -v[172:173], v[178:179], v[176:177]
	v_div_fmas_f64 v[172:173], v[172:173], v[174:175], v[178:179]
	v_div_fixup_f64 v[172:173], v[172:173], v[156:157], v[158:159]
	v_fmac_f64_e32 v[156:157], v[158:159], v[172:173]
	v_div_scale_f64 v[158:159], s[18:19], v[156:157], v[156:157], 1.0
	v_rcp_f64_e32 v[174:175], v[158:159]
	s_nop 0
	v_fma_f64 v[176:177], -v[158:159], v[174:175], 1.0
	v_fmac_f64_e32 v[174:175], v[174:175], v[176:177]
	v_fma_f64 v[176:177], -v[158:159], v[174:175], 1.0
	v_fmac_f64_e32 v[174:175], v[174:175], v[176:177]
	v_div_scale_f64 v[176:177], vcc, 1.0, v[156:157], 1.0
	v_mul_f64 v[178:179], v[176:177], v[174:175]
	v_fma_f64 v[158:159], -v[158:159], v[178:179], v[176:177]
	s_nop 1
	v_div_fmas_f64 v[158:159], v[158:159], v[174:175], v[178:179]
	v_div_fixup_f64 v[156:157], v[158:159], v[156:157], 1.0
	v_mul_f64 v[158:159], v[172:173], -v[156:157]
.LBB76_681:
	s_or_b64 exec, exec, s[16:17]
.LBB76_682:
	s_or_b64 exec, exec, s[0:1]
	v_cmp_ne_u32_e32 vcc, v169, v166
	s_and_saveexec_b64 s[0:1], vcc
	s_xor_b64 s[0:1], exec, s[0:1]
	s_cbranch_execz .LBB76_688
; %bb.683:
	v_cmp_eq_u32_e32 vcc, 32, v169
	s_and_saveexec_b64 s[16:17], vcc
	s_cbranch_execz .LBB76_687
; %bb.684:
	v_cmp_ne_u32_e32 vcc, 32, v166
	s_xor_b64 s[18:19], s[14:15], -1
	s_and_b64 s[22:23], s[18:19], vcc
	s_and_saveexec_b64 s[18:19], s[22:23]
	s_cbranch_execz .LBB76_686
; %bb.685:
	v_ashrrev_i32_e32 v167, 31, v166
	v_lshl_add_u64 v[172:173], v[166:167], 2, v[164:165]
	global_load_dword v167, v[172:173], off
	global_load_dword v169, v[164:165], off offset:128
	s_waitcnt vmcnt(1)
	global_store_dword v[164:165], v167, off offset:128
	s_waitcnt vmcnt(1)
	global_store_dword v[172:173], v169, off
.LBB76_686:
	s_or_b64 exec, exec, s[18:19]
	v_mov_b32_e32 v169, v166
	v_mov_b32_e32 v171, v166
.LBB76_687:
	s_or_b64 exec, exec, s[16:17]
.LBB76_688:
	s_andn2_saveexec_b64 s[0:1], s[0:1]
	s_cbranch_execz .LBB76_690
; %bb.689:
	v_mov_b32_e32 v169, 32
	s_waitcnt vmcnt(5)
	ds_write2_b64 v168, v[16:17], v[18:19] offset0:66 offset1:67
	s_waitcnt vmcnt(4)
	ds_write2_b64 v168, v[12:13], v[14:15] offset0:68 offset1:69
	;; [unrolled: 2-line block ×6, first 2 shown]
.LBB76_690:
	s_or_b64 exec, exec, s[0:1]
	v_cmp_lt_i32_e32 vcc, 32, v169
	s_waitcnt lgkmcnt(0)
	s_barrier
	s_and_saveexec_b64 s[0:1], vcc
	s_cbranch_execz .LBB76_692
; %bb.691:
	ds_read2_b64 v[172:175], v168 offset0:66 offset1:67
	v_mul_f64 v[166:167], v[156:157], v[22:23]
	v_mul_f64 v[22:23], v[158:159], v[22:23]
	v_fmac_f64_e32 v[166:167], v[158:159], v[20:21]
	v_fma_f64 v[20:21], v[156:157], v[20:21], -v[22:23]
	ds_read2_b64 v[156:159], v168 offset0:68 offset1:69
	s_waitcnt lgkmcnt(1)
	v_mul_f64 v[22:23], v[174:175], v[166:167]
	v_fma_f64 v[22:23], v[172:173], v[20:21], -v[22:23]
	v_mul_f64 v[172:173], v[172:173], v[166:167]
	v_fmac_f64_e32 v[172:173], v[174:175], v[20:21]
	s_waitcnt vmcnt(5)
	v_add_f64 v[16:17], v[16:17], -v[22:23]
	s_waitcnt lgkmcnt(0)
	v_mul_f64 v[22:23], v[158:159], v[166:167]
	v_add_f64 v[18:19], v[18:19], -v[172:173]
	v_fma_f64 v[22:23], v[156:157], v[20:21], -v[22:23]
	v_mul_f64 v[156:157], v[156:157], v[166:167]
	ds_read2_b64 v[172:175], v168 offset0:70 offset1:71
	v_fmac_f64_e32 v[156:157], v[158:159], v[20:21]
	s_waitcnt vmcnt(4)
	v_add_f64 v[14:15], v[14:15], -v[156:157]
	ds_read2_b64 v[156:159], v168 offset0:72 offset1:73
	v_add_f64 v[12:13], v[12:13], -v[22:23]
	s_waitcnt lgkmcnt(1)
	v_mul_f64 v[22:23], v[174:175], v[166:167]
	v_fma_f64 v[22:23], v[172:173], v[20:21], -v[22:23]
	v_mul_f64 v[172:173], v[172:173], v[166:167]
	v_fmac_f64_e32 v[172:173], v[174:175], v[20:21]
	s_waitcnt vmcnt(3)
	v_add_f64 v[8:9], v[8:9], -v[22:23]
	s_waitcnt lgkmcnt(0)
	v_mul_f64 v[22:23], v[158:159], v[166:167]
	v_add_f64 v[10:11], v[10:11], -v[172:173]
	v_fma_f64 v[22:23], v[156:157], v[20:21], -v[22:23]
	v_mul_f64 v[156:157], v[156:157], v[166:167]
	ds_read2_b64 v[172:175], v168 offset0:74 offset1:75
	v_fmac_f64_e32 v[156:157], v[158:159], v[20:21]
	s_waitcnt vmcnt(2)
	v_add_f64 v[6:7], v[6:7], -v[156:157]
	ds_read2_b64 v[156:159], v168 offset0:76 offset1:77
	v_add_f64 v[4:5], v[4:5], -v[22:23]
	s_waitcnt lgkmcnt(1)
	v_mul_f64 v[22:23], v[174:175], v[166:167]
	v_fma_f64 v[22:23], v[172:173], v[20:21], -v[22:23]
	s_waitcnt vmcnt(1)
	v_add_f64 v[0:1], v[0:1], -v[22:23]
	s_waitcnt lgkmcnt(0)
	v_mul_f64 v[22:23], v[158:159], v[166:167]
	v_mul_f64 v[172:173], v[172:173], v[166:167]
	v_fma_f64 v[22:23], v[156:157], v[20:21], -v[22:23]
	v_mul_f64 v[156:157], v[156:157], v[166:167]
	v_fmac_f64_e32 v[172:173], v[174:175], v[20:21]
	v_fmac_f64_e32 v[156:157], v[158:159], v[20:21]
	v_add_f64 v[2:3], v[2:3], -v[172:173]
	s_waitcnt vmcnt(0)
	v_add_f64 v[152:153], v[152:153], -v[22:23]
	v_add_f64 v[154:155], v[154:155], -v[156:157]
	v_mov_b64_e32 v[22:23], v[166:167]
.LBB76_692:
	s_or_b64 exec, exec, s[0:1]
	v_lshl_add_u32 v156, v169, 4, v168
	s_barrier
	s_waitcnt vmcnt(5)
	ds_write2_b64 v156, v[16:17], v[18:19] offset1:1
	s_waitcnt lgkmcnt(0)
	s_barrier
	ds_read2_b64 v[156:159], v168 offset0:66 offset1:67
	s_cmp_lt_i32 s20, 35
	v_mov_b32_e32 v166, 33
	s_cbranch_scc1 .LBB76_695
; %bb.693:
	v_add_u32_e32 v167, 0x220, v168
	s_mov_b32 s16, 34
	v_mov_b32_e32 v166, 33
.LBB76_694:                             ; =>This Inner Loop Header: Depth=1
	ds_read2_b64 v[172:175], v167 offset1:1
	s_waitcnt lgkmcnt(1)
	v_xor_b32_e32 v177, 0x80000000, v157
	v_xor_b32_e32 v179, 0x80000000, v159
	v_cmp_gt_f64_e32 vcc, 0, v[158:159]
	v_cmp_gt_f64_e64 s[0:1], 0, v[156:157]
	v_mov_b32_e32 v176, v156
	v_mov_b32_e32 v178, v158
	v_cndmask_b32_e64 v177, v157, v177, s[0:1]
	v_cndmask_b32_e32 v179, v159, v179, vcc
	v_add_f64 v[176:177], v[176:177], v[178:179]
	s_waitcnt lgkmcnt(0)
	v_xor_b32_e32 v179, 0x80000000, v173
	v_xor_b32_e32 v181, 0x80000000, v175
	v_cmp_gt_f64_e32 vcc, 0, v[174:175]
	v_cmp_gt_f64_e64 s[0:1], 0, v[172:173]
	v_mov_b32_e32 v178, v172
	v_mov_b32_e32 v180, v174
	v_cndmask_b32_e64 v179, v173, v179, s[0:1]
	v_cndmask_b32_e32 v181, v175, v181, vcc
	v_add_f64 v[178:179], v[178:179], v[180:181]
	v_mov_b32_e32 v182, s16
	s_add_i32 s16, s16, 1
	v_cmp_lt_f64_e32 vcc, v[176:177], v[178:179]
	v_add_u32_e32 v167, 16, v167
	s_cmp_lg_u32 s20, s16
	v_cndmask_b32_e32 v157, v157, v173, vcc
	v_cndmask_b32_e32 v156, v156, v172, vcc
	;; [unrolled: 1-line block ×5, first 2 shown]
	s_cbranch_scc1 .LBB76_694
.LBB76_695:
	s_waitcnt lgkmcnt(0)
	v_cmp_eq_f64_e32 vcc, 0, v[156:157]
	v_cmp_eq_f64_e64 s[0:1], 0, v[158:159]
	s_and_b64 s[0:1], vcc, s[0:1]
	s_and_saveexec_b64 s[16:17], s[0:1]
	s_xor_b64 s[0:1], exec, s[16:17]
; %bb.696:
	v_cmp_ne_u32_e32 vcc, 0, v170
	s_nop 1
	v_cndmask_b32_e32 v170, 34, v170, vcc
; %bb.697:
	s_andn2_saveexec_b64 s[0:1], s[0:1]
	s_cbranch_execz .LBB76_703
; %bb.698:
	v_cmp_ngt_f64_e64 s[16:17], |v[156:157]|, |v[158:159]|
	s_and_saveexec_b64 s[18:19], s[16:17]
	s_xor_b64 s[16:17], exec, s[18:19]
	s_cbranch_execz .LBB76_700
; %bb.699:
	v_div_scale_f64 v[172:173], s[18:19], v[158:159], v[158:159], v[156:157]
	v_rcp_f64_e32 v[174:175], v[172:173]
	v_div_scale_f64 v[176:177], vcc, v[156:157], v[158:159], v[156:157]
	v_fma_f64 v[178:179], -v[172:173], v[174:175], 1.0
	v_fmac_f64_e32 v[174:175], v[174:175], v[178:179]
	v_fma_f64 v[178:179], -v[172:173], v[174:175], 1.0
	v_fmac_f64_e32 v[174:175], v[174:175], v[178:179]
	v_mul_f64 v[178:179], v[176:177], v[174:175]
	v_fma_f64 v[172:173], -v[172:173], v[178:179], v[176:177]
	v_div_fmas_f64 v[172:173], v[172:173], v[174:175], v[178:179]
	v_div_fixup_f64 v[172:173], v[172:173], v[158:159], v[156:157]
	v_fmac_f64_e32 v[158:159], v[156:157], v[172:173]
	v_div_scale_f64 v[156:157], s[18:19], v[158:159], v[158:159], 1.0
	v_rcp_f64_e32 v[174:175], v[156:157]
	s_nop 0
	v_fma_f64 v[176:177], -v[156:157], v[174:175], 1.0
	v_fmac_f64_e32 v[174:175], v[174:175], v[176:177]
	v_fma_f64 v[176:177], -v[156:157], v[174:175], 1.0
	v_fmac_f64_e32 v[174:175], v[174:175], v[176:177]
	v_div_scale_f64 v[176:177], vcc, 1.0, v[158:159], 1.0
	v_mul_f64 v[178:179], v[176:177], v[174:175]
	v_fma_f64 v[156:157], -v[156:157], v[178:179], v[176:177]
	s_nop 1
	v_div_fmas_f64 v[156:157], v[156:157], v[174:175], v[178:179]
	v_div_fixup_f64 v[158:159], v[156:157], v[158:159], 1.0
	v_mul_f64 v[156:157], v[172:173], v[158:159]
	v_xor_b32_e32 v159, 0x80000000, v159
.LBB76_700:
	s_andn2_saveexec_b64 s[16:17], s[16:17]
	s_cbranch_execz .LBB76_702
; %bb.701:
	v_div_scale_f64 v[172:173], s[18:19], v[156:157], v[156:157], v[158:159]
	v_rcp_f64_e32 v[174:175], v[172:173]
	v_div_scale_f64 v[176:177], vcc, v[158:159], v[156:157], v[158:159]
	v_fma_f64 v[178:179], -v[172:173], v[174:175], 1.0
	v_fmac_f64_e32 v[174:175], v[174:175], v[178:179]
	v_fma_f64 v[178:179], -v[172:173], v[174:175], 1.0
	v_fmac_f64_e32 v[174:175], v[174:175], v[178:179]
	v_mul_f64 v[178:179], v[176:177], v[174:175]
	v_fma_f64 v[172:173], -v[172:173], v[178:179], v[176:177]
	v_div_fmas_f64 v[172:173], v[172:173], v[174:175], v[178:179]
	v_div_fixup_f64 v[172:173], v[172:173], v[156:157], v[158:159]
	v_fmac_f64_e32 v[156:157], v[158:159], v[172:173]
	v_div_scale_f64 v[158:159], s[18:19], v[156:157], v[156:157], 1.0
	v_rcp_f64_e32 v[174:175], v[158:159]
	s_nop 0
	v_fma_f64 v[176:177], -v[158:159], v[174:175], 1.0
	v_fmac_f64_e32 v[174:175], v[174:175], v[176:177]
	v_fma_f64 v[176:177], -v[158:159], v[174:175], 1.0
	v_fmac_f64_e32 v[174:175], v[174:175], v[176:177]
	v_div_scale_f64 v[176:177], vcc, 1.0, v[156:157], 1.0
	v_mul_f64 v[178:179], v[176:177], v[174:175]
	v_fma_f64 v[158:159], -v[158:159], v[178:179], v[176:177]
	s_nop 1
	v_div_fmas_f64 v[158:159], v[158:159], v[174:175], v[178:179]
	v_div_fixup_f64 v[156:157], v[158:159], v[156:157], 1.0
	v_mul_f64 v[158:159], v[172:173], -v[156:157]
.LBB76_702:
	s_or_b64 exec, exec, s[16:17]
.LBB76_703:
	s_or_b64 exec, exec, s[0:1]
	v_cmp_ne_u32_e32 vcc, v169, v166
	s_and_saveexec_b64 s[0:1], vcc
	s_xor_b64 s[0:1], exec, s[0:1]
	s_cbranch_execz .LBB76_709
; %bb.704:
	v_cmp_eq_u32_e32 vcc, 33, v169
	s_and_saveexec_b64 s[16:17], vcc
	s_cbranch_execz .LBB76_708
; %bb.705:
	v_cmp_ne_u32_e32 vcc, 33, v166
	s_xor_b64 s[18:19], s[14:15], -1
	s_and_b64 s[22:23], s[18:19], vcc
	s_and_saveexec_b64 s[18:19], s[22:23]
	s_cbranch_execz .LBB76_707
; %bb.706:
	v_ashrrev_i32_e32 v167, 31, v166
	v_lshl_add_u64 v[172:173], v[166:167], 2, v[164:165]
	global_load_dword v167, v[172:173], off
	global_load_dword v169, v[164:165], off offset:132
	s_waitcnt vmcnt(1)
	global_store_dword v[164:165], v167, off offset:132
	s_waitcnt vmcnt(1)
	global_store_dword v[172:173], v169, off
.LBB76_707:
	s_or_b64 exec, exec, s[18:19]
	v_mov_b32_e32 v169, v166
	v_mov_b32_e32 v171, v166
.LBB76_708:
	s_or_b64 exec, exec, s[16:17]
.LBB76_709:
	s_andn2_saveexec_b64 s[0:1], s[0:1]
	s_cbranch_execz .LBB76_711
; %bb.710:
	v_mov_b32_e32 v169, 33
	s_waitcnt vmcnt(4)
	ds_write2_b64 v168, v[12:13], v[14:15] offset0:68 offset1:69
	s_waitcnt vmcnt(3)
	ds_write2_b64 v168, v[8:9], v[10:11] offset0:70 offset1:71
	;; [unrolled: 2-line block ×5, first 2 shown]
.LBB76_711:
	s_or_b64 exec, exec, s[0:1]
	v_cmp_lt_i32_e32 vcc, 33, v169
	s_waitcnt lgkmcnt(0)
	s_barrier
	s_and_saveexec_b64 s[0:1], vcc
	s_cbranch_execz .LBB76_713
; %bb.712:
	ds_read2_b64 v[172:175], v168 offset0:68 offset1:69
	v_mul_f64 v[166:167], v[156:157], v[18:19]
	v_fmac_f64_e32 v[166:167], v[158:159], v[16:17]
	v_mul_f64 v[18:19], v[158:159], v[18:19]
	v_fma_f64 v[16:17], v[156:157], v[16:17], -v[18:19]
	ds_read2_b64 v[156:159], v168 offset0:70 offset1:71
	s_waitcnt lgkmcnt(1)
	v_mul_f64 v[18:19], v[174:175], v[166:167]
	v_fma_f64 v[18:19], v[172:173], v[16:17], -v[18:19]
	v_mul_f64 v[172:173], v[172:173], v[166:167]
	v_fmac_f64_e32 v[172:173], v[174:175], v[16:17]
	s_waitcnt vmcnt(4)
	v_add_f64 v[14:15], v[14:15], -v[172:173]
	ds_read2_b64 v[172:175], v168 offset0:72 offset1:73
	v_add_f64 v[12:13], v[12:13], -v[18:19]
	s_waitcnt lgkmcnt(1)
	v_mul_f64 v[18:19], v[158:159], v[166:167]
	v_fma_f64 v[18:19], v[156:157], v[16:17], -v[18:19]
	v_mul_f64 v[156:157], v[156:157], v[166:167]
	v_fmac_f64_e32 v[156:157], v[158:159], v[16:17]
	s_waitcnt vmcnt(3)
	v_add_f64 v[8:9], v[8:9], -v[18:19]
	v_add_f64 v[10:11], v[10:11], -v[156:157]
	ds_read2_b64 v[156:159], v168 offset0:74 offset1:75
	s_waitcnt lgkmcnt(1)
	v_mul_f64 v[18:19], v[174:175], v[166:167]
	v_fma_f64 v[18:19], v[172:173], v[16:17], -v[18:19]
	v_mul_f64 v[172:173], v[172:173], v[166:167]
	v_fmac_f64_e32 v[172:173], v[174:175], v[16:17]
	s_waitcnt vmcnt(2)
	v_add_f64 v[6:7], v[6:7], -v[172:173]
	ds_read2_b64 v[172:175], v168 offset0:76 offset1:77
	v_add_f64 v[4:5], v[4:5], -v[18:19]
	s_waitcnt lgkmcnt(1)
	v_mul_f64 v[18:19], v[158:159], v[166:167]
	v_fma_f64 v[18:19], v[156:157], v[16:17], -v[18:19]
	v_mul_f64 v[156:157], v[156:157], v[166:167]
	v_fmac_f64_e32 v[156:157], v[158:159], v[16:17]
	s_waitcnt vmcnt(1)
	v_add_f64 v[0:1], v[0:1], -v[18:19]
	v_add_f64 v[2:3], v[2:3], -v[156:157]
	s_waitcnt lgkmcnt(0)
	v_mul_f64 v[18:19], v[174:175], v[166:167]
	v_mul_f64 v[156:157], v[172:173], v[166:167]
	v_fma_f64 v[18:19], v[172:173], v[16:17], -v[18:19]
	v_fmac_f64_e32 v[156:157], v[174:175], v[16:17]
	s_waitcnt vmcnt(0)
	v_add_f64 v[152:153], v[152:153], -v[18:19]
	v_add_f64 v[154:155], v[154:155], -v[156:157]
	v_mov_b64_e32 v[18:19], v[166:167]
.LBB76_713:
	s_or_b64 exec, exec, s[0:1]
	v_lshl_add_u32 v156, v169, 4, v168
	s_barrier
	s_waitcnt vmcnt(4)
	ds_write2_b64 v156, v[12:13], v[14:15] offset1:1
	s_waitcnt lgkmcnt(0)
	s_barrier
	ds_read2_b64 v[156:159], v168 offset0:68 offset1:69
	s_cmp_lt_i32 s20, 36
	v_mov_b32_e32 v166, 34
	s_cbranch_scc1 .LBB76_716
; %bb.714:
	v_add_u32_e32 v167, 0x230, v168
	s_mov_b32 s16, 35
	v_mov_b32_e32 v166, 34
.LBB76_715:                             ; =>This Inner Loop Header: Depth=1
	ds_read2_b64 v[172:175], v167 offset1:1
	s_waitcnt lgkmcnt(1)
	v_xor_b32_e32 v177, 0x80000000, v157
	v_xor_b32_e32 v179, 0x80000000, v159
	v_cmp_gt_f64_e32 vcc, 0, v[158:159]
	v_cmp_gt_f64_e64 s[0:1], 0, v[156:157]
	v_mov_b32_e32 v176, v156
	v_mov_b32_e32 v178, v158
	v_cndmask_b32_e64 v177, v157, v177, s[0:1]
	v_cndmask_b32_e32 v179, v159, v179, vcc
	v_add_f64 v[176:177], v[176:177], v[178:179]
	s_waitcnt lgkmcnt(0)
	v_xor_b32_e32 v179, 0x80000000, v173
	v_xor_b32_e32 v181, 0x80000000, v175
	v_cmp_gt_f64_e32 vcc, 0, v[174:175]
	v_cmp_gt_f64_e64 s[0:1], 0, v[172:173]
	v_mov_b32_e32 v178, v172
	v_mov_b32_e32 v180, v174
	v_cndmask_b32_e64 v179, v173, v179, s[0:1]
	v_cndmask_b32_e32 v181, v175, v181, vcc
	v_add_f64 v[178:179], v[178:179], v[180:181]
	v_mov_b32_e32 v182, s16
	s_add_i32 s16, s16, 1
	v_cmp_lt_f64_e32 vcc, v[176:177], v[178:179]
	v_add_u32_e32 v167, 16, v167
	s_cmp_lg_u32 s20, s16
	v_cndmask_b32_e32 v157, v157, v173, vcc
	v_cndmask_b32_e32 v156, v156, v172, vcc
	;; [unrolled: 1-line block ×5, first 2 shown]
	s_cbranch_scc1 .LBB76_715
.LBB76_716:
	s_waitcnt lgkmcnt(0)
	v_cmp_eq_f64_e32 vcc, 0, v[156:157]
	v_cmp_eq_f64_e64 s[0:1], 0, v[158:159]
	s_and_b64 s[0:1], vcc, s[0:1]
	s_and_saveexec_b64 s[16:17], s[0:1]
	s_xor_b64 s[0:1], exec, s[16:17]
; %bb.717:
	v_cmp_ne_u32_e32 vcc, 0, v170
	s_nop 1
	v_cndmask_b32_e32 v170, 35, v170, vcc
; %bb.718:
	s_andn2_saveexec_b64 s[0:1], s[0:1]
	s_cbranch_execz .LBB76_724
; %bb.719:
	v_cmp_ngt_f64_e64 s[16:17], |v[156:157]|, |v[158:159]|
	s_and_saveexec_b64 s[18:19], s[16:17]
	s_xor_b64 s[16:17], exec, s[18:19]
	s_cbranch_execz .LBB76_721
; %bb.720:
	v_div_scale_f64 v[172:173], s[18:19], v[158:159], v[158:159], v[156:157]
	v_rcp_f64_e32 v[174:175], v[172:173]
	v_div_scale_f64 v[176:177], vcc, v[156:157], v[158:159], v[156:157]
	v_fma_f64 v[178:179], -v[172:173], v[174:175], 1.0
	v_fmac_f64_e32 v[174:175], v[174:175], v[178:179]
	v_fma_f64 v[178:179], -v[172:173], v[174:175], 1.0
	v_fmac_f64_e32 v[174:175], v[174:175], v[178:179]
	v_mul_f64 v[178:179], v[176:177], v[174:175]
	v_fma_f64 v[172:173], -v[172:173], v[178:179], v[176:177]
	v_div_fmas_f64 v[172:173], v[172:173], v[174:175], v[178:179]
	v_div_fixup_f64 v[172:173], v[172:173], v[158:159], v[156:157]
	v_fmac_f64_e32 v[158:159], v[156:157], v[172:173]
	v_div_scale_f64 v[156:157], s[18:19], v[158:159], v[158:159], 1.0
	v_rcp_f64_e32 v[174:175], v[156:157]
	s_nop 0
	v_fma_f64 v[176:177], -v[156:157], v[174:175], 1.0
	v_fmac_f64_e32 v[174:175], v[174:175], v[176:177]
	v_fma_f64 v[176:177], -v[156:157], v[174:175], 1.0
	v_fmac_f64_e32 v[174:175], v[174:175], v[176:177]
	v_div_scale_f64 v[176:177], vcc, 1.0, v[158:159], 1.0
	v_mul_f64 v[178:179], v[176:177], v[174:175]
	v_fma_f64 v[156:157], -v[156:157], v[178:179], v[176:177]
	s_nop 1
	v_div_fmas_f64 v[156:157], v[156:157], v[174:175], v[178:179]
	v_div_fixup_f64 v[158:159], v[156:157], v[158:159], 1.0
	v_mul_f64 v[156:157], v[172:173], v[158:159]
	v_xor_b32_e32 v159, 0x80000000, v159
.LBB76_721:
	s_andn2_saveexec_b64 s[16:17], s[16:17]
	s_cbranch_execz .LBB76_723
; %bb.722:
	v_div_scale_f64 v[172:173], s[18:19], v[156:157], v[156:157], v[158:159]
	v_rcp_f64_e32 v[174:175], v[172:173]
	v_div_scale_f64 v[176:177], vcc, v[158:159], v[156:157], v[158:159]
	v_fma_f64 v[178:179], -v[172:173], v[174:175], 1.0
	v_fmac_f64_e32 v[174:175], v[174:175], v[178:179]
	v_fma_f64 v[178:179], -v[172:173], v[174:175], 1.0
	v_fmac_f64_e32 v[174:175], v[174:175], v[178:179]
	v_mul_f64 v[178:179], v[176:177], v[174:175]
	v_fma_f64 v[172:173], -v[172:173], v[178:179], v[176:177]
	v_div_fmas_f64 v[172:173], v[172:173], v[174:175], v[178:179]
	v_div_fixup_f64 v[172:173], v[172:173], v[156:157], v[158:159]
	v_fmac_f64_e32 v[156:157], v[158:159], v[172:173]
	v_div_scale_f64 v[158:159], s[18:19], v[156:157], v[156:157], 1.0
	v_rcp_f64_e32 v[174:175], v[158:159]
	s_nop 0
	v_fma_f64 v[176:177], -v[158:159], v[174:175], 1.0
	v_fmac_f64_e32 v[174:175], v[174:175], v[176:177]
	v_fma_f64 v[176:177], -v[158:159], v[174:175], 1.0
	v_fmac_f64_e32 v[174:175], v[174:175], v[176:177]
	v_div_scale_f64 v[176:177], vcc, 1.0, v[156:157], 1.0
	v_mul_f64 v[178:179], v[176:177], v[174:175]
	v_fma_f64 v[158:159], -v[158:159], v[178:179], v[176:177]
	s_nop 1
	v_div_fmas_f64 v[158:159], v[158:159], v[174:175], v[178:179]
	v_div_fixup_f64 v[156:157], v[158:159], v[156:157], 1.0
	v_mul_f64 v[158:159], v[172:173], -v[156:157]
.LBB76_723:
	s_or_b64 exec, exec, s[16:17]
.LBB76_724:
	s_or_b64 exec, exec, s[0:1]
	v_cmp_ne_u32_e32 vcc, v169, v166
	s_and_saveexec_b64 s[0:1], vcc
	s_xor_b64 s[0:1], exec, s[0:1]
	s_cbranch_execz .LBB76_730
; %bb.725:
	v_cmp_eq_u32_e32 vcc, 34, v169
	s_and_saveexec_b64 s[16:17], vcc
	s_cbranch_execz .LBB76_729
; %bb.726:
	v_cmp_ne_u32_e32 vcc, 34, v166
	s_xor_b64 s[18:19], s[14:15], -1
	s_and_b64 s[22:23], s[18:19], vcc
	s_and_saveexec_b64 s[18:19], s[22:23]
	s_cbranch_execz .LBB76_728
; %bb.727:
	v_ashrrev_i32_e32 v167, 31, v166
	v_lshl_add_u64 v[172:173], v[166:167], 2, v[164:165]
	global_load_dword v167, v[172:173], off
	global_load_dword v169, v[164:165], off offset:136
	s_waitcnt vmcnt(1)
	global_store_dword v[164:165], v167, off offset:136
	s_waitcnt vmcnt(1)
	global_store_dword v[172:173], v169, off
.LBB76_728:
	s_or_b64 exec, exec, s[18:19]
	v_mov_b32_e32 v169, v166
	v_mov_b32_e32 v171, v166
.LBB76_729:
	s_or_b64 exec, exec, s[16:17]
.LBB76_730:
	s_andn2_saveexec_b64 s[0:1], s[0:1]
	s_cbranch_execz .LBB76_732
; %bb.731:
	v_mov_b32_e32 v169, 34
	s_waitcnt vmcnt(3)
	ds_write2_b64 v168, v[8:9], v[10:11] offset0:70 offset1:71
	s_waitcnt vmcnt(2)
	ds_write2_b64 v168, v[4:5], v[6:7] offset0:72 offset1:73
	;; [unrolled: 2-line block ×4, first 2 shown]
.LBB76_732:
	s_or_b64 exec, exec, s[0:1]
	v_cmp_lt_i32_e32 vcc, 34, v169
	s_waitcnt lgkmcnt(0)
	s_barrier
	s_and_saveexec_b64 s[0:1], vcc
	s_cbranch_execz .LBB76_734
; %bb.733:
	ds_read2_b64 v[172:175], v168 offset0:70 offset1:71
	v_mul_f64 v[166:167], v[156:157], v[14:15]
	v_mul_f64 v[14:15], v[158:159], v[14:15]
	v_fmac_f64_e32 v[166:167], v[158:159], v[12:13]
	v_fma_f64 v[12:13], v[156:157], v[12:13], -v[14:15]
	ds_read2_b64 v[156:159], v168 offset0:72 offset1:73
	s_waitcnt lgkmcnt(1)
	v_mul_f64 v[14:15], v[174:175], v[166:167]
	v_fma_f64 v[14:15], v[172:173], v[12:13], -v[14:15]
	v_mul_f64 v[172:173], v[172:173], v[166:167]
	v_fmac_f64_e32 v[172:173], v[174:175], v[12:13]
	s_waitcnt vmcnt(3)
	v_add_f64 v[8:9], v[8:9], -v[14:15]
	s_waitcnt lgkmcnt(0)
	v_mul_f64 v[14:15], v[158:159], v[166:167]
	v_add_f64 v[10:11], v[10:11], -v[172:173]
	v_fma_f64 v[14:15], v[156:157], v[12:13], -v[14:15]
	v_mul_f64 v[156:157], v[156:157], v[166:167]
	ds_read2_b64 v[172:175], v168 offset0:74 offset1:75
	v_fmac_f64_e32 v[156:157], v[158:159], v[12:13]
	s_waitcnt vmcnt(2)
	v_add_f64 v[6:7], v[6:7], -v[156:157]
	ds_read2_b64 v[156:159], v168 offset0:76 offset1:77
	v_add_f64 v[4:5], v[4:5], -v[14:15]
	s_waitcnt lgkmcnt(1)
	v_mul_f64 v[14:15], v[174:175], v[166:167]
	v_fma_f64 v[14:15], v[172:173], v[12:13], -v[14:15]
	s_waitcnt vmcnt(1)
	v_add_f64 v[0:1], v[0:1], -v[14:15]
	s_waitcnt lgkmcnt(0)
	v_mul_f64 v[14:15], v[158:159], v[166:167]
	v_mul_f64 v[172:173], v[172:173], v[166:167]
	v_fma_f64 v[14:15], v[156:157], v[12:13], -v[14:15]
	v_mul_f64 v[156:157], v[156:157], v[166:167]
	v_fmac_f64_e32 v[172:173], v[174:175], v[12:13]
	v_fmac_f64_e32 v[156:157], v[158:159], v[12:13]
	v_add_f64 v[2:3], v[2:3], -v[172:173]
	s_waitcnt vmcnt(0)
	v_add_f64 v[152:153], v[152:153], -v[14:15]
	v_add_f64 v[154:155], v[154:155], -v[156:157]
	v_mov_b64_e32 v[14:15], v[166:167]
.LBB76_734:
	s_or_b64 exec, exec, s[0:1]
	v_lshl_add_u32 v156, v169, 4, v168
	s_barrier
	s_waitcnt vmcnt(3)
	ds_write2_b64 v156, v[8:9], v[10:11] offset1:1
	s_waitcnt lgkmcnt(0)
	s_barrier
	ds_read2_b64 v[156:159], v168 offset0:70 offset1:71
	s_cmp_lt_i32 s20, 37
	v_mov_b32_e32 v166, 35
	s_cbranch_scc1 .LBB76_737
; %bb.735:
	v_add_u32_e32 v167, 0x240, v168
	s_mov_b32 s16, 36
	v_mov_b32_e32 v166, 35
.LBB76_736:                             ; =>This Inner Loop Header: Depth=1
	ds_read2_b64 v[172:175], v167 offset1:1
	s_waitcnt lgkmcnt(1)
	v_xor_b32_e32 v177, 0x80000000, v157
	v_xor_b32_e32 v179, 0x80000000, v159
	v_cmp_gt_f64_e32 vcc, 0, v[158:159]
	v_cmp_gt_f64_e64 s[0:1], 0, v[156:157]
	v_mov_b32_e32 v176, v156
	v_mov_b32_e32 v178, v158
	v_cndmask_b32_e64 v177, v157, v177, s[0:1]
	v_cndmask_b32_e32 v179, v159, v179, vcc
	v_add_f64 v[176:177], v[176:177], v[178:179]
	s_waitcnt lgkmcnt(0)
	v_xor_b32_e32 v179, 0x80000000, v173
	v_xor_b32_e32 v181, 0x80000000, v175
	v_cmp_gt_f64_e32 vcc, 0, v[174:175]
	v_cmp_gt_f64_e64 s[0:1], 0, v[172:173]
	v_mov_b32_e32 v178, v172
	v_mov_b32_e32 v180, v174
	v_cndmask_b32_e64 v179, v173, v179, s[0:1]
	v_cndmask_b32_e32 v181, v175, v181, vcc
	v_add_f64 v[178:179], v[178:179], v[180:181]
	v_mov_b32_e32 v182, s16
	s_add_i32 s16, s16, 1
	v_cmp_lt_f64_e32 vcc, v[176:177], v[178:179]
	v_add_u32_e32 v167, 16, v167
	s_cmp_lg_u32 s20, s16
	v_cndmask_b32_e32 v157, v157, v173, vcc
	v_cndmask_b32_e32 v156, v156, v172, vcc
	;; [unrolled: 1-line block ×5, first 2 shown]
	s_cbranch_scc1 .LBB76_736
.LBB76_737:
	s_waitcnt lgkmcnt(0)
	v_cmp_eq_f64_e32 vcc, 0, v[156:157]
	v_cmp_eq_f64_e64 s[0:1], 0, v[158:159]
	s_and_b64 s[0:1], vcc, s[0:1]
	s_and_saveexec_b64 s[16:17], s[0:1]
	s_xor_b64 s[0:1], exec, s[16:17]
; %bb.738:
	v_cmp_ne_u32_e32 vcc, 0, v170
	s_nop 1
	v_cndmask_b32_e32 v170, 36, v170, vcc
; %bb.739:
	s_andn2_saveexec_b64 s[0:1], s[0:1]
	s_cbranch_execz .LBB76_745
; %bb.740:
	v_cmp_ngt_f64_e64 s[16:17], |v[156:157]|, |v[158:159]|
	s_and_saveexec_b64 s[18:19], s[16:17]
	s_xor_b64 s[16:17], exec, s[18:19]
	s_cbranch_execz .LBB76_742
; %bb.741:
	v_div_scale_f64 v[172:173], s[18:19], v[158:159], v[158:159], v[156:157]
	v_rcp_f64_e32 v[174:175], v[172:173]
	v_div_scale_f64 v[176:177], vcc, v[156:157], v[158:159], v[156:157]
	v_fma_f64 v[178:179], -v[172:173], v[174:175], 1.0
	v_fmac_f64_e32 v[174:175], v[174:175], v[178:179]
	v_fma_f64 v[178:179], -v[172:173], v[174:175], 1.0
	v_fmac_f64_e32 v[174:175], v[174:175], v[178:179]
	v_mul_f64 v[178:179], v[176:177], v[174:175]
	v_fma_f64 v[172:173], -v[172:173], v[178:179], v[176:177]
	v_div_fmas_f64 v[172:173], v[172:173], v[174:175], v[178:179]
	v_div_fixup_f64 v[172:173], v[172:173], v[158:159], v[156:157]
	v_fmac_f64_e32 v[158:159], v[156:157], v[172:173]
	v_div_scale_f64 v[156:157], s[18:19], v[158:159], v[158:159], 1.0
	v_rcp_f64_e32 v[174:175], v[156:157]
	s_nop 0
	v_fma_f64 v[176:177], -v[156:157], v[174:175], 1.0
	v_fmac_f64_e32 v[174:175], v[174:175], v[176:177]
	v_fma_f64 v[176:177], -v[156:157], v[174:175], 1.0
	v_fmac_f64_e32 v[174:175], v[174:175], v[176:177]
	v_div_scale_f64 v[176:177], vcc, 1.0, v[158:159], 1.0
	v_mul_f64 v[178:179], v[176:177], v[174:175]
	v_fma_f64 v[156:157], -v[156:157], v[178:179], v[176:177]
	s_nop 1
	v_div_fmas_f64 v[156:157], v[156:157], v[174:175], v[178:179]
	v_div_fixup_f64 v[158:159], v[156:157], v[158:159], 1.0
	v_mul_f64 v[156:157], v[172:173], v[158:159]
	v_xor_b32_e32 v159, 0x80000000, v159
.LBB76_742:
	s_andn2_saveexec_b64 s[16:17], s[16:17]
	s_cbranch_execz .LBB76_744
; %bb.743:
	v_div_scale_f64 v[172:173], s[18:19], v[156:157], v[156:157], v[158:159]
	v_rcp_f64_e32 v[174:175], v[172:173]
	v_div_scale_f64 v[176:177], vcc, v[158:159], v[156:157], v[158:159]
	v_fma_f64 v[178:179], -v[172:173], v[174:175], 1.0
	v_fmac_f64_e32 v[174:175], v[174:175], v[178:179]
	v_fma_f64 v[178:179], -v[172:173], v[174:175], 1.0
	v_fmac_f64_e32 v[174:175], v[174:175], v[178:179]
	v_mul_f64 v[178:179], v[176:177], v[174:175]
	v_fma_f64 v[172:173], -v[172:173], v[178:179], v[176:177]
	v_div_fmas_f64 v[172:173], v[172:173], v[174:175], v[178:179]
	v_div_fixup_f64 v[172:173], v[172:173], v[156:157], v[158:159]
	v_fmac_f64_e32 v[156:157], v[158:159], v[172:173]
	v_div_scale_f64 v[158:159], s[18:19], v[156:157], v[156:157], 1.0
	v_rcp_f64_e32 v[174:175], v[158:159]
	s_nop 0
	v_fma_f64 v[176:177], -v[158:159], v[174:175], 1.0
	v_fmac_f64_e32 v[174:175], v[174:175], v[176:177]
	v_fma_f64 v[176:177], -v[158:159], v[174:175], 1.0
	v_fmac_f64_e32 v[174:175], v[174:175], v[176:177]
	v_div_scale_f64 v[176:177], vcc, 1.0, v[156:157], 1.0
	v_mul_f64 v[178:179], v[176:177], v[174:175]
	v_fma_f64 v[158:159], -v[158:159], v[178:179], v[176:177]
	s_nop 1
	v_div_fmas_f64 v[158:159], v[158:159], v[174:175], v[178:179]
	v_div_fixup_f64 v[156:157], v[158:159], v[156:157], 1.0
	v_mul_f64 v[158:159], v[172:173], -v[156:157]
.LBB76_744:
	s_or_b64 exec, exec, s[16:17]
.LBB76_745:
	s_or_b64 exec, exec, s[0:1]
	v_cmp_ne_u32_e32 vcc, v169, v166
	s_and_saveexec_b64 s[0:1], vcc
	s_xor_b64 s[0:1], exec, s[0:1]
	s_cbranch_execz .LBB76_751
; %bb.746:
	v_cmp_eq_u32_e32 vcc, 35, v169
	s_and_saveexec_b64 s[16:17], vcc
	s_cbranch_execz .LBB76_750
; %bb.747:
	v_cmp_ne_u32_e32 vcc, 35, v166
	s_xor_b64 s[18:19], s[14:15], -1
	s_and_b64 s[22:23], s[18:19], vcc
	s_and_saveexec_b64 s[18:19], s[22:23]
	s_cbranch_execz .LBB76_749
; %bb.748:
	v_ashrrev_i32_e32 v167, 31, v166
	v_lshl_add_u64 v[172:173], v[166:167], 2, v[164:165]
	global_load_dword v167, v[172:173], off
	global_load_dword v169, v[164:165], off offset:140
	s_waitcnt vmcnt(1)
	global_store_dword v[164:165], v167, off offset:140
	s_waitcnt vmcnt(1)
	global_store_dword v[172:173], v169, off
.LBB76_749:
	s_or_b64 exec, exec, s[18:19]
	v_mov_b32_e32 v169, v166
	v_mov_b32_e32 v171, v166
.LBB76_750:
	s_or_b64 exec, exec, s[16:17]
.LBB76_751:
	s_andn2_saveexec_b64 s[0:1], s[0:1]
	s_cbranch_execz .LBB76_753
; %bb.752:
	v_mov_b32_e32 v169, 35
	s_waitcnt vmcnt(2)
	ds_write2_b64 v168, v[4:5], v[6:7] offset0:72 offset1:73
	s_waitcnt vmcnt(1)
	ds_write2_b64 v168, v[0:1], v[2:3] offset0:74 offset1:75
	;; [unrolled: 2-line block ×3, first 2 shown]
.LBB76_753:
	s_or_b64 exec, exec, s[0:1]
	v_cmp_lt_i32_e32 vcc, 35, v169
	s_waitcnt lgkmcnt(0)
	s_barrier
	s_and_saveexec_b64 s[0:1], vcc
	s_cbranch_execz .LBB76_755
; %bb.754:
	ds_read2_b64 v[172:175], v168 offset0:72 offset1:73
	v_mul_f64 v[166:167], v[156:157], v[10:11]
	v_fmac_f64_e32 v[166:167], v[158:159], v[8:9]
	v_mul_f64 v[10:11], v[158:159], v[10:11]
	v_fma_f64 v[8:9], v[156:157], v[8:9], -v[10:11]
	ds_read2_b64 v[156:159], v168 offset0:74 offset1:75
	s_waitcnt lgkmcnt(1)
	v_mul_f64 v[10:11], v[174:175], v[166:167]
	v_fma_f64 v[10:11], v[172:173], v[8:9], -v[10:11]
	v_mul_f64 v[172:173], v[172:173], v[166:167]
	v_fmac_f64_e32 v[172:173], v[174:175], v[8:9]
	s_waitcnt vmcnt(2)
	v_add_f64 v[6:7], v[6:7], -v[172:173]
	ds_read2_b64 v[172:175], v168 offset0:76 offset1:77
	v_add_f64 v[4:5], v[4:5], -v[10:11]
	s_waitcnt lgkmcnt(1)
	v_mul_f64 v[10:11], v[158:159], v[166:167]
	v_fma_f64 v[10:11], v[156:157], v[8:9], -v[10:11]
	v_mul_f64 v[156:157], v[156:157], v[166:167]
	v_fmac_f64_e32 v[156:157], v[158:159], v[8:9]
	s_waitcnt vmcnt(1)
	v_add_f64 v[0:1], v[0:1], -v[10:11]
	v_add_f64 v[2:3], v[2:3], -v[156:157]
	s_waitcnt lgkmcnt(0)
	v_mul_f64 v[10:11], v[174:175], v[166:167]
	v_mul_f64 v[156:157], v[172:173], v[166:167]
	v_fma_f64 v[10:11], v[172:173], v[8:9], -v[10:11]
	v_fmac_f64_e32 v[156:157], v[174:175], v[8:9]
	s_waitcnt vmcnt(0)
	v_add_f64 v[152:153], v[152:153], -v[10:11]
	v_add_f64 v[154:155], v[154:155], -v[156:157]
	v_mov_b64_e32 v[10:11], v[166:167]
.LBB76_755:
	s_or_b64 exec, exec, s[0:1]
	v_lshl_add_u32 v156, v169, 4, v168
	s_barrier
	s_waitcnt vmcnt(2)
	ds_write2_b64 v156, v[4:5], v[6:7] offset1:1
	s_waitcnt lgkmcnt(0)
	s_barrier
	ds_read2_b64 v[156:159], v168 offset0:72 offset1:73
	s_cmp_lt_i32 s20, 38
	v_mov_b32_e32 v166, 36
	s_cbranch_scc1 .LBB76_758
; %bb.756:
	v_add_u32_e32 v167, 0x250, v168
	s_mov_b32 s16, 37
	v_mov_b32_e32 v166, 36
.LBB76_757:                             ; =>This Inner Loop Header: Depth=1
	ds_read2_b64 v[172:175], v167 offset1:1
	s_waitcnt lgkmcnt(1)
	v_xor_b32_e32 v177, 0x80000000, v157
	v_xor_b32_e32 v179, 0x80000000, v159
	v_cmp_gt_f64_e32 vcc, 0, v[158:159]
	v_cmp_gt_f64_e64 s[0:1], 0, v[156:157]
	v_mov_b32_e32 v176, v156
	v_mov_b32_e32 v178, v158
	v_cndmask_b32_e64 v177, v157, v177, s[0:1]
	v_cndmask_b32_e32 v179, v159, v179, vcc
	v_add_f64 v[176:177], v[176:177], v[178:179]
	s_waitcnt lgkmcnt(0)
	v_xor_b32_e32 v179, 0x80000000, v173
	v_xor_b32_e32 v181, 0x80000000, v175
	v_cmp_gt_f64_e32 vcc, 0, v[174:175]
	v_cmp_gt_f64_e64 s[0:1], 0, v[172:173]
	v_mov_b32_e32 v178, v172
	v_mov_b32_e32 v180, v174
	v_cndmask_b32_e64 v179, v173, v179, s[0:1]
	v_cndmask_b32_e32 v181, v175, v181, vcc
	v_add_f64 v[178:179], v[178:179], v[180:181]
	v_mov_b32_e32 v182, s16
	s_add_i32 s16, s16, 1
	v_cmp_lt_f64_e32 vcc, v[176:177], v[178:179]
	v_add_u32_e32 v167, 16, v167
	s_cmp_lg_u32 s20, s16
	v_cndmask_b32_e32 v157, v157, v173, vcc
	v_cndmask_b32_e32 v156, v156, v172, vcc
	;; [unrolled: 1-line block ×5, first 2 shown]
	s_cbranch_scc1 .LBB76_757
.LBB76_758:
	s_waitcnt lgkmcnt(0)
	v_cmp_eq_f64_e32 vcc, 0, v[156:157]
	v_cmp_eq_f64_e64 s[0:1], 0, v[158:159]
	s_and_b64 s[0:1], vcc, s[0:1]
	s_and_saveexec_b64 s[16:17], s[0:1]
	s_xor_b64 s[0:1], exec, s[16:17]
; %bb.759:
	v_cmp_ne_u32_e32 vcc, 0, v170
	s_nop 1
	v_cndmask_b32_e32 v170, 37, v170, vcc
; %bb.760:
	s_andn2_saveexec_b64 s[0:1], s[0:1]
	s_cbranch_execz .LBB76_766
; %bb.761:
	v_cmp_ngt_f64_e64 s[16:17], |v[156:157]|, |v[158:159]|
	s_and_saveexec_b64 s[18:19], s[16:17]
	s_xor_b64 s[16:17], exec, s[18:19]
	s_cbranch_execz .LBB76_763
; %bb.762:
	v_div_scale_f64 v[172:173], s[18:19], v[158:159], v[158:159], v[156:157]
	v_rcp_f64_e32 v[174:175], v[172:173]
	v_div_scale_f64 v[176:177], vcc, v[156:157], v[158:159], v[156:157]
	v_fma_f64 v[178:179], -v[172:173], v[174:175], 1.0
	v_fmac_f64_e32 v[174:175], v[174:175], v[178:179]
	v_fma_f64 v[178:179], -v[172:173], v[174:175], 1.0
	v_fmac_f64_e32 v[174:175], v[174:175], v[178:179]
	v_mul_f64 v[178:179], v[176:177], v[174:175]
	v_fma_f64 v[172:173], -v[172:173], v[178:179], v[176:177]
	v_div_fmas_f64 v[172:173], v[172:173], v[174:175], v[178:179]
	v_div_fixup_f64 v[172:173], v[172:173], v[158:159], v[156:157]
	v_fmac_f64_e32 v[158:159], v[156:157], v[172:173]
	v_div_scale_f64 v[156:157], s[18:19], v[158:159], v[158:159], 1.0
	v_rcp_f64_e32 v[174:175], v[156:157]
	s_nop 0
	v_fma_f64 v[176:177], -v[156:157], v[174:175], 1.0
	v_fmac_f64_e32 v[174:175], v[174:175], v[176:177]
	v_fma_f64 v[176:177], -v[156:157], v[174:175], 1.0
	v_fmac_f64_e32 v[174:175], v[174:175], v[176:177]
	v_div_scale_f64 v[176:177], vcc, 1.0, v[158:159], 1.0
	v_mul_f64 v[178:179], v[176:177], v[174:175]
	v_fma_f64 v[156:157], -v[156:157], v[178:179], v[176:177]
	s_nop 1
	v_div_fmas_f64 v[156:157], v[156:157], v[174:175], v[178:179]
	v_div_fixup_f64 v[158:159], v[156:157], v[158:159], 1.0
	v_mul_f64 v[156:157], v[172:173], v[158:159]
	v_xor_b32_e32 v159, 0x80000000, v159
.LBB76_763:
	s_andn2_saveexec_b64 s[16:17], s[16:17]
	s_cbranch_execz .LBB76_765
; %bb.764:
	v_div_scale_f64 v[172:173], s[18:19], v[156:157], v[156:157], v[158:159]
	v_rcp_f64_e32 v[174:175], v[172:173]
	v_div_scale_f64 v[176:177], vcc, v[158:159], v[156:157], v[158:159]
	v_fma_f64 v[178:179], -v[172:173], v[174:175], 1.0
	v_fmac_f64_e32 v[174:175], v[174:175], v[178:179]
	v_fma_f64 v[178:179], -v[172:173], v[174:175], 1.0
	v_fmac_f64_e32 v[174:175], v[174:175], v[178:179]
	v_mul_f64 v[178:179], v[176:177], v[174:175]
	v_fma_f64 v[172:173], -v[172:173], v[178:179], v[176:177]
	v_div_fmas_f64 v[172:173], v[172:173], v[174:175], v[178:179]
	v_div_fixup_f64 v[172:173], v[172:173], v[156:157], v[158:159]
	v_fmac_f64_e32 v[156:157], v[158:159], v[172:173]
	v_div_scale_f64 v[158:159], s[18:19], v[156:157], v[156:157], 1.0
	v_rcp_f64_e32 v[174:175], v[158:159]
	s_nop 0
	v_fma_f64 v[176:177], -v[158:159], v[174:175], 1.0
	v_fmac_f64_e32 v[174:175], v[174:175], v[176:177]
	v_fma_f64 v[176:177], -v[158:159], v[174:175], 1.0
	v_fmac_f64_e32 v[174:175], v[174:175], v[176:177]
	v_div_scale_f64 v[176:177], vcc, 1.0, v[156:157], 1.0
	v_mul_f64 v[178:179], v[176:177], v[174:175]
	v_fma_f64 v[158:159], -v[158:159], v[178:179], v[176:177]
	s_nop 1
	v_div_fmas_f64 v[158:159], v[158:159], v[174:175], v[178:179]
	v_div_fixup_f64 v[156:157], v[158:159], v[156:157], 1.0
	v_mul_f64 v[158:159], v[172:173], -v[156:157]
.LBB76_765:
	s_or_b64 exec, exec, s[16:17]
.LBB76_766:
	s_or_b64 exec, exec, s[0:1]
	v_cmp_ne_u32_e32 vcc, v169, v166
	s_and_saveexec_b64 s[0:1], vcc
	s_xor_b64 s[0:1], exec, s[0:1]
	s_cbranch_execz .LBB76_772
; %bb.767:
	v_cmp_eq_u32_e32 vcc, 36, v169
	s_and_saveexec_b64 s[16:17], vcc
	s_cbranch_execz .LBB76_771
; %bb.768:
	v_cmp_ne_u32_e32 vcc, 36, v166
	s_xor_b64 s[18:19], s[14:15], -1
	s_and_b64 s[22:23], s[18:19], vcc
	s_and_saveexec_b64 s[18:19], s[22:23]
	s_cbranch_execz .LBB76_770
; %bb.769:
	v_ashrrev_i32_e32 v167, 31, v166
	v_lshl_add_u64 v[172:173], v[166:167], 2, v[164:165]
	global_load_dword v167, v[172:173], off
	global_load_dword v169, v[164:165], off offset:144
	s_waitcnt vmcnt(1)
	global_store_dword v[164:165], v167, off offset:144
	s_waitcnt vmcnt(1)
	global_store_dword v[172:173], v169, off
.LBB76_770:
	s_or_b64 exec, exec, s[18:19]
	v_mov_b32_e32 v169, v166
	v_mov_b32_e32 v171, v166
.LBB76_771:
	s_or_b64 exec, exec, s[16:17]
.LBB76_772:
	s_andn2_saveexec_b64 s[0:1], s[0:1]
	s_cbranch_execz .LBB76_774
; %bb.773:
	v_mov_b32_e32 v169, 36
	s_waitcnt vmcnt(1)
	ds_write2_b64 v168, v[0:1], v[2:3] offset0:74 offset1:75
	s_waitcnt vmcnt(0)
	ds_write2_b64 v168, v[152:153], v[154:155] offset0:76 offset1:77
.LBB76_774:
	s_or_b64 exec, exec, s[0:1]
	v_cmp_lt_i32_e32 vcc, 36, v169
	s_waitcnt lgkmcnt(0)
	s_barrier
	s_and_saveexec_b64 s[0:1], vcc
	s_cbranch_execz .LBB76_776
; %bb.775:
	ds_read2_b64 v[172:175], v168 offset0:74 offset1:75
	v_mul_f64 v[166:167], v[156:157], v[6:7]
	v_mul_f64 v[6:7], v[158:159], v[6:7]
	v_fmac_f64_e32 v[166:167], v[158:159], v[4:5]
	v_fma_f64 v[4:5], v[156:157], v[4:5], -v[6:7]
	ds_read2_b64 v[156:159], v168 offset0:76 offset1:77
	s_waitcnt lgkmcnt(1)
	v_mul_f64 v[6:7], v[174:175], v[166:167]
	v_fma_f64 v[6:7], v[172:173], v[4:5], -v[6:7]
	s_waitcnt vmcnt(1)
	v_add_f64 v[0:1], v[0:1], -v[6:7]
	v_mul_f64 v[172:173], v[172:173], v[166:167]
	s_waitcnt lgkmcnt(0)
	v_mul_f64 v[6:7], v[158:159], v[166:167]
	v_fma_f64 v[6:7], v[156:157], v[4:5], -v[6:7]
	v_mul_f64 v[156:157], v[156:157], v[166:167]
	v_fmac_f64_e32 v[172:173], v[174:175], v[4:5]
	v_fmac_f64_e32 v[156:157], v[158:159], v[4:5]
	v_add_f64 v[2:3], v[2:3], -v[172:173]
	s_waitcnt vmcnt(0)
	v_add_f64 v[152:153], v[152:153], -v[6:7]
	v_add_f64 v[154:155], v[154:155], -v[156:157]
	v_mov_b64_e32 v[6:7], v[166:167]
.LBB76_776:
	s_or_b64 exec, exec, s[0:1]
	v_lshl_add_u32 v156, v169, 4, v168
	s_barrier
	s_waitcnt vmcnt(1)
	ds_write2_b64 v156, v[0:1], v[2:3] offset1:1
	s_waitcnt lgkmcnt(0)
	s_barrier
	ds_read2_b64 v[156:159], v168 offset0:74 offset1:75
	s_cmp_lt_i32 s20, 39
	v_mov_b32_e32 v166, 37
	s_cbranch_scc1 .LBB76_779
; %bb.777:
	v_add_u32_e32 v167, 0x260, v168
	s_mov_b32 s16, 38
	v_mov_b32_e32 v166, 37
.LBB76_778:                             ; =>This Inner Loop Header: Depth=1
	ds_read2_b64 v[172:175], v167 offset1:1
	s_waitcnt lgkmcnt(1)
	v_xor_b32_e32 v177, 0x80000000, v157
	v_xor_b32_e32 v179, 0x80000000, v159
	v_cmp_gt_f64_e32 vcc, 0, v[158:159]
	v_cmp_gt_f64_e64 s[0:1], 0, v[156:157]
	v_mov_b32_e32 v176, v156
	v_mov_b32_e32 v178, v158
	v_cndmask_b32_e64 v177, v157, v177, s[0:1]
	v_cndmask_b32_e32 v179, v159, v179, vcc
	v_add_f64 v[176:177], v[176:177], v[178:179]
	s_waitcnt lgkmcnt(0)
	v_xor_b32_e32 v179, 0x80000000, v173
	v_xor_b32_e32 v181, 0x80000000, v175
	v_cmp_gt_f64_e32 vcc, 0, v[174:175]
	v_cmp_gt_f64_e64 s[0:1], 0, v[172:173]
	v_mov_b32_e32 v178, v172
	v_mov_b32_e32 v180, v174
	v_cndmask_b32_e64 v179, v173, v179, s[0:1]
	v_cndmask_b32_e32 v181, v175, v181, vcc
	v_add_f64 v[178:179], v[178:179], v[180:181]
	v_mov_b32_e32 v182, s16
	s_add_i32 s16, s16, 1
	v_cmp_lt_f64_e32 vcc, v[176:177], v[178:179]
	v_add_u32_e32 v167, 16, v167
	s_cmp_lg_u32 s20, s16
	v_cndmask_b32_e32 v157, v157, v173, vcc
	v_cndmask_b32_e32 v156, v156, v172, vcc
	;; [unrolled: 1-line block ×5, first 2 shown]
	s_cbranch_scc1 .LBB76_778
.LBB76_779:
	s_waitcnt lgkmcnt(0)
	v_cmp_eq_f64_e32 vcc, 0, v[156:157]
	v_cmp_eq_f64_e64 s[0:1], 0, v[158:159]
	s_and_b64 s[0:1], vcc, s[0:1]
	s_and_saveexec_b64 s[16:17], s[0:1]
	s_xor_b64 s[0:1], exec, s[16:17]
; %bb.780:
	v_cmp_ne_u32_e32 vcc, 0, v170
	s_nop 1
	v_cndmask_b32_e32 v170, 38, v170, vcc
; %bb.781:
	s_andn2_saveexec_b64 s[0:1], s[0:1]
	s_cbranch_execz .LBB76_787
; %bb.782:
	v_cmp_ngt_f64_e64 s[16:17], |v[156:157]|, |v[158:159]|
	s_and_saveexec_b64 s[18:19], s[16:17]
	s_xor_b64 s[16:17], exec, s[18:19]
	s_cbranch_execz .LBB76_784
; %bb.783:
	v_div_scale_f64 v[172:173], s[18:19], v[158:159], v[158:159], v[156:157]
	v_rcp_f64_e32 v[174:175], v[172:173]
	v_div_scale_f64 v[176:177], vcc, v[156:157], v[158:159], v[156:157]
	v_fma_f64 v[178:179], -v[172:173], v[174:175], 1.0
	v_fmac_f64_e32 v[174:175], v[174:175], v[178:179]
	v_fma_f64 v[178:179], -v[172:173], v[174:175], 1.0
	v_fmac_f64_e32 v[174:175], v[174:175], v[178:179]
	v_mul_f64 v[178:179], v[176:177], v[174:175]
	v_fma_f64 v[172:173], -v[172:173], v[178:179], v[176:177]
	v_div_fmas_f64 v[172:173], v[172:173], v[174:175], v[178:179]
	v_div_fixup_f64 v[172:173], v[172:173], v[158:159], v[156:157]
	v_fmac_f64_e32 v[158:159], v[156:157], v[172:173]
	v_div_scale_f64 v[156:157], s[18:19], v[158:159], v[158:159], 1.0
	v_rcp_f64_e32 v[174:175], v[156:157]
	s_nop 0
	v_fma_f64 v[176:177], -v[156:157], v[174:175], 1.0
	v_fmac_f64_e32 v[174:175], v[174:175], v[176:177]
	v_fma_f64 v[176:177], -v[156:157], v[174:175], 1.0
	v_fmac_f64_e32 v[174:175], v[174:175], v[176:177]
	v_div_scale_f64 v[176:177], vcc, 1.0, v[158:159], 1.0
	v_mul_f64 v[178:179], v[176:177], v[174:175]
	v_fma_f64 v[156:157], -v[156:157], v[178:179], v[176:177]
	s_nop 1
	v_div_fmas_f64 v[156:157], v[156:157], v[174:175], v[178:179]
	v_div_fixup_f64 v[158:159], v[156:157], v[158:159], 1.0
	v_mul_f64 v[156:157], v[172:173], v[158:159]
	v_xor_b32_e32 v159, 0x80000000, v159
.LBB76_784:
	s_andn2_saveexec_b64 s[16:17], s[16:17]
	s_cbranch_execz .LBB76_786
; %bb.785:
	v_div_scale_f64 v[172:173], s[18:19], v[156:157], v[156:157], v[158:159]
	v_rcp_f64_e32 v[174:175], v[172:173]
	v_div_scale_f64 v[176:177], vcc, v[158:159], v[156:157], v[158:159]
	v_fma_f64 v[178:179], -v[172:173], v[174:175], 1.0
	v_fmac_f64_e32 v[174:175], v[174:175], v[178:179]
	v_fma_f64 v[178:179], -v[172:173], v[174:175], 1.0
	v_fmac_f64_e32 v[174:175], v[174:175], v[178:179]
	v_mul_f64 v[178:179], v[176:177], v[174:175]
	v_fma_f64 v[172:173], -v[172:173], v[178:179], v[176:177]
	v_div_fmas_f64 v[172:173], v[172:173], v[174:175], v[178:179]
	v_div_fixup_f64 v[172:173], v[172:173], v[156:157], v[158:159]
	v_fmac_f64_e32 v[156:157], v[158:159], v[172:173]
	v_div_scale_f64 v[158:159], s[18:19], v[156:157], v[156:157], 1.0
	v_rcp_f64_e32 v[174:175], v[158:159]
	s_nop 0
	v_fma_f64 v[176:177], -v[158:159], v[174:175], 1.0
	v_fmac_f64_e32 v[174:175], v[174:175], v[176:177]
	v_fma_f64 v[176:177], -v[158:159], v[174:175], 1.0
	v_fmac_f64_e32 v[174:175], v[174:175], v[176:177]
	v_div_scale_f64 v[176:177], vcc, 1.0, v[156:157], 1.0
	v_mul_f64 v[178:179], v[176:177], v[174:175]
	v_fma_f64 v[158:159], -v[158:159], v[178:179], v[176:177]
	s_nop 1
	v_div_fmas_f64 v[158:159], v[158:159], v[174:175], v[178:179]
	v_div_fixup_f64 v[156:157], v[158:159], v[156:157], 1.0
	v_mul_f64 v[158:159], v[172:173], -v[156:157]
.LBB76_786:
	s_or_b64 exec, exec, s[16:17]
.LBB76_787:
	s_or_b64 exec, exec, s[0:1]
	v_cmp_ne_u32_e32 vcc, v169, v166
	s_and_saveexec_b64 s[0:1], vcc
	s_xor_b64 s[0:1], exec, s[0:1]
	s_cbranch_execz .LBB76_793
; %bb.788:
	v_cmp_eq_u32_e32 vcc, 37, v169
	s_and_saveexec_b64 s[16:17], vcc
	s_cbranch_execz .LBB76_792
; %bb.789:
	v_cmp_ne_u32_e32 vcc, 37, v166
	s_xor_b64 s[18:19], s[14:15], -1
	s_and_b64 s[22:23], s[18:19], vcc
	s_and_saveexec_b64 s[18:19], s[22:23]
	s_cbranch_execz .LBB76_791
; %bb.790:
	v_ashrrev_i32_e32 v167, 31, v166
	v_lshl_add_u64 v[172:173], v[166:167], 2, v[164:165]
	global_load_dword v167, v[172:173], off
	global_load_dword v169, v[164:165], off offset:148
	s_waitcnt vmcnt(1)
	global_store_dword v[164:165], v167, off offset:148
	s_waitcnt vmcnt(1)
	global_store_dword v[172:173], v169, off
.LBB76_791:
	s_or_b64 exec, exec, s[18:19]
	v_mov_b32_e32 v169, v166
	v_mov_b32_e32 v171, v166
.LBB76_792:
	s_or_b64 exec, exec, s[16:17]
.LBB76_793:
	s_andn2_saveexec_b64 s[0:1], s[0:1]
	s_cbranch_execz .LBB76_795
; %bb.794:
	v_mov_b32_e32 v169, 37
	s_waitcnt vmcnt(0)
	ds_write2_b64 v168, v[152:153], v[154:155] offset0:76 offset1:77
.LBB76_795:
	s_or_b64 exec, exec, s[0:1]
	v_cmp_lt_i32_e32 vcc, 37, v169
	s_waitcnt lgkmcnt(0)
	s_barrier
	s_and_saveexec_b64 s[0:1], vcc
	s_cbranch_execz .LBB76_797
; %bb.796:
	ds_read2_b64 v[172:175], v168 offset0:76 offset1:77
	v_mul_f64 v[166:167], v[156:157], v[2:3]
	v_mul_f64 v[2:3], v[158:159], v[2:3]
	v_fmac_f64_e32 v[166:167], v[158:159], v[0:1]
	v_fma_f64 v[0:1], v[156:157], v[0:1], -v[2:3]
	s_waitcnt lgkmcnt(0)
	v_mul_f64 v[2:3], v[174:175], v[166:167]
	v_mul_f64 v[156:157], v[172:173], v[166:167]
	v_fma_f64 v[2:3], v[172:173], v[0:1], -v[2:3]
	v_fmac_f64_e32 v[156:157], v[174:175], v[0:1]
	s_waitcnt vmcnt(0)
	v_add_f64 v[152:153], v[152:153], -v[2:3]
	v_add_f64 v[154:155], v[154:155], -v[156:157]
	v_mov_b64_e32 v[2:3], v[166:167]
.LBB76_797:
	s_or_b64 exec, exec, s[0:1]
	v_lshl_add_u32 v156, v169, 4, v168
	s_barrier
	s_waitcnt vmcnt(0)
	ds_write2_b64 v156, v[152:153], v[154:155] offset1:1
	s_waitcnt lgkmcnt(0)
	s_barrier
	ds_read2_b64 v[156:159], v168 offset0:76 offset1:77
	s_cmp_lt_i32 s20, 40
	v_mov_b32_e32 v166, 38
	s_cbranch_scc1 .LBB76_800
; %bb.798:
	v_add_u32_e32 v167, 0x270, v168
	s_mov_b32 s16, 39
	v_mov_b32_e32 v166, 38
.LBB76_799:                             ; =>This Inner Loop Header: Depth=1
	ds_read2_b64 v[172:175], v167 offset1:1
	s_waitcnt lgkmcnt(1)
	v_xor_b32_e32 v168, 0x80000000, v157
	v_xor_b32_e32 v179, 0x80000000, v159
	v_cmp_gt_f64_e32 vcc, 0, v[158:159]
	v_cmp_gt_f64_e64 s[0:1], 0, v[156:157]
	v_mov_b32_e32 v176, v156
	v_mov_b32_e32 v178, v158
	v_cndmask_b32_e64 v177, v157, v168, s[0:1]
	v_cndmask_b32_e32 v179, v159, v179, vcc
	s_waitcnt lgkmcnt(0)
	v_xor_b32_e32 v168, 0x80000000, v173
	v_xor_b32_e32 v181, 0x80000000, v175
	v_cmp_gt_f64_e32 vcc, 0, v[174:175]
	v_cmp_gt_f64_e64 s[0:1], 0, v[172:173]
	v_add_f64 v[176:177], v[176:177], v[178:179]
	v_mov_b32_e32 v178, v172
	v_mov_b32_e32 v180, v174
	v_cndmask_b32_e64 v179, v173, v168, s[0:1]
	v_cndmask_b32_e32 v181, v175, v181, vcc
	v_add_f64 v[178:179], v[178:179], v[180:181]
	v_mov_b32_e32 v182, s16
	s_add_i32 s16, s16, 1
	v_cmp_lt_f64_e32 vcc, v[176:177], v[178:179]
	v_add_u32_e32 v167, 16, v167
	s_cmp_lg_u32 s20, s16
	v_cndmask_b32_e32 v157, v157, v173, vcc
	v_cndmask_b32_e32 v156, v156, v172, vcc
	;; [unrolled: 1-line block ×5, first 2 shown]
	s_cbranch_scc1 .LBB76_799
.LBB76_800:
	s_waitcnt lgkmcnt(0)
	v_cmp_eq_f64_e32 vcc, 0, v[156:157]
	v_cmp_eq_f64_e64 s[0:1], 0, v[158:159]
	s_and_b64 s[0:1], vcc, s[0:1]
	s_and_saveexec_b64 s[16:17], s[0:1]
	s_xor_b64 s[0:1], exec, s[16:17]
; %bb.801:
	v_cmp_ne_u32_e32 vcc, 0, v170
	s_nop 1
	v_cndmask_b32_e32 v170, 39, v170, vcc
; %bb.802:
	s_andn2_saveexec_b64 s[0:1], s[0:1]
	s_cbranch_execz .LBB76_808
; %bb.803:
	v_cmp_ngt_f64_e64 s[16:17], |v[156:157]|, |v[158:159]|
	s_and_saveexec_b64 s[18:19], s[16:17]
	s_xor_b64 s[16:17], exec, s[18:19]
	s_cbranch_execz .LBB76_805
; %bb.804:
	v_div_scale_f64 v[172:173], s[18:19], v[158:159], v[158:159], v[156:157]
	v_rcp_f64_e32 v[174:175], v[172:173]
	v_div_scale_f64 v[176:177], vcc, v[156:157], v[158:159], v[156:157]
	v_fma_f64 v[178:179], -v[172:173], v[174:175], 1.0
	v_fmac_f64_e32 v[174:175], v[174:175], v[178:179]
	v_fma_f64 v[178:179], -v[172:173], v[174:175], 1.0
	v_fmac_f64_e32 v[174:175], v[174:175], v[178:179]
	v_mul_f64 v[178:179], v[176:177], v[174:175]
	v_fma_f64 v[172:173], -v[172:173], v[178:179], v[176:177]
	v_div_fmas_f64 v[172:173], v[172:173], v[174:175], v[178:179]
	v_div_fixup_f64 v[172:173], v[172:173], v[158:159], v[156:157]
	v_fmac_f64_e32 v[158:159], v[156:157], v[172:173]
	v_div_scale_f64 v[156:157], s[18:19], v[158:159], v[158:159], 1.0
	v_rcp_f64_e32 v[174:175], v[156:157]
	s_nop 0
	v_fma_f64 v[176:177], -v[156:157], v[174:175], 1.0
	v_fmac_f64_e32 v[174:175], v[174:175], v[176:177]
	v_fma_f64 v[176:177], -v[156:157], v[174:175], 1.0
	v_fmac_f64_e32 v[174:175], v[174:175], v[176:177]
	v_div_scale_f64 v[176:177], vcc, 1.0, v[158:159], 1.0
	v_mul_f64 v[178:179], v[176:177], v[174:175]
	v_fma_f64 v[156:157], -v[156:157], v[178:179], v[176:177]
	s_nop 1
	v_div_fmas_f64 v[156:157], v[156:157], v[174:175], v[178:179]
	v_div_fixup_f64 v[158:159], v[156:157], v[158:159], 1.0
	v_mul_f64 v[156:157], v[172:173], v[158:159]
	v_xor_b32_e32 v159, 0x80000000, v159
.LBB76_805:
	s_andn2_saveexec_b64 s[16:17], s[16:17]
	s_cbranch_execz .LBB76_807
; %bb.806:
	v_div_scale_f64 v[172:173], s[18:19], v[156:157], v[156:157], v[158:159]
	v_rcp_f64_e32 v[174:175], v[172:173]
	v_div_scale_f64 v[176:177], vcc, v[158:159], v[156:157], v[158:159]
	v_fma_f64 v[178:179], -v[172:173], v[174:175], 1.0
	v_fmac_f64_e32 v[174:175], v[174:175], v[178:179]
	v_fma_f64 v[178:179], -v[172:173], v[174:175], 1.0
	v_fmac_f64_e32 v[174:175], v[174:175], v[178:179]
	v_mul_f64 v[178:179], v[176:177], v[174:175]
	v_fma_f64 v[172:173], -v[172:173], v[178:179], v[176:177]
	v_div_fmas_f64 v[172:173], v[172:173], v[174:175], v[178:179]
	v_div_fixup_f64 v[172:173], v[172:173], v[156:157], v[158:159]
	v_fmac_f64_e32 v[156:157], v[158:159], v[172:173]
	v_div_scale_f64 v[158:159], s[18:19], v[156:157], v[156:157], 1.0
	v_rcp_f64_e32 v[174:175], v[158:159]
	s_nop 0
	v_fma_f64 v[176:177], -v[158:159], v[174:175], 1.0
	v_fmac_f64_e32 v[174:175], v[174:175], v[176:177]
	v_fma_f64 v[176:177], -v[158:159], v[174:175], 1.0
	v_fmac_f64_e32 v[174:175], v[174:175], v[176:177]
	v_div_scale_f64 v[176:177], vcc, 1.0, v[156:157], 1.0
	v_mul_f64 v[178:179], v[176:177], v[174:175]
	v_fma_f64 v[158:159], -v[158:159], v[178:179], v[176:177]
	s_nop 1
	v_div_fmas_f64 v[158:159], v[158:159], v[174:175], v[178:179]
	v_div_fixup_f64 v[156:157], v[158:159], v[156:157], 1.0
	v_mul_f64 v[158:159], v[172:173], -v[156:157]
.LBB76_807:
	s_or_b64 exec, exec, s[16:17]
.LBB76_808:
	s_or_b64 exec, exec, s[0:1]
	v_cmp_ne_u32_e32 vcc, v169, v166
	v_mov_b32_e32 v168, 38
	s_and_saveexec_b64 s[0:1], vcc
	s_cbranch_execz .LBB76_814
; %bb.809:
	v_cmp_eq_u32_e32 vcc, 38, v169
	s_and_saveexec_b64 s[16:17], vcc
	s_cbranch_execz .LBB76_813
; %bb.810:
	v_cmp_ne_u32_e32 vcc, 38, v166
	s_xor_b64 s[14:15], s[14:15], -1
	s_and_b64 s[18:19], s[14:15], vcc
	s_and_saveexec_b64 s[14:15], s[18:19]
	s_cbranch_execz .LBB76_812
; %bb.811:
	v_ashrrev_i32_e32 v167, 31, v166
	v_lshl_add_u64 v[168:169], v[166:167], 2, v[164:165]
	global_load_dword v167, v[168:169], off
	global_load_dword v171, v[164:165], off offset:152
	s_waitcnt vmcnt(1)
	global_store_dword v[164:165], v167, off offset:152
	s_waitcnt vmcnt(1)
	global_store_dword v[168:169], v171, off
.LBB76_812:
	s_or_b64 exec, exec, s[14:15]
	v_mov_b32_e32 v169, v166
	v_mov_b32_e32 v171, v166
.LBB76_813:
	s_or_b64 exec, exec, s[16:17]
	v_mov_b32_e32 v168, v169
.LBB76_814:
	s_or_b64 exec, exec, s[0:1]
	v_cmp_gt_i32_e32 vcc, 39, v168
	v_ashrrev_i32_e32 v169, 31, v168
	s_barrier
	s_barrier
	s_and_saveexec_b64 s[0:1], vcc
	s_cbranch_execz .LBB76_816
; %bb.815:
	v_mov_b32_e32 v164, s6
	v_mov_b32_e32 v165, s7
	v_mul_lo_u32 v172, s11, v162
	v_mul_lo_u32 v173, s10, v163
	v_mad_u64_u32 v[166:167], s[6:7], s10, v162, 0
	v_add3_u32 v167, v167, v173, v172
	v_lshl_add_u64 v[164:165], v[166:167], 2, v[164:165]
	v_lshl_add_u64 v[164:165], s[8:9], 2, v[164:165]
	;; [unrolled: 1-line block ×3, first 2 shown]
	v_add3_u32 v166, v171, s13, 1
	global_store_dword v[164:165], v166, off
.LBB76_816:
	s_or_b64 exec, exec, s[0:1]
	v_cmp_eq_u32_e32 vcc, 0, v168
	s_and_saveexec_b64 s[6:7], vcc
	s_cbranch_execz .LBB76_819
; %bb.817:
	v_mov_b32_e32 v164, s4
	v_mov_b32_e32 v165, s5
	v_lshl_add_u64 v[162:163], v[162:163], 2, v[164:165]
	global_load_dword v164, v[162:163], off
	v_cmp_ne_u32_e64 s[0:1], 0, v170
	s_waitcnt vmcnt(0)
	v_cmp_eq_u32_e32 vcc, 0, v164
	s_and_b64 s[0:1], vcc, s[0:1]
	s_and_b64 exec, exec, s[0:1]
	s_cbranch_execz .LBB76_819
; %bb.818:
	v_add_u32_e32 v164, s13, v170
	global_store_dword v[162:163], v164, off
.LBB76_819:
	s_or_b64 exec, exec, s[6:7]
	v_mul_f64 v[162:163], v[158:159], v[154:155]
	v_fma_f64 v[162:163], v[156:157], v[152:153], -v[162:163]
	v_mul_f64 v[156:157], v[156:157], v[154:155]
	v_fmac_f64_e32 v[156:157], v[158:159], v[152:153]
	v_cmp_lt_i32_e32 vcc, 38, v168
	s_nop 1
	v_cndmask_b32_e32 v155, v155, v157, vcc
	v_cndmask_b32_e32 v154, v154, v156, vcc
	v_lshl_add_u64 v[156:157], v[168:169], 4, v[160:161]
	global_store_dwordx4 v[156:157], v[104:107], off
	v_cndmask_b32_e32 v153, v153, v163, vcc
	v_cndmask_b32_e32 v152, v152, v162, vcc
	v_lshl_add_u64 v[104:105], s[2:3], 4, v[156:157]
	global_store_dwordx4 v[104:105], v[96:99], off
	s_nop 1
	v_add_u32_e32 v96, s12, v168
	v_ashrrev_i32_e32 v97, 31, v96
	v_lshl_add_u64 v[98:99], v[96:97], 4, v[160:161]
	v_add_u32_e32 v96, s2, v96
	v_ashrrev_i32_e32 v97, 31, v96
	global_store_dwordx4 v[98:99], v[148:151], off
	v_lshl_add_u64 v[98:99], v[96:97], 4, v[160:161]
	v_add_u32_e32 v96, s2, v96
	v_ashrrev_i32_e32 v97, 31, v96
	global_store_dwordx4 v[98:99], v[144:147], off
	;; [unrolled: 4-line block ×12, first 2 shown]
	v_lshl_add_u64 v[98:99], v[96:97], 4, v[160:161]
	global_store_dwordx4 v[98:99], v[92:95], off
	s_nop 1
	v_add_u32_e32 v92, s2, v96
	v_ashrrev_i32_e32 v93, 31, v92
	v_lshl_add_u64 v[94:95], v[92:93], 4, v[160:161]
	global_store_dwordx4 v[94:95], v[88:91], off
	s_nop 1
	v_add_u32_e32 v88, s2, v92
	v_ashrrev_i32_e32 v89, 31, v88
	;; [unrolled: 5-line block ×24, first 2 shown]
	v_lshl_add_u64 v[0:1], v[0:1], 4, v[160:161]
	global_store_dwordx4 v[0:1], v[152:155], off
.LBB76_820:
	s_endpgm
	.section	.rodata,"a",@progbits
	.p2align	6, 0x0
	.amdhsa_kernel _ZN9rocsolver6v33100L18getf2_small_kernelILi39E19rocblas_complex_numIdEiiPS3_EEvT1_T3_lS5_lPS5_llPT2_S5_S5_S7_l
		.amdhsa_group_segment_fixed_size 0
		.amdhsa_private_segment_fixed_size 0
		.amdhsa_kernarg_size 352
		.amdhsa_user_sgpr_count 2
		.amdhsa_user_sgpr_dispatch_ptr 0
		.amdhsa_user_sgpr_queue_ptr 0
		.amdhsa_user_sgpr_kernarg_segment_ptr 1
		.amdhsa_user_sgpr_dispatch_id 0
		.amdhsa_user_sgpr_kernarg_preload_length 0
		.amdhsa_user_sgpr_kernarg_preload_offset 0
		.amdhsa_user_sgpr_private_segment_size 0
		.amdhsa_uses_dynamic_stack 0
		.amdhsa_enable_private_segment 0
		.amdhsa_system_sgpr_workgroup_id_x 1
		.amdhsa_system_sgpr_workgroup_id_y 1
		.amdhsa_system_sgpr_workgroup_id_z 0
		.amdhsa_system_sgpr_workgroup_info 0
		.amdhsa_system_vgpr_workitem_id 1
		.amdhsa_next_free_vgpr 190
		.amdhsa_next_free_sgpr 24
		.amdhsa_accum_offset 192
		.amdhsa_reserve_vcc 1
		.amdhsa_float_round_mode_32 0
		.amdhsa_float_round_mode_16_64 0
		.amdhsa_float_denorm_mode_32 3
		.amdhsa_float_denorm_mode_16_64 3
		.amdhsa_dx10_clamp 1
		.amdhsa_ieee_mode 1
		.amdhsa_fp16_overflow 0
		.amdhsa_tg_split 0
		.amdhsa_exception_fp_ieee_invalid_op 0
		.amdhsa_exception_fp_denorm_src 0
		.amdhsa_exception_fp_ieee_div_zero 0
		.amdhsa_exception_fp_ieee_overflow 0
		.amdhsa_exception_fp_ieee_underflow 0
		.amdhsa_exception_fp_ieee_inexact 0
		.amdhsa_exception_int_div_zero 0
	.end_amdhsa_kernel
	.section	.text._ZN9rocsolver6v33100L18getf2_small_kernelILi39E19rocblas_complex_numIdEiiPS3_EEvT1_T3_lS5_lPS5_llPT2_S5_S5_S7_l,"axG",@progbits,_ZN9rocsolver6v33100L18getf2_small_kernelILi39E19rocblas_complex_numIdEiiPS3_EEvT1_T3_lS5_lPS5_llPT2_S5_S5_S7_l,comdat
.Lfunc_end76:
	.size	_ZN9rocsolver6v33100L18getf2_small_kernelILi39E19rocblas_complex_numIdEiiPS3_EEvT1_T3_lS5_lPS5_llPT2_S5_S5_S7_l, .Lfunc_end76-_ZN9rocsolver6v33100L18getf2_small_kernelILi39E19rocblas_complex_numIdEiiPS3_EEvT1_T3_lS5_lPS5_llPT2_S5_S5_S7_l
                                        ; -- End function
	.set _ZN9rocsolver6v33100L18getf2_small_kernelILi39E19rocblas_complex_numIdEiiPS3_EEvT1_T3_lS5_lPS5_llPT2_S5_S5_S7_l.num_vgpr, 190
	.set _ZN9rocsolver6v33100L18getf2_small_kernelILi39E19rocblas_complex_numIdEiiPS3_EEvT1_T3_lS5_lPS5_llPT2_S5_S5_S7_l.num_agpr, 0
	.set _ZN9rocsolver6v33100L18getf2_small_kernelILi39E19rocblas_complex_numIdEiiPS3_EEvT1_T3_lS5_lPS5_llPT2_S5_S5_S7_l.numbered_sgpr, 24
	.set _ZN9rocsolver6v33100L18getf2_small_kernelILi39E19rocblas_complex_numIdEiiPS3_EEvT1_T3_lS5_lPS5_llPT2_S5_S5_S7_l.num_named_barrier, 0
	.set _ZN9rocsolver6v33100L18getf2_small_kernelILi39E19rocblas_complex_numIdEiiPS3_EEvT1_T3_lS5_lPS5_llPT2_S5_S5_S7_l.private_seg_size, 0
	.set _ZN9rocsolver6v33100L18getf2_small_kernelILi39E19rocblas_complex_numIdEiiPS3_EEvT1_T3_lS5_lPS5_llPT2_S5_S5_S7_l.uses_vcc, 1
	.set _ZN9rocsolver6v33100L18getf2_small_kernelILi39E19rocblas_complex_numIdEiiPS3_EEvT1_T3_lS5_lPS5_llPT2_S5_S5_S7_l.uses_flat_scratch, 0
	.set _ZN9rocsolver6v33100L18getf2_small_kernelILi39E19rocblas_complex_numIdEiiPS3_EEvT1_T3_lS5_lPS5_llPT2_S5_S5_S7_l.has_dyn_sized_stack, 0
	.set _ZN9rocsolver6v33100L18getf2_small_kernelILi39E19rocblas_complex_numIdEiiPS3_EEvT1_T3_lS5_lPS5_llPT2_S5_S5_S7_l.has_recursion, 0
	.set _ZN9rocsolver6v33100L18getf2_small_kernelILi39E19rocblas_complex_numIdEiiPS3_EEvT1_T3_lS5_lPS5_llPT2_S5_S5_S7_l.has_indirect_call, 0
	.section	.AMDGPU.csdata,"",@progbits
; Kernel info:
; codeLenInByte = 89428
; TotalNumSgprs: 30
; NumVgprs: 190
; NumAgprs: 0
; TotalNumVgprs: 190
; ScratchSize: 0
; MemoryBound: 0
; FloatMode: 240
; IeeeMode: 1
; LDSByteSize: 0 bytes/workgroup (compile time only)
; SGPRBlocks: 3
; VGPRBlocks: 23
; NumSGPRsForWavesPerEU: 30
; NumVGPRsForWavesPerEU: 190
; AccumOffset: 192
; Occupancy: 2
; WaveLimiterHint : 0
; COMPUTE_PGM_RSRC2:SCRATCH_EN: 0
; COMPUTE_PGM_RSRC2:USER_SGPR: 2
; COMPUTE_PGM_RSRC2:TRAP_HANDLER: 0
; COMPUTE_PGM_RSRC2:TGID_X_EN: 1
; COMPUTE_PGM_RSRC2:TGID_Y_EN: 1
; COMPUTE_PGM_RSRC2:TGID_Z_EN: 0
; COMPUTE_PGM_RSRC2:TIDIG_COMP_CNT: 1
; COMPUTE_PGM_RSRC3_GFX90A:ACCUM_OFFSET: 47
; COMPUTE_PGM_RSRC3_GFX90A:TG_SPLIT: 0
	.section	.text._ZN9rocsolver6v33100L23getf2_npvt_small_kernelILi39E19rocblas_complex_numIdEiiPS3_EEvT1_T3_lS5_lPT2_S5_S5_,"axG",@progbits,_ZN9rocsolver6v33100L23getf2_npvt_small_kernelILi39E19rocblas_complex_numIdEiiPS3_EEvT1_T3_lS5_lPT2_S5_S5_,comdat
	.globl	_ZN9rocsolver6v33100L23getf2_npvt_small_kernelILi39E19rocblas_complex_numIdEiiPS3_EEvT1_T3_lS5_lPT2_S5_S5_ ; -- Begin function _ZN9rocsolver6v33100L23getf2_npvt_small_kernelILi39E19rocblas_complex_numIdEiiPS3_EEvT1_T3_lS5_lPT2_S5_S5_
	.p2align	8
	.type	_ZN9rocsolver6v33100L23getf2_npvt_small_kernelILi39E19rocblas_complex_numIdEiiPS3_EEvT1_T3_lS5_lPT2_S5_S5_,@function
_ZN9rocsolver6v33100L23getf2_npvt_small_kernelILi39E19rocblas_complex_numIdEiiPS3_EEvT1_T3_lS5_lPT2_S5_S5_: ; @_ZN9rocsolver6v33100L23getf2_npvt_small_kernelILi39E19rocblas_complex_numIdEiiPS3_EEvT1_T3_lS5_lPT2_S5_S5_
; %bb.0:
	s_load_dword s2, s[0:1], 0x44
	s_load_dwordx2 s[8:9], s[0:1], 0x30
	v_bfe_u32 v156, v0, 10, 10
	s_waitcnt lgkmcnt(0)
	s_lshr_b32 s10, s2, 16
	s_mul_i32 s3, s3, s10
	v_add_u32_e32 v242, s3, v156
	v_cmp_gt_i32_e32 vcc, s8, v242
	s_and_saveexec_b64 s[2:3], vcc
	s_cbranch_execz .LBB77_354
; %bb.1:
	s_load_dwordx4 s[12:15], s[0:1], 0x8
	s_load_dword s2, s[0:1], 0x18
	s_load_dwordx4 s[4:7], s[0:1], 0x20
	v_ashrrev_i32_e32 v243, 31, v242
	v_and_b32_e32 v214, 0x3ff, v0
	s_waitcnt lgkmcnt(0)
	v_mov_b32_e32 v0, s12
	v_mov_b32_e32 v1, s13
	v_mul_lo_u32 v4, s5, v242
	v_mul_lo_u32 v5, s4, v243
	v_mad_u64_u32 v[2:3], s[0:1], s4, v242, 0
	v_add3_u32 v3, v3, v5, v4
	v_lshl_add_u64 v[0:1], v[2:3], 4, v[0:1]
	v_lshl_add_u64 v[0:1], s[14:15], 4, v[0:1]
	v_lshlrev_b32_e32 v2, 4, v214
	v_mov_b32_e32 v3, 0
	v_lshl_add_u64 v[222:223], v[0:1], 0, v[2:3]
	global_load_dwordx4 v[28:31], v[222:223], off
	s_add_i32 s0, s2, s2
	v_add_u32_e32 v2, s0, v214
	v_ashrrev_i32_e32 v3, 31, v2
	v_lshl_add_u64 v[220:221], v[2:3], 4, v[0:1]
	v_add_u32_e32 v2, s2, v2
	v_ashrrev_i32_e32 v3, 31, v2
	v_lshl_add_u64 v[226:227], v[2:3], 4, v[0:1]
	;; [unrolled: 3-line block ×36, first 2 shown]
	v_add_u32_e32 v2, s2, v2
	v_ashrrev_i32_e32 v3, 31, v2
	s_ashr_i32 s3, s2, 31
	v_lshl_add_u64 v[166:167], v[2:3], 4, v[0:1]
	v_lshl_add_u64 v[0:1], s[2:3], 4, v[222:223]
	s_waitcnt vmcnt(0)
	scratch_store_dwordx4 off, v[28:31], off offset:16 ; 16-byte Folded Spill
	scratch_store_dwordx2 off, v[0:1], off offset:184 ; 8-byte Folded Spill
	global_load_dwordx4 v[0:3], v[0:1], off
	s_mulk_i32 s10, 0x270
	s_movk_i32 s0, 0x270
	s_add_i32 s1, s10, 0
	v_mad_u32_u24 v212, v156, s0, 0
	v_lshl_add_u32 v215, v156, 4, s1
	v_cmp_ne_u32_e64 s[2:3], 0, v214
	v_cmp_eq_u32_e64 s[0:1], 0, v214
	s_waitcnt vmcnt(0)
	scratch_store_dwordx4 off, v[0:3], off  ; 16-byte Folded Spill
	global_load_dwordx4 v[140:143], v[220:221], off
	global_load_dwordx4 v[136:139], v[226:227], off
	;; [unrolled: 1-line block ×30, first 2 shown]
	s_nop 0
	scratch_store_dwordx2 off, v[4:5], off offset:32 ; 8-byte Folded Spill
	scratch_store_dwordx2 off, v[6:7], off offset:40 ; 8-byte Folded Spill
	;; [unrolled: 1-line block ×13, first 2 shown]
	global_load_dwordx4 v[20:23], v[152:153], off
	s_nop 0
	global_load_dwordx4 v[24:27], v[26:27], off
	s_nop 0
	global_load_dwordx4 v[16:19], v[154:155], off
	global_load_dwordx4 v[12:15], v[158:159], off
	;; [unrolled: 1-line block ×4, first 2 shown]
	s_nop 0
	scratch_store_dwordx2 off, v[154:155], off offset:136 ; 8-byte Folded Spill
	global_load_dwordx4 v[152:155], v[166:167], off
	s_nop 0
	scratch_store_dwordx2 off, v[158:159], off offset:144 ; 8-byte Folded Spill
	scratch_store_dwordx2 off, v[160:161], off offset:152 ; 8-byte Folded Spill
	;; [unrolled: 1-line block ×5, first 2 shown]
	s_and_saveexec_b64 s[10:11], s[0:1]
	s_cbranch_execz .LBB77_8
; %bb.2:
	scratch_load_dwordx4 v[144:147], off, off offset:16 ; 16-byte Folded Reload
	s_waitcnt vmcnt(0)
	ds_write2_b64 v215, v[144:145], v[146:147] offset1:1
	scratch_load_dwordx4 v[144:147], off, off ; 16-byte Folded Reload
	s_waitcnt vmcnt(0)
	ds_write2_b64 v212, v[144:145], v[146:147] offset0:2 offset1:3
	ds_write2_b64 v212, v[140:141], v[142:143] offset0:4 offset1:5
	;; [unrolled: 1-line block ×38, first 2 shown]
	ds_read2_b64 v[156:159], v215 offset1:1
	s_waitcnt lgkmcnt(0)
	v_cmp_neq_f64_e32 vcc, 0, v[156:157]
	v_cmp_neq_f64_e64 s[4:5], 0, v[158:159]
	s_or_b64 s[4:5], vcc, s[4:5]
	s_and_b64 exec, exec, s[4:5]
	s_cbranch_execz .LBB77_8
; %bb.3:
	v_cmp_ngt_f64_e64 s[4:5], |v[156:157]|, |v[158:159]|
                                        ; implicit-def: $vgpr160_vgpr161
	s_and_saveexec_b64 s[12:13], s[4:5]
	s_xor_b64 s[4:5], exec, s[12:13]
                                        ; implicit-def: $vgpr162_vgpr163
	s_cbranch_execz .LBB77_5
; %bb.4:
	v_div_scale_f64 v[160:161], s[12:13], v[158:159], v[158:159], v[156:157]
	v_rcp_f64_e32 v[162:163], v[160:161]
	v_div_scale_f64 v[164:165], vcc, v[156:157], v[158:159], v[156:157]
	v_fma_f64 v[166:167], -v[160:161], v[162:163], 1.0
	v_fmac_f64_e32 v[162:163], v[162:163], v[166:167]
	v_fma_f64 v[166:167], -v[160:161], v[162:163], 1.0
	v_fmac_f64_e32 v[162:163], v[162:163], v[166:167]
	v_mul_f64 v[166:167], v[164:165], v[162:163]
	v_fma_f64 v[160:161], -v[160:161], v[166:167], v[164:165]
	v_div_fmas_f64 v[160:161], v[160:161], v[162:163], v[166:167]
	v_div_fixup_f64 v[160:161], v[160:161], v[158:159], v[156:157]
	v_fmac_f64_e32 v[158:159], v[156:157], v[160:161]
	v_div_scale_f64 v[156:157], s[12:13], v[158:159], v[158:159], 1.0
	v_rcp_f64_e32 v[162:163], v[156:157]
	s_nop 0
	v_fma_f64 v[164:165], -v[156:157], v[162:163], 1.0
	v_fmac_f64_e32 v[162:163], v[162:163], v[164:165]
	v_fma_f64 v[164:165], -v[156:157], v[162:163], 1.0
	v_fmac_f64_e32 v[162:163], v[162:163], v[164:165]
	v_div_scale_f64 v[164:165], vcc, 1.0, v[158:159], 1.0
	v_mul_f64 v[166:167], v[164:165], v[162:163]
	v_fma_f64 v[156:157], -v[156:157], v[166:167], v[164:165]
	s_nop 1
	v_div_fmas_f64 v[156:157], v[156:157], v[162:163], v[166:167]
	v_div_fixup_f64 v[162:163], v[156:157], v[158:159], 1.0
	v_mul_f64 v[160:161], v[160:161], v[162:163]
	v_xor_b32_e32 v163, 0x80000000, v163
                                        ; implicit-def: $vgpr156_vgpr157
.LBB77_5:
	s_andn2_saveexec_b64 s[4:5], s[4:5]
	s_cbranch_execz .LBB77_7
; %bb.6:
	v_div_scale_f64 v[160:161], s[12:13], v[156:157], v[156:157], v[158:159]
	v_rcp_f64_e32 v[162:163], v[160:161]
	v_div_scale_f64 v[164:165], vcc, v[158:159], v[156:157], v[158:159]
	v_fma_f64 v[166:167], -v[160:161], v[162:163], 1.0
	v_fmac_f64_e32 v[162:163], v[162:163], v[166:167]
	v_fma_f64 v[166:167], -v[160:161], v[162:163], 1.0
	v_fmac_f64_e32 v[162:163], v[162:163], v[166:167]
	v_mul_f64 v[166:167], v[164:165], v[162:163]
	v_fma_f64 v[160:161], -v[160:161], v[166:167], v[164:165]
	v_div_fmas_f64 v[160:161], v[160:161], v[162:163], v[166:167]
	v_div_fixup_f64 v[162:163], v[160:161], v[156:157], v[158:159]
	v_fmac_f64_e32 v[156:157], v[158:159], v[162:163]
	v_div_scale_f64 v[158:159], s[12:13], v[156:157], v[156:157], 1.0
	v_rcp_f64_e32 v[160:161], v[158:159]
	s_nop 0
	v_fma_f64 v[164:165], -v[158:159], v[160:161], 1.0
	v_fmac_f64_e32 v[160:161], v[160:161], v[164:165]
	v_fma_f64 v[164:165], -v[158:159], v[160:161], 1.0
	v_fmac_f64_e32 v[160:161], v[160:161], v[164:165]
	v_div_scale_f64 v[164:165], vcc, 1.0, v[156:157], 1.0
	v_mul_f64 v[166:167], v[164:165], v[160:161]
	v_fma_f64 v[158:159], -v[158:159], v[166:167], v[164:165]
	s_nop 1
	v_div_fmas_f64 v[158:159], v[158:159], v[160:161], v[166:167]
	v_div_fixup_f64 v[160:161], v[158:159], v[156:157], 1.0
	v_mul_f64 v[162:163], v[162:163], -v[160:161]
.LBB77_7:
	s_or_b64 exec, exec, s[4:5]
	ds_write2_b64 v215, v[160:161], v[162:163] offset1:1
.LBB77_8:
	s_or_b64 exec, exec, s[10:11]
	s_waitcnt lgkmcnt(0)
	s_barrier
	ds_read2_b64 v[156:159], v215 offset1:1
	s_waitcnt lgkmcnt(0)
	scratch_store_dwordx4 off, v[156:159], off offset:192 ; 16-byte Folded Spill
	s_and_saveexec_b64 s[4:5], s[2:3]
	s_cbranch_execz .LBB77_10
; %bb.9:
	scratch_load_dwordx4 v[162:165], off, off offset:192 ; 16-byte Folded Reload
	scratch_load_dwordx4 v[148:151], off, off offset:16 ; 16-byte Folded Reload
	scratch_load_dwordx4 v[144:147], off, off ; 16-byte Folded Reload
	ds_read2_b64 v[158:161], v212 offset0:2 offset1:3
	s_waitcnt vmcnt(1)
	v_mul_f64 v[156:157], v[164:165], v[150:151]
	v_mul_f64 v[150:151], v[162:163], v[150:151]
	v_fma_f64 v[156:157], v[162:163], v[148:149], -v[156:157]
	v_fmac_f64_e32 v[150:151], v[164:165], v[148:149]
	ds_read2_b64 v[162:165], v212 offset0:4 offset1:5
	s_waitcnt lgkmcnt(1)
	v_mul_f64 v[148:149], v[160:161], v[150:151]
	v_fma_f64 v[148:149], v[158:159], v[156:157], -v[148:149]
	v_mul_f64 v[158:159], v[158:159], v[150:151]
	v_fmac_f64_e32 v[158:159], v[160:161], v[156:157]
	s_waitcnt vmcnt(0)
	v_add_f64 v[144:145], v[144:145], -v[148:149]
	v_add_f64 v[146:147], v[146:147], -v[158:159]
	s_waitcnt lgkmcnt(0)
	v_mul_f64 v[148:149], v[164:165], v[150:151]
	ds_read2_b64 v[158:161], v212 offset0:6 offset1:7
	v_fma_f64 v[148:149], v[162:163], v[156:157], -v[148:149]
	v_mul_f64 v[162:163], v[162:163], v[150:151]
	v_fmac_f64_e32 v[162:163], v[164:165], v[156:157]
	v_add_f64 v[142:143], v[142:143], -v[162:163]
	ds_read2_b64 v[162:165], v212 offset0:8 offset1:9
	v_add_f64 v[140:141], v[140:141], -v[148:149]
	s_waitcnt lgkmcnt(1)
	v_mul_f64 v[148:149], v[160:161], v[150:151]
	v_fma_f64 v[148:149], v[158:159], v[156:157], -v[148:149]
	v_mul_f64 v[158:159], v[158:159], v[150:151]
	v_fmac_f64_e32 v[158:159], v[160:161], v[156:157]
	v_add_f64 v[136:137], v[136:137], -v[148:149]
	v_add_f64 v[138:139], v[138:139], -v[158:159]
	s_waitcnt lgkmcnt(0)
	v_mul_f64 v[148:149], v[164:165], v[150:151]
	ds_read2_b64 v[158:161], v212 offset0:10 offset1:11
	v_fma_f64 v[148:149], v[162:163], v[156:157], -v[148:149]
	v_mul_f64 v[162:163], v[162:163], v[150:151]
	v_fmac_f64_e32 v[162:163], v[164:165], v[156:157]
	v_add_f64 v[134:135], v[134:135], -v[162:163]
	ds_read2_b64 v[162:165], v212 offset0:12 offset1:13
	v_add_f64 v[132:133], v[132:133], -v[148:149]
	s_waitcnt lgkmcnt(1)
	v_mul_f64 v[148:149], v[160:161], v[150:151]
	v_fma_f64 v[148:149], v[158:159], v[156:157], -v[148:149]
	v_mul_f64 v[158:159], v[158:159], v[150:151]
	v_fmac_f64_e32 v[158:159], v[160:161], v[156:157]
	;; [unrolled: 16-line block ×18, first 2 shown]
	v_add_f64 v[0:1], v[0:1], -v[148:149]
	v_add_f64 v[2:3], v[2:3], -v[158:159]
	s_waitcnt lgkmcnt(0)
	v_mul_f64 v[148:149], v[164:165], v[150:151]
	v_mul_f64 v[158:159], v[162:163], v[150:151]
	v_fma_f64 v[148:149], v[162:163], v[156:157], -v[148:149]
	v_fmac_f64_e32 v[158:159], v[164:165], v[156:157]
	v_add_f64 v[152:153], v[152:153], -v[148:149]
	v_add_f64 v[154:155], v[154:155], -v[158:159]
	v_mov_b64_e32 v[148:149], v[156:157]
	scratch_store_dwordx4 off, v[144:147], off ; 16-byte Folded Spill
	scratch_store_dwordx4 off, v[148:151], off offset:16 ; 16-byte Folded Spill
.LBB77_10:
	s_or_b64 exec, exec, s[4:5]
	v_cmp_eq_u32_e32 vcc, 1, v214
	s_barrier
	s_and_saveexec_b64 s[4:5], vcc
	s_cbranch_execz .LBB77_17
; %bb.11:
	scratch_load_dwordx4 v[144:147], off, off ; 16-byte Folded Reload
	s_waitcnt vmcnt(0)
	ds_write2_b64 v215, v[144:145], v[146:147] offset1:1
	ds_write2_b64 v212, v[140:141], v[142:143] offset0:4 offset1:5
	ds_write2_b64 v212, v[136:137], v[138:139] offset0:6 offset1:7
	;; [unrolled: 1-line block ×37, first 2 shown]
	ds_read2_b64 v[156:159], v215 offset1:1
	s_waitcnt lgkmcnt(0)
	v_cmp_neq_f64_e32 vcc, 0, v[156:157]
	v_cmp_neq_f64_e64 s[2:3], 0, v[158:159]
	s_or_b64 s[2:3], vcc, s[2:3]
	s_and_b64 exec, exec, s[2:3]
	s_cbranch_execz .LBB77_17
; %bb.12:
	v_cmp_ngt_f64_e64 s[2:3], |v[156:157]|, |v[158:159]|
                                        ; implicit-def: $vgpr160_vgpr161
	s_and_saveexec_b64 s[10:11], s[2:3]
	s_xor_b64 s[2:3], exec, s[10:11]
                                        ; implicit-def: $vgpr162_vgpr163
	s_cbranch_execz .LBB77_14
; %bb.13:
	v_div_scale_f64 v[160:161], s[10:11], v[158:159], v[158:159], v[156:157]
	v_rcp_f64_e32 v[162:163], v[160:161]
	v_div_scale_f64 v[164:165], vcc, v[156:157], v[158:159], v[156:157]
	v_fma_f64 v[166:167], -v[160:161], v[162:163], 1.0
	v_fmac_f64_e32 v[162:163], v[162:163], v[166:167]
	v_fma_f64 v[166:167], -v[160:161], v[162:163], 1.0
	v_fmac_f64_e32 v[162:163], v[162:163], v[166:167]
	v_mul_f64 v[166:167], v[164:165], v[162:163]
	v_fma_f64 v[160:161], -v[160:161], v[166:167], v[164:165]
	v_div_fmas_f64 v[160:161], v[160:161], v[162:163], v[166:167]
	v_div_fixup_f64 v[160:161], v[160:161], v[158:159], v[156:157]
	v_fmac_f64_e32 v[158:159], v[156:157], v[160:161]
	v_div_scale_f64 v[156:157], s[10:11], v[158:159], v[158:159], 1.0
	v_rcp_f64_e32 v[162:163], v[156:157]
	s_nop 0
	v_fma_f64 v[164:165], -v[156:157], v[162:163], 1.0
	v_fmac_f64_e32 v[162:163], v[162:163], v[164:165]
	v_fma_f64 v[164:165], -v[156:157], v[162:163], 1.0
	v_fmac_f64_e32 v[162:163], v[162:163], v[164:165]
	v_div_scale_f64 v[164:165], vcc, 1.0, v[158:159], 1.0
	v_mul_f64 v[166:167], v[164:165], v[162:163]
	v_fma_f64 v[156:157], -v[156:157], v[166:167], v[164:165]
	s_nop 1
	v_div_fmas_f64 v[156:157], v[156:157], v[162:163], v[166:167]
	v_div_fixup_f64 v[162:163], v[156:157], v[158:159], 1.0
	v_mul_f64 v[160:161], v[160:161], v[162:163]
	v_xor_b32_e32 v163, 0x80000000, v163
                                        ; implicit-def: $vgpr156_vgpr157
.LBB77_14:
	s_andn2_saveexec_b64 s[2:3], s[2:3]
	s_cbranch_execz .LBB77_16
; %bb.15:
	v_div_scale_f64 v[160:161], s[10:11], v[156:157], v[156:157], v[158:159]
	v_rcp_f64_e32 v[162:163], v[160:161]
	v_div_scale_f64 v[164:165], vcc, v[158:159], v[156:157], v[158:159]
	v_fma_f64 v[166:167], -v[160:161], v[162:163], 1.0
	v_fmac_f64_e32 v[162:163], v[162:163], v[166:167]
	v_fma_f64 v[166:167], -v[160:161], v[162:163], 1.0
	v_fmac_f64_e32 v[162:163], v[162:163], v[166:167]
	v_mul_f64 v[166:167], v[164:165], v[162:163]
	v_fma_f64 v[160:161], -v[160:161], v[166:167], v[164:165]
	v_div_fmas_f64 v[160:161], v[160:161], v[162:163], v[166:167]
	v_div_fixup_f64 v[162:163], v[160:161], v[156:157], v[158:159]
	v_fmac_f64_e32 v[156:157], v[158:159], v[162:163]
	v_div_scale_f64 v[158:159], s[10:11], v[156:157], v[156:157], 1.0
	v_rcp_f64_e32 v[160:161], v[158:159]
	s_nop 0
	v_fma_f64 v[164:165], -v[158:159], v[160:161], 1.0
	v_fmac_f64_e32 v[160:161], v[160:161], v[164:165]
	v_fma_f64 v[164:165], -v[158:159], v[160:161], 1.0
	v_fmac_f64_e32 v[160:161], v[160:161], v[164:165]
	v_div_scale_f64 v[164:165], vcc, 1.0, v[156:157], 1.0
	v_mul_f64 v[166:167], v[164:165], v[160:161]
	v_fma_f64 v[158:159], -v[158:159], v[166:167], v[164:165]
	s_nop 1
	v_div_fmas_f64 v[158:159], v[158:159], v[160:161], v[166:167]
	v_div_fixup_f64 v[160:161], v[158:159], v[156:157], 1.0
	v_mul_f64 v[162:163], v[162:163], -v[160:161]
.LBB77_16:
	s_or_b64 exec, exec, s[2:3]
	ds_write2_b64 v215, v[160:161], v[162:163] offset1:1
.LBB77_17:
	s_or_b64 exec, exec, s[4:5]
	s_waitcnt lgkmcnt(0)
	s_barrier
	ds_read2_b64 v[156:159], v215 offset1:1
	v_cmp_lt_u32_e32 vcc, 1, v214
	s_waitcnt lgkmcnt(0)
	scratch_store_dwordx4 off, v[156:159], off offset:208 ; 16-byte Folded Spill
	s_and_saveexec_b64 s[2:3], vcc
	s_cbranch_execz .LBB77_19
; %bb.18:
	scratch_load_dwordx4 v[158:161], off, off offset:208 ; 16-byte Folded Reload
	scratch_load_dwordx4 v[144:147], off, off ; 16-byte Folded Reload
	s_waitcnt vmcnt(0)
	v_mul_f64 v[156:157], v[160:161], v[146:147]
	v_mul_f64 v[146:147], v[158:159], v[146:147]
	v_fma_f64 v[156:157], v[158:159], v[144:145], -v[156:157]
	v_fmac_f64_e32 v[146:147], v[160:161], v[144:145]
	ds_read2_b64 v[158:161], v212 offset0:4 offset1:5
	s_waitcnt lgkmcnt(0)
	v_mul_f64 v[144:145], v[160:161], v[146:147]
	v_fma_f64 v[144:145], v[158:159], v[156:157], -v[144:145]
	v_mul_f64 v[158:159], v[158:159], v[146:147]
	v_fmac_f64_e32 v[158:159], v[160:161], v[156:157]
	v_add_f64 v[142:143], v[142:143], -v[158:159]
	ds_read2_b64 v[158:161], v212 offset0:6 offset1:7
	v_add_f64 v[140:141], v[140:141], -v[144:145]
	s_waitcnt lgkmcnt(0)
	v_mul_f64 v[144:145], v[160:161], v[146:147]
	v_fma_f64 v[144:145], v[158:159], v[156:157], -v[144:145]
	v_mul_f64 v[158:159], v[158:159], v[146:147]
	v_fmac_f64_e32 v[158:159], v[160:161], v[156:157]
	v_add_f64 v[138:139], v[138:139], -v[158:159]
	ds_read2_b64 v[158:161], v212 offset0:8 offset1:9
	v_add_f64 v[136:137], v[136:137], -v[144:145]
	;; [unrolled: 8-line block ×36, first 2 shown]
	s_waitcnt lgkmcnt(0)
	v_mul_f64 v[144:145], v[160:161], v[146:147]
	v_fma_f64 v[144:145], v[158:159], v[156:157], -v[144:145]
	v_mul_f64 v[158:159], v[158:159], v[146:147]
	v_fmac_f64_e32 v[158:159], v[160:161], v[156:157]
	v_add_f64 v[152:153], v[152:153], -v[144:145]
	v_add_f64 v[154:155], v[154:155], -v[158:159]
	v_mov_b64_e32 v[144:145], v[156:157]
	scratch_store_dwordx4 off, v[144:147], off ; 16-byte Folded Spill
.LBB77_19:
	s_or_b64 exec, exec, s[2:3]
	v_cmp_eq_u32_e32 vcc, 2, v214
	s_barrier
	s_and_saveexec_b64 s[4:5], vcc
	s_cbranch_execz .LBB77_26
; %bb.20:
	s_waitcnt vmcnt(57)
	ds_write2_b64 v215, v[140:141], v[142:143] offset1:1
	s_waitcnt vmcnt(56)
	ds_write2_b64 v212, v[136:137], v[138:139] offset0:6 offset1:7
	s_waitcnt vmcnt(55)
	ds_write2_b64 v212, v[132:133], v[134:135] offset0:8 offset1:9
	;; [unrolled: 2-line block ×29, first 2 shown]
	ds_write2_b64 v212, v[20:21], v[22:23] offset0:64 offset1:65
	s_waitcnt vmcnt(12)
	ds_write2_b64 v212, v[16:17], v[18:19] offset0:66 offset1:67
	s_waitcnt vmcnt(11)
	;; [unrolled: 2-line block ×4, first 2 shown]
	ds_write2_b64 v212, v[4:5], v[6:7] offset0:72 offset1:73
	ds_write2_b64 v212, v[0:1], v[2:3] offset0:74 offset1:75
	s_waitcnt vmcnt(7)
	ds_write2_b64 v212, v[152:153], v[154:155] offset0:76 offset1:77
	ds_read2_b64 v[156:159], v215 offset1:1
	s_waitcnt lgkmcnt(0)
	v_cmp_neq_f64_e32 vcc, 0, v[156:157]
	v_cmp_neq_f64_e64 s[2:3], 0, v[158:159]
	s_or_b64 s[2:3], vcc, s[2:3]
	s_and_b64 exec, exec, s[2:3]
	s_cbranch_execz .LBB77_26
; %bb.21:
	v_cmp_ngt_f64_e64 s[2:3], |v[156:157]|, |v[158:159]|
                                        ; implicit-def: $vgpr160_vgpr161
	s_and_saveexec_b64 s[10:11], s[2:3]
	s_xor_b64 s[2:3], exec, s[10:11]
                                        ; implicit-def: $vgpr162_vgpr163
	s_cbranch_execz .LBB77_23
; %bb.22:
	v_div_scale_f64 v[160:161], s[10:11], v[158:159], v[158:159], v[156:157]
	v_rcp_f64_e32 v[162:163], v[160:161]
	v_div_scale_f64 v[164:165], vcc, v[156:157], v[158:159], v[156:157]
	v_fma_f64 v[166:167], -v[160:161], v[162:163], 1.0
	v_fmac_f64_e32 v[162:163], v[162:163], v[166:167]
	v_fma_f64 v[166:167], -v[160:161], v[162:163], 1.0
	v_fmac_f64_e32 v[162:163], v[162:163], v[166:167]
	v_mul_f64 v[166:167], v[164:165], v[162:163]
	v_fma_f64 v[160:161], -v[160:161], v[166:167], v[164:165]
	v_div_fmas_f64 v[160:161], v[160:161], v[162:163], v[166:167]
	v_div_fixup_f64 v[160:161], v[160:161], v[158:159], v[156:157]
	v_fmac_f64_e32 v[158:159], v[156:157], v[160:161]
	v_div_scale_f64 v[156:157], s[10:11], v[158:159], v[158:159], 1.0
	v_rcp_f64_e32 v[162:163], v[156:157]
	s_nop 0
	v_fma_f64 v[164:165], -v[156:157], v[162:163], 1.0
	v_fmac_f64_e32 v[162:163], v[162:163], v[164:165]
	v_fma_f64 v[164:165], -v[156:157], v[162:163], 1.0
	v_fmac_f64_e32 v[162:163], v[162:163], v[164:165]
	v_div_scale_f64 v[164:165], vcc, 1.0, v[158:159], 1.0
	v_mul_f64 v[166:167], v[164:165], v[162:163]
	v_fma_f64 v[156:157], -v[156:157], v[166:167], v[164:165]
	s_nop 1
	v_div_fmas_f64 v[156:157], v[156:157], v[162:163], v[166:167]
	v_div_fixup_f64 v[162:163], v[156:157], v[158:159], 1.0
	v_mul_f64 v[160:161], v[160:161], v[162:163]
	v_xor_b32_e32 v163, 0x80000000, v163
                                        ; implicit-def: $vgpr156_vgpr157
.LBB77_23:
	s_andn2_saveexec_b64 s[2:3], s[2:3]
	s_cbranch_execz .LBB77_25
; %bb.24:
	v_div_scale_f64 v[160:161], s[10:11], v[156:157], v[156:157], v[158:159]
	v_rcp_f64_e32 v[162:163], v[160:161]
	v_div_scale_f64 v[164:165], vcc, v[158:159], v[156:157], v[158:159]
	v_fma_f64 v[166:167], -v[160:161], v[162:163], 1.0
	v_fmac_f64_e32 v[162:163], v[162:163], v[166:167]
	v_fma_f64 v[166:167], -v[160:161], v[162:163], 1.0
	v_fmac_f64_e32 v[162:163], v[162:163], v[166:167]
	v_mul_f64 v[166:167], v[164:165], v[162:163]
	v_fma_f64 v[160:161], -v[160:161], v[166:167], v[164:165]
	v_div_fmas_f64 v[160:161], v[160:161], v[162:163], v[166:167]
	v_div_fixup_f64 v[162:163], v[160:161], v[156:157], v[158:159]
	v_fmac_f64_e32 v[156:157], v[158:159], v[162:163]
	v_div_scale_f64 v[158:159], s[10:11], v[156:157], v[156:157], 1.0
	v_rcp_f64_e32 v[160:161], v[158:159]
	s_nop 0
	v_fma_f64 v[164:165], -v[158:159], v[160:161], 1.0
	v_fmac_f64_e32 v[160:161], v[160:161], v[164:165]
	v_fma_f64 v[164:165], -v[158:159], v[160:161], 1.0
	v_fmac_f64_e32 v[160:161], v[160:161], v[164:165]
	v_div_scale_f64 v[164:165], vcc, 1.0, v[156:157], 1.0
	v_mul_f64 v[166:167], v[164:165], v[160:161]
	v_fma_f64 v[158:159], -v[158:159], v[166:167], v[164:165]
	s_nop 1
	v_div_fmas_f64 v[158:159], v[158:159], v[160:161], v[166:167]
	v_div_fixup_f64 v[160:161], v[158:159], v[156:157], 1.0
	v_mul_f64 v[162:163], v[162:163], -v[160:161]
.LBB77_25:
	s_or_b64 exec, exec, s[2:3]
	ds_write2_b64 v215, v[160:161], v[162:163] offset1:1
.LBB77_26:
	s_or_b64 exec, exec, s[4:5]
	s_waitcnt lgkmcnt(0)
	s_barrier
	ds_read2_b64 v[156:159], v215 offset1:1
	v_cmp_lt_u32_e32 vcc, 2, v214
	s_waitcnt lgkmcnt(0)
	scratch_store_dwordx4 off, v[156:159], off offset:224 ; 16-byte Folded Spill
	s_and_saveexec_b64 s[2:3], vcc
	s_cbranch_execz .LBB77_28
; %bb.27:
	scratch_load_dwordx4 v[158:161], off, off offset:224 ; 16-byte Folded Reload
	s_waitcnt vmcnt(0)
	v_mul_f64 v[156:157], v[160:161], v[142:143]
	v_mul_f64 v[142:143], v[158:159], v[142:143]
	v_fma_f64 v[156:157], v[158:159], v[140:141], -v[156:157]
	v_fmac_f64_e32 v[142:143], v[160:161], v[140:141]
	ds_read2_b64 v[158:161], v212 offset0:6 offset1:7
	s_waitcnt lgkmcnt(0)
	v_mul_f64 v[140:141], v[160:161], v[142:143]
	v_fma_f64 v[140:141], v[158:159], v[156:157], -v[140:141]
	v_mul_f64 v[158:159], v[158:159], v[142:143]
	v_fmac_f64_e32 v[158:159], v[160:161], v[156:157]
	v_add_f64 v[138:139], v[138:139], -v[158:159]
	ds_read2_b64 v[158:161], v212 offset0:8 offset1:9
	v_add_f64 v[136:137], v[136:137], -v[140:141]
	s_waitcnt lgkmcnt(0)
	v_mul_f64 v[140:141], v[160:161], v[142:143]
	v_fma_f64 v[140:141], v[158:159], v[156:157], -v[140:141]
	v_mul_f64 v[158:159], v[158:159], v[142:143]
	v_fmac_f64_e32 v[158:159], v[160:161], v[156:157]
	v_add_f64 v[134:135], v[134:135], -v[158:159]
	ds_read2_b64 v[158:161], v212 offset0:10 offset1:11
	v_add_f64 v[132:133], v[132:133], -v[140:141]
	;; [unrolled: 8-line block ×35, first 2 shown]
	s_waitcnt lgkmcnt(0)
	v_mul_f64 v[140:141], v[160:161], v[142:143]
	v_fma_f64 v[140:141], v[158:159], v[156:157], -v[140:141]
	v_mul_f64 v[158:159], v[158:159], v[142:143]
	v_fmac_f64_e32 v[158:159], v[160:161], v[156:157]
	v_add_f64 v[152:153], v[152:153], -v[140:141]
	v_add_f64 v[154:155], v[154:155], -v[158:159]
	v_mov_b64_e32 v[140:141], v[156:157]
.LBB77_28:
	s_or_b64 exec, exec, s[2:3]
	v_cmp_eq_u32_e32 vcc, 3, v214
	s_barrier
	s_and_saveexec_b64 s[4:5], vcc
	s_cbranch_execz .LBB77_35
; %bb.29:
	s_waitcnt vmcnt(57)
	ds_write2_b64 v215, v[136:137], v[138:139] offset1:1
	s_waitcnt vmcnt(56)
	ds_write2_b64 v212, v[132:133], v[134:135] offset0:8 offset1:9
	s_waitcnt vmcnt(55)
	ds_write2_b64 v212, v[128:129], v[130:131] offset0:10 offset1:11
	;; [unrolled: 2-line block ×28, first 2 shown]
	ds_write2_b64 v212, v[20:21], v[22:23] offset0:64 offset1:65
	s_waitcnt vmcnt(13)
	ds_write2_b64 v212, v[16:17], v[18:19] offset0:66 offset1:67
	s_waitcnt vmcnt(12)
	;; [unrolled: 2-line block ×4, first 2 shown]
	ds_write2_b64 v212, v[4:5], v[6:7] offset0:72 offset1:73
	ds_write2_b64 v212, v[0:1], v[2:3] offset0:74 offset1:75
	s_waitcnt vmcnt(8)
	ds_write2_b64 v212, v[152:153], v[154:155] offset0:76 offset1:77
	ds_read2_b64 v[156:159], v215 offset1:1
	s_waitcnt lgkmcnt(0)
	v_cmp_neq_f64_e32 vcc, 0, v[156:157]
	v_cmp_neq_f64_e64 s[2:3], 0, v[158:159]
	s_or_b64 s[2:3], vcc, s[2:3]
	s_and_b64 exec, exec, s[2:3]
	s_cbranch_execz .LBB77_35
; %bb.30:
	v_cmp_ngt_f64_e64 s[2:3], |v[156:157]|, |v[158:159]|
                                        ; implicit-def: $vgpr160_vgpr161
	s_and_saveexec_b64 s[10:11], s[2:3]
	s_xor_b64 s[2:3], exec, s[10:11]
                                        ; implicit-def: $vgpr162_vgpr163
	s_cbranch_execz .LBB77_32
; %bb.31:
	v_div_scale_f64 v[160:161], s[10:11], v[158:159], v[158:159], v[156:157]
	v_rcp_f64_e32 v[162:163], v[160:161]
	v_div_scale_f64 v[164:165], vcc, v[156:157], v[158:159], v[156:157]
	v_fma_f64 v[166:167], -v[160:161], v[162:163], 1.0
	v_fmac_f64_e32 v[162:163], v[162:163], v[166:167]
	v_fma_f64 v[166:167], -v[160:161], v[162:163], 1.0
	v_fmac_f64_e32 v[162:163], v[162:163], v[166:167]
	v_mul_f64 v[166:167], v[164:165], v[162:163]
	v_fma_f64 v[160:161], -v[160:161], v[166:167], v[164:165]
	v_div_fmas_f64 v[160:161], v[160:161], v[162:163], v[166:167]
	v_div_fixup_f64 v[160:161], v[160:161], v[158:159], v[156:157]
	v_fmac_f64_e32 v[158:159], v[156:157], v[160:161]
	v_div_scale_f64 v[156:157], s[10:11], v[158:159], v[158:159], 1.0
	v_rcp_f64_e32 v[162:163], v[156:157]
	s_nop 0
	v_fma_f64 v[164:165], -v[156:157], v[162:163], 1.0
	v_fmac_f64_e32 v[162:163], v[162:163], v[164:165]
	v_fma_f64 v[164:165], -v[156:157], v[162:163], 1.0
	v_fmac_f64_e32 v[162:163], v[162:163], v[164:165]
	v_div_scale_f64 v[164:165], vcc, 1.0, v[158:159], 1.0
	v_mul_f64 v[166:167], v[164:165], v[162:163]
	v_fma_f64 v[156:157], -v[156:157], v[166:167], v[164:165]
	s_nop 1
	v_div_fmas_f64 v[156:157], v[156:157], v[162:163], v[166:167]
	v_div_fixup_f64 v[162:163], v[156:157], v[158:159], 1.0
	v_mul_f64 v[160:161], v[160:161], v[162:163]
	v_xor_b32_e32 v163, 0x80000000, v163
                                        ; implicit-def: $vgpr156_vgpr157
.LBB77_32:
	s_andn2_saveexec_b64 s[2:3], s[2:3]
	s_cbranch_execz .LBB77_34
; %bb.33:
	v_div_scale_f64 v[160:161], s[10:11], v[156:157], v[156:157], v[158:159]
	v_rcp_f64_e32 v[162:163], v[160:161]
	v_div_scale_f64 v[164:165], vcc, v[158:159], v[156:157], v[158:159]
	v_fma_f64 v[166:167], -v[160:161], v[162:163], 1.0
	v_fmac_f64_e32 v[162:163], v[162:163], v[166:167]
	v_fma_f64 v[166:167], -v[160:161], v[162:163], 1.0
	v_fmac_f64_e32 v[162:163], v[162:163], v[166:167]
	v_mul_f64 v[166:167], v[164:165], v[162:163]
	v_fma_f64 v[160:161], -v[160:161], v[166:167], v[164:165]
	v_div_fmas_f64 v[160:161], v[160:161], v[162:163], v[166:167]
	v_div_fixup_f64 v[162:163], v[160:161], v[156:157], v[158:159]
	v_fmac_f64_e32 v[156:157], v[158:159], v[162:163]
	v_div_scale_f64 v[158:159], s[10:11], v[156:157], v[156:157], 1.0
	v_rcp_f64_e32 v[160:161], v[158:159]
	s_nop 0
	v_fma_f64 v[164:165], -v[158:159], v[160:161], 1.0
	v_fmac_f64_e32 v[160:161], v[160:161], v[164:165]
	v_fma_f64 v[164:165], -v[158:159], v[160:161], 1.0
	v_fmac_f64_e32 v[160:161], v[160:161], v[164:165]
	v_div_scale_f64 v[164:165], vcc, 1.0, v[156:157], 1.0
	v_mul_f64 v[166:167], v[164:165], v[160:161]
	v_fma_f64 v[158:159], -v[158:159], v[166:167], v[164:165]
	s_nop 1
	v_div_fmas_f64 v[158:159], v[158:159], v[160:161], v[166:167]
	v_div_fixup_f64 v[160:161], v[158:159], v[156:157], 1.0
	v_mul_f64 v[162:163], v[162:163], -v[160:161]
.LBB77_34:
	s_or_b64 exec, exec, s[2:3]
	ds_write2_b64 v215, v[160:161], v[162:163] offset1:1
.LBB77_35:
	s_or_b64 exec, exec, s[4:5]
	s_waitcnt lgkmcnt(0)
	s_barrier
	ds_read2_b64 v[156:159], v215 offset1:1
	v_cmp_lt_u32_e32 vcc, 3, v214
	s_waitcnt lgkmcnt(0)
	scratch_store_dwordx4 off, v[156:159], off offset:240 ; 16-byte Folded Spill
	s_and_saveexec_b64 s[2:3], vcc
	s_cbranch_execz .LBB77_37
; %bb.36:
	scratch_load_dwordx4 v[158:161], off, off offset:240 ; 16-byte Folded Reload
	s_waitcnt vmcnt(0)
	v_mul_f64 v[156:157], v[160:161], v[138:139]
	v_mul_f64 v[138:139], v[158:159], v[138:139]
	v_fma_f64 v[156:157], v[158:159], v[136:137], -v[156:157]
	v_fmac_f64_e32 v[138:139], v[160:161], v[136:137]
	ds_read2_b64 v[158:161], v212 offset0:8 offset1:9
	s_waitcnt lgkmcnt(0)
	v_mul_f64 v[136:137], v[160:161], v[138:139]
	v_fma_f64 v[136:137], v[158:159], v[156:157], -v[136:137]
	v_mul_f64 v[158:159], v[158:159], v[138:139]
	v_fmac_f64_e32 v[158:159], v[160:161], v[156:157]
	v_add_f64 v[134:135], v[134:135], -v[158:159]
	ds_read2_b64 v[158:161], v212 offset0:10 offset1:11
	v_add_f64 v[132:133], v[132:133], -v[136:137]
	s_waitcnt lgkmcnt(0)
	v_mul_f64 v[136:137], v[160:161], v[138:139]
	v_fma_f64 v[136:137], v[158:159], v[156:157], -v[136:137]
	v_mul_f64 v[158:159], v[158:159], v[138:139]
	v_fmac_f64_e32 v[158:159], v[160:161], v[156:157]
	v_add_f64 v[130:131], v[130:131], -v[158:159]
	ds_read2_b64 v[158:161], v212 offset0:12 offset1:13
	v_add_f64 v[128:129], v[128:129], -v[136:137]
	;; [unrolled: 8-line block ×34, first 2 shown]
	s_waitcnt lgkmcnt(0)
	v_mul_f64 v[136:137], v[160:161], v[138:139]
	v_fma_f64 v[136:137], v[158:159], v[156:157], -v[136:137]
	v_mul_f64 v[158:159], v[158:159], v[138:139]
	v_fmac_f64_e32 v[158:159], v[160:161], v[156:157]
	v_add_f64 v[152:153], v[152:153], -v[136:137]
	v_add_f64 v[154:155], v[154:155], -v[158:159]
	v_mov_b64_e32 v[136:137], v[156:157]
.LBB77_37:
	s_or_b64 exec, exec, s[2:3]
	v_cmp_eq_u32_e32 vcc, 4, v214
	s_barrier
	s_and_saveexec_b64 s[4:5], vcc
	s_cbranch_execz .LBB77_44
; %bb.38:
	s_waitcnt vmcnt(57)
	ds_write2_b64 v215, v[132:133], v[134:135] offset1:1
	s_waitcnt vmcnt(56)
	ds_write2_b64 v212, v[128:129], v[130:131] offset0:10 offset1:11
	s_waitcnt vmcnt(55)
	ds_write2_b64 v212, v[124:125], v[126:127] offset0:12 offset1:13
	;; [unrolled: 2-line block ×27, first 2 shown]
	ds_write2_b64 v212, v[20:21], v[22:23] offset0:64 offset1:65
	s_waitcnt vmcnt(14)
	ds_write2_b64 v212, v[16:17], v[18:19] offset0:66 offset1:67
	s_waitcnt vmcnt(13)
	;; [unrolled: 2-line block ×4, first 2 shown]
	ds_write2_b64 v212, v[4:5], v[6:7] offset0:72 offset1:73
	ds_write2_b64 v212, v[0:1], v[2:3] offset0:74 offset1:75
	s_waitcnt vmcnt(9)
	ds_write2_b64 v212, v[152:153], v[154:155] offset0:76 offset1:77
	ds_read2_b64 v[156:159], v215 offset1:1
	s_waitcnt lgkmcnt(0)
	v_cmp_neq_f64_e32 vcc, 0, v[156:157]
	v_cmp_neq_f64_e64 s[2:3], 0, v[158:159]
	s_or_b64 s[2:3], vcc, s[2:3]
	s_and_b64 exec, exec, s[2:3]
	s_cbranch_execz .LBB77_44
; %bb.39:
	v_cmp_ngt_f64_e64 s[2:3], |v[156:157]|, |v[158:159]|
                                        ; implicit-def: $vgpr160_vgpr161
	s_and_saveexec_b64 s[10:11], s[2:3]
	s_xor_b64 s[2:3], exec, s[10:11]
                                        ; implicit-def: $vgpr162_vgpr163
	s_cbranch_execz .LBB77_41
; %bb.40:
	v_div_scale_f64 v[160:161], s[10:11], v[158:159], v[158:159], v[156:157]
	v_rcp_f64_e32 v[162:163], v[160:161]
	v_div_scale_f64 v[164:165], vcc, v[156:157], v[158:159], v[156:157]
	v_fma_f64 v[166:167], -v[160:161], v[162:163], 1.0
	v_fmac_f64_e32 v[162:163], v[162:163], v[166:167]
	v_fma_f64 v[166:167], -v[160:161], v[162:163], 1.0
	v_fmac_f64_e32 v[162:163], v[162:163], v[166:167]
	v_mul_f64 v[166:167], v[164:165], v[162:163]
	v_fma_f64 v[160:161], -v[160:161], v[166:167], v[164:165]
	v_div_fmas_f64 v[160:161], v[160:161], v[162:163], v[166:167]
	v_div_fixup_f64 v[160:161], v[160:161], v[158:159], v[156:157]
	v_fmac_f64_e32 v[158:159], v[156:157], v[160:161]
	v_div_scale_f64 v[156:157], s[10:11], v[158:159], v[158:159], 1.0
	v_rcp_f64_e32 v[162:163], v[156:157]
	s_nop 0
	v_fma_f64 v[164:165], -v[156:157], v[162:163], 1.0
	v_fmac_f64_e32 v[162:163], v[162:163], v[164:165]
	v_fma_f64 v[164:165], -v[156:157], v[162:163], 1.0
	v_fmac_f64_e32 v[162:163], v[162:163], v[164:165]
	v_div_scale_f64 v[164:165], vcc, 1.0, v[158:159], 1.0
	v_mul_f64 v[166:167], v[164:165], v[162:163]
	v_fma_f64 v[156:157], -v[156:157], v[166:167], v[164:165]
	s_nop 1
	v_div_fmas_f64 v[156:157], v[156:157], v[162:163], v[166:167]
	v_div_fixup_f64 v[162:163], v[156:157], v[158:159], 1.0
	v_mul_f64 v[160:161], v[160:161], v[162:163]
	v_xor_b32_e32 v163, 0x80000000, v163
                                        ; implicit-def: $vgpr156_vgpr157
.LBB77_41:
	s_andn2_saveexec_b64 s[2:3], s[2:3]
	s_cbranch_execz .LBB77_43
; %bb.42:
	v_div_scale_f64 v[160:161], s[10:11], v[156:157], v[156:157], v[158:159]
	v_rcp_f64_e32 v[162:163], v[160:161]
	v_div_scale_f64 v[164:165], vcc, v[158:159], v[156:157], v[158:159]
	v_fma_f64 v[166:167], -v[160:161], v[162:163], 1.0
	v_fmac_f64_e32 v[162:163], v[162:163], v[166:167]
	v_fma_f64 v[166:167], -v[160:161], v[162:163], 1.0
	v_fmac_f64_e32 v[162:163], v[162:163], v[166:167]
	v_mul_f64 v[166:167], v[164:165], v[162:163]
	v_fma_f64 v[160:161], -v[160:161], v[166:167], v[164:165]
	v_div_fmas_f64 v[160:161], v[160:161], v[162:163], v[166:167]
	v_div_fixup_f64 v[162:163], v[160:161], v[156:157], v[158:159]
	v_fmac_f64_e32 v[156:157], v[158:159], v[162:163]
	v_div_scale_f64 v[158:159], s[10:11], v[156:157], v[156:157], 1.0
	v_rcp_f64_e32 v[160:161], v[158:159]
	s_nop 0
	v_fma_f64 v[164:165], -v[158:159], v[160:161], 1.0
	v_fmac_f64_e32 v[160:161], v[160:161], v[164:165]
	v_fma_f64 v[164:165], -v[158:159], v[160:161], 1.0
	v_fmac_f64_e32 v[160:161], v[160:161], v[164:165]
	v_div_scale_f64 v[164:165], vcc, 1.0, v[156:157], 1.0
	v_mul_f64 v[166:167], v[164:165], v[160:161]
	v_fma_f64 v[158:159], -v[158:159], v[166:167], v[164:165]
	s_nop 1
	v_div_fmas_f64 v[158:159], v[158:159], v[160:161], v[166:167]
	v_div_fixup_f64 v[160:161], v[158:159], v[156:157], 1.0
	v_mul_f64 v[162:163], v[162:163], -v[160:161]
.LBB77_43:
	s_or_b64 exec, exec, s[2:3]
	ds_write2_b64 v215, v[160:161], v[162:163] offset1:1
.LBB77_44:
	s_or_b64 exec, exec, s[4:5]
	s_waitcnt lgkmcnt(0)
	s_barrier
	ds_read2_b64 v[156:159], v215 offset1:1
	v_cmp_lt_u32_e32 vcc, 4, v214
	s_waitcnt lgkmcnt(0)
	scratch_store_dwordx4 off, v[156:159], off offset:256 ; 16-byte Folded Spill
	s_and_saveexec_b64 s[2:3], vcc
	s_cbranch_execz .LBB77_46
; %bb.45:
	scratch_load_dwordx4 v[158:161], off, off offset:256 ; 16-byte Folded Reload
	s_waitcnt vmcnt(0)
	v_mul_f64 v[156:157], v[160:161], v[134:135]
	v_mul_f64 v[134:135], v[158:159], v[134:135]
	v_fma_f64 v[156:157], v[158:159], v[132:133], -v[156:157]
	v_fmac_f64_e32 v[134:135], v[160:161], v[132:133]
	ds_read2_b64 v[158:161], v212 offset0:10 offset1:11
	s_waitcnt lgkmcnt(0)
	v_mul_f64 v[132:133], v[160:161], v[134:135]
	v_fma_f64 v[132:133], v[158:159], v[156:157], -v[132:133]
	v_mul_f64 v[158:159], v[158:159], v[134:135]
	v_fmac_f64_e32 v[158:159], v[160:161], v[156:157]
	v_add_f64 v[130:131], v[130:131], -v[158:159]
	ds_read2_b64 v[158:161], v212 offset0:12 offset1:13
	v_add_f64 v[128:129], v[128:129], -v[132:133]
	s_waitcnt lgkmcnt(0)
	v_mul_f64 v[132:133], v[160:161], v[134:135]
	v_fma_f64 v[132:133], v[158:159], v[156:157], -v[132:133]
	v_mul_f64 v[158:159], v[158:159], v[134:135]
	v_fmac_f64_e32 v[158:159], v[160:161], v[156:157]
	v_add_f64 v[126:127], v[126:127], -v[158:159]
	ds_read2_b64 v[158:161], v212 offset0:14 offset1:15
	v_add_f64 v[124:125], v[124:125], -v[132:133]
	;; [unrolled: 8-line block ×33, first 2 shown]
	s_waitcnt lgkmcnt(0)
	v_mul_f64 v[132:133], v[160:161], v[134:135]
	v_fma_f64 v[132:133], v[158:159], v[156:157], -v[132:133]
	v_mul_f64 v[158:159], v[158:159], v[134:135]
	v_fmac_f64_e32 v[158:159], v[160:161], v[156:157]
	v_add_f64 v[152:153], v[152:153], -v[132:133]
	v_add_f64 v[154:155], v[154:155], -v[158:159]
	v_mov_b64_e32 v[132:133], v[156:157]
.LBB77_46:
	s_or_b64 exec, exec, s[2:3]
	v_cmp_eq_u32_e32 vcc, 5, v214
	s_barrier
	s_and_saveexec_b64 s[4:5], vcc
	s_cbranch_execz .LBB77_53
; %bb.47:
	s_waitcnt vmcnt(57)
	ds_write2_b64 v215, v[128:129], v[130:131] offset1:1
	s_waitcnt vmcnt(56)
	ds_write2_b64 v212, v[124:125], v[126:127] offset0:12 offset1:13
	s_waitcnt vmcnt(55)
	ds_write2_b64 v212, v[120:121], v[122:123] offset0:14 offset1:15
	;; [unrolled: 2-line block ×26, first 2 shown]
	ds_write2_b64 v212, v[20:21], v[22:23] offset0:64 offset1:65
	s_waitcnt vmcnt(15)
	ds_write2_b64 v212, v[16:17], v[18:19] offset0:66 offset1:67
	s_waitcnt vmcnt(14)
	;; [unrolled: 2-line block ×4, first 2 shown]
	ds_write2_b64 v212, v[4:5], v[6:7] offset0:72 offset1:73
	ds_write2_b64 v212, v[0:1], v[2:3] offset0:74 offset1:75
	s_waitcnt vmcnt(10)
	ds_write2_b64 v212, v[152:153], v[154:155] offset0:76 offset1:77
	ds_read2_b64 v[156:159], v215 offset1:1
	s_waitcnt lgkmcnt(0)
	v_cmp_neq_f64_e32 vcc, 0, v[156:157]
	v_cmp_neq_f64_e64 s[2:3], 0, v[158:159]
	s_or_b64 s[2:3], vcc, s[2:3]
	s_and_b64 exec, exec, s[2:3]
	s_cbranch_execz .LBB77_53
; %bb.48:
	v_cmp_ngt_f64_e64 s[2:3], |v[156:157]|, |v[158:159]|
                                        ; implicit-def: $vgpr160_vgpr161
	s_and_saveexec_b64 s[10:11], s[2:3]
	s_xor_b64 s[2:3], exec, s[10:11]
                                        ; implicit-def: $vgpr162_vgpr163
	s_cbranch_execz .LBB77_50
; %bb.49:
	v_div_scale_f64 v[160:161], s[10:11], v[158:159], v[158:159], v[156:157]
	v_rcp_f64_e32 v[162:163], v[160:161]
	v_div_scale_f64 v[164:165], vcc, v[156:157], v[158:159], v[156:157]
	v_fma_f64 v[166:167], -v[160:161], v[162:163], 1.0
	v_fmac_f64_e32 v[162:163], v[162:163], v[166:167]
	v_fma_f64 v[166:167], -v[160:161], v[162:163], 1.0
	v_fmac_f64_e32 v[162:163], v[162:163], v[166:167]
	v_mul_f64 v[166:167], v[164:165], v[162:163]
	v_fma_f64 v[160:161], -v[160:161], v[166:167], v[164:165]
	v_div_fmas_f64 v[160:161], v[160:161], v[162:163], v[166:167]
	v_div_fixup_f64 v[160:161], v[160:161], v[158:159], v[156:157]
	v_fmac_f64_e32 v[158:159], v[156:157], v[160:161]
	v_div_scale_f64 v[156:157], s[10:11], v[158:159], v[158:159], 1.0
	v_rcp_f64_e32 v[162:163], v[156:157]
	s_nop 0
	v_fma_f64 v[164:165], -v[156:157], v[162:163], 1.0
	v_fmac_f64_e32 v[162:163], v[162:163], v[164:165]
	v_fma_f64 v[164:165], -v[156:157], v[162:163], 1.0
	v_fmac_f64_e32 v[162:163], v[162:163], v[164:165]
	v_div_scale_f64 v[164:165], vcc, 1.0, v[158:159], 1.0
	v_mul_f64 v[166:167], v[164:165], v[162:163]
	v_fma_f64 v[156:157], -v[156:157], v[166:167], v[164:165]
	s_nop 1
	v_div_fmas_f64 v[156:157], v[156:157], v[162:163], v[166:167]
	v_div_fixup_f64 v[162:163], v[156:157], v[158:159], 1.0
	v_mul_f64 v[160:161], v[160:161], v[162:163]
	v_xor_b32_e32 v163, 0x80000000, v163
                                        ; implicit-def: $vgpr156_vgpr157
.LBB77_50:
	s_andn2_saveexec_b64 s[2:3], s[2:3]
	s_cbranch_execz .LBB77_52
; %bb.51:
	v_div_scale_f64 v[160:161], s[10:11], v[156:157], v[156:157], v[158:159]
	v_rcp_f64_e32 v[162:163], v[160:161]
	v_div_scale_f64 v[164:165], vcc, v[158:159], v[156:157], v[158:159]
	v_fma_f64 v[166:167], -v[160:161], v[162:163], 1.0
	v_fmac_f64_e32 v[162:163], v[162:163], v[166:167]
	v_fma_f64 v[166:167], -v[160:161], v[162:163], 1.0
	v_fmac_f64_e32 v[162:163], v[162:163], v[166:167]
	v_mul_f64 v[166:167], v[164:165], v[162:163]
	v_fma_f64 v[160:161], -v[160:161], v[166:167], v[164:165]
	v_div_fmas_f64 v[160:161], v[160:161], v[162:163], v[166:167]
	v_div_fixup_f64 v[162:163], v[160:161], v[156:157], v[158:159]
	v_fmac_f64_e32 v[156:157], v[158:159], v[162:163]
	v_div_scale_f64 v[158:159], s[10:11], v[156:157], v[156:157], 1.0
	v_rcp_f64_e32 v[160:161], v[158:159]
	s_nop 0
	v_fma_f64 v[164:165], -v[158:159], v[160:161], 1.0
	v_fmac_f64_e32 v[160:161], v[160:161], v[164:165]
	v_fma_f64 v[164:165], -v[158:159], v[160:161], 1.0
	v_fmac_f64_e32 v[160:161], v[160:161], v[164:165]
	v_div_scale_f64 v[164:165], vcc, 1.0, v[156:157], 1.0
	v_mul_f64 v[166:167], v[164:165], v[160:161]
	v_fma_f64 v[158:159], -v[158:159], v[166:167], v[164:165]
	s_nop 1
	v_div_fmas_f64 v[158:159], v[158:159], v[160:161], v[166:167]
	v_div_fixup_f64 v[160:161], v[158:159], v[156:157], 1.0
	v_mul_f64 v[162:163], v[162:163], -v[160:161]
.LBB77_52:
	s_or_b64 exec, exec, s[2:3]
	ds_write2_b64 v215, v[160:161], v[162:163] offset1:1
.LBB77_53:
	s_or_b64 exec, exec, s[4:5]
	s_waitcnt lgkmcnt(0)
	s_barrier
	ds_read2_b64 v[156:159], v215 offset1:1
	v_cmp_lt_u32_e32 vcc, 5, v214
	s_waitcnt lgkmcnt(0)
	scratch_store_dwordx4 off, v[156:159], off offset:272 ; 16-byte Folded Spill
	s_and_saveexec_b64 s[2:3], vcc
	s_cbranch_execz .LBB77_55
; %bb.54:
	scratch_load_dwordx4 v[158:161], off, off offset:272 ; 16-byte Folded Reload
	s_waitcnt vmcnt(0)
	v_mul_f64 v[156:157], v[160:161], v[130:131]
	v_mul_f64 v[130:131], v[158:159], v[130:131]
	v_fma_f64 v[156:157], v[158:159], v[128:129], -v[156:157]
	v_fmac_f64_e32 v[130:131], v[160:161], v[128:129]
	ds_read2_b64 v[158:161], v212 offset0:12 offset1:13
	s_waitcnt lgkmcnt(0)
	v_mul_f64 v[128:129], v[160:161], v[130:131]
	v_fma_f64 v[128:129], v[158:159], v[156:157], -v[128:129]
	v_mul_f64 v[158:159], v[158:159], v[130:131]
	v_fmac_f64_e32 v[158:159], v[160:161], v[156:157]
	v_add_f64 v[126:127], v[126:127], -v[158:159]
	ds_read2_b64 v[158:161], v212 offset0:14 offset1:15
	v_add_f64 v[124:125], v[124:125], -v[128:129]
	s_waitcnt lgkmcnt(0)
	v_mul_f64 v[128:129], v[160:161], v[130:131]
	v_fma_f64 v[128:129], v[158:159], v[156:157], -v[128:129]
	v_mul_f64 v[158:159], v[158:159], v[130:131]
	v_fmac_f64_e32 v[158:159], v[160:161], v[156:157]
	v_add_f64 v[122:123], v[122:123], -v[158:159]
	ds_read2_b64 v[158:161], v212 offset0:16 offset1:17
	v_add_f64 v[120:121], v[120:121], -v[128:129]
	s_waitcnt lgkmcnt(0)
	v_mul_f64 v[128:129], v[160:161], v[130:131]
	v_fma_f64 v[128:129], v[158:159], v[156:157], -v[128:129]
	v_mul_f64 v[158:159], v[158:159], v[130:131]
	v_fmac_f64_e32 v[158:159], v[160:161], v[156:157]
	v_add_f64 v[118:119], v[118:119], -v[158:159]
	ds_read2_b64 v[158:161], v212 offset0:18 offset1:19
	v_add_f64 v[116:117], v[116:117], -v[128:129]
	s_waitcnt lgkmcnt(0)
	v_mul_f64 v[128:129], v[160:161], v[130:131]
	v_fma_f64 v[128:129], v[158:159], v[156:157], -v[128:129]
	v_mul_f64 v[158:159], v[158:159], v[130:131]
	v_fmac_f64_e32 v[158:159], v[160:161], v[156:157]
	v_add_f64 v[114:115], v[114:115], -v[158:159]
	ds_read2_b64 v[158:161], v212 offset0:20 offset1:21
	v_add_f64 v[112:113], v[112:113], -v[128:129]
	s_waitcnt lgkmcnt(0)
	v_mul_f64 v[128:129], v[160:161], v[130:131]
	v_fma_f64 v[128:129], v[158:159], v[156:157], -v[128:129]
	v_mul_f64 v[158:159], v[158:159], v[130:131]
	v_fmac_f64_e32 v[158:159], v[160:161], v[156:157]
	v_add_f64 v[110:111], v[110:111], -v[158:159]
	ds_read2_b64 v[158:161], v212 offset0:22 offset1:23
	v_add_f64 v[108:109], v[108:109], -v[128:129]
	s_waitcnt lgkmcnt(0)
	v_mul_f64 v[128:129], v[160:161], v[130:131]
	v_fma_f64 v[128:129], v[158:159], v[156:157], -v[128:129]
	v_mul_f64 v[158:159], v[158:159], v[130:131]
	v_fmac_f64_e32 v[158:159], v[160:161], v[156:157]
	v_add_f64 v[106:107], v[106:107], -v[158:159]
	ds_read2_b64 v[158:161], v212 offset0:24 offset1:25
	v_add_f64 v[104:105], v[104:105], -v[128:129]
	s_waitcnt lgkmcnt(0)
	v_mul_f64 v[128:129], v[160:161], v[130:131]
	v_fma_f64 v[128:129], v[158:159], v[156:157], -v[128:129]
	v_mul_f64 v[158:159], v[158:159], v[130:131]
	v_fmac_f64_e32 v[158:159], v[160:161], v[156:157]
	v_add_f64 v[102:103], v[102:103], -v[158:159]
	ds_read2_b64 v[158:161], v212 offset0:26 offset1:27
	v_add_f64 v[100:101], v[100:101], -v[128:129]
	s_waitcnt lgkmcnt(0)
	v_mul_f64 v[128:129], v[160:161], v[130:131]
	v_fma_f64 v[128:129], v[158:159], v[156:157], -v[128:129]
	v_mul_f64 v[158:159], v[158:159], v[130:131]
	v_fmac_f64_e32 v[158:159], v[160:161], v[156:157]
	v_add_f64 v[98:99], v[98:99], -v[158:159]
	ds_read2_b64 v[158:161], v212 offset0:28 offset1:29
	v_add_f64 v[96:97], v[96:97], -v[128:129]
	s_waitcnt lgkmcnt(0)
	v_mul_f64 v[128:129], v[160:161], v[130:131]
	v_fma_f64 v[128:129], v[158:159], v[156:157], -v[128:129]
	v_mul_f64 v[158:159], v[158:159], v[130:131]
	v_fmac_f64_e32 v[158:159], v[160:161], v[156:157]
	v_add_f64 v[94:95], v[94:95], -v[158:159]
	ds_read2_b64 v[158:161], v212 offset0:30 offset1:31
	v_add_f64 v[92:93], v[92:93], -v[128:129]
	s_waitcnt lgkmcnt(0)
	v_mul_f64 v[128:129], v[160:161], v[130:131]
	v_fma_f64 v[128:129], v[158:159], v[156:157], -v[128:129]
	v_mul_f64 v[158:159], v[158:159], v[130:131]
	v_fmac_f64_e32 v[158:159], v[160:161], v[156:157]
	v_add_f64 v[90:91], v[90:91], -v[158:159]
	ds_read2_b64 v[158:161], v212 offset0:32 offset1:33
	v_add_f64 v[88:89], v[88:89], -v[128:129]
	s_waitcnt lgkmcnt(0)
	v_mul_f64 v[128:129], v[160:161], v[130:131]
	v_fma_f64 v[128:129], v[158:159], v[156:157], -v[128:129]
	v_mul_f64 v[158:159], v[158:159], v[130:131]
	v_fmac_f64_e32 v[158:159], v[160:161], v[156:157]
	v_add_f64 v[86:87], v[86:87], -v[158:159]
	ds_read2_b64 v[158:161], v212 offset0:34 offset1:35
	v_add_f64 v[84:85], v[84:85], -v[128:129]
	s_waitcnt lgkmcnt(0)
	v_mul_f64 v[128:129], v[160:161], v[130:131]
	v_fma_f64 v[128:129], v[158:159], v[156:157], -v[128:129]
	v_mul_f64 v[158:159], v[158:159], v[130:131]
	v_fmac_f64_e32 v[158:159], v[160:161], v[156:157]
	v_add_f64 v[82:83], v[82:83], -v[158:159]
	ds_read2_b64 v[158:161], v212 offset0:36 offset1:37
	v_add_f64 v[80:81], v[80:81], -v[128:129]
	s_waitcnt lgkmcnt(0)
	v_mul_f64 v[128:129], v[160:161], v[130:131]
	v_fma_f64 v[128:129], v[158:159], v[156:157], -v[128:129]
	v_mul_f64 v[158:159], v[158:159], v[130:131]
	v_fmac_f64_e32 v[158:159], v[160:161], v[156:157]
	v_add_f64 v[78:79], v[78:79], -v[158:159]
	ds_read2_b64 v[158:161], v212 offset0:38 offset1:39
	v_add_f64 v[76:77], v[76:77], -v[128:129]
	s_waitcnt lgkmcnt(0)
	v_mul_f64 v[128:129], v[160:161], v[130:131]
	v_fma_f64 v[128:129], v[158:159], v[156:157], -v[128:129]
	v_mul_f64 v[158:159], v[158:159], v[130:131]
	v_fmac_f64_e32 v[158:159], v[160:161], v[156:157]
	v_add_f64 v[74:75], v[74:75], -v[158:159]
	ds_read2_b64 v[158:161], v212 offset0:40 offset1:41
	v_add_f64 v[72:73], v[72:73], -v[128:129]
	s_waitcnt lgkmcnt(0)
	v_mul_f64 v[128:129], v[160:161], v[130:131]
	v_fma_f64 v[128:129], v[158:159], v[156:157], -v[128:129]
	v_mul_f64 v[158:159], v[158:159], v[130:131]
	v_fmac_f64_e32 v[158:159], v[160:161], v[156:157]
	v_add_f64 v[70:71], v[70:71], -v[158:159]
	ds_read2_b64 v[158:161], v212 offset0:42 offset1:43
	v_add_f64 v[68:69], v[68:69], -v[128:129]
	s_waitcnt lgkmcnt(0)
	v_mul_f64 v[128:129], v[160:161], v[130:131]
	v_fma_f64 v[128:129], v[158:159], v[156:157], -v[128:129]
	v_mul_f64 v[158:159], v[158:159], v[130:131]
	v_fmac_f64_e32 v[158:159], v[160:161], v[156:157]
	v_add_f64 v[66:67], v[66:67], -v[158:159]
	ds_read2_b64 v[158:161], v212 offset0:44 offset1:45
	v_add_f64 v[64:65], v[64:65], -v[128:129]
	s_waitcnt lgkmcnt(0)
	v_mul_f64 v[128:129], v[160:161], v[130:131]
	v_fma_f64 v[128:129], v[158:159], v[156:157], -v[128:129]
	v_mul_f64 v[158:159], v[158:159], v[130:131]
	v_fmac_f64_e32 v[158:159], v[160:161], v[156:157]
	v_add_f64 v[62:63], v[62:63], -v[158:159]
	ds_read2_b64 v[158:161], v212 offset0:46 offset1:47
	v_add_f64 v[60:61], v[60:61], -v[128:129]
	s_waitcnt lgkmcnt(0)
	v_mul_f64 v[128:129], v[160:161], v[130:131]
	v_fma_f64 v[128:129], v[158:159], v[156:157], -v[128:129]
	v_mul_f64 v[158:159], v[158:159], v[130:131]
	v_fmac_f64_e32 v[158:159], v[160:161], v[156:157]
	v_add_f64 v[58:59], v[58:59], -v[158:159]
	ds_read2_b64 v[158:161], v212 offset0:48 offset1:49
	v_add_f64 v[56:57], v[56:57], -v[128:129]
	s_waitcnt lgkmcnt(0)
	v_mul_f64 v[128:129], v[160:161], v[130:131]
	v_fma_f64 v[128:129], v[158:159], v[156:157], -v[128:129]
	v_mul_f64 v[158:159], v[158:159], v[130:131]
	v_fmac_f64_e32 v[158:159], v[160:161], v[156:157]
	v_add_f64 v[54:55], v[54:55], -v[158:159]
	ds_read2_b64 v[158:161], v212 offset0:50 offset1:51
	v_add_f64 v[52:53], v[52:53], -v[128:129]
	s_waitcnt lgkmcnt(0)
	v_mul_f64 v[128:129], v[160:161], v[130:131]
	v_fma_f64 v[128:129], v[158:159], v[156:157], -v[128:129]
	v_mul_f64 v[158:159], v[158:159], v[130:131]
	v_fmac_f64_e32 v[158:159], v[160:161], v[156:157]
	v_add_f64 v[50:51], v[50:51], -v[158:159]
	ds_read2_b64 v[158:161], v212 offset0:52 offset1:53
	v_add_f64 v[48:49], v[48:49], -v[128:129]
	s_waitcnt lgkmcnt(0)
	v_mul_f64 v[128:129], v[160:161], v[130:131]
	v_fma_f64 v[128:129], v[158:159], v[156:157], -v[128:129]
	v_mul_f64 v[158:159], v[158:159], v[130:131]
	v_fmac_f64_e32 v[158:159], v[160:161], v[156:157]
	v_add_f64 v[46:47], v[46:47], -v[158:159]
	ds_read2_b64 v[158:161], v212 offset0:54 offset1:55
	v_add_f64 v[44:45], v[44:45], -v[128:129]
	s_waitcnt lgkmcnt(0)
	v_mul_f64 v[128:129], v[160:161], v[130:131]
	v_fma_f64 v[128:129], v[158:159], v[156:157], -v[128:129]
	v_mul_f64 v[158:159], v[158:159], v[130:131]
	v_fmac_f64_e32 v[158:159], v[160:161], v[156:157]
	v_add_f64 v[42:43], v[42:43], -v[158:159]
	ds_read2_b64 v[158:161], v212 offset0:56 offset1:57
	v_add_f64 v[40:41], v[40:41], -v[128:129]
	s_waitcnt lgkmcnt(0)
	v_mul_f64 v[128:129], v[160:161], v[130:131]
	v_fma_f64 v[128:129], v[158:159], v[156:157], -v[128:129]
	v_mul_f64 v[158:159], v[158:159], v[130:131]
	v_fmac_f64_e32 v[158:159], v[160:161], v[156:157]
	v_add_f64 v[38:39], v[38:39], -v[158:159]
	ds_read2_b64 v[158:161], v212 offset0:58 offset1:59
	v_add_f64 v[36:37], v[36:37], -v[128:129]
	s_waitcnt lgkmcnt(0)
	v_mul_f64 v[128:129], v[160:161], v[130:131]
	v_fma_f64 v[128:129], v[158:159], v[156:157], -v[128:129]
	v_mul_f64 v[158:159], v[158:159], v[130:131]
	v_fmac_f64_e32 v[158:159], v[160:161], v[156:157]
	v_add_f64 v[34:35], v[34:35], -v[158:159]
	ds_read2_b64 v[158:161], v212 offset0:60 offset1:61
	v_add_f64 v[32:33], v[32:33], -v[128:129]
	s_waitcnt lgkmcnt(0)
	v_mul_f64 v[128:129], v[160:161], v[130:131]
	v_fma_f64 v[128:129], v[158:159], v[156:157], -v[128:129]
	v_mul_f64 v[158:159], v[158:159], v[130:131]
	v_fmac_f64_e32 v[158:159], v[160:161], v[156:157]
	v_add_f64 v[30:31], v[30:31], -v[158:159]
	ds_read2_b64 v[158:161], v212 offset0:62 offset1:63
	v_add_f64 v[28:29], v[28:29], -v[128:129]
	s_waitcnt lgkmcnt(0)
	v_mul_f64 v[128:129], v[160:161], v[130:131]
	v_fma_f64 v[128:129], v[158:159], v[156:157], -v[128:129]
	v_mul_f64 v[158:159], v[158:159], v[130:131]
	v_fmac_f64_e32 v[158:159], v[160:161], v[156:157]
	v_add_f64 v[26:27], v[26:27], -v[158:159]
	ds_read2_b64 v[158:161], v212 offset0:64 offset1:65
	v_add_f64 v[24:25], v[24:25], -v[128:129]
	s_waitcnt lgkmcnt(0)
	v_mul_f64 v[128:129], v[160:161], v[130:131]
	v_fma_f64 v[128:129], v[158:159], v[156:157], -v[128:129]
	v_mul_f64 v[158:159], v[158:159], v[130:131]
	v_fmac_f64_e32 v[158:159], v[160:161], v[156:157]
	v_add_f64 v[22:23], v[22:23], -v[158:159]
	ds_read2_b64 v[158:161], v212 offset0:66 offset1:67
	v_add_f64 v[20:21], v[20:21], -v[128:129]
	s_waitcnt lgkmcnt(0)
	v_mul_f64 v[128:129], v[160:161], v[130:131]
	v_fma_f64 v[128:129], v[158:159], v[156:157], -v[128:129]
	v_mul_f64 v[158:159], v[158:159], v[130:131]
	v_fmac_f64_e32 v[158:159], v[160:161], v[156:157]
	v_add_f64 v[18:19], v[18:19], -v[158:159]
	ds_read2_b64 v[158:161], v212 offset0:68 offset1:69
	v_add_f64 v[16:17], v[16:17], -v[128:129]
	s_waitcnt lgkmcnt(0)
	v_mul_f64 v[128:129], v[160:161], v[130:131]
	v_fma_f64 v[128:129], v[158:159], v[156:157], -v[128:129]
	v_mul_f64 v[158:159], v[158:159], v[130:131]
	v_fmac_f64_e32 v[158:159], v[160:161], v[156:157]
	v_add_f64 v[14:15], v[14:15], -v[158:159]
	ds_read2_b64 v[158:161], v212 offset0:70 offset1:71
	v_add_f64 v[12:13], v[12:13], -v[128:129]
	s_waitcnt lgkmcnt(0)
	v_mul_f64 v[128:129], v[160:161], v[130:131]
	v_fma_f64 v[128:129], v[158:159], v[156:157], -v[128:129]
	v_mul_f64 v[158:159], v[158:159], v[130:131]
	v_fmac_f64_e32 v[158:159], v[160:161], v[156:157]
	v_add_f64 v[10:11], v[10:11], -v[158:159]
	ds_read2_b64 v[158:161], v212 offset0:72 offset1:73
	v_add_f64 v[8:9], v[8:9], -v[128:129]
	s_waitcnt lgkmcnt(0)
	v_mul_f64 v[128:129], v[160:161], v[130:131]
	v_fma_f64 v[128:129], v[158:159], v[156:157], -v[128:129]
	v_mul_f64 v[158:159], v[158:159], v[130:131]
	v_fmac_f64_e32 v[158:159], v[160:161], v[156:157]
	v_add_f64 v[6:7], v[6:7], -v[158:159]
	ds_read2_b64 v[158:161], v212 offset0:74 offset1:75
	v_add_f64 v[4:5], v[4:5], -v[128:129]
	s_waitcnt lgkmcnt(0)
	v_mul_f64 v[128:129], v[160:161], v[130:131]
	v_fma_f64 v[128:129], v[158:159], v[156:157], -v[128:129]
	v_mul_f64 v[158:159], v[158:159], v[130:131]
	v_fmac_f64_e32 v[158:159], v[160:161], v[156:157]
	v_add_f64 v[2:3], v[2:3], -v[158:159]
	ds_read2_b64 v[158:161], v212 offset0:76 offset1:77
	v_add_f64 v[0:1], v[0:1], -v[128:129]
	s_waitcnt lgkmcnt(0)
	v_mul_f64 v[128:129], v[160:161], v[130:131]
	v_fma_f64 v[128:129], v[158:159], v[156:157], -v[128:129]
	v_mul_f64 v[158:159], v[158:159], v[130:131]
	v_fmac_f64_e32 v[158:159], v[160:161], v[156:157]
	v_add_f64 v[152:153], v[152:153], -v[128:129]
	v_add_f64 v[154:155], v[154:155], -v[158:159]
	v_mov_b64_e32 v[128:129], v[156:157]
.LBB77_55:
	s_or_b64 exec, exec, s[2:3]
	v_cmp_eq_u32_e32 vcc, 6, v214
	s_barrier
	s_and_saveexec_b64 s[4:5], vcc
	s_cbranch_execz .LBB77_62
; %bb.56:
	s_waitcnt vmcnt(57)
	ds_write2_b64 v215, v[124:125], v[126:127] offset1:1
	s_waitcnt vmcnt(56)
	ds_write2_b64 v212, v[120:121], v[122:123] offset0:14 offset1:15
	s_waitcnt vmcnt(55)
	ds_write2_b64 v212, v[116:117], v[118:119] offset0:16 offset1:17
	;; [unrolled: 2-line block ×25, first 2 shown]
	ds_write2_b64 v212, v[20:21], v[22:23] offset0:64 offset1:65
	s_waitcnt vmcnt(16)
	ds_write2_b64 v212, v[16:17], v[18:19] offset0:66 offset1:67
	s_waitcnt vmcnt(15)
	;; [unrolled: 2-line block ×4, first 2 shown]
	ds_write2_b64 v212, v[4:5], v[6:7] offset0:72 offset1:73
	ds_write2_b64 v212, v[0:1], v[2:3] offset0:74 offset1:75
	s_waitcnt vmcnt(11)
	ds_write2_b64 v212, v[152:153], v[154:155] offset0:76 offset1:77
	ds_read2_b64 v[156:159], v215 offset1:1
	s_waitcnt lgkmcnt(0)
	v_cmp_neq_f64_e32 vcc, 0, v[156:157]
	v_cmp_neq_f64_e64 s[2:3], 0, v[158:159]
	s_or_b64 s[2:3], vcc, s[2:3]
	s_and_b64 exec, exec, s[2:3]
	s_cbranch_execz .LBB77_62
; %bb.57:
	v_cmp_ngt_f64_e64 s[2:3], |v[156:157]|, |v[158:159]|
                                        ; implicit-def: $vgpr160_vgpr161
	s_and_saveexec_b64 s[10:11], s[2:3]
	s_xor_b64 s[2:3], exec, s[10:11]
                                        ; implicit-def: $vgpr162_vgpr163
	s_cbranch_execz .LBB77_59
; %bb.58:
	v_div_scale_f64 v[160:161], s[10:11], v[158:159], v[158:159], v[156:157]
	v_rcp_f64_e32 v[162:163], v[160:161]
	v_div_scale_f64 v[164:165], vcc, v[156:157], v[158:159], v[156:157]
	v_fma_f64 v[166:167], -v[160:161], v[162:163], 1.0
	v_fmac_f64_e32 v[162:163], v[162:163], v[166:167]
	v_fma_f64 v[166:167], -v[160:161], v[162:163], 1.0
	v_fmac_f64_e32 v[162:163], v[162:163], v[166:167]
	v_mul_f64 v[166:167], v[164:165], v[162:163]
	v_fma_f64 v[160:161], -v[160:161], v[166:167], v[164:165]
	v_div_fmas_f64 v[160:161], v[160:161], v[162:163], v[166:167]
	v_div_fixup_f64 v[160:161], v[160:161], v[158:159], v[156:157]
	v_fmac_f64_e32 v[158:159], v[156:157], v[160:161]
	v_div_scale_f64 v[156:157], s[10:11], v[158:159], v[158:159], 1.0
	v_rcp_f64_e32 v[162:163], v[156:157]
	s_nop 0
	v_fma_f64 v[164:165], -v[156:157], v[162:163], 1.0
	v_fmac_f64_e32 v[162:163], v[162:163], v[164:165]
	v_fma_f64 v[164:165], -v[156:157], v[162:163], 1.0
	v_fmac_f64_e32 v[162:163], v[162:163], v[164:165]
	v_div_scale_f64 v[164:165], vcc, 1.0, v[158:159], 1.0
	v_mul_f64 v[166:167], v[164:165], v[162:163]
	v_fma_f64 v[156:157], -v[156:157], v[166:167], v[164:165]
	s_nop 1
	v_div_fmas_f64 v[156:157], v[156:157], v[162:163], v[166:167]
	v_div_fixup_f64 v[162:163], v[156:157], v[158:159], 1.0
	v_mul_f64 v[160:161], v[160:161], v[162:163]
	v_xor_b32_e32 v163, 0x80000000, v163
                                        ; implicit-def: $vgpr156_vgpr157
.LBB77_59:
	s_andn2_saveexec_b64 s[2:3], s[2:3]
	s_cbranch_execz .LBB77_61
; %bb.60:
	v_div_scale_f64 v[160:161], s[10:11], v[156:157], v[156:157], v[158:159]
	v_rcp_f64_e32 v[162:163], v[160:161]
	v_div_scale_f64 v[164:165], vcc, v[158:159], v[156:157], v[158:159]
	v_fma_f64 v[166:167], -v[160:161], v[162:163], 1.0
	v_fmac_f64_e32 v[162:163], v[162:163], v[166:167]
	v_fma_f64 v[166:167], -v[160:161], v[162:163], 1.0
	v_fmac_f64_e32 v[162:163], v[162:163], v[166:167]
	v_mul_f64 v[166:167], v[164:165], v[162:163]
	v_fma_f64 v[160:161], -v[160:161], v[166:167], v[164:165]
	v_div_fmas_f64 v[160:161], v[160:161], v[162:163], v[166:167]
	v_div_fixup_f64 v[162:163], v[160:161], v[156:157], v[158:159]
	v_fmac_f64_e32 v[156:157], v[158:159], v[162:163]
	v_div_scale_f64 v[158:159], s[10:11], v[156:157], v[156:157], 1.0
	v_rcp_f64_e32 v[160:161], v[158:159]
	s_nop 0
	v_fma_f64 v[164:165], -v[158:159], v[160:161], 1.0
	v_fmac_f64_e32 v[160:161], v[160:161], v[164:165]
	v_fma_f64 v[164:165], -v[158:159], v[160:161], 1.0
	v_fmac_f64_e32 v[160:161], v[160:161], v[164:165]
	v_div_scale_f64 v[164:165], vcc, 1.0, v[156:157], 1.0
	v_mul_f64 v[166:167], v[164:165], v[160:161]
	v_fma_f64 v[158:159], -v[158:159], v[166:167], v[164:165]
	s_nop 1
	v_div_fmas_f64 v[158:159], v[158:159], v[160:161], v[166:167]
	v_div_fixup_f64 v[160:161], v[158:159], v[156:157], 1.0
	v_mul_f64 v[162:163], v[162:163], -v[160:161]
.LBB77_61:
	s_or_b64 exec, exec, s[2:3]
	ds_write2_b64 v215, v[160:161], v[162:163] offset1:1
.LBB77_62:
	s_or_b64 exec, exec, s[4:5]
	s_waitcnt lgkmcnt(0)
	s_barrier
	ds_read2_b64 v[156:159], v215 offset1:1
	v_cmp_lt_u32_e32 vcc, 6, v214
	s_waitcnt lgkmcnt(0)
	scratch_store_dwordx4 off, v[156:159], off offset:288 ; 16-byte Folded Spill
	s_and_saveexec_b64 s[2:3], vcc
	s_cbranch_execz .LBB77_64
; %bb.63:
	scratch_load_dwordx4 v[158:161], off, off offset:288 ; 16-byte Folded Reload
	s_waitcnt vmcnt(0)
	v_mul_f64 v[156:157], v[160:161], v[126:127]
	v_mul_f64 v[126:127], v[158:159], v[126:127]
	v_fma_f64 v[156:157], v[158:159], v[124:125], -v[156:157]
	v_fmac_f64_e32 v[126:127], v[160:161], v[124:125]
	ds_read2_b64 v[158:161], v212 offset0:14 offset1:15
	s_waitcnt lgkmcnt(0)
	v_mul_f64 v[124:125], v[160:161], v[126:127]
	v_fma_f64 v[124:125], v[158:159], v[156:157], -v[124:125]
	v_mul_f64 v[158:159], v[158:159], v[126:127]
	v_fmac_f64_e32 v[158:159], v[160:161], v[156:157]
	v_add_f64 v[122:123], v[122:123], -v[158:159]
	ds_read2_b64 v[158:161], v212 offset0:16 offset1:17
	v_add_f64 v[120:121], v[120:121], -v[124:125]
	s_waitcnt lgkmcnt(0)
	v_mul_f64 v[124:125], v[160:161], v[126:127]
	v_fma_f64 v[124:125], v[158:159], v[156:157], -v[124:125]
	v_mul_f64 v[158:159], v[158:159], v[126:127]
	v_fmac_f64_e32 v[158:159], v[160:161], v[156:157]
	v_add_f64 v[118:119], v[118:119], -v[158:159]
	ds_read2_b64 v[158:161], v212 offset0:18 offset1:19
	v_add_f64 v[116:117], v[116:117], -v[124:125]
	;; [unrolled: 8-line block ×31, first 2 shown]
	s_waitcnt lgkmcnt(0)
	v_mul_f64 v[124:125], v[160:161], v[126:127]
	v_fma_f64 v[124:125], v[158:159], v[156:157], -v[124:125]
	v_mul_f64 v[158:159], v[158:159], v[126:127]
	v_fmac_f64_e32 v[158:159], v[160:161], v[156:157]
	v_add_f64 v[152:153], v[152:153], -v[124:125]
	v_add_f64 v[154:155], v[154:155], -v[158:159]
	v_mov_b64_e32 v[124:125], v[156:157]
.LBB77_64:
	s_or_b64 exec, exec, s[2:3]
	v_cmp_eq_u32_e32 vcc, 7, v214
	s_waitcnt vmcnt(63) expcnt(7) lgkmcnt(15)
	s_barrier
	s_and_saveexec_b64 s[4:5], vcc
	s_cbranch_execz .LBB77_71
; %bb.65:
	s_waitcnt vmcnt(57)
	ds_write2_b64 v215, v[120:121], v[122:123] offset1:1
	s_waitcnt vmcnt(56)
	ds_write2_b64 v212, v[116:117], v[118:119] offset0:16 offset1:17
	s_waitcnt vmcnt(55)
	ds_write2_b64 v212, v[112:113], v[114:115] offset0:18 offset1:19
	;; [unrolled: 2-line block ×24, first 2 shown]
	ds_write2_b64 v212, v[20:21], v[22:23] offset0:64 offset1:65
	s_waitcnt vmcnt(17)
	ds_write2_b64 v212, v[16:17], v[18:19] offset0:66 offset1:67
	s_waitcnt vmcnt(16)
	;; [unrolled: 2-line block ×4, first 2 shown]
	ds_write2_b64 v212, v[4:5], v[6:7] offset0:72 offset1:73
	ds_write2_b64 v212, v[0:1], v[2:3] offset0:74 offset1:75
	s_waitcnt vmcnt(12)
	ds_write2_b64 v212, v[152:153], v[154:155] offset0:76 offset1:77
	ds_read2_b64 v[156:159], v215 offset1:1
	s_waitcnt lgkmcnt(0)
	v_cmp_neq_f64_e32 vcc, 0, v[156:157]
	v_cmp_neq_f64_e64 s[2:3], 0, v[158:159]
	s_or_b64 s[2:3], vcc, s[2:3]
	s_and_b64 exec, exec, s[2:3]
	s_cbranch_execz .LBB77_71
; %bb.66:
	v_cmp_ngt_f64_e64 s[2:3], |v[156:157]|, |v[158:159]|
                                        ; implicit-def: $vgpr160_vgpr161
	s_and_saveexec_b64 s[10:11], s[2:3]
	s_xor_b64 s[2:3], exec, s[10:11]
                                        ; implicit-def: $vgpr162_vgpr163
	s_cbranch_execz .LBB77_68
; %bb.67:
	v_div_scale_f64 v[160:161], s[10:11], v[158:159], v[158:159], v[156:157]
	v_rcp_f64_e32 v[162:163], v[160:161]
	v_div_scale_f64 v[164:165], vcc, v[156:157], v[158:159], v[156:157]
	v_fma_f64 v[166:167], -v[160:161], v[162:163], 1.0
	v_fmac_f64_e32 v[162:163], v[162:163], v[166:167]
	v_fma_f64 v[166:167], -v[160:161], v[162:163], 1.0
	v_fmac_f64_e32 v[162:163], v[162:163], v[166:167]
	v_mul_f64 v[166:167], v[164:165], v[162:163]
	v_fma_f64 v[160:161], -v[160:161], v[166:167], v[164:165]
	v_div_fmas_f64 v[160:161], v[160:161], v[162:163], v[166:167]
	v_div_fixup_f64 v[160:161], v[160:161], v[158:159], v[156:157]
	v_fmac_f64_e32 v[158:159], v[156:157], v[160:161]
	v_div_scale_f64 v[156:157], s[10:11], v[158:159], v[158:159], 1.0
	v_rcp_f64_e32 v[162:163], v[156:157]
	s_nop 0
	v_fma_f64 v[164:165], -v[156:157], v[162:163], 1.0
	v_fmac_f64_e32 v[162:163], v[162:163], v[164:165]
	v_fma_f64 v[164:165], -v[156:157], v[162:163], 1.0
	v_fmac_f64_e32 v[162:163], v[162:163], v[164:165]
	v_div_scale_f64 v[164:165], vcc, 1.0, v[158:159], 1.0
	v_mul_f64 v[166:167], v[164:165], v[162:163]
	v_fma_f64 v[156:157], -v[156:157], v[166:167], v[164:165]
	s_nop 1
	v_div_fmas_f64 v[156:157], v[156:157], v[162:163], v[166:167]
	v_div_fixup_f64 v[162:163], v[156:157], v[158:159], 1.0
	v_mul_f64 v[160:161], v[160:161], v[162:163]
	v_xor_b32_e32 v163, 0x80000000, v163
                                        ; implicit-def: $vgpr156_vgpr157
.LBB77_68:
	s_andn2_saveexec_b64 s[2:3], s[2:3]
	s_cbranch_execz .LBB77_70
; %bb.69:
	v_div_scale_f64 v[160:161], s[10:11], v[156:157], v[156:157], v[158:159]
	v_rcp_f64_e32 v[162:163], v[160:161]
	v_div_scale_f64 v[164:165], vcc, v[158:159], v[156:157], v[158:159]
	v_fma_f64 v[166:167], -v[160:161], v[162:163], 1.0
	v_fmac_f64_e32 v[162:163], v[162:163], v[166:167]
	v_fma_f64 v[166:167], -v[160:161], v[162:163], 1.0
	v_fmac_f64_e32 v[162:163], v[162:163], v[166:167]
	v_mul_f64 v[166:167], v[164:165], v[162:163]
	v_fma_f64 v[160:161], -v[160:161], v[166:167], v[164:165]
	v_div_fmas_f64 v[160:161], v[160:161], v[162:163], v[166:167]
	v_div_fixup_f64 v[162:163], v[160:161], v[156:157], v[158:159]
	v_fmac_f64_e32 v[156:157], v[158:159], v[162:163]
	v_div_scale_f64 v[158:159], s[10:11], v[156:157], v[156:157], 1.0
	v_rcp_f64_e32 v[160:161], v[158:159]
	s_nop 0
	v_fma_f64 v[164:165], -v[158:159], v[160:161], 1.0
	v_fmac_f64_e32 v[160:161], v[160:161], v[164:165]
	v_fma_f64 v[164:165], -v[158:159], v[160:161], 1.0
	v_fmac_f64_e32 v[160:161], v[160:161], v[164:165]
	v_div_scale_f64 v[164:165], vcc, 1.0, v[156:157], 1.0
	v_mul_f64 v[166:167], v[164:165], v[160:161]
	v_fma_f64 v[158:159], -v[158:159], v[166:167], v[164:165]
	s_nop 1
	v_div_fmas_f64 v[158:159], v[158:159], v[160:161], v[166:167]
	v_div_fixup_f64 v[160:161], v[158:159], v[156:157], 1.0
	v_mul_f64 v[162:163], v[162:163], -v[160:161]
.LBB77_70:
	s_or_b64 exec, exec, s[2:3]
	ds_write2_b64 v215, v[160:161], v[162:163] offset1:1
.LBB77_71:
	s_or_b64 exec, exec, s[4:5]
	s_waitcnt lgkmcnt(0)
	s_barrier
	ds_read2_b64 v[156:159], v215 offset1:1
	v_cmp_lt_u32_e32 vcc, 7, v214
	s_waitcnt lgkmcnt(0)
	scratch_store_dwordx4 off, v[156:159], off offset:304 ; 16-byte Folded Spill
	s_and_saveexec_b64 s[2:3], vcc
	s_cbranch_execz .LBB77_73
; %bb.72:
	scratch_load_dwordx4 v[158:161], off, off offset:304 ; 16-byte Folded Reload
	s_waitcnt vmcnt(0)
	v_mul_f64 v[156:157], v[160:161], v[122:123]
	v_mul_f64 v[122:123], v[158:159], v[122:123]
	v_fma_f64 v[156:157], v[158:159], v[120:121], -v[156:157]
	v_fmac_f64_e32 v[122:123], v[160:161], v[120:121]
	ds_read2_b64 v[158:161], v212 offset0:16 offset1:17
	s_waitcnt lgkmcnt(0)
	v_mul_f64 v[120:121], v[160:161], v[122:123]
	v_fma_f64 v[120:121], v[158:159], v[156:157], -v[120:121]
	v_mul_f64 v[158:159], v[158:159], v[122:123]
	v_fmac_f64_e32 v[158:159], v[160:161], v[156:157]
	v_add_f64 v[118:119], v[118:119], -v[158:159]
	ds_read2_b64 v[158:161], v212 offset0:18 offset1:19
	v_add_f64 v[116:117], v[116:117], -v[120:121]
	s_waitcnt lgkmcnt(0)
	v_mul_f64 v[120:121], v[160:161], v[122:123]
	v_fma_f64 v[120:121], v[158:159], v[156:157], -v[120:121]
	v_mul_f64 v[158:159], v[158:159], v[122:123]
	v_fmac_f64_e32 v[158:159], v[160:161], v[156:157]
	v_add_f64 v[114:115], v[114:115], -v[158:159]
	ds_read2_b64 v[158:161], v212 offset0:20 offset1:21
	v_add_f64 v[112:113], v[112:113], -v[120:121]
	;; [unrolled: 8-line block ×30, first 2 shown]
	s_waitcnt lgkmcnt(0)
	v_mul_f64 v[120:121], v[160:161], v[122:123]
	v_fma_f64 v[120:121], v[158:159], v[156:157], -v[120:121]
	v_mul_f64 v[158:159], v[158:159], v[122:123]
	v_fmac_f64_e32 v[158:159], v[160:161], v[156:157]
	v_add_f64 v[152:153], v[152:153], -v[120:121]
	v_add_f64 v[154:155], v[154:155], -v[158:159]
	v_mov_b64_e32 v[120:121], v[156:157]
.LBB77_73:
	s_or_b64 exec, exec, s[2:3]
	v_cmp_eq_u32_e32 vcc, 8, v214
	s_waitcnt vmcnt(63) expcnt(7) lgkmcnt(15)
	s_barrier
	s_and_saveexec_b64 s[4:5], vcc
	s_cbranch_execz .LBB77_80
; %bb.74:
	s_waitcnt vmcnt(57)
	ds_write2_b64 v215, v[116:117], v[118:119] offset1:1
	s_waitcnt vmcnt(56)
	ds_write2_b64 v212, v[112:113], v[114:115] offset0:18 offset1:19
	s_waitcnt vmcnt(55)
	ds_write2_b64 v212, v[108:109], v[110:111] offset0:20 offset1:21
	s_waitcnt vmcnt(54)
	ds_write2_b64 v212, v[104:105], v[106:107] offset0:22 offset1:23
	s_waitcnt vmcnt(53)
	ds_write2_b64 v212, v[100:101], v[102:103] offset0:24 offset1:25
	s_waitcnt vmcnt(52)
	ds_write2_b64 v212, v[96:97], v[98:99] offset0:26 offset1:27
	s_waitcnt vmcnt(51)
	ds_write2_b64 v212, v[92:93], v[94:95] offset0:28 offset1:29
	s_waitcnt vmcnt(50)
	ds_write2_b64 v212, v[88:89], v[90:91] offset0:30 offset1:31
	s_waitcnt vmcnt(49)
	ds_write2_b64 v212, v[84:85], v[86:87] offset0:32 offset1:33
	s_waitcnt vmcnt(48)
	ds_write2_b64 v212, v[80:81], v[82:83] offset0:34 offset1:35
	s_waitcnt vmcnt(47)
	ds_write2_b64 v212, v[76:77], v[78:79] offset0:36 offset1:37
	s_waitcnt vmcnt(46)
	ds_write2_b64 v212, v[72:73], v[74:75] offset0:38 offset1:39
	s_waitcnt vmcnt(45)
	ds_write2_b64 v212, v[68:69], v[70:71] offset0:40 offset1:41
	s_waitcnt vmcnt(44)
	ds_write2_b64 v212, v[64:65], v[66:67] offset0:42 offset1:43
	s_waitcnt vmcnt(43)
	ds_write2_b64 v212, v[60:61], v[62:63] offset0:44 offset1:45
	s_waitcnt vmcnt(42)
	ds_write2_b64 v212, v[56:57], v[58:59] offset0:46 offset1:47
	s_waitcnt vmcnt(41)
	ds_write2_b64 v212, v[52:53], v[54:55] offset0:48 offset1:49
	s_waitcnt vmcnt(40)
	ds_write2_b64 v212, v[48:49], v[50:51] offset0:50 offset1:51
	s_waitcnt vmcnt(39)
	ds_write2_b64 v212, v[44:45], v[46:47] offset0:52 offset1:53
	s_waitcnt vmcnt(38)
	ds_write2_b64 v212, v[40:41], v[42:43] offset0:54 offset1:55
	s_waitcnt vmcnt(37)
	ds_write2_b64 v212, v[36:37], v[38:39] offset0:56 offset1:57
	s_waitcnt vmcnt(36)
	ds_write2_b64 v212, v[32:33], v[34:35] offset0:58 offset1:59
	s_waitcnt vmcnt(35)
	ds_write2_b64 v212, v[28:29], v[30:31] offset0:60 offset1:61
	s_waitcnt vmcnt(19)
	ds_write2_b64 v212, v[24:25], v[26:27] offset0:62 offset1:63
	ds_write2_b64 v212, v[20:21], v[22:23] offset0:64 offset1:65
	s_waitcnt vmcnt(18)
	ds_write2_b64 v212, v[16:17], v[18:19] offset0:66 offset1:67
	s_waitcnt vmcnt(17)
	ds_write2_b64 v212, v[12:13], v[14:15] offset0:68 offset1:69
	s_waitcnt vmcnt(16)
	ds_write2_b64 v212, v[8:9], v[10:11] offset0:70 offset1:71
	s_waitcnt vmcnt(15)
	ds_write2_b64 v212, v[4:5], v[6:7] offset0:72 offset1:73
	ds_write2_b64 v212, v[0:1], v[2:3] offset0:74 offset1:75
	s_waitcnt vmcnt(13)
	ds_write2_b64 v212, v[152:153], v[154:155] offset0:76 offset1:77
	ds_read2_b64 v[156:159], v215 offset1:1
	s_waitcnt lgkmcnt(0)
	v_cmp_neq_f64_e32 vcc, 0, v[156:157]
	v_cmp_neq_f64_e64 s[2:3], 0, v[158:159]
	s_or_b64 s[2:3], vcc, s[2:3]
	s_and_b64 exec, exec, s[2:3]
	s_cbranch_execz .LBB77_80
; %bb.75:
	v_cmp_ngt_f64_e64 s[2:3], |v[156:157]|, |v[158:159]|
                                        ; implicit-def: $vgpr160_vgpr161
	s_and_saveexec_b64 s[10:11], s[2:3]
	s_xor_b64 s[2:3], exec, s[10:11]
                                        ; implicit-def: $vgpr162_vgpr163
	s_cbranch_execz .LBB77_77
; %bb.76:
	v_div_scale_f64 v[160:161], s[10:11], v[158:159], v[158:159], v[156:157]
	v_rcp_f64_e32 v[162:163], v[160:161]
	v_div_scale_f64 v[164:165], vcc, v[156:157], v[158:159], v[156:157]
	v_fma_f64 v[166:167], -v[160:161], v[162:163], 1.0
	v_fmac_f64_e32 v[162:163], v[162:163], v[166:167]
	v_fma_f64 v[166:167], -v[160:161], v[162:163], 1.0
	v_fmac_f64_e32 v[162:163], v[162:163], v[166:167]
	v_mul_f64 v[166:167], v[164:165], v[162:163]
	v_fma_f64 v[160:161], -v[160:161], v[166:167], v[164:165]
	v_div_fmas_f64 v[160:161], v[160:161], v[162:163], v[166:167]
	v_div_fixup_f64 v[160:161], v[160:161], v[158:159], v[156:157]
	v_fmac_f64_e32 v[158:159], v[156:157], v[160:161]
	v_div_scale_f64 v[156:157], s[10:11], v[158:159], v[158:159], 1.0
	v_rcp_f64_e32 v[162:163], v[156:157]
	s_nop 0
	v_fma_f64 v[164:165], -v[156:157], v[162:163], 1.0
	v_fmac_f64_e32 v[162:163], v[162:163], v[164:165]
	v_fma_f64 v[164:165], -v[156:157], v[162:163], 1.0
	v_fmac_f64_e32 v[162:163], v[162:163], v[164:165]
	v_div_scale_f64 v[164:165], vcc, 1.0, v[158:159], 1.0
	v_mul_f64 v[166:167], v[164:165], v[162:163]
	v_fma_f64 v[156:157], -v[156:157], v[166:167], v[164:165]
	s_nop 1
	v_div_fmas_f64 v[156:157], v[156:157], v[162:163], v[166:167]
	v_div_fixup_f64 v[162:163], v[156:157], v[158:159], 1.0
	v_mul_f64 v[160:161], v[160:161], v[162:163]
	v_xor_b32_e32 v163, 0x80000000, v163
                                        ; implicit-def: $vgpr156_vgpr157
.LBB77_77:
	s_andn2_saveexec_b64 s[2:3], s[2:3]
	s_cbranch_execz .LBB77_79
; %bb.78:
	v_div_scale_f64 v[160:161], s[10:11], v[156:157], v[156:157], v[158:159]
	v_rcp_f64_e32 v[162:163], v[160:161]
	v_div_scale_f64 v[164:165], vcc, v[158:159], v[156:157], v[158:159]
	v_fma_f64 v[166:167], -v[160:161], v[162:163], 1.0
	v_fmac_f64_e32 v[162:163], v[162:163], v[166:167]
	v_fma_f64 v[166:167], -v[160:161], v[162:163], 1.0
	v_fmac_f64_e32 v[162:163], v[162:163], v[166:167]
	v_mul_f64 v[166:167], v[164:165], v[162:163]
	v_fma_f64 v[160:161], -v[160:161], v[166:167], v[164:165]
	v_div_fmas_f64 v[160:161], v[160:161], v[162:163], v[166:167]
	v_div_fixup_f64 v[162:163], v[160:161], v[156:157], v[158:159]
	v_fmac_f64_e32 v[156:157], v[158:159], v[162:163]
	v_div_scale_f64 v[158:159], s[10:11], v[156:157], v[156:157], 1.0
	v_rcp_f64_e32 v[160:161], v[158:159]
	s_nop 0
	v_fma_f64 v[164:165], -v[158:159], v[160:161], 1.0
	v_fmac_f64_e32 v[160:161], v[160:161], v[164:165]
	v_fma_f64 v[164:165], -v[158:159], v[160:161], 1.0
	v_fmac_f64_e32 v[160:161], v[160:161], v[164:165]
	v_div_scale_f64 v[164:165], vcc, 1.0, v[156:157], 1.0
	v_mul_f64 v[166:167], v[164:165], v[160:161]
	v_fma_f64 v[158:159], -v[158:159], v[166:167], v[164:165]
	s_nop 1
	v_div_fmas_f64 v[158:159], v[158:159], v[160:161], v[166:167]
	v_div_fixup_f64 v[160:161], v[158:159], v[156:157], 1.0
	v_mul_f64 v[162:163], v[162:163], -v[160:161]
.LBB77_79:
	s_or_b64 exec, exec, s[2:3]
	ds_write2_b64 v215, v[160:161], v[162:163] offset1:1
.LBB77_80:
	s_or_b64 exec, exec, s[4:5]
	s_waitcnt lgkmcnt(0)
	s_barrier
	ds_read2_b64 v[156:159], v215 offset1:1
	v_cmp_lt_u32_e32 vcc, 8, v214
	s_waitcnt lgkmcnt(0)
	scratch_store_dwordx4 off, v[156:159], off offset:320 ; 16-byte Folded Spill
	s_and_saveexec_b64 s[2:3], vcc
	s_cbranch_execz .LBB77_82
; %bb.81:
	scratch_load_dwordx4 v[158:161], off, off offset:320 ; 16-byte Folded Reload
	s_waitcnt vmcnt(0)
	v_mul_f64 v[156:157], v[160:161], v[118:119]
	v_mul_f64 v[118:119], v[158:159], v[118:119]
	v_fma_f64 v[156:157], v[158:159], v[116:117], -v[156:157]
	v_fmac_f64_e32 v[118:119], v[160:161], v[116:117]
	ds_read2_b64 v[158:161], v212 offset0:18 offset1:19
	s_waitcnt lgkmcnt(0)
	v_mul_f64 v[116:117], v[160:161], v[118:119]
	v_fma_f64 v[116:117], v[158:159], v[156:157], -v[116:117]
	v_mul_f64 v[158:159], v[158:159], v[118:119]
	v_fmac_f64_e32 v[158:159], v[160:161], v[156:157]
	v_add_f64 v[114:115], v[114:115], -v[158:159]
	ds_read2_b64 v[158:161], v212 offset0:20 offset1:21
	v_add_f64 v[112:113], v[112:113], -v[116:117]
	s_waitcnt lgkmcnt(0)
	v_mul_f64 v[116:117], v[160:161], v[118:119]
	v_fma_f64 v[116:117], v[158:159], v[156:157], -v[116:117]
	v_mul_f64 v[158:159], v[158:159], v[118:119]
	v_fmac_f64_e32 v[158:159], v[160:161], v[156:157]
	v_add_f64 v[110:111], v[110:111], -v[158:159]
	ds_read2_b64 v[158:161], v212 offset0:22 offset1:23
	v_add_f64 v[108:109], v[108:109], -v[116:117]
	;; [unrolled: 8-line block ×29, first 2 shown]
	s_waitcnt lgkmcnt(0)
	v_mul_f64 v[116:117], v[160:161], v[118:119]
	v_fma_f64 v[116:117], v[158:159], v[156:157], -v[116:117]
	v_mul_f64 v[158:159], v[158:159], v[118:119]
	v_fmac_f64_e32 v[158:159], v[160:161], v[156:157]
	v_add_f64 v[152:153], v[152:153], -v[116:117]
	v_add_f64 v[154:155], v[154:155], -v[158:159]
	v_mov_b64_e32 v[116:117], v[156:157]
.LBB77_82:
	s_or_b64 exec, exec, s[2:3]
	v_cmp_eq_u32_e32 vcc, 9, v214
	s_waitcnt vmcnt(63) expcnt(7) lgkmcnt(15)
	s_barrier
	s_and_saveexec_b64 s[4:5], vcc
	s_cbranch_execz .LBB77_89
; %bb.83:
	s_waitcnt vmcnt(57)
	ds_write2_b64 v215, v[112:113], v[114:115] offset1:1
	s_waitcnt vmcnt(56)
	ds_write2_b64 v212, v[108:109], v[110:111] offset0:20 offset1:21
	s_waitcnt vmcnt(55)
	ds_write2_b64 v212, v[104:105], v[106:107] offset0:22 offset1:23
	;; [unrolled: 2-line block ×22, first 2 shown]
	ds_write2_b64 v212, v[20:21], v[22:23] offset0:64 offset1:65
	s_waitcnt vmcnt(19)
	ds_write2_b64 v212, v[16:17], v[18:19] offset0:66 offset1:67
	s_waitcnt vmcnt(18)
	;; [unrolled: 2-line block ×4, first 2 shown]
	ds_write2_b64 v212, v[4:5], v[6:7] offset0:72 offset1:73
	ds_write2_b64 v212, v[0:1], v[2:3] offset0:74 offset1:75
	s_waitcnt vmcnt(14)
	ds_write2_b64 v212, v[152:153], v[154:155] offset0:76 offset1:77
	ds_read2_b64 v[156:159], v215 offset1:1
	s_waitcnt lgkmcnt(0)
	v_cmp_neq_f64_e32 vcc, 0, v[156:157]
	v_cmp_neq_f64_e64 s[2:3], 0, v[158:159]
	s_or_b64 s[2:3], vcc, s[2:3]
	s_and_b64 exec, exec, s[2:3]
	s_cbranch_execz .LBB77_89
; %bb.84:
	v_cmp_ngt_f64_e64 s[2:3], |v[156:157]|, |v[158:159]|
                                        ; implicit-def: $vgpr160_vgpr161
	s_and_saveexec_b64 s[10:11], s[2:3]
	s_xor_b64 s[2:3], exec, s[10:11]
                                        ; implicit-def: $vgpr162_vgpr163
	s_cbranch_execz .LBB77_86
; %bb.85:
	v_div_scale_f64 v[160:161], s[10:11], v[158:159], v[158:159], v[156:157]
	v_rcp_f64_e32 v[162:163], v[160:161]
	v_div_scale_f64 v[164:165], vcc, v[156:157], v[158:159], v[156:157]
	v_fma_f64 v[166:167], -v[160:161], v[162:163], 1.0
	v_fmac_f64_e32 v[162:163], v[162:163], v[166:167]
	v_fma_f64 v[166:167], -v[160:161], v[162:163], 1.0
	v_fmac_f64_e32 v[162:163], v[162:163], v[166:167]
	v_mul_f64 v[166:167], v[164:165], v[162:163]
	v_fma_f64 v[160:161], -v[160:161], v[166:167], v[164:165]
	v_div_fmas_f64 v[160:161], v[160:161], v[162:163], v[166:167]
	v_div_fixup_f64 v[160:161], v[160:161], v[158:159], v[156:157]
	v_fmac_f64_e32 v[158:159], v[156:157], v[160:161]
	v_div_scale_f64 v[156:157], s[10:11], v[158:159], v[158:159], 1.0
	v_rcp_f64_e32 v[162:163], v[156:157]
	s_nop 0
	v_fma_f64 v[164:165], -v[156:157], v[162:163], 1.0
	v_fmac_f64_e32 v[162:163], v[162:163], v[164:165]
	v_fma_f64 v[164:165], -v[156:157], v[162:163], 1.0
	v_fmac_f64_e32 v[162:163], v[162:163], v[164:165]
	v_div_scale_f64 v[164:165], vcc, 1.0, v[158:159], 1.0
	v_mul_f64 v[166:167], v[164:165], v[162:163]
	v_fma_f64 v[156:157], -v[156:157], v[166:167], v[164:165]
	s_nop 1
	v_div_fmas_f64 v[156:157], v[156:157], v[162:163], v[166:167]
	v_div_fixup_f64 v[162:163], v[156:157], v[158:159], 1.0
	v_mul_f64 v[160:161], v[160:161], v[162:163]
	v_xor_b32_e32 v163, 0x80000000, v163
                                        ; implicit-def: $vgpr156_vgpr157
.LBB77_86:
	s_andn2_saveexec_b64 s[2:3], s[2:3]
	s_cbranch_execz .LBB77_88
; %bb.87:
	v_div_scale_f64 v[160:161], s[10:11], v[156:157], v[156:157], v[158:159]
	v_rcp_f64_e32 v[162:163], v[160:161]
	v_div_scale_f64 v[164:165], vcc, v[158:159], v[156:157], v[158:159]
	v_fma_f64 v[166:167], -v[160:161], v[162:163], 1.0
	v_fmac_f64_e32 v[162:163], v[162:163], v[166:167]
	v_fma_f64 v[166:167], -v[160:161], v[162:163], 1.0
	v_fmac_f64_e32 v[162:163], v[162:163], v[166:167]
	v_mul_f64 v[166:167], v[164:165], v[162:163]
	v_fma_f64 v[160:161], -v[160:161], v[166:167], v[164:165]
	v_div_fmas_f64 v[160:161], v[160:161], v[162:163], v[166:167]
	v_div_fixup_f64 v[162:163], v[160:161], v[156:157], v[158:159]
	v_fmac_f64_e32 v[156:157], v[158:159], v[162:163]
	v_div_scale_f64 v[158:159], s[10:11], v[156:157], v[156:157], 1.0
	v_rcp_f64_e32 v[160:161], v[158:159]
	s_nop 0
	v_fma_f64 v[164:165], -v[158:159], v[160:161], 1.0
	v_fmac_f64_e32 v[160:161], v[160:161], v[164:165]
	v_fma_f64 v[164:165], -v[158:159], v[160:161], 1.0
	v_fmac_f64_e32 v[160:161], v[160:161], v[164:165]
	v_div_scale_f64 v[164:165], vcc, 1.0, v[156:157], 1.0
	v_mul_f64 v[166:167], v[164:165], v[160:161]
	v_fma_f64 v[158:159], -v[158:159], v[166:167], v[164:165]
	s_nop 1
	v_div_fmas_f64 v[158:159], v[158:159], v[160:161], v[166:167]
	v_div_fixup_f64 v[160:161], v[158:159], v[156:157], 1.0
	v_mul_f64 v[162:163], v[162:163], -v[160:161]
.LBB77_88:
	s_or_b64 exec, exec, s[2:3]
	ds_write2_b64 v215, v[160:161], v[162:163] offset1:1
.LBB77_89:
	s_or_b64 exec, exec, s[4:5]
	s_waitcnt lgkmcnt(0)
	s_barrier
	ds_read2_b64 v[156:159], v215 offset1:1
	v_cmp_lt_u32_e32 vcc, 9, v214
	s_waitcnt lgkmcnt(0)
	scratch_store_dwordx4 off, v[156:159], off offset:336 ; 16-byte Folded Spill
	s_and_saveexec_b64 s[2:3], vcc
	s_cbranch_execz .LBB77_91
; %bb.90:
	scratch_load_dwordx4 v[158:161], off, off offset:336 ; 16-byte Folded Reload
	s_waitcnt vmcnt(0)
	v_mul_f64 v[156:157], v[160:161], v[114:115]
	v_mul_f64 v[114:115], v[158:159], v[114:115]
	v_fma_f64 v[156:157], v[158:159], v[112:113], -v[156:157]
	v_fmac_f64_e32 v[114:115], v[160:161], v[112:113]
	ds_read2_b64 v[158:161], v212 offset0:20 offset1:21
	s_waitcnt lgkmcnt(0)
	v_mul_f64 v[112:113], v[160:161], v[114:115]
	v_fma_f64 v[112:113], v[158:159], v[156:157], -v[112:113]
	v_mul_f64 v[158:159], v[158:159], v[114:115]
	v_fmac_f64_e32 v[158:159], v[160:161], v[156:157]
	v_add_f64 v[110:111], v[110:111], -v[158:159]
	ds_read2_b64 v[158:161], v212 offset0:22 offset1:23
	v_add_f64 v[108:109], v[108:109], -v[112:113]
	s_waitcnt lgkmcnt(0)
	v_mul_f64 v[112:113], v[160:161], v[114:115]
	v_fma_f64 v[112:113], v[158:159], v[156:157], -v[112:113]
	v_mul_f64 v[158:159], v[158:159], v[114:115]
	v_fmac_f64_e32 v[158:159], v[160:161], v[156:157]
	v_add_f64 v[106:107], v[106:107], -v[158:159]
	ds_read2_b64 v[158:161], v212 offset0:24 offset1:25
	v_add_f64 v[104:105], v[104:105], -v[112:113]
	;; [unrolled: 8-line block ×28, first 2 shown]
	s_waitcnt lgkmcnt(0)
	v_mul_f64 v[112:113], v[160:161], v[114:115]
	v_fma_f64 v[112:113], v[158:159], v[156:157], -v[112:113]
	v_mul_f64 v[158:159], v[158:159], v[114:115]
	v_fmac_f64_e32 v[158:159], v[160:161], v[156:157]
	v_add_f64 v[152:153], v[152:153], -v[112:113]
	v_add_f64 v[154:155], v[154:155], -v[158:159]
	v_mov_b64_e32 v[112:113], v[156:157]
.LBB77_91:
	s_or_b64 exec, exec, s[2:3]
	v_cmp_eq_u32_e32 vcc, 10, v214
	s_waitcnt vmcnt(63) expcnt(7) lgkmcnt(15)
	s_barrier
	s_and_saveexec_b64 s[4:5], vcc
	s_cbranch_execz .LBB77_98
; %bb.92:
	s_waitcnt vmcnt(57)
	ds_write2_b64 v215, v[108:109], v[110:111] offset1:1
	s_waitcnt vmcnt(56)
	ds_write2_b64 v212, v[104:105], v[106:107] offset0:22 offset1:23
	s_waitcnt vmcnt(55)
	ds_write2_b64 v212, v[100:101], v[102:103] offset0:24 offset1:25
	s_waitcnt vmcnt(54)
	ds_write2_b64 v212, v[96:97], v[98:99] offset0:26 offset1:27
	s_waitcnt vmcnt(53)
	ds_write2_b64 v212, v[92:93], v[94:95] offset0:28 offset1:29
	s_waitcnt vmcnt(52)
	ds_write2_b64 v212, v[88:89], v[90:91] offset0:30 offset1:31
	s_waitcnt vmcnt(51)
	ds_write2_b64 v212, v[84:85], v[86:87] offset0:32 offset1:33
	s_waitcnt vmcnt(50)
	ds_write2_b64 v212, v[80:81], v[82:83] offset0:34 offset1:35
	s_waitcnt vmcnt(49)
	ds_write2_b64 v212, v[76:77], v[78:79] offset0:36 offset1:37
	s_waitcnt vmcnt(48)
	ds_write2_b64 v212, v[72:73], v[74:75] offset0:38 offset1:39
	s_waitcnt vmcnt(47)
	ds_write2_b64 v212, v[68:69], v[70:71] offset0:40 offset1:41
	s_waitcnt vmcnt(46)
	ds_write2_b64 v212, v[64:65], v[66:67] offset0:42 offset1:43
	s_waitcnt vmcnt(45)
	ds_write2_b64 v212, v[60:61], v[62:63] offset0:44 offset1:45
	s_waitcnt vmcnt(44)
	ds_write2_b64 v212, v[56:57], v[58:59] offset0:46 offset1:47
	s_waitcnt vmcnt(43)
	ds_write2_b64 v212, v[52:53], v[54:55] offset0:48 offset1:49
	s_waitcnt vmcnt(42)
	ds_write2_b64 v212, v[48:49], v[50:51] offset0:50 offset1:51
	s_waitcnt vmcnt(41)
	ds_write2_b64 v212, v[44:45], v[46:47] offset0:52 offset1:53
	s_waitcnt vmcnt(40)
	ds_write2_b64 v212, v[40:41], v[42:43] offset0:54 offset1:55
	s_waitcnt vmcnt(39)
	ds_write2_b64 v212, v[36:37], v[38:39] offset0:56 offset1:57
	s_waitcnt vmcnt(38)
	ds_write2_b64 v212, v[32:33], v[34:35] offset0:58 offset1:59
	s_waitcnt vmcnt(37)
	ds_write2_b64 v212, v[28:29], v[30:31] offset0:60 offset1:61
	s_waitcnt vmcnt(21)
	ds_write2_b64 v212, v[24:25], v[26:27] offset0:62 offset1:63
	ds_write2_b64 v212, v[20:21], v[22:23] offset0:64 offset1:65
	s_waitcnt vmcnt(20)
	ds_write2_b64 v212, v[16:17], v[18:19] offset0:66 offset1:67
	s_waitcnt vmcnt(19)
	;; [unrolled: 2-line block ×4, first 2 shown]
	ds_write2_b64 v212, v[4:5], v[6:7] offset0:72 offset1:73
	ds_write2_b64 v212, v[0:1], v[2:3] offset0:74 offset1:75
	s_waitcnt vmcnt(15)
	ds_write2_b64 v212, v[152:153], v[154:155] offset0:76 offset1:77
	ds_read2_b64 v[156:159], v215 offset1:1
	s_waitcnt lgkmcnt(0)
	v_cmp_neq_f64_e32 vcc, 0, v[156:157]
	v_cmp_neq_f64_e64 s[2:3], 0, v[158:159]
	s_or_b64 s[2:3], vcc, s[2:3]
	s_and_b64 exec, exec, s[2:3]
	s_cbranch_execz .LBB77_98
; %bb.93:
	v_cmp_ngt_f64_e64 s[2:3], |v[156:157]|, |v[158:159]|
                                        ; implicit-def: $vgpr160_vgpr161
	s_and_saveexec_b64 s[10:11], s[2:3]
	s_xor_b64 s[2:3], exec, s[10:11]
                                        ; implicit-def: $vgpr162_vgpr163
	s_cbranch_execz .LBB77_95
; %bb.94:
	v_div_scale_f64 v[160:161], s[10:11], v[158:159], v[158:159], v[156:157]
	v_rcp_f64_e32 v[162:163], v[160:161]
	v_div_scale_f64 v[164:165], vcc, v[156:157], v[158:159], v[156:157]
	v_fma_f64 v[166:167], -v[160:161], v[162:163], 1.0
	v_fmac_f64_e32 v[162:163], v[162:163], v[166:167]
	v_fma_f64 v[166:167], -v[160:161], v[162:163], 1.0
	v_fmac_f64_e32 v[162:163], v[162:163], v[166:167]
	v_mul_f64 v[166:167], v[164:165], v[162:163]
	v_fma_f64 v[160:161], -v[160:161], v[166:167], v[164:165]
	v_div_fmas_f64 v[160:161], v[160:161], v[162:163], v[166:167]
	v_div_fixup_f64 v[160:161], v[160:161], v[158:159], v[156:157]
	v_fmac_f64_e32 v[158:159], v[156:157], v[160:161]
	v_div_scale_f64 v[156:157], s[10:11], v[158:159], v[158:159], 1.0
	v_rcp_f64_e32 v[162:163], v[156:157]
	s_nop 0
	v_fma_f64 v[164:165], -v[156:157], v[162:163], 1.0
	v_fmac_f64_e32 v[162:163], v[162:163], v[164:165]
	v_fma_f64 v[164:165], -v[156:157], v[162:163], 1.0
	v_fmac_f64_e32 v[162:163], v[162:163], v[164:165]
	v_div_scale_f64 v[164:165], vcc, 1.0, v[158:159], 1.0
	v_mul_f64 v[166:167], v[164:165], v[162:163]
	v_fma_f64 v[156:157], -v[156:157], v[166:167], v[164:165]
	s_nop 1
	v_div_fmas_f64 v[156:157], v[156:157], v[162:163], v[166:167]
	v_div_fixup_f64 v[162:163], v[156:157], v[158:159], 1.0
	v_mul_f64 v[160:161], v[160:161], v[162:163]
	v_xor_b32_e32 v163, 0x80000000, v163
                                        ; implicit-def: $vgpr156_vgpr157
.LBB77_95:
	s_andn2_saveexec_b64 s[2:3], s[2:3]
	s_cbranch_execz .LBB77_97
; %bb.96:
	v_div_scale_f64 v[160:161], s[10:11], v[156:157], v[156:157], v[158:159]
	v_rcp_f64_e32 v[162:163], v[160:161]
	v_div_scale_f64 v[164:165], vcc, v[158:159], v[156:157], v[158:159]
	v_fma_f64 v[166:167], -v[160:161], v[162:163], 1.0
	v_fmac_f64_e32 v[162:163], v[162:163], v[166:167]
	v_fma_f64 v[166:167], -v[160:161], v[162:163], 1.0
	v_fmac_f64_e32 v[162:163], v[162:163], v[166:167]
	v_mul_f64 v[166:167], v[164:165], v[162:163]
	v_fma_f64 v[160:161], -v[160:161], v[166:167], v[164:165]
	v_div_fmas_f64 v[160:161], v[160:161], v[162:163], v[166:167]
	v_div_fixup_f64 v[162:163], v[160:161], v[156:157], v[158:159]
	v_fmac_f64_e32 v[156:157], v[158:159], v[162:163]
	v_div_scale_f64 v[158:159], s[10:11], v[156:157], v[156:157], 1.0
	v_rcp_f64_e32 v[160:161], v[158:159]
	s_nop 0
	v_fma_f64 v[164:165], -v[158:159], v[160:161], 1.0
	v_fmac_f64_e32 v[160:161], v[160:161], v[164:165]
	v_fma_f64 v[164:165], -v[158:159], v[160:161], 1.0
	v_fmac_f64_e32 v[160:161], v[160:161], v[164:165]
	v_div_scale_f64 v[164:165], vcc, 1.0, v[156:157], 1.0
	v_mul_f64 v[166:167], v[164:165], v[160:161]
	v_fma_f64 v[158:159], -v[158:159], v[166:167], v[164:165]
	s_nop 1
	v_div_fmas_f64 v[158:159], v[158:159], v[160:161], v[166:167]
	v_div_fixup_f64 v[160:161], v[158:159], v[156:157], 1.0
	v_mul_f64 v[162:163], v[162:163], -v[160:161]
.LBB77_97:
	s_or_b64 exec, exec, s[2:3]
	ds_write2_b64 v215, v[160:161], v[162:163] offset1:1
.LBB77_98:
	s_or_b64 exec, exec, s[4:5]
	s_waitcnt lgkmcnt(0)
	s_barrier
	ds_read2_b64 v[156:159], v215 offset1:1
	v_cmp_lt_u32_e32 vcc, 10, v214
	s_waitcnt lgkmcnt(0)
	scratch_store_dwordx4 off, v[156:159], off offset:352 ; 16-byte Folded Spill
	s_and_saveexec_b64 s[2:3], vcc
	s_cbranch_execz .LBB77_100
; %bb.99:
	scratch_load_dwordx4 v[158:161], off, off offset:352 ; 16-byte Folded Reload
	s_waitcnt vmcnt(0)
	v_mul_f64 v[156:157], v[160:161], v[110:111]
	v_mul_f64 v[110:111], v[158:159], v[110:111]
	v_fma_f64 v[156:157], v[158:159], v[108:109], -v[156:157]
	v_fmac_f64_e32 v[110:111], v[160:161], v[108:109]
	ds_read2_b64 v[158:161], v212 offset0:22 offset1:23
	s_waitcnt lgkmcnt(0)
	v_mul_f64 v[108:109], v[160:161], v[110:111]
	v_fma_f64 v[108:109], v[158:159], v[156:157], -v[108:109]
	v_mul_f64 v[158:159], v[158:159], v[110:111]
	v_fmac_f64_e32 v[158:159], v[160:161], v[156:157]
	v_add_f64 v[106:107], v[106:107], -v[158:159]
	ds_read2_b64 v[158:161], v212 offset0:24 offset1:25
	v_add_f64 v[104:105], v[104:105], -v[108:109]
	s_waitcnt lgkmcnt(0)
	v_mul_f64 v[108:109], v[160:161], v[110:111]
	v_fma_f64 v[108:109], v[158:159], v[156:157], -v[108:109]
	v_mul_f64 v[158:159], v[158:159], v[110:111]
	v_fmac_f64_e32 v[158:159], v[160:161], v[156:157]
	v_add_f64 v[102:103], v[102:103], -v[158:159]
	ds_read2_b64 v[158:161], v212 offset0:26 offset1:27
	v_add_f64 v[100:101], v[100:101], -v[108:109]
	;; [unrolled: 8-line block ×27, first 2 shown]
	s_waitcnt lgkmcnt(0)
	v_mul_f64 v[108:109], v[160:161], v[110:111]
	v_fma_f64 v[108:109], v[158:159], v[156:157], -v[108:109]
	v_mul_f64 v[158:159], v[158:159], v[110:111]
	v_fmac_f64_e32 v[158:159], v[160:161], v[156:157]
	v_add_f64 v[152:153], v[152:153], -v[108:109]
	v_add_f64 v[154:155], v[154:155], -v[158:159]
	v_mov_b64_e32 v[108:109], v[156:157]
.LBB77_100:
	s_or_b64 exec, exec, s[2:3]
	v_cmp_eq_u32_e32 vcc, 11, v214
	s_waitcnt vmcnt(63) expcnt(7) lgkmcnt(15)
	s_barrier
	s_and_saveexec_b64 s[4:5], vcc
	s_cbranch_execz .LBB77_107
; %bb.101:
	s_waitcnt vmcnt(57)
	ds_write2_b64 v215, v[104:105], v[106:107] offset1:1
	s_waitcnt vmcnt(56)
	ds_write2_b64 v212, v[100:101], v[102:103] offset0:24 offset1:25
	s_waitcnt vmcnt(55)
	ds_write2_b64 v212, v[96:97], v[98:99] offset0:26 offset1:27
	s_waitcnt vmcnt(54)
	ds_write2_b64 v212, v[92:93], v[94:95] offset0:28 offset1:29
	s_waitcnt vmcnt(53)
	ds_write2_b64 v212, v[88:89], v[90:91] offset0:30 offset1:31
	s_waitcnt vmcnt(52)
	ds_write2_b64 v212, v[84:85], v[86:87] offset0:32 offset1:33
	s_waitcnt vmcnt(51)
	ds_write2_b64 v212, v[80:81], v[82:83] offset0:34 offset1:35
	s_waitcnt vmcnt(50)
	ds_write2_b64 v212, v[76:77], v[78:79] offset0:36 offset1:37
	s_waitcnt vmcnt(49)
	ds_write2_b64 v212, v[72:73], v[74:75] offset0:38 offset1:39
	s_waitcnt vmcnt(48)
	ds_write2_b64 v212, v[68:69], v[70:71] offset0:40 offset1:41
	s_waitcnt vmcnt(47)
	ds_write2_b64 v212, v[64:65], v[66:67] offset0:42 offset1:43
	s_waitcnt vmcnt(46)
	ds_write2_b64 v212, v[60:61], v[62:63] offset0:44 offset1:45
	s_waitcnt vmcnt(45)
	ds_write2_b64 v212, v[56:57], v[58:59] offset0:46 offset1:47
	s_waitcnt vmcnt(44)
	ds_write2_b64 v212, v[52:53], v[54:55] offset0:48 offset1:49
	s_waitcnt vmcnt(43)
	ds_write2_b64 v212, v[48:49], v[50:51] offset0:50 offset1:51
	s_waitcnt vmcnt(42)
	ds_write2_b64 v212, v[44:45], v[46:47] offset0:52 offset1:53
	s_waitcnt vmcnt(41)
	ds_write2_b64 v212, v[40:41], v[42:43] offset0:54 offset1:55
	s_waitcnt vmcnt(40)
	ds_write2_b64 v212, v[36:37], v[38:39] offset0:56 offset1:57
	s_waitcnt vmcnt(39)
	ds_write2_b64 v212, v[32:33], v[34:35] offset0:58 offset1:59
	s_waitcnt vmcnt(38)
	ds_write2_b64 v212, v[28:29], v[30:31] offset0:60 offset1:61
	s_waitcnt vmcnt(22)
	ds_write2_b64 v212, v[24:25], v[26:27] offset0:62 offset1:63
	ds_write2_b64 v212, v[20:21], v[22:23] offset0:64 offset1:65
	s_waitcnt vmcnt(21)
	ds_write2_b64 v212, v[16:17], v[18:19] offset0:66 offset1:67
	s_waitcnt vmcnt(20)
	;; [unrolled: 2-line block ×4, first 2 shown]
	ds_write2_b64 v212, v[4:5], v[6:7] offset0:72 offset1:73
	ds_write2_b64 v212, v[0:1], v[2:3] offset0:74 offset1:75
	s_waitcnt vmcnt(16)
	ds_write2_b64 v212, v[152:153], v[154:155] offset0:76 offset1:77
	ds_read2_b64 v[156:159], v215 offset1:1
	s_waitcnt lgkmcnt(0)
	v_cmp_neq_f64_e32 vcc, 0, v[156:157]
	v_cmp_neq_f64_e64 s[2:3], 0, v[158:159]
	s_or_b64 s[2:3], vcc, s[2:3]
	s_and_b64 exec, exec, s[2:3]
	s_cbranch_execz .LBB77_107
; %bb.102:
	v_cmp_ngt_f64_e64 s[2:3], |v[156:157]|, |v[158:159]|
                                        ; implicit-def: $vgpr160_vgpr161
	s_and_saveexec_b64 s[10:11], s[2:3]
	s_xor_b64 s[2:3], exec, s[10:11]
                                        ; implicit-def: $vgpr162_vgpr163
	s_cbranch_execz .LBB77_104
; %bb.103:
	v_div_scale_f64 v[160:161], s[10:11], v[158:159], v[158:159], v[156:157]
	v_rcp_f64_e32 v[162:163], v[160:161]
	v_div_scale_f64 v[164:165], vcc, v[156:157], v[158:159], v[156:157]
	v_fma_f64 v[166:167], -v[160:161], v[162:163], 1.0
	v_fmac_f64_e32 v[162:163], v[162:163], v[166:167]
	v_fma_f64 v[166:167], -v[160:161], v[162:163], 1.0
	v_fmac_f64_e32 v[162:163], v[162:163], v[166:167]
	v_mul_f64 v[166:167], v[164:165], v[162:163]
	v_fma_f64 v[160:161], -v[160:161], v[166:167], v[164:165]
	v_div_fmas_f64 v[160:161], v[160:161], v[162:163], v[166:167]
	v_div_fixup_f64 v[160:161], v[160:161], v[158:159], v[156:157]
	v_fmac_f64_e32 v[158:159], v[156:157], v[160:161]
	v_div_scale_f64 v[156:157], s[10:11], v[158:159], v[158:159], 1.0
	v_rcp_f64_e32 v[162:163], v[156:157]
	s_nop 0
	v_fma_f64 v[164:165], -v[156:157], v[162:163], 1.0
	v_fmac_f64_e32 v[162:163], v[162:163], v[164:165]
	v_fma_f64 v[164:165], -v[156:157], v[162:163], 1.0
	v_fmac_f64_e32 v[162:163], v[162:163], v[164:165]
	v_div_scale_f64 v[164:165], vcc, 1.0, v[158:159], 1.0
	v_mul_f64 v[166:167], v[164:165], v[162:163]
	v_fma_f64 v[156:157], -v[156:157], v[166:167], v[164:165]
	s_nop 1
	v_div_fmas_f64 v[156:157], v[156:157], v[162:163], v[166:167]
	v_div_fixup_f64 v[162:163], v[156:157], v[158:159], 1.0
	v_mul_f64 v[160:161], v[160:161], v[162:163]
	v_xor_b32_e32 v163, 0x80000000, v163
                                        ; implicit-def: $vgpr156_vgpr157
.LBB77_104:
	s_andn2_saveexec_b64 s[2:3], s[2:3]
	s_cbranch_execz .LBB77_106
; %bb.105:
	v_div_scale_f64 v[160:161], s[10:11], v[156:157], v[156:157], v[158:159]
	v_rcp_f64_e32 v[162:163], v[160:161]
	v_div_scale_f64 v[164:165], vcc, v[158:159], v[156:157], v[158:159]
	v_fma_f64 v[166:167], -v[160:161], v[162:163], 1.0
	v_fmac_f64_e32 v[162:163], v[162:163], v[166:167]
	v_fma_f64 v[166:167], -v[160:161], v[162:163], 1.0
	v_fmac_f64_e32 v[162:163], v[162:163], v[166:167]
	v_mul_f64 v[166:167], v[164:165], v[162:163]
	v_fma_f64 v[160:161], -v[160:161], v[166:167], v[164:165]
	v_div_fmas_f64 v[160:161], v[160:161], v[162:163], v[166:167]
	v_div_fixup_f64 v[162:163], v[160:161], v[156:157], v[158:159]
	v_fmac_f64_e32 v[156:157], v[158:159], v[162:163]
	v_div_scale_f64 v[158:159], s[10:11], v[156:157], v[156:157], 1.0
	v_rcp_f64_e32 v[160:161], v[158:159]
	s_nop 0
	v_fma_f64 v[164:165], -v[158:159], v[160:161], 1.0
	v_fmac_f64_e32 v[160:161], v[160:161], v[164:165]
	v_fma_f64 v[164:165], -v[158:159], v[160:161], 1.0
	v_fmac_f64_e32 v[160:161], v[160:161], v[164:165]
	v_div_scale_f64 v[164:165], vcc, 1.0, v[156:157], 1.0
	v_mul_f64 v[166:167], v[164:165], v[160:161]
	v_fma_f64 v[158:159], -v[158:159], v[166:167], v[164:165]
	s_nop 1
	v_div_fmas_f64 v[158:159], v[158:159], v[160:161], v[166:167]
	v_div_fixup_f64 v[160:161], v[158:159], v[156:157], 1.0
	v_mul_f64 v[162:163], v[162:163], -v[160:161]
.LBB77_106:
	s_or_b64 exec, exec, s[2:3]
	ds_write2_b64 v215, v[160:161], v[162:163] offset1:1
.LBB77_107:
	s_or_b64 exec, exec, s[4:5]
	s_waitcnt lgkmcnt(0)
	s_barrier
	ds_read2_b64 v[156:159], v215 offset1:1
	v_cmp_lt_u32_e32 vcc, 11, v214
	s_waitcnt lgkmcnt(0)
	scratch_store_dwordx4 off, v[156:159], off offset:368 ; 16-byte Folded Spill
	s_and_saveexec_b64 s[2:3], vcc
	s_cbranch_execz .LBB77_109
; %bb.108:
	scratch_load_dwordx4 v[158:161], off, off offset:368 ; 16-byte Folded Reload
	s_waitcnt vmcnt(0)
	v_mul_f64 v[156:157], v[160:161], v[106:107]
	v_mul_f64 v[106:107], v[158:159], v[106:107]
	v_fma_f64 v[156:157], v[158:159], v[104:105], -v[156:157]
	v_fmac_f64_e32 v[106:107], v[160:161], v[104:105]
	ds_read2_b64 v[158:161], v212 offset0:24 offset1:25
	s_waitcnt lgkmcnt(0)
	v_mul_f64 v[104:105], v[160:161], v[106:107]
	v_fma_f64 v[104:105], v[158:159], v[156:157], -v[104:105]
	v_mul_f64 v[158:159], v[158:159], v[106:107]
	v_fmac_f64_e32 v[158:159], v[160:161], v[156:157]
	v_add_f64 v[102:103], v[102:103], -v[158:159]
	ds_read2_b64 v[158:161], v212 offset0:26 offset1:27
	v_add_f64 v[100:101], v[100:101], -v[104:105]
	s_waitcnt lgkmcnt(0)
	v_mul_f64 v[104:105], v[160:161], v[106:107]
	v_fma_f64 v[104:105], v[158:159], v[156:157], -v[104:105]
	v_mul_f64 v[158:159], v[158:159], v[106:107]
	v_fmac_f64_e32 v[158:159], v[160:161], v[156:157]
	v_add_f64 v[98:99], v[98:99], -v[158:159]
	ds_read2_b64 v[158:161], v212 offset0:28 offset1:29
	v_add_f64 v[96:97], v[96:97], -v[104:105]
	;; [unrolled: 8-line block ×26, first 2 shown]
	s_waitcnt lgkmcnt(0)
	v_mul_f64 v[104:105], v[160:161], v[106:107]
	v_fma_f64 v[104:105], v[158:159], v[156:157], -v[104:105]
	v_mul_f64 v[158:159], v[158:159], v[106:107]
	v_fmac_f64_e32 v[158:159], v[160:161], v[156:157]
	v_add_f64 v[152:153], v[152:153], -v[104:105]
	v_add_f64 v[154:155], v[154:155], -v[158:159]
	v_mov_b64_e32 v[104:105], v[156:157]
.LBB77_109:
	s_or_b64 exec, exec, s[2:3]
	v_cmp_eq_u32_e32 vcc, 12, v214
	s_waitcnt vmcnt(63) expcnt(7) lgkmcnt(15)
	s_barrier
	s_and_saveexec_b64 s[4:5], vcc
	s_cbranch_execz .LBB77_116
; %bb.110:
	s_waitcnt vmcnt(57)
	ds_write2_b64 v215, v[100:101], v[102:103] offset1:1
	s_waitcnt vmcnt(56)
	ds_write2_b64 v212, v[96:97], v[98:99] offset0:26 offset1:27
	s_waitcnt vmcnt(55)
	ds_write2_b64 v212, v[92:93], v[94:95] offset0:28 offset1:29
	;; [unrolled: 2-line block ×19, first 2 shown]
	ds_write2_b64 v212, v[20:21], v[22:23] offset0:64 offset1:65
	s_waitcnt vmcnt(22)
	ds_write2_b64 v212, v[16:17], v[18:19] offset0:66 offset1:67
	s_waitcnt vmcnt(21)
	;; [unrolled: 2-line block ×4, first 2 shown]
	ds_write2_b64 v212, v[4:5], v[6:7] offset0:72 offset1:73
	ds_write2_b64 v212, v[0:1], v[2:3] offset0:74 offset1:75
	s_waitcnt vmcnt(17)
	ds_write2_b64 v212, v[152:153], v[154:155] offset0:76 offset1:77
	ds_read2_b64 v[156:159], v215 offset1:1
	s_waitcnt lgkmcnt(0)
	v_cmp_neq_f64_e32 vcc, 0, v[156:157]
	v_cmp_neq_f64_e64 s[2:3], 0, v[158:159]
	s_or_b64 s[2:3], vcc, s[2:3]
	s_and_b64 exec, exec, s[2:3]
	s_cbranch_execz .LBB77_116
; %bb.111:
	v_cmp_ngt_f64_e64 s[2:3], |v[156:157]|, |v[158:159]|
                                        ; implicit-def: $vgpr160_vgpr161
	s_and_saveexec_b64 s[10:11], s[2:3]
	s_xor_b64 s[2:3], exec, s[10:11]
                                        ; implicit-def: $vgpr162_vgpr163
	s_cbranch_execz .LBB77_113
; %bb.112:
	v_div_scale_f64 v[160:161], s[10:11], v[158:159], v[158:159], v[156:157]
	v_rcp_f64_e32 v[162:163], v[160:161]
	v_div_scale_f64 v[164:165], vcc, v[156:157], v[158:159], v[156:157]
	v_fma_f64 v[166:167], -v[160:161], v[162:163], 1.0
	v_fmac_f64_e32 v[162:163], v[162:163], v[166:167]
	v_fma_f64 v[166:167], -v[160:161], v[162:163], 1.0
	v_fmac_f64_e32 v[162:163], v[162:163], v[166:167]
	v_mul_f64 v[166:167], v[164:165], v[162:163]
	v_fma_f64 v[160:161], -v[160:161], v[166:167], v[164:165]
	v_div_fmas_f64 v[160:161], v[160:161], v[162:163], v[166:167]
	v_div_fixup_f64 v[160:161], v[160:161], v[158:159], v[156:157]
	v_fmac_f64_e32 v[158:159], v[156:157], v[160:161]
	v_div_scale_f64 v[156:157], s[10:11], v[158:159], v[158:159], 1.0
	v_rcp_f64_e32 v[162:163], v[156:157]
	s_nop 0
	v_fma_f64 v[164:165], -v[156:157], v[162:163], 1.0
	v_fmac_f64_e32 v[162:163], v[162:163], v[164:165]
	v_fma_f64 v[164:165], -v[156:157], v[162:163], 1.0
	v_fmac_f64_e32 v[162:163], v[162:163], v[164:165]
	v_div_scale_f64 v[164:165], vcc, 1.0, v[158:159], 1.0
	v_mul_f64 v[166:167], v[164:165], v[162:163]
	v_fma_f64 v[156:157], -v[156:157], v[166:167], v[164:165]
	s_nop 1
	v_div_fmas_f64 v[156:157], v[156:157], v[162:163], v[166:167]
	v_div_fixup_f64 v[162:163], v[156:157], v[158:159], 1.0
	v_mul_f64 v[160:161], v[160:161], v[162:163]
	v_xor_b32_e32 v163, 0x80000000, v163
                                        ; implicit-def: $vgpr156_vgpr157
.LBB77_113:
	s_andn2_saveexec_b64 s[2:3], s[2:3]
	s_cbranch_execz .LBB77_115
; %bb.114:
	v_div_scale_f64 v[160:161], s[10:11], v[156:157], v[156:157], v[158:159]
	v_rcp_f64_e32 v[162:163], v[160:161]
	v_div_scale_f64 v[164:165], vcc, v[158:159], v[156:157], v[158:159]
	v_fma_f64 v[166:167], -v[160:161], v[162:163], 1.0
	v_fmac_f64_e32 v[162:163], v[162:163], v[166:167]
	v_fma_f64 v[166:167], -v[160:161], v[162:163], 1.0
	v_fmac_f64_e32 v[162:163], v[162:163], v[166:167]
	v_mul_f64 v[166:167], v[164:165], v[162:163]
	v_fma_f64 v[160:161], -v[160:161], v[166:167], v[164:165]
	v_div_fmas_f64 v[160:161], v[160:161], v[162:163], v[166:167]
	v_div_fixup_f64 v[162:163], v[160:161], v[156:157], v[158:159]
	v_fmac_f64_e32 v[156:157], v[158:159], v[162:163]
	v_div_scale_f64 v[158:159], s[10:11], v[156:157], v[156:157], 1.0
	v_rcp_f64_e32 v[160:161], v[158:159]
	s_nop 0
	v_fma_f64 v[164:165], -v[158:159], v[160:161], 1.0
	v_fmac_f64_e32 v[160:161], v[160:161], v[164:165]
	v_fma_f64 v[164:165], -v[158:159], v[160:161], 1.0
	v_fmac_f64_e32 v[160:161], v[160:161], v[164:165]
	v_div_scale_f64 v[164:165], vcc, 1.0, v[156:157], 1.0
	v_mul_f64 v[166:167], v[164:165], v[160:161]
	v_fma_f64 v[158:159], -v[158:159], v[166:167], v[164:165]
	s_nop 1
	v_div_fmas_f64 v[158:159], v[158:159], v[160:161], v[166:167]
	v_div_fixup_f64 v[160:161], v[158:159], v[156:157], 1.0
	v_mul_f64 v[162:163], v[162:163], -v[160:161]
.LBB77_115:
	s_or_b64 exec, exec, s[2:3]
	ds_write2_b64 v215, v[160:161], v[162:163] offset1:1
.LBB77_116:
	s_or_b64 exec, exec, s[4:5]
	s_waitcnt lgkmcnt(0)
	s_barrier
	ds_read2_b64 v[156:159], v215 offset1:1
	v_cmp_lt_u32_e32 vcc, 12, v214
	s_waitcnt lgkmcnt(0)
	scratch_store_dwordx4 off, v[156:159], off offset:384 ; 16-byte Folded Spill
	s_and_saveexec_b64 s[2:3], vcc
	s_cbranch_execz .LBB77_118
; %bb.117:
	scratch_load_dwordx4 v[158:161], off, off offset:384 ; 16-byte Folded Reload
	s_waitcnt vmcnt(0)
	v_mul_f64 v[156:157], v[160:161], v[102:103]
	v_mul_f64 v[102:103], v[158:159], v[102:103]
	v_fma_f64 v[156:157], v[158:159], v[100:101], -v[156:157]
	v_fmac_f64_e32 v[102:103], v[160:161], v[100:101]
	ds_read2_b64 v[158:161], v212 offset0:26 offset1:27
	s_waitcnt lgkmcnt(0)
	v_mul_f64 v[100:101], v[160:161], v[102:103]
	v_fma_f64 v[100:101], v[158:159], v[156:157], -v[100:101]
	v_mul_f64 v[158:159], v[158:159], v[102:103]
	v_fmac_f64_e32 v[158:159], v[160:161], v[156:157]
	v_add_f64 v[98:99], v[98:99], -v[158:159]
	ds_read2_b64 v[158:161], v212 offset0:28 offset1:29
	v_add_f64 v[96:97], v[96:97], -v[100:101]
	s_waitcnt lgkmcnt(0)
	v_mul_f64 v[100:101], v[160:161], v[102:103]
	v_fma_f64 v[100:101], v[158:159], v[156:157], -v[100:101]
	v_mul_f64 v[158:159], v[158:159], v[102:103]
	v_fmac_f64_e32 v[158:159], v[160:161], v[156:157]
	v_add_f64 v[94:95], v[94:95], -v[158:159]
	ds_read2_b64 v[158:161], v212 offset0:30 offset1:31
	v_add_f64 v[92:93], v[92:93], -v[100:101]
	;; [unrolled: 8-line block ×25, first 2 shown]
	s_waitcnt lgkmcnt(0)
	v_mul_f64 v[100:101], v[160:161], v[102:103]
	v_fma_f64 v[100:101], v[158:159], v[156:157], -v[100:101]
	v_mul_f64 v[158:159], v[158:159], v[102:103]
	v_fmac_f64_e32 v[158:159], v[160:161], v[156:157]
	v_add_f64 v[152:153], v[152:153], -v[100:101]
	v_add_f64 v[154:155], v[154:155], -v[158:159]
	v_mov_b64_e32 v[100:101], v[156:157]
.LBB77_118:
	s_or_b64 exec, exec, s[2:3]
	v_cmp_eq_u32_e32 vcc, 13, v214
	s_waitcnt vmcnt(63) expcnt(7) lgkmcnt(15)
	s_barrier
	s_and_saveexec_b64 s[4:5], vcc
	s_cbranch_execz .LBB77_125
; %bb.119:
	s_waitcnt vmcnt(57)
	ds_write2_b64 v215, v[96:97], v[98:99] offset1:1
	s_waitcnt vmcnt(56)
	ds_write2_b64 v212, v[92:93], v[94:95] offset0:28 offset1:29
	s_waitcnt vmcnt(55)
	ds_write2_b64 v212, v[88:89], v[90:91] offset0:30 offset1:31
	;; [unrolled: 2-line block ×18, first 2 shown]
	ds_write2_b64 v212, v[20:21], v[22:23] offset0:64 offset1:65
	s_waitcnt vmcnt(23)
	ds_write2_b64 v212, v[16:17], v[18:19] offset0:66 offset1:67
	s_waitcnt vmcnt(22)
	;; [unrolled: 2-line block ×4, first 2 shown]
	ds_write2_b64 v212, v[4:5], v[6:7] offset0:72 offset1:73
	ds_write2_b64 v212, v[0:1], v[2:3] offset0:74 offset1:75
	s_waitcnt vmcnt(18)
	ds_write2_b64 v212, v[152:153], v[154:155] offset0:76 offset1:77
	ds_read2_b64 v[156:159], v215 offset1:1
	s_waitcnt lgkmcnt(0)
	v_cmp_neq_f64_e32 vcc, 0, v[156:157]
	v_cmp_neq_f64_e64 s[2:3], 0, v[158:159]
	s_or_b64 s[2:3], vcc, s[2:3]
	s_and_b64 exec, exec, s[2:3]
	s_cbranch_execz .LBB77_125
; %bb.120:
	v_cmp_ngt_f64_e64 s[2:3], |v[156:157]|, |v[158:159]|
                                        ; implicit-def: $vgpr160_vgpr161
	s_and_saveexec_b64 s[10:11], s[2:3]
	s_xor_b64 s[2:3], exec, s[10:11]
                                        ; implicit-def: $vgpr162_vgpr163
	s_cbranch_execz .LBB77_122
; %bb.121:
	v_div_scale_f64 v[160:161], s[10:11], v[158:159], v[158:159], v[156:157]
	v_rcp_f64_e32 v[162:163], v[160:161]
	v_div_scale_f64 v[164:165], vcc, v[156:157], v[158:159], v[156:157]
	v_fma_f64 v[166:167], -v[160:161], v[162:163], 1.0
	v_fmac_f64_e32 v[162:163], v[162:163], v[166:167]
	v_fma_f64 v[166:167], -v[160:161], v[162:163], 1.0
	v_fmac_f64_e32 v[162:163], v[162:163], v[166:167]
	v_mul_f64 v[166:167], v[164:165], v[162:163]
	v_fma_f64 v[160:161], -v[160:161], v[166:167], v[164:165]
	v_div_fmas_f64 v[160:161], v[160:161], v[162:163], v[166:167]
	v_div_fixup_f64 v[160:161], v[160:161], v[158:159], v[156:157]
	v_fmac_f64_e32 v[158:159], v[156:157], v[160:161]
	v_div_scale_f64 v[156:157], s[10:11], v[158:159], v[158:159], 1.0
	v_rcp_f64_e32 v[162:163], v[156:157]
	s_nop 0
	v_fma_f64 v[164:165], -v[156:157], v[162:163], 1.0
	v_fmac_f64_e32 v[162:163], v[162:163], v[164:165]
	v_fma_f64 v[164:165], -v[156:157], v[162:163], 1.0
	v_fmac_f64_e32 v[162:163], v[162:163], v[164:165]
	v_div_scale_f64 v[164:165], vcc, 1.0, v[158:159], 1.0
	v_mul_f64 v[166:167], v[164:165], v[162:163]
	v_fma_f64 v[156:157], -v[156:157], v[166:167], v[164:165]
	s_nop 1
	v_div_fmas_f64 v[156:157], v[156:157], v[162:163], v[166:167]
	v_div_fixup_f64 v[162:163], v[156:157], v[158:159], 1.0
	v_mul_f64 v[160:161], v[160:161], v[162:163]
	v_xor_b32_e32 v163, 0x80000000, v163
                                        ; implicit-def: $vgpr156_vgpr157
.LBB77_122:
	s_andn2_saveexec_b64 s[2:3], s[2:3]
	s_cbranch_execz .LBB77_124
; %bb.123:
	v_div_scale_f64 v[160:161], s[10:11], v[156:157], v[156:157], v[158:159]
	v_rcp_f64_e32 v[162:163], v[160:161]
	v_div_scale_f64 v[164:165], vcc, v[158:159], v[156:157], v[158:159]
	v_fma_f64 v[166:167], -v[160:161], v[162:163], 1.0
	v_fmac_f64_e32 v[162:163], v[162:163], v[166:167]
	v_fma_f64 v[166:167], -v[160:161], v[162:163], 1.0
	v_fmac_f64_e32 v[162:163], v[162:163], v[166:167]
	v_mul_f64 v[166:167], v[164:165], v[162:163]
	v_fma_f64 v[160:161], -v[160:161], v[166:167], v[164:165]
	v_div_fmas_f64 v[160:161], v[160:161], v[162:163], v[166:167]
	v_div_fixup_f64 v[162:163], v[160:161], v[156:157], v[158:159]
	v_fmac_f64_e32 v[156:157], v[158:159], v[162:163]
	v_div_scale_f64 v[158:159], s[10:11], v[156:157], v[156:157], 1.0
	v_rcp_f64_e32 v[160:161], v[158:159]
	s_nop 0
	v_fma_f64 v[164:165], -v[158:159], v[160:161], 1.0
	v_fmac_f64_e32 v[160:161], v[160:161], v[164:165]
	v_fma_f64 v[164:165], -v[158:159], v[160:161], 1.0
	v_fmac_f64_e32 v[160:161], v[160:161], v[164:165]
	v_div_scale_f64 v[164:165], vcc, 1.0, v[156:157], 1.0
	v_mul_f64 v[166:167], v[164:165], v[160:161]
	v_fma_f64 v[158:159], -v[158:159], v[166:167], v[164:165]
	s_nop 1
	v_div_fmas_f64 v[158:159], v[158:159], v[160:161], v[166:167]
	v_div_fixup_f64 v[160:161], v[158:159], v[156:157], 1.0
	v_mul_f64 v[162:163], v[162:163], -v[160:161]
.LBB77_124:
	s_or_b64 exec, exec, s[2:3]
	ds_write2_b64 v215, v[160:161], v[162:163] offset1:1
.LBB77_125:
	s_or_b64 exec, exec, s[4:5]
	s_waitcnt lgkmcnt(0)
	s_barrier
	ds_read2_b64 v[156:159], v215 offset1:1
	v_cmp_lt_u32_e32 vcc, 13, v214
	s_waitcnt lgkmcnt(0)
	scratch_store_dwordx4 off, v[156:159], off offset:400 ; 16-byte Folded Spill
	s_and_saveexec_b64 s[2:3], vcc
	s_cbranch_execz .LBB77_127
; %bb.126:
	scratch_load_dwordx4 v[158:161], off, off offset:400 ; 16-byte Folded Reload
	s_waitcnt vmcnt(0)
	v_mul_f64 v[156:157], v[160:161], v[98:99]
	v_mul_f64 v[98:99], v[158:159], v[98:99]
	v_fma_f64 v[156:157], v[158:159], v[96:97], -v[156:157]
	v_fmac_f64_e32 v[98:99], v[160:161], v[96:97]
	ds_read2_b64 v[158:161], v212 offset0:28 offset1:29
	s_waitcnt lgkmcnt(0)
	v_mul_f64 v[96:97], v[160:161], v[98:99]
	v_fma_f64 v[96:97], v[158:159], v[156:157], -v[96:97]
	v_mul_f64 v[158:159], v[158:159], v[98:99]
	v_fmac_f64_e32 v[158:159], v[160:161], v[156:157]
	v_add_f64 v[94:95], v[94:95], -v[158:159]
	ds_read2_b64 v[158:161], v212 offset0:30 offset1:31
	v_add_f64 v[92:93], v[92:93], -v[96:97]
	s_waitcnt lgkmcnt(0)
	v_mul_f64 v[96:97], v[160:161], v[98:99]
	v_fma_f64 v[96:97], v[158:159], v[156:157], -v[96:97]
	v_mul_f64 v[158:159], v[158:159], v[98:99]
	v_fmac_f64_e32 v[158:159], v[160:161], v[156:157]
	v_add_f64 v[90:91], v[90:91], -v[158:159]
	ds_read2_b64 v[158:161], v212 offset0:32 offset1:33
	v_add_f64 v[88:89], v[88:89], -v[96:97]
	;; [unrolled: 8-line block ×24, first 2 shown]
	s_waitcnt lgkmcnt(0)
	v_mul_f64 v[96:97], v[160:161], v[98:99]
	v_fma_f64 v[96:97], v[158:159], v[156:157], -v[96:97]
	v_mul_f64 v[158:159], v[158:159], v[98:99]
	v_fmac_f64_e32 v[158:159], v[160:161], v[156:157]
	v_add_f64 v[152:153], v[152:153], -v[96:97]
	v_add_f64 v[154:155], v[154:155], -v[158:159]
	v_mov_b64_e32 v[96:97], v[156:157]
.LBB77_127:
	s_or_b64 exec, exec, s[2:3]
	v_cmp_eq_u32_e32 vcc, 14, v214
	s_waitcnt vmcnt(63) expcnt(7) lgkmcnt(15)
	s_barrier
	s_and_saveexec_b64 s[4:5], vcc
	s_cbranch_execz .LBB77_134
; %bb.128:
	s_waitcnt vmcnt(57)
	ds_write2_b64 v215, v[92:93], v[94:95] offset1:1
	s_waitcnt vmcnt(56)
	ds_write2_b64 v212, v[88:89], v[90:91] offset0:30 offset1:31
	s_waitcnt vmcnt(55)
	ds_write2_b64 v212, v[84:85], v[86:87] offset0:32 offset1:33
	;; [unrolled: 2-line block ×17, first 2 shown]
	ds_write2_b64 v212, v[20:21], v[22:23] offset0:64 offset1:65
	s_waitcnt vmcnt(24)
	ds_write2_b64 v212, v[16:17], v[18:19] offset0:66 offset1:67
	s_waitcnt vmcnt(23)
	;; [unrolled: 2-line block ×4, first 2 shown]
	ds_write2_b64 v212, v[4:5], v[6:7] offset0:72 offset1:73
	ds_write2_b64 v212, v[0:1], v[2:3] offset0:74 offset1:75
	s_waitcnt vmcnt(19)
	ds_write2_b64 v212, v[152:153], v[154:155] offset0:76 offset1:77
	ds_read2_b64 v[156:159], v215 offset1:1
	s_waitcnt lgkmcnt(0)
	v_cmp_neq_f64_e32 vcc, 0, v[156:157]
	v_cmp_neq_f64_e64 s[2:3], 0, v[158:159]
	s_or_b64 s[2:3], vcc, s[2:3]
	s_and_b64 exec, exec, s[2:3]
	s_cbranch_execz .LBB77_134
; %bb.129:
	v_cmp_ngt_f64_e64 s[2:3], |v[156:157]|, |v[158:159]|
                                        ; implicit-def: $vgpr160_vgpr161
	s_and_saveexec_b64 s[10:11], s[2:3]
	s_xor_b64 s[2:3], exec, s[10:11]
                                        ; implicit-def: $vgpr162_vgpr163
	s_cbranch_execz .LBB77_131
; %bb.130:
	v_div_scale_f64 v[160:161], s[10:11], v[158:159], v[158:159], v[156:157]
	v_rcp_f64_e32 v[162:163], v[160:161]
	v_div_scale_f64 v[164:165], vcc, v[156:157], v[158:159], v[156:157]
	v_fma_f64 v[166:167], -v[160:161], v[162:163], 1.0
	v_fmac_f64_e32 v[162:163], v[162:163], v[166:167]
	v_fma_f64 v[166:167], -v[160:161], v[162:163], 1.0
	v_fmac_f64_e32 v[162:163], v[162:163], v[166:167]
	v_mul_f64 v[166:167], v[164:165], v[162:163]
	v_fma_f64 v[160:161], -v[160:161], v[166:167], v[164:165]
	v_div_fmas_f64 v[160:161], v[160:161], v[162:163], v[166:167]
	v_div_fixup_f64 v[160:161], v[160:161], v[158:159], v[156:157]
	v_fmac_f64_e32 v[158:159], v[156:157], v[160:161]
	v_div_scale_f64 v[156:157], s[10:11], v[158:159], v[158:159], 1.0
	v_rcp_f64_e32 v[162:163], v[156:157]
	s_nop 0
	v_fma_f64 v[164:165], -v[156:157], v[162:163], 1.0
	v_fmac_f64_e32 v[162:163], v[162:163], v[164:165]
	v_fma_f64 v[164:165], -v[156:157], v[162:163], 1.0
	v_fmac_f64_e32 v[162:163], v[162:163], v[164:165]
	v_div_scale_f64 v[164:165], vcc, 1.0, v[158:159], 1.0
	v_mul_f64 v[166:167], v[164:165], v[162:163]
	v_fma_f64 v[156:157], -v[156:157], v[166:167], v[164:165]
	s_nop 1
	v_div_fmas_f64 v[156:157], v[156:157], v[162:163], v[166:167]
	v_div_fixup_f64 v[162:163], v[156:157], v[158:159], 1.0
	v_mul_f64 v[160:161], v[160:161], v[162:163]
	v_xor_b32_e32 v163, 0x80000000, v163
                                        ; implicit-def: $vgpr156_vgpr157
.LBB77_131:
	s_andn2_saveexec_b64 s[2:3], s[2:3]
	s_cbranch_execz .LBB77_133
; %bb.132:
	v_div_scale_f64 v[160:161], s[10:11], v[156:157], v[156:157], v[158:159]
	v_rcp_f64_e32 v[162:163], v[160:161]
	v_div_scale_f64 v[164:165], vcc, v[158:159], v[156:157], v[158:159]
	v_fma_f64 v[166:167], -v[160:161], v[162:163], 1.0
	v_fmac_f64_e32 v[162:163], v[162:163], v[166:167]
	v_fma_f64 v[166:167], -v[160:161], v[162:163], 1.0
	v_fmac_f64_e32 v[162:163], v[162:163], v[166:167]
	v_mul_f64 v[166:167], v[164:165], v[162:163]
	v_fma_f64 v[160:161], -v[160:161], v[166:167], v[164:165]
	v_div_fmas_f64 v[160:161], v[160:161], v[162:163], v[166:167]
	v_div_fixup_f64 v[162:163], v[160:161], v[156:157], v[158:159]
	v_fmac_f64_e32 v[156:157], v[158:159], v[162:163]
	v_div_scale_f64 v[158:159], s[10:11], v[156:157], v[156:157], 1.0
	v_rcp_f64_e32 v[160:161], v[158:159]
	s_nop 0
	v_fma_f64 v[164:165], -v[158:159], v[160:161], 1.0
	v_fmac_f64_e32 v[160:161], v[160:161], v[164:165]
	v_fma_f64 v[164:165], -v[158:159], v[160:161], 1.0
	v_fmac_f64_e32 v[160:161], v[160:161], v[164:165]
	v_div_scale_f64 v[164:165], vcc, 1.0, v[156:157], 1.0
	v_mul_f64 v[166:167], v[164:165], v[160:161]
	v_fma_f64 v[158:159], -v[158:159], v[166:167], v[164:165]
	s_nop 1
	v_div_fmas_f64 v[158:159], v[158:159], v[160:161], v[166:167]
	v_div_fixup_f64 v[160:161], v[158:159], v[156:157], 1.0
	v_mul_f64 v[162:163], v[162:163], -v[160:161]
.LBB77_133:
	s_or_b64 exec, exec, s[2:3]
	ds_write2_b64 v215, v[160:161], v[162:163] offset1:1
.LBB77_134:
	s_or_b64 exec, exec, s[4:5]
	s_waitcnt lgkmcnt(0)
	s_barrier
	ds_read2_b64 v[156:159], v215 offset1:1
	v_cmp_lt_u32_e32 vcc, 14, v214
	s_waitcnt lgkmcnt(0)
	scratch_store_dwordx4 off, v[156:159], off offset:416 ; 16-byte Folded Spill
	s_and_saveexec_b64 s[2:3], vcc
	s_cbranch_execz .LBB77_136
; %bb.135:
	scratch_load_dwordx4 v[158:161], off, off offset:416 ; 16-byte Folded Reload
	s_waitcnt vmcnt(0)
	v_mul_f64 v[156:157], v[160:161], v[94:95]
	v_mul_f64 v[94:95], v[158:159], v[94:95]
	v_fma_f64 v[156:157], v[158:159], v[92:93], -v[156:157]
	v_fmac_f64_e32 v[94:95], v[160:161], v[92:93]
	ds_read2_b64 v[158:161], v212 offset0:30 offset1:31
	s_waitcnt lgkmcnt(0)
	v_mul_f64 v[92:93], v[160:161], v[94:95]
	v_fma_f64 v[92:93], v[158:159], v[156:157], -v[92:93]
	v_mul_f64 v[158:159], v[158:159], v[94:95]
	v_fmac_f64_e32 v[158:159], v[160:161], v[156:157]
	v_add_f64 v[90:91], v[90:91], -v[158:159]
	ds_read2_b64 v[158:161], v212 offset0:32 offset1:33
	v_add_f64 v[88:89], v[88:89], -v[92:93]
	s_waitcnt lgkmcnt(0)
	v_mul_f64 v[92:93], v[160:161], v[94:95]
	v_fma_f64 v[92:93], v[158:159], v[156:157], -v[92:93]
	v_mul_f64 v[158:159], v[158:159], v[94:95]
	v_fmac_f64_e32 v[158:159], v[160:161], v[156:157]
	v_add_f64 v[86:87], v[86:87], -v[158:159]
	ds_read2_b64 v[158:161], v212 offset0:34 offset1:35
	v_add_f64 v[84:85], v[84:85], -v[92:93]
	;; [unrolled: 8-line block ×23, first 2 shown]
	s_waitcnt lgkmcnt(0)
	v_mul_f64 v[92:93], v[160:161], v[94:95]
	v_fma_f64 v[92:93], v[158:159], v[156:157], -v[92:93]
	v_mul_f64 v[158:159], v[158:159], v[94:95]
	v_fmac_f64_e32 v[158:159], v[160:161], v[156:157]
	v_add_f64 v[152:153], v[152:153], -v[92:93]
	v_add_f64 v[154:155], v[154:155], -v[158:159]
	v_mov_b64_e32 v[92:93], v[156:157]
.LBB77_136:
	s_or_b64 exec, exec, s[2:3]
	v_cmp_eq_u32_e32 vcc, 15, v214
	s_waitcnt vmcnt(63) expcnt(7) lgkmcnt(15)
	s_barrier
	s_and_saveexec_b64 s[4:5], vcc
	s_cbranch_execz .LBB77_143
; %bb.137:
	s_waitcnt vmcnt(57)
	ds_write2_b64 v215, v[88:89], v[90:91] offset1:1
	s_waitcnt vmcnt(56)
	ds_write2_b64 v212, v[84:85], v[86:87] offset0:32 offset1:33
	s_waitcnt vmcnt(55)
	ds_write2_b64 v212, v[80:81], v[82:83] offset0:34 offset1:35
	;; [unrolled: 2-line block ×16, first 2 shown]
	ds_write2_b64 v212, v[20:21], v[22:23] offset0:64 offset1:65
	s_waitcnt vmcnt(25)
	ds_write2_b64 v212, v[16:17], v[18:19] offset0:66 offset1:67
	s_waitcnt vmcnt(24)
	;; [unrolled: 2-line block ×4, first 2 shown]
	ds_write2_b64 v212, v[4:5], v[6:7] offset0:72 offset1:73
	ds_write2_b64 v212, v[0:1], v[2:3] offset0:74 offset1:75
	s_waitcnt vmcnt(20)
	ds_write2_b64 v212, v[152:153], v[154:155] offset0:76 offset1:77
	ds_read2_b64 v[156:159], v215 offset1:1
	s_waitcnt lgkmcnt(0)
	v_cmp_neq_f64_e32 vcc, 0, v[156:157]
	v_cmp_neq_f64_e64 s[2:3], 0, v[158:159]
	s_or_b64 s[2:3], vcc, s[2:3]
	s_and_b64 exec, exec, s[2:3]
	s_cbranch_execz .LBB77_143
; %bb.138:
	v_cmp_ngt_f64_e64 s[2:3], |v[156:157]|, |v[158:159]|
                                        ; implicit-def: $vgpr160_vgpr161
	s_and_saveexec_b64 s[10:11], s[2:3]
	s_xor_b64 s[2:3], exec, s[10:11]
                                        ; implicit-def: $vgpr162_vgpr163
	s_cbranch_execz .LBB77_140
; %bb.139:
	v_div_scale_f64 v[160:161], s[10:11], v[158:159], v[158:159], v[156:157]
	v_rcp_f64_e32 v[162:163], v[160:161]
	v_div_scale_f64 v[164:165], vcc, v[156:157], v[158:159], v[156:157]
	v_fma_f64 v[166:167], -v[160:161], v[162:163], 1.0
	v_fmac_f64_e32 v[162:163], v[162:163], v[166:167]
	v_fma_f64 v[166:167], -v[160:161], v[162:163], 1.0
	v_fmac_f64_e32 v[162:163], v[162:163], v[166:167]
	v_mul_f64 v[166:167], v[164:165], v[162:163]
	v_fma_f64 v[160:161], -v[160:161], v[166:167], v[164:165]
	v_div_fmas_f64 v[160:161], v[160:161], v[162:163], v[166:167]
	v_div_fixup_f64 v[160:161], v[160:161], v[158:159], v[156:157]
	v_fmac_f64_e32 v[158:159], v[156:157], v[160:161]
	v_div_scale_f64 v[156:157], s[10:11], v[158:159], v[158:159], 1.0
	v_rcp_f64_e32 v[162:163], v[156:157]
	s_nop 0
	v_fma_f64 v[164:165], -v[156:157], v[162:163], 1.0
	v_fmac_f64_e32 v[162:163], v[162:163], v[164:165]
	v_fma_f64 v[164:165], -v[156:157], v[162:163], 1.0
	v_fmac_f64_e32 v[162:163], v[162:163], v[164:165]
	v_div_scale_f64 v[164:165], vcc, 1.0, v[158:159], 1.0
	v_mul_f64 v[166:167], v[164:165], v[162:163]
	v_fma_f64 v[156:157], -v[156:157], v[166:167], v[164:165]
	s_nop 1
	v_div_fmas_f64 v[156:157], v[156:157], v[162:163], v[166:167]
	v_div_fixup_f64 v[162:163], v[156:157], v[158:159], 1.0
	v_mul_f64 v[160:161], v[160:161], v[162:163]
	v_xor_b32_e32 v163, 0x80000000, v163
                                        ; implicit-def: $vgpr156_vgpr157
.LBB77_140:
	s_andn2_saveexec_b64 s[2:3], s[2:3]
	s_cbranch_execz .LBB77_142
; %bb.141:
	v_div_scale_f64 v[160:161], s[10:11], v[156:157], v[156:157], v[158:159]
	v_rcp_f64_e32 v[162:163], v[160:161]
	v_div_scale_f64 v[164:165], vcc, v[158:159], v[156:157], v[158:159]
	v_fma_f64 v[166:167], -v[160:161], v[162:163], 1.0
	v_fmac_f64_e32 v[162:163], v[162:163], v[166:167]
	v_fma_f64 v[166:167], -v[160:161], v[162:163], 1.0
	v_fmac_f64_e32 v[162:163], v[162:163], v[166:167]
	v_mul_f64 v[166:167], v[164:165], v[162:163]
	v_fma_f64 v[160:161], -v[160:161], v[166:167], v[164:165]
	v_div_fmas_f64 v[160:161], v[160:161], v[162:163], v[166:167]
	v_div_fixup_f64 v[162:163], v[160:161], v[156:157], v[158:159]
	v_fmac_f64_e32 v[156:157], v[158:159], v[162:163]
	v_div_scale_f64 v[158:159], s[10:11], v[156:157], v[156:157], 1.0
	v_rcp_f64_e32 v[160:161], v[158:159]
	s_nop 0
	v_fma_f64 v[164:165], -v[158:159], v[160:161], 1.0
	v_fmac_f64_e32 v[160:161], v[160:161], v[164:165]
	v_fma_f64 v[164:165], -v[158:159], v[160:161], 1.0
	v_fmac_f64_e32 v[160:161], v[160:161], v[164:165]
	v_div_scale_f64 v[164:165], vcc, 1.0, v[156:157], 1.0
	v_mul_f64 v[166:167], v[164:165], v[160:161]
	v_fma_f64 v[158:159], -v[158:159], v[166:167], v[164:165]
	s_nop 1
	v_div_fmas_f64 v[158:159], v[158:159], v[160:161], v[166:167]
	v_div_fixup_f64 v[160:161], v[158:159], v[156:157], 1.0
	v_mul_f64 v[162:163], v[162:163], -v[160:161]
.LBB77_142:
	s_or_b64 exec, exec, s[2:3]
	ds_write2_b64 v215, v[160:161], v[162:163] offset1:1
.LBB77_143:
	s_or_b64 exec, exec, s[4:5]
	s_waitcnt lgkmcnt(0)
	s_barrier
	ds_read2_b64 v[156:159], v215 offset1:1
	v_cmp_lt_u32_e32 vcc, 15, v214
	s_waitcnt lgkmcnt(0)
	scratch_store_dwordx4 off, v[156:159], off offset:432 ; 16-byte Folded Spill
	s_and_saveexec_b64 s[2:3], vcc
	s_cbranch_execz .LBB77_145
; %bb.144:
	scratch_load_dwordx4 v[158:161], off, off offset:432 ; 16-byte Folded Reload
	s_waitcnt vmcnt(0)
	v_mul_f64 v[156:157], v[160:161], v[90:91]
	v_mul_f64 v[90:91], v[158:159], v[90:91]
	v_fma_f64 v[156:157], v[158:159], v[88:89], -v[156:157]
	v_fmac_f64_e32 v[90:91], v[160:161], v[88:89]
	ds_read2_b64 v[158:161], v212 offset0:32 offset1:33
	s_waitcnt lgkmcnt(0)
	v_mul_f64 v[88:89], v[160:161], v[90:91]
	v_fma_f64 v[88:89], v[158:159], v[156:157], -v[88:89]
	v_mul_f64 v[158:159], v[158:159], v[90:91]
	v_fmac_f64_e32 v[158:159], v[160:161], v[156:157]
	v_add_f64 v[86:87], v[86:87], -v[158:159]
	ds_read2_b64 v[158:161], v212 offset0:34 offset1:35
	v_add_f64 v[84:85], v[84:85], -v[88:89]
	s_waitcnt lgkmcnt(0)
	v_mul_f64 v[88:89], v[160:161], v[90:91]
	v_fma_f64 v[88:89], v[158:159], v[156:157], -v[88:89]
	v_mul_f64 v[158:159], v[158:159], v[90:91]
	v_fmac_f64_e32 v[158:159], v[160:161], v[156:157]
	v_add_f64 v[82:83], v[82:83], -v[158:159]
	ds_read2_b64 v[158:161], v212 offset0:36 offset1:37
	v_add_f64 v[80:81], v[80:81], -v[88:89]
	;; [unrolled: 8-line block ×22, first 2 shown]
	s_waitcnt lgkmcnt(0)
	v_mul_f64 v[88:89], v[160:161], v[90:91]
	v_fma_f64 v[88:89], v[158:159], v[156:157], -v[88:89]
	v_mul_f64 v[158:159], v[158:159], v[90:91]
	v_fmac_f64_e32 v[158:159], v[160:161], v[156:157]
	v_add_f64 v[152:153], v[152:153], -v[88:89]
	v_add_f64 v[154:155], v[154:155], -v[158:159]
	v_mov_b64_e32 v[88:89], v[156:157]
.LBB77_145:
	s_or_b64 exec, exec, s[2:3]
	v_cmp_eq_u32_e32 vcc, 16, v214
	s_waitcnt vmcnt(63) expcnt(7) lgkmcnt(15)
	s_barrier
	s_and_saveexec_b64 s[4:5], vcc
	s_cbranch_execz .LBB77_152
; %bb.146:
	s_waitcnt vmcnt(57)
	ds_write2_b64 v215, v[84:85], v[86:87] offset1:1
	s_waitcnt vmcnt(56)
	ds_write2_b64 v212, v[80:81], v[82:83] offset0:34 offset1:35
	s_waitcnt vmcnt(55)
	ds_write2_b64 v212, v[76:77], v[78:79] offset0:36 offset1:37
	;; [unrolled: 2-line block ×15, first 2 shown]
	ds_write2_b64 v212, v[20:21], v[22:23] offset0:64 offset1:65
	s_waitcnt vmcnt(26)
	ds_write2_b64 v212, v[16:17], v[18:19] offset0:66 offset1:67
	s_waitcnt vmcnt(25)
	;; [unrolled: 2-line block ×4, first 2 shown]
	ds_write2_b64 v212, v[4:5], v[6:7] offset0:72 offset1:73
	ds_write2_b64 v212, v[0:1], v[2:3] offset0:74 offset1:75
	s_waitcnt vmcnt(21)
	ds_write2_b64 v212, v[152:153], v[154:155] offset0:76 offset1:77
	ds_read2_b64 v[156:159], v215 offset1:1
	s_waitcnt lgkmcnt(0)
	v_cmp_neq_f64_e32 vcc, 0, v[156:157]
	v_cmp_neq_f64_e64 s[2:3], 0, v[158:159]
	s_or_b64 s[2:3], vcc, s[2:3]
	s_and_b64 exec, exec, s[2:3]
	s_cbranch_execz .LBB77_152
; %bb.147:
	v_cmp_ngt_f64_e64 s[2:3], |v[156:157]|, |v[158:159]|
                                        ; implicit-def: $vgpr160_vgpr161
	s_and_saveexec_b64 s[10:11], s[2:3]
	s_xor_b64 s[2:3], exec, s[10:11]
                                        ; implicit-def: $vgpr162_vgpr163
	s_cbranch_execz .LBB77_149
; %bb.148:
	v_div_scale_f64 v[160:161], s[10:11], v[158:159], v[158:159], v[156:157]
	v_rcp_f64_e32 v[162:163], v[160:161]
	v_div_scale_f64 v[164:165], vcc, v[156:157], v[158:159], v[156:157]
	v_fma_f64 v[166:167], -v[160:161], v[162:163], 1.0
	v_fmac_f64_e32 v[162:163], v[162:163], v[166:167]
	v_fma_f64 v[166:167], -v[160:161], v[162:163], 1.0
	v_fmac_f64_e32 v[162:163], v[162:163], v[166:167]
	v_mul_f64 v[166:167], v[164:165], v[162:163]
	v_fma_f64 v[160:161], -v[160:161], v[166:167], v[164:165]
	v_div_fmas_f64 v[160:161], v[160:161], v[162:163], v[166:167]
	v_div_fixup_f64 v[160:161], v[160:161], v[158:159], v[156:157]
	v_fmac_f64_e32 v[158:159], v[156:157], v[160:161]
	v_div_scale_f64 v[156:157], s[10:11], v[158:159], v[158:159], 1.0
	v_rcp_f64_e32 v[162:163], v[156:157]
	s_nop 0
	v_fma_f64 v[164:165], -v[156:157], v[162:163], 1.0
	v_fmac_f64_e32 v[162:163], v[162:163], v[164:165]
	v_fma_f64 v[164:165], -v[156:157], v[162:163], 1.0
	v_fmac_f64_e32 v[162:163], v[162:163], v[164:165]
	v_div_scale_f64 v[164:165], vcc, 1.0, v[158:159], 1.0
	v_mul_f64 v[166:167], v[164:165], v[162:163]
	v_fma_f64 v[156:157], -v[156:157], v[166:167], v[164:165]
	s_nop 1
	v_div_fmas_f64 v[156:157], v[156:157], v[162:163], v[166:167]
	v_div_fixup_f64 v[162:163], v[156:157], v[158:159], 1.0
	v_mul_f64 v[160:161], v[160:161], v[162:163]
	v_xor_b32_e32 v163, 0x80000000, v163
                                        ; implicit-def: $vgpr156_vgpr157
.LBB77_149:
	s_andn2_saveexec_b64 s[2:3], s[2:3]
	s_cbranch_execz .LBB77_151
; %bb.150:
	v_div_scale_f64 v[160:161], s[10:11], v[156:157], v[156:157], v[158:159]
	v_rcp_f64_e32 v[162:163], v[160:161]
	v_div_scale_f64 v[164:165], vcc, v[158:159], v[156:157], v[158:159]
	v_fma_f64 v[166:167], -v[160:161], v[162:163], 1.0
	v_fmac_f64_e32 v[162:163], v[162:163], v[166:167]
	v_fma_f64 v[166:167], -v[160:161], v[162:163], 1.0
	v_fmac_f64_e32 v[162:163], v[162:163], v[166:167]
	v_mul_f64 v[166:167], v[164:165], v[162:163]
	v_fma_f64 v[160:161], -v[160:161], v[166:167], v[164:165]
	v_div_fmas_f64 v[160:161], v[160:161], v[162:163], v[166:167]
	v_div_fixup_f64 v[162:163], v[160:161], v[156:157], v[158:159]
	v_fmac_f64_e32 v[156:157], v[158:159], v[162:163]
	v_div_scale_f64 v[158:159], s[10:11], v[156:157], v[156:157], 1.0
	v_rcp_f64_e32 v[160:161], v[158:159]
	s_nop 0
	v_fma_f64 v[164:165], -v[158:159], v[160:161], 1.0
	v_fmac_f64_e32 v[160:161], v[160:161], v[164:165]
	v_fma_f64 v[164:165], -v[158:159], v[160:161], 1.0
	v_fmac_f64_e32 v[160:161], v[160:161], v[164:165]
	v_div_scale_f64 v[164:165], vcc, 1.0, v[156:157], 1.0
	v_mul_f64 v[166:167], v[164:165], v[160:161]
	v_fma_f64 v[158:159], -v[158:159], v[166:167], v[164:165]
	s_nop 1
	v_div_fmas_f64 v[158:159], v[158:159], v[160:161], v[166:167]
	v_div_fixup_f64 v[160:161], v[158:159], v[156:157], 1.0
	v_mul_f64 v[162:163], v[162:163], -v[160:161]
.LBB77_151:
	s_or_b64 exec, exec, s[2:3]
	ds_write2_b64 v215, v[160:161], v[162:163] offset1:1
.LBB77_152:
	s_or_b64 exec, exec, s[4:5]
	s_waitcnt lgkmcnt(0)
	s_barrier
	ds_read2_b64 v[156:159], v215 offset1:1
	v_cmp_lt_u32_e32 vcc, 16, v214
	s_waitcnt lgkmcnt(0)
	scratch_store_dwordx4 off, v[156:159], off offset:448 ; 16-byte Folded Spill
	s_and_saveexec_b64 s[2:3], vcc
	s_cbranch_execz .LBB77_154
; %bb.153:
	scratch_load_dwordx4 v[158:161], off, off offset:448 ; 16-byte Folded Reload
	s_waitcnt vmcnt(0)
	v_mul_f64 v[156:157], v[160:161], v[86:87]
	v_mul_f64 v[86:87], v[158:159], v[86:87]
	v_fma_f64 v[156:157], v[158:159], v[84:85], -v[156:157]
	v_fmac_f64_e32 v[86:87], v[160:161], v[84:85]
	ds_read2_b64 v[158:161], v212 offset0:34 offset1:35
	s_waitcnt lgkmcnt(0)
	v_mul_f64 v[84:85], v[160:161], v[86:87]
	v_fma_f64 v[84:85], v[158:159], v[156:157], -v[84:85]
	v_mul_f64 v[158:159], v[158:159], v[86:87]
	v_fmac_f64_e32 v[158:159], v[160:161], v[156:157]
	v_add_f64 v[82:83], v[82:83], -v[158:159]
	ds_read2_b64 v[158:161], v212 offset0:36 offset1:37
	v_add_f64 v[80:81], v[80:81], -v[84:85]
	s_waitcnt lgkmcnt(0)
	v_mul_f64 v[84:85], v[160:161], v[86:87]
	v_fma_f64 v[84:85], v[158:159], v[156:157], -v[84:85]
	v_mul_f64 v[158:159], v[158:159], v[86:87]
	v_fmac_f64_e32 v[158:159], v[160:161], v[156:157]
	v_add_f64 v[78:79], v[78:79], -v[158:159]
	ds_read2_b64 v[158:161], v212 offset0:38 offset1:39
	v_add_f64 v[76:77], v[76:77], -v[84:85]
	;; [unrolled: 8-line block ×21, first 2 shown]
	s_waitcnt lgkmcnt(0)
	v_mul_f64 v[84:85], v[160:161], v[86:87]
	v_fma_f64 v[84:85], v[158:159], v[156:157], -v[84:85]
	v_mul_f64 v[158:159], v[158:159], v[86:87]
	v_fmac_f64_e32 v[158:159], v[160:161], v[156:157]
	v_add_f64 v[152:153], v[152:153], -v[84:85]
	v_add_f64 v[154:155], v[154:155], -v[158:159]
	v_mov_b64_e32 v[84:85], v[156:157]
.LBB77_154:
	s_or_b64 exec, exec, s[2:3]
	v_cmp_eq_u32_e32 vcc, 17, v214
	s_waitcnt vmcnt(63) expcnt(7) lgkmcnt(15)
	s_barrier
	s_and_saveexec_b64 s[4:5], vcc
	s_cbranch_execz .LBB77_161
; %bb.155:
	s_waitcnt vmcnt(57)
	ds_write2_b64 v215, v[80:81], v[82:83] offset1:1
	s_waitcnt vmcnt(56)
	ds_write2_b64 v212, v[76:77], v[78:79] offset0:36 offset1:37
	s_waitcnt vmcnt(55)
	ds_write2_b64 v212, v[72:73], v[74:75] offset0:38 offset1:39
	s_waitcnt vmcnt(54)
	ds_write2_b64 v212, v[68:69], v[70:71] offset0:40 offset1:41
	s_waitcnt vmcnt(53)
	ds_write2_b64 v212, v[64:65], v[66:67] offset0:42 offset1:43
	s_waitcnt vmcnt(52)
	ds_write2_b64 v212, v[60:61], v[62:63] offset0:44 offset1:45
	s_waitcnt vmcnt(51)
	ds_write2_b64 v212, v[56:57], v[58:59] offset0:46 offset1:47
	s_waitcnt vmcnt(50)
	ds_write2_b64 v212, v[52:53], v[54:55] offset0:48 offset1:49
	s_waitcnt vmcnt(49)
	ds_write2_b64 v212, v[48:49], v[50:51] offset0:50 offset1:51
	s_waitcnt vmcnt(48)
	ds_write2_b64 v212, v[44:45], v[46:47] offset0:52 offset1:53
	s_waitcnt vmcnt(47)
	ds_write2_b64 v212, v[40:41], v[42:43] offset0:54 offset1:55
	s_waitcnt vmcnt(46)
	ds_write2_b64 v212, v[36:37], v[38:39] offset0:56 offset1:57
	s_waitcnt vmcnt(45)
	ds_write2_b64 v212, v[32:33], v[34:35] offset0:58 offset1:59
	s_waitcnt vmcnt(44)
	ds_write2_b64 v212, v[28:29], v[30:31] offset0:60 offset1:61
	s_waitcnt vmcnt(28)
	ds_write2_b64 v212, v[24:25], v[26:27] offset0:62 offset1:63
	ds_write2_b64 v212, v[20:21], v[22:23] offset0:64 offset1:65
	s_waitcnt vmcnt(27)
	ds_write2_b64 v212, v[16:17], v[18:19] offset0:66 offset1:67
	s_waitcnt vmcnt(26)
	;; [unrolled: 2-line block ×4, first 2 shown]
	ds_write2_b64 v212, v[4:5], v[6:7] offset0:72 offset1:73
	ds_write2_b64 v212, v[0:1], v[2:3] offset0:74 offset1:75
	s_waitcnt vmcnt(22)
	ds_write2_b64 v212, v[152:153], v[154:155] offset0:76 offset1:77
	ds_read2_b64 v[156:159], v215 offset1:1
	s_waitcnt lgkmcnt(0)
	v_cmp_neq_f64_e32 vcc, 0, v[156:157]
	v_cmp_neq_f64_e64 s[2:3], 0, v[158:159]
	s_or_b64 s[2:3], vcc, s[2:3]
	s_and_b64 exec, exec, s[2:3]
	s_cbranch_execz .LBB77_161
; %bb.156:
	v_cmp_ngt_f64_e64 s[2:3], |v[156:157]|, |v[158:159]|
                                        ; implicit-def: $vgpr160_vgpr161
	s_and_saveexec_b64 s[10:11], s[2:3]
	s_xor_b64 s[2:3], exec, s[10:11]
                                        ; implicit-def: $vgpr162_vgpr163
	s_cbranch_execz .LBB77_158
; %bb.157:
	v_div_scale_f64 v[160:161], s[10:11], v[158:159], v[158:159], v[156:157]
	v_rcp_f64_e32 v[162:163], v[160:161]
	v_div_scale_f64 v[164:165], vcc, v[156:157], v[158:159], v[156:157]
	v_fma_f64 v[166:167], -v[160:161], v[162:163], 1.0
	v_fmac_f64_e32 v[162:163], v[162:163], v[166:167]
	v_fma_f64 v[166:167], -v[160:161], v[162:163], 1.0
	v_fmac_f64_e32 v[162:163], v[162:163], v[166:167]
	v_mul_f64 v[166:167], v[164:165], v[162:163]
	v_fma_f64 v[160:161], -v[160:161], v[166:167], v[164:165]
	v_div_fmas_f64 v[160:161], v[160:161], v[162:163], v[166:167]
	v_div_fixup_f64 v[160:161], v[160:161], v[158:159], v[156:157]
	v_fmac_f64_e32 v[158:159], v[156:157], v[160:161]
	v_div_scale_f64 v[156:157], s[10:11], v[158:159], v[158:159], 1.0
	v_rcp_f64_e32 v[162:163], v[156:157]
	s_nop 0
	v_fma_f64 v[164:165], -v[156:157], v[162:163], 1.0
	v_fmac_f64_e32 v[162:163], v[162:163], v[164:165]
	v_fma_f64 v[164:165], -v[156:157], v[162:163], 1.0
	v_fmac_f64_e32 v[162:163], v[162:163], v[164:165]
	v_div_scale_f64 v[164:165], vcc, 1.0, v[158:159], 1.0
	v_mul_f64 v[166:167], v[164:165], v[162:163]
	v_fma_f64 v[156:157], -v[156:157], v[166:167], v[164:165]
	s_nop 1
	v_div_fmas_f64 v[156:157], v[156:157], v[162:163], v[166:167]
	v_div_fixup_f64 v[162:163], v[156:157], v[158:159], 1.0
	v_mul_f64 v[160:161], v[160:161], v[162:163]
	v_xor_b32_e32 v163, 0x80000000, v163
                                        ; implicit-def: $vgpr156_vgpr157
.LBB77_158:
	s_andn2_saveexec_b64 s[2:3], s[2:3]
	s_cbranch_execz .LBB77_160
; %bb.159:
	v_div_scale_f64 v[160:161], s[10:11], v[156:157], v[156:157], v[158:159]
	v_rcp_f64_e32 v[162:163], v[160:161]
	v_div_scale_f64 v[164:165], vcc, v[158:159], v[156:157], v[158:159]
	v_fma_f64 v[166:167], -v[160:161], v[162:163], 1.0
	v_fmac_f64_e32 v[162:163], v[162:163], v[166:167]
	v_fma_f64 v[166:167], -v[160:161], v[162:163], 1.0
	v_fmac_f64_e32 v[162:163], v[162:163], v[166:167]
	v_mul_f64 v[166:167], v[164:165], v[162:163]
	v_fma_f64 v[160:161], -v[160:161], v[166:167], v[164:165]
	v_div_fmas_f64 v[160:161], v[160:161], v[162:163], v[166:167]
	v_div_fixup_f64 v[162:163], v[160:161], v[156:157], v[158:159]
	v_fmac_f64_e32 v[156:157], v[158:159], v[162:163]
	v_div_scale_f64 v[158:159], s[10:11], v[156:157], v[156:157], 1.0
	v_rcp_f64_e32 v[160:161], v[158:159]
	s_nop 0
	v_fma_f64 v[164:165], -v[158:159], v[160:161], 1.0
	v_fmac_f64_e32 v[160:161], v[160:161], v[164:165]
	v_fma_f64 v[164:165], -v[158:159], v[160:161], 1.0
	v_fmac_f64_e32 v[160:161], v[160:161], v[164:165]
	v_div_scale_f64 v[164:165], vcc, 1.0, v[156:157], 1.0
	v_mul_f64 v[166:167], v[164:165], v[160:161]
	v_fma_f64 v[158:159], -v[158:159], v[166:167], v[164:165]
	s_nop 1
	v_div_fmas_f64 v[158:159], v[158:159], v[160:161], v[166:167]
	v_div_fixup_f64 v[160:161], v[158:159], v[156:157], 1.0
	v_mul_f64 v[162:163], v[162:163], -v[160:161]
.LBB77_160:
	s_or_b64 exec, exec, s[2:3]
	ds_write2_b64 v215, v[160:161], v[162:163] offset1:1
.LBB77_161:
	s_or_b64 exec, exec, s[4:5]
	s_waitcnt lgkmcnt(0)
	s_barrier
	ds_read2_b64 v[156:159], v215 offset1:1
	v_cmp_lt_u32_e32 vcc, 17, v214
	s_waitcnt lgkmcnt(0)
	scratch_store_dwordx4 off, v[156:159], off offset:464 ; 16-byte Folded Spill
	s_and_saveexec_b64 s[2:3], vcc
	s_cbranch_execz .LBB77_163
; %bb.162:
	scratch_load_dwordx4 v[158:161], off, off offset:464 ; 16-byte Folded Reload
	s_waitcnt vmcnt(0)
	v_mul_f64 v[156:157], v[160:161], v[82:83]
	v_mul_f64 v[82:83], v[158:159], v[82:83]
	v_fma_f64 v[156:157], v[158:159], v[80:81], -v[156:157]
	v_fmac_f64_e32 v[82:83], v[160:161], v[80:81]
	ds_read2_b64 v[158:161], v212 offset0:36 offset1:37
	s_waitcnt lgkmcnt(0)
	v_mul_f64 v[80:81], v[160:161], v[82:83]
	v_fma_f64 v[80:81], v[158:159], v[156:157], -v[80:81]
	v_mul_f64 v[158:159], v[158:159], v[82:83]
	v_fmac_f64_e32 v[158:159], v[160:161], v[156:157]
	v_add_f64 v[78:79], v[78:79], -v[158:159]
	ds_read2_b64 v[158:161], v212 offset0:38 offset1:39
	v_add_f64 v[76:77], v[76:77], -v[80:81]
	s_waitcnt lgkmcnt(0)
	v_mul_f64 v[80:81], v[160:161], v[82:83]
	v_fma_f64 v[80:81], v[158:159], v[156:157], -v[80:81]
	v_mul_f64 v[158:159], v[158:159], v[82:83]
	v_fmac_f64_e32 v[158:159], v[160:161], v[156:157]
	v_add_f64 v[74:75], v[74:75], -v[158:159]
	ds_read2_b64 v[158:161], v212 offset0:40 offset1:41
	v_add_f64 v[72:73], v[72:73], -v[80:81]
	;; [unrolled: 8-line block ×20, first 2 shown]
	s_waitcnt lgkmcnt(0)
	v_mul_f64 v[80:81], v[160:161], v[82:83]
	v_fma_f64 v[80:81], v[158:159], v[156:157], -v[80:81]
	v_mul_f64 v[158:159], v[158:159], v[82:83]
	v_fmac_f64_e32 v[158:159], v[160:161], v[156:157]
	v_add_f64 v[152:153], v[152:153], -v[80:81]
	v_add_f64 v[154:155], v[154:155], -v[158:159]
	v_mov_b64_e32 v[80:81], v[156:157]
.LBB77_163:
	s_or_b64 exec, exec, s[2:3]
	v_cmp_eq_u32_e32 vcc, 18, v214
	s_waitcnt vmcnt(63) expcnt(7) lgkmcnt(15)
	s_barrier
	s_and_saveexec_b64 s[4:5], vcc
	s_cbranch_execz .LBB77_170
; %bb.164:
	s_waitcnt vmcnt(57)
	ds_write2_b64 v215, v[76:77], v[78:79] offset1:1
	s_waitcnt vmcnt(56)
	ds_write2_b64 v212, v[72:73], v[74:75] offset0:38 offset1:39
	s_waitcnt vmcnt(55)
	ds_write2_b64 v212, v[68:69], v[70:71] offset0:40 offset1:41
	;; [unrolled: 2-line block ×13, first 2 shown]
	ds_write2_b64 v212, v[20:21], v[22:23] offset0:64 offset1:65
	s_waitcnt vmcnt(28)
	ds_write2_b64 v212, v[16:17], v[18:19] offset0:66 offset1:67
	s_waitcnt vmcnt(27)
	;; [unrolled: 2-line block ×4, first 2 shown]
	ds_write2_b64 v212, v[4:5], v[6:7] offset0:72 offset1:73
	ds_write2_b64 v212, v[0:1], v[2:3] offset0:74 offset1:75
	s_waitcnt vmcnt(23)
	ds_write2_b64 v212, v[152:153], v[154:155] offset0:76 offset1:77
	ds_read2_b64 v[156:159], v215 offset1:1
	s_waitcnt lgkmcnt(0)
	v_cmp_neq_f64_e32 vcc, 0, v[156:157]
	v_cmp_neq_f64_e64 s[2:3], 0, v[158:159]
	s_or_b64 s[2:3], vcc, s[2:3]
	s_and_b64 exec, exec, s[2:3]
	s_cbranch_execz .LBB77_170
; %bb.165:
	v_cmp_ngt_f64_e64 s[2:3], |v[156:157]|, |v[158:159]|
                                        ; implicit-def: $vgpr160_vgpr161
	s_and_saveexec_b64 s[10:11], s[2:3]
	s_xor_b64 s[2:3], exec, s[10:11]
                                        ; implicit-def: $vgpr162_vgpr163
	s_cbranch_execz .LBB77_167
; %bb.166:
	v_div_scale_f64 v[160:161], s[10:11], v[158:159], v[158:159], v[156:157]
	v_rcp_f64_e32 v[162:163], v[160:161]
	v_div_scale_f64 v[164:165], vcc, v[156:157], v[158:159], v[156:157]
	v_fma_f64 v[166:167], -v[160:161], v[162:163], 1.0
	v_fmac_f64_e32 v[162:163], v[162:163], v[166:167]
	v_fma_f64 v[166:167], -v[160:161], v[162:163], 1.0
	v_fmac_f64_e32 v[162:163], v[162:163], v[166:167]
	v_mul_f64 v[166:167], v[164:165], v[162:163]
	v_fma_f64 v[160:161], -v[160:161], v[166:167], v[164:165]
	v_div_fmas_f64 v[160:161], v[160:161], v[162:163], v[166:167]
	v_div_fixup_f64 v[160:161], v[160:161], v[158:159], v[156:157]
	v_fmac_f64_e32 v[158:159], v[156:157], v[160:161]
	v_div_scale_f64 v[156:157], s[10:11], v[158:159], v[158:159], 1.0
	v_rcp_f64_e32 v[162:163], v[156:157]
	s_nop 0
	v_fma_f64 v[164:165], -v[156:157], v[162:163], 1.0
	v_fmac_f64_e32 v[162:163], v[162:163], v[164:165]
	v_fma_f64 v[164:165], -v[156:157], v[162:163], 1.0
	v_fmac_f64_e32 v[162:163], v[162:163], v[164:165]
	v_div_scale_f64 v[164:165], vcc, 1.0, v[158:159], 1.0
	v_mul_f64 v[166:167], v[164:165], v[162:163]
	v_fma_f64 v[156:157], -v[156:157], v[166:167], v[164:165]
	s_nop 1
	v_div_fmas_f64 v[156:157], v[156:157], v[162:163], v[166:167]
	v_div_fixup_f64 v[162:163], v[156:157], v[158:159], 1.0
	v_mul_f64 v[160:161], v[160:161], v[162:163]
	v_xor_b32_e32 v163, 0x80000000, v163
                                        ; implicit-def: $vgpr156_vgpr157
.LBB77_167:
	s_andn2_saveexec_b64 s[2:3], s[2:3]
	s_cbranch_execz .LBB77_169
; %bb.168:
	v_div_scale_f64 v[160:161], s[10:11], v[156:157], v[156:157], v[158:159]
	v_rcp_f64_e32 v[162:163], v[160:161]
	v_div_scale_f64 v[164:165], vcc, v[158:159], v[156:157], v[158:159]
	v_fma_f64 v[166:167], -v[160:161], v[162:163], 1.0
	v_fmac_f64_e32 v[162:163], v[162:163], v[166:167]
	v_fma_f64 v[166:167], -v[160:161], v[162:163], 1.0
	v_fmac_f64_e32 v[162:163], v[162:163], v[166:167]
	v_mul_f64 v[166:167], v[164:165], v[162:163]
	v_fma_f64 v[160:161], -v[160:161], v[166:167], v[164:165]
	v_div_fmas_f64 v[160:161], v[160:161], v[162:163], v[166:167]
	v_div_fixup_f64 v[162:163], v[160:161], v[156:157], v[158:159]
	v_fmac_f64_e32 v[156:157], v[158:159], v[162:163]
	v_div_scale_f64 v[158:159], s[10:11], v[156:157], v[156:157], 1.0
	v_rcp_f64_e32 v[160:161], v[158:159]
	s_nop 0
	v_fma_f64 v[164:165], -v[158:159], v[160:161], 1.0
	v_fmac_f64_e32 v[160:161], v[160:161], v[164:165]
	v_fma_f64 v[164:165], -v[158:159], v[160:161], 1.0
	v_fmac_f64_e32 v[160:161], v[160:161], v[164:165]
	v_div_scale_f64 v[164:165], vcc, 1.0, v[156:157], 1.0
	v_mul_f64 v[166:167], v[164:165], v[160:161]
	v_fma_f64 v[158:159], -v[158:159], v[166:167], v[164:165]
	s_nop 1
	v_div_fmas_f64 v[158:159], v[158:159], v[160:161], v[166:167]
	v_div_fixup_f64 v[160:161], v[158:159], v[156:157], 1.0
	v_mul_f64 v[162:163], v[162:163], -v[160:161]
.LBB77_169:
	s_or_b64 exec, exec, s[2:3]
	ds_write2_b64 v215, v[160:161], v[162:163] offset1:1
.LBB77_170:
	s_or_b64 exec, exec, s[4:5]
	s_waitcnt lgkmcnt(0)
	s_barrier
	ds_read2_b64 v[156:159], v215 offset1:1
	v_cmp_lt_u32_e32 vcc, 18, v214
	s_waitcnt lgkmcnt(0)
	scratch_store_dwordx4 off, v[156:159], off offset:480 ; 16-byte Folded Spill
	s_and_saveexec_b64 s[2:3], vcc
	s_cbranch_execz .LBB77_172
; %bb.171:
	scratch_load_dwordx4 v[158:161], off, off offset:480 ; 16-byte Folded Reload
	s_waitcnt vmcnt(0)
	v_mul_f64 v[156:157], v[160:161], v[78:79]
	v_mul_f64 v[78:79], v[158:159], v[78:79]
	v_fma_f64 v[156:157], v[158:159], v[76:77], -v[156:157]
	v_fmac_f64_e32 v[78:79], v[160:161], v[76:77]
	ds_read2_b64 v[158:161], v212 offset0:38 offset1:39
	s_waitcnt lgkmcnt(0)
	v_mul_f64 v[76:77], v[160:161], v[78:79]
	v_fma_f64 v[76:77], v[158:159], v[156:157], -v[76:77]
	v_mul_f64 v[158:159], v[158:159], v[78:79]
	v_fmac_f64_e32 v[158:159], v[160:161], v[156:157]
	v_add_f64 v[74:75], v[74:75], -v[158:159]
	ds_read2_b64 v[158:161], v212 offset0:40 offset1:41
	v_add_f64 v[72:73], v[72:73], -v[76:77]
	s_waitcnt lgkmcnt(0)
	v_mul_f64 v[76:77], v[160:161], v[78:79]
	v_fma_f64 v[76:77], v[158:159], v[156:157], -v[76:77]
	v_mul_f64 v[158:159], v[158:159], v[78:79]
	v_fmac_f64_e32 v[158:159], v[160:161], v[156:157]
	v_add_f64 v[70:71], v[70:71], -v[158:159]
	ds_read2_b64 v[158:161], v212 offset0:42 offset1:43
	v_add_f64 v[68:69], v[68:69], -v[76:77]
	;; [unrolled: 8-line block ×19, first 2 shown]
	s_waitcnt lgkmcnt(0)
	v_mul_f64 v[76:77], v[160:161], v[78:79]
	v_fma_f64 v[76:77], v[158:159], v[156:157], -v[76:77]
	v_mul_f64 v[158:159], v[158:159], v[78:79]
	v_fmac_f64_e32 v[158:159], v[160:161], v[156:157]
	v_add_f64 v[152:153], v[152:153], -v[76:77]
	v_add_f64 v[154:155], v[154:155], -v[158:159]
	v_mov_b64_e32 v[76:77], v[156:157]
.LBB77_172:
	s_or_b64 exec, exec, s[2:3]
	v_cmp_eq_u32_e32 vcc, 19, v214
	s_waitcnt vmcnt(63) expcnt(7) lgkmcnt(15)
	s_barrier
	s_and_saveexec_b64 s[4:5], vcc
	s_cbranch_execz .LBB77_179
; %bb.173:
	s_waitcnt vmcnt(57)
	ds_write2_b64 v215, v[72:73], v[74:75] offset1:1
	s_waitcnt vmcnt(56)
	ds_write2_b64 v212, v[68:69], v[70:71] offset0:40 offset1:41
	s_waitcnt vmcnt(55)
	ds_write2_b64 v212, v[64:65], v[66:67] offset0:42 offset1:43
	;; [unrolled: 2-line block ×12, first 2 shown]
	ds_write2_b64 v212, v[20:21], v[22:23] offset0:64 offset1:65
	s_waitcnt vmcnt(29)
	ds_write2_b64 v212, v[16:17], v[18:19] offset0:66 offset1:67
	s_waitcnt vmcnt(28)
	;; [unrolled: 2-line block ×4, first 2 shown]
	ds_write2_b64 v212, v[4:5], v[6:7] offset0:72 offset1:73
	ds_write2_b64 v212, v[0:1], v[2:3] offset0:74 offset1:75
	s_waitcnt vmcnt(24)
	ds_write2_b64 v212, v[152:153], v[154:155] offset0:76 offset1:77
	ds_read2_b64 v[156:159], v215 offset1:1
	s_waitcnt lgkmcnt(0)
	v_cmp_neq_f64_e32 vcc, 0, v[156:157]
	v_cmp_neq_f64_e64 s[2:3], 0, v[158:159]
	s_or_b64 s[2:3], vcc, s[2:3]
	s_and_b64 exec, exec, s[2:3]
	s_cbranch_execz .LBB77_179
; %bb.174:
	v_cmp_ngt_f64_e64 s[2:3], |v[156:157]|, |v[158:159]|
                                        ; implicit-def: $vgpr160_vgpr161
	s_and_saveexec_b64 s[10:11], s[2:3]
	s_xor_b64 s[2:3], exec, s[10:11]
                                        ; implicit-def: $vgpr162_vgpr163
	s_cbranch_execz .LBB77_176
; %bb.175:
	v_div_scale_f64 v[160:161], s[10:11], v[158:159], v[158:159], v[156:157]
	v_rcp_f64_e32 v[162:163], v[160:161]
	v_div_scale_f64 v[164:165], vcc, v[156:157], v[158:159], v[156:157]
	v_fma_f64 v[166:167], -v[160:161], v[162:163], 1.0
	v_fmac_f64_e32 v[162:163], v[162:163], v[166:167]
	v_fma_f64 v[166:167], -v[160:161], v[162:163], 1.0
	v_fmac_f64_e32 v[162:163], v[162:163], v[166:167]
	v_mul_f64 v[166:167], v[164:165], v[162:163]
	v_fma_f64 v[160:161], -v[160:161], v[166:167], v[164:165]
	v_div_fmas_f64 v[160:161], v[160:161], v[162:163], v[166:167]
	v_div_fixup_f64 v[160:161], v[160:161], v[158:159], v[156:157]
	v_fmac_f64_e32 v[158:159], v[156:157], v[160:161]
	v_div_scale_f64 v[156:157], s[10:11], v[158:159], v[158:159], 1.0
	v_rcp_f64_e32 v[162:163], v[156:157]
	s_nop 0
	v_fma_f64 v[164:165], -v[156:157], v[162:163], 1.0
	v_fmac_f64_e32 v[162:163], v[162:163], v[164:165]
	v_fma_f64 v[164:165], -v[156:157], v[162:163], 1.0
	v_fmac_f64_e32 v[162:163], v[162:163], v[164:165]
	v_div_scale_f64 v[164:165], vcc, 1.0, v[158:159], 1.0
	v_mul_f64 v[166:167], v[164:165], v[162:163]
	v_fma_f64 v[156:157], -v[156:157], v[166:167], v[164:165]
	s_nop 1
	v_div_fmas_f64 v[156:157], v[156:157], v[162:163], v[166:167]
	v_div_fixup_f64 v[162:163], v[156:157], v[158:159], 1.0
	v_mul_f64 v[160:161], v[160:161], v[162:163]
	v_xor_b32_e32 v163, 0x80000000, v163
                                        ; implicit-def: $vgpr156_vgpr157
.LBB77_176:
	s_andn2_saveexec_b64 s[2:3], s[2:3]
	s_cbranch_execz .LBB77_178
; %bb.177:
	v_div_scale_f64 v[160:161], s[10:11], v[156:157], v[156:157], v[158:159]
	v_rcp_f64_e32 v[162:163], v[160:161]
	v_div_scale_f64 v[164:165], vcc, v[158:159], v[156:157], v[158:159]
	v_fma_f64 v[166:167], -v[160:161], v[162:163], 1.0
	v_fmac_f64_e32 v[162:163], v[162:163], v[166:167]
	v_fma_f64 v[166:167], -v[160:161], v[162:163], 1.0
	v_fmac_f64_e32 v[162:163], v[162:163], v[166:167]
	v_mul_f64 v[166:167], v[164:165], v[162:163]
	v_fma_f64 v[160:161], -v[160:161], v[166:167], v[164:165]
	v_div_fmas_f64 v[160:161], v[160:161], v[162:163], v[166:167]
	v_div_fixup_f64 v[162:163], v[160:161], v[156:157], v[158:159]
	v_fmac_f64_e32 v[156:157], v[158:159], v[162:163]
	v_div_scale_f64 v[158:159], s[10:11], v[156:157], v[156:157], 1.0
	v_rcp_f64_e32 v[160:161], v[158:159]
	s_nop 0
	v_fma_f64 v[164:165], -v[158:159], v[160:161], 1.0
	v_fmac_f64_e32 v[160:161], v[160:161], v[164:165]
	v_fma_f64 v[164:165], -v[158:159], v[160:161], 1.0
	v_fmac_f64_e32 v[160:161], v[160:161], v[164:165]
	v_div_scale_f64 v[164:165], vcc, 1.0, v[156:157], 1.0
	v_mul_f64 v[166:167], v[164:165], v[160:161]
	v_fma_f64 v[158:159], -v[158:159], v[166:167], v[164:165]
	s_nop 1
	v_div_fmas_f64 v[158:159], v[158:159], v[160:161], v[166:167]
	v_div_fixup_f64 v[160:161], v[158:159], v[156:157], 1.0
	v_mul_f64 v[162:163], v[162:163], -v[160:161]
.LBB77_178:
	s_or_b64 exec, exec, s[2:3]
	ds_write2_b64 v215, v[160:161], v[162:163] offset1:1
.LBB77_179:
	s_or_b64 exec, exec, s[4:5]
	s_waitcnt lgkmcnt(0)
	s_barrier
	ds_read2_b64 v[156:159], v215 offset1:1
	v_cmp_lt_u32_e32 vcc, 19, v214
	s_waitcnt lgkmcnt(0)
	scratch_store_dwordx4 off, v[156:159], off offset:496 ; 16-byte Folded Spill
	s_and_saveexec_b64 s[2:3], vcc
	s_cbranch_execz .LBB77_181
; %bb.180:
	scratch_load_dwordx4 v[158:161], off, off offset:496 ; 16-byte Folded Reload
	s_waitcnt vmcnt(0)
	v_mul_f64 v[156:157], v[160:161], v[74:75]
	v_mul_f64 v[74:75], v[158:159], v[74:75]
	v_fma_f64 v[156:157], v[158:159], v[72:73], -v[156:157]
	v_fmac_f64_e32 v[74:75], v[160:161], v[72:73]
	ds_read2_b64 v[158:161], v212 offset0:40 offset1:41
	s_waitcnt lgkmcnt(0)
	v_mul_f64 v[72:73], v[160:161], v[74:75]
	v_fma_f64 v[72:73], v[158:159], v[156:157], -v[72:73]
	v_mul_f64 v[158:159], v[158:159], v[74:75]
	v_fmac_f64_e32 v[158:159], v[160:161], v[156:157]
	v_add_f64 v[70:71], v[70:71], -v[158:159]
	ds_read2_b64 v[158:161], v212 offset0:42 offset1:43
	v_add_f64 v[68:69], v[68:69], -v[72:73]
	s_waitcnt lgkmcnt(0)
	v_mul_f64 v[72:73], v[160:161], v[74:75]
	v_fma_f64 v[72:73], v[158:159], v[156:157], -v[72:73]
	v_mul_f64 v[158:159], v[158:159], v[74:75]
	v_fmac_f64_e32 v[158:159], v[160:161], v[156:157]
	v_add_f64 v[66:67], v[66:67], -v[158:159]
	ds_read2_b64 v[158:161], v212 offset0:44 offset1:45
	v_add_f64 v[64:65], v[64:65], -v[72:73]
	;; [unrolled: 8-line block ×18, first 2 shown]
	s_waitcnt lgkmcnt(0)
	v_mul_f64 v[72:73], v[160:161], v[74:75]
	v_fma_f64 v[72:73], v[158:159], v[156:157], -v[72:73]
	v_mul_f64 v[158:159], v[158:159], v[74:75]
	v_fmac_f64_e32 v[158:159], v[160:161], v[156:157]
	v_add_f64 v[152:153], v[152:153], -v[72:73]
	v_add_f64 v[154:155], v[154:155], -v[158:159]
	v_mov_b64_e32 v[72:73], v[156:157]
.LBB77_181:
	s_or_b64 exec, exec, s[2:3]
	v_cmp_eq_u32_e32 vcc, 20, v214
	s_waitcnt vmcnt(63) expcnt(7) lgkmcnt(15)
	s_barrier
	s_and_saveexec_b64 s[4:5], vcc
	s_cbranch_execz .LBB77_188
; %bb.182:
	s_waitcnt vmcnt(57)
	ds_write2_b64 v215, v[68:69], v[70:71] offset1:1
	s_waitcnt vmcnt(56)
	ds_write2_b64 v212, v[64:65], v[66:67] offset0:42 offset1:43
	s_waitcnt vmcnt(55)
	ds_write2_b64 v212, v[60:61], v[62:63] offset0:44 offset1:45
	;; [unrolled: 2-line block ×11, first 2 shown]
	ds_write2_b64 v212, v[20:21], v[22:23] offset0:64 offset1:65
	s_waitcnt vmcnt(30)
	ds_write2_b64 v212, v[16:17], v[18:19] offset0:66 offset1:67
	s_waitcnt vmcnt(29)
	;; [unrolled: 2-line block ×4, first 2 shown]
	ds_write2_b64 v212, v[4:5], v[6:7] offset0:72 offset1:73
	ds_write2_b64 v212, v[0:1], v[2:3] offset0:74 offset1:75
	s_waitcnt vmcnt(25)
	ds_write2_b64 v212, v[152:153], v[154:155] offset0:76 offset1:77
	ds_read2_b64 v[156:159], v215 offset1:1
	s_waitcnt lgkmcnt(0)
	v_cmp_neq_f64_e32 vcc, 0, v[156:157]
	v_cmp_neq_f64_e64 s[2:3], 0, v[158:159]
	s_or_b64 s[2:3], vcc, s[2:3]
	s_and_b64 exec, exec, s[2:3]
	s_cbranch_execz .LBB77_188
; %bb.183:
	v_cmp_ngt_f64_e64 s[2:3], |v[156:157]|, |v[158:159]|
                                        ; implicit-def: $vgpr160_vgpr161
	s_and_saveexec_b64 s[10:11], s[2:3]
	s_xor_b64 s[2:3], exec, s[10:11]
                                        ; implicit-def: $vgpr162_vgpr163
	s_cbranch_execz .LBB77_185
; %bb.184:
	v_div_scale_f64 v[160:161], s[10:11], v[158:159], v[158:159], v[156:157]
	v_rcp_f64_e32 v[162:163], v[160:161]
	v_div_scale_f64 v[164:165], vcc, v[156:157], v[158:159], v[156:157]
	v_fma_f64 v[166:167], -v[160:161], v[162:163], 1.0
	v_fmac_f64_e32 v[162:163], v[162:163], v[166:167]
	v_fma_f64 v[166:167], -v[160:161], v[162:163], 1.0
	v_fmac_f64_e32 v[162:163], v[162:163], v[166:167]
	v_mul_f64 v[166:167], v[164:165], v[162:163]
	v_fma_f64 v[160:161], -v[160:161], v[166:167], v[164:165]
	v_div_fmas_f64 v[160:161], v[160:161], v[162:163], v[166:167]
	v_div_fixup_f64 v[160:161], v[160:161], v[158:159], v[156:157]
	v_fmac_f64_e32 v[158:159], v[156:157], v[160:161]
	v_div_scale_f64 v[156:157], s[10:11], v[158:159], v[158:159], 1.0
	v_rcp_f64_e32 v[162:163], v[156:157]
	s_nop 0
	v_fma_f64 v[164:165], -v[156:157], v[162:163], 1.0
	v_fmac_f64_e32 v[162:163], v[162:163], v[164:165]
	v_fma_f64 v[164:165], -v[156:157], v[162:163], 1.0
	v_fmac_f64_e32 v[162:163], v[162:163], v[164:165]
	v_div_scale_f64 v[164:165], vcc, 1.0, v[158:159], 1.0
	v_mul_f64 v[166:167], v[164:165], v[162:163]
	v_fma_f64 v[156:157], -v[156:157], v[166:167], v[164:165]
	s_nop 1
	v_div_fmas_f64 v[156:157], v[156:157], v[162:163], v[166:167]
	v_div_fixup_f64 v[162:163], v[156:157], v[158:159], 1.0
	v_mul_f64 v[160:161], v[160:161], v[162:163]
	v_xor_b32_e32 v163, 0x80000000, v163
                                        ; implicit-def: $vgpr156_vgpr157
.LBB77_185:
	s_andn2_saveexec_b64 s[2:3], s[2:3]
	s_cbranch_execz .LBB77_187
; %bb.186:
	v_div_scale_f64 v[160:161], s[10:11], v[156:157], v[156:157], v[158:159]
	v_rcp_f64_e32 v[162:163], v[160:161]
	v_div_scale_f64 v[164:165], vcc, v[158:159], v[156:157], v[158:159]
	v_fma_f64 v[166:167], -v[160:161], v[162:163], 1.0
	v_fmac_f64_e32 v[162:163], v[162:163], v[166:167]
	v_fma_f64 v[166:167], -v[160:161], v[162:163], 1.0
	v_fmac_f64_e32 v[162:163], v[162:163], v[166:167]
	v_mul_f64 v[166:167], v[164:165], v[162:163]
	v_fma_f64 v[160:161], -v[160:161], v[166:167], v[164:165]
	v_div_fmas_f64 v[160:161], v[160:161], v[162:163], v[166:167]
	v_div_fixup_f64 v[162:163], v[160:161], v[156:157], v[158:159]
	v_fmac_f64_e32 v[156:157], v[158:159], v[162:163]
	v_div_scale_f64 v[158:159], s[10:11], v[156:157], v[156:157], 1.0
	v_rcp_f64_e32 v[160:161], v[158:159]
	s_nop 0
	v_fma_f64 v[164:165], -v[158:159], v[160:161], 1.0
	v_fmac_f64_e32 v[160:161], v[160:161], v[164:165]
	v_fma_f64 v[164:165], -v[158:159], v[160:161], 1.0
	v_fmac_f64_e32 v[160:161], v[160:161], v[164:165]
	v_div_scale_f64 v[164:165], vcc, 1.0, v[156:157], 1.0
	v_mul_f64 v[166:167], v[164:165], v[160:161]
	v_fma_f64 v[158:159], -v[158:159], v[166:167], v[164:165]
	s_nop 1
	v_div_fmas_f64 v[158:159], v[158:159], v[160:161], v[166:167]
	v_div_fixup_f64 v[160:161], v[158:159], v[156:157], 1.0
	v_mul_f64 v[162:163], v[162:163], -v[160:161]
.LBB77_187:
	s_or_b64 exec, exec, s[2:3]
	ds_write2_b64 v215, v[160:161], v[162:163] offset1:1
.LBB77_188:
	s_or_b64 exec, exec, s[4:5]
	s_waitcnt lgkmcnt(0)
	s_barrier
	ds_read2_b64 v[156:159], v215 offset1:1
	v_cmp_lt_u32_e32 vcc, 20, v214
	s_waitcnt lgkmcnt(0)
	scratch_store_dwordx4 off, v[156:159], off offset:512 ; 16-byte Folded Spill
	s_and_saveexec_b64 s[2:3], vcc
	s_cbranch_execz .LBB77_190
; %bb.189:
	scratch_load_dwordx4 v[158:161], off, off offset:512 ; 16-byte Folded Reload
	s_waitcnt vmcnt(0)
	v_mul_f64 v[156:157], v[160:161], v[70:71]
	v_mul_f64 v[70:71], v[158:159], v[70:71]
	v_fma_f64 v[156:157], v[158:159], v[68:69], -v[156:157]
	v_fmac_f64_e32 v[70:71], v[160:161], v[68:69]
	ds_read2_b64 v[158:161], v212 offset0:42 offset1:43
	s_waitcnt lgkmcnt(0)
	v_mul_f64 v[68:69], v[160:161], v[70:71]
	v_fma_f64 v[68:69], v[158:159], v[156:157], -v[68:69]
	v_mul_f64 v[158:159], v[158:159], v[70:71]
	v_fmac_f64_e32 v[158:159], v[160:161], v[156:157]
	v_add_f64 v[66:67], v[66:67], -v[158:159]
	ds_read2_b64 v[158:161], v212 offset0:44 offset1:45
	v_add_f64 v[64:65], v[64:65], -v[68:69]
	s_waitcnt lgkmcnt(0)
	v_mul_f64 v[68:69], v[160:161], v[70:71]
	v_fma_f64 v[68:69], v[158:159], v[156:157], -v[68:69]
	v_mul_f64 v[158:159], v[158:159], v[70:71]
	v_fmac_f64_e32 v[158:159], v[160:161], v[156:157]
	v_add_f64 v[62:63], v[62:63], -v[158:159]
	ds_read2_b64 v[158:161], v212 offset0:46 offset1:47
	v_add_f64 v[60:61], v[60:61], -v[68:69]
	;; [unrolled: 8-line block ×17, first 2 shown]
	s_waitcnt lgkmcnt(0)
	v_mul_f64 v[68:69], v[160:161], v[70:71]
	v_fma_f64 v[68:69], v[158:159], v[156:157], -v[68:69]
	v_mul_f64 v[158:159], v[158:159], v[70:71]
	v_fmac_f64_e32 v[158:159], v[160:161], v[156:157]
	v_add_f64 v[152:153], v[152:153], -v[68:69]
	v_add_f64 v[154:155], v[154:155], -v[158:159]
	v_mov_b64_e32 v[68:69], v[156:157]
.LBB77_190:
	s_or_b64 exec, exec, s[2:3]
	v_cmp_eq_u32_e32 vcc, 21, v214
	s_waitcnt vmcnt(63) expcnt(7) lgkmcnt(15)
	s_barrier
	s_and_saveexec_b64 s[4:5], vcc
	s_cbranch_execz .LBB77_197
; %bb.191:
	s_waitcnt vmcnt(57)
	ds_write2_b64 v215, v[64:65], v[66:67] offset1:1
	s_waitcnt vmcnt(56)
	ds_write2_b64 v212, v[60:61], v[62:63] offset0:44 offset1:45
	s_waitcnt vmcnt(55)
	ds_write2_b64 v212, v[56:57], v[58:59] offset0:46 offset1:47
	;; [unrolled: 2-line block ×10, first 2 shown]
	ds_write2_b64 v212, v[20:21], v[22:23] offset0:64 offset1:65
	s_waitcnt vmcnt(31)
	ds_write2_b64 v212, v[16:17], v[18:19] offset0:66 offset1:67
	s_waitcnt vmcnt(30)
	;; [unrolled: 2-line block ×4, first 2 shown]
	ds_write2_b64 v212, v[4:5], v[6:7] offset0:72 offset1:73
	ds_write2_b64 v212, v[0:1], v[2:3] offset0:74 offset1:75
	s_waitcnt vmcnt(26)
	ds_write2_b64 v212, v[152:153], v[154:155] offset0:76 offset1:77
	ds_read2_b64 v[156:159], v215 offset1:1
	s_waitcnt lgkmcnt(0)
	v_cmp_neq_f64_e32 vcc, 0, v[156:157]
	v_cmp_neq_f64_e64 s[2:3], 0, v[158:159]
	s_or_b64 s[2:3], vcc, s[2:3]
	s_and_b64 exec, exec, s[2:3]
	s_cbranch_execz .LBB77_197
; %bb.192:
	v_cmp_ngt_f64_e64 s[2:3], |v[156:157]|, |v[158:159]|
                                        ; implicit-def: $vgpr160_vgpr161
	s_and_saveexec_b64 s[10:11], s[2:3]
	s_xor_b64 s[2:3], exec, s[10:11]
                                        ; implicit-def: $vgpr162_vgpr163
	s_cbranch_execz .LBB77_194
; %bb.193:
	v_div_scale_f64 v[160:161], s[10:11], v[158:159], v[158:159], v[156:157]
	v_rcp_f64_e32 v[162:163], v[160:161]
	v_div_scale_f64 v[164:165], vcc, v[156:157], v[158:159], v[156:157]
	v_fma_f64 v[166:167], -v[160:161], v[162:163], 1.0
	v_fmac_f64_e32 v[162:163], v[162:163], v[166:167]
	v_fma_f64 v[166:167], -v[160:161], v[162:163], 1.0
	v_fmac_f64_e32 v[162:163], v[162:163], v[166:167]
	v_mul_f64 v[166:167], v[164:165], v[162:163]
	v_fma_f64 v[160:161], -v[160:161], v[166:167], v[164:165]
	v_div_fmas_f64 v[160:161], v[160:161], v[162:163], v[166:167]
	v_div_fixup_f64 v[160:161], v[160:161], v[158:159], v[156:157]
	v_fmac_f64_e32 v[158:159], v[156:157], v[160:161]
	v_div_scale_f64 v[156:157], s[10:11], v[158:159], v[158:159], 1.0
	v_rcp_f64_e32 v[162:163], v[156:157]
	s_nop 0
	v_fma_f64 v[164:165], -v[156:157], v[162:163], 1.0
	v_fmac_f64_e32 v[162:163], v[162:163], v[164:165]
	v_fma_f64 v[164:165], -v[156:157], v[162:163], 1.0
	v_fmac_f64_e32 v[162:163], v[162:163], v[164:165]
	v_div_scale_f64 v[164:165], vcc, 1.0, v[158:159], 1.0
	v_mul_f64 v[166:167], v[164:165], v[162:163]
	v_fma_f64 v[156:157], -v[156:157], v[166:167], v[164:165]
	s_nop 1
	v_div_fmas_f64 v[156:157], v[156:157], v[162:163], v[166:167]
	v_div_fixup_f64 v[162:163], v[156:157], v[158:159], 1.0
	v_mul_f64 v[160:161], v[160:161], v[162:163]
	v_xor_b32_e32 v163, 0x80000000, v163
                                        ; implicit-def: $vgpr156_vgpr157
.LBB77_194:
	s_andn2_saveexec_b64 s[2:3], s[2:3]
	s_cbranch_execz .LBB77_196
; %bb.195:
	v_div_scale_f64 v[160:161], s[10:11], v[156:157], v[156:157], v[158:159]
	v_rcp_f64_e32 v[162:163], v[160:161]
	v_div_scale_f64 v[164:165], vcc, v[158:159], v[156:157], v[158:159]
	v_fma_f64 v[166:167], -v[160:161], v[162:163], 1.0
	v_fmac_f64_e32 v[162:163], v[162:163], v[166:167]
	v_fma_f64 v[166:167], -v[160:161], v[162:163], 1.0
	v_fmac_f64_e32 v[162:163], v[162:163], v[166:167]
	v_mul_f64 v[166:167], v[164:165], v[162:163]
	v_fma_f64 v[160:161], -v[160:161], v[166:167], v[164:165]
	v_div_fmas_f64 v[160:161], v[160:161], v[162:163], v[166:167]
	v_div_fixup_f64 v[162:163], v[160:161], v[156:157], v[158:159]
	v_fmac_f64_e32 v[156:157], v[158:159], v[162:163]
	v_div_scale_f64 v[158:159], s[10:11], v[156:157], v[156:157], 1.0
	v_rcp_f64_e32 v[160:161], v[158:159]
	s_nop 0
	v_fma_f64 v[164:165], -v[158:159], v[160:161], 1.0
	v_fmac_f64_e32 v[160:161], v[160:161], v[164:165]
	v_fma_f64 v[164:165], -v[158:159], v[160:161], 1.0
	v_fmac_f64_e32 v[160:161], v[160:161], v[164:165]
	v_div_scale_f64 v[164:165], vcc, 1.0, v[156:157], 1.0
	v_mul_f64 v[166:167], v[164:165], v[160:161]
	v_fma_f64 v[158:159], -v[158:159], v[166:167], v[164:165]
	s_nop 1
	v_div_fmas_f64 v[158:159], v[158:159], v[160:161], v[166:167]
	v_div_fixup_f64 v[160:161], v[158:159], v[156:157], 1.0
	v_mul_f64 v[162:163], v[162:163], -v[160:161]
.LBB77_196:
	s_or_b64 exec, exec, s[2:3]
	ds_write2_b64 v215, v[160:161], v[162:163] offset1:1
.LBB77_197:
	s_or_b64 exec, exec, s[4:5]
	s_waitcnt lgkmcnt(0)
	s_barrier
	ds_read2_b64 v[156:159], v215 offset1:1
	v_cmp_lt_u32_e32 vcc, 21, v214
	s_waitcnt lgkmcnt(0)
	scratch_store_dwordx4 off, v[156:159], off offset:528 ; 16-byte Folded Spill
	s_and_saveexec_b64 s[2:3], vcc
	s_cbranch_execz .LBB77_199
; %bb.198:
	scratch_load_dwordx4 v[158:161], off, off offset:528 ; 16-byte Folded Reload
	s_waitcnt vmcnt(0)
	v_mul_f64 v[156:157], v[160:161], v[66:67]
	v_mul_f64 v[66:67], v[158:159], v[66:67]
	v_fma_f64 v[156:157], v[158:159], v[64:65], -v[156:157]
	v_fmac_f64_e32 v[66:67], v[160:161], v[64:65]
	ds_read2_b64 v[158:161], v212 offset0:44 offset1:45
	s_waitcnt lgkmcnt(0)
	v_mul_f64 v[64:65], v[160:161], v[66:67]
	v_fma_f64 v[64:65], v[158:159], v[156:157], -v[64:65]
	v_mul_f64 v[158:159], v[158:159], v[66:67]
	v_fmac_f64_e32 v[158:159], v[160:161], v[156:157]
	v_add_f64 v[62:63], v[62:63], -v[158:159]
	ds_read2_b64 v[158:161], v212 offset0:46 offset1:47
	v_add_f64 v[60:61], v[60:61], -v[64:65]
	s_waitcnt lgkmcnt(0)
	v_mul_f64 v[64:65], v[160:161], v[66:67]
	v_fma_f64 v[64:65], v[158:159], v[156:157], -v[64:65]
	v_mul_f64 v[158:159], v[158:159], v[66:67]
	v_fmac_f64_e32 v[158:159], v[160:161], v[156:157]
	v_add_f64 v[58:59], v[58:59], -v[158:159]
	ds_read2_b64 v[158:161], v212 offset0:48 offset1:49
	v_add_f64 v[56:57], v[56:57], -v[64:65]
	;; [unrolled: 8-line block ×16, first 2 shown]
	s_waitcnt lgkmcnt(0)
	v_mul_f64 v[64:65], v[160:161], v[66:67]
	v_fma_f64 v[64:65], v[158:159], v[156:157], -v[64:65]
	v_mul_f64 v[158:159], v[158:159], v[66:67]
	v_fmac_f64_e32 v[158:159], v[160:161], v[156:157]
	v_add_f64 v[152:153], v[152:153], -v[64:65]
	v_add_f64 v[154:155], v[154:155], -v[158:159]
	v_mov_b64_e32 v[64:65], v[156:157]
.LBB77_199:
	s_or_b64 exec, exec, s[2:3]
	v_cmp_eq_u32_e32 vcc, 22, v214
	s_waitcnt vmcnt(63) expcnt(7) lgkmcnt(15)
	s_barrier
	s_and_saveexec_b64 s[4:5], vcc
	s_cbranch_execz .LBB77_206
; %bb.200:
	s_waitcnt vmcnt(57)
	ds_write2_b64 v215, v[60:61], v[62:63] offset1:1
	s_waitcnt vmcnt(56)
	ds_write2_b64 v212, v[56:57], v[58:59] offset0:46 offset1:47
	s_waitcnt vmcnt(55)
	ds_write2_b64 v212, v[52:53], v[54:55] offset0:48 offset1:49
	s_waitcnt vmcnt(54)
	ds_write2_b64 v212, v[48:49], v[50:51] offset0:50 offset1:51
	s_waitcnt vmcnt(53)
	ds_write2_b64 v212, v[44:45], v[46:47] offset0:52 offset1:53
	s_waitcnt vmcnt(52)
	ds_write2_b64 v212, v[40:41], v[42:43] offset0:54 offset1:55
	s_waitcnt vmcnt(51)
	ds_write2_b64 v212, v[36:37], v[38:39] offset0:56 offset1:57
	s_waitcnt vmcnt(50)
	ds_write2_b64 v212, v[32:33], v[34:35] offset0:58 offset1:59
	s_waitcnt vmcnt(49)
	ds_write2_b64 v212, v[28:29], v[30:31] offset0:60 offset1:61
	s_waitcnt vmcnt(33)
	ds_write2_b64 v212, v[24:25], v[26:27] offset0:62 offset1:63
	ds_write2_b64 v212, v[20:21], v[22:23] offset0:64 offset1:65
	s_waitcnt vmcnt(32)
	ds_write2_b64 v212, v[16:17], v[18:19] offset0:66 offset1:67
	s_waitcnt vmcnt(31)
	;; [unrolled: 2-line block ×4, first 2 shown]
	ds_write2_b64 v212, v[4:5], v[6:7] offset0:72 offset1:73
	ds_write2_b64 v212, v[0:1], v[2:3] offset0:74 offset1:75
	s_waitcnt vmcnt(27)
	ds_write2_b64 v212, v[152:153], v[154:155] offset0:76 offset1:77
	ds_read2_b64 v[156:159], v215 offset1:1
	s_waitcnt lgkmcnt(0)
	v_cmp_neq_f64_e32 vcc, 0, v[156:157]
	v_cmp_neq_f64_e64 s[2:3], 0, v[158:159]
	s_or_b64 s[2:3], vcc, s[2:3]
	s_and_b64 exec, exec, s[2:3]
	s_cbranch_execz .LBB77_206
; %bb.201:
	v_cmp_ngt_f64_e64 s[2:3], |v[156:157]|, |v[158:159]|
                                        ; implicit-def: $vgpr160_vgpr161
	s_and_saveexec_b64 s[10:11], s[2:3]
	s_xor_b64 s[2:3], exec, s[10:11]
                                        ; implicit-def: $vgpr162_vgpr163
	s_cbranch_execz .LBB77_203
; %bb.202:
	v_div_scale_f64 v[160:161], s[10:11], v[158:159], v[158:159], v[156:157]
	v_rcp_f64_e32 v[162:163], v[160:161]
	v_div_scale_f64 v[164:165], vcc, v[156:157], v[158:159], v[156:157]
	v_fma_f64 v[166:167], -v[160:161], v[162:163], 1.0
	v_fmac_f64_e32 v[162:163], v[162:163], v[166:167]
	v_fma_f64 v[166:167], -v[160:161], v[162:163], 1.0
	v_fmac_f64_e32 v[162:163], v[162:163], v[166:167]
	v_mul_f64 v[166:167], v[164:165], v[162:163]
	v_fma_f64 v[160:161], -v[160:161], v[166:167], v[164:165]
	v_div_fmas_f64 v[160:161], v[160:161], v[162:163], v[166:167]
	v_div_fixup_f64 v[160:161], v[160:161], v[158:159], v[156:157]
	v_fmac_f64_e32 v[158:159], v[156:157], v[160:161]
	v_div_scale_f64 v[156:157], s[10:11], v[158:159], v[158:159], 1.0
	v_rcp_f64_e32 v[162:163], v[156:157]
	s_nop 0
	v_fma_f64 v[164:165], -v[156:157], v[162:163], 1.0
	v_fmac_f64_e32 v[162:163], v[162:163], v[164:165]
	v_fma_f64 v[164:165], -v[156:157], v[162:163], 1.0
	v_fmac_f64_e32 v[162:163], v[162:163], v[164:165]
	v_div_scale_f64 v[164:165], vcc, 1.0, v[158:159], 1.0
	v_mul_f64 v[166:167], v[164:165], v[162:163]
	v_fma_f64 v[156:157], -v[156:157], v[166:167], v[164:165]
	s_nop 1
	v_div_fmas_f64 v[156:157], v[156:157], v[162:163], v[166:167]
	v_div_fixup_f64 v[162:163], v[156:157], v[158:159], 1.0
	v_mul_f64 v[160:161], v[160:161], v[162:163]
	v_xor_b32_e32 v163, 0x80000000, v163
                                        ; implicit-def: $vgpr156_vgpr157
.LBB77_203:
	s_andn2_saveexec_b64 s[2:3], s[2:3]
	s_cbranch_execz .LBB77_205
; %bb.204:
	v_div_scale_f64 v[160:161], s[10:11], v[156:157], v[156:157], v[158:159]
	v_rcp_f64_e32 v[162:163], v[160:161]
	v_div_scale_f64 v[164:165], vcc, v[158:159], v[156:157], v[158:159]
	v_fma_f64 v[166:167], -v[160:161], v[162:163], 1.0
	v_fmac_f64_e32 v[162:163], v[162:163], v[166:167]
	v_fma_f64 v[166:167], -v[160:161], v[162:163], 1.0
	v_fmac_f64_e32 v[162:163], v[162:163], v[166:167]
	v_mul_f64 v[166:167], v[164:165], v[162:163]
	v_fma_f64 v[160:161], -v[160:161], v[166:167], v[164:165]
	v_div_fmas_f64 v[160:161], v[160:161], v[162:163], v[166:167]
	v_div_fixup_f64 v[162:163], v[160:161], v[156:157], v[158:159]
	v_fmac_f64_e32 v[156:157], v[158:159], v[162:163]
	v_div_scale_f64 v[158:159], s[10:11], v[156:157], v[156:157], 1.0
	v_rcp_f64_e32 v[160:161], v[158:159]
	s_nop 0
	v_fma_f64 v[164:165], -v[158:159], v[160:161], 1.0
	v_fmac_f64_e32 v[160:161], v[160:161], v[164:165]
	v_fma_f64 v[164:165], -v[158:159], v[160:161], 1.0
	v_fmac_f64_e32 v[160:161], v[160:161], v[164:165]
	v_div_scale_f64 v[164:165], vcc, 1.0, v[156:157], 1.0
	v_mul_f64 v[166:167], v[164:165], v[160:161]
	v_fma_f64 v[158:159], -v[158:159], v[166:167], v[164:165]
	s_nop 1
	v_div_fmas_f64 v[158:159], v[158:159], v[160:161], v[166:167]
	v_div_fixup_f64 v[160:161], v[158:159], v[156:157], 1.0
	v_mul_f64 v[162:163], v[162:163], -v[160:161]
.LBB77_205:
	s_or_b64 exec, exec, s[2:3]
	ds_write2_b64 v215, v[160:161], v[162:163] offset1:1
.LBB77_206:
	s_or_b64 exec, exec, s[4:5]
	s_waitcnt lgkmcnt(0)
	s_barrier
	ds_read2_b64 v[156:159], v215 offset1:1
	v_cmp_lt_u32_e32 vcc, 22, v214
	s_waitcnt lgkmcnt(0)
	scratch_store_dwordx4 off, v[156:159], off offset:544 ; 16-byte Folded Spill
	s_and_saveexec_b64 s[2:3], vcc
	s_cbranch_execz .LBB77_208
; %bb.207:
	scratch_load_dwordx4 v[158:161], off, off offset:544 ; 16-byte Folded Reload
	s_waitcnt vmcnt(0)
	v_mul_f64 v[156:157], v[158:159], v[62:63]
	v_mul_f64 v[62:63], v[160:161], v[62:63]
	v_fmac_f64_e32 v[156:157], v[160:161], v[60:61]
	v_fma_f64 v[60:61], v[158:159], v[60:61], -v[62:63]
	ds_read2_b64 v[158:161], v212 offset0:46 offset1:47
	s_waitcnt lgkmcnt(0)
	v_mul_f64 v[62:63], v[160:161], v[156:157]
	v_fma_f64 v[62:63], v[158:159], v[60:61], -v[62:63]
	v_mul_f64 v[158:159], v[158:159], v[156:157]
	v_fmac_f64_e32 v[158:159], v[160:161], v[60:61]
	v_add_f64 v[58:59], v[58:59], -v[158:159]
	ds_read2_b64 v[158:161], v212 offset0:48 offset1:49
	v_add_f64 v[56:57], v[56:57], -v[62:63]
	s_waitcnt lgkmcnt(0)
	v_mul_f64 v[62:63], v[160:161], v[156:157]
	v_fma_f64 v[62:63], v[158:159], v[60:61], -v[62:63]
	v_mul_f64 v[158:159], v[158:159], v[156:157]
	v_fmac_f64_e32 v[158:159], v[160:161], v[60:61]
	v_add_f64 v[54:55], v[54:55], -v[158:159]
	ds_read2_b64 v[158:161], v212 offset0:50 offset1:51
	v_add_f64 v[52:53], v[52:53], -v[62:63]
	s_waitcnt lgkmcnt(0)
	v_mul_f64 v[62:63], v[160:161], v[156:157]
	v_fma_f64 v[62:63], v[158:159], v[60:61], -v[62:63]
	v_mul_f64 v[158:159], v[158:159], v[156:157]
	v_fmac_f64_e32 v[158:159], v[160:161], v[60:61]
	v_add_f64 v[50:51], v[50:51], -v[158:159]
	ds_read2_b64 v[158:161], v212 offset0:52 offset1:53
	v_add_f64 v[48:49], v[48:49], -v[62:63]
	s_waitcnt lgkmcnt(0)
	v_mul_f64 v[62:63], v[160:161], v[156:157]
	v_fma_f64 v[62:63], v[158:159], v[60:61], -v[62:63]
	v_mul_f64 v[158:159], v[158:159], v[156:157]
	v_fmac_f64_e32 v[158:159], v[160:161], v[60:61]
	v_add_f64 v[46:47], v[46:47], -v[158:159]
	ds_read2_b64 v[158:161], v212 offset0:54 offset1:55
	v_add_f64 v[44:45], v[44:45], -v[62:63]
	s_waitcnt lgkmcnt(0)
	v_mul_f64 v[62:63], v[160:161], v[156:157]
	v_fma_f64 v[62:63], v[158:159], v[60:61], -v[62:63]
	v_mul_f64 v[158:159], v[158:159], v[156:157]
	v_fmac_f64_e32 v[158:159], v[160:161], v[60:61]
	v_add_f64 v[42:43], v[42:43], -v[158:159]
	ds_read2_b64 v[158:161], v212 offset0:56 offset1:57
	v_add_f64 v[40:41], v[40:41], -v[62:63]
	s_waitcnt lgkmcnt(0)
	v_mul_f64 v[62:63], v[160:161], v[156:157]
	v_fma_f64 v[62:63], v[158:159], v[60:61], -v[62:63]
	v_mul_f64 v[158:159], v[158:159], v[156:157]
	v_fmac_f64_e32 v[158:159], v[160:161], v[60:61]
	v_add_f64 v[38:39], v[38:39], -v[158:159]
	ds_read2_b64 v[158:161], v212 offset0:58 offset1:59
	v_add_f64 v[36:37], v[36:37], -v[62:63]
	s_waitcnt lgkmcnt(0)
	v_mul_f64 v[62:63], v[160:161], v[156:157]
	v_fma_f64 v[62:63], v[158:159], v[60:61], -v[62:63]
	v_mul_f64 v[158:159], v[158:159], v[156:157]
	v_fmac_f64_e32 v[158:159], v[160:161], v[60:61]
	v_add_f64 v[34:35], v[34:35], -v[158:159]
	ds_read2_b64 v[158:161], v212 offset0:60 offset1:61
	v_add_f64 v[32:33], v[32:33], -v[62:63]
	s_waitcnt lgkmcnt(0)
	v_mul_f64 v[62:63], v[160:161], v[156:157]
	v_fma_f64 v[62:63], v[158:159], v[60:61], -v[62:63]
	v_mul_f64 v[158:159], v[158:159], v[156:157]
	v_fmac_f64_e32 v[158:159], v[160:161], v[60:61]
	v_add_f64 v[30:31], v[30:31], -v[158:159]
	ds_read2_b64 v[158:161], v212 offset0:62 offset1:63
	v_add_f64 v[28:29], v[28:29], -v[62:63]
	s_waitcnt lgkmcnt(0)
	v_mul_f64 v[62:63], v[160:161], v[156:157]
	v_fma_f64 v[62:63], v[158:159], v[60:61], -v[62:63]
	v_mul_f64 v[158:159], v[158:159], v[156:157]
	v_fmac_f64_e32 v[158:159], v[160:161], v[60:61]
	v_add_f64 v[26:27], v[26:27], -v[158:159]
	ds_read2_b64 v[158:161], v212 offset0:64 offset1:65
	v_add_f64 v[24:25], v[24:25], -v[62:63]
	s_waitcnt lgkmcnt(0)
	v_mul_f64 v[62:63], v[160:161], v[156:157]
	v_fma_f64 v[62:63], v[158:159], v[60:61], -v[62:63]
	v_mul_f64 v[158:159], v[158:159], v[156:157]
	v_fmac_f64_e32 v[158:159], v[160:161], v[60:61]
	v_add_f64 v[22:23], v[22:23], -v[158:159]
	ds_read2_b64 v[158:161], v212 offset0:66 offset1:67
	v_add_f64 v[20:21], v[20:21], -v[62:63]
	s_waitcnt lgkmcnt(0)
	v_mul_f64 v[62:63], v[160:161], v[156:157]
	v_fma_f64 v[62:63], v[158:159], v[60:61], -v[62:63]
	v_mul_f64 v[158:159], v[158:159], v[156:157]
	v_fmac_f64_e32 v[158:159], v[160:161], v[60:61]
	v_add_f64 v[18:19], v[18:19], -v[158:159]
	ds_read2_b64 v[158:161], v212 offset0:68 offset1:69
	v_add_f64 v[16:17], v[16:17], -v[62:63]
	s_waitcnt lgkmcnt(0)
	v_mul_f64 v[62:63], v[160:161], v[156:157]
	v_fma_f64 v[62:63], v[158:159], v[60:61], -v[62:63]
	v_mul_f64 v[158:159], v[158:159], v[156:157]
	v_fmac_f64_e32 v[158:159], v[160:161], v[60:61]
	v_add_f64 v[14:15], v[14:15], -v[158:159]
	ds_read2_b64 v[158:161], v212 offset0:70 offset1:71
	v_add_f64 v[12:13], v[12:13], -v[62:63]
	s_waitcnt lgkmcnt(0)
	v_mul_f64 v[62:63], v[160:161], v[156:157]
	v_fma_f64 v[62:63], v[158:159], v[60:61], -v[62:63]
	v_mul_f64 v[158:159], v[158:159], v[156:157]
	v_fmac_f64_e32 v[158:159], v[160:161], v[60:61]
	v_add_f64 v[10:11], v[10:11], -v[158:159]
	ds_read2_b64 v[158:161], v212 offset0:72 offset1:73
	v_add_f64 v[8:9], v[8:9], -v[62:63]
	s_waitcnt lgkmcnt(0)
	v_mul_f64 v[62:63], v[160:161], v[156:157]
	v_fma_f64 v[62:63], v[158:159], v[60:61], -v[62:63]
	v_mul_f64 v[158:159], v[158:159], v[156:157]
	v_fmac_f64_e32 v[158:159], v[160:161], v[60:61]
	v_add_f64 v[6:7], v[6:7], -v[158:159]
	ds_read2_b64 v[158:161], v212 offset0:74 offset1:75
	v_add_f64 v[4:5], v[4:5], -v[62:63]
	s_waitcnt lgkmcnt(0)
	v_mul_f64 v[62:63], v[160:161], v[156:157]
	v_fma_f64 v[62:63], v[158:159], v[60:61], -v[62:63]
	v_mul_f64 v[158:159], v[158:159], v[156:157]
	v_fmac_f64_e32 v[158:159], v[160:161], v[60:61]
	v_add_f64 v[2:3], v[2:3], -v[158:159]
	ds_read2_b64 v[158:161], v212 offset0:76 offset1:77
	v_add_f64 v[0:1], v[0:1], -v[62:63]
	s_waitcnt lgkmcnt(0)
	v_mul_f64 v[62:63], v[160:161], v[156:157]
	v_fma_f64 v[62:63], v[158:159], v[60:61], -v[62:63]
	v_mul_f64 v[158:159], v[158:159], v[156:157]
	v_fmac_f64_e32 v[158:159], v[160:161], v[60:61]
	v_add_f64 v[152:153], v[152:153], -v[62:63]
	v_add_f64 v[154:155], v[154:155], -v[158:159]
	v_mov_b64_e32 v[62:63], v[156:157]
.LBB77_208:
	s_or_b64 exec, exec, s[2:3]
	v_cmp_eq_u32_e32 vcc, 23, v214
	s_waitcnt vmcnt(63) expcnt(7) lgkmcnt(15)
	s_barrier
	s_and_saveexec_b64 s[4:5], vcc
	s_cbranch_execz .LBB77_215
; %bb.209:
	s_waitcnt vmcnt(57)
	ds_write2_b64 v215, v[56:57], v[58:59] offset1:1
	s_waitcnt vmcnt(56)
	ds_write2_b64 v212, v[52:53], v[54:55] offset0:48 offset1:49
	s_waitcnt vmcnt(55)
	ds_write2_b64 v212, v[48:49], v[50:51] offset0:50 offset1:51
	;; [unrolled: 2-line block ×8, first 2 shown]
	ds_write2_b64 v212, v[20:21], v[22:23] offset0:64 offset1:65
	s_waitcnt vmcnt(33)
	ds_write2_b64 v212, v[16:17], v[18:19] offset0:66 offset1:67
	s_waitcnt vmcnt(32)
	;; [unrolled: 2-line block ×4, first 2 shown]
	ds_write2_b64 v212, v[4:5], v[6:7] offset0:72 offset1:73
	ds_write2_b64 v212, v[0:1], v[2:3] offset0:74 offset1:75
	s_waitcnt vmcnt(28)
	ds_write2_b64 v212, v[152:153], v[154:155] offset0:76 offset1:77
	ds_read2_b64 v[156:159], v215 offset1:1
	s_waitcnt lgkmcnt(0)
	v_cmp_neq_f64_e32 vcc, 0, v[156:157]
	v_cmp_neq_f64_e64 s[2:3], 0, v[158:159]
	s_or_b64 s[2:3], vcc, s[2:3]
	s_and_b64 exec, exec, s[2:3]
	s_cbranch_execz .LBB77_215
; %bb.210:
	v_cmp_ngt_f64_e64 s[2:3], |v[156:157]|, |v[158:159]|
                                        ; implicit-def: $vgpr160_vgpr161
	s_and_saveexec_b64 s[10:11], s[2:3]
	s_xor_b64 s[2:3], exec, s[10:11]
                                        ; implicit-def: $vgpr162_vgpr163
	s_cbranch_execz .LBB77_212
; %bb.211:
	v_div_scale_f64 v[160:161], s[10:11], v[158:159], v[158:159], v[156:157]
	v_rcp_f64_e32 v[162:163], v[160:161]
	v_div_scale_f64 v[164:165], vcc, v[156:157], v[158:159], v[156:157]
	v_fma_f64 v[166:167], -v[160:161], v[162:163], 1.0
	v_fmac_f64_e32 v[162:163], v[162:163], v[166:167]
	v_fma_f64 v[166:167], -v[160:161], v[162:163], 1.0
	v_fmac_f64_e32 v[162:163], v[162:163], v[166:167]
	v_mul_f64 v[166:167], v[164:165], v[162:163]
	v_fma_f64 v[160:161], -v[160:161], v[166:167], v[164:165]
	v_div_fmas_f64 v[160:161], v[160:161], v[162:163], v[166:167]
	v_div_fixup_f64 v[160:161], v[160:161], v[158:159], v[156:157]
	v_fmac_f64_e32 v[158:159], v[156:157], v[160:161]
	v_div_scale_f64 v[156:157], s[10:11], v[158:159], v[158:159], 1.0
	v_rcp_f64_e32 v[162:163], v[156:157]
	s_nop 0
	v_fma_f64 v[164:165], -v[156:157], v[162:163], 1.0
	v_fmac_f64_e32 v[162:163], v[162:163], v[164:165]
	v_fma_f64 v[164:165], -v[156:157], v[162:163], 1.0
	v_fmac_f64_e32 v[162:163], v[162:163], v[164:165]
	v_div_scale_f64 v[164:165], vcc, 1.0, v[158:159], 1.0
	v_mul_f64 v[166:167], v[164:165], v[162:163]
	v_fma_f64 v[156:157], -v[156:157], v[166:167], v[164:165]
	s_nop 1
	v_div_fmas_f64 v[156:157], v[156:157], v[162:163], v[166:167]
	v_div_fixup_f64 v[162:163], v[156:157], v[158:159], 1.0
	v_mul_f64 v[160:161], v[160:161], v[162:163]
	v_xor_b32_e32 v163, 0x80000000, v163
                                        ; implicit-def: $vgpr156_vgpr157
.LBB77_212:
	s_andn2_saveexec_b64 s[2:3], s[2:3]
	s_cbranch_execz .LBB77_214
; %bb.213:
	v_div_scale_f64 v[160:161], s[10:11], v[156:157], v[156:157], v[158:159]
	v_rcp_f64_e32 v[162:163], v[160:161]
	v_div_scale_f64 v[164:165], vcc, v[158:159], v[156:157], v[158:159]
	v_fma_f64 v[166:167], -v[160:161], v[162:163], 1.0
	v_fmac_f64_e32 v[162:163], v[162:163], v[166:167]
	v_fma_f64 v[166:167], -v[160:161], v[162:163], 1.0
	v_fmac_f64_e32 v[162:163], v[162:163], v[166:167]
	v_mul_f64 v[166:167], v[164:165], v[162:163]
	v_fma_f64 v[160:161], -v[160:161], v[166:167], v[164:165]
	v_div_fmas_f64 v[160:161], v[160:161], v[162:163], v[166:167]
	v_div_fixup_f64 v[162:163], v[160:161], v[156:157], v[158:159]
	v_fmac_f64_e32 v[156:157], v[158:159], v[162:163]
	v_div_scale_f64 v[158:159], s[10:11], v[156:157], v[156:157], 1.0
	v_rcp_f64_e32 v[160:161], v[158:159]
	s_nop 0
	v_fma_f64 v[164:165], -v[158:159], v[160:161], 1.0
	v_fmac_f64_e32 v[160:161], v[160:161], v[164:165]
	v_fma_f64 v[164:165], -v[158:159], v[160:161], 1.0
	v_fmac_f64_e32 v[160:161], v[160:161], v[164:165]
	v_div_scale_f64 v[164:165], vcc, 1.0, v[156:157], 1.0
	v_mul_f64 v[166:167], v[164:165], v[160:161]
	v_fma_f64 v[158:159], -v[158:159], v[166:167], v[164:165]
	s_nop 1
	v_div_fmas_f64 v[158:159], v[158:159], v[160:161], v[166:167]
	v_div_fixup_f64 v[160:161], v[158:159], v[156:157], 1.0
	v_mul_f64 v[162:163], v[162:163], -v[160:161]
.LBB77_214:
	s_or_b64 exec, exec, s[2:3]
	ds_write2_b64 v215, v[160:161], v[162:163] offset1:1
.LBB77_215:
	s_or_b64 exec, exec, s[4:5]
	s_waitcnt lgkmcnt(0)
	s_barrier
	ds_read2_b64 v[156:159], v215 offset1:1
	v_cmp_lt_u32_e32 vcc, 23, v214
	s_waitcnt lgkmcnt(0)
	scratch_store_dwordx4 off, v[156:159], off offset:560 ; 16-byte Folded Spill
	s_and_saveexec_b64 s[2:3], vcc
	s_cbranch_execz .LBB77_217
; %bb.216:
	scratch_load_dwordx4 v[158:161], off, off offset:560 ; 16-byte Folded Reload
	s_waitcnt vmcnt(0)
	v_mul_f64 v[156:157], v[158:159], v[58:59]
	v_mul_f64 v[58:59], v[160:161], v[58:59]
	v_fmac_f64_e32 v[156:157], v[160:161], v[56:57]
	v_fma_f64 v[56:57], v[158:159], v[56:57], -v[58:59]
	ds_read2_b64 v[158:161], v212 offset0:48 offset1:49
	s_waitcnt lgkmcnt(0)
	v_mul_f64 v[58:59], v[160:161], v[156:157]
	v_fma_f64 v[58:59], v[158:159], v[56:57], -v[58:59]
	v_mul_f64 v[158:159], v[158:159], v[156:157]
	v_fmac_f64_e32 v[158:159], v[160:161], v[56:57]
	v_add_f64 v[54:55], v[54:55], -v[158:159]
	ds_read2_b64 v[158:161], v212 offset0:50 offset1:51
	v_add_f64 v[52:53], v[52:53], -v[58:59]
	s_waitcnt lgkmcnt(0)
	v_mul_f64 v[58:59], v[160:161], v[156:157]
	v_fma_f64 v[58:59], v[158:159], v[56:57], -v[58:59]
	v_mul_f64 v[158:159], v[158:159], v[156:157]
	v_fmac_f64_e32 v[158:159], v[160:161], v[56:57]
	v_add_f64 v[50:51], v[50:51], -v[158:159]
	ds_read2_b64 v[158:161], v212 offset0:52 offset1:53
	v_add_f64 v[48:49], v[48:49], -v[58:59]
	;; [unrolled: 8-line block ×14, first 2 shown]
	s_waitcnt lgkmcnt(0)
	v_mul_f64 v[58:59], v[160:161], v[156:157]
	v_fma_f64 v[58:59], v[158:159], v[56:57], -v[58:59]
	v_mul_f64 v[158:159], v[158:159], v[156:157]
	v_fmac_f64_e32 v[158:159], v[160:161], v[56:57]
	v_add_f64 v[152:153], v[152:153], -v[58:59]
	v_add_f64 v[154:155], v[154:155], -v[158:159]
	v_mov_b64_e32 v[58:59], v[156:157]
.LBB77_217:
	s_or_b64 exec, exec, s[2:3]
	v_cmp_eq_u32_e32 vcc, 24, v214
	s_waitcnt vmcnt(63) expcnt(7) lgkmcnt(15)
	s_barrier
	s_and_saveexec_b64 s[4:5], vcc
	s_cbranch_execz .LBB77_224
; %bb.218:
	s_waitcnt vmcnt(57)
	ds_write2_b64 v215, v[52:53], v[54:55] offset1:1
	s_waitcnt vmcnt(56)
	ds_write2_b64 v212, v[48:49], v[50:51] offset0:50 offset1:51
	s_waitcnt vmcnt(55)
	ds_write2_b64 v212, v[44:45], v[46:47] offset0:52 offset1:53
	;; [unrolled: 2-line block ×7, first 2 shown]
	ds_write2_b64 v212, v[20:21], v[22:23] offset0:64 offset1:65
	s_waitcnt vmcnt(34)
	ds_write2_b64 v212, v[16:17], v[18:19] offset0:66 offset1:67
	s_waitcnt vmcnt(33)
	;; [unrolled: 2-line block ×4, first 2 shown]
	ds_write2_b64 v212, v[4:5], v[6:7] offset0:72 offset1:73
	ds_write2_b64 v212, v[0:1], v[2:3] offset0:74 offset1:75
	s_waitcnt vmcnt(29)
	ds_write2_b64 v212, v[152:153], v[154:155] offset0:76 offset1:77
	ds_read2_b64 v[156:159], v215 offset1:1
	s_waitcnt lgkmcnt(0)
	v_cmp_neq_f64_e32 vcc, 0, v[156:157]
	v_cmp_neq_f64_e64 s[2:3], 0, v[158:159]
	s_or_b64 s[2:3], vcc, s[2:3]
	s_and_b64 exec, exec, s[2:3]
	s_cbranch_execz .LBB77_224
; %bb.219:
	v_cmp_ngt_f64_e64 s[2:3], |v[156:157]|, |v[158:159]|
                                        ; implicit-def: $vgpr160_vgpr161
	s_and_saveexec_b64 s[10:11], s[2:3]
	s_xor_b64 s[2:3], exec, s[10:11]
                                        ; implicit-def: $vgpr162_vgpr163
	s_cbranch_execz .LBB77_221
; %bb.220:
	v_div_scale_f64 v[160:161], s[10:11], v[158:159], v[158:159], v[156:157]
	v_rcp_f64_e32 v[162:163], v[160:161]
	v_div_scale_f64 v[164:165], vcc, v[156:157], v[158:159], v[156:157]
	v_fma_f64 v[166:167], -v[160:161], v[162:163], 1.0
	v_fmac_f64_e32 v[162:163], v[162:163], v[166:167]
	v_fma_f64 v[166:167], -v[160:161], v[162:163], 1.0
	v_fmac_f64_e32 v[162:163], v[162:163], v[166:167]
	v_mul_f64 v[166:167], v[164:165], v[162:163]
	v_fma_f64 v[160:161], -v[160:161], v[166:167], v[164:165]
	v_div_fmas_f64 v[160:161], v[160:161], v[162:163], v[166:167]
	v_div_fixup_f64 v[160:161], v[160:161], v[158:159], v[156:157]
	v_fmac_f64_e32 v[158:159], v[156:157], v[160:161]
	v_div_scale_f64 v[156:157], s[10:11], v[158:159], v[158:159], 1.0
	v_rcp_f64_e32 v[162:163], v[156:157]
	s_nop 0
	v_fma_f64 v[164:165], -v[156:157], v[162:163], 1.0
	v_fmac_f64_e32 v[162:163], v[162:163], v[164:165]
	v_fma_f64 v[164:165], -v[156:157], v[162:163], 1.0
	v_fmac_f64_e32 v[162:163], v[162:163], v[164:165]
	v_div_scale_f64 v[164:165], vcc, 1.0, v[158:159], 1.0
	v_mul_f64 v[166:167], v[164:165], v[162:163]
	v_fma_f64 v[156:157], -v[156:157], v[166:167], v[164:165]
	s_nop 1
	v_div_fmas_f64 v[156:157], v[156:157], v[162:163], v[166:167]
	v_div_fixup_f64 v[162:163], v[156:157], v[158:159], 1.0
	v_mul_f64 v[160:161], v[160:161], v[162:163]
	v_xor_b32_e32 v163, 0x80000000, v163
                                        ; implicit-def: $vgpr156_vgpr157
.LBB77_221:
	s_andn2_saveexec_b64 s[2:3], s[2:3]
	s_cbranch_execz .LBB77_223
; %bb.222:
	v_div_scale_f64 v[160:161], s[10:11], v[156:157], v[156:157], v[158:159]
	v_rcp_f64_e32 v[162:163], v[160:161]
	v_div_scale_f64 v[164:165], vcc, v[158:159], v[156:157], v[158:159]
	v_fma_f64 v[166:167], -v[160:161], v[162:163], 1.0
	v_fmac_f64_e32 v[162:163], v[162:163], v[166:167]
	v_fma_f64 v[166:167], -v[160:161], v[162:163], 1.0
	v_fmac_f64_e32 v[162:163], v[162:163], v[166:167]
	v_mul_f64 v[166:167], v[164:165], v[162:163]
	v_fma_f64 v[160:161], -v[160:161], v[166:167], v[164:165]
	v_div_fmas_f64 v[160:161], v[160:161], v[162:163], v[166:167]
	v_div_fixup_f64 v[162:163], v[160:161], v[156:157], v[158:159]
	v_fmac_f64_e32 v[156:157], v[158:159], v[162:163]
	v_div_scale_f64 v[158:159], s[10:11], v[156:157], v[156:157], 1.0
	v_rcp_f64_e32 v[160:161], v[158:159]
	s_nop 0
	v_fma_f64 v[164:165], -v[158:159], v[160:161], 1.0
	v_fmac_f64_e32 v[160:161], v[160:161], v[164:165]
	v_fma_f64 v[164:165], -v[158:159], v[160:161], 1.0
	v_fmac_f64_e32 v[160:161], v[160:161], v[164:165]
	v_div_scale_f64 v[164:165], vcc, 1.0, v[156:157], 1.0
	v_mul_f64 v[166:167], v[164:165], v[160:161]
	v_fma_f64 v[158:159], -v[158:159], v[166:167], v[164:165]
	s_nop 1
	v_div_fmas_f64 v[158:159], v[158:159], v[160:161], v[166:167]
	v_div_fixup_f64 v[160:161], v[158:159], v[156:157], 1.0
	v_mul_f64 v[162:163], v[162:163], -v[160:161]
.LBB77_223:
	s_or_b64 exec, exec, s[2:3]
	ds_write2_b64 v215, v[160:161], v[162:163] offset1:1
.LBB77_224:
	s_or_b64 exec, exec, s[4:5]
	s_waitcnt lgkmcnt(0)
	s_barrier
	ds_read2_b64 v[156:159], v215 offset1:1
	v_cmp_lt_u32_e32 vcc, 24, v214
	s_waitcnt lgkmcnt(0)
	scratch_store_dwordx4 off, v[156:159], off offset:576 ; 16-byte Folded Spill
	s_and_saveexec_b64 s[2:3], vcc
	s_cbranch_execz .LBB77_226
; %bb.225:
	scratch_load_dwordx4 v[158:161], off, off offset:576 ; 16-byte Folded Reload
	s_waitcnt vmcnt(0)
	v_mul_f64 v[156:157], v[158:159], v[54:55]
	v_mul_f64 v[54:55], v[160:161], v[54:55]
	v_fmac_f64_e32 v[156:157], v[160:161], v[52:53]
	v_fma_f64 v[52:53], v[158:159], v[52:53], -v[54:55]
	ds_read2_b64 v[158:161], v212 offset0:50 offset1:51
	s_waitcnt lgkmcnt(0)
	v_mul_f64 v[54:55], v[160:161], v[156:157]
	v_fma_f64 v[54:55], v[158:159], v[52:53], -v[54:55]
	v_mul_f64 v[158:159], v[158:159], v[156:157]
	v_fmac_f64_e32 v[158:159], v[160:161], v[52:53]
	v_add_f64 v[50:51], v[50:51], -v[158:159]
	ds_read2_b64 v[158:161], v212 offset0:52 offset1:53
	v_add_f64 v[48:49], v[48:49], -v[54:55]
	s_waitcnt lgkmcnt(0)
	v_mul_f64 v[54:55], v[160:161], v[156:157]
	v_fma_f64 v[54:55], v[158:159], v[52:53], -v[54:55]
	v_mul_f64 v[158:159], v[158:159], v[156:157]
	v_fmac_f64_e32 v[158:159], v[160:161], v[52:53]
	v_add_f64 v[46:47], v[46:47], -v[158:159]
	ds_read2_b64 v[158:161], v212 offset0:54 offset1:55
	v_add_f64 v[44:45], v[44:45], -v[54:55]
	;; [unrolled: 8-line block ×13, first 2 shown]
	s_waitcnt lgkmcnt(0)
	v_mul_f64 v[54:55], v[160:161], v[156:157]
	v_fma_f64 v[54:55], v[158:159], v[52:53], -v[54:55]
	v_mul_f64 v[158:159], v[158:159], v[156:157]
	v_fmac_f64_e32 v[158:159], v[160:161], v[52:53]
	v_add_f64 v[152:153], v[152:153], -v[54:55]
	v_add_f64 v[154:155], v[154:155], -v[158:159]
	v_mov_b64_e32 v[54:55], v[156:157]
.LBB77_226:
	s_or_b64 exec, exec, s[2:3]
	v_cmp_eq_u32_e32 vcc, 25, v214
	s_waitcnt vmcnt(63) expcnt(7) lgkmcnt(15)
	s_barrier
	s_and_saveexec_b64 s[4:5], vcc
	s_cbranch_execz .LBB77_233
; %bb.227:
	s_waitcnt vmcnt(57)
	ds_write2_b64 v215, v[48:49], v[50:51] offset1:1
	s_waitcnt vmcnt(56)
	ds_write2_b64 v212, v[44:45], v[46:47] offset0:52 offset1:53
	s_waitcnt vmcnt(55)
	ds_write2_b64 v212, v[40:41], v[42:43] offset0:54 offset1:55
	;; [unrolled: 2-line block ×6, first 2 shown]
	ds_write2_b64 v212, v[20:21], v[22:23] offset0:64 offset1:65
	s_waitcnt vmcnt(35)
	ds_write2_b64 v212, v[16:17], v[18:19] offset0:66 offset1:67
	s_waitcnt vmcnt(34)
	;; [unrolled: 2-line block ×4, first 2 shown]
	ds_write2_b64 v212, v[4:5], v[6:7] offset0:72 offset1:73
	ds_write2_b64 v212, v[0:1], v[2:3] offset0:74 offset1:75
	s_waitcnt vmcnt(30)
	ds_write2_b64 v212, v[152:153], v[154:155] offset0:76 offset1:77
	ds_read2_b64 v[156:159], v215 offset1:1
	s_waitcnt lgkmcnt(0)
	v_cmp_neq_f64_e32 vcc, 0, v[156:157]
	v_cmp_neq_f64_e64 s[2:3], 0, v[158:159]
	s_or_b64 s[2:3], vcc, s[2:3]
	s_and_b64 exec, exec, s[2:3]
	s_cbranch_execz .LBB77_233
; %bb.228:
	v_cmp_ngt_f64_e64 s[2:3], |v[156:157]|, |v[158:159]|
                                        ; implicit-def: $vgpr160_vgpr161
	s_and_saveexec_b64 s[10:11], s[2:3]
	s_xor_b64 s[2:3], exec, s[10:11]
                                        ; implicit-def: $vgpr162_vgpr163
	s_cbranch_execz .LBB77_230
; %bb.229:
	v_div_scale_f64 v[160:161], s[10:11], v[158:159], v[158:159], v[156:157]
	v_rcp_f64_e32 v[162:163], v[160:161]
	v_div_scale_f64 v[164:165], vcc, v[156:157], v[158:159], v[156:157]
	v_fma_f64 v[166:167], -v[160:161], v[162:163], 1.0
	v_fmac_f64_e32 v[162:163], v[162:163], v[166:167]
	v_fma_f64 v[166:167], -v[160:161], v[162:163], 1.0
	v_fmac_f64_e32 v[162:163], v[162:163], v[166:167]
	v_mul_f64 v[166:167], v[164:165], v[162:163]
	v_fma_f64 v[160:161], -v[160:161], v[166:167], v[164:165]
	v_div_fmas_f64 v[160:161], v[160:161], v[162:163], v[166:167]
	v_div_fixup_f64 v[160:161], v[160:161], v[158:159], v[156:157]
	v_fmac_f64_e32 v[158:159], v[156:157], v[160:161]
	v_div_scale_f64 v[156:157], s[10:11], v[158:159], v[158:159], 1.0
	v_rcp_f64_e32 v[162:163], v[156:157]
	s_nop 0
	v_fma_f64 v[164:165], -v[156:157], v[162:163], 1.0
	v_fmac_f64_e32 v[162:163], v[162:163], v[164:165]
	v_fma_f64 v[164:165], -v[156:157], v[162:163], 1.0
	v_fmac_f64_e32 v[162:163], v[162:163], v[164:165]
	v_div_scale_f64 v[164:165], vcc, 1.0, v[158:159], 1.0
	v_mul_f64 v[166:167], v[164:165], v[162:163]
	v_fma_f64 v[156:157], -v[156:157], v[166:167], v[164:165]
	s_nop 1
	v_div_fmas_f64 v[156:157], v[156:157], v[162:163], v[166:167]
	v_div_fixup_f64 v[162:163], v[156:157], v[158:159], 1.0
	v_mul_f64 v[160:161], v[160:161], v[162:163]
	v_xor_b32_e32 v163, 0x80000000, v163
                                        ; implicit-def: $vgpr156_vgpr157
.LBB77_230:
	s_andn2_saveexec_b64 s[2:3], s[2:3]
	s_cbranch_execz .LBB77_232
; %bb.231:
	v_div_scale_f64 v[160:161], s[10:11], v[156:157], v[156:157], v[158:159]
	v_rcp_f64_e32 v[162:163], v[160:161]
	v_div_scale_f64 v[164:165], vcc, v[158:159], v[156:157], v[158:159]
	v_fma_f64 v[166:167], -v[160:161], v[162:163], 1.0
	v_fmac_f64_e32 v[162:163], v[162:163], v[166:167]
	v_fma_f64 v[166:167], -v[160:161], v[162:163], 1.0
	v_fmac_f64_e32 v[162:163], v[162:163], v[166:167]
	v_mul_f64 v[166:167], v[164:165], v[162:163]
	v_fma_f64 v[160:161], -v[160:161], v[166:167], v[164:165]
	v_div_fmas_f64 v[160:161], v[160:161], v[162:163], v[166:167]
	v_div_fixup_f64 v[162:163], v[160:161], v[156:157], v[158:159]
	v_fmac_f64_e32 v[156:157], v[158:159], v[162:163]
	v_div_scale_f64 v[158:159], s[10:11], v[156:157], v[156:157], 1.0
	v_rcp_f64_e32 v[160:161], v[158:159]
	s_nop 0
	v_fma_f64 v[164:165], -v[158:159], v[160:161], 1.0
	v_fmac_f64_e32 v[160:161], v[160:161], v[164:165]
	v_fma_f64 v[164:165], -v[158:159], v[160:161], 1.0
	v_fmac_f64_e32 v[160:161], v[160:161], v[164:165]
	v_div_scale_f64 v[164:165], vcc, 1.0, v[156:157], 1.0
	v_mul_f64 v[166:167], v[164:165], v[160:161]
	v_fma_f64 v[158:159], -v[158:159], v[166:167], v[164:165]
	s_nop 1
	v_div_fmas_f64 v[158:159], v[158:159], v[160:161], v[166:167]
	v_div_fixup_f64 v[160:161], v[158:159], v[156:157], 1.0
	v_mul_f64 v[162:163], v[162:163], -v[160:161]
.LBB77_232:
	s_or_b64 exec, exec, s[2:3]
	ds_write2_b64 v215, v[160:161], v[162:163] offset1:1
.LBB77_233:
	s_or_b64 exec, exec, s[4:5]
	s_waitcnt lgkmcnt(0)
	s_barrier
	ds_read2_b64 v[156:159], v215 offset1:1
	v_cmp_lt_u32_e32 vcc, 25, v214
	s_waitcnt lgkmcnt(0)
	scratch_store_dwordx4 off, v[156:159], off offset:592 ; 16-byte Folded Spill
	s_and_saveexec_b64 s[2:3], vcc
	s_cbranch_execz .LBB77_235
; %bb.234:
	scratch_load_dwordx4 v[156:159], off, off offset:592 ; 16-byte Folded Reload
	ds_read2_b64 v[162:165], v212 offset0:52 offset1:53
	s_waitcnt vmcnt(0)
	v_mul_f64 v[160:161], v[156:157], v[50:51]
	v_fmac_f64_e32 v[160:161], v[158:159], v[48:49]
	v_mul_f64 v[50:51], v[158:159], v[50:51]
	v_fma_f64 v[48:49], v[156:157], v[48:49], -v[50:51]
	s_waitcnt lgkmcnt(0)
	v_mul_f64 v[50:51], v[164:165], v[160:161]
	v_fma_f64 v[50:51], v[162:163], v[48:49], -v[50:51]
	v_mul_f64 v[162:163], v[162:163], v[160:161]
	v_fmac_f64_e32 v[162:163], v[164:165], v[48:49]
	v_add_f64 v[46:47], v[46:47], -v[162:163]
	ds_read2_b64 v[162:165], v212 offset0:54 offset1:55
	v_add_f64 v[44:45], v[44:45], -v[50:51]
	s_waitcnt lgkmcnt(0)
	v_mul_f64 v[50:51], v[164:165], v[160:161]
	v_fma_f64 v[50:51], v[162:163], v[48:49], -v[50:51]
	v_mul_f64 v[162:163], v[162:163], v[160:161]
	v_fmac_f64_e32 v[162:163], v[164:165], v[48:49]
	v_add_f64 v[42:43], v[42:43], -v[162:163]
	ds_read2_b64 v[162:165], v212 offset0:56 offset1:57
	v_add_f64 v[40:41], v[40:41], -v[50:51]
	;; [unrolled: 8-line block ×12, first 2 shown]
	s_waitcnt lgkmcnt(0)
	v_mul_f64 v[50:51], v[164:165], v[160:161]
	v_fma_f64 v[50:51], v[162:163], v[48:49], -v[50:51]
	v_mul_f64 v[162:163], v[162:163], v[160:161]
	v_fmac_f64_e32 v[162:163], v[164:165], v[48:49]
	v_add_f64 v[152:153], v[152:153], -v[50:51]
	v_add_f64 v[154:155], v[154:155], -v[162:163]
	v_mov_b64_e32 v[50:51], v[160:161]
.LBB77_235:
	s_or_b64 exec, exec, s[2:3]
	v_cmp_eq_u32_e32 vcc, 26, v214
	s_waitcnt vmcnt(63) expcnt(7) lgkmcnt(15)
	s_barrier
	s_and_saveexec_b64 s[4:5], vcc
	s_cbranch_execz .LBB77_242
; %bb.236:
	s_waitcnt vmcnt(57)
	ds_write2_b64 v215, v[44:45], v[46:47] offset1:1
	s_waitcnt vmcnt(56)
	ds_write2_b64 v212, v[40:41], v[42:43] offset0:54 offset1:55
	s_waitcnt vmcnt(55)
	ds_write2_b64 v212, v[36:37], v[38:39] offset0:56 offset1:57
	;; [unrolled: 2-line block ×5, first 2 shown]
	ds_write2_b64 v212, v[20:21], v[22:23] offset0:64 offset1:65
	s_waitcnt vmcnt(36)
	ds_write2_b64 v212, v[16:17], v[18:19] offset0:66 offset1:67
	s_waitcnt vmcnt(35)
	;; [unrolled: 2-line block ×4, first 2 shown]
	ds_write2_b64 v212, v[4:5], v[6:7] offset0:72 offset1:73
	ds_write2_b64 v212, v[0:1], v[2:3] offset0:74 offset1:75
	s_waitcnt vmcnt(31)
	ds_write2_b64 v212, v[152:153], v[154:155] offset0:76 offset1:77
	ds_read2_b64 v[160:163], v215 offset1:1
	s_waitcnt lgkmcnt(0)
	v_cmp_neq_f64_e32 vcc, 0, v[160:161]
	v_cmp_neq_f64_e64 s[2:3], 0, v[162:163]
	s_or_b64 s[2:3], vcc, s[2:3]
	s_and_b64 exec, exec, s[2:3]
	s_cbranch_execz .LBB77_242
; %bb.237:
	v_cmp_ngt_f64_e64 s[2:3], |v[160:161]|, |v[162:163]|
                                        ; implicit-def: $vgpr164_vgpr165
	s_and_saveexec_b64 s[10:11], s[2:3]
	s_xor_b64 s[2:3], exec, s[10:11]
                                        ; implicit-def: $vgpr166_vgpr167
	s_cbranch_execz .LBB77_239
; %bb.238:
	v_div_scale_f64 v[164:165], s[10:11], v[162:163], v[162:163], v[160:161]
	v_rcp_f64_e32 v[166:167], v[164:165]
	v_div_scale_f64 v[168:169], vcc, v[160:161], v[162:163], v[160:161]
	v_fma_f64 v[170:171], -v[164:165], v[166:167], 1.0
	v_fmac_f64_e32 v[166:167], v[166:167], v[170:171]
	v_fma_f64 v[170:171], -v[164:165], v[166:167], 1.0
	v_fmac_f64_e32 v[166:167], v[166:167], v[170:171]
	v_mul_f64 v[170:171], v[168:169], v[166:167]
	v_fma_f64 v[164:165], -v[164:165], v[170:171], v[168:169]
	v_div_fmas_f64 v[164:165], v[164:165], v[166:167], v[170:171]
	v_div_fixup_f64 v[164:165], v[164:165], v[162:163], v[160:161]
	v_fmac_f64_e32 v[162:163], v[160:161], v[164:165]
	v_div_scale_f64 v[160:161], s[10:11], v[162:163], v[162:163], 1.0
	v_rcp_f64_e32 v[166:167], v[160:161]
	s_nop 0
	v_fma_f64 v[168:169], -v[160:161], v[166:167], 1.0
	v_fmac_f64_e32 v[166:167], v[166:167], v[168:169]
	v_fma_f64 v[168:169], -v[160:161], v[166:167], 1.0
	v_fmac_f64_e32 v[166:167], v[166:167], v[168:169]
	v_div_scale_f64 v[168:169], vcc, 1.0, v[162:163], 1.0
	v_mul_f64 v[170:171], v[168:169], v[166:167]
	v_fma_f64 v[160:161], -v[160:161], v[170:171], v[168:169]
	s_nop 1
	v_div_fmas_f64 v[160:161], v[160:161], v[166:167], v[170:171]
	v_div_fixup_f64 v[166:167], v[160:161], v[162:163], 1.0
	v_mul_f64 v[164:165], v[164:165], v[166:167]
	v_xor_b32_e32 v167, 0x80000000, v167
                                        ; implicit-def: $vgpr160_vgpr161
.LBB77_239:
	s_andn2_saveexec_b64 s[2:3], s[2:3]
	s_cbranch_execz .LBB77_241
; %bb.240:
	v_div_scale_f64 v[164:165], s[10:11], v[160:161], v[160:161], v[162:163]
	v_rcp_f64_e32 v[166:167], v[164:165]
	v_div_scale_f64 v[168:169], vcc, v[162:163], v[160:161], v[162:163]
	v_fma_f64 v[170:171], -v[164:165], v[166:167], 1.0
	v_fmac_f64_e32 v[166:167], v[166:167], v[170:171]
	v_fma_f64 v[170:171], -v[164:165], v[166:167], 1.0
	v_fmac_f64_e32 v[166:167], v[166:167], v[170:171]
	v_mul_f64 v[170:171], v[168:169], v[166:167]
	v_fma_f64 v[164:165], -v[164:165], v[170:171], v[168:169]
	v_div_fmas_f64 v[164:165], v[164:165], v[166:167], v[170:171]
	v_div_fixup_f64 v[166:167], v[164:165], v[160:161], v[162:163]
	v_fmac_f64_e32 v[160:161], v[162:163], v[166:167]
	v_div_scale_f64 v[162:163], s[10:11], v[160:161], v[160:161], 1.0
	v_rcp_f64_e32 v[164:165], v[162:163]
	s_nop 0
	v_fma_f64 v[168:169], -v[162:163], v[164:165], 1.0
	v_fmac_f64_e32 v[164:165], v[164:165], v[168:169]
	v_fma_f64 v[168:169], -v[162:163], v[164:165], 1.0
	v_fmac_f64_e32 v[164:165], v[164:165], v[168:169]
	v_div_scale_f64 v[168:169], vcc, 1.0, v[160:161], 1.0
	v_mul_f64 v[170:171], v[168:169], v[164:165]
	v_fma_f64 v[162:163], -v[162:163], v[170:171], v[168:169]
	s_nop 1
	v_div_fmas_f64 v[162:163], v[162:163], v[164:165], v[170:171]
	v_div_fixup_f64 v[164:165], v[162:163], v[160:161], 1.0
	v_mul_f64 v[166:167], v[166:167], -v[164:165]
.LBB77_241:
	s_or_b64 exec, exec, s[2:3]
	ds_write2_b64 v215, v[164:165], v[166:167] offset1:1
.LBB77_242:
	s_or_b64 exec, exec, s[4:5]
	s_waitcnt lgkmcnt(0)
	s_barrier
	ds_read2_b64 v[160:163], v215 offset1:1
	v_cmp_lt_u32_e32 vcc, 26, v214
	s_and_saveexec_b64 s[2:3], vcc
	s_cbranch_execz .LBB77_244
; %bb.243:
	ds_read2_b64 v[166:169], v212 offset0:54 offset1:55
	s_waitcnt vmcnt(57) lgkmcnt(1)
	v_mul_f64 v[164:165], v[160:161], v[46:47]
	v_fmac_f64_e32 v[164:165], v[162:163], v[44:45]
	v_mul_f64 v[46:47], v[162:163], v[46:47]
	v_fma_f64 v[44:45], v[160:161], v[44:45], -v[46:47]
	s_waitcnt lgkmcnt(0)
	v_mul_f64 v[46:47], v[168:169], v[164:165]
	v_fma_f64 v[46:47], v[166:167], v[44:45], -v[46:47]
	v_mul_f64 v[166:167], v[166:167], v[164:165]
	v_fmac_f64_e32 v[166:167], v[168:169], v[44:45]
	s_waitcnt vmcnt(56)
	v_add_f64 v[42:43], v[42:43], -v[166:167]
	ds_read2_b64 v[166:169], v212 offset0:56 offset1:57
	v_add_f64 v[40:41], v[40:41], -v[46:47]
	s_waitcnt lgkmcnt(0)
	v_mul_f64 v[46:47], v[168:169], v[164:165]
	v_fma_f64 v[46:47], v[166:167], v[44:45], -v[46:47]
	v_mul_f64 v[166:167], v[166:167], v[164:165]
	v_fmac_f64_e32 v[166:167], v[168:169], v[44:45]
	s_waitcnt vmcnt(55)
	v_add_f64 v[38:39], v[38:39], -v[166:167]
	ds_read2_b64 v[166:169], v212 offset0:58 offset1:59
	v_add_f64 v[36:37], v[36:37], -v[46:47]
	;; [unrolled: 9-line block ×5, first 2 shown]
	s_waitcnt lgkmcnt(0)
	v_mul_f64 v[46:47], v[168:169], v[164:165]
	v_fma_f64 v[46:47], v[166:167], v[44:45], -v[46:47]
	v_mul_f64 v[166:167], v[166:167], v[164:165]
	v_fmac_f64_e32 v[166:167], v[168:169], v[44:45]
	v_add_f64 v[22:23], v[22:23], -v[166:167]
	ds_read2_b64 v[166:169], v212 offset0:66 offset1:67
	v_add_f64 v[20:21], v[20:21], -v[46:47]
	s_waitcnt lgkmcnt(0)
	v_mul_f64 v[46:47], v[168:169], v[164:165]
	v_fma_f64 v[46:47], v[166:167], v[44:45], -v[46:47]
	v_mul_f64 v[166:167], v[166:167], v[164:165]
	v_fmac_f64_e32 v[166:167], v[168:169], v[44:45]
	s_waitcnt vmcnt(36)
	v_add_f64 v[18:19], v[18:19], -v[166:167]
	ds_read2_b64 v[166:169], v212 offset0:68 offset1:69
	v_add_f64 v[16:17], v[16:17], -v[46:47]
	s_waitcnt lgkmcnt(0)
	v_mul_f64 v[46:47], v[168:169], v[164:165]
	v_fma_f64 v[46:47], v[166:167], v[44:45], -v[46:47]
	v_mul_f64 v[166:167], v[166:167], v[164:165]
	v_fmac_f64_e32 v[166:167], v[168:169], v[44:45]
	s_waitcnt vmcnt(35)
	;; [unrolled: 9-line block ×4, first 2 shown]
	v_add_f64 v[6:7], v[6:7], -v[166:167]
	ds_read2_b64 v[166:169], v212 offset0:74 offset1:75
	v_add_f64 v[4:5], v[4:5], -v[46:47]
	s_waitcnt lgkmcnt(0)
	v_mul_f64 v[46:47], v[168:169], v[164:165]
	v_fma_f64 v[46:47], v[166:167], v[44:45], -v[46:47]
	v_mul_f64 v[166:167], v[166:167], v[164:165]
	v_fmac_f64_e32 v[166:167], v[168:169], v[44:45]
	v_add_f64 v[2:3], v[2:3], -v[166:167]
	ds_read2_b64 v[166:169], v212 offset0:76 offset1:77
	v_add_f64 v[0:1], v[0:1], -v[46:47]
	s_waitcnt lgkmcnt(0)
	v_mul_f64 v[46:47], v[168:169], v[164:165]
	v_fma_f64 v[46:47], v[166:167], v[44:45], -v[46:47]
	v_mul_f64 v[166:167], v[166:167], v[164:165]
	v_fmac_f64_e32 v[166:167], v[168:169], v[44:45]
	s_waitcnt vmcnt(31)
	v_add_f64 v[152:153], v[152:153], -v[46:47]
	v_add_f64 v[154:155], v[154:155], -v[166:167]
	v_mov_b64_e32 v[46:47], v[164:165]
.LBB77_244:
	s_or_b64 exec, exec, s[2:3]
	v_cmp_eq_u32_e32 vcc, 27, v214
	s_waitcnt lgkmcnt(0)
	s_barrier
	s_and_saveexec_b64 s[4:5], vcc
	s_cbranch_execz .LBB77_251
; %bb.245:
	s_waitcnt vmcnt(56)
	ds_write2_b64 v215, v[40:41], v[42:43] offset1:1
	s_waitcnt vmcnt(55)
	ds_write2_b64 v212, v[36:37], v[38:39] offset0:56 offset1:57
	s_waitcnt vmcnt(54)
	ds_write2_b64 v212, v[32:33], v[34:35] offset0:58 offset1:59
	;; [unrolled: 2-line block ×4, first 2 shown]
	ds_write2_b64 v212, v[20:21], v[22:23] offset0:64 offset1:65
	s_waitcnt vmcnt(36)
	ds_write2_b64 v212, v[16:17], v[18:19] offset0:66 offset1:67
	s_waitcnt vmcnt(35)
	;; [unrolled: 2-line block ×4, first 2 shown]
	ds_write2_b64 v212, v[4:5], v[6:7] offset0:72 offset1:73
	ds_write2_b64 v212, v[0:1], v[2:3] offset0:74 offset1:75
	s_waitcnt vmcnt(31)
	ds_write2_b64 v212, v[152:153], v[154:155] offset0:76 offset1:77
	ds_read2_b64 v[164:167], v215 offset1:1
	s_waitcnt lgkmcnt(0)
	v_cmp_neq_f64_e32 vcc, 0, v[164:165]
	v_cmp_neq_f64_e64 s[2:3], 0, v[166:167]
	s_or_b64 s[2:3], vcc, s[2:3]
	s_and_b64 exec, exec, s[2:3]
	s_cbranch_execz .LBB77_251
; %bb.246:
	v_cmp_ngt_f64_e64 s[2:3], |v[164:165]|, |v[166:167]|
                                        ; implicit-def: $vgpr168_vgpr169
	s_and_saveexec_b64 s[10:11], s[2:3]
	s_xor_b64 s[2:3], exec, s[10:11]
                                        ; implicit-def: $vgpr170_vgpr171
	s_cbranch_execz .LBB77_248
; %bb.247:
	v_div_scale_f64 v[168:169], s[10:11], v[166:167], v[166:167], v[164:165]
	v_rcp_f64_e32 v[170:171], v[168:169]
	v_div_scale_f64 v[172:173], vcc, v[164:165], v[166:167], v[164:165]
	v_fma_f64 v[174:175], -v[168:169], v[170:171], 1.0
	v_fmac_f64_e32 v[170:171], v[170:171], v[174:175]
	v_fma_f64 v[174:175], -v[168:169], v[170:171], 1.0
	v_fmac_f64_e32 v[170:171], v[170:171], v[174:175]
	v_mul_f64 v[174:175], v[172:173], v[170:171]
	v_fma_f64 v[168:169], -v[168:169], v[174:175], v[172:173]
	v_div_fmas_f64 v[168:169], v[168:169], v[170:171], v[174:175]
	v_div_fixup_f64 v[168:169], v[168:169], v[166:167], v[164:165]
	v_fmac_f64_e32 v[166:167], v[164:165], v[168:169]
	v_div_scale_f64 v[164:165], s[10:11], v[166:167], v[166:167], 1.0
	v_rcp_f64_e32 v[170:171], v[164:165]
	s_nop 0
	v_fma_f64 v[172:173], -v[164:165], v[170:171], 1.0
	v_fmac_f64_e32 v[170:171], v[170:171], v[172:173]
	v_fma_f64 v[172:173], -v[164:165], v[170:171], 1.0
	v_fmac_f64_e32 v[170:171], v[170:171], v[172:173]
	v_div_scale_f64 v[172:173], vcc, 1.0, v[166:167], 1.0
	v_mul_f64 v[174:175], v[172:173], v[170:171]
	v_fma_f64 v[164:165], -v[164:165], v[174:175], v[172:173]
	s_nop 1
	v_div_fmas_f64 v[164:165], v[164:165], v[170:171], v[174:175]
	v_div_fixup_f64 v[170:171], v[164:165], v[166:167], 1.0
	v_mul_f64 v[168:169], v[168:169], v[170:171]
	v_xor_b32_e32 v171, 0x80000000, v171
                                        ; implicit-def: $vgpr164_vgpr165
.LBB77_248:
	s_andn2_saveexec_b64 s[2:3], s[2:3]
	s_cbranch_execz .LBB77_250
; %bb.249:
	v_div_scale_f64 v[168:169], s[10:11], v[164:165], v[164:165], v[166:167]
	v_rcp_f64_e32 v[170:171], v[168:169]
	v_div_scale_f64 v[172:173], vcc, v[166:167], v[164:165], v[166:167]
	v_fma_f64 v[174:175], -v[168:169], v[170:171], 1.0
	v_fmac_f64_e32 v[170:171], v[170:171], v[174:175]
	v_fma_f64 v[174:175], -v[168:169], v[170:171], 1.0
	v_fmac_f64_e32 v[170:171], v[170:171], v[174:175]
	v_mul_f64 v[174:175], v[172:173], v[170:171]
	v_fma_f64 v[168:169], -v[168:169], v[174:175], v[172:173]
	v_div_fmas_f64 v[168:169], v[168:169], v[170:171], v[174:175]
	v_div_fixup_f64 v[170:171], v[168:169], v[164:165], v[166:167]
	v_fmac_f64_e32 v[164:165], v[166:167], v[170:171]
	v_div_scale_f64 v[166:167], s[10:11], v[164:165], v[164:165], 1.0
	v_rcp_f64_e32 v[168:169], v[166:167]
	s_nop 0
	v_fma_f64 v[172:173], -v[166:167], v[168:169], 1.0
	v_fmac_f64_e32 v[168:169], v[168:169], v[172:173]
	v_fma_f64 v[172:173], -v[166:167], v[168:169], 1.0
	v_fmac_f64_e32 v[168:169], v[168:169], v[172:173]
	v_div_scale_f64 v[172:173], vcc, 1.0, v[164:165], 1.0
	v_mul_f64 v[174:175], v[172:173], v[168:169]
	v_fma_f64 v[166:167], -v[166:167], v[174:175], v[172:173]
	s_nop 1
	v_div_fmas_f64 v[166:167], v[166:167], v[168:169], v[174:175]
	v_div_fixup_f64 v[168:169], v[166:167], v[164:165], 1.0
	v_mul_f64 v[170:171], v[170:171], -v[168:169]
.LBB77_250:
	s_or_b64 exec, exec, s[2:3]
	ds_write2_b64 v215, v[168:169], v[170:171] offset1:1
.LBB77_251:
	s_or_b64 exec, exec, s[4:5]
	s_waitcnt lgkmcnt(0)
	s_barrier
	ds_read2_b64 v[164:167], v215 offset1:1
	v_cmp_lt_u32_e32 vcc, 27, v214
	s_and_saveexec_b64 s[2:3], vcc
	s_cbranch_execz .LBB77_253
; %bb.252:
	ds_read2_b64 v[170:173], v212 offset0:56 offset1:57
	s_waitcnt vmcnt(56) lgkmcnt(1)
	v_mul_f64 v[168:169], v[164:165], v[42:43]
	v_fmac_f64_e32 v[168:169], v[166:167], v[40:41]
	v_mul_f64 v[42:43], v[166:167], v[42:43]
	v_fma_f64 v[40:41], v[164:165], v[40:41], -v[42:43]
	s_waitcnt lgkmcnt(0)
	v_mul_f64 v[42:43], v[172:173], v[168:169]
	v_fma_f64 v[42:43], v[170:171], v[40:41], -v[42:43]
	v_mul_f64 v[170:171], v[170:171], v[168:169]
	v_fmac_f64_e32 v[170:171], v[172:173], v[40:41]
	s_waitcnt vmcnt(55)
	v_add_f64 v[38:39], v[38:39], -v[170:171]
	ds_read2_b64 v[170:173], v212 offset0:58 offset1:59
	v_add_f64 v[36:37], v[36:37], -v[42:43]
	s_waitcnt lgkmcnt(0)
	v_mul_f64 v[42:43], v[172:173], v[168:169]
	v_fma_f64 v[42:43], v[170:171], v[40:41], -v[42:43]
	v_mul_f64 v[170:171], v[170:171], v[168:169]
	v_fmac_f64_e32 v[170:171], v[172:173], v[40:41]
	s_waitcnt vmcnt(54)
	v_add_f64 v[34:35], v[34:35], -v[170:171]
	ds_read2_b64 v[170:173], v212 offset0:60 offset1:61
	v_add_f64 v[32:33], v[32:33], -v[42:43]
	;; [unrolled: 9-line block ×4, first 2 shown]
	s_waitcnt lgkmcnt(0)
	v_mul_f64 v[42:43], v[172:173], v[168:169]
	v_fma_f64 v[42:43], v[170:171], v[40:41], -v[42:43]
	v_mul_f64 v[170:171], v[170:171], v[168:169]
	v_fmac_f64_e32 v[170:171], v[172:173], v[40:41]
	v_add_f64 v[22:23], v[22:23], -v[170:171]
	ds_read2_b64 v[170:173], v212 offset0:66 offset1:67
	v_add_f64 v[20:21], v[20:21], -v[42:43]
	s_waitcnt lgkmcnt(0)
	v_mul_f64 v[42:43], v[172:173], v[168:169]
	v_fma_f64 v[42:43], v[170:171], v[40:41], -v[42:43]
	v_mul_f64 v[170:171], v[170:171], v[168:169]
	v_fmac_f64_e32 v[170:171], v[172:173], v[40:41]
	s_waitcnt vmcnt(36)
	v_add_f64 v[18:19], v[18:19], -v[170:171]
	ds_read2_b64 v[170:173], v212 offset0:68 offset1:69
	v_add_f64 v[16:17], v[16:17], -v[42:43]
	s_waitcnt lgkmcnt(0)
	v_mul_f64 v[42:43], v[172:173], v[168:169]
	v_fma_f64 v[42:43], v[170:171], v[40:41], -v[42:43]
	v_mul_f64 v[170:171], v[170:171], v[168:169]
	v_fmac_f64_e32 v[170:171], v[172:173], v[40:41]
	s_waitcnt vmcnt(35)
	;; [unrolled: 9-line block ×4, first 2 shown]
	v_add_f64 v[6:7], v[6:7], -v[170:171]
	ds_read2_b64 v[170:173], v212 offset0:74 offset1:75
	v_add_f64 v[4:5], v[4:5], -v[42:43]
	s_waitcnt lgkmcnt(0)
	v_mul_f64 v[42:43], v[172:173], v[168:169]
	v_fma_f64 v[42:43], v[170:171], v[40:41], -v[42:43]
	v_mul_f64 v[170:171], v[170:171], v[168:169]
	v_fmac_f64_e32 v[170:171], v[172:173], v[40:41]
	v_add_f64 v[2:3], v[2:3], -v[170:171]
	ds_read2_b64 v[170:173], v212 offset0:76 offset1:77
	v_add_f64 v[0:1], v[0:1], -v[42:43]
	s_waitcnt lgkmcnt(0)
	v_mul_f64 v[42:43], v[172:173], v[168:169]
	v_fma_f64 v[42:43], v[170:171], v[40:41], -v[42:43]
	v_mul_f64 v[170:171], v[170:171], v[168:169]
	v_fmac_f64_e32 v[170:171], v[172:173], v[40:41]
	s_waitcnt vmcnt(31)
	v_add_f64 v[152:153], v[152:153], -v[42:43]
	v_add_f64 v[154:155], v[154:155], -v[170:171]
	v_mov_b64_e32 v[42:43], v[168:169]
.LBB77_253:
	s_or_b64 exec, exec, s[2:3]
	v_cmp_eq_u32_e32 vcc, 28, v214
	s_waitcnt lgkmcnt(0)
	s_barrier
	s_and_saveexec_b64 s[4:5], vcc
	s_cbranch_execz .LBB77_260
; %bb.254:
	s_waitcnt vmcnt(55)
	ds_write2_b64 v215, v[36:37], v[38:39] offset1:1
	s_waitcnt vmcnt(54)
	ds_write2_b64 v212, v[32:33], v[34:35] offset0:58 offset1:59
	s_waitcnt vmcnt(53)
	ds_write2_b64 v212, v[28:29], v[30:31] offset0:60 offset1:61
	;; [unrolled: 2-line block ×3, first 2 shown]
	ds_write2_b64 v212, v[20:21], v[22:23] offset0:64 offset1:65
	s_waitcnt vmcnt(36)
	ds_write2_b64 v212, v[16:17], v[18:19] offset0:66 offset1:67
	s_waitcnt vmcnt(35)
	;; [unrolled: 2-line block ×4, first 2 shown]
	ds_write2_b64 v212, v[4:5], v[6:7] offset0:72 offset1:73
	ds_write2_b64 v212, v[0:1], v[2:3] offset0:74 offset1:75
	s_waitcnt vmcnt(31)
	ds_write2_b64 v212, v[152:153], v[154:155] offset0:76 offset1:77
	ds_read2_b64 v[168:171], v215 offset1:1
	s_waitcnt lgkmcnt(0)
	v_cmp_neq_f64_e32 vcc, 0, v[168:169]
	v_cmp_neq_f64_e64 s[2:3], 0, v[170:171]
	s_or_b64 s[2:3], vcc, s[2:3]
	s_and_b64 exec, exec, s[2:3]
	s_cbranch_execz .LBB77_260
; %bb.255:
	v_cmp_ngt_f64_e64 s[2:3], |v[168:169]|, |v[170:171]|
                                        ; implicit-def: $vgpr172_vgpr173
	s_and_saveexec_b64 s[10:11], s[2:3]
	s_xor_b64 s[2:3], exec, s[10:11]
                                        ; implicit-def: $vgpr174_vgpr175
	s_cbranch_execz .LBB77_257
; %bb.256:
	v_div_scale_f64 v[172:173], s[10:11], v[170:171], v[170:171], v[168:169]
	v_rcp_f64_e32 v[174:175], v[172:173]
	v_div_scale_f64 v[176:177], vcc, v[168:169], v[170:171], v[168:169]
	v_fma_f64 v[178:179], -v[172:173], v[174:175], 1.0
	v_fmac_f64_e32 v[174:175], v[174:175], v[178:179]
	v_fma_f64 v[178:179], -v[172:173], v[174:175], 1.0
	v_fmac_f64_e32 v[174:175], v[174:175], v[178:179]
	v_mul_f64 v[178:179], v[176:177], v[174:175]
	v_fma_f64 v[172:173], -v[172:173], v[178:179], v[176:177]
	v_div_fmas_f64 v[172:173], v[172:173], v[174:175], v[178:179]
	v_div_fixup_f64 v[172:173], v[172:173], v[170:171], v[168:169]
	v_fmac_f64_e32 v[170:171], v[168:169], v[172:173]
	v_div_scale_f64 v[168:169], s[10:11], v[170:171], v[170:171], 1.0
	v_rcp_f64_e32 v[174:175], v[168:169]
	s_nop 0
	v_fma_f64 v[176:177], -v[168:169], v[174:175], 1.0
	v_fmac_f64_e32 v[174:175], v[174:175], v[176:177]
	v_fma_f64 v[176:177], -v[168:169], v[174:175], 1.0
	v_fmac_f64_e32 v[174:175], v[174:175], v[176:177]
	v_div_scale_f64 v[176:177], vcc, 1.0, v[170:171], 1.0
	v_mul_f64 v[178:179], v[176:177], v[174:175]
	v_fma_f64 v[168:169], -v[168:169], v[178:179], v[176:177]
	s_nop 1
	v_div_fmas_f64 v[168:169], v[168:169], v[174:175], v[178:179]
	v_div_fixup_f64 v[174:175], v[168:169], v[170:171], 1.0
	v_mul_f64 v[172:173], v[172:173], v[174:175]
	v_xor_b32_e32 v175, 0x80000000, v175
                                        ; implicit-def: $vgpr168_vgpr169
.LBB77_257:
	s_andn2_saveexec_b64 s[2:3], s[2:3]
	s_cbranch_execz .LBB77_259
; %bb.258:
	v_div_scale_f64 v[172:173], s[10:11], v[168:169], v[168:169], v[170:171]
	v_rcp_f64_e32 v[174:175], v[172:173]
	v_div_scale_f64 v[176:177], vcc, v[170:171], v[168:169], v[170:171]
	v_fma_f64 v[178:179], -v[172:173], v[174:175], 1.0
	v_fmac_f64_e32 v[174:175], v[174:175], v[178:179]
	v_fma_f64 v[178:179], -v[172:173], v[174:175], 1.0
	v_fmac_f64_e32 v[174:175], v[174:175], v[178:179]
	v_mul_f64 v[178:179], v[176:177], v[174:175]
	v_fma_f64 v[172:173], -v[172:173], v[178:179], v[176:177]
	v_div_fmas_f64 v[172:173], v[172:173], v[174:175], v[178:179]
	v_div_fixup_f64 v[174:175], v[172:173], v[168:169], v[170:171]
	v_fmac_f64_e32 v[168:169], v[170:171], v[174:175]
	v_div_scale_f64 v[170:171], s[10:11], v[168:169], v[168:169], 1.0
	v_rcp_f64_e32 v[172:173], v[170:171]
	s_nop 0
	v_fma_f64 v[176:177], -v[170:171], v[172:173], 1.0
	v_fmac_f64_e32 v[172:173], v[172:173], v[176:177]
	v_fma_f64 v[176:177], -v[170:171], v[172:173], 1.0
	v_fmac_f64_e32 v[172:173], v[172:173], v[176:177]
	v_div_scale_f64 v[176:177], vcc, 1.0, v[168:169], 1.0
	v_mul_f64 v[178:179], v[176:177], v[172:173]
	v_fma_f64 v[170:171], -v[170:171], v[178:179], v[176:177]
	s_nop 1
	v_div_fmas_f64 v[170:171], v[170:171], v[172:173], v[178:179]
	v_div_fixup_f64 v[172:173], v[170:171], v[168:169], 1.0
	v_mul_f64 v[174:175], v[174:175], -v[172:173]
.LBB77_259:
	s_or_b64 exec, exec, s[2:3]
	ds_write2_b64 v215, v[172:173], v[174:175] offset1:1
.LBB77_260:
	s_or_b64 exec, exec, s[4:5]
	s_waitcnt lgkmcnt(0)
	s_barrier
	ds_read2_b64 v[168:171], v215 offset1:1
	v_cmp_lt_u32_e32 vcc, 28, v214
	s_and_saveexec_b64 s[2:3], vcc
	s_cbranch_execz .LBB77_262
; %bb.261:
	ds_read2_b64 v[174:177], v212 offset0:58 offset1:59
	s_waitcnt vmcnt(55) lgkmcnt(1)
	v_mul_f64 v[172:173], v[168:169], v[38:39]
	v_fmac_f64_e32 v[172:173], v[170:171], v[36:37]
	v_mul_f64 v[38:39], v[170:171], v[38:39]
	v_fma_f64 v[36:37], v[168:169], v[36:37], -v[38:39]
	s_waitcnt lgkmcnt(0)
	v_mul_f64 v[38:39], v[176:177], v[172:173]
	v_fma_f64 v[38:39], v[174:175], v[36:37], -v[38:39]
	v_mul_f64 v[174:175], v[174:175], v[172:173]
	v_fmac_f64_e32 v[174:175], v[176:177], v[36:37]
	s_waitcnt vmcnt(54)
	v_add_f64 v[34:35], v[34:35], -v[174:175]
	ds_read2_b64 v[174:177], v212 offset0:60 offset1:61
	v_add_f64 v[32:33], v[32:33], -v[38:39]
	s_waitcnt lgkmcnt(0)
	v_mul_f64 v[38:39], v[176:177], v[172:173]
	v_fma_f64 v[38:39], v[174:175], v[36:37], -v[38:39]
	v_mul_f64 v[174:175], v[174:175], v[172:173]
	v_fmac_f64_e32 v[174:175], v[176:177], v[36:37]
	s_waitcnt vmcnt(53)
	v_add_f64 v[30:31], v[30:31], -v[174:175]
	ds_read2_b64 v[174:177], v212 offset0:62 offset1:63
	v_add_f64 v[28:29], v[28:29], -v[38:39]
	;; [unrolled: 9-line block ×3, first 2 shown]
	s_waitcnt lgkmcnt(0)
	v_mul_f64 v[38:39], v[176:177], v[172:173]
	v_fma_f64 v[38:39], v[174:175], v[36:37], -v[38:39]
	v_mul_f64 v[174:175], v[174:175], v[172:173]
	v_fmac_f64_e32 v[174:175], v[176:177], v[36:37]
	v_add_f64 v[22:23], v[22:23], -v[174:175]
	ds_read2_b64 v[174:177], v212 offset0:66 offset1:67
	v_add_f64 v[20:21], v[20:21], -v[38:39]
	s_waitcnt lgkmcnt(0)
	v_mul_f64 v[38:39], v[176:177], v[172:173]
	v_fma_f64 v[38:39], v[174:175], v[36:37], -v[38:39]
	v_mul_f64 v[174:175], v[174:175], v[172:173]
	v_fmac_f64_e32 v[174:175], v[176:177], v[36:37]
	s_waitcnt vmcnt(36)
	v_add_f64 v[18:19], v[18:19], -v[174:175]
	ds_read2_b64 v[174:177], v212 offset0:68 offset1:69
	v_add_f64 v[16:17], v[16:17], -v[38:39]
	s_waitcnt lgkmcnt(0)
	v_mul_f64 v[38:39], v[176:177], v[172:173]
	v_fma_f64 v[38:39], v[174:175], v[36:37], -v[38:39]
	v_mul_f64 v[174:175], v[174:175], v[172:173]
	v_fmac_f64_e32 v[174:175], v[176:177], v[36:37]
	s_waitcnt vmcnt(35)
	;; [unrolled: 9-line block ×4, first 2 shown]
	v_add_f64 v[6:7], v[6:7], -v[174:175]
	ds_read2_b64 v[174:177], v212 offset0:74 offset1:75
	v_add_f64 v[4:5], v[4:5], -v[38:39]
	s_waitcnt lgkmcnt(0)
	v_mul_f64 v[38:39], v[176:177], v[172:173]
	v_fma_f64 v[38:39], v[174:175], v[36:37], -v[38:39]
	v_mul_f64 v[174:175], v[174:175], v[172:173]
	v_fmac_f64_e32 v[174:175], v[176:177], v[36:37]
	v_add_f64 v[2:3], v[2:3], -v[174:175]
	ds_read2_b64 v[174:177], v212 offset0:76 offset1:77
	v_add_f64 v[0:1], v[0:1], -v[38:39]
	s_waitcnt lgkmcnt(0)
	v_mul_f64 v[38:39], v[176:177], v[172:173]
	v_fma_f64 v[38:39], v[174:175], v[36:37], -v[38:39]
	v_mul_f64 v[174:175], v[174:175], v[172:173]
	v_fmac_f64_e32 v[174:175], v[176:177], v[36:37]
	s_waitcnt vmcnt(31)
	v_add_f64 v[152:153], v[152:153], -v[38:39]
	v_add_f64 v[154:155], v[154:155], -v[174:175]
	v_mov_b64_e32 v[38:39], v[172:173]
.LBB77_262:
	s_or_b64 exec, exec, s[2:3]
	v_cmp_eq_u32_e32 vcc, 29, v214
	s_waitcnt lgkmcnt(0)
	s_barrier
	s_and_saveexec_b64 s[4:5], vcc
	s_cbranch_execz .LBB77_269
; %bb.263:
	s_waitcnt vmcnt(54)
	ds_write2_b64 v215, v[32:33], v[34:35] offset1:1
	s_waitcnt vmcnt(53)
	ds_write2_b64 v212, v[28:29], v[30:31] offset0:60 offset1:61
	s_waitcnt vmcnt(37)
	ds_write2_b64 v212, v[24:25], v[26:27] offset0:62 offset1:63
	ds_write2_b64 v212, v[20:21], v[22:23] offset0:64 offset1:65
	s_waitcnt vmcnt(36)
	ds_write2_b64 v212, v[16:17], v[18:19] offset0:66 offset1:67
	s_waitcnt vmcnt(35)
	;; [unrolled: 2-line block ×4, first 2 shown]
	ds_write2_b64 v212, v[4:5], v[6:7] offset0:72 offset1:73
	ds_write2_b64 v212, v[0:1], v[2:3] offset0:74 offset1:75
	s_waitcnt vmcnt(31)
	ds_write2_b64 v212, v[152:153], v[154:155] offset0:76 offset1:77
	ds_read2_b64 v[172:175], v215 offset1:1
	s_waitcnt lgkmcnt(0)
	v_cmp_neq_f64_e32 vcc, 0, v[172:173]
	v_cmp_neq_f64_e64 s[2:3], 0, v[174:175]
	s_or_b64 s[2:3], vcc, s[2:3]
	s_and_b64 exec, exec, s[2:3]
	s_cbranch_execz .LBB77_269
; %bb.264:
	v_cmp_ngt_f64_e64 s[2:3], |v[172:173]|, |v[174:175]|
                                        ; implicit-def: $vgpr176_vgpr177
	s_and_saveexec_b64 s[10:11], s[2:3]
	s_xor_b64 s[2:3], exec, s[10:11]
                                        ; implicit-def: $vgpr178_vgpr179
	s_cbranch_execz .LBB77_266
; %bb.265:
	v_div_scale_f64 v[176:177], s[10:11], v[174:175], v[174:175], v[172:173]
	v_rcp_f64_e32 v[178:179], v[176:177]
	v_div_scale_f64 v[180:181], vcc, v[172:173], v[174:175], v[172:173]
	v_fma_f64 v[182:183], -v[176:177], v[178:179], 1.0
	v_fmac_f64_e32 v[178:179], v[178:179], v[182:183]
	v_fma_f64 v[182:183], -v[176:177], v[178:179], 1.0
	v_fmac_f64_e32 v[178:179], v[178:179], v[182:183]
	v_mul_f64 v[182:183], v[180:181], v[178:179]
	v_fma_f64 v[176:177], -v[176:177], v[182:183], v[180:181]
	v_div_fmas_f64 v[176:177], v[176:177], v[178:179], v[182:183]
	v_div_fixup_f64 v[176:177], v[176:177], v[174:175], v[172:173]
	v_fmac_f64_e32 v[174:175], v[172:173], v[176:177]
	v_div_scale_f64 v[172:173], s[10:11], v[174:175], v[174:175], 1.0
	v_rcp_f64_e32 v[178:179], v[172:173]
	s_nop 0
	v_fma_f64 v[180:181], -v[172:173], v[178:179], 1.0
	v_fmac_f64_e32 v[178:179], v[178:179], v[180:181]
	v_fma_f64 v[180:181], -v[172:173], v[178:179], 1.0
	v_fmac_f64_e32 v[178:179], v[178:179], v[180:181]
	v_div_scale_f64 v[180:181], vcc, 1.0, v[174:175], 1.0
	v_mul_f64 v[182:183], v[180:181], v[178:179]
	v_fma_f64 v[172:173], -v[172:173], v[182:183], v[180:181]
	s_nop 1
	v_div_fmas_f64 v[172:173], v[172:173], v[178:179], v[182:183]
	v_div_fixup_f64 v[178:179], v[172:173], v[174:175], 1.0
	v_mul_f64 v[176:177], v[176:177], v[178:179]
	v_xor_b32_e32 v179, 0x80000000, v179
                                        ; implicit-def: $vgpr172_vgpr173
.LBB77_266:
	s_andn2_saveexec_b64 s[2:3], s[2:3]
	s_cbranch_execz .LBB77_268
; %bb.267:
	v_div_scale_f64 v[176:177], s[10:11], v[172:173], v[172:173], v[174:175]
	v_rcp_f64_e32 v[178:179], v[176:177]
	v_div_scale_f64 v[180:181], vcc, v[174:175], v[172:173], v[174:175]
	v_fma_f64 v[182:183], -v[176:177], v[178:179], 1.0
	v_fmac_f64_e32 v[178:179], v[178:179], v[182:183]
	v_fma_f64 v[182:183], -v[176:177], v[178:179], 1.0
	v_fmac_f64_e32 v[178:179], v[178:179], v[182:183]
	v_mul_f64 v[182:183], v[180:181], v[178:179]
	v_fma_f64 v[176:177], -v[176:177], v[182:183], v[180:181]
	v_div_fmas_f64 v[176:177], v[176:177], v[178:179], v[182:183]
	v_div_fixup_f64 v[178:179], v[176:177], v[172:173], v[174:175]
	v_fmac_f64_e32 v[172:173], v[174:175], v[178:179]
	v_div_scale_f64 v[174:175], s[10:11], v[172:173], v[172:173], 1.0
	v_rcp_f64_e32 v[176:177], v[174:175]
	s_nop 0
	v_fma_f64 v[180:181], -v[174:175], v[176:177], 1.0
	v_fmac_f64_e32 v[176:177], v[176:177], v[180:181]
	v_fma_f64 v[180:181], -v[174:175], v[176:177], 1.0
	v_fmac_f64_e32 v[176:177], v[176:177], v[180:181]
	v_div_scale_f64 v[180:181], vcc, 1.0, v[172:173], 1.0
	v_mul_f64 v[182:183], v[180:181], v[176:177]
	v_fma_f64 v[174:175], -v[174:175], v[182:183], v[180:181]
	s_nop 1
	v_div_fmas_f64 v[174:175], v[174:175], v[176:177], v[182:183]
	v_div_fixup_f64 v[176:177], v[174:175], v[172:173], 1.0
	v_mul_f64 v[178:179], v[178:179], -v[176:177]
.LBB77_268:
	s_or_b64 exec, exec, s[2:3]
	ds_write2_b64 v215, v[176:177], v[178:179] offset1:1
.LBB77_269:
	s_or_b64 exec, exec, s[4:5]
	s_waitcnt lgkmcnt(0)
	s_barrier
	ds_read2_b64 v[148:151], v215 offset1:1
	v_cmp_lt_u32_e32 vcc, 29, v214
	s_and_saveexec_b64 s[2:3], vcc
	s_cbranch_execz .LBB77_271
; %bb.270:
	ds_read2_b64 v[178:181], v212 offset0:60 offset1:61
	s_waitcnt vmcnt(54) lgkmcnt(1)
	v_mul_f64 v[176:177], v[148:149], v[34:35]
	v_fmac_f64_e32 v[176:177], v[150:151], v[32:33]
	v_mul_f64 v[34:35], v[150:151], v[34:35]
	v_fma_f64 v[32:33], v[148:149], v[32:33], -v[34:35]
	s_waitcnt lgkmcnt(0)
	v_mul_f64 v[34:35], v[180:181], v[176:177]
	v_fma_f64 v[34:35], v[178:179], v[32:33], -v[34:35]
	v_mul_f64 v[178:179], v[178:179], v[176:177]
	v_fmac_f64_e32 v[178:179], v[180:181], v[32:33]
	s_waitcnt vmcnt(53)
	v_add_f64 v[30:31], v[30:31], -v[178:179]
	ds_read2_b64 v[178:181], v212 offset0:62 offset1:63
	v_add_f64 v[28:29], v[28:29], -v[34:35]
	s_waitcnt lgkmcnt(0)
	v_mul_f64 v[34:35], v[180:181], v[176:177]
	v_fma_f64 v[34:35], v[178:179], v[32:33], -v[34:35]
	v_mul_f64 v[178:179], v[178:179], v[176:177]
	v_fmac_f64_e32 v[178:179], v[180:181], v[32:33]
	s_waitcnt vmcnt(37)
	v_add_f64 v[26:27], v[26:27], -v[178:179]
	ds_read2_b64 v[178:181], v212 offset0:64 offset1:65
	v_add_f64 v[24:25], v[24:25], -v[34:35]
	s_waitcnt lgkmcnt(0)
	v_mul_f64 v[34:35], v[180:181], v[176:177]
	v_fma_f64 v[34:35], v[178:179], v[32:33], -v[34:35]
	v_mul_f64 v[178:179], v[178:179], v[176:177]
	v_fmac_f64_e32 v[178:179], v[180:181], v[32:33]
	v_add_f64 v[22:23], v[22:23], -v[178:179]
	ds_read2_b64 v[178:181], v212 offset0:66 offset1:67
	v_add_f64 v[20:21], v[20:21], -v[34:35]
	s_waitcnt lgkmcnt(0)
	v_mul_f64 v[34:35], v[180:181], v[176:177]
	v_fma_f64 v[34:35], v[178:179], v[32:33], -v[34:35]
	v_mul_f64 v[178:179], v[178:179], v[176:177]
	v_fmac_f64_e32 v[178:179], v[180:181], v[32:33]
	s_waitcnt vmcnt(36)
	v_add_f64 v[18:19], v[18:19], -v[178:179]
	ds_read2_b64 v[178:181], v212 offset0:68 offset1:69
	v_add_f64 v[16:17], v[16:17], -v[34:35]
	s_waitcnt lgkmcnt(0)
	v_mul_f64 v[34:35], v[180:181], v[176:177]
	v_fma_f64 v[34:35], v[178:179], v[32:33], -v[34:35]
	v_mul_f64 v[178:179], v[178:179], v[176:177]
	v_fmac_f64_e32 v[178:179], v[180:181], v[32:33]
	s_waitcnt vmcnt(35)
	v_add_f64 v[14:15], v[14:15], -v[178:179]
	ds_read2_b64 v[178:181], v212 offset0:70 offset1:71
	v_add_f64 v[12:13], v[12:13], -v[34:35]
	s_waitcnt lgkmcnt(0)
	v_mul_f64 v[34:35], v[180:181], v[176:177]
	v_fma_f64 v[34:35], v[178:179], v[32:33], -v[34:35]
	v_mul_f64 v[178:179], v[178:179], v[176:177]
	v_fmac_f64_e32 v[178:179], v[180:181], v[32:33]
	s_waitcnt vmcnt(34)
	v_add_f64 v[10:11], v[10:11], -v[178:179]
	ds_read2_b64 v[178:181], v212 offset0:72 offset1:73
	v_add_f64 v[8:9], v[8:9], -v[34:35]
	s_waitcnt lgkmcnt(0)
	v_mul_f64 v[34:35], v[180:181], v[176:177]
	v_fma_f64 v[34:35], v[178:179], v[32:33], -v[34:35]
	v_mul_f64 v[178:179], v[178:179], v[176:177]
	v_fmac_f64_e32 v[178:179], v[180:181], v[32:33]
	s_waitcnt vmcnt(33)
	v_add_f64 v[6:7], v[6:7], -v[178:179]
	ds_read2_b64 v[178:181], v212 offset0:74 offset1:75
	v_add_f64 v[4:5], v[4:5], -v[34:35]
	s_waitcnt lgkmcnt(0)
	v_mul_f64 v[34:35], v[180:181], v[176:177]
	v_fma_f64 v[34:35], v[178:179], v[32:33], -v[34:35]
	v_mul_f64 v[178:179], v[178:179], v[176:177]
	v_fmac_f64_e32 v[178:179], v[180:181], v[32:33]
	v_add_f64 v[2:3], v[2:3], -v[178:179]
	ds_read2_b64 v[178:181], v212 offset0:76 offset1:77
	v_add_f64 v[0:1], v[0:1], -v[34:35]
	s_waitcnt lgkmcnt(0)
	v_mul_f64 v[34:35], v[180:181], v[176:177]
	v_fma_f64 v[34:35], v[178:179], v[32:33], -v[34:35]
	v_mul_f64 v[178:179], v[178:179], v[176:177]
	v_fmac_f64_e32 v[178:179], v[180:181], v[32:33]
	s_waitcnt vmcnt(31)
	v_add_f64 v[152:153], v[152:153], -v[34:35]
	v_add_f64 v[154:155], v[154:155], -v[178:179]
	v_mov_b64_e32 v[34:35], v[176:177]
.LBB77_271:
	s_or_b64 exec, exec, s[2:3]
	v_cmp_eq_u32_e32 vcc, 30, v214
	s_waitcnt lgkmcnt(0)
	s_barrier
	s_and_saveexec_b64 s[4:5], vcc
	s_cbranch_execz .LBB77_278
; %bb.272:
	s_waitcnt vmcnt(53)
	ds_write2_b64 v215, v[28:29], v[30:31] offset1:1
	s_waitcnt vmcnt(37)
	ds_write2_b64 v212, v[24:25], v[26:27] offset0:62 offset1:63
	ds_write2_b64 v212, v[20:21], v[22:23] offset0:64 offset1:65
	s_waitcnt vmcnt(36)
	ds_write2_b64 v212, v[16:17], v[18:19] offset0:66 offset1:67
	s_waitcnt vmcnt(35)
	;; [unrolled: 2-line block ×4, first 2 shown]
	ds_write2_b64 v212, v[4:5], v[6:7] offset0:72 offset1:73
	ds_write2_b64 v212, v[0:1], v[2:3] offset0:74 offset1:75
	s_waitcnt vmcnt(31)
	ds_write2_b64 v212, v[152:153], v[154:155] offset0:76 offset1:77
	ds_read2_b64 v[176:179], v215 offset1:1
	s_waitcnt lgkmcnt(0)
	v_cmp_neq_f64_e32 vcc, 0, v[176:177]
	v_cmp_neq_f64_e64 s[2:3], 0, v[178:179]
	s_or_b64 s[2:3], vcc, s[2:3]
	s_and_b64 exec, exec, s[2:3]
	s_cbranch_execz .LBB77_278
; %bb.273:
	v_cmp_ngt_f64_e64 s[2:3], |v[176:177]|, |v[178:179]|
                                        ; implicit-def: $vgpr180_vgpr181
	s_and_saveexec_b64 s[10:11], s[2:3]
	s_xor_b64 s[2:3], exec, s[10:11]
                                        ; implicit-def: $vgpr182_vgpr183
	s_cbranch_execz .LBB77_275
; %bb.274:
	v_div_scale_f64 v[180:181], s[10:11], v[178:179], v[178:179], v[176:177]
	v_rcp_f64_e32 v[182:183], v[180:181]
	v_div_scale_f64 v[184:185], vcc, v[176:177], v[178:179], v[176:177]
	v_fma_f64 v[186:187], -v[180:181], v[182:183], 1.0
	v_fmac_f64_e32 v[182:183], v[182:183], v[186:187]
	v_fma_f64 v[186:187], -v[180:181], v[182:183], 1.0
	v_fmac_f64_e32 v[182:183], v[182:183], v[186:187]
	v_mul_f64 v[186:187], v[184:185], v[182:183]
	v_fma_f64 v[180:181], -v[180:181], v[186:187], v[184:185]
	v_div_fmas_f64 v[180:181], v[180:181], v[182:183], v[186:187]
	v_div_fixup_f64 v[180:181], v[180:181], v[178:179], v[176:177]
	v_fmac_f64_e32 v[178:179], v[176:177], v[180:181]
	v_div_scale_f64 v[176:177], s[10:11], v[178:179], v[178:179], 1.0
	v_rcp_f64_e32 v[182:183], v[176:177]
	s_nop 0
	v_fma_f64 v[184:185], -v[176:177], v[182:183], 1.0
	v_fmac_f64_e32 v[182:183], v[182:183], v[184:185]
	v_fma_f64 v[184:185], -v[176:177], v[182:183], 1.0
	v_fmac_f64_e32 v[182:183], v[182:183], v[184:185]
	v_div_scale_f64 v[184:185], vcc, 1.0, v[178:179], 1.0
	v_mul_f64 v[186:187], v[184:185], v[182:183]
	v_fma_f64 v[176:177], -v[176:177], v[186:187], v[184:185]
	s_nop 1
	v_div_fmas_f64 v[176:177], v[176:177], v[182:183], v[186:187]
	v_div_fixup_f64 v[182:183], v[176:177], v[178:179], 1.0
	v_mul_f64 v[180:181], v[180:181], v[182:183]
	v_xor_b32_e32 v183, 0x80000000, v183
                                        ; implicit-def: $vgpr176_vgpr177
.LBB77_275:
	s_andn2_saveexec_b64 s[2:3], s[2:3]
	s_cbranch_execz .LBB77_277
; %bb.276:
	v_div_scale_f64 v[180:181], s[10:11], v[176:177], v[176:177], v[178:179]
	v_rcp_f64_e32 v[182:183], v[180:181]
	v_div_scale_f64 v[184:185], vcc, v[178:179], v[176:177], v[178:179]
	v_fma_f64 v[186:187], -v[180:181], v[182:183], 1.0
	v_fmac_f64_e32 v[182:183], v[182:183], v[186:187]
	v_fma_f64 v[186:187], -v[180:181], v[182:183], 1.0
	v_fmac_f64_e32 v[182:183], v[182:183], v[186:187]
	v_mul_f64 v[186:187], v[184:185], v[182:183]
	v_fma_f64 v[180:181], -v[180:181], v[186:187], v[184:185]
	v_div_fmas_f64 v[180:181], v[180:181], v[182:183], v[186:187]
	v_div_fixup_f64 v[182:183], v[180:181], v[176:177], v[178:179]
	v_fmac_f64_e32 v[176:177], v[178:179], v[182:183]
	v_div_scale_f64 v[178:179], s[10:11], v[176:177], v[176:177], 1.0
	v_rcp_f64_e32 v[180:181], v[178:179]
	s_nop 0
	v_fma_f64 v[184:185], -v[178:179], v[180:181], 1.0
	v_fmac_f64_e32 v[180:181], v[180:181], v[184:185]
	v_fma_f64 v[184:185], -v[178:179], v[180:181], 1.0
	v_fmac_f64_e32 v[180:181], v[180:181], v[184:185]
	v_div_scale_f64 v[184:185], vcc, 1.0, v[176:177], 1.0
	v_mul_f64 v[186:187], v[184:185], v[180:181]
	v_fma_f64 v[178:179], -v[178:179], v[186:187], v[184:185]
	s_nop 1
	v_div_fmas_f64 v[178:179], v[178:179], v[180:181], v[186:187]
	v_div_fixup_f64 v[180:181], v[178:179], v[176:177], 1.0
	v_mul_f64 v[182:183], v[182:183], -v[180:181]
.LBB77_277:
	s_or_b64 exec, exec, s[2:3]
	ds_write2_b64 v215, v[180:181], v[182:183] offset1:1
.LBB77_278:
	s_or_b64 exec, exec, s[4:5]
	s_waitcnt lgkmcnt(0)
	s_barrier
	ds_read2_b64 v[144:147], v215 offset1:1
	v_cmp_lt_u32_e32 vcc, 30, v214
	s_and_saveexec_b64 s[2:3], vcc
	s_cbranch_execz .LBB77_280
; %bb.279:
	ds_read2_b64 v[182:185], v212 offset0:62 offset1:63
	s_waitcnt vmcnt(53) lgkmcnt(1)
	v_mul_f64 v[180:181], v[144:145], v[30:31]
	v_fmac_f64_e32 v[180:181], v[146:147], v[28:29]
	v_mul_f64 v[30:31], v[146:147], v[30:31]
	v_fma_f64 v[28:29], v[144:145], v[28:29], -v[30:31]
	s_waitcnt lgkmcnt(0)
	v_mul_f64 v[30:31], v[184:185], v[180:181]
	v_fma_f64 v[30:31], v[182:183], v[28:29], -v[30:31]
	v_mul_f64 v[182:183], v[182:183], v[180:181]
	v_fmac_f64_e32 v[182:183], v[184:185], v[28:29]
	s_waitcnt vmcnt(37)
	v_add_f64 v[26:27], v[26:27], -v[182:183]
	ds_read2_b64 v[182:185], v212 offset0:64 offset1:65
	v_add_f64 v[24:25], v[24:25], -v[30:31]
	s_waitcnt lgkmcnt(0)
	v_mul_f64 v[30:31], v[184:185], v[180:181]
	v_fma_f64 v[30:31], v[182:183], v[28:29], -v[30:31]
	v_mul_f64 v[182:183], v[182:183], v[180:181]
	v_fmac_f64_e32 v[182:183], v[184:185], v[28:29]
	v_add_f64 v[22:23], v[22:23], -v[182:183]
	ds_read2_b64 v[182:185], v212 offset0:66 offset1:67
	v_add_f64 v[20:21], v[20:21], -v[30:31]
	s_waitcnt lgkmcnt(0)
	v_mul_f64 v[30:31], v[184:185], v[180:181]
	v_fma_f64 v[30:31], v[182:183], v[28:29], -v[30:31]
	v_mul_f64 v[182:183], v[182:183], v[180:181]
	v_fmac_f64_e32 v[182:183], v[184:185], v[28:29]
	s_waitcnt vmcnt(36)
	v_add_f64 v[18:19], v[18:19], -v[182:183]
	ds_read2_b64 v[182:185], v212 offset0:68 offset1:69
	v_add_f64 v[16:17], v[16:17], -v[30:31]
	s_waitcnt lgkmcnt(0)
	v_mul_f64 v[30:31], v[184:185], v[180:181]
	v_fma_f64 v[30:31], v[182:183], v[28:29], -v[30:31]
	v_mul_f64 v[182:183], v[182:183], v[180:181]
	v_fmac_f64_e32 v[182:183], v[184:185], v[28:29]
	s_waitcnt vmcnt(35)
	;; [unrolled: 9-line block ×4, first 2 shown]
	v_add_f64 v[6:7], v[6:7], -v[182:183]
	ds_read2_b64 v[182:185], v212 offset0:74 offset1:75
	v_add_f64 v[4:5], v[4:5], -v[30:31]
	s_waitcnt lgkmcnt(0)
	v_mul_f64 v[30:31], v[184:185], v[180:181]
	v_fma_f64 v[30:31], v[182:183], v[28:29], -v[30:31]
	v_mul_f64 v[182:183], v[182:183], v[180:181]
	v_fmac_f64_e32 v[182:183], v[184:185], v[28:29]
	v_add_f64 v[2:3], v[2:3], -v[182:183]
	ds_read2_b64 v[182:185], v212 offset0:76 offset1:77
	v_add_f64 v[0:1], v[0:1], -v[30:31]
	s_waitcnt lgkmcnt(0)
	v_mul_f64 v[30:31], v[184:185], v[180:181]
	v_fma_f64 v[30:31], v[182:183], v[28:29], -v[30:31]
	v_mul_f64 v[182:183], v[182:183], v[180:181]
	v_fmac_f64_e32 v[182:183], v[184:185], v[28:29]
	s_waitcnt vmcnt(31)
	v_add_f64 v[152:153], v[152:153], -v[30:31]
	v_add_f64 v[154:155], v[154:155], -v[182:183]
	v_mov_b64_e32 v[30:31], v[180:181]
.LBB77_280:
	s_or_b64 exec, exec, s[2:3]
	v_cmp_eq_u32_e32 vcc, 31, v214
	s_waitcnt lgkmcnt(0)
	s_barrier
	s_and_saveexec_b64 s[4:5], vcc
	s_cbranch_execz .LBB77_287
; %bb.281:
	s_waitcnt vmcnt(37)
	ds_write2_b64 v215, v[24:25], v[26:27] offset1:1
	ds_write2_b64 v212, v[20:21], v[22:23] offset0:64 offset1:65
	s_waitcnt vmcnt(36)
	ds_write2_b64 v212, v[16:17], v[18:19] offset0:66 offset1:67
	s_waitcnt vmcnt(35)
	;; [unrolled: 2-line block ×4, first 2 shown]
	ds_write2_b64 v212, v[4:5], v[6:7] offset0:72 offset1:73
	ds_write2_b64 v212, v[0:1], v[2:3] offset0:74 offset1:75
	s_waitcnt vmcnt(31)
	ds_write2_b64 v212, v[152:153], v[154:155] offset0:76 offset1:77
	ds_read2_b64 v[180:183], v215 offset1:1
	s_waitcnt lgkmcnt(0)
	v_cmp_neq_f64_e32 vcc, 0, v[180:181]
	v_cmp_neq_f64_e64 s[2:3], 0, v[182:183]
	s_or_b64 s[2:3], vcc, s[2:3]
	s_and_b64 exec, exec, s[2:3]
	s_cbranch_execz .LBB77_287
; %bb.282:
	v_cmp_ngt_f64_e64 s[2:3], |v[180:181]|, |v[182:183]|
                                        ; implicit-def: $vgpr184_vgpr185
	s_and_saveexec_b64 s[10:11], s[2:3]
	s_xor_b64 s[2:3], exec, s[10:11]
                                        ; implicit-def: $vgpr186_vgpr187
	s_cbranch_execz .LBB77_284
; %bb.283:
	v_div_scale_f64 v[184:185], s[10:11], v[182:183], v[182:183], v[180:181]
	v_rcp_f64_e32 v[186:187], v[184:185]
	v_div_scale_f64 v[188:189], vcc, v[180:181], v[182:183], v[180:181]
	v_fma_f64 v[190:191], -v[184:185], v[186:187], 1.0
	v_fmac_f64_e32 v[186:187], v[186:187], v[190:191]
	v_fma_f64 v[190:191], -v[184:185], v[186:187], 1.0
	v_fmac_f64_e32 v[186:187], v[186:187], v[190:191]
	v_mul_f64 v[190:191], v[188:189], v[186:187]
	v_fma_f64 v[184:185], -v[184:185], v[190:191], v[188:189]
	v_div_fmas_f64 v[184:185], v[184:185], v[186:187], v[190:191]
	v_div_fixup_f64 v[184:185], v[184:185], v[182:183], v[180:181]
	v_fmac_f64_e32 v[182:183], v[180:181], v[184:185]
	v_div_scale_f64 v[180:181], s[10:11], v[182:183], v[182:183], 1.0
	v_rcp_f64_e32 v[186:187], v[180:181]
	s_nop 0
	v_fma_f64 v[188:189], -v[180:181], v[186:187], 1.0
	v_fmac_f64_e32 v[186:187], v[186:187], v[188:189]
	v_fma_f64 v[188:189], -v[180:181], v[186:187], 1.0
	v_fmac_f64_e32 v[186:187], v[186:187], v[188:189]
	v_div_scale_f64 v[188:189], vcc, 1.0, v[182:183], 1.0
	v_mul_f64 v[190:191], v[188:189], v[186:187]
	v_fma_f64 v[180:181], -v[180:181], v[190:191], v[188:189]
	s_nop 1
	v_div_fmas_f64 v[180:181], v[180:181], v[186:187], v[190:191]
	v_div_fixup_f64 v[186:187], v[180:181], v[182:183], 1.0
	v_mul_f64 v[184:185], v[184:185], v[186:187]
	v_xor_b32_e32 v187, 0x80000000, v187
                                        ; implicit-def: $vgpr180_vgpr181
.LBB77_284:
	s_andn2_saveexec_b64 s[2:3], s[2:3]
	s_cbranch_execz .LBB77_286
; %bb.285:
	v_div_scale_f64 v[184:185], s[10:11], v[180:181], v[180:181], v[182:183]
	v_rcp_f64_e32 v[186:187], v[184:185]
	v_div_scale_f64 v[188:189], vcc, v[182:183], v[180:181], v[182:183]
	v_fma_f64 v[190:191], -v[184:185], v[186:187], 1.0
	v_fmac_f64_e32 v[186:187], v[186:187], v[190:191]
	v_fma_f64 v[190:191], -v[184:185], v[186:187], 1.0
	v_fmac_f64_e32 v[186:187], v[186:187], v[190:191]
	v_mul_f64 v[190:191], v[188:189], v[186:187]
	v_fma_f64 v[184:185], -v[184:185], v[190:191], v[188:189]
	v_div_fmas_f64 v[184:185], v[184:185], v[186:187], v[190:191]
	v_div_fixup_f64 v[186:187], v[184:185], v[180:181], v[182:183]
	v_fmac_f64_e32 v[180:181], v[182:183], v[186:187]
	v_div_scale_f64 v[182:183], s[10:11], v[180:181], v[180:181], 1.0
	v_rcp_f64_e32 v[184:185], v[182:183]
	s_nop 0
	v_fma_f64 v[188:189], -v[182:183], v[184:185], 1.0
	v_fmac_f64_e32 v[184:185], v[184:185], v[188:189]
	v_fma_f64 v[188:189], -v[182:183], v[184:185], 1.0
	v_fmac_f64_e32 v[184:185], v[184:185], v[188:189]
	v_div_scale_f64 v[188:189], vcc, 1.0, v[180:181], 1.0
	v_mul_f64 v[190:191], v[188:189], v[184:185]
	v_fma_f64 v[182:183], -v[182:183], v[190:191], v[188:189]
	s_nop 1
	v_div_fmas_f64 v[182:183], v[182:183], v[184:185], v[190:191]
	v_div_fixup_f64 v[184:185], v[182:183], v[180:181], 1.0
	v_mul_f64 v[186:187], v[186:187], -v[184:185]
.LBB77_286:
	s_or_b64 exec, exec, s[2:3]
	ds_write2_b64 v215, v[184:185], v[186:187] offset1:1
.LBB77_287:
	s_or_b64 exec, exec, s[4:5]
	s_waitcnt lgkmcnt(0)
	s_barrier
	ds_read2_b64 v[180:183], v215 offset1:1
	v_cmp_lt_u32_e32 vcc, 31, v214
	s_and_saveexec_b64 s[2:3], vcc
	s_cbranch_execz .LBB77_289
; %bb.288:
	ds_read2_b64 v[186:189], v212 offset0:64 offset1:65
	s_waitcnt vmcnt(37) lgkmcnt(1)
	v_mul_f64 v[184:185], v[180:181], v[26:27]
	v_fmac_f64_e32 v[184:185], v[182:183], v[24:25]
	v_mul_f64 v[26:27], v[182:183], v[26:27]
	v_fma_f64 v[24:25], v[180:181], v[24:25], -v[26:27]
	s_waitcnt lgkmcnt(0)
	v_mul_f64 v[26:27], v[188:189], v[184:185]
	v_fma_f64 v[26:27], v[186:187], v[24:25], -v[26:27]
	v_mul_f64 v[186:187], v[186:187], v[184:185]
	v_fmac_f64_e32 v[186:187], v[188:189], v[24:25]
	v_add_f64 v[22:23], v[22:23], -v[186:187]
	ds_read2_b64 v[186:189], v212 offset0:66 offset1:67
	v_add_f64 v[20:21], v[20:21], -v[26:27]
	s_waitcnt lgkmcnt(0)
	v_mul_f64 v[26:27], v[188:189], v[184:185]
	v_fma_f64 v[26:27], v[186:187], v[24:25], -v[26:27]
	v_mul_f64 v[186:187], v[186:187], v[184:185]
	v_fmac_f64_e32 v[186:187], v[188:189], v[24:25]
	s_waitcnt vmcnt(36)
	v_add_f64 v[18:19], v[18:19], -v[186:187]
	ds_read2_b64 v[186:189], v212 offset0:68 offset1:69
	v_add_f64 v[16:17], v[16:17], -v[26:27]
	s_waitcnt lgkmcnt(0)
	v_mul_f64 v[26:27], v[188:189], v[184:185]
	v_fma_f64 v[26:27], v[186:187], v[24:25], -v[26:27]
	v_mul_f64 v[186:187], v[186:187], v[184:185]
	v_fmac_f64_e32 v[186:187], v[188:189], v[24:25]
	s_waitcnt vmcnt(35)
	;; [unrolled: 9-line block ×4, first 2 shown]
	v_add_f64 v[6:7], v[6:7], -v[186:187]
	ds_read2_b64 v[186:189], v212 offset0:74 offset1:75
	v_add_f64 v[4:5], v[4:5], -v[26:27]
	s_waitcnt lgkmcnt(0)
	v_mul_f64 v[26:27], v[188:189], v[184:185]
	v_fma_f64 v[26:27], v[186:187], v[24:25], -v[26:27]
	v_mul_f64 v[186:187], v[186:187], v[184:185]
	v_fmac_f64_e32 v[186:187], v[188:189], v[24:25]
	v_add_f64 v[2:3], v[2:3], -v[186:187]
	ds_read2_b64 v[186:189], v212 offset0:76 offset1:77
	v_add_f64 v[0:1], v[0:1], -v[26:27]
	s_waitcnt lgkmcnt(0)
	v_mul_f64 v[26:27], v[188:189], v[184:185]
	v_fma_f64 v[26:27], v[186:187], v[24:25], -v[26:27]
	v_mul_f64 v[186:187], v[186:187], v[184:185]
	v_fmac_f64_e32 v[186:187], v[188:189], v[24:25]
	s_waitcnt vmcnt(31)
	v_add_f64 v[152:153], v[152:153], -v[26:27]
	v_add_f64 v[154:155], v[154:155], -v[186:187]
	v_mov_b64_e32 v[26:27], v[184:185]
.LBB77_289:
	s_or_b64 exec, exec, s[2:3]
	v_cmp_eq_u32_e32 vcc, 32, v214
	s_waitcnt lgkmcnt(0)
	s_barrier
	s_and_saveexec_b64 s[4:5], vcc
	s_cbranch_execz .LBB77_296
; %bb.290:
	s_waitcnt vmcnt(38)
	ds_write2_b64 v215, v[20:21], v[22:23] offset1:1
	s_waitcnt vmcnt(36)
	ds_write2_b64 v212, v[16:17], v[18:19] offset0:66 offset1:67
	s_waitcnt vmcnt(35)
	ds_write2_b64 v212, v[12:13], v[14:15] offset0:68 offset1:69
	s_waitcnt vmcnt(34)
	ds_write2_b64 v212, v[8:9], v[10:11] offset0:70 offset1:71
	s_waitcnt vmcnt(33)
	ds_write2_b64 v212, v[4:5], v[6:7] offset0:72 offset1:73
	ds_write2_b64 v212, v[0:1], v[2:3] offset0:74 offset1:75
	s_waitcnt vmcnt(31)
	ds_write2_b64 v212, v[152:153], v[154:155] offset0:76 offset1:77
	ds_read2_b64 v[184:187], v215 offset1:1
	s_waitcnt lgkmcnt(0)
	v_cmp_neq_f64_e32 vcc, 0, v[184:185]
	v_cmp_neq_f64_e64 s[2:3], 0, v[186:187]
	s_or_b64 s[2:3], vcc, s[2:3]
	s_and_b64 exec, exec, s[2:3]
	s_cbranch_execz .LBB77_296
; %bb.291:
	v_cmp_ngt_f64_e64 s[2:3], |v[184:185]|, |v[186:187]|
                                        ; implicit-def: $vgpr188_vgpr189
	s_and_saveexec_b64 s[10:11], s[2:3]
	s_xor_b64 s[2:3], exec, s[10:11]
                                        ; implicit-def: $vgpr190_vgpr191
	s_cbranch_execz .LBB77_293
; %bb.292:
	v_div_scale_f64 v[188:189], s[10:11], v[186:187], v[186:187], v[184:185]
	v_rcp_f64_e32 v[190:191], v[188:189]
	v_div_scale_f64 v[192:193], vcc, v[184:185], v[186:187], v[184:185]
	v_fma_f64 v[194:195], -v[188:189], v[190:191], 1.0
	v_fmac_f64_e32 v[190:191], v[190:191], v[194:195]
	v_fma_f64 v[194:195], -v[188:189], v[190:191], 1.0
	v_fmac_f64_e32 v[190:191], v[190:191], v[194:195]
	v_mul_f64 v[194:195], v[192:193], v[190:191]
	v_fma_f64 v[188:189], -v[188:189], v[194:195], v[192:193]
	v_div_fmas_f64 v[188:189], v[188:189], v[190:191], v[194:195]
	v_div_fixup_f64 v[188:189], v[188:189], v[186:187], v[184:185]
	v_fmac_f64_e32 v[186:187], v[184:185], v[188:189]
	v_div_scale_f64 v[184:185], s[10:11], v[186:187], v[186:187], 1.0
	v_rcp_f64_e32 v[190:191], v[184:185]
	s_nop 0
	v_fma_f64 v[192:193], -v[184:185], v[190:191], 1.0
	v_fmac_f64_e32 v[190:191], v[190:191], v[192:193]
	v_fma_f64 v[192:193], -v[184:185], v[190:191], 1.0
	v_fmac_f64_e32 v[190:191], v[190:191], v[192:193]
	v_div_scale_f64 v[192:193], vcc, 1.0, v[186:187], 1.0
	v_mul_f64 v[194:195], v[192:193], v[190:191]
	v_fma_f64 v[184:185], -v[184:185], v[194:195], v[192:193]
	s_nop 1
	v_div_fmas_f64 v[184:185], v[184:185], v[190:191], v[194:195]
	v_div_fixup_f64 v[190:191], v[184:185], v[186:187], 1.0
	v_mul_f64 v[188:189], v[188:189], v[190:191]
	v_xor_b32_e32 v191, 0x80000000, v191
                                        ; implicit-def: $vgpr184_vgpr185
.LBB77_293:
	s_andn2_saveexec_b64 s[2:3], s[2:3]
	s_cbranch_execz .LBB77_295
; %bb.294:
	v_div_scale_f64 v[188:189], s[10:11], v[184:185], v[184:185], v[186:187]
	v_rcp_f64_e32 v[190:191], v[188:189]
	v_div_scale_f64 v[192:193], vcc, v[186:187], v[184:185], v[186:187]
	v_fma_f64 v[194:195], -v[188:189], v[190:191], 1.0
	v_fmac_f64_e32 v[190:191], v[190:191], v[194:195]
	v_fma_f64 v[194:195], -v[188:189], v[190:191], 1.0
	v_fmac_f64_e32 v[190:191], v[190:191], v[194:195]
	v_mul_f64 v[194:195], v[192:193], v[190:191]
	v_fma_f64 v[188:189], -v[188:189], v[194:195], v[192:193]
	v_div_fmas_f64 v[188:189], v[188:189], v[190:191], v[194:195]
	v_div_fixup_f64 v[190:191], v[188:189], v[184:185], v[186:187]
	v_fmac_f64_e32 v[184:185], v[186:187], v[190:191]
	v_div_scale_f64 v[186:187], s[10:11], v[184:185], v[184:185], 1.0
	v_rcp_f64_e32 v[188:189], v[186:187]
	s_nop 0
	v_fma_f64 v[192:193], -v[186:187], v[188:189], 1.0
	v_fmac_f64_e32 v[188:189], v[188:189], v[192:193]
	v_fma_f64 v[192:193], -v[186:187], v[188:189], 1.0
	v_fmac_f64_e32 v[188:189], v[188:189], v[192:193]
	v_div_scale_f64 v[192:193], vcc, 1.0, v[184:185], 1.0
	v_mul_f64 v[194:195], v[192:193], v[188:189]
	v_fma_f64 v[186:187], -v[186:187], v[194:195], v[192:193]
	s_nop 1
	v_div_fmas_f64 v[186:187], v[186:187], v[188:189], v[194:195]
	v_div_fixup_f64 v[188:189], v[186:187], v[184:185], 1.0
	v_mul_f64 v[190:191], v[190:191], -v[188:189]
.LBB77_295:
	s_or_b64 exec, exec, s[2:3]
	ds_write2_b64 v215, v[188:189], v[190:191] offset1:1
.LBB77_296:
	s_or_b64 exec, exec, s[4:5]
	s_waitcnt lgkmcnt(0)
	s_barrier
	ds_read2_b64 v[184:187], v215 offset1:1
	v_cmp_lt_u32_e32 vcc, 32, v214
	s_and_saveexec_b64 s[2:3], vcc
	s_cbranch_execz .LBB77_298
; %bb.297:
	ds_read2_b64 v[188:191], v212 offset0:66 offset1:67
	s_waitcnt vmcnt(38) lgkmcnt(1)
	v_mul_f64 v[192:193], v[184:185], v[22:23]
	v_fmac_f64_e32 v[192:193], v[186:187], v[20:21]
	v_mul_f64 v[22:23], v[186:187], v[22:23]
	v_fma_f64 v[20:21], v[184:185], v[20:21], -v[22:23]
	s_waitcnt lgkmcnt(0)
	v_mul_f64 v[22:23], v[190:191], v[192:193]
	v_fma_f64 v[22:23], v[188:189], v[20:21], -v[22:23]
	v_mul_f64 v[188:189], v[188:189], v[192:193]
	v_fmac_f64_e32 v[188:189], v[190:191], v[20:21]
	s_waitcnt vmcnt(36)
	v_add_f64 v[18:19], v[18:19], -v[188:189]
	ds_read2_b64 v[188:191], v212 offset0:68 offset1:69
	v_add_f64 v[16:17], v[16:17], -v[22:23]
	s_waitcnt lgkmcnt(0)
	v_mul_f64 v[22:23], v[190:191], v[192:193]
	v_fma_f64 v[22:23], v[188:189], v[20:21], -v[22:23]
	v_mul_f64 v[188:189], v[188:189], v[192:193]
	v_fmac_f64_e32 v[188:189], v[190:191], v[20:21]
	s_waitcnt vmcnt(35)
	v_add_f64 v[14:15], v[14:15], -v[188:189]
	ds_read2_b64 v[188:191], v212 offset0:70 offset1:71
	v_add_f64 v[12:13], v[12:13], -v[22:23]
	s_waitcnt lgkmcnt(0)
	v_mul_f64 v[22:23], v[190:191], v[192:193]
	v_fma_f64 v[22:23], v[188:189], v[20:21], -v[22:23]
	v_mul_f64 v[188:189], v[188:189], v[192:193]
	v_fmac_f64_e32 v[188:189], v[190:191], v[20:21]
	s_waitcnt vmcnt(34)
	v_add_f64 v[10:11], v[10:11], -v[188:189]
	ds_read2_b64 v[188:191], v212 offset0:72 offset1:73
	v_add_f64 v[8:9], v[8:9], -v[22:23]
	s_waitcnt lgkmcnt(0)
	v_mul_f64 v[22:23], v[190:191], v[192:193]
	v_fma_f64 v[22:23], v[188:189], v[20:21], -v[22:23]
	v_mul_f64 v[188:189], v[188:189], v[192:193]
	v_fmac_f64_e32 v[188:189], v[190:191], v[20:21]
	s_waitcnt vmcnt(33)
	v_add_f64 v[6:7], v[6:7], -v[188:189]
	ds_read2_b64 v[188:191], v212 offset0:74 offset1:75
	v_add_f64 v[4:5], v[4:5], -v[22:23]
	s_waitcnt lgkmcnt(0)
	v_mul_f64 v[22:23], v[190:191], v[192:193]
	v_fma_f64 v[22:23], v[188:189], v[20:21], -v[22:23]
	v_mul_f64 v[188:189], v[188:189], v[192:193]
	v_fmac_f64_e32 v[188:189], v[190:191], v[20:21]
	v_add_f64 v[2:3], v[2:3], -v[188:189]
	ds_read2_b64 v[188:191], v212 offset0:76 offset1:77
	v_add_f64 v[0:1], v[0:1], -v[22:23]
	s_waitcnt lgkmcnt(0)
	v_mul_f64 v[22:23], v[190:191], v[192:193]
	v_fma_f64 v[22:23], v[188:189], v[20:21], -v[22:23]
	v_mul_f64 v[188:189], v[188:189], v[192:193]
	v_fmac_f64_e32 v[188:189], v[190:191], v[20:21]
	s_waitcnt vmcnt(31)
	v_add_f64 v[152:153], v[152:153], -v[22:23]
	v_add_f64 v[154:155], v[154:155], -v[188:189]
	v_mov_b64_e32 v[22:23], v[192:193]
.LBB77_298:
	s_or_b64 exec, exec, s[2:3]
	v_cmp_eq_u32_e32 vcc, 33, v214
	s_waitcnt lgkmcnt(0)
	s_barrier
	s_and_saveexec_b64 s[4:5], vcc
	s_cbranch_execz .LBB77_305
; %bb.299:
	s_waitcnt vmcnt(36)
	ds_write2_b64 v215, v[16:17], v[18:19] offset1:1
	s_waitcnt vmcnt(35)
	ds_write2_b64 v212, v[12:13], v[14:15] offset0:68 offset1:69
	s_waitcnt vmcnt(34)
	ds_write2_b64 v212, v[8:9], v[10:11] offset0:70 offset1:71
	;; [unrolled: 2-line block ×3, first 2 shown]
	ds_write2_b64 v212, v[0:1], v[2:3] offset0:74 offset1:75
	s_waitcnt vmcnt(31)
	ds_write2_b64 v212, v[152:153], v[154:155] offset0:76 offset1:77
	ds_read2_b64 v[188:191], v215 offset1:1
	s_waitcnt lgkmcnt(0)
	v_cmp_neq_f64_e32 vcc, 0, v[188:189]
	v_cmp_neq_f64_e64 s[2:3], 0, v[190:191]
	s_or_b64 s[2:3], vcc, s[2:3]
	s_and_b64 exec, exec, s[2:3]
	s_cbranch_execz .LBB77_305
; %bb.300:
	v_cmp_ngt_f64_e64 s[2:3], |v[188:189]|, |v[190:191]|
                                        ; implicit-def: $vgpr192_vgpr193
	s_and_saveexec_b64 s[10:11], s[2:3]
	s_xor_b64 s[2:3], exec, s[10:11]
                                        ; implicit-def: $vgpr194_vgpr195
	s_cbranch_execz .LBB77_302
; %bb.301:
	v_div_scale_f64 v[192:193], s[10:11], v[190:191], v[190:191], v[188:189]
	v_rcp_f64_e32 v[194:195], v[192:193]
	v_div_scale_f64 v[196:197], vcc, v[188:189], v[190:191], v[188:189]
	v_fma_f64 v[198:199], -v[192:193], v[194:195], 1.0
	v_fmac_f64_e32 v[194:195], v[194:195], v[198:199]
	v_fma_f64 v[198:199], -v[192:193], v[194:195], 1.0
	v_fmac_f64_e32 v[194:195], v[194:195], v[198:199]
	v_mul_f64 v[198:199], v[196:197], v[194:195]
	v_fma_f64 v[192:193], -v[192:193], v[198:199], v[196:197]
	v_div_fmas_f64 v[192:193], v[192:193], v[194:195], v[198:199]
	v_div_fixup_f64 v[192:193], v[192:193], v[190:191], v[188:189]
	v_fmac_f64_e32 v[190:191], v[188:189], v[192:193]
	v_div_scale_f64 v[188:189], s[10:11], v[190:191], v[190:191], 1.0
	v_rcp_f64_e32 v[194:195], v[188:189]
	s_nop 0
	v_fma_f64 v[196:197], -v[188:189], v[194:195], 1.0
	v_fmac_f64_e32 v[194:195], v[194:195], v[196:197]
	v_fma_f64 v[196:197], -v[188:189], v[194:195], 1.0
	v_fmac_f64_e32 v[194:195], v[194:195], v[196:197]
	v_div_scale_f64 v[196:197], vcc, 1.0, v[190:191], 1.0
	v_mul_f64 v[198:199], v[196:197], v[194:195]
	v_fma_f64 v[188:189], -v[188:189], v[198:199], v[196:197]
	s_nop 1
	v_div_fmas_f64 v[188:189], v[188:189], v[194:195], v[198:199]
	v_div_fixup_f64 v[194:195], v[188:189], v[190:191], 1.0
	v_mul_f64 v[192:193], v[192:193], v[194:195]
	v_xor_b32_e32 v195, 0x80000000, v195
                                        ; implicit-def: $vgpr188_vgpr189
.LBB77_302:
	s_andn2_saveexec_b64 s[2:3], s[2:3]
	s_cbranch_execz .LBB77_304
; %bb.303:
	v_div_scale_f64 v[192:193], s[10:11], v[188:189], v[188:189], v[190:191]
	v_rcp_f64_e32 v[194:195], v[192:193]
	v_div_scale_f64 v[196:197], vcc, v[190:191], v[188:189], v[190:191]
	v_fma_f64 v[198:199], -v[192:193], v[194:195], 1.0
	v_fmac_f64_e32 v[194:195], v[194:195], v[198:199]
	v_fma_f64 v[198:199], -v[192:193], v[194:195], 1.0
	v_fmac_f64_e32 v[194:195], v[194:195], v[198:199]
	v_mul_f64 v[198:199], v[196:197], v[194:195]
	v_fma_f64 v[192:193], -v[192:193], v[198:199], v[196:197]
	v_div_fmas_f64 v[192:193], v[192:193], v[194:195], v[198:199]
	v_div_fixup_f64 v[194:195], v[192:193], v[188:189], v[190:191]
	v_fmac_f64_e32 v[188:189], v[190:191], v[194:195]
	v_div_scale_f64 v[190:191], s[10:11], v[188:189], v[188:189], 1.0
	v_rcp_f64_e32 v[192:193], v[190:191]
	s_nop 0
	v_fma_f64 v[196:197], -v[190:191], v[192:193], 1.0
	v_fmac_f64_e32 v[192:193], v[192:193], v[196:197]
	v_fma_f64 v[196:197], -v[190:191], v[192:193], 1.0
	v_fmac_f64_e32 v[192:193], v[192:193], v[196:197]
	v_div_scale_f64 v[196:197], vcc, 1.0, v[188:189], 1.0
	v_mul_f64 v[198:199], v[196:197], v[192:193]
	v_fma_f64 v[190:191], -v[190:191], v[198:199], v[196:197]
	s_nop 1
	v_div_fmas_f64 v[190:191], v[190:191], v[192:193], v[198:199]
	v_div_fixup_f64 v[192:193], v[190:191], v[188:189], 1.0
	v_mul_f64 v[194:195], v[194:195], -v[192:193]
.LBB77_304:
	s_or_b64 exec, exec, s[2:3]
	ds_write2_b64 v215, v[192:193], v[194:195] offset1:1
.LBB77_305:
	s_or_b64 exec, exec, s[4:5]
	s_waitcnt lgkmcnt(0)
	s_barrier
	ds_read2_b64 v[188:191], v215 offset1:1
	v_cmp_lt_u32_e32 vcc, 33, v214
	s_and_saveexec_b64 s[2:3], vcc
	s_cbranch_execz .LBB77_307
; %bb.306:
	ds_read2_b64 v[192:195], v212 offset0:68 offset1:69
	s_waitcnt vmcnt(36) lgkmcnt(1)
	v_mul_f64 v[196:197], v[188:189], v[18:19]
	v_fmac_f64_e32 v[196:197], v[190:191], v[16:17]
	v_mul_f64 v[18:19], v[190:191], v[18:19]
	v_fma_f64 v[16:17], v[188:189], v[16:17], -v[18:19]
	s_waitcnt lgkmcnt(0)
	v_mul_f64 v[18:19], v[194:195], v[196:197]
	v_fma_f64 v[18:19], v[192:193], v[16:17], -v[18:19]
	v_mul_f64 v[192:193], v[192:193], v[196:197]
	v_fmac_f64_e32 v[192:193], v[194:195], v[16:17]
	s_waitcnt vmcnt(35)
	v_add_f64 v[14:15], v[14:15], -v[192:193]
	ds_read2_b64 v[192:195], v212 offset0:70 offset1:71
	v_add_f64 v[12:13], v[12:13], -v[18:19]
	s_waitcnt lgkmcnt(0)
	v_mul_f64 v[18:19], v[194:195], v[196:197]
	v_fma_f64 v[18:19], v[192:193], v[16:17], -v[18:19]
	v_mul_f64 v[192:193], v[192:193], v[196:197]
	v_fmac_f64_e32 v[192:193], v[194:195], v[16:17]
	s_waitcnt vmcnt(34)
	v_add_f64 v[10:11], v[10:11], -v[192:193]
	ds_read2_b64 v[192:195], v212 offset0:72 offset1:73
	v_add_f64 v[8:9], v[8:9], -v[18:19]
	;; [unrolled: 9-line block ×3, first 2 shown]
	s_waitcnt lgkmcnt(0)
	v_mul_f64 v[18:19], v[194:195], v[196:197]
	v_fma_f64 v[18:19], v[192:193], v[16:17], -v[18:19]
	v_mul_f64 v[192:193], v[192:193], v[196:197]
	v_fmac_f64_e32 v[192:193], v[194:195], v[16:17]
	v_add_f64 v[2:3], v[2:3], -v[192:193]
	ds_read2_b64 v[192:195], v212 offset0:76 offset1:77
	v_add_f64 v[0:1], v[0:1], -v[18:19]
	s_waitcnt lgkmcnt(0)
	v_mul_f64 v[18:19], v[194:195], v[196:197]
	v_fma_f64 v[18:19], v[192:193], v[16:17], -v[18:19]
	v_mul_f64 v[192:193], v[192:193], v[196:197]
	v_fmac_f64_e32 v[192:193], v[194:195], v[16:17]
	s_waitcnt vmcnt(31)
	v_add_f64 v[152:153], v[152:153], -v[18:19]
	v_add_f64 v[154:155], v[154:155], -v[192:193]
	v_mov_b64_e32 v[18:19], v[196:197]
.LBB77_307:
	s_or_b64 exec, exec, s[2:3]
	v_cmp_eq_u32_e32 vcc, 34, v214
	s_waitcnt lgkmcnt(0)
	s_barrier
	s_and_saveexec_b64 s[4:5], vcc
	s_cbranch_execz .LBB77_314
; %bb.308:
	s_waitcnt vmcnt(35)
	ds_write2_b64 v215, v[12:13], v[14:15] offset1:1
	s_waitcnt vmcnt(34)
	ds_write2_b64 v212, v[8:9], v[10:11] offset0:70 offset1:71
	s_waitcnt vmcnt(33)
	ds_write2_b64 v212, v[4:5], v[6:7] offset0:72 offset1:73
	ds_write2_b64 v212, v[0:1], v[2:3] offset0:74 offset1:75
	s_waitcnt vmcnt(31)
	ds_write2_b64 v212, v[152:153], v[154:155] offset0:76 offset1:77
	ds_read2_b64 v[192:195], v215 offset1:1
	s_waitcnt lgkmcnt(0)
	v_cmp_neq_f64_e32 vcc, 0, v[192:193]
	v_cmp_neq_f64_e64 s[2:3], 0, v[194:195]
	s_or_b64 s[2:3], vcc, s[2:3]
	s_and_b64 exec, exec, s[2:3]
	s_cbranch_execz .LBB77_314
; %bb.309:
	v_cmp_ngt_f64_e64 s[2:3], |v[192:193]|, |v[194:195]|
                                        ; implicit-def: $vgpr196_vgpr197
	s_and_saveexec_b64 s[10:11], s[2:3]
	s_xor_b64 s[2:3], exec, s[10:11]
                                        ; implicit-def: $vgpr198_vgpr199
	s_cbranch_execz .LBB77_311
; %bb.310:
	v_div_scale_f64 v[196:197], s[10:11], v[194:195], v[194:195], v[192:193]
	v_rcp_f64_e32 v[198:199], v[196:197]
	v_div_scale_f64 v[200:201], vcc, v[192:193], v[194:195], v[192:193]
	v_fma_f64 v[202:203], -v[196:197], v[198:199], 1.0
	v_fmac_f64_e32 v[198:199], v[198:199], v[202:203]
	v_fma_f64 v[202:203], -v[196:197], v[198:199], 1.0
	v_fmac_f64_e32 v[198:199], v[198:199], v[202:203]
	v_mul_f64 v[202:203], v[200:201], v[198:199]
	v_fma_f64 v[196:197], -v[196:197], v[202:203], v[200:201]
	v_div_fmas_f64 v[196:197], v[196:197], v[198:199], v[202:203]
	v_div_fixup_f64 v[196:197], v[196:197], v[194:195], v[192:193]
	v_fmac_f64_e32 v[194:195], v[192:193], v[196:197]
	v_div_scale_f64 v[192:193], s[10:11], v[194:195], v[194:195], 1.0
	v_rcp_f64_e32 v[198:199], v[192:193]
	s_nop 0
	v_fma_f64 v[200:201], -v[192:193], v[198:199], 1.0
	v_fmac_f64_e32 v[198:199], v[198:199], v[200:201]
	v_fma_f64 v[200:201], -v[192:193], v[198:199], 1.0
	v_fmac_f64_e32 v[198:199], v[198:199], v[200:201]
	v_div_scale_f64 v[200:201], vcc, 1.0, v[194:195], 1.0
	v_mul_f64 v[202:203], v[200:201], v[198:199]
	v_fma_f64 v[192:193], -v[192:193], v[202:203], v[200:201]
	s_nop 1
	v_div_fmas_f64 v[192:193], v[192:193], v[198:199], v[202:203]
	v_div_fixup_f64 v[198:199], v[192:193], v[194:195], 1.0
	v_mul_f64 v[196:197], v[196:197], v[198:199]
	v_xor_b32_e32 v199, 0x80000000, v199
                                        ; implicit-def: $vgpr192_vgpr193
.LBB77_311:
	s_andn2_saveexec_b64 s[2:3], s[2:3]
	s_cbranch_execz .LBB77_313
; %bb.312:
	v_div_scale_f64 v[196:197], s[10:11], v[192:193], v[192:193], v[194:195]
	v_rcp_f64_e32 v[198:199], v[196:197]
	v_div_scale_f64 v[200:201], vcc, v[194:195], v[192:193], v[194:195]
	v_fma_f64 v[202:203], -v[196:197], v[198:199], 1.0
	v_fmac_f64_e32 v[198:199], v[198:199], v[202:203]
	v_fma_f64 v[202:203], -v[196:197], v[198:199], 1.0
	v_fmac_f64_e32 v[198:199], v[198:199], v[202:203]
	v_mul_f64 v[202:203], v[200:201], v[198:199]
	v_fma_f64 v[196:197], -v[196:197], v[202:203], v[200:201]
	v_div_fmas_f64 v[196:197], v[196:197], v[198:199], v[202:203]
	v_div_fixup_f64 v[198:199], v[196:197], v[192:193], v[194:195]
	v_fmac_f64_e32 v[192:193], v[194:195], v[198:199]
	v_div_scale_f64 v[194:195], s[10:11], v[192:193], v[192:193], 1.0
	v_rcp_f64_e32 v[196:197], v[194:195]
	s_nop 0
	v_fma_f64 v[200:201], -v[194:195], v[196:197], 1.0
	v_fmac_f64_e32 v[196:197], v[196:197], v[200:201]
	v_fma_f64 v[200:201], -v[194:195], v[196:197], 1.0
	v_fmac_f64_e32 v[196:197], v[196:197], v[200:201]
	v_div_scale_f64 v[200:201], vcc, 1.0, v[192:193], 1.0
	v_mul_f64 v[202:203], v[200:201], v[196:197]
	v_fma_f64 v[194:195], -v[194:195], v[202:203], v[200:201]
	s_nop 1
	v_div_fmas_f64 v[194:195], v[194:195], v[196:197], v[202:203]
	v_div_fixup_f64 v[196:197], v[194:195], v[192:193], 1.0
	v_mul_f64 v[198:199], v[198:199], -v[196:197]
.LBB77_313:
	s_or_b64 exec, exec, s[2:3]
	ds_write2_b64 v215, v[196:197], v[198:199] offset1:1
.LBB77_314:
	s_or_b64 exec, exec, s[4:5]
	s_waitcnt lgkmcnt(0)
	s_barrier
	ds_read2_b64 v[192:195], v215 offset1:1
	v_cmp_lt_u32_e32 vcc, 34, v214
	s_and_saveexec_b64 s[2:3], vcc
	s_cbranch_execz .LBB77_316
; %bb.315:
	ds_read2_b64 v[196:199], v212 offset0:70 offset1:71
	s_waitcnt vmcnt(35) lgkmcnt(1)
	v_mul_f64 v[200:201], v[192:193], v[14:15]
	v_fmac_f64_e32 v[200:201], v[194:195], v[12:13]
	v_mul_f64 v[14:15], v[194:195], v[14:15]
	v_fma_f64 v[12:13], v[192:193], v[12:13], -v[14:15]
	s_waitcnt lgkmcnt(0)
	v_mul_f64 v[14:15], v[198:199], v[200:201]
	v_fma_f64 v[14:15], v[196:197], v[12:13], -v[14:15]
	v_mul_f64 v[196:197], v[196:197], v[200:201]
	v_fmac_f64_e32 v[196:197], v[198:199], v[12:13]
	s_waitcnt vmcnt(34)
	v_add_f64 v[10:11], v[10:11], -v[196:197]
	ds_read2_b64 v[196:199], v212 offset0:72 offset1:73
	v_add_f64 v[8:9], v[8:9], -v[14:15]
	s_waitcnt lgkmcnt(0)
	v_mul_f64 v[14:15], v[198:199], v[200:201]
	v_fma_f64 v[14:15], v[196:197], v[12:13], -v[14:15]
	v_mul_f64 v[196:197], v[196:197], v[200:201]
	v_fmac_f64_e32 v[196:197], v[198:199], v[12:13]
	s_waitcnt vmcnt(33)
	v_add_f64 v[6:7], v[6:7], -v[196:197]
	ds_read2_b64 v[196:199], v212 offset0:74 offset1:75
	v_add_f64 v[4:5], v[4:5], -v[14:15]
	s_waitcnt lgkmcnt(0)
	v_mul_f64 v[14:15], v[198:199], v[200:201]
	v_fma_f64 v[14:15], v[196:197], v[12:13], -v[14:15]
	v_mul_f64 v[196:197], v[196:197], v[200:201]
	v_fmac_f64_e32 v[196:197], v[198:199], v[12:13]
	v_add_f64 v[2:3], v[2:3], -v[196:197]
	ds_read2_b64 v[196:199], v212 offset0:76 offset1:77
	v_add_f64 v[0:1], v[0:1], -v[14:15]
	s_waitcnt lgkmcnt(0)
	v_mul_f64 v[14:15], v[198:199], v[200:201]
	v_fma_f64 v[14:15], v[196:197], v[12:13], -v[14:15]
	v_mul_f64 v[196:197], v[196:197], v[200:201]
	v_fmac_f64_e32 v[196:197], v[198:199], v[12:13]
	s_waitcnt vmcnt(31)
	v_add_f64 v[152:153], v[152:153], -v[14:15]
	v_add_f64 v[154:155], v[154:155], -v[196:197]
	v_mov_b64_e32 v[14:15], v[200:201]
.LBB77_316:
	s_or_b64 exec, exec, s[2:3]
	v_cmp_eq_u32_e32 vcc, 35, v214
	s_waitcnt lgkmcnt(0)
	s_barrier
	s_and_saveexec_b64 s[4:5], vcc
	s_cbranch_execz .LBB77_323
; %bb.317:
	s_waitcnt vmcnt(34)
	ds_write2_b64 v215, v[8:9], v[10:11] offset1:1
	s_waitcnt vmcnt(33)
	ds_write2_b64 v212, v[4:5], v[6:7] offset0:72 offset1:73
	ds_write2_b64 v212, v[0:1], v[2:3] offset0:74 offset1:75
	s_waitcnt vmcnt(31)
	ds_write2_b64 v212, v[152:153], v[154:155] offset0:76 offset1:77
	ds_read2_b64 v[196:199], v215 offset1:1
	s_waitcnt lgkmcnt(0)
	v_cmp_neq_f64_e32 vcc, 0, v[196:197]
	v_cmp_neq_f64_e64 s[2:3], 0, v[198:199]
	s_or_b64 s[2:3], vcc, s[2:3]
	s_and_b64 exec, exec, s[2:3]
	s_cbranch_execz .LBB77_323
; %bb.318:
	v_cmp_ngt_f64_e64 s[2:3], |v[196:197]|, |v[198:199]|
                                        ; implicit-def: $vgpr200_vgpr201
	s_and_saveexec_b64 s[10:11], s[2:3]
	s_xor_b64 s[2:3], exec, s[10:11]
                                        ; implicit-def: $vgpr202_vgpr203
	s_cbranch_execz .LBB77_320
; %bb.319:
	v_div_scale_f64 v[200:201], s[10:11], v[198:199], v[198:199], v[196:197]
	v_rcp_f64_e32 v[202:203], v[200:201]
	v_div_scale_f64 v[204:205], vcc, v[196:197], v[198:199], v[196:197]
	v_fma_f64 v[206:207], -v[200:201], v[202:203], 1.0
	v_fmac_f64_e32 v[202:203], v[202:203], v[206:207]
	v_fma_f64 v[206:207], -v[200:201], v[202:203], 1.0
	v_fmac_f64_e32 v[202:203], v[202:203], v[206:207]
	v_mul_f64 v[206:207], v[204:205], v[202:203]
	v_fma_f64 v[200:201], -v[200:201], v[206:207], v[204:205]
	v_div_fmas_f64 v[200:201], v[200:201], v[202:203], v[206:207]
	v_div_fixup_f64 v[200:201], v[200:201], v[198:199], v[196:197]
	v_fmac_f64_e32 v[198:199], v[196:197], v[200:201]
	v_div_scale_f64 v[196:197], s[10:11], v[198:199], v[198:199], 1.0
	v_rcp_f64_e32 v[202:203], v[196:197]
	s_nop 0
	v_fma_f64 v[204:205], -v[196:197], v[202:203], 1.0
	v_fmac_f64_e32 v[202:203], v[202:203], v[204:205]
	v_fma_f64 v[204:205], -v[196:197], v[202:203], 1.0
	v_fmac_f64_e32 v[202:203], v[202:203], v[204:205]
	v_div_scale_f64 v[204:205], vcc, 1.0, v[198:199], 1.0
	v_mul_f64 v[206:207], v[204:205], v[202:203]
	v_fma_f64 v[196:197], -v[196:197], v[206:207], v[204:205]
	s_nop 1
	v_div_fmas_f64 v[196:197], v[196:197], v[202:203], v[206:207]
	v_div_fixup_f64 v[202:203], v[196:197], v[198:199], 1.0
	v_mul_f64 v[200:201], v[200:201], v[202:203]
	v_xor_b32_e32 v203, 0x80000000, v203
                                        ; implicit-def: $vgpr196_vgpr197
.LBB77_320:
	s_andn2_saveexec_b64 s[2:3], s[2:3]
	s_cbranch_execz .LBB77_322
; %bb.321:
	v_div_scale_f64 v[200:201], s[10:11], v[196:197], v[196:197], v[198:199]
	v_rcp_f64_e32 v[202:203], v[200:201]
	v_div_scale_f64 v[204:205], vcc, v[198:199], v[196:197], v[198:199]
	v_fma_f64 v[206:207], -v[200:201], v[202:203], 1.0
	v_fmac_f64_e32 v[202:203], v[202:203], v[206:207]
	v_fma_f64 v[206:207], -v[200:201], v[202:203], 1.0
	v_fmac_f64_e32 v[202:203], v[202:203], v[206:207]
	v_mul_f64 v[206:207], v[204:205], v[202:203]
	v_fma_f64 v[200:201], -v[200:201], v[206:207], v[204:205]
	v_div_fmas_f64 v[200:201], v[200:201], v[202:203], v[206:207]
	v_div_fixup_f64 v[202:203], v[200:201], v[196:197], v[198:199]
	v_fmac_f64_e32 v[196:197], v[198:199], v[202:203]
	v_div_scale_f64 v[198:199], s[10:11], v[196:197], v[196:197], 1.0
	v_rcp_f64_e32 v[200:201], v[198:199]
	s_nop 0
	v_fma_f64 v[204:205], -v[198:199], v[200:201], 1.0
	v_fmac_f64_e32 v[200:201], v[200:201], v[204:205]
	v_fma_f64 v[204:205], -v[198:199], v[200:201], 1.0
	v_fmac_f64_e32 v[200:201], v[200:201], v[204:205]
	v_div_scale_f64 v[204:205], vcc, 1.0, v[196:197], 1.0
	v_mul_f64 v[206:207], v[204:205], v[200:201]
	v_fma_f64 v[198:199], -v[198:199], v[206:207], v[204:205]
	s_nop 1
	v_div_fmas_f64 v[198:199], v[198:199], v[200:201], v[206:207]
	v_div_fixup_f64 v[200:201], v[198:199], v[196:197], 1.0
	v_mul_f64 v[202:203], v[202:203], -v[200:201]
.LBB77_322:
	s_or_b64 exec, exec, s[2:3]
	ds_write2_b64 v215, v[200:201], v[202:203] offset1:1
.LBB77_323:
	s_or_b64 exec, exec, s[4:5]
	s_waitcnt lgkmcnt(0)
	s_barrier
	ds_read2_b64 v[196:199], v215 offset1:1
	v_cmp_lt_u32_e32 vcc, 35, v214
	s_and_saveexec_b64 s[2:3], vcc
	s_cbranch_execz .LBB77_325
; %bb.324:
	ds_read2_b64 v[200:203], v212 offset0:72 offset1:73
	s_waitcnt vmcnt(34) lgkmcnt(1)
	v_mul_f64 v[204:205], v[196:197], v[10:11]
	v_fmac_f64_e32 v[204:205], v[198:199], v[8:9]
	v_mul_f64 v[10:11], v[198:199], v[10:11]
	v_fma_f64 v[8:9], v[196:197], v[8:9], -v[10:11]
	s_waitcnt lgkmcnt(0)
	v_mul_f64 v[10:11], v[202:203], v[204:205]
	v_fma_f64 v[10:11], v[200:201], v[8:9], -v[10:11]
	v_mul_f64 v[200:201], v[200:201], v[204:205]
	v_fmac_f64_e32 v[200:201], v[202:203], v[8:9]
	s_waitcnt vmcnt(33)
	v_add_f64 v[6:7], v[6:7], -v[200:201]
	ds_read2_b64 v[200:203], v212 offset0:74 offset1:75
	v_add_f64 v[4:5], v[4:5], -v[10:11]
	s_waitcnt lgkmcnt(0)
	v_mul_f64 v[10:11], v[202:203], v[204:205]
	v_fma_f64 v[10:11], v[200:201], v[8:9], -v[10:11]
	v_mul_f64 v[200:201], v[200:201], v[204:205]
	v_fmac_f64_e32 v[200:201], v[202:203], v[8:9]
	v_add_f64 v[2:3], v[2:3], -v[200:201]
	ds_read2_b64 v[200:203], v212 offset0:76 offset1:77
	v_add_f64 v[0:1], v[0:1], -v[10:11]
	s_waitcnt lgkmcnt(0)
	v_mul_f64 v[10:11], v[202:203], v[204:205]
	v_fma_f64 v[10:11], v[200:201], v[8:9], -v[10:11]
	v_mul_f64 v[200:201], v[200:201], v[204:205]
	v_fmac_f64_e32 v[200:201], v[202:203], v[8:9]
	s_waitcnt vmcnt(31)
	v_add_f64 v[152:153], v[152:153], -v[10:11]
	v_add_f64 v[154:155], v[154:155], -v[200:201]
	v_mov_b64_e32 v[10:11], v[204:205]
.LBB77_325:
	s_or_b64 exec, exec, s[2:3]
	v_cmp_eq_u32_e32 vcc, 36, v214
	s_waitcnt lgkmcnt(0)
	s_barrier
	s_and_saveexec_b64 s[4:5], vcc
	s_cbranch_execz .LBB77_332
; %bb.326:
	s_waitcnt vmcnt(33)
	ds_write2_b64 v215, v[4:5], v[6:7] offset1:1
	ds_write2_b64 v212, v[0:1], v[2:3] offset0:74 offset1:75
	s_waitcnt vmcnt(31)
	ds_write2_b64 v212, v[152:153], v[154:155] offset0:76 offset1:77
	ds_read2_b64 v[200:203], v215 offset1:1
	s_waitcnt lgkmcnt(0)
	v_cmp_neq_f64_e32 vcc, 0, v[200:201]
	v_cmp_neq_f64_e64 s[2:3], 0, v[202:203]
	s_or_b64 s[2:3], vcc, s[2:3]
	s_and_b64 exec, exec, s[2:3]
	s_cbranch_execz .LBB77_332
; %bb.327:
	v_cmp_ngt_f64_e64 s[2:3], |v[200:201]|, |v[202:203]|
                                        ; implicit-def: $vgpr204_vgpr205
	s_and_saveexec_b64 s[10:11], s[2:3]
	s_xor_b64 s[2:3], exec, s[10:11]
                                        ; implicit-def: $vgpr206_vgpr207
	s_cbranch_execz .LBB77_329
; %bb.328:
	v_div_scale_f64 v[204:205], s[10:11], v[202:203], v[202:203], v[200:201]
	v_rcp_f64_e32 v[206:207], v[204:205]
	v_div_scale_f64 v[208:209], vcc, v[200:201], v[202:203], v[200:201]
	v_fma_f64 v[210:211], -v[204:205], v[206:207], 1.0
	v_fmac_f64_e32 v[206:207], v[206:207], v[210:211]
	v_fma_f64 v[210:211], -v[204:205], v[206:207], 1.0
	v_fmac_f64_e32 v[206:207], v[206:207], v[210:211]
	v_mul_f64 v[210:211], v[208:209], v[206:207]
	v_fma_f64 v[204:205], -v[204:205], v[210:211], v[208:209]
	v_div_fmas_f64 v[204:205], v[204:205], v[206:207], v[210:211]
	v_div_fixup_f64 v[204:205], v[204:205], v[202:203], v[200:201]
	v_fmac_f64_e32 v[202:203], v[200:201], v[204:205]
	v_div_scale_f64 v[200:201], s[10:11], v[202:203], v[202:203], 1.0
	v_rcp_f64_e32 v[206:207], v[200:201]
	s_nop 0
	v_fma_f64 v[208:209], -v[200:201], v[206:207], 1.0
	v_fmac_f64_e32 v[206:207], v[206:207], v[208:209]
	v_fma_f64 v[208:209], -v[200:201], v[206:207], 1.0
	v_fmac_f64_e32 v[206:207], v[206:207], v[208:209]
	v_div_scale_f64 v[208:209], vcc, 1.0, v[202:203], 1.0
	v_mul_f64 v[210:211], v[208:209], v[206:207]
	v_fma_f64 v[200:201], -v[200:201], v[210:211], v[208:209]
	s_nop 1
	v_div_fmas_f64 v[200:201], v[200:201], v[206:207], v[210:211]
	v_div_fixup_f64 v[206:207], v[200:201], v[202:203], 1.0
	v_mul_f64 v[204:205], v[204:205], v[206:207]
	v_xor_b32_e32 v207, 0x80000000, v207
                                        ; implicit-def: $vgpr200_vgpr201
.LBB77_329:
	s_andn2_saveexec_b64 s[2:3], s[2:3]
	s_cbranch_execz .LBB77_331
; %bb.330:
	v_div_scale_f64 v[204:205], s[10:11], v[200:201], v[200:201], v[202:203]
	v_rcp_f64_e32 v[206:207], v[204:205]
	v_div_scale_f64 v[208:209], vcc, v[202:203], v[200:201], v[202:203]
	v_fma_f64 v[210:211], -v[204:205], v[206:207], 1.0
	v_fmac_f64_e32 v[206:207], v[206:207], v[210:211]
	v_fma_f64 v[210:211], -v[204:205], v[206:207], 1.0
	v_fmac_f64_e32 v[206:207], v[206:207], v[210:211]
	v_mul_f64 v[210:211], v[208:209], v[206:207]
	v_fma_f64 v[204:205], -v[204:205], v[210:211], v[208:209]
	v_div_fmas_f64 v[204:205], v[204:205], v[206:207], v[210:211]
	v_div_fixup_f64 v[206:207], v[204:205], v[200:201], v[202:203]
	v_fmac_f64_e32 v[200:201], v[202:203], v[206:207]
	v_div_scale_f64 v[202:203], s[10:11], v[200:201], v[200:201], 1.0
	v_rcp_f64_e32 v[204:205], v[202:203]
	s_nop 0
	v_fma_f64 v[208:209], -v[202:203], v[204:205], 1.0
	v_fmac_f64_e32 v[204:205], v[204:205], v[208:209]
	v_fma_f64 v[208:209], -v[202:203], v[204:205], 1.0
	v_fmac_f64_e32 v[204:205], v[204:205], v[208:209]
	v_div_scale_f64 v[208:209], vcc, 1.0, v[200:201], 1.0
	v_mul_f64 v[210:211], v[208:209], v[204:205]
	v_fma_f64 v[202:203], -v[202:203], v[210:211], v[208:209]
	s_nop 1
	v_div_fmas_f64 v[202:203], v[202:203], v[204:205], v[210:211]
	v_div_fixup_f64 v[204:205], v[202:203], v[200:201], 1.0
	v_mul_f64 v[206:207], v[206:207], -v[204:205]
.LBB77_331:
	s_or_b64 exec, exec, s[2:3]
	ds_write2_b64 v215, v[204:205], v[206:207] offset1:1
.LBB77_332:
	s_or_b64 exec, exec, s[4:5]
	s_waitcnt lgkmcnt(0)
	s_barrier
	ds_read2_b64 v[200:203], v215 offset1:1
	v_cmp_lt_u32_e32 vcc, 36, v214
	s_and_saveexec_b64 s[2:3], vcc
	s_cbranch_execz .LBB77_334
; %bb.333:
	ds_read2_b64 v[204:207], v212 offset0:74 offset1:75
	s_waitcnt vmcnt(33) lgkmcnt(1)
	v_mul_f64 v[208:209], v[200:201], v[6:7]
	v_fmac_f64_e32 v[208:209], v[202:203], v[4:5]
	v_mul_f64 v[6:7], v[202:203], v[6:7]
	v_fma_f64 v[4:5], v[200:201], v[4:5], -v[6:7]
	s_waitcnt lgkmcnt(0)
	v_mul_f64 v[6:7], v[206:207], v[208:209]
	v_fma_f64 v[6:7], v[204:205], v[4:5], -v[6:7]
	v_mul_f64 v[204:205], v[204:205], v[208:209]
	v_fmac_f64_e32 v[204:205], v[206:207], v[4:5]
	v_add_f64 v[2:3], v[2:3], -v[204:205]
	ds_read2_b64 v[204:207], v212 offset0:76 offset1:77
	v_add_f64 v[0:1], v[0:1], -v[6:7]
	s_waitcnt lgkmcnt(0)
	v_mul_f64 v[6:7], v[206:207], v[208:209]
	v_fma_f64 v[6:7], v[204:205], v[4:5], -v[6:7]
	v_mul_f64 v[204:205], v[204:205], v[208:209]
	v_fmac_f64_e32 v[204:205], v[206:207], v[4:5]
	s_waitcnt vmcnt(31)
	v_add_f64 v[152:153], v[152:153], -v[6:7]
	v_add_f64 v[154:155], v[154:155], -v[204:205]
	v_mov_b64_e32 v[6:7], v[208:209]
.LBB77_334:
	s_or_b64 exec, exec, s[2:3]
	v_cmp_eq_u32_e32 vcc, 37, v214
	s_waitcnt lgkmcnt(0)
	s_barrier
	s_and_saveexec_b64 s[4:5], vcc
	s_cbranch_execz .LBB77_341
; %bb.335:
	s_waitcnt vmcnt(52)
	ds_write2_b64 v215, v[0:1], v[2:3] offset1:1
	s_waitcnt vmcnt(31)
	ds_write2_b64 v212, v[152:153], v[154:155] offset0:76 offset1:77
	ds_read2_b64 v[204:207], v215 offset1:1
	s_waitcnt lgkmcnt(0)
	v_cmp_neq_f64_e32 vcc, 0, v[204:205]
	v_cmp_neq_f64_e64 s[2:3], 0, v[206:207]
	s_or_b64 s[2:3], vcc, s[2:3]
	s_and_b64 exec, exec, s[2:3]
	s_cbranch_execz .LBB77_341
; %bb.336:
	v_cmp_ngt_f64_e64 s[2:3], |v[204:205]|, |v[206:207]|
                                        ; implicit-def: $vgpr208_vgpr209
	s_and_saveexec_b64 s[10:11], s[2:3]
	s_xor_b64 s[2:3], exec, s[10:11]
                                        ; implicit-def: $vgpr210_vgpr211
	s_cbranch_execz .LBB77_338
; %bb.337:
	v_div_scale_f64 v[208:209], s[10:11], v[206:207], v[206:207], v[204:205]
	v_rcp_f64_e32 v[210:211], v[208:209]
	v_mov_b64_e32 v[158:159], v[218:219]
	v_mov_b64_e32 v[156:157], v[216:217]
	v_div_scale_f64 v[216:217], vcc, v[204:205], v[206:207], v[204:205]
	v_fma_f64 v[218:219], -v[208:209], v[210:211], 1.0
	v_fmac_f64_e32 v[210:211], v[210:211], v[218:219]
	v_fma_f64 v[218:219], -v[208:209], v[210:211], 1.0
	v_fmac_f64_e32 v[210:211], v[210:211], v[218:219]
	v_mul_f64 v[218:219], v[216:217], v[210:211]
	v_fma_f64 v[208:209], -v[208:209], v[218:219], v[216:217]
	v_div_fmas_f64 v[208:209], v[208:209], v[210:211], v[218:219]
	v_div_fixup_f64 v[208:209], v[208:209], v[206:207], v[204:205]
	v_fmac_f64_e32 v[206:207], v[204:205], v[208:209]
	v_div_scale_f64 v[204:205], s[10:11], v[206:207], v[206:207], 1.0
	v_rcp_f64_e32 v[210:211], v[204:205]
	s_nop 0
	v_fma_f64 v[216:217], -v[204:205], v[210:211], 1.0
	v_fmac_f64_e32 v[210:211], v[210:211], v[216:217]
	v_fma_f64 v[216:217], -v[204:205], v[210:211], 1.0
	v_fmac_f64_e32 v[210:211], v[210:211], v[216:217]
	v_div_scale_f64 v[216:217], vcc, 1.0, v[206:207], 1.0
	v_mul_f64 v[218:219], v[216:217], v[210:211]
	v_fma_f64 v[204:205], -v[204:205], v[218:219], v[216:217]
	v_mov_b64_e32 v[216:217], v[156:157]
	s_nop 0
	v_div_fmas_f64 v[204:205], v[204:205], v[210:211], v[218:219]
	v_div_fixup_f64 v[210:211], v[204:205], v[206:207], 1.0
	v_mov_b64_e32 v[218:219], v[158:159]
	v_mul_f64 v[208:209], v[208:209], v[210:211]
	v_xor_b32_e32 v211, 0x80000000, v211
                                        ; implicit-def: $vgpr204_vgpr205
.LBB77_338:
	s_andn2_saveexec_b64 s[2:3], s[2:3]
	s_cbranch_execz .LBB77_340
; %bb.339:
	v_div_scale_f64 v[208:209], s[10:11], v[204:205], v[204:205], v[206:207]
	v_rcp_f64_e32 v[210:211], v[208:209]
	v_mov_b64_e32 v[158:159], v[218:219]
	v_mov_b64_e32 v[156:157], v[216:217]
	v_div_scale_f64 v[216:217], vcc, v[206:207], v[204:205], v[206:207]
	v_fma_f64 v[218:219], -v[208:209], v[210:211], 1.0
	v_fmac_f64_e32 v[210:211], v[210:211], v[218:219]
	v_fma_f64 v[218:219], -v[208:209], v[210:211], 1.0
	v_fmac_f64_e32 v[210:211], v[210:211], v[218:219]
	v_mul_f64 v[218:219], v[216:217], v[210:211]
	v_fma_f64 v[208:209], -v[208:209], v[218:219], v[216:217]
	v_div_fmas_f64 v[208:209], v[208:209], v[210:211], v[218:219]
	v_div_fixup_f64 v[210:211], v[208:209], v[204:205], v[206:207]
	v_fmac_f64_e32 v[204:205], v[206:207], v[210:211]
	v_div_scale_f64 v[206:207], s[10:11], v[204:205], v[204:205], 1.0
	v_rcp_f64_e32 v[208:209], v[206:207]
	s_nop 0
	v_fma_f64 v[216:217], -v[206:207], v[208:209], 1.0
	v_fmac_f64_e32 v[208:209], v[208:209], v[216:217]
	v_fma_f64 v[216:217], -v[206:207], v[208:209], 1.0
	v_fmac_f64_e32 v[208:209], v[208:209], v[216:217]
	v_div_scale_f64 v[216:217], vcc, 1.0, v[204:205], 1.0
	v_mul_f64 v[218:219], v[216:217], v[208:209]
	v_fma_f64 v[206:207], -v[206:207], v[218:219], v[216:217]
	v_mov_b64_e32 v[216:217], v[156:157]
	s_nop 0
	v_div_fmas_f64 v[206:207], v[206:207], v[208:209], v[218:219]
	v_div_fixup_f64 v[208:209], v[206:207], v[204:205], 1.0
	v_mov_b64_e32 v[218:219], v[158:159]
	v_mul_f64 v[210:211], v[210:211], -v[208:209]
.LBB77_340:
	s_or_b64 exec, exec, s[2:3]
	ds_write2_b64 v215, v[208:209], v[210:211] offset1:1
.LBB77_341:
	s_or_b64 exec, exec, s[4:5]
	s_waitcnt lgkmcnt(0)
	s_barrier
	ds_read2_b64 v[204:207], v215 offset1:1
	v_cmp_lt_u32_e32 vcc, 37, v214
	s_and_saveexec_b64 s[2:3], vcc
	s_cbranch_execz .LBB77_343
; %bb.342:
	ds_read2_b64 v[208:211], v212 offset0:76 offset1:77
	s_waitcnt vmcnt(52) lgkmcnt(1)
	v_mul_f64 v[212:213], v[204:205], v[2:3]
	v_mul_f64 v[2:3], v[206:207], v[2:3]
	v_fmac_f64_e32 v[212:213], v[206:207], v[0:1]
	v_fma_f64 v[0:1], v[204:205], v[0:1], -v[2:3]
	s_waitcnt lgkmcnt(0)
	v_mul_f64 v[2:3], v[210:211], v[212:213]
	v_fma_f64 v[2:3], v[208:209], v[0:1], -v[2:3]
	v_mul_f64 v[208:209], v[208:209], v[212:213]
	v_fmac_f64_e32 v[208:209], v[210:211], v[0:1]
	s_waitcnt vmcnt(31)
	v_add_f64 v[152:153], v[152:153], -v[2:3]
	v_add_f64 v[154:155], v[154:155], -v[208:209]
	v_mov_b64_e32 v[2:3], v[212:213]
.LBB77_343:
	s_or_b64 exec, exec, s[2:3]
	v_cmp_eq_u32_e32 vcc, 38, v214
	s_waitcnt lgkmcnt(0)
	s_barrier
	s_and_saveexec_b64 s[4:5], vcc
	s_cbranch_execz .LBB77_350
; %bb.344:
	s_waitcnt vmcnt(31)
	v_cmp_neq_f64_e32 vcc, 0, v[152:153]
	v_cmp_neq_f64_e64 s[2:3], 0, v[154:155]
	s_or_b64 s[2:3], vcc, s[2:3]
	ds_write2_b64 v215, v[152:153], v[154:155] offset1:1
	s_and_b64 exec, exec, s[2:3]
	s_cbranch_execz .LBB77_350
; %bb.345:
	v_cmp_ngt_f64_e64 s[2:3], |v[152:153]|, |v[154:155]|
                                        ; implicit-def: $vgpr208_vgpr209
	s_and_saveexec_b64 s[10:11], s[2:3]
	s_xor_b64 s[2:3], exec, s[10:11]
                                        ; implicit-def: $vgpr210_vgpr211
	s_cbranch_execz .LBB77_347
; %bb.346:
	v_div_scale_f64 v[208:209], s[10:11], v[154:155], v[154:155], v[152:153]
	v_rcp_f64_e32 v[210:211], v[208:209]
	v_mov_b64_e32 v[158:159], v[216:217]
	v_div_scale_f64 v[212:213], vcc, v[152:153], v[154:155], v[152:153]
	v_fma_f64 v[216:217], -v[208:209], v[210:211], 1.0
	v_fmac_f64_e32 v[210:211], v[210:211], v[216:217]
	v_fma_f64 v[216:217], -v[208:209], v[210:211], 1.0
	v_fmac_f64_e32 v[210:211], v[210:211], v[216:217]
	v_mul_f64 v[216:217], v[212:213], v[210:211]
	v_fma_f64 v[208:209], -v[208:209], v[216:217], v[212:213]
	v_div_fmas_f64 v[208:209], v[208:209], v[210:211], v[216:217]
	v_div_fixup_f64 v[208:209], v[208:209], v[154:155], v[152:153]
	v_fma_f64 v[210:211], v[152:153], v[208:209], v[154:155]
	v_div_scale_f64 v[212:213], s[10:11], v[210:211], v[210:211], 1.0
	v_rcp_f64_e32 v[216:217], v[212:213]
	v_mov_b64_e32 v[172:173], v[170:171]
	v_mov_b64_e32 v[170:171], v[168:169]
	;; [unrolled: 1-line block ×7, first 2 shown]
	v_fma_f64 v[218:219], -v[212:213], v[216:217], 1.0
	v_fmac_f64_e32 v[216:217], v[216:217], v[218:219]
	v_fma_f64 v[218:219], -v[212:213], v[216:217], 1.0
	v_fmac_f64_e32 v[216:217], v[216:217], v[218:219]
	v_div_scale_f64 v[218:219], vcc, 1.0, v[210:211], 1.0
	v_mov_b64_e32 v[156:157], v[254:255]
	v_mov_b64_e32 v[254:255], v[252:253]
	;; [unrolled: 1-line block ×18, first 2 shown]
	v_mul_f64 v[220:221], v[218:219], v[216:217]
	v_fma_f64 v[212:213], -v[212:213], v[220:221], v[218:219]
	v_mov_b64_e32 v[218:219], v[160:161]
	v_mov_b64_e32 v[160:161], v[162:163]
	v_mov_b64_e32 v[162:163], v[164:165]
	v_mov_b64_e32 v[164:165], v[166:167]
	v_div_fmas_f64 v[212:213], v[212:213], v[216:217], v[220:221]
	v_mov_b64_e32 v[166:167], v[168:169]
	v_mov_b64_e32 v[168:169], v[170:171]
	v_div_fixup_f64 v[210:211], v[212:213], v[210:211], 1.0
	v_mov_b64_e32 v[170:171], v[172:173]
	v_mov_b64_e32 v[216:217], v[158:159]
	;; [unrolled: 1-line block ×20, first 2 shown]
	v_mul_f64 v[208:209], v[208:209], v[210:211]
	v_xor_b32_e32 v211, 0x80000000, v211
.LBB77_347:
	s_andn2_saveexec_b64 s[2:3], s[2:3]
	s_cbranch_execz .LBB77_349
; %bb.348:
	v_div_scale_f64 v[208:209], s[10:11], v[152:153], v[152:153], v[154:155]
	v_rcp_f64_e32 v[210:211], v[208:209]
	v_mov_b64_e32 v[158:159], v[216:217]
	v_div_scale_f64 v[212:213], vcc, v[154:155], v[152:153], v[154:155]
	v_fma_f64 v[216:217], -v[208:209], v[210:211], 1.0
	v_fmac_f64_e32 v[210:211], v[210:211], v[216:217]
	v_fma_f64 v[216:217], -v[208:209], v[210:211], 1.0
	v_fmac_f64_e32 v[210:211], v[210:211], v[216:217]
	v_mul_f64 v[216:217], v[212:213], v[210:211]
	v_fma_f64 v[208:209], -v[208:209], v[216:217], v[212:213]
	v_div_fmas_f64 v[208:209], v[208:209], v[210:211], v[216:217]
	v_div_fixup_f64 v[210:211], v[208:209], v[152:153], v[154:155]
	v_fma_f64 v[208:209], v[154:155], v[210:211], v[152:153]
	v_div_scale_f64 v[212:213], s[10:11], v[208:209], v[208:209], 1.0
	v_rcp_f64_e32 v[216:217], v[212:213]
	v_mov_b64_e32 v[172:173], v[170:171]
	v_mov_b64_e32 v[170:171], v[168:169]
	;; [unrolled: 1-line block ×7, first 2 shown]
	v_fma_f64 v[218:219], -v[212:213], v[216:217], 1.0
	v_fmac_f64_e32 v[216:217], v[216:217], v[218:219]
	v_fma_f64 v[218:219], -v[212:213], v[216:217], 1.0
	v_fmac_f64_e32 v[216:217], v[216:217], v[218:219]
	v_div_scale_f64 v[218:219], vcc, 1.0, v[208:209], 1.0
	v_mov_b64_e32 v[156:157], v[254:255]
	v_mov_b64_e32 v[254:255], v[252:253]
	;; [unrolled: 1-line block ×18, first 2 shown]
	v_mul_f64 v[220:221], v[218:219], v[216:217]
	v_fma_f64 v[212:213], -v[212:213], v[220:221], v[218:219]
	v_mov_b64_e32 v[218:219], v[160:161]
	v_mov_b64_e32 v[160:161], v[162:163]
	;; [unrolled: 1-line block ×4, first 2 shown]
	v_div_fmas_f64 v[212:213], v[212:213], v[216:217], v[220:221]
	v_mov_b64_e32 v[166:167], v[168:169]
	v_mov_b64_e32 v[168:169], v[170:171]
	v_div_fixup_f64 v[208:209], v[212:213], v[208:209], 1.0
	v_mov_b64_e32 v[170:171], v[172:173]
	v_mov_b64_e32 v[216:217], v[158:159]
	;; [unrolled: 1-line block ×20, first 2 shown]
	v_mul_f64 v[210:211], v[210:211], -v[208:209]
.LBB77_349:
	s_or_b64 exec, exec, s[2:3]
	ds_write2_b64 v215, v[208:209], v[210:211] offset1:1
.LBB77_350:
	s_or_b64 exec, exec, s[4:5]
	s_waitcnt lgkmcnt(0)
	s_barrier
	ds_read2_b64 v[208:211], v215 offset1:1
	s_waitcnt lgkmcnt(0)
	s_barrier
	s_and_saveexec_b64 s[2:3], s[0:1]
	s_cbranch_execz .LBB77_353
; %bb.351:
	scratch_load_dwordx4 v[156:159], off, off offset:192 ; 16-byte Folded Reload
	s_waitcnt vmcnt(0)
	v_cmp_eq_f64_e32 vcc, 0, v[156:157]
	v_cmp_eq_f64_e64 s[0:1], 0, v[158:159]
	scratch_load_dwordx4 v[156:159], off, off offset:208 ; 16-byte Folded Reload
	s_and_b64 s[4:5], vcc, s[0:1]
	v_cndmask_b32_e64 v212, 0, 1, s[4:5]
	s_waitcnt vmcnt(0)
	v_cmp_neq_f64_e32 vcc, 0, v[156:157]
	v_cmp_neq_f64_e64 s[0:1], 0, v[158:159]
	scratch_load_dwordx4 v[156:159], off, off offset:224 ; 16-byte Folded Reload
	s_or_b64 s[0:1], vcc, s[0:1]
	s_or_b64 vcc, s[0:1], s[4:5]
	v_cndmask_b32_e32 v212, 2, v212, vcc
	s_waitcnt vmcnt(0)
	v_cmp_eq_f64_e32 vcc, 0, v[156:157]
	v_cmp_eq_f64_e64 s[0:1], 0, v[158:159]
	scratch_load_dwordx4 v[156:159], off, off offset:240 ; 16-byte Folded Reload
	s_and_b64 s[0:1], vcc, s[0:1]
	v_cmp_eq_u32_e32 vcc, 0, v212
	s_and_b64 s[0:1], s[0:1], vcc
	v_cndmask_b32_e64 v212, v212, 3, s[0:1]
	s_waitcnt vmcnt(0)
	v_cmp_eq_f64_e32 vcc, 0, v[156:157]
	v_cmp_eq_f64_e64 s[0:1], 0, v[158:159]
	scratch_load_dwordx4 v[156:159], off, off offset:256 ; 16-byte Folded Reload
	s_and_b64 s[0:1], vcc, s[0:1]
	v_cmp_eq_u32_e32 vcc, 0, v212
	s_and_b64 s[0:1], s[0:1], vcc
	v_cndmask_b32_e64 v212, v212, 4, s[0:1]
	;; [unrolled: 8-line block ×23, first 2 shown]
	s_waitcnt vmcnt(0)
	v_cmp_eq_f64_e32 vcc, 0, v[156:157]
	v_mov_b32_e32 v156, s6
	v_mov_b32_e32 v157, s7
	v_lshl_add_u64 v[156:157], v[242:243], 2, v[156:157]
	v_cmp_eq_f64_e64 s[0:1], 0, v[158:159]
	global_load_dword v159, v[156:157], off
	s_and_b64 s[0:1], vcc, s[0:1]
	v_cmp_eq_u32_e32 vcc, 0, v212
	s_and_b64 s[0:1], s[0:1], vcc
	v_cndmask_b32_e64 v158, v212, 26, s[0:1]
	v_cmp_eq_f64_e32 vcc, 0, v[160:161]
	v_cmp_eq_f64_e64 s[0:1], 0, v[162:163]
	s_and_b64 s[0:1], vcc, s[0:1]
	v_cmp_eq_u32_e32 vcc, 0, v158
	s_and_b64 s[0:1], s[0:1], vcc
	v_cndmask_b32_e64 v158, v158, 27, s[0:1]
	v_cmp_eq_f64_e32 vcc, 0, v[164:165]
	v_cmp_eq_f64_e64 s[0:1], 0, v[166:167]
	;; [unrolled: 6-line block ×13, first 2 shown]
	s_and_b64 s[0:1], vcc, s[0:1]
	v_cmp_eq_u32_e32 vcc, 0, v158
	s_and_b64 s[0:1], s[0:1], vcc
	v_cndmask_b32_e64 v158, v158, 39, s[0:1]
	s_waitcnt vmcnt(0)
	v_cmp_eq_u32_e32 vcc, 0, v159
	v_cmp_ne_u32_e64 s[0:1], 0, v158
	s_and_b64 s[0:1], vcc, s[0:1]
	s_and_b64 exec, exec, s[0:1]
	s_cbranch_execz .LBB77_353
; %bb.352:
	v_add_u32_e32 v158, s9, v158
	global_store_dword v[156:157], v158, off
.LBB77_353:
	s_or_b64 exec, exec, s[2:3]
	scratch_load_dwordx4 v[144:147], off, off offset:16 ; 16-byte Folded Reload
	s_waitcnt vmcnt(32)
	v_mul_f64 v[156:157], v[210:211], v[154:155]
	v_mul_f64 v[158:159], v[208:209], v[154:155]
	v_fma_f64 v[156:157], v[208:209], v[152:153], -v[156:157]
	v_fmac_f64_e32 v[158:159], v[210:211], v[152:153]
	v_cmp_lt_u32_e32 vcc, 38, v214
	s_waitcnt vmcnt(0)
	global_store_dwordx4 v[222:223], v[144:147], off
	scratch_load_dwordx2 v[148:149], off, off offset:184 ; 8-byte Folded Reload
	s_nop 0
	scratch_load_dwordx4 v[144:147], off, off ; 16-byte Folded Reload
	v_cndmask_b32_e32 v155, v155, v159, vcc
	v_cndmask_b32_e32 v154, v154, v158, vcc
	;; [unrolled: 1-line block ×4, first 2 shown]
	s_waitcnt vmcnt(0)
	global_store_dwordx4 v[148:149], v[144:147], off
	global_store_dwordx4 v[220:221], v[140:143], off
	;; [unrolled: 1-line block ×19, first 2 shown]
	scratch_load_dwordx2 v[72:73], off, off offset:32 ; 8-byte Folded Reload
	s_waitcnt vmcnt(0)
	global_store_dwordx4 v[72:73], v[68:71], off
	scratch_load_dwordx2 v[68:69], off, off offset:40 ; 8-byte Folded Reload
	s_waitcnt vmcnt(0)
	global_store_dwordx4 v[68:69], v[64:67], off
	;; [unrolled: 3-line block ×19, first 2 shown]
.LBB77_354:
	s_endpgm
	.section	.rodata,"a",@progbits
	.p2align	6, 0x0
	.amdhsa_kernel _ZN9rocsolver6v33100L23getf2_npvt_small_kernelILi39E19rocblas_complex_numIdEiiPS3_EEvT1_T3_lS5_lPT2_S5_S5_
		.amdhsa_group_segment_fixed_size 0
		.amdhsa_private_segment_fixed_size 612
		.amdhsa_kernarg_size 312
		.amdhsa_user_sgpr_count 2
		.amdhsa_user_sgpr_dispatch_ptr 0
		.amdhsa_user_sgpr_queue_ptr 0
		.amdhsa_user_sgpr_kernarg_segment_ptr 1
		.amdhsa_user_sgpr_dispatch_id 0
		.amdhsa_user_sgpr_kernarg_preload_length 0
		.amdhsa_user_sgpr_kernarg_preload_offset 0
		.amdhsa_user_sgpr_private_segment_size 0
		.amdhsa_uses_dynamic_stack 0
		.amdhsa_enable_private_segment 1
		.amdhsa_system_sgpr_workgroup_id_x 1
		.amdhsa_system_sgpr_workgroup_id_y 1
		.amdhsa_system_sgpr_workgroup_id_z 0
		.amdhsa_system_sgpr_workgroup_info 0
		.amdhsa_system_vgpr_workitem_id 1
		.amdhsa_next_free_vgpr 256
		.amdhsa_next_free_sgpr 16
		.amdhsa_accum_offset 256
		.amdhsa_reserve_vcc 1
		.amdhsa_float_round_mode_32 0
		.amdhsa_float_round_mode_16_64 0
		.amdhsa_float_denorm_mode_32 3
		.amdhsa_float_denorm_mode_16_64 3
		.amdhsa_dx10_clamp 1
		.amdhsa_ieee_mode 1
		.amdhsa_fp16_overflow 0
		.amdhsa_tg_split 0
		.amdhsa_exception_fp_ieee_invalid_op 0
		.amdhsa_exception_fp_denorm_src 0
		.amdhsa_exception_fp_ieee_div_zero 0
		.amdhsa_exception_fp_ieee_overflow 0
		.amdhsa_exception_fp_ieee_underflow 0
		.amdhsa_exception_fp_ieee_inexact 0
		.amdhsa_exception_int_div_zero 0
	.end_amdhsa_kernel
	.section	.text._ZN9rocsolver6v33100L23getf2_npvt_small_kernelILi39E19rocblas_complex_numIdEiiPS3_EEvT1_T3_lS5_lPT2_S5_S5_,"axG",@progbits,_ZN9rocsolver6v33100L23getf2_npvt_small_kernelILi39E19rocblas_complex_numIdEiiPS3_EEvT1_T3_lS5_lPT2_S5_S5_,comdat
.Lfunc_end77:
	.size	_ZN9rocsolver6v33100L23getf2_npvt_small_kernelILi39E19rocblas_complex_numIdEiiPS3_EEvT1_T3_lS5_lPT2_S5_S5_, .Lfunc_end77-_ZN9rocsolver6v33100L23getf2_npvt_small_kernelILi39E19rocblas_complex_numIdEiiPS3_EEvT1_T3_lS5_lPT2_S5_S5_
                                        ; -- End function
	.set _ZN9rocsolver6v33100L23getf2_npvt_small_kernelILi39E19rocblas_complex_numIdEiiPS3_EEvT1_T3_lS5_lPT2_S5_S5_.num_vgpr, 256
	.set _ZN9rocsolver6v33100L23getf2_npvt_small_kernelILi39E19rocblas_complex_numIdEiiPS3_EEvT1_T3_lS5_lPT2_S5_S5_.num_agpr, 0
	.set _ZN9rocsolver6v33100L23getf2_npvt_small_kernelILi39E19rocblas_complex_numIdEiiPS3_EEvT1_T3_lS5_lPT2_S5_S5_.numbered_sgpr, 16
	.set _ZN9rocsolver6v33100L23getf2_npvt_small_kernelILi39E19rocblas_complex_numIdEiiPS3_EEvT1_T3_lS5_lPT2_S5_S5_.num_named_barrier, 0
	.set _ZN9rocsolver6v33100L23getf2_npvt_small_kernelILi39E19rocblas_complex_numIdEiiPS3_EEvT1_T3_lS5_lPT2_S5_S5_.private_seg_size, 612
	.set _ZN9rocsolver6v33100L23getf2_npvt_small_kernelILi39E19rocblas_complex_numIdEiiPS3_EEvT1_T3_lS5_lPT2_S5_S5_.uses_vcc, 1
	.set _ZN9rocsolver6v33100L23getf2_npvt_small_kernelILi39E19rocblas_complex_numIdEiiPS3_EEvT1_T3_lS5_lPT2_S5_S5_.uses_flat_scratch, 0
	.set _ZN9rocsolver6v33100L23getf2_npvt_small_kernelILi39E19rocblas_complex_numIdEiiPS3_EEvT1_T3_lS5_lPT2_S5_S5_.has_dyn_sized_stack, 0
	.set _ZN9rocsolver6v33100L23getf2_npvt_small_kernelILi39E19rocblas_complex_numIdEiiPS3_EEvT1_T3_lS5_lPT2_S5_S5_.has_recursion, 0
	.set _ZN9rocsolver6v33100L23getf2_npvt_small_kernelILi39E19rocblas_complex_numIdEiiPS3_EEvT1_T3_lS5_lPT2_S5_S5_.has_indirect_call, 0
	.section	.AMDGPU.csdata,"",@progbits
; Kernel info:
; codeLenInByte = 75348
; TotalNumSgprs: 22
; NumVgprs: 256
; NumAgprs: 0
; TotalNumVgprs: 256
; ScratchSize: 612
; MemoryBound: 1
; FloatMode: 240
; IeeeMode: 1
; LDSByteSize: 0 bytes/workgroup (compile time only)
; SGPRBlocks: 2
; VGPRBlocks: 31
; NumSGPRsForWavesPerEU: 22
; NumVGPRsForWavesPerEU: 256
; AccumOffset: 256
; Occupancy: 2
; WaveLimiterHint : 0
; COMPUTE_PGM_RSRC2:SCRATCH_EN: 1
; COMPUTE_PGM_RSRC2:USER_SGPR: 2
; COMPUTE_PGM_RSRC2:TRAP_HANDLER: 0
; COMPUTE_PGM_RSRC2:TGID_X_EN: 1
; COMPUTE_PGM_RSRC2:TGID_Y_EN: 1
; COMPUTE_PGM_RSRC2:TGID_Z_EN: 0
; COMPUTE_PGM_RSRC2:TIDIG_COMP_CNT: 1
; COMPUTE_PGM_RSRC3_GFX90A:ACCUM_OFFSET: 63
; COMPUTE_PGM_RSRC3_GFX90A:TG_SPLIT: 0
	.section	.text._ZN9rocsolver6v33100L18getf2_small_kernelILi40E19rocblas_complex_numIdEiiPS3_EEvT1_T3_lS5_lPS5_llPT2_S5_S5_S7_l,"axG",@progbits,_ZN9rocsolver6v33100L18getf2_small_kernelILi40E19rocblas_complex_numIdEiiPS3_EEvT1_T3_lS5_lPS5_llPT2_S5_S5_S7_l,comdat
	.globl	_ZN9rocsolver6v33100L18getf2_small_kernelILi40E19rocblas_complex_numIdEiiPS3_EEvT1_T3_lS5_lPS5_llPT2_S5_S5_S7_l ; -- Begin function _ZN9rocsolver6v33100L18getf2_small_kernelILi40E19rocblas_complex_numIdEiiPS3_EEvT1_T3_lS5_lPS5_llPT2_S5_S5_S7_l
	.p2align	8
	.type	_ZN9rocsolver6v33100L18getf2_small_kernelILi40E19rocblas_complex_numIdEiiPS3_EEvT1_T3_lS5_lPS5_llPT2_S5_S5_S7_l,@function
_ZN9rocsolver6v33100L18getf2_small_kernelILi40E19rocblas_complex_numIdEiiPS3_EEvT1_T3_lS5_lPS5_llPT2_S5_S5_S7_l: ; @_ZN9rocsolver6v33100L18getf2_small_kernelILi40E19rocblas_complex_numIdEiiPS3_EEvT1_T3_lS5_lPS5_llPT2_S5_S5_S7_l
; %bb.0:
	s_load_dword s2, s[0:1], 0x6c
	s_load_dwordx2 s[12:13], s[0:1], 0x48
	v_bfe_u32 v160, v0, 10, 10
	s_waitcnt lgkmcnt(0)
	s_lshr_b32 s2, s2, 16
	s_mul_i32 s3, s3, s2
	v_add_u32_e32 v166, s3, v160
	v_cmp_gt_i32_e32 vcc, s12, v166
	s_and_saveexec_b64 s[2:3], vcc
	s_cbranch_execz .LBB78_841
; %bb.1:
	s_load_dwordx4 s[4:7], s[0:1], 0x50
	v_ashrrev_i32_e32 v167, 31, v166
	v_mov_b64_e32 v[168:169], 0
	s_waitcnt lgkmcnt(0)
	s_cmp_eq_u64 s[4:5], 0
	s_cselect_b64 s[14:15], -1, 0
	s_and_b64 vcc, exec, s[14:15]
	s_cbranch_vccnz .LBB78_3
; %bb.2:
	v_mul_lo_u32 v1, s7, v166
	v_mul_lo_u32 v4, s6, v167
	v_mad_u64_u32 v[2:3], s[2:3], s6, v166, 0
	v_add3_u32 v3, v3, v4, v1
	v_lshl_add_u64 v[168:169], v[2:3], 2, s[4:5]
.LBB78_3:
	s_load_dwordx4 s[16:19], s[0:1], 0x8
	s_load_dwordx8 s[4:11], s[0:1], 0x20
	s_load_dword s2, s[0:1], 0x18
	s_load_dword s20, s[0:1], 0x0
	v_and_b32_e32 v175, 0x3ff, v0
	s_waitcnt lgkmcnt(0)
	v_mov_b32_e32 v2, s16
	v_mul_lo_u32 v1, s5, v166
	v_mul_lo_u32 v6, s4, v167
	v_mad_u64_u32 v[4:5], s[4:5], s4, v166, 0
	v_mov_b32_e32 v3, s17
	v_add3_u32 v5, v5, v6, v1
	v_lshl_add_u64 v[2:3], v[4:5], 4, v[2:3]
	s_add_i32 s12, s2, s2
	v_lshl_add_u64 v[164:165], s[18:19], 4, v[2:3]
	v_add_u32_e32 v2, s12, v175
	v_add_u32_e32 v4, s2, v2
	;; [unrolled: 1-line block ×3, first 2 shown]
	v_lshlrev_b32_e32 v170, 4, v175
	v_mov_b32_e32 v171, 0
	v_add_u32_e32 v8, s2, v6
	v_lshl_add_u64 v[0:1], v[164:165], 0, v[170:171]
	s_ashr_i32 s3, s2, 31
	v_ashrrev_i32_e32 v9, 31, v8
	v_add_u32_e32 v12, s2, v8
	v_lshl_add_u64 v[10:11], s[2:3], 4, v[0:1]
	global_load_dwordx4 v[104:107], v[0:1], off
	global_load_dwordx4 v[96:99], v[10:11], off
	v_lshl_add_u64 v[0:1], v[8:9], 4, v[164:165]
	v_ashrrev_i32_e32 v13, 31, v12
	v_add_u32_e32 v8, s2, v12
	v_lshl_add_u64 v[10:11], v[12:13], 4, v[164:165]
	v_add_u32_e32 v12, s2, v8
	v_add_u32_e32 v14, s2, v12
	;; [unrolled: 1-line block ×15, first 2 shown]
	v_ashrrev_i32_e32 v41, 31, v40
	v_lshl_add_u64 v[42:43], v[40:41], 4, v[164:165]
	v_add_u32_e32 v40, s2, v40
	v_ashrrev_i32_e32 v41, 31, v40
	v_lshl_add_u64 v[44:45], v[40:41], 4, v[164:165]
	v_add_u32_e32 v40, s2, v40
	;; [unrolled: 3-line block ×16, first 2 shown]
	v_ashrrev_i32_e32 v41, 31, v40
	v_ashrrev_i32_e32 v3, 31, v2
	;; [unrolled: 1-line block ×19, first 2 shown]
	v_lshl_add_u64 v[190:191], v[40:41], 4, v[164:165]
	v_add_u32_e32 v40, s2, v40
	v_lshl_add_u64 v[2:3], v[2:3], 4, v[164:165]
	v_lshl_add_u64 v[4:5], v[4:5], 4, v[164:165]
	;; [unrolled: 1-line block ×18, first 2 shown]
	v_ashrrev_i32_e32 v41, 31, v40
	v_lshl_add_u64 v[192:193], v[40:41], 4, v[164:165]
	global_load_dwordx4 v[152:155], v[2:3], off
	global_load_dwordx4 v[148:151], v[4:5], off
	;; [unrolled: 1-line block ×8, first 2 shown]
                                        ; kill: killed $vgpr2_vgpr3
                                        ; kill: killed $vgpr4_vgpr5
                                        ; kill: killed $vgpr6_vgpr7
                                        ; kill: killed $vgpr0_vgpr1
                                        ; kill: killed $vgpr10_vgpr11
                                        ; kill: killed $vgpr8_vgpr9
                                        ; kill: killed $vgpr12_vgpr13
                                        ; kill: killed $vgpr14_vgpr15
	global_load_dwordx4 v[120:123], v[16:17], off
	global_load_dwordx4 v[116:119], v[18:19], off
	;; [unrolled: 1-line block ×4, first 2 shown]
                                        ; kill: killed $vgpr18_vgpr19
                                        ; kill: killed $vgpr20_vgpr21
                                        ; kill: killed $vgpr22_vgpr23
                                        ; kill: killed $vgpr16_vgpr17
	global_load_dwordx4 v[100:103], v[24:25], off
	global_load_dwordx4 v[92:95], v[26:27], off
                                        ; kill: killed $vgpr24_vgpr25
                                        ; kill: killed $vgpr26_vgpr27
	global_load_dwordx4 v[88:91], v[28:29], off
	global_load_dwordx4 v[84:87], v[30:31], off
	;; [unrolled: 1-line block ×10, first 2 shown]
	s_nop 0
	global_load_dwordx4 v[48:51], v[50:51], off
	s_nop 0
	global_load_dwordx4 v[44:47], v[156:157], off
	global_load_dwordx4 v[40:43], v[158:159], off
	;; [unrolled: 1-line block ×13, first 2 shown]
	s_load_dwordx2 s[4:5], s[0:1], 0x40
	s_max_i32 s0, s20, 40
	v_mul_lo_u32 v173, s0, v160
	v_lshl_add_u32 v172, v173, 4, 0
	v_add_u32_e32 v160, v172, v170
	s_waitcnt vmcnt(39)
	ds_write2_b64 v160, v[104:105], v[106:107] offset1:1
	s_waitcnt lgkmcnt(0)
	s_barrier
	ds_read2_b64 v[160:163], v172 offset1:1
	s_cmp_lt_i32 s20, 2
	v_lshlrev_b32_e32 v176, 4, v173
	s_cbranch_scc1 .LBB78_6
; %bb.4:
	v_add3_u32 v170, v176, 0, 16
	s_mov_b32 s16, 1
	v_mov_b32_e32 v171, 0
.LBB78_5:                               ; =>This Inner Loop Header: Depth=1
	ds_read2_b64 v[178:181], v170 offset1:1
	s_waitcnt lgkmcnt(1)
	v_xor_b32_e32 v173, 0x80000000, v161
	v_xor_b32_e32 v174, 0x80000000, v163
	v_cmp_gt_f64_e32 vcc, 0, v[162:163]
	v_cmp_gt_f64_e64 s[0:1], 0, v[160:161]
	v_mov_b32_e32 v182, v160
	v_mov_b32_e32 v184, v162
	v_cndmask_b32_e64 v183, v161, v173, s[0:1]
	v_cndmask_b32_e32 v185, v163, v174, vcc
	s_waitcnt lgkmcnt(0)
	v_xor_b32_e32 v173, 0x80000000, v179
	v_xor_b32_e32 v174, 0x80000000, v181
	v_cmp_gt_f64_e32 vcc, 0, v[180:181]
	v_cmp_gt_f64_e64 s[0:1], 0, v[178:179]
	v_add_f64 v[182:183], v[182:183], v[184:185]
	v_mov_b32_e32 v184, v178
	v_mov_b32_e32 v186, v180
	v_cndmask_b32_e64 v185, v179, v173, s[0:1]
	v_cndmask_b32_e32 v187, v181, v174, vcc
	v_add_f64 v[184:185], v[184:185], v[186:187]
	v_mov_b32_e32 v177, s16
	s_add_i32 s16, s16, 1
	v_cmp_lt_f64_e32 vcc, v[182:183], v[184:185]
	v_add_u32_e32 v170, 16, v170
	s_cmp_eq_u32 s20, s16
	v_cndmask_b32_e32 v161, v161, v179, vcc
	v_cndmask_b32_e32 v160, v160, v178, vcc
	;; [unrolled: 1-line block ×5, first 2 shown]
	s_cbranch_scc0 .LBB78_5
.LBB78_6:
	s_waitcnt lgkmcnt(0)
	v_cmp_neq_f64_e32 vcc, 0, v[160:161]
	v_cmp_neq_f64_e64 s[0:1], 0, v[162:163]
	s_or_b64 s[16:17], vcc, s[0:1]
	v_mov_b32_e32 v174, 1
	v_mov_b32_e32 v177, 1
	s_and_saveexec_b64 s[0:1], s[16:17]
	s_cbranch_execz .LBB78_12
; %bb.7:
	v_cmp_ngt_f64_e64 s[16:17], |v[160:161]|, |v[162:163]|
	s_and_saveexec_b64 s[18:19], s[16:17]
	s_xor_b64 s[16:17], exec, s[18:19]
	s_cbranch_execz .LBB78_9
; %bb.8:
	v_div_scale_f64 v[178:179], s[18:19], v[162:163], v[162:163], v[160:161]
	v_rcp_f64_e32 v[180:181], v[178:179]
	v_div_scale_f64 v[182:183], vcc, v[160:161], v[162:163], v[160:161]
	v_fma_f64 v[184:185], -v[178:179], v[180:181], 1.0
	v_fmac_f64_e32 v[180:181], v[180:181], v[184:185]
	v_fma_f64 v[184:185], -v[178:179], v[180:181], 1.0
	v_fmac_f64_e32 v[180:181], v[180:181], v[184:185]
	v_mul_f64 v[184:185], v[182:183], v[180:181]
	v_fma_f64 v[178:179], -v[178:179], v[184:185], v[182:183]
	v_div_fmas_f64 v[178:179], v[178:179], v[180:181], v[184:185]
	v_div_fixup_f64 v[178:179], v[178:179], v[162:163], v[160:161]
	v_fmac_f64_e32 v[162:163], v[160:161], v[178:179]
	v_div_scale_f64 v[160:161], s[18:19], v[162:163], v[162:163], 1.0
	v_rcp_f64_e32 v[180:181], v[160:161]
	s_nop 0
	v_fma_f64 v[182:183], -v[160:161], v[180:181], 1.0
	v_fmac_f64_e32 v[180:181], v[180:181], v[182:183]
	v_fma_f64 v[182:183], -v[160:161], v[180:181], 1.0
	v_fmac_f64_e32 v[180:181], v[180:181], v[182:183]
	v_div_scale_f64 v[182:183], vcc, 1.0, v[162:163], 1.0
	v_mul_f64 v[184:185], v[182:183], v[180:181]
	v_fma_f64 v[160:161], -v[160:161], v[184:185], v[182:183]
	s_nop 1
	v_div_fmas_f64 v[160:161], v[160:161], v[180:181], v[184:185]
	v_div_fixup_f64 v[162:163], v[160:161], v[162:163], 1.0
	v_mul_f64 v[160:161], v[178:179], v[162:163]
	v_xor_b32_e32 v163, 0x80000000, v163
.LBB78_9:
	s_andn2_saveexec_b64 s[16:17], s[16:17]
	s_cbranch_execz .LBB78_11
; %bb.10:
	v_div_scale_f64 v[178:179], s[18:19], v[160:161], v[160:161], v[162:163]
	v_rcp_f64_e32 v[180:181], v[178:179]
	v_div_scale_f64 v[182:183], vcc, v[162:163], v[160:161], v[162:163]
	v_fma_f64 v[184:185], -v[178:179], v[180:181], 1.0
	v_fmac_f64_e32 v[180:181], v[180:181], v[184:185]
	v_fma_f64 v[184:185], -v[178:179], v[180:181], 1.0
	v_fmac_f64_e32 v[180:181], v[180:181], v[184:185]
	v_mul_f64 v[184:185], v[182:183], v[180:181]
	v_fma_f64 v[178:179], -v[178:179], v[184:185], v[182:183]
	v_div_fmas_f64 v[178:179], v[178:179], v[180:181], v[184:185]
	v_div_fixup_f64 v[178:179], v[178:179], v[160:161], v[162:163]
	v_fmac_f64_e32 v[160:161], v[162:163], v[178:179]
	v_div_scale_f64 v[162:163], s[18:19], v[160:161], v[160:161], 1.0
	v_rcp_f64_e32 v[180:181], v[162:163]
	s_nop 0
	v_fma_f64 v[182:183], -v[162:163], v[180:181], 1.0
	v_fmac_f64_e32 v[180:181], v[180:181], v[182:183]
	v_fma_f64 v[182:183], -v[162:163], v[180:181], 1.0
	v_fmac_f64_e32 v[180:181], v[180:181], v[182:183]
	v_div_scale_f64 v[182:183], vcc, 1.0, v[160:161], 1.0
	v_mul_f64 v[184:185], v[182:183], v[180:181]
	v_fma_f64 v[162:163], -v[162:163], v[184:185], v[182:183]
	s_nop 1
	v_div_fmas_f64 v[162:163], v[162:163], v[180:181], v[184:185]
	v_div_fixup_f64 v[160:161], v[162:163], v[160:161], 1.0
	v_mul_f64 v[162:163], v[178:179], -v[160:161]
.LBB78_11:
	s_or_b64 exec, exec, s[16:17]
	v_mov_b32_e32 v177, 0
	v_mov_b32_e32 v174, 2
.LBB78_12:
	s_or_b64 exec, exec, s[0:1]
	v_cmp_ne_u32_e32 vcc, v175, v171
	s_and_saveexec_b64 s[0:1], vcc
	s_xor_b64 s[0:1], exec, s[0:1]
	s_cbranch_execz .LBB78_18
; %bb.13:
	v_cmp_eq_u32_e32 vcc, 0, v175
	s_and_saveexec_b64 s[16:17], vcc
	s_cbranch_execz .LBB78_17
; %bb.14:
	v_cmp_ne_u32_e32 vcc, 0, v171
	s_xor_b64 s[18:19], s[14:15], -1
	s_and_b64 s[22:23], s[18:19], vcc
	s_and_saveexec_b64 s[18:19], s[22:23]
	s_cbranch_execz .LBB78_16
; %bb.15:
	v_ashrrev_i32_e32 v179, 31, v171
	v_mov_b32_e32 v178, v171
	v_lshl_add_u64 v[178:179], v[178:179], 2, v[168:169]
	global_load_dword v170, v[178:179], off
	global_load_dword v173, v[168:169], off
	s_waitcnt vmcnt(1)
	global_store_dword v[168:169], v170, off
	s_waitcnt vmcnt(1)
	global_store_dword v[178:179], v173, off
.LBB78_16:
	s_or_b64 exec, exec, s[18:19]
	v_mov_b32_e32 v175, v171
.LBB78_17:
	s_or_b64 exec, exec, s[16:17]
.LBB78_18:
	s_or_saveexec_b64 s[0:1], s[0:1]
	v_mov_b32_e32 v173, v175
	s_xor_b64 exec, exec, s[0:1]
	s_cbranch_execz .LBB78_20
; %bb.19:
	v_mov_b32_e32 v173, 0
	s_waitcnt vmcnt(38)
	ds_write2_b64 v172, v[96:97], v[98:99] offset0:2 offset1:3
	s_waitcnt vmcnt(37)
	ds_write2_b64 v172, v[152:153], v[154:155] offset0:4 offset1:5
	;; [unrolled: 2-line block ×39, first 2 shown]
.LBB78_20:
	s_or_b64 exec, exec, s[0:1]
	v_cmp_lt_i32_e32 vcc, 0, v173
	s_waitcnt lgkmcnt(0)
	s_barrier
	s_and_saveexec_b64 s[0:1], vcc
	s_cbranch_execz .LBB78_22
; %bb.21:
	ds_read2_b64 v[178:181], v172 offset0:2 offset1:3
	v_mul_f64 v[170:171], v[162:163], v[106:107]
	v_mul_f64 v[106:107], v[160:161], v[106:107]
	v_fmac_f64_e32 v[106:107], v[162:163], v[104:105]
	v_fma_f64 v[170:171], v[160:161], v[104:105], -v[170:171]
	ds_read2_b64 v[160:163], v172 offset0:4 offset1:5
	s_waitcnt lgkmcnt(1)
	v_mul_f64 v[104:105], v[180:181], v[106:107]
	v_fma_f64 v[104:105], v[178:179], v[170:171], -v[104:105]
	v_mul_f64 v[178:179], v[178:179], v[106:107]
	v_fmac_f64_e32 v[178:179], v[180:181], v[170:171]
	s_waitcnt vmcnt(38)
	v_add_f64 v[98:99], v[98:99], -v[178:179]
	ds_read2_b64 v[178:181], v172 offset0:6 offset1:7
	v_add_f64 v[96:97], v[96:97], -v[104:105]
	s_waitcnt lgkmcnt(1)
	v_mul_f64 v[104:105], v[162:163], v[106:107]
	v_fma_f64 v[104:105], v[160:161], v[170:171], -v[104:105]
	v_mul_f64 v[160:161], v[160:161], v[106:107]
	v_fmac_f64_e32 v[160:161], v[162:163], v[170:171]
	s_waitcnt vmcnt(37)
	v_add_f64 v[152:153], v[152:153], -v[104:105]
	v_add_f64 v[154:155], v[154:155], -v[160:161]
	ds_read2_b64 v[160:163], v172 offset0:8 offset1:9
	s_waitcnt lgkmcnt(1)
	v_mul_f64 v[104:105], v[180:181], v[106:107]
	v_fma_f64 v[104:105], v[178:179], v[170:171], -v[104:105]
	v_mul_f64 v[178:179], v[178:179], v[106:107]
	v_fmac_f64_e32 v[178:179], v[180:181], v[170:171]
	s_waitcnt vmcnt(36)
	v_add_f64 v[150:151], v[150:151], -v[178:179]
	ds_read2_b64 v[178:181], v172 offset0:10 offset1:11
	v_add_f64 v[148:149], v[148:149], -v[104:105]
	s_waitcnt lgkmcnt(1)
	v_mul_f64 v[104:105], v[162:163], v[106:107]
	v_fma_f64 v[104:105], v[160:161], v[170:171], -v[104:105]
	v_mul_f64 v[160:161], v[160:161], v[106:107]
	v_fmac_f64_e32 v[160:161], v[162:163], v[170:171]
	s_waitcnt vmcnt(35)
	v_add_f64 v[144:145], v[144:145], -v[104:105]
	v_add_f64 v[146:147], v[146:147], -v[160:161]
	;; [unrolled: 18-line block ×19, first 2 shown]
	s_waitcnt lgkmcnt(0)
	v_mul_f64 v[104:105], v[180:181], v[106:107]
	v_mul_f64 v[160:161], v[178:179], v[106:107]
	v_fma_f64 v[104:105], v[178:179], v[170:171], -v[104:105]
	v_fmac_f64_e32 v[160:161], v[180:181], v[170:171]
	s_waitcnt vmcnt(0)
	v_add_f64 v[156:157], v[156:157], -v[104:105]
	v_add_f64 v[158:159], v[158:159], -v[160:161]
	v_mov_b64_e32 v[104:105], v[170:171]
.LBB78_22:
	s_or_b64 exec, exec, s[0:1]
	v_lshl_add_u32 v160, v173, 4, v172
	s_barrier
	s_waitcnt vmcnt(38)
	ds_write2_b64 v160, v[96:97], v[98:99] offset1:1
	s_waitcnt lgkmcnt(0)
	s_barrier
	ds_read2_b64 v[160:163], v172 offset0:2 offset1:3
	s_cmp_lt_i32 s20, 3
	v_mov_b32_e32 v170, 1
	s_cbranch_scc1 .LBB78_25
; %bb.23:
	v_add3_u32 v171, v176, 0, 32
	s_mov_b32 s16, 2
	v_mov_b32_e32 v170, 1
.LBB78_24:                              ; =>This Inner Loop Header: Depth=1
	ds_read2_b64 v[178:181], v171 offset1:1
	s_waitcnt lgkmcnt(1)
	v_xor_b32_e32 v183, 0x80000000, v161
	v_xor_b32_e32 v185, 0x80000000, v163
	v_cmp_gt_f64_e32 vcc, 0, v[162:163]
	v_cmp_gt_f64_e64 s[0:1], 0, v[160:161]
	v_mov_b32_e32 v182, v160
	v_mov_b32_e32 v184, v162
	v_cndmask_b32_e64 v183, v161, v183, s[0:1]
	v_cndmask_b32_e32 v185, v163, v185, vcc
	v_add_f64 v[182:183], v[182:183], v[184:185]
	s_waitcnt lgkmcnt(0)
	v_xor_b32_e32 v185, 0x80000000, v179
	v_xor_b32_e32 v187, 0x80000000, v181
	v_cmp_gt_f64_e32 vcc, 0, v[180:181]
	v_cmp_gt_f64_e64 s[0:1], 0, v[178:179]
	v_mov_b32_e32 v184, v178
	v_mov_b32_e32 v186, v180
	v_cndmask_b32_e64 v185, v179, v185, s[0:1]
	v_cndmask_b32_e32 v187, v181, v187, vcc
	v_add_f64 v[184:185], v[184:185], v[186:187]
	v_mov_b32_e32 v188, s16
	s_add_i32 s16, s16, 1
	v_cmp_lt_f64_e32 vcc, v[182:183], v[184:185]
	v_add_u32_e32 v171, 16, v171
	s_cmp_lg_u32 s20, s16
	v_cndmask_b32_e32 v161, v161, v179, vcc
	v_cndmask_b32_e32 v160, v160, v178, vcc
	;; [unrolled: 1-line block ×5, first 2 shown]
	s_cbranch_scc1 .LBB78_24
.LBB78_25:
	s_waitcnt lgkmcnt(0)
	v_cmp_neq_f64_e32 vcc, 0, v[160:161]
	v_cmp_neq_f64_e64 s[0:1], 0, v[162:163]
	s_or_b64 s[16:17], vcc, s[0:1]
	s_and_saveexec_b64 s[0:1], s[16:17]
	s_cbranch_execz .LBB78_31
; %bb.26:
	v_cmp_ngt_f64_e64 s[16:17], |v[160:161]|, |v[162:163]|
	s_and_saveexec_b64 s[18:19], s[16:17]
	s_xor_b64 s[16:17], exec, s[18:19]
	s_cbranch_execz .LBB78_28
; %bb.27:
	v_div_scale_f64 v[178:179], s[18:19], v[162:163], v[162:163], v[160:161]
	v_rcp_f64_e32 v[180:181], v[178:179]
	v_div_scale_f64 v[182:183], vcc, v[160:161], v[162:163], v[160:161]
	v_fma_f64 v[184:185], -v[178:179], v[180:181], 1.0
	v_fmac_f64_e32 v[180:181], v[180:181], v[184:185]
	v_fma_f64 v[184:185], -v[178:179], v[180:181], 1.0
	v_fmac_f64_e32 v[180:181], v[180:181], v[184:185]
	v_mul_f64 v[184:185], v[182:183], v[180:181]
	v_fma_f64 v[178:179], -v[178:179], v[184:185], v[182:183]
	v_div_fmas_f64 v[178:179], v[178:179], v[180:181], v[184:185]
	v_div_fixup_f64 v[178:179], v[178:179], v[162:163], v[160:161]
	v_fmac_f64_e32 v[162:163], v[160:161], v[178:179]
	v_div_scale_f64 v[160:161], s[18:19], v[162:163], v[162:163], 1.0
	v_rcp_f64_e32 v[180:181], v[160:161]
	s_nop 0
	v_fma_f64 v[182:183], -v[160:161], v[180:181], 1.0
	v_fmac_f64_e32 v[180:181], v[180:181], v[182:183]
	v_fma_f64 v[182:183], -v[160:161], v[180:181], 1.0
	v_fmac_f64_e32 v[180:181], v[180:181], v[182:183]
	v_div_scale_f64 v[182:183], vcc, 1.0, v[162:163], 1.0
	v_mul_f64 v[184:185], v[182:183], v[180:181]
	v_fma_f64 v[160:161], -v[160:161], v[184:185], v[182:183]
	s_nop 1
	v_div_fmas_f64 v[160:161], v[160:161], v[180:181], v[184:185]
	v_div_fixup_f64 v[162:163], v[160:161], v[162:163], 1.0
	v_mul_f64 v[160:161], v[178:179], v[162:163]
	v_xor_b32_e32 v163, 0x80000000, v163
.LBB78_28:
	s_andn2_saveexec_b64 s[16:17], s[16:17]
	s_cbranch_execz .LBB78_30
; %bb.29:
	v_div_scale_f64 v[178:179], s[18:19], v[160:161], v[160:161], v[162:163]
	v_rcp_f64_e32 v[180:181], v[178:179]
	v_div_scale_f64 v[182:183], vcc, v[162:163], v[160:161], v[162:163]
	v_fma_f64 v[184:185], -v[178:179], v[180:181], 1.0
	v_fmac_f64_e32 v[180:181], v[180:181], v[184:185]
	v_fma_f64 v[184:185], -v[178:179], v[180:181], 1.0
	v_fmac_f64_e32 v[180:181], v[180:181], v[184:185]
	v_mul_f64 v[184:185], v[182:183], v[180:181]
	v_fma_f64 v[178:179], -v[178:179], v[184:185], v[182:183]
	v_div_fmas_f64 v[178:179], v[178:179], v[180:181], v[184:185]
	v_div_fixup_f64 v[178:179], v[178:179], v[160:161], v[162:163]
	v_fmac_f64_e32 v[160:161], v[162:163], v[178:179]
	v_div_scale_f64 v[162:163], s[18:19], v[160:161], v[160:161], 1.0
	v_rcp_f64_e32 v[180:181], v[162:163]
	s_nop 0
	v_fma_f64 v[182:183], -v[162:163], v[180:181], 1.0
	v_fmac_f64_e32 v[180:181], v[180:181], v[182:183]
	v_fma_f64 v[182:183], -v[162:163], v[180:181], 1.0
	v_fmac_f64_e32 v[180:181], v[180:181], v[182:183]
	v_div_scale_f64 v[182:183], vcc, 1.0, v[160:161], 1.0
	v_mul_f64 v[184:185], v[182:183], v[180:181]
	v_fma_f64 v[162:163], -v[162:163], v[184:185], v[182:183]
	s_nop 1
	v_div_fmas_f64 v[162:163], v[162:163], v[180:181], v[184:185]
	v_div_fixup_f64 v[160:161], v[162:163], v[160:161], 1.0
	v_mul_f64 v[162:163], v[178:179], -v[160:161]
.LBB78_30:
	s_or_b64 exec, exec, s[16:17]
	v_mov_b32_e32 v174, v177
.LBB78_31:
	s_or_b64 exec, exec, s[0:1]
	v_cmp_ne_u32_e32 vcc, v173, v170
	s_and_saveexec_b64 s[0:1], vcc
	s_xor_b64 s[0:1], exec, s[0:1]
	s_cbranch_execz .LBB78_37
; %bb.32:
	v_cmp_eq_u32_e32 vcc, 1, v173
	s_and_saveexec_b64 s[16:17], vcc
	s_cbranch_execz .LBB78_36
; %bb.33:
	v_cmp_ne_u32_e32 vcc, 1, v170
	s_xor_b64 s[18:19], s[14:15], -1
	s_and_b64 s[22:23], s[18:19], vcc
	s_and_saveexec_b64 s[18:19], s[22:23]
	s_cbranch_execz .LBB78_35
; %bb.34:
	v_ashrrev_i32_e32 v171, 31, v170
	v_lshl_add_u64 v[178:179], v[170:171], 2, v[168:169]
	global_load_dword v171, v[178:179], off
	global_load_dword v173, v[168:169], off offset:4
	s_waitcnt vmcnt(1)
	global_store_dword v[168:169], v171, off offset:4
	s_waitcnt vmcnt(1)
	global_store_dword v[178:179], v173, off
.LBB78_35:
	s_or_b64 exec, exec, s[18:19]
	v_mov_b32_e32 v173, v170
	v_mov_b32_e32 v175, v170
.LBB78_36:
	s_or_b64 exec, exec, s[16:17]
.LBB78_37:
	s_andn2_saveexec_b64 s[0:1], s[0:1]
	s_cbranch_execz .LBB78_39
; %bb.38:
	v_mov_b32_e32 v173, 1
	s_waitcnt vmcnt(37)
	ds_write2_b64 v172, v[152:153], v[154:155] offset0:4 offset1:5
	s_waitcnt vmcnt(36)
	ds_write2_b64 v172, v[148:149], v[150:151] offset0:6 offset1:7
	;; [unrolled: 2-line block ×38, first 2 shown]
.LBB78_39:
	s_or_b64 exec, exec, s[0:1]
	v_cmp_lt_i32_e32 vcc, 1, v173
	s_waitcnt lgkmcnt(0)
	s_barrier
	s_and_saveexec_b64 s[0:1], vcc
	s_cbranch_execz .LBB78_41
; %bb.40:
	ds_read2_b64 v[178:181], v172 offset0:4 offset1:5
	v_mul_f64 v[170:171], v[162:163], v[98:99]
	v_mul_f64 v[98:99], v[160:161], v[98:99]
	v_fma_f64 v[170:171], v[160:161], v[96:97], -v[170:171]
	v_fmac_f64_e32 v[98:99], v[162:163], v[96:97]
	ds_read2_b64 v[160:163], v172 offset0:6 offset1:7
	s_waitcnt lgkmcnt(1)
	v_mul_f64 v[96:97], v[180:181], v[98:99]
	v_fma_f64 v[96:97], v[178:179], v[170:171], -v[96:97]
	v_mul_f64 v[178:179], v[178:179], v[98:99]
	v_fmac_f64_e32 v[178:179], v[180:181], v[170:171]
	s_waitcnt vmcnt(37)
	v_add_f64 v[152:153], v[152:153], -v[96:97]
	s_waitcnt lgkmcnt(0)
	v_mul_f64 v[96:97], v[162:163], v[98:99]
	v_add_f64 v[154:155], v[154:155], -v[178:179]
	v_fma_f64 v[96:97], v[160:161], v[170:171], -v[96:97]
	v_mul_f64 v[160:161], v[160:161], v[98:99]
	ds_read2_b64 v[178:181], v172 offset0:8 offset1:9
	v_fmac_f64_e32 v[160:161], v[162:163], v[170:171]
	s_waitcnt vmcnt(36)
	v_add_f64 v[150:151], v[150:151], -v[160:161]
	ds_read2_b64 v[160:163], v172 offset0:10 offset1:11
	v_add_f64 v[148:149], v[148:149], -v[96:97]
	s_waitcnt lgkmcnt(1)
	v_mul_f64 v[96:97], v[180:181], v[98:99]
	v_fma_f64 v[96:97], v[178:179], v[170:171], -v[96:97]
	v_mul_f64 v[178:179], v[178:179], v[98:99]
	v_fmac_f64_e32 v[178:179], v[180:181], v[170:171]
	s_waitcnt vmcnt(35)
	v_add_f64 v[144:145], v[144:145], -v[96:97]
	s_waitcnt lgkmcnt(0)
	v_mul_f64 v[96:97], v[162:163], v[98:99]
	v_add_f64 v[146:147], v[146:147], -v[178:179]
	v_fma_f64 v[96:97], v[160:161], v[170:171], -v[96:97]
	v_mul_f64 v[160:161], v[160:161], v[98:99]
	ds_read2_b64 v[178:181], v172 offset0:12 offset1:13
	v_fmac_f64_e32 v[160:161], v[162:163], v[170:171]
	s_waitcnt vmcnt(34)
	v_add_f64 v[142:143], v[142:143], -v[160:161]
	ds_read2_b64 v[160:163], v172 offset0:14 offset1:15
	v_add_f64 v[140:141], v[140:141], -v[96:97]
	;; [unrolled: 18-line block ×18, first 2 shown]
	s_waitcnt lgkmcnt(1)
	v_mul_f64 v[96:97], v[180:181], v[98:99]
	v_fma_f64 v[96:97], v[178:179], v[170:171], -v[96:97]
	s_waitcnt vmcnt(1)
	v_add_f64 v[0:1], v[0:1], -v[96:97]
	s_waitcnt lgkmcnt(0)
	v_mul_f64 v[96:97], v[162:163], v[98:99]
	v_mul_f64 v[178:179], v[178:179], v[98:99]
	v_fma_f64 v[96:97], v[160:161], v[170:171], -v[96:97]
	v_mul_f64 v[160:161], v[160:161], v[98:99]
	v_fmac_f64_e32 v[178:179], v[180:181], v[170:171]
	v_fmac_f64_e32 v[160:161], v[162:163], v[170:171]
	v_add_f64 v[2:3], v[2:3], -v[178:179]
	s_waitcnt vmcnt(0)
	v_add_f64 v[156:157], v[156:157], -v[96:97]
	v_add_f64 v[158:159], v[158:159], -v[160:161]
	v_mov_b64_e32 v[96:97], v[170:171]
.LBB78_41:
	s_or_b64 exec, exec, s[0:1]
	v_lshl_add_u32 v160, v173, 4, v172
	s_barrier
	s_waitcnt vmcnt(37)
	ds_write2_b64 v160, v[152:153], v[154:155] offset1:1
	s_waitcnt lgkmcnt(0)
	s_barrier
	ds_read2_b64 v[160:163], v172 offset0:4 offset1:5
	s_cmp_lt_i32 s20, 4
	v_mov_b32_e32 v170, 2
	s_cbranch_scc1 .LBB78_44
; %bb.42:
	v_add3_u32 v171, v176, 0, 48
	s_mov_b32 s16, 3
	v_mov_b32_e32 v170, 2
.LBB78_43:                              ; =>This Inner Loop Header: Depth=1
	ds_read2_b64 v[178:181], v171 offset1:1
	s_waitcnt lgkmcnt(1)
	v_xor_b32_e32 v177, 0x80000000, v161
	v_xor_b32_e32 v185, 0x80000000, v163
	v_cmp_gt_f64_e32 vcc, 0, v[162:163]
	v_cmp_gt_f64_e64 s[0:1], 0, v[160:161]
	v_mov_b32_e32 v182, v160
	v_mov_b32_e32 v184, v162
	v_cndmask_b32_e64 v183, v161, v177, s[0:1]
	v_cndmask_b32_e32 v185, v163, v185, vcc
	s_waitcnt lgkmcnt(0)
	v_xor_b32_e32 v177, 0x80000000, v179
	v_xor_b32_e32 v187, 0x80000000, v181
	v_cmp_gt_f64_e32 vcc, 0, v[180:181]
	v_cmp_gt_f64_e64 s[0:1], 0, v[178:179]
	v_add_f64 v[182:183], v[182:183], v[184:185]
	v_mov_b32_e32 v184, v178
	v_mov_b32_e32 v186, v180
	v_cndmask_b32_e64 v185, v179, v177, s[0:1]
	v_cndmask_b32_e32 v187, v181, v187, vcc
	v_add_f64 v[184:185], v[184:185], v[186:187]
	v_mov_b32_e32 v188, s16
	s_add_i32 s16, s16, 1
	v_cmp_lt_f64_e32 vcc, v[182:183], v[184:185]
	v_add_u32_e32 v171, 16, v171
	s_cmp_lg_u32 s20, s16
	v_cndmask_b32_e32 v161, v161, v179, vcc
	v_cndmask_b32_e32 v160, v160, v178, vcc
	;; [unrolled: 1-line block ×5, first 2 shown]
	s_cbranch_scc1 .LBB78_43
.LBB78_44:
	s_waitcnt lgkmcnt(0)
	v_cmp_eq_f64_e32 vcc, 0, v[160:161]
	v_cmp_eq_f64_e64 s[0:1], 0, v[162:163]
	s_and_b64 s[0:1], vcc, s[0:1]
	s_and_saveexec_b64 s[16:17], s[0:1]
	s_xor_b64 s[0:1], exec, s[16:17]
; %bb.45:
	v_cmp_ne_u32_e32 vcc, 0, v174
	s_nop 1
	v_cndmask_b32_e32 v174, 3, v174, vcc
; %bb.46:
	s_andn2_saveexec_b64 s[0:1], s[0:1]
	s_cbranch_execz .LBB78_52
; %bb.47:
	v_cmp_ngt_f64_e64 s[16:17], |v[160:161]|, |v[162:163]|
	s_and_saveexec_b64 s[18:19], s[16:17]
	s_xor_b64 s[16:17], exec, s[18:19]
	s_cbranch_execz .LBB78_49
; %bb.48:
	v_div_scale_f64 v[178:179], s[18:19], v[162:163], v[162:163], v[160:161]
	v_rcp_f64_e32 v[180:181], v[178:179]
	v_div_scale_f64 v[182:183], vcc, v[160:161], v[162:163], v[160:161]
	v_fma_f64 v[184:185], -v[178:179], v[180:181], 1.0
	v_fmac_f64_e32 v[180:181], v[180:181], v[184:185]
	v_fma_f64 v[184:185], -v[178:179], v[180:181], 1.0
	v_fmac_f64_e32 v[180:181], v[180:181], v[184:185]
	v_mul_f64 v[184:185], v[182:183], v[180:181]
	v_fma_f64 v[178:179], -v[178:179], v[184:185], v[182:183]
	v_div_fmas_f64 v[178:179], v[178:179], v[180:181], v[184:185]
	v_div_fixup_f64 v[178:179], v[178:179], v[162:163], v[160:161]
	v_fmac_f64_e32 v[162:163], v[160:161], v[178:179]
	v_div_scale_f64 v[160:161], s[18:19], v[162:163], v[162:163], 1.0
	v_rcp_f64_e32 v[180:181], v[160:161]
	s_nop 0
	v_fma_f64 v[182:183], -v[160:161], v[180:181], 1.0
	v_fmac_f64_e32 v[180:181], v[180:181], v[182:183]
	v_fma_f64 v[182:183], -v[160:161], v[180:181], 1.0
	v_fmac_f64_e32 v[180:181], v[180:181], v[182:183]
	v_div_scale_f64 v[182:183], vcc, 1.0, v[162:163], 1.0
	v_mul_f64 v[184:185], v[182:183], v[180:181]
	v_fma_f64 v[160:161], -v[160:161], v[184:185], v[182:183]
	s_nop 1
	v_div_fmas_f64 v[160:161], v[160:161], v[180:181], v[184:185]
	v_div_fixup_f64 v[162:163], v[160:161], v[162:163], 1.0
	v_mul_f64 v[160:161], v[178:179], v[162:163]
	v_xor_b32_e32 v163, 0x80000000, v163
.LBB78_49:
	s_andn2_saveexec_b64 s[16:17], s[16:17]
	s_cbranch_execz .LBB78_51
; %bb.50:
	v_div_scale_f64 v[178:179], s[18:19], v[160:161], v[160:161], v[162:163]
	v_rcp_f64_e32 v[180:181], v[178:179]
	v_div_scale_f64 v[182:183], vcc, v[162:163], v[160:161], v[162:163]
	v_fma_f64 v[184:185], -v[178:179], v[180:181], 1.0
	v_fmac_f64_e32 v[180:181], v[180:181], v[184:185]
	v_fma_f64 v[184:185], -v[178:179], v[180:181], 1.0
	v_fmac_f64_e32 v[180:181], v[180:181], v[184:185]
	v_mul_f64 v[184:185], v[182:183], v[180:181]
	v_fma_f64 v[178:179], -v[178:179], v[184:185], v[182:183]
	v_div_fmas_f64 v[178:179], v[178:179], v[180:181], v[184:185]
	v_div_fixup_f64 v[178:179], v[178:179], v[160:161], v[162:163]
	v_fmac_f64_e32 v[160:161], v[162:163], v[178:179]
	v_div_scale_f64 v[162:163], s[18:19], v[160:161], v[160:161], 1.0
	v_rcp_f64_e32 v[180:181], v[162:163]
	s_nop 0
	v_fma_f64 v[182:183], -v[162:163], v[180:181], 1.0
	v_fmac_f64_e32 v[180:181], v[180:181], v[182:183]
	v_fma_f64 v[182:183], -v[162:163], v[180:181], 1.0
	v_fmac_f64_e32 v[180:181], v[180:181], v[182:183]
	v_div_scale_f64 v[182:183], vcc, 1.0, v[160:161], 1.0
	v_mul_f64 v[184:185], v[182:183], v[180:181]
	v_fma_f64 v[162:163], -v[162:163], v[184:185], v[182:183]
	s_nop 1
	v_div_fmas_f64 v[162:163], v[162:163], v[180:181], v[184:185]
	v_div_fixup_f64 v[160:161], v[162:163], v[160:161], 1.0
	v_mul_f64 v[162:163], v[178:179], -v[160:161]
.LBB78_51:
	s_or_b64 exec, exec, s[16:17]
.LBB78_52:
	s_or_b64 exec, exec, s[0:1]
	v_cmp_ne_u32_e32 vcc, v173, v170
	s_and_saveexec_b64 s[0:1], vcc
	s_xor_b64 s[0:1], exec, s[0:1]
	s_cbranch_execz .LBB78_58
; %bb.53:
	v_cmp_eq_u32_e32 vcc, 2, v173
	s_and_saveexec_b64 s[16:17], vcc
	s_cbranch_execz .LBB78_57
; %bb.54:
	v_cmp_ne_u32_e32 vcc, 2, v170
	s_xor_b64 s[18:19], s[14:15], -1
	s_and_b64 s[22:23], s[18:19], vcc
	s_and_saveexec_b64 s[18:19], s[22:23]
	s_cbranch_execz .LBB78_56
; %bb.55:
	v_ashrrev_i32_e32 v171, 31, v170
	v_lshl_add_u64 v[178:179], v[170:171], 2, v[168:169]
	global_load_dword v171, v[178:179], off
	global_load_dword v173, v[168:169], off offset:8
	s_waitcnt vmcnt(1)
	global_store_dword v[168:169], v171, off offset:8
	s_waitcnt vmcnt(1)
	global_store_dword v[178:179], v173, off
.LBB78_56:
	s_or_b64 exec, exec, s[18:19]
	v_mov_b32_e32 v173, v170
	v_mov_b32_e32 v175, v170
.LBB78_57:
	s_or_b64 exec, exec, s[16:17]
.LBB78_58:
	s_andn2_saveexec_b64 s[0:1], s[0:1]
	s_cbranch_execz .LBB78_60
; %bb.59:
	v_mov_b32_e32 v173, 2
	s_waitcnt vmcnt(36)
	ds_write2_b64 v172, v[148:149], v[150:151] offset0:6 offset1:7
	s_waitcnt vmcnt(35)
	ds_write2_b64 v172, v[144:145], v[146:147] offset0:8 offset1:9
	;; [unrolled: 2-line block ×37, first 2 shown]
.LBB78_60:
	s_or_b64 exec, exec, s[0:1]
	v_cmp_lt_i32_e32 vcc, 2, v173
	s_waitcnt lgkmcnt(0)
	s_barrier
	s_and_saveexec_b64 s[0:1], vcc
	s_cbranch_execz .LBB78_62
; %bb.61:
	ds_read2_b64 v[178:181], v172 offset0:6 offset1:7
	v_mul_f64 v[170:171], v[162:163], v[154:155]
	v_mul_f64 v[154:155], v[160:161], v[154:155]
	v_fmac_f64_e32 v[154:155], v[162:163], v[152:153]
	v_fma_f64 v[170:171], v[160:161], v[152:153], -v[170:171]
	ds_read2_b64 v[160:163], v172 offset0:8 offset1:9
	s_waitcnt lgkmcnt(1)
	v_mul_f64 v[152:153], v[180:181], v[154:155]
	v_fma_f64 v[152:153], v[178:179], v[170:171], -v[152:153]
	v_mul_f64 v[178:179], v[178:179], v[154:155]
	v_fmac_f64_e32 v[178:179], v[180:181], v[170:171]
	s_waitcnt vmcnt(36)
	v_add_f64 v[150:151], v[150:151], -v[178:179]
	ds_read2_b64 v[178:181], v172 offset0:10 offset1:11
	v_add_f64 v[148:149], v[148:149], -v[152:153]
	s_waitcnt lgkmcnt(1)
	v_mul_f64 v[152:153], v[162:163], v[154:155]
	v_fma_f64 v[152:153], v[160:161], v[170:171], -v[152:153]
	v_mul_f64 v[160:161], v[160:161], v[154:155]
	v_fmac_f64_e32 v[160:161], v[162:163], v[170:171]
	s_waitcnt vmcnt(35)
	v_add_f64 v[144:145], v[144:145], -v[152:153]
	v_add_f64 v[146:147], v[146:147], -v[160:161]
	ds_read2_b64 v[160:163], v172 offset0:12 offset1:13
	s_waitcnt lgkmcnt(1)
	v_mul_f64 v[152:153], v[180:181], v[154:155]
	v_fma_f64 v[152:153], v[178:179], v[170:171], -v[152:153]
	v_mul_f64 v[178:179], v[178:179], v[154:155]
	v_fmac_f64_e32 v[178:179], v[180:181], v[170:171]
	s_waitcnt vmcnt(34)
	v_add_f64 v[142:143], v[142:143], -v[178:179]
	ds_read2_b64 v[178:181], v172 offset0:14 offset1:15
	v_add_f64 v[140:141], v[140:141], -v[152:153]
	s_waitcnt lgkmcnt(1)
	v_mul_f64 v[152:153], v[162:163], v[154:155]
	v_fma_f64 v[152:153], v[160:161], v[170:171], -v[152:153]
	v_mul_f64 v[160:161], v[160:161], v[154:155]
	v_fmac_f64_e32 v[160:161], v[162:163], v[170:171]
	s_waitcnt vmcnt(33)
	v_add_f64 v[136:137], v[136:137], -v[152:153]
	v_add_f64 v[138:139], v[138:139], -v[160:161]
	;; [unrolled: 18-line block ×18, first 2 shown]
	s_waitcnt lgkmcnt(0)
	v_mul_f64 v[152:153], v[180:181], v[154:155]
	v_mul_f64 v[160:161], v[178:179], v[154:155]
	v_fma_f64 v[152:153], v[178:179], v[170:171], -v[152:153]
	v_fmac_f64_e32 v[160:161], v[180:181], v[170:171]
	s_waitcnt vmcnt(0)
	v_add_f64 v[156:157], v[156:157], -v[152:153]
	v_add_f64 v[158:159], v[158:159], -v[160:161]
	v_mov_b64_e32 v[152:153], v[170:171]
.LBB78_62:
	s_or_b64 exec, exec, s[0:1]
	v_lshl_add_u32 v160, v173, 4, v172
	s_barrier
	s_waitcnt vmcnt(36)
	ds_write2_b64 v160, v[148:149], v[150:151] offset1:1
	s_waitcnt lgkmcnt(0)
	s_barrier
	ds_read2_b64 v[160:163], v172 offset0:6 offset1:7
	s_mov_b32 s16, 4
	s_cmp_lt_i32 s20, 5
	v_mov_b32_e32 v170, 3
	s_cbranch_scc1 .LBB78_65
; %bb.63:
	v_add3_u32 v171, v176, 0, 64
	v_mov_b32_e32 v170, 3
.LBB78_64:                              ; =>This Inner Loop Header: Depth=1
	ds_read2_b64 v[176:179], v171 offset1:1
	s_waitcnt lgkmcnt(1)
	v_xor_b32_e32 v181, 0x80000000, v161
	v_xor_b32_e32 v183, 0x80000000, v163
	v_cmp_gt_f64_e32 vcc, 0, v[162:163]
	v_cmp_gt_f64_e64 s[0:1], 0, v[160:161]
	v_mov_b32_e32 v180, v160
	v_mov_b32_e32 v182, v162
	v_cndmask_b32_e64 v181, v161, v181, s[0:1]
	v_cndmask_b32_e32 v183, v163, v183, vcc
	v_add_f64 v[180:181], v[180:181], v[182:183]
	s_waitcnt lgkmcnt(0)
	v_xor_b32_e32 v183, 0x80000000, v177
	v_xor_b32_e32 v185, 0x80000000, v179
	v_cmp_gt_f64_e32 vcc, 0, v[178:179]
	v_cmp_gt_f64_e64 s[0:1], 0, v[176:177]
	v_mov_b32_e32 v182, v176
	v_mov_b32_e32 v184, v178
	v_cndmask_b32_e64 v183, v177, v183, s[0:1]
	v_cndmask_b32_e32 v185, v179, v185, vcc
	v_add_f64 v[182:183], v[182:183], v[184:185]
	v_mov_b32_e32 v186, s16
	s_add_i32 s16, s16, 1
	v_cmp_lt_f64_e32 vcc, v[180:181], v[182:183]
	v_add_u32_e32 v171, 16, v171
	s_cmp_lg_u32 s20, s16
	v_cndmask_b32_e32 v161, v161, v177, vcc
	v_cndmask_b32_e32 v160, v160, v176, vcc
	;; [unrolled: 1-line block ×5, first 2 shown]
	s_cbranch_scc1 .LBB78_64
.LBB78_65:
	s_waitcnt lgkmcnt(0)
	v_cmp_eq_f64_e32 vcc, 0, v[160:161]
	v_cmp_eq_f64_e64 s[0:1], 0, v[162:163]
	s_and_b64 s[0:1], vcc, s[0:1]
	s_and_saveexec_b64 s[16:17], s[0:1]
	s_xor_b64 s[0:1], exec, s[16:17]
; %bb.66:
	v_cmp_ne_u32_e32 vcc, 0, v174
	s_nop 1
	v_cndmask_b32_e32 v174, 4, v174, vcc
; %bb.67:
	s_andn2_saveexec_b64 s[0:1], s[0:1]
	s_cbranch_execz .LBB78_73
; %bb.68:
	v_cmp_ngt_f64_e64 s[16:17], |v[160:161]|, |v[162:163]|
	s_and_saveexec_b64 s[18:19], s[16:17]
	s_xor_b64 s[16:17], exec, s[18:19]
	s_cbranch_execz .LBB78_70
; %bb.69:
	v_div_scale_f64 v[176:177], s[18:19], v[162:163], v[162:163], v[160:161]
	v_rcp_f64_e32 v[178:179], v[176:177]
	v_div_scale_f64 v[180:181], vcc, v[160:161], v[162:163], v[160:161]
	v_fma_f64 v[182:183], -v[176:177], v[178:179], 1.0
	v_fmac_f64_e32 v[178:179], v[178:179], v[182:183]
	v_fma_f64 v[182:183], -v[176:177], v[178:179], 1.0
	v_fmac_f64_e32 v[178:179], v[178:179], v[182:183]
	v_mul_f64 v[182:183], v[180:181], v[178:179]
	v_fma_f64 v[176:177], -v[176:177], v[182:183], v[180:181]
	v_div_fmas_f64 v[176:177], v[176:177], v[178:179], v[182:183]
	v_div_fixup_f64 v[176:177], v[176:177], v[162:163], v[160:161]
	v_fmac_f64_e32 v[162:163], v[160:161], v[176:177]
	v_div_scale_f64 v[160:161], s[18:19], v[162:163], v[162:163], 1.0
	v_rcp_f64_e32 v[178:179], v[160:161]
	s_nop 0
	v_fma_f64 v[180:181], -v[160:161], v[178:179], 1.0
	v_fmac_f64_e32 v[178:179], v[178:179], v[180:181]
	v_fma_f64 v[180:181], -v[160:161], v[178:179], 1.0
	v_fmac_f64_e32 v[178:179], v[178:179], v[180:181]
	v_div_scale_f64 v[180:181], vcc, 1.0, v[162:163], 1.0
	v_mul_f64 v[182:183], v[180:181], v[178:179]
	v_fma_f64 v[160:161], -v[160:161], v[182:183], v[180:181]
	s_nop 1
	v_div_fmas_f64 v[160:161], v[160:161], v[178:179], v[182:183]
	v_div_fixup_f64 v[162:163], v[160:161], v[162:163], 1.0
	v_mul_f64 v[160:161], v[176:177], v[162:163]
	v_xor_b32_e32 v163, 0x80000000, v163
.LBB78_70:
	s_andn2_saveexec_b64 s[16:17], s[16:17]
	s_cbranch_execz .LBB78_72
; %bb.71:
	v_div_scale_f64 v[176:177], s[18:19], v[160:161], v[160:161], v[162:163]
	v_rcp_f64_e32 v[178:179], v[176:177]
	v_div_scale_f64 v[180:181], vcc, v[162:163], v[160:161], v[162:163]
	v_fma_f64 v[182:183], -v[176:177], v[178:179], 1.0
	v_fmac_f64_e32 v[178:179], v[178:179], v[182:183]
	v_fma_f64 v[182:183], -v[176:177], v[178:179], 1.0
	v_fmac_f64_e32 v[178:179], v[178:179], v[182:183]
	v_mul_f64 v[182:183], v[180:181], v[178:179]
	v_fma_f64 v[176:177], -v[176:177], v[182:183], v[180:181]
	v_div_fmas_f64 v[176:177], v[176:177], v[178:179], v[182:183]
	v_div_fixup_f64 v[176:177], v[176:177], v[160:161], v[162:163]
	v_fmac_f64_e32 v[160:161], v[162:163], v[176:177]
	v_div_scale_f64 v[162:163], s[18:19], v[160:161], v[160:161], 1.0
	v_rcp_f64_e32 v[178:179], v[162:163]
	s_nop 0
	v_fma_f64 v[180:181], -v[162:163], v[178:179], 1.0
	v_fmac_f64_e32 v[178:179], v[178:179], v[180:181]
	v_fma_f64 v[180:181], -v[162:163], v[178:179], 1.0
	v_fmac_f64_e32 v[178:179], v[178:179], v[180:181]
	v_div_scale_f64 v[180:181], vcc, 1.0, v[160:161], 1.0
	v_mul_f64 v[182:183], v[180:181], v[178:179]
	v_fma_f64 v[162:163], -v[162:163], v[182:183], v[180:181]
	s_nop 1
	v_div_fmas_f64 v[162:163], v[162:163], v[178:179], v[182:183]
	v_div_fixup_f64 v[160:161], v[162:163], v[160:161], 1.0
	v_mul_f64 v[162:163], v[176:177], -v[160:161]
.LBB78_72:
	s_or_b64 exec, exec, s[16:17]
.LBB78_73:
	s_or_b64 exec, exec, s[0:1]
	v_cmp_ne_u32_e32 vcc, v173, v170
	s_and_saveexec_b64 s[0:1], vcc
	s_xor_b64 s[0:1], exec, s[0:1]
	s_cbranch_execz .LBB78_79
; %bb.74:
	v_cmp_eq_u32_e32 vcc, 3, v173
	s_and_saveexec_b64 s[16:17], vcc
	s_cbranch_execz .LBB78_78
; %bb.75:
	v_cmp_ne_u32_e32 vcc, 3, v170
	s_xor_b64 s[18:19], s[14:15], -1
	s_and_b64 s[22:23], s[18:19], vcc
	s_and_saveexec_b64 s[18:19], s[22:23]
	s_cbranch_execz .LBB78_77
; %bb.76:
	v_ashrrev_i32_e32 v171, 31, v170
	v_lshl_add_u64 v[176:177], v[170:171], 2, v[168:169]
	global_load_dword v171, v[176:177], off
	global_load_dword v173, v[168:169], off offset:12
	s_waitcnt vmcnt(1)
	global_store_dword v[168:169], v171, off offset:12
	s_waitcnt vmcnt(1)
	global_store_dword v[176:177], v173, off
.LBB78_77:
	s_or_b64 exec, exec, s[18:19]
	v_mov_b32_e32 v173, v170
	v_mov_b32_e32 v175, v170
.LBB78_78:
	s_or_b64 exec, exec, s[16:17]
.LBB78_79:
	s_andn2_saveexec_b64 s[0:1], s[0:1]
	s_cbranch_execz .LBB78_81
; %bb.80:
	v_mov_b32_e32 v173, 3
	s_waitcnt vmcnt(35)
	ds_write2_b64 v172, v[144:145], v[146:147] offset0:8 offset1:9
	s_waitcnt vmcnt(34)
	ds_write2_b64 v172, v[140:141], v[142:143] offset0:10 offset1:11
	;; [unrolled: 2-line block ×36, first 2 shown]
.LBB78_81:
	s_or_b64 exec, exec, s[0:1]
	v_cmp_lt_i32_e32 vcc, 3, v173
	s_waitcnt lgkmcnt(0)
	s_barrier
	s_and_saveexec_b64 s[0:1], vcc
	s_cbranch_execz .LBB78_83
; %bb.82:
	ds_read2_b64 v[176:179], v172 offset0:8 offset1:9
	v_mul_f64 v[170:171], v[162:163], v[150:151]
	v_mul_f64 v[150:151], v[160:161], v[150:151]
	v_fma_f64 v[170:171], v[160:161], v[148:149], -v[170:171]
	v_fmac_f64_e32 v[150:151], v[162:163], v[148:149]
	ds_read2_b64 v[160:163], v172 offset0:10 offset1:11
	s_waitcnt lgkmcnt(1)
	v_mul_f64 v[148:149], v[178:179], v[150:151]
	v_fma_f64 v[148:149], v[176:177], v[170:171], -v[148:149]
	v_mul_f64 v[176:177], v[176:177], v[150:151]
	v_fmac_f64_e32 v[176:177], v[178:179], v[170:171]
	s_waitcnt vmcnt(35)
	v_add_f64 v[144:145], v[144:145], -v[148:149]
	s_waitcnt lgkmcnt(0)
	v_mul_f64 v[148:149], v[162:163], v[150:151]
	v_add_f64 v[146:147], v[146:147], -v[176:177]
	v_fma_f64 v[148:149], v[160:161], v[170:171], -v[148:149]
	v_mul_f64 v[160:161], v[160:161], v[150:151]
	ds_read2_b64 v[176:179], v172 offset0:12 offset1:13
	v_fmac_f64_e32 v[160:161], v[162:163], v[170:171]
	s_waitcnt vmcnt(34)
	v_add_f64 v[142:143], v[142:143], -v[160:161]
	ds_read2_b64 v[160:163], v172 offset0:14 offset1:15
	v_add_f64 v[140:141], v[140:141], -v[148:149]
	s_waitcnt lgkmcnt(1)
	v_mul_f64 v[148:149], v[178:179], v[150:151]
	v_fma_f64 v[148:149], v[176:177], v[170:171], -v[148:149]
	v_mul_f64 v[176:177], v[176:177], v[150:151]
	v_fmac_f64_e32 v[176:177], v[178:179], v[170:171]
	s_waitcnt vmcnt(33)
	v_add_f64 v[136:137], v[136:137], -v[148:149]
	s_waitcnt lgkmcnt(0)
	v_mul_f64 v[148:149], v[162:163], v[150:151]
	v_add_f64 v[138:139], v[138:139], -v[176:177]
	v_fma_f64 v[148:149], v[160:161], v[170:171], -v[148:149]
	v_mul_f64 v[160:161], v[160:161], v[150:151]
	ds_read2_b64 v[176:179], v172 offset0:16 offset1:17
	v_fmac_f64_e32 v[160:161], v[162:163], v[170:171]
	s_waitcnt vmcnt(32)
	v_add_f64 v[134:135], v[134:135], -v[160:161]
	ds_read2_b64 v[160:163], v172 offset0:18 offset1:19
	v_add_f64 v[132:133], v[132:133], -v[148:149]
	;; [unrolled: 18-line block ×17, first 2 shown]
	s_waitcnt lgkmcnt(1)
	v_mul_f64 v[148:149], v[178:179], v[150:151]
	v_fma_f64 v[148:149], v[176:177], v[170:171], -v[148:149]
	s_waitcnt vmcnt(1)
	v_add_f64 v[0:1], v[0:1], -v[148:149]
	s_waitcnt lgkmcnt(0)
	v_mul_f64 v[148:149], v[162:163], v[150:151]
	v_mul_f64 v[176:177], v[176:177], v[150:151]
	v_fma_f64 v[148:149], v[160:161], v[170:171], -v[148:149]
	v_mul_f64 v[160:161], v[160:161], v[150:151]
	v_fmac_f64_e32 v[176:177], v[178:179], v[170:171]
	v_fmac_f64_e32 v[160:161], v[162:163], v[170:171]
	v_add_f64 v[2:3], v[2:3], -v[176:177]
	s_waitcnt vmcnt(0)
	v_add_f64 v[156:157], v[156:157], -v[148:149]
	v_add_f64 v[158:159], v[158:159], -v[160:161]
	v_mov_b64_e32 v[148:149], v[170:171]
.LBB78_83:
	s_or_b64 exec, exec, s[0:1]
	v_lshl_add_u32 v160, v173, 4, v172
	s_barrier
	s_waitcnt vmcnt(35)
	ds_write2_b64 v160, v[144:145], v[146:147] offset1:1
	s_waitcnt lgkmcnt(0)
	s_barrier
	ds_read2_b64 v[160:163], v172 offset0:8 offset1:9
	s_cmp_lt_i32 s20, 6
	v_mov_b32_e32 v170, 4
	s_cbranch_scc1 .LBB78_86
; %bb.84:
	v_mov_b32_e32 v170, 4
	v_add_u32_e32 v171, 0x50, v172
	s_mov_b32 s16, 5
.LBB78_85:                              ; =>This Inner Loop Header: Depth=1
	ds_read2_b64 v[176:179], v171 offset1:1
	s_waitcnt lgkmcnt(1)
	v_xor_b32_e32 v181, 0x80000000, v161
	v_xor_b32_e32 v183, 0x80000000, v163
	v_cmp_gt_f64_e32 vcc, 0, v[162:163]
	v_cmp_gt_f64_e64 s[0:1], 0, v[160:161]
	v_mov_b32_e32 v180, v160
	v_mov_b32_e32 v182, v162
	v_cndmask_b32_e64 v181, v161, v181, s[0:1]
	v_cndmask_b32_e32 v183, v163, v183, vcc
	v_add_f64 v[180:181], v[180:181], v[182:183]
	s_waitcnt lgkmcnt(0)
	v_xor_b32_e32 v183, 0x80000000, v177
	v_xor_b32_e32 v185, 0x80000000, v179
	v_cmp_gt_f64_e32 vcc, 0, v[178:179]
	v_cmp_gt_f64_e64 s[0:1], 0, v[176:177]
	v_mov_b32_e32 v182, v176
	v_mov_b32_e32 v184, v178
	v_cndmask_b32_e64 v183, v177, v183, s[0:1]
	v_cndmask_b32_e32 v185, v179, v185, vcc
	v_add_f64 v[182:183], v[182:183], v[184:185]
	v_mov_b32_e32 v186, s16
	s_add_i32 s16, s16, 1
	v_cmp_lt_f64_e32 vcc, v[180:181], v[182:183]
	v_add_u32_e32 v171, 16, v171
	s_cmp_lg_u32 s20, s16
	v_cndmask_b32_e32 v161, v161, v177, vcc
	v_cndmask_b32_e32 v160, v160, v176, vcc
	;; [unrolled: 1-line block ×5, first 2 shown]
	s_cbranch_scc1 .LBB78_85
.LBB78_86:
	s_waitcnt lgkmcnt(0)
	v_cmp_eq_f64_e32 vcc, 0, v[160:161]
	v_cmp_eq_f64_e64 s[0:1], 0, v[162:163]
	s_and_b64 s[0:1], vcc, s[0:1]
	s_and_saveexec_b64 s[16:17], s[0:1]
	s_xor_b64 s[0:1], exec, s[16:17]
; %bb.87:
	v_cmp_ne_u32_e32 vcc, 0, v174
	s_nop 1
	v_cndmask_b32_e32 v174, 5, v174, vcc
; %bb.88:
	s_andn2_saveexec_b64 s[0:1], s[0:1]
	s_cbranch_execz .LBB78_94
; %bb.89:
	v_cmp_ngt_f64_e64 s[16:17], |v[160:161]|, |v[162:163]|
	s_and_saveexec_b64 s[18:19], s[16:17]
	s_xor_b64 s[16:17], exec, s[18:19]
	s_cbranch_execz .LBB78_91
; %bb.90:
	v_div_scale_f64 v[176:177], s[18:19], v[162:163], v[162:163], v[160:161]
	v_rcp_f64_e32 v[178:179], v[176:177]
	v_div_scale_f64 v[180:181], vcc, v[160:161], v[162:163], v[160:161]
	v_fma_f64 v[182:183], -v[176:177], v[178:179], 1.0
	v_fmac_f64_e32 v[178:179], v[178:179], v[182:183]
	v_fma_f64 v[182:183], -v[176:177], v[178:179], 1.0
	v_fmac_f64_e32 v[178:179], v[178:179], v[182:183]
	v_mul_f64 v[182:183], v[180:181], v[178:179]
	v_fma_f64 v[176:177], -v[176:177], v[182:183], v[180:181]
	v_div_fmas_f64 v[176:177], v[176:177], v[178:179], v[182:183]
	v_div_fixup_f64 v[176:177], v[176:177], v[162:163], v[160:161]
	v_fmac_f64_e32 v[162:163], v[160:161], v[176:177]
	v_div_scale_f64 v[160:161], s[18:19], v[162:163], v[162:163], 1.0
	v_rcp_f64_e32 v[178:179], v[160:161]
	s_nop 0
	v_fma_f64 v[180:181], -v[160:161], v[178:179], 1.0
	v_fmac_f64_e32 v[178:179], v[178:179], v[180:181]
	v_fma_f64 v[180:181], -v[160:161], v[178:179], 1.0
	v_fmac_f64_e32 v[178:179], v[178:179], v[180:181]
	v_div_scale_f64 v[180:181], vcc, 1.0, v[162:163], 1.0
	v_mul_f64 v[182:183], v[180:181], v[178:179]
	v_fma_f64 v[160:161], -v[160:161], v[182:183], v[180:181]
	s_nop 1
	v_div_fmas_f64 v[160:161], v[160:161], v[178:179], v[182:183]
	v_div_fixup_f64 v[162:163], v[160:161], v[162:163], 1.0
	v_mul_f64 v[160:161], v[176:177], v[162:163]
	v_xor_b32_e32 v163, 0x80000000, v163
.LBB78_91:
	s_andn2_saveexec_b64 s[16:17], s[16:17]
	s_cbranch_execz .LBB78_93
; %bb.92:
	v_div_scale_f64 v[176:177], s[18:19], v[160:161], v[160:161], v[162:163]
	v_rcp_f64_e32 v[178:179], v[176:177]
	v_div_scale_f64 v[180:181], vcc, v[162:163], v[160:161], v[162:163]
	v_fma_f64 v[182:183], -v[176:177], v[178:179], 1.0
	v_fmac_f64_e32 v[178:179], v[178:179], v[182:183]
	v_fma_f64 v[182:183], -v[176:177], v[178:179], 1.0
	v_fmac_f64_e32 v[178:179], v[178:179], v[182:183]
	v_mul_f64 v[182:183], v[180:181], v[178:179]
	v_fma_f64 v[176:177], -v[176:177], v[182:183], v[180:181]
	v_div_fmas_f64 v[176:177], v[176:177], v[178:179], v[182:183]
	v_div_fixup_f64 v[176:177], v[176:177], v[160:161], v[162:163]
	v_fmac_f64_e32 v[160:161], v[162:163], v[176:177]
	v_div_scale_f64 v[162:163], s[18:19], v[160:161], v[160:161], 1.0
	v_rcp_f64_e32 v[178:179], v[162:163]
	s_nop 0
	v_fma_f64 v[180:181], -v[162:163], v[178:179], 1.0
	v_fmac_f64_e32 v[178:179], v[178:179], v[180:181]
	v_fma_f64 v[180:181], -v[162:163], v[178:179], 1.0
	v_fmac_f64_e32 v[178:179], v[178:179], v[180:181]
	v_div_scale_f64 v[180:181], vcc, 1.0, v[160:161], 1.0
	v_mul_f64 v[182:183], v[180:181], v[178:179]
	v_fma_f64 v[162:163], -v[162:163], v[182:183], v[180:181]
	s_nop 1
	v_div_fmas_f64 v[162:163], v[162:163], v[178:179], v[182:183]
	v_div_fixup_f64 v[160:161], v[162:163], v[160:161], 1.0
	v_mul_f64 v[162:163], v[176:177], -v[160:161]
.LBB78_93:
	s_or_b64 exec, exec, s[16:17]
.LBB78_94:
	s_or_b64 exec, exec, s[0:1]
	v_cmp_ne_u32_e32 vcc, v173, v170
	s_and_saveexec_b64 s[0:1], vcc
	s_xor_b64 s[0:1], exec, s[0:1]
	s_cbranch_execz .LBB78_100
; %bb.95:
	v_cmp_eq_u32_e32 vcc, 4, v173
	s_and_saveexec_b64 s[16:17], vcc
	s_cbranch_execz .LBB78_99
; %bb.96:
	v_cmp_ne_u32_e32 vcc, 4, v170
	s_xor_b64 s[18:19], s[14:15], -1
	s_and_b64 s[22:23], s[18:19], vcc
	s_and_saveexec_b64 s[18:19], s[22:23]
	s_cbranch_execz .LBB78_98
; %bb.97:
	v_ashrrev_i32_e32 v171, 31, v170
	v_lshl_add_u64 v[176:177], v[170:171], 2, v[168:169]
	global_load_dword v171, v[176:177], off
	global_load_dword v173, v[168:169], off offset:16
	s_waitcnt vmcnt(1)
	global_store_dword v[168:169], v171, off offset:16
	s_waitcnt vmcnt(1)
	global_store_dword v[176:177], v173, off
.LBB78_98:
	s_or_b64 exec, exec, s[18:19]
	v_mov_b32_e32 v173, v170
	v_mov_b32_e32 v175, v170
.LBB78_99:
	s_or_b64 exec, exec, s[16:17]
.LBB78_100:
	s_andn2_saveexec_b64 s[0:1], s[0:1]
	s_cbranch_execz .LBB78_102
; %bb.101:
	v_mov_b32_e32 v173, 4
	s_waitcnt vmcnt(34)
	ds_write2_b64 v172, v[140:141], v[142:143] offset0:10 offset1:11
	s_waitcnt vmcnt(33)
	ds_write2_b64 v172, v[136:137], v[138:139] offset0:12 offset1:13
	;; [unrolled: 2-line block ×35, first 2 shown]
.LBB78_102:
	s_or_b64 exec, exec, s[0:1]
	v_cmp_lt_i32_e32 vcc, 4, v173
	s_waitcnt lgkmcnt(0)
	s_barrier
	s_and_saveexec_b64 s[0:1], vcc
	s_cbranch_execz .LBB78_104
; %bb.103:
	ds_read2_b64 v[176:179], v172 offset0:10 offset1:11
	v_mul_f64 v[170:171], v[162:163], v[146:147]
	v_mul_f64 v[146:147], v[160:161], v[146:147]
	v_fmac_f64_e32 v[146:147], v[162:163], v[144:145]
	v_fma_f64 v[170:171], v[160:161], v[144:145], -v[170:171]
	ds_read2_b64 v[160:163], v172 offset0:12 offset1:13
	s_waitcnt lgkmcnt(1)
	v_mul_f64 v[144:145], v[178:179], v[146:147]
	v_fma_f64 v[144:145], v[176:177], v[170:171], -v[144:145]
	v_mul_f64 v[176:177], v[176:177], v[146:147]
	v_fmac_f64_e32 v[176:177], v[178:179], v[170:171]
	s_waitcnt vmcnt(34)
	v_add_f64 v[142:143], v[142:143], -v[176:177]
	ds_read2_b64 v[176:179], v172 offset0:14 offset1:15
	v_add_f64 v[140:141], v[140:141], -v[144:145]
	s_waitcnt lgkmcnt(1)
	v_mul_f64 v[144:145], v[162:163], v[146:147]
	v_fma_f64 v[144:145], v[160:161], v[170:171], -v[144:145]
	v_mul_f64 v[160:161], v[160:161], v[146:147]
	v_fmac_f64_e32 v[160:161], v[162:163], v[170:171]
	s_waitcnt vmcnt(33)
	v_add_f64 v[136:137], v[136:137], -v[144:145]
	v_add_f64 v[138:139], v[138:139], -v[160:161]
	ds_read2_b64 v[160:163], v172 offset0:16 offset1:17
	s_waitcnt lgkmcnt(1)
	v_mul_f64 v[144:145], v[178:179], v[146:147]
	v_fma_f64 v[144:145], v[176:177], v[170:171], -v[144:145]
	v_mul_f64 v[176:177], v[176:177], v[146:147]
	v_fmac_f64_e32 v[176:177], v[178:179], v[170:171]
	s_waitcnt vmcnt(32)
	v_add_f64 v[134:135], v[134:135], -v[176:177]
	ds_read2_b64 v[176:179], v172 offset0:18 offset1:19
	v_add_f64 v[132:133], v[132:133], -v[144:145]
	s_waitcnt lgkmcnt(1)
	v_mul_f64 v[144:145], v[162:163], v[146:147]
	v_fma_f64 v[144:145], v[160:161], v[170:171], -v[144:145]
	v_mul_f64 v[160:161], v[160:161], v[146:147]
	v_fmac_f64_e32 v[160:161], v[162:163], v[170:171]
	s_waitcnt vmcnt(31)
	v_add_f64 v[128:129], v[128:129], -v[144:145]
	v_add_f64 v[130:131], v[130:131], -v[160:161]
	;; [unrolled: 18-line block ×17, first 2 shown]
	s_waitcnt lgkmcnt(0)
	v_mul_f64 v[144:145], v[178:179], v[146:147]
	v_mul_f64 v[160:161], v[176:177], v[146:147]
	v_fma_f64 v[144:145], v[176:177], v[170:171], -v[144:145]
	v_fmac_f64_e32 v[160:161], v[178:179], v[170:171]
	s_waitcnt vmcnt(0)
	v_add_f64 v[156:157], v[156:157], -v[144:145]
	v_add_f64 v[158:159], v[158:159], -v[160:161]
	v_mov_b64_e32 v[144:145], v[170:171]
.LBB78_104:
	s_or_b64 exec, exec, s[0:1]
	v_lshl_add_u32 v160, v173, 4, v172
	s_barrier
	s_waitcnt vmcnt(34)
	ds_write2_b64 v160, v[140:141], v[142:143] offset1:1
	s_waitcnt lgkmcnt(0)
	s_barrier
	ds_read2_b64 v[160:163], v172 offset0:10 offset1:11
	s_cmp_lt_i32 s20, 7
	v_mov_b32_e32 v170, 5
	s_cbranch_scc1 .LBB78_107
; %bb.105:
	v_add_u32_e32 v171, 0x60, v172
	s_mov_b32 s16, 6
	v_mov_b32_e32 v170, 5
.LBB78_106:                             ; =>This Inner Loop Header: Depth=1
	ds_read2_b64 v[176:179], v171 offset1:1
	s_waitcnt lgkmcnt(1)
	v_xor_b32_e32 v181, 0x80000000, v161
	v_xor_b32_e32 v183, 0x80000000, v163
	v_cmp_gt_f64_e32 vcc, 0, v[162:163]
	v_cmp_gt_f64_e64 s[0:1], 0, v[160:161]
	v_mov_b32_e32 v180, v160
	v_mov_b32_e32 v182, v162
	v_cndmask_b32_e64 v181, v161, v181, s[0:1]
	v_cndmask_b32_e32 v183, v163, v183, vcc
	v_add_f64 v[180:181], v[180:181], v[182:183]
	s_waitcnt lgkmcnt(0)
	v_xor_b32_e32 v183, 0x80000000, v177
	v_xor_b32_e32 v185, 0x80000000, v179
	v_cmp_gt_f64_e32 vcc, 0, v[178:179]
	v_cmp_gt_f64_e64 s[0:1], 0, v[176:177]
	v_mov_b32_e32 v182, v176
	v_mov_b32_e32 v184, v178
	v_cndmask_b32_e64 v183, v177, v183, s[0:1]
	v_cndmask_b32_e32 v185, v179, v185, vcc
	v_add_f64 v[182:183], v[182:183], v[184:185]
	v_mov_b32_e32 v186, s16
	s_add_i32 s16, s16, 1
	v_cmp_lt_f64_e32 vcc, v[180:181], v[182:183]
	v_add_u32_e32 v171, 16, v171
	s_cmp_lg_u32 s20, s16
	v_cndmask_b32_e32 v161, v161, v177, vcc
	v_cndmask_b32_e32 v160, v160, v176, vcc
	;; [unrolled: 1-line block ×5, first 2 shown]
	s_cbranch_scc1 .LBB78_106
.LBB78_107:
	s_waitcnt lgkmcnt(0)
	v_cmp_eq_f64_e32 vcc, 0, v[160:161]
	v_cmp_eq_f64_e64 s[0:1], 0, v[162:163]
	s_and_b64 s[0:1], vcc, s[0:1]
	s_and_saveexec_b64 s[16:17], s[0:1]
	s_xor_b64 s[0:1], exec, s[16:17]
; %bb.108:
	v_cmp_ne_u32_e32 vcc, 0, v174
	s_nop 1
	v_cndmask_b32_e32 v174, 6, v174, vcc
; %bb.109:
	s_andn2_saveexec_b64 s[0:1], s[0:1]
	s_cbranch_execz .LBB78_115
; %bb.110:
	v_cmp_ngt_f64_e64 s[16:17], |v[160:161]|, |v[162:163]|
	s_and_saveexec_b64 s[18:19], s[16:17]
	s_xor_b64 s[16:17], exec, s[18:19]
	s_cbranch_execz .LBB78_112
; %bb.111:
	v_div_scale_f64 v[176:177], s[18:19], v[162:163], v[162:163], v[160:161]
	v_rcp_f64_e32 v[178:179], v[176:177]
	v_div_scale_f64 v[180:181], vcc, v[160:161], v[162:163], v[160:161]
	v_fma_f64 v[182:183], -v[176:177], v[178:179], 1.0
	v_fmac_f64_e32 v[178:179], v[178:179], v[182:183]
	v_fma_f64 v[182:183], -v[176:177], v[178:179], 1.0
	v_fmac_f64_e32 v[178:179], v[178:179], v[182:183]
	v_mul_f64 v[182:183], v[180:181], v[178:179]
	v_fma_f64 v[176:177], -v[176:177], v[182:183], v[180:181]
	v_div_fmas_f64 v[176:177], v[176:177], v[178:179], v[182:183]
	v_div_fixup_f64 v[176:177], v[176:177], v[162:163], v[160:161]
	v_fmac_f64_e32 v[162:163], v[160:161], v[176:177]
	v_div_scale_f64 v[160:161], s[18:19], v[162:163], v[162:163], 1.0
	v_rcp_f64_e32 v[178:179], v[160:161]
	s_nop 0
	v_fma_f64 v[180:181], -v[160:161], v[178:179], 1.0
	v_fmac_f64_e32 v[178:179], v[178:179], v[180:181]
	v_fma_f64 v[180:181], -v[160:161], v[178:179], 1.0
	v_fmac_f64_e32 v[178:179], v[178:179], v[180:181]
	v_div_scale_f64 v[180:181], vcc, 1.0, v[162:163], 1.0
	v_mul_f64 v[182:183], v[180:181], v[178:179]
	v_fma_f64 v[160:161], -v[160:161], v[182:183], v[180:181]
	s_nop 1
	v_div_fmas_f64 v[160:161], v[160:161], v[178:179], v[182:183]
	v_div_fixup_f64 v[162:163], v[160:161], v[162:163], 1.0
	v_mul_f64 v[160:161], v[176:177], v[162:163]
	v_xor_b32_e32 v163, 0x80000000, v163
.LBB78_112:
	s_andn2_saveexec_b64 s[16:17], s[16:17]
	s_cbranch_execz .LBB78_114
; %bb.113:
	v_div_scale_f64 v[176:177], s[18:19], v[160:161], v[160:161], v[162:163]
	v_rcp_f64_e32 v[178:179], v[176:177]
	v_div_scale_f64 v[180:181], vcc, v[162:163], v[160:161], v[162:163]
	v_fma_f64 v[182:183], -v[176:177], v[178:179], 1.0
	v_fmac_f64_e32 v[178:179], v[178:179], v[182:183]
	v_fma_f64 v[182:183], -v[176:177], v[178:179], 1.0
	v_fmac_f64_e32 v[178:179], v[178:179], v[182:183]
	v_mul_f64 v[182:183], v[180:181], v[178:179]
	v_fma_f64 v[176:177], -v[176:177], v[182:183], v[180:181]
	v_div_fmas_f64 v[176:177], v[176:177], v[178:179], v[182:183]
	v_div_fixup_f64 v[176:177], v[176:177], v[160:161], v[162:163]
	v_fmac_f64_e32 v[160:161], v[162:163], v[176:177]
	v_div_scale_f64 v[162:163], s[18:19], v[160:161], v[160:161], 1.0
	v_rcp_f64_e32 v[178:179], v[162:163]
	s_nop 0
	v_fma_f64 v[180:181], -v[162:163], v[178:179], 1.0
	v_fmac_f64_e32 v[178:179], v[178:179], v[180:181]
	v_fma_f64 v[180:181], -v[162:163], v[178:179], 1.0
	v_fmac_f64_e32 v[178:179], v[178:179], v[180:181]
	v_div_scale_f64 v[180:181], vcc, 1.0, v[160:161], 1.0
	v_mul_f64 v[182:183], v[180:181], v[178:179]
	v_fma_f64 v[162:163], -v[162:163], v[182:183], v[180:181]
	s_nop 1
	v_div_fmas_f64 v[162:163], v[162:163], v[178:179], v[182:183]
	v_div_fixup_f64 v[160:161], v[162:163], v[160:161], 1.0
	v_mul_f64 v[162:163], v[176:177], -v[160:161]
.LBB78_114:
	s_or_b64 exec, exec, s[16:17]
.LBB78_115:
	s_or_b64 exec, exec, s[0:1]
	v_cmp_ne_u32_e32 vcc, v173, v170
	s_and_saveexec_b64 s[0:1], vcc
	s_xor_b64 s[0:1], exec, s[0:1]
	s_cbranch_execz .LBB78_121
; %bb.116:
	v_cmp_eq_u32_e32 vcc, 5, v173
	s_and_saveexec_b64 s[16:17], vcc
	s_cbranch_execz .LBB78_120
; %bb.117:
	v_cmp_ne_u32_e32 vcc, 5, v170
	s_xor_b64 s[18:19], s[14:15], -1
	s_and_b64 s[22:23], s[18:19], vcc
	s_and_saveexec_b64 s[18:19], s[22:23]
	s_cbranch_execz .LBB78_119
; %bb.118:
	v_ashrrev_i32_e32 v171, 31, v170
	v_lshl_add_u64 v[176:177], v[170:171], 2, v[168:169]
	global_load_dword v171, v[176:177], off
	global_load_dword v173, v[168:169], off offset:20
	s_waitcnt vmcnt(1)
	global_store_dword v[168:169], v171, off offset:20
	s_waitcnt vmcnt(1)
	global_store_dword v[176:177], v173, off
.LBB78_119:
	s_or_b64 exec, exec, s[18:19]
	v_mov_b32_e32 v173, v170
	v_mov_b32_e32 v175, v170
.LBB78_120:
	s_or_b64 exec, exec, s[16:17]
.LBB78_121:
	s_andn2_saveexec_b64 s[0:1], s[0:1]
	s_cbranch_execz .LBB78_123
; %bb.122:
	v_mov_b32_e32 v173, 5
	s_waitcnt vmcnt(33)
	ds_write2_b64 v172, v[136:137], v[138:139] offset0:12 offset1:13
	s_waitcnt vmcnt(32)
	ds_write2_b64 v172, v[132:133], v[134:135] offset0:14 offset1:15
	;; [unrolled: 2-line block ×34, first 2 shown]
.LBB78_123:
	s_or_b64 exec, exec, s[0:1]
	v_cmp_lt_i32_e32 vcc, 5, v173
	s_waitcnt lgkmcnt(0)
	s_barrier
	s_and_saveexec_b64 s[0:1], vcc
	s_cbranch_execz .LBB78_125
; %bb.124:
	ds_read2_b64 v[176:179], v172 offset0:12 offset1:13
	v_mul_f64 v[170:171], v[162:163], v[142:143]
	v_mul_f64 v[142:143], v[160:161], v[142:143]
	v_fma_f64 v[170:171], v[160:161], v[140:141], -v[170:171]
	v_fmac_f64_e32 v[142:143], v[162:163], v[140:141]
	ds_read2_b64 v[160:163], v172 offset0:14 offset1:15
	s_waitcnt lgkmcnt(1)
	v_mul_f64 v[140:141], v[178:179], v[142:143]
	v_fma_f64 v[140:141], v[176:177], v[170:171], -v[140:141]
	v_mul_f64 v[176:177], v[176:177], v[142:143]
	v_fmac_f64_e32 v[176:177], v[178:179], v[170:171]
	s_waitcnt vmcnt(33)
	v_add_f64 v[136:137], v[136:137], -v[140:141]
	s_waitcnt lgkmcnt(0)
	v_mul_f64 v[140:141], v[162:163], v[142:143]
	v_add_f64 v[138:139], v[138:139], -v[176:177]
	v_fma_f64 v[140:141], v[160:161], v[170:171], -v[140:141]
	v_mul_f64 v[160:161], v[160:161], v[142:143]
	ds_read2_b64 v[176:179], v172 offset0:16 offset1:17
	v_fmac_f64_e32 v[160:161], v[162:163], v[170:171]
	s_waitcnt vmcnt(32)
	v_add_f64 v[134:135], v[134:135], -v[160:161]
	ds_read2_b64 v[160:163], v172 offset0:18 offset1:19
	v_add_f64 v[132:133], v[132:133], -v[140:141]
	s_waitcnt lgkmcnt(1)
	v_mul_f64 v[140:141], v[178:179], v[142:143]
	v_fma_f64 v[140:141], v[176:177], v[170:171], -v[140:141]
	v_mul_f64 v[176:177], v[176:177], v[142:143]
	v_fmac_f64_e32 v[176:177], v[178:179], v[170:171]
	s_waitcnt vmcnt(31)
	v_add_f64 v[128:129], v[128:129], -v[140:141]
	s_waitcnt lgkmcnt(0)
	v_mul_f64 v[140:141], v[162:163], v[142:143]
	v_add_f64 v[130:131], v[130:131], -v[176:177]
	v_fma_f64 v[140:141], v[160:161], v[170:171], -v[140:141]
	v_mul_f64 v[160:161], v[160:161], v[142:143]
	ds_read2_b64 v[176:179], v172 offset0:20 offset1:21
	v_fmac_f64_e32 v[160:161], v[162:163], v[170:171]
	s_waitcnt vmcnt(30)
	v_add_f64 v[126:127], v[126:127], -v[160:161]
	ds_read2_b64 v[160:163], v172 offset0:22 offset1:23
	v_add_f64 v[124:125], v[124:125], -v[140:141]
	;; [unrolled: 18-line block ×16, first 2 shown]
	s_waitcnt lgkmcnt(1)
	v_mul_f64 v[140:141], v[178:179], v[142:143]
	v_fma_f64 v[140:141], v[176:177], v[170:171], -v[140:141]
	s_waitcnt vmcnt(1)
	v_add_f64 v[0:1], v[0:1], -v[140:141]
	s_waitcnt lgkmcnt(0)
	v_mul_f64 v[140:141], v[162:163], v[142:143]
	v_mul_f64 v[176:177], v[176:177], v[142:143]
	v_fma_f64 v[140:141], v[160:161], v[170:171], -v[140:141]
	v_mul_f64 v[160:161], v[160:161], v[142:143]
	v_fmac_f64_e32 v[176:177], v[178:179], v[170:171]
	v_fmac_f64_e32 v[160:161], v[162:163], v[170:171]
	v_add_f64 v[2:3], v[2:3], -v[176:177]
	s_waitcnt vmcnt(0)
	v_add_f64 v[156:157], v[156:157], -v[140:141]
	v_add_f64 v[158:159], v[158:159], -v[160:161]
	v_mov_b64_e32 v[140:141], v[170:171]
.LBB78_125:
	s_or_b64 exec, exec, s[0:1]
	v_lshl_add_u32 v160, v173, 4, v172
	s_barrier
	s_waitcnt vmcnt(33)
	ds_write2_b64 v160, v[136:137], v[138:139] offset1:1
	s_waitcnt lgkmcnt(0)
	s_barrier
	ds_read2_b64 v[160:163], v172 offset0:12 offset1:13
	s_cmp_lt_i32 s20, 8
	v_mov_b32_e32 v170, 6
	s_cbranch_scc1 .LBB78_128
; %bb.126:
	v_add_u32_e32 v171, 0x70, v172
	s_mov_b32 s16, 7
	v_mov_b32_e32 v170, 6
.LBB78_127:                             ; =>This Inner Loop Header: Depth=1
	ds_read2_b64 v[176:179], v171 offset1:1
	s_waitcnt lgkmcnt(1)
	v_xor_b32_e32 v181, 0x80000000, v161
	v_xor_b32_e32 v183, 0x80000000, v163
	v_cmp_gt_f64_e32 vcc, 0, v[162:163]
	v_cmp_gt_f64_e64 s[0:1], 0, v[160:161]
	v_mov_b32_e32 v180, v160
	v_mov_b32_e32 v182, v162
	v_cndmask_b32_e64 v181, v161, v181, s[0:1]
	v_cndmask_b32_e32 v183, v163, v183, vcc
	v_add_f64 v[180:181], v[180:181], v[182:183]
	s_waitcnt lgkmcnt(0)
	v_xor_b32_e32 v183, 0x80000000, v177
	v_xor_b32_e32 v185, 0x80000000, v179
	v_cmp_gt_f64_e32 vcc, 0, v[178:179]
	v_cmp_gt_f64_e64 s[0:1], 0, v[176:177]
	v_mov_b32_e32 v182, v176
	v_mov_b32_e32 v184, v178
	v_cndmask_b32_e64 v183, v177, v183, s[0:1]
	v_cndmask_b32_e32 v185, v179, v185, vcc
	v_add_f64 v[182:183], v[182:183], v[184:185]
	v_mov_b32_e32 v186, s16
	s_add_i32 s16, s16, 1
	v_cmp_lt_f64_e32 vcc, v[180:181], v[182:183]
	v_add_u32_e32 v171, 16, v171
	s_cmp_lg_u32 s20, s16
	v_cndmask_b32_e32 v161, v161, v177, vcc
	v_cndmask_b32_e32 v160, v160, v176, vcc
	;; [unrolled: 1-line block ×5, first 2 shown]
	s_cbranch_scc1 .LBB78_127
.LBB78_128:
	s_waitcnt lgkmcnt(0)
	v_cmp_eq_f64_e32 vcc, 0, v[160:161]
	v_cmp_eq_f64_e64 s[0:1], 0, v[162:163]
	s_and_b64 s[0:1], vcc, s[0:1]
	s_and_saveexec_b64 s[16:17], s[0:1]
	s_xor_b64 s[0:1], exec, s[16:17]
; %bb.129:
	v_cmp_ne_u32_e32 vcc, 0, v174
	s_nop 1
	v_cndmask_b32_e32 v174, 7, v174, vcc
; %bb.130:
	s_andn2_saveexec_b64 s[0:1], s[0:1]
	s_cbranch_execz .LBB78_136
; %bb.131:
	v_cmp_ngt_f64_e64 s[16:17], |v[160:161]|, |v[162:163]|
	s_and_saveexec_b64 s[18:19], s[16:17]
	s_xor_b64 s[16:17], exec, s[18:19]
	s_cbranch_execz .LBB78_133
; %bb.132:
	v_div_scale_f64 v[176:177], s[18:19], v[162:163], v[162:163], v[160:161]
	v_rcp_f64_e32 v[178:179], v[176:177]
	v_div_scale_f64 v[180:181], vcc, v[160:161], v[162:163], v[160:161]
	v_fma_f64 v[182:183], -v[176:177], v[178:179], 1.0
	v_fmac_f64_e32 v[178:179], v[178:179], v[182:183]
	v_fma_f64 v[182:183], -v[176:177], v[178:179], 1.0
	v_fmac_f64_e32 v[178:179], v[178:179], v[182:183]
	v_mul_f64 v[182:183], v[180:181], v[178:179]
	v_fma_f64 v[176:177], -v[176:177], v[182:183], v[180:181]
	v_div_fmas_f64 v[176:177], v[176:177], v[178:179], v[182:183]
	v_div_fixup_f64 v[176:177], v[176:177], v[162:163], v[160:161]
	v_fmac_f64_e32 v[162:163], v[160:161], v[176:177]
	v_div_scale_f64 v[160:161], s[18:19], v[162:163], v[162:163], 1.0
	v_rcp_f64_e32 v[178:179], v[160:161]
	s_nop 0
	v_fma_f64 v[180:181], -v[160:161], v[178:179], 1.0
	v_fmac_f64_e32 v[178:179], v[178:179], v[180:181]
	v_fma_f64 v[180:181], -v[160:161], v[178:179], 1.0
	v_fmac_f64_e32 v[178:179], v[178:179], v[180:181]
	v_div_scale_f64 v[180:181], vcc, 1.0, v[162:163], 1.0
	v_mul_f64 v[182:183], v[180:181], v[178:179]
	v_fma_f64 v[160:161], -v[160:161], v[182:183], v[180:181]
	s_nop 1
	v_div_fmas_f64 v[160:161], v[160:161], v[178:179], v[182:183]
	v_div_fixup_f64 v[162:163], v[160:161], v[162:163], 1.0
	v_mul_f64 v[160:161], v[176:177], v[162:163]
	v_xor_b32_e32 v163, 0x80000000, v163
.LBB78_133:
	s_andn2_saveexec_b64 s[16:17], s[16:17]
	s_cbranch_execz .LBB78_135
; %bb.134:
	v_div_scale_f64 v[176:177], s[18:19], v[160:161], v[160:161], v[162:163]
	v_rcp_f64_e32 v[178:179], v[176:177]
	v_div_scale_f64 v[180:181], vcc, v[162:163], v[160:161], v[162:163]
	v_fma_f64 v[182:183], -v[176:177], v[178:179], 1.0
	v_fmac_f64_e32 v[178:179], v[178:179], v[182:183]
	v_fma_f64 v[182:183], -v[176:177], v[178:179], 1.0
	v_fmac_f64_e32 v[178:179], v[178:179], v[182:183]
	v_mul_f64 v[182:183], v[180:181], v[178:179]
	v_fma_f64 v[176:177], -v[176:177], v[182:183], v[180:181]
	v_div_fmas_f64 v[176:177], v[176:177], v[178:179], v[182:183]
	v_div_fixup_f64 v[176:177], v[176:177], v[160:161], v[162:163]
	v_fmac_f64_e32 v[160:161], v[162:163], v[176:177]
	v_div_scale_f64 v[162:163], s[18:19], v[160:161], v[160:161], 1.0
	v_rcp_f64_e32 v[178:179], v[162:163]
	s_nop 0
	v_fma_f64 v[180:181], -v[162:163], v[178:179], 1.0
	v_fmac_f64_e32 v[178:179], v[178:179], v[180:181]
	v_fma_f64 v[180:181], -v[162:163], v[178:179], 1.0
	v_fmac_f64_e32 v[178:179], v[178:179], v[180:181]
	v_div_scale_f64 v[180:181], vcc, 1.0, v[160:161], 1.0
	v_mul_f64 v[182:183], v[180:181], v[178:179]
	v_fma_f64 v[162:163], -v[162:163], v[182:183], v[180:181]
	s_nop 1
	v_div_fmas_f64 v[162:163], v[162:163], v[178:179], v[182:183]
	v_div_fixup_f64 v[160:161], v[162:163], v[160:161], 1.0
	v_mul_f64 v[162:163], v[176:177], -v[160:161]
.LBB78_135:
	s_or_b64 exec, exec, s[16:17]
.LBB78_136:
	s_or_b64 exec, exec, s[0:1]
	v_cmp_ne_u32_e32 vcc, v173, v170
	s_and_saveexec_b64 s[0:1], vcc
	s_xor_b64 s[0:1], exec, s[0:1]
	s_cbranch_execz .LBB78_142
; %bb.137:
	v_cmp_eq_u32_e32 vcc, 6, v173
	s_and_saveexec_b64 s[16:17], vcc
	s_cbranch_execz .LBB78_141
; %bb.138:
	v_cmp_ne_u32_e32 vcc, 6, v170
	s_xor_b64 s[18:19], s[14:15], -1
	s_and_b64 s[22:23], s[18:19], vcc
	s_and_saveexec_b64 s[18:19], s[22:23]
	s_cbranch_execz .LBB78_140
; %bb.139:
	v_ashrrev_i32_e32 v171, 31, v170
	v_lshl_add_u64 v[176:177], v[170:171], 2, v[168:169]
	global_load_dword v171, v[176:177], off
	global_load_dword v173, v[168:169], off offset:24
	s_waitcnt vmcnt(1)
	global_store_dword v[168:169], v171, off offset:24
	s_waitcnt vmcnt(1)
	global_store_dword v[176:177], v173, off
.LBB78_140:
	s_or_b64 exec, exec, s[18:19]
	v_mov_b32_e32 v173, v170
	v_mov_b32_e32 v175, v170
.LBB78_141:
	s_or_b64 exec, exec, s[16:17]
.LBB78_142:
	s_andn2_saveexec_b64 s[0:1], s[0:1]
	s_cbranch_execz .LBB78_144
; %bb.143:
	v_mov_b32_e32 v173, 6
	s_waitcnt vmcnt(32)
	ds_write2_b64 v172, v[132:133], v[134:135] offset0:14 offset1:15
	s_waitcnt vmcnt(31)
	ds_write2_b64 v172, v[128:129], v[130:131] offset0:16 offset1:17
	;; [unrolled: 2-line block ×33, first 2 shown]
.LBB78_144:
	s_or_b64 exec, exec, s[0:1]
	v_cmp_lt_i32_e32 vcc, 6, v173
	s_waitcnt lgkmcnt(0)
	s_barrier
	s_and_saveexec_b64 s[0:1], vcc
	s_cbranch_execz .LBB78_146
; %bb.145:
	ds_read2_b64 v[176:179], v172 offset0:14 offset1:15
	v_mul_f64 v[170:171], v[162:163], v[138:139]
	v_mul_f64 v[138:139], v[160:161], v[138:139]
	v_fmac_f64_e32 v[138:139], v[162:163], v[136:137]
	v_fma_f64 v[170:171], v[160:161], v[136:137], -v[170:171]
	ds_read2_b64 v[160:163], v172 offset0:16 offset1:17
	s_waitcnt lgkmcnt(1)
	v_mul_f64 v[136:137], v[178:179], v[138:139]
	v_fma_f64 v[136:137], v[176:177], v[170:171], -v[136:137]
	v_mul_f64 v[176:177], v[176:177], v[138:139]
	v_fmac_f64_e32 v[176:177], v[178:179], v[170:171]
	s_waitcnt vmcnt(32)
	v_add_f64 v[134:135], v[134:135], -v[176:177]
	ds_read2_b64 v[176:179], v172 offset0:18 offset1:19
	v_add_f64 v[132:133], v[132:133], -v[136:137]
	s_waitcnt lgkmcnt(1)
	v_mul_f64 v[136:137], v[162:163], v[138:139]
	v_fma_f64 v[136:137], v[160:161], v[170:171], -v[136:137]
	v_mul_f64 v[160:161], v[160:161], v[138:139]
	v_fmac_f64_e32 v[160:161], v[162:163], v[170:171]
	s_waitcnt vmcnt(31)
	v_add_f64 v[128:129], v[128:129], -v[136:137]
	v_add_f64 v[130:131], v[130:131], -v[160:161]
	ds_read2_b64 v[160:163], v172 offset0:20 offset1:21
	s_waitcnt lgkmcnt(1)
	v_mul_f64 v[136:137], v[178:179], v[138:139]
	v_fma_f64 v[136:137], v[176:177], v[170:171], -v[136:137]
	v_mul_f64 v[176:177], v[176:177], v[138:139]
	v_fmac_f64_e32 v[176:177], v[178:179], v[170:171]
	s_waitcnt vmcnt(30)
	v_add_f64 v[126:127], v[126:127], -v[176:177]
	ds_read2_b64 v[176:179], v172 offset0:22 offset1:23
	v_add_f64 v[124:125], v[124:125], -v[136:137]
	s_waitcnt lgkmcnt(1)
	v_mul_f64 v[136:137], v[162:163], v[138:139]
	v_fma_f64 v[136:137], v[160:161], v[170:171], -v[136:137]
	v_mul_f64 v[160:161], v[160:161], v[138:139]
	v_fmac_f64_e32 v[160:161], v[162:163], v[170:171]
	s_waitcnt vmcnt(29)
	v_add_f64 v[120:121], v[120:121], -v[136:137]
	v_add_f64 v[122:123], v[122:123], -v[160:161]
	;; [unrolled: 18-line block ×16, first 2 shown]
	s_waitcnt lgkmcnt(0)
	v_mul_f64 v[136:137], v[178:179], v[138:139]
	v_mul_f64 v[160:161], v[176:177], v[138:139]
	v_fma_f64 v[136:137], v[176:177], v[170:171], -v[136:137]
	v_fmac_f64_e32 v[160:161], v[178:179], v[170:171]
	s_waitcnt vmcnt(0)
	v_add_f64 v[156:157], v[156:157], -v[136:137]
	v_add_f64 v[158:159], v[158:159], -v[160:161]
	v_mov_b64_e32 v[136:137], v[170:171]
.LBB78_146:
	s_or_b64 exec, exec, s[0:1]
	v_lshl_add_u32 v160, v173, 4, v172
	s_barrier
	s_waitcnt vmcnt(32)
	ds_write2_b64 v160, v[132:133], v[134:135] offset1:1
	s_waitcnt lgkmcnt(0)
	s_barrier
	ds_read2_b64 v[160:163], v172 offset0:14 offset1:15
	s_cmp_lt_i32 s20, 9
	v_mov_b32_e32 v170, 7
	s_cbranch_scc1 .LBB78_149
; %bb.147:
	v_add_u32_e32 v171, 0x80, v172
	s_mov_b32 s16, 8
	v_mov_b32_e32 v170, 7
.LBB78_148:                             ; =>This Inner Loop Header: Depth=1
	ds_read2_b64 v[176:179], v171 offset1:1
	s_waitcnt lgkmcnt(1)
	v_xor_b32_e32 v181, 0x80000000, v161
	v_xor_b32_e32 v183, 0x80000000, v163
	v_cmp_gt_f64_e32 vcc, 0, v[162:163]
	v_cmp_gt_f64_e64 s[0:1], 0, v[160:161]
	v_mov_b32_e32 v180, v160
	v_mov_b32_e32 v182, v162
	v_cndmask_b32_e64 v181, v161, v181, s[0:1]
	v_cndmask_b32_e32 v183, v163, v183, vcc
	v_add_f64 v[180:181], v[180:181], v[182:183]
	s_waitcnt lgkmcnt(0)
	v_xor_b32_e32 v183, 0x80000000, v177
	v_xor_b32_e32 v185, 0x80000000, v179
	v_cmp_gt_f64_e32 vcc, 0, v[178:179]
	v_cmp_gt_f64_e64 s[0:1], 0, v[176:177]
	v_mov_b32_e32 v182, v176
	v_mov_b32_e32 v184, v178
	v_cndmask_b32_e64 v183, v177, v183, s[0:1]
	v_cndmask_b32_e32 v185, v179, v185, vcc
	v_add_f64 v[182:183], v[182:183], v[184:185]
	v_mov_b32_e32 v186, s16
	s_add_i32 s16, s16, 1
	v_cmp_lt_f64_e32 vcc, v[180:181], v[182:183]
	v_add_u32_e32 v171, 16, v171
	s_cmp_lg_u32 s20, s16
	v_cndmask_b32_e32 v161, v161, v177, vcc
	v_cndmask_b32_e32 v160, v160, v176, vcc
	;; [unrolled: 1-line block ×5, first 2 shown]
	s_cbranch_scc1 .LBB78_148
.LBB78_149:
	s_waitcnt lgkmcnt(0)
	v_cmp_eq_f64_e32 vcc, 0, v[160:161]
	v_cmp_eq_f64_e64 s[0:1], 0, v[162:163]
	s_and_b64 s[0:1], vcc, s[0:1]
	s_and_saveexec_b64 s[16:17], s[0:1]
	s_xor_b64 s[0:1], exec, s[16:17]
; %bb.150:
	v_cmp_ne_u32_e32 vcc, 0, v174
	s_nop 1
	v_cndmask_b32_e32 v174, 8, v174, vcc
; %bb.151:
	s_andn2_saveexec_b64 s[0:1], s[0:1]
	s_cbranch_execz .LBB78_157
; %bb.152:
	v_cmp_ngt_f64_e64 s[16:17], |v[160:161]|, |v[162:163]|
	s_and_saveexec_b64 s[18:19], s[16:17]
	s_xor_b64 s[16:17], exec, s[18:19]
	s_cbranch_execz .LBB78_154
; %bb.153:
	v_div_scale_f64 v[176:177], s[18:19], v[162:163], v[162:163], v[160:161]
	v_rcp_f64_e32 v[178:179], v[176:177]
	v_div_scale_f64 v[180:181], vcc, v[160:161], v[162:163], v[160:161]
	v_fma_f64 v[182:183], -v[176:177], v[178:179], 1.0
	v_fmac_f64_e32 v[178:179], v[178:179], v[182:183]
	v_fma_f64 v[182:183], -v[176:177], v[178:179], 1.0
	v_fmac_f64_e32 v[178:179], v[178:179], v[182:183]
	v_mul_f64 v[182:183], v[180:181], v[178:179]
	v_fma_f64 v[176:177], -v[176:177], v[182:183], v[180:181]
	v_div_fmas_f64 v[176:177], v[176:177], v[178:179], v[182:183]
	v_div_fixup_f64 v[176:177], v[176:177], v[162:163], v[160:161]
	v_fmac_f64_e32 v[162:163], v[160:161], v[176:177]
	v_div_scale_f64 v[160:161], s[18:19], v[162:163], v[162:163], 1.0
	v_rcp_f64_e32 v[178:179], v[160:161]
	s_nop 0
	v_fma_f64 v[180:181], -v[160:161], v[178:179], 1.0
	v_fmac_f64_e32 v[178:179], v[178:179], v[180:181]
	v_fma_f64 v[180:181], -v[160:161], v[178:179], 1.0
	v_fmac_f64_e32 v[178:179], v[178:179], v[180:181]
	v_div_scale_f64 v[180:181], vcc, 1.0, v[162:163], 1.0
	v_mul_f64 v[182:183], v[180:181], v[178:179]
	v_fma_f64 v[160:161], -v[160:161], v[182:183], v[180:181]
	s_nop 1
	v_div_fmas_f64 v[160:161], v[160:161], v[178:179], v[182:183]
	v_div_fixup_f64 v[162:163], v[160:161], v[162:163], 1.0
	v_mul_f64 v[160:161], v[176:177], v[162:163]
	v_xor_b32_e32 v163, 0x80000000, v163
.LBB78_154:
	s_andn2_saveexec_b64 s[16:17], s[16:17]
	s_cbranch_execz .LBB78_156
; %bb.155:
	v_div_scale_f64 v[176:177], s[18:19], v[160:161], v[160:161], v[162:163]
	v_rcp_f64_e32 v[178:179], v[176:177]
	v_div_scale_f64 v[180:181], vcc, v[162:163], v[160:161], v[162:163]
	v_fma_f64 v[182:183], -v[176:177], v[178:179], 1.0
	v_fmac_f64_e32 v[178:179], v[178:179], v[182:183]
	v_fma_f64 v[182:183], -v[176:177], v[178:179], 1.0
	v_fmac_f64_e32 v[178:179], v[178:179], v[182:183]
	v_mul_f64 v[182:183], v[180:181], v[178:179]
	v_fma_f64 v[176:177], -v[176:177], v[182:183], v[180:181]
	v_div_fmas_f64 v[176:177], v[176:177], v[178:179], v[182:183]
	v_div_fixup_f64 v[176:177], v[176:177], v[160:161], v[162:163]
	v_fmac_f64_e32 v[160:161], v[162:163], v[176:177]
	v_div_scale_f64 v[162:163], s[18:19], v[160:161], v[160:161], 1.0
	v_rcp_f64_e32 v[178:179], v[162:163]
	s_nop 0
	v_fma_f64 v[180:181], -v[162:163], v[178:179], 1.0
	v_fmac_f64_e32 v[178:179], v[178:179], v[180:181]
	v_fma_f64 v[180:181], -v[162:163], v[178:179], 1.0
	v_fmac_f64_e32 v[178:179], v[178:179], v[180:181]
	v_div_scale_f64 v[180:181], vcc, 1.0, v[160:161], 1.0
	v_mul_f64 v[182:183], v[180:181], v[178:179]
	v_fma_f64 v[162:163], -v[162:163], v[182:183], v[180:181]
	s_nop 1
	v_div_fmas_f64 v[162:163], v[162:163], v[178:179], v[182:183]
	v_div_fixup_f64 v[160:161], v[162:163], v[160:161], 1.0
	v_mul_f64 v[162:163], v[176:177], -v[160:161]
.LBB78_156:
	s_or_b64 exec, exec, s[16:17]
.LBB78_157:
	s_or_b64 exec, exec, s[0:1]
	v_cmp_ne_u32_e32 vcc, v173, v170
	s_and_saveexec_b64 s[0:1], vcc
	s_xor_b64 s[0:1], exec, s[0:1]
	s_cbranch_execz .LBB78_163
; %bb.158:
	v_cmp_eq_u32_e32 vcc, 7, v173
	s_and_saveexec_b64 s[16:17], vcc
	s_cbranch_execz .LBB78_162
; %bb.159:
	v_cmp_ne_u32_e32 vcc, 7, v170
	s_xor_b64 s[18:19], s[14:15], -1
	s_and_b64 s[22:23], s[18:19], vcc
	s_and_saveexec_b64 s[18:19], s[22:23]
	s_cbranch_execz .LBB78_161
; %bb.160:
	v_ashrrev_i32_e32 v171, 31, v170
	v_lshl_add_u64 v[176:177], v[170:171], 2, v[168:169]
	global_load_dword v171, v[176:177], off
	global_load_dword v173, v[168:169], off offset:28
	s_waitcnt vmcnt(1)
	global_store_dword v[168:169], v171, off offset:28
	s_waitcnt vmcnt(1)
	global_store_dword v[176:177], v173, off
.LBB78_161:
	s_or_b64 exec, exec, s[18:19]
	v_mov_b32_e32 v173, v170
	v_mov_b32_e32 v175, v170
.LBB78_162:
	s_or_b64 exec, exec, s[16:17]
.LBB78_163:
	s_andn2_saveexec_b64 s[0:1], s[0:1]
	s_cbranch_execz .LBB78_165
; %bb.164:
	v_mov_b32_e32 v173, 7
	s_waitcnt vmcnt(31)
	ds_write2_b64 v172, v[128:129], v[130:131] offset0:16 offset1:17
	s_waitcnt vmcnt(30)
	ds_write2_b64 v172, v[124:125], v[126:127] offset0:18 offset1:19
	;; [unrolled: 2-line block ×32, first 2 shown]
.LBB78_165:
	s_or_b64 exec, exec, s[0:1]
	v_cmp_lt_i32_e32 vcc, 7, v173
	s_waitcnt lgkmcnt(0)
	s_barrier
	s_and_saveexec_b64 s[0:1], vcc
	s_cbranch_execz .LBB78_167
; %bb.166:
	ds_read2_b64 v[176:179], v172 offset0:16 offset1:17
	v_mul_f64 v[170:171], v[162:163], v[134:135]
	v_mul_f64 v[134:135], v[160:161], v[134:135]
	v_fma_f64 v[170:171], v[160:161], v[132:133], -v[170:171]
	v_fmac_f64_e32 v[134:135], v[162:163], v[132:133]
	ds_read2_b64 v[160:163], v172 offset0:18 offset1:19
	s_waitcnt lgkmcnt(1)
	v_mul_f64 v[132:133], v[178:179], v[134:135]
	v_fma_f64 v[132:133], v[176:177], v[170:171], -v[132:133]
	v_mul_f64 v[176:177], v[176:177], v[134:135]
	v_fmac_f64_e32 v[176:177], v[178:179], v[170:171]
	s_waitcnt vmcnt(31)
	v_add_f64 v[128:129], v[128:129], -v[132:133]
	s_waitcnt lgkmcnt(0)
	v_mul_f64 v[132:133], v[162:163], v[134:135]
	v_add_f64 v[130:131], v[130:131], -v[176:177]
	v_fma_f64 v[132:133], v[160:161], v[170:171], -v[132:133]
	v_mul_f64 v[160:161], v[160:161], v[134:135]
	ds_read2_b64 v[176:179], v172 offset0:20 offset1:21
	v_fmac_f64_e32 v[160:161], v[162:163], v[170:171]
	s_waitcnt vmcnt(30)
	v_add_f64 v[126:127], v[126:127], -v[160:161]
	ds_read2_b64 v[160:163], v172 offset0:22 offset1:23
	v_add_f64 v[124:125], v[124:125], -v[132:133]
	s_waitcnt lgkmcnt(1)
	v_mul_f64 v[132:133], v[178:179], v[134:135]
	v_fma_f64 v[132:133], v[176:177], v[170:171], -v[132:133]
	v_mul_f64 v[176:177], v[176:177], v[134:135]
	v_fmac_f64_e32 v[176:177], v[178:179], v[170:171]
	s_waitcnt vmcnt(29)
	v_add_f64 v[120:121], v[120:121], -v[132:133]
	s_waitcnt lgkmcnt(0)
	v_mul_f64 v[132:133], v[162:163], v[134:135]
	v_add_f64 v[122:123], v[122:123], -v[176:177]
	v_fma_f64 v[132:133], v[160:161], v[170:171], -v[132:133]
	v_mul_f64 v[160:161], v[160:161], v[134:135]
	ds_read2_b64 v[176:179], v172 offset0:24 offset1:25
	v_fmac_f64_e32 v[160:161], v[162:163], v[170:171]
	s_waitcnt vmcnt(28)
	v_add_f64 v[118:119], v[118:119], -v[160:161]
	ds_read2_b64 v[160:163], v172 offset0:26 offset1:27
	v_add_f64 v[116:117], v[116:117], -v[132:133]
	;; [unrolled: 18-line block ×15, first 2 shown]
	s_waitcnt lgkmcnt(1)
	v_mul_f64 v[132:133], v[178:179], v[134:135]
	v_fma_f64 v[132:133], v[176:177], v[170:171], -v[132:133]
	s_waitcnt vmcnt(1)
	v_add_f64 v[0:1], v[0:1], -v[132:133]
	s_waitcnt lgkmcnt(0)
	v_mul_f64 v[132:133], v[162:163], v[134:135]
	v_mul_f64 v[176:177], v[176:177], v[134:135]
	v_fma_f64 v[132:133], v[160:161], v[170:171], -v[132:133]
	v_mul_f64 v[160:161], v[160:161], v[134:135]
	v_fmac_f64_e32 v[176:177], v[178:179], v[170:171]
	v_fmac_f64_e32 v[160:161], v[162:163], v[170:171]
	v_add_f64 v[2:3], v[2:3], -v[176:177]
	s_waitcnt vmcnt(0)
	v_add_f64 v[156:157], v[156:157], -v[132:133]
	v_add_f64 v[158:159], v[158:159], -v[160:161]
	v_mov_b64_e32 v[132:133], v[170:171]
.LBB78_167:
	s_or_b64 exec, exec, s[0:1]
	v_lshl_add_u32 v160, v173, 4, v172
	s_barrier
	s_waitcnt vmcnt(31)
	ds_write2_b64 v160, v[128:129], v[130:131] offset1:1
	s_waitcnt lgkmcnt(0)
	s_barrier
	ds_read2_b64 v[160:163], v172 offset0:16 offset1:17
	s_cmp_lt_i32 s20, 10
	v_mov_b32_e32 v170, 8
	s_cbranch_scc1 .LBB78_170
; %bb.168:
	v_add_u32_e32 v171, 0x90, v172
	s_mov_b32 s16, 9
	v_mov_b32_e32 v170, 8
.LBB78_169:                             ; =>This Inner Loop Header: Depth=1
	ds_read2_b64 v[176:179], v171 offset1:1
	s_waitcnt lgkmcnt(1)
	v_xor_b32_e32 v181, 0x80000000, v161
	v_xor_b32_e32 v183, 0x80000000, v163
	v_cmp_gt_f64_e32 vcc, 0, v[162:163]
	v_cmp_gt_f64_e64 s[0:1], 0, v[160:161]
	v_mov_b32_e32 v180, v160
	v_mov_b32_e32 v182, v162
	v_cndmask_b32_e64 v181, v161, v181, s[0:1]
	v_cndmask_b32_e32 v183, v163, v183, vcc
	v_add_f64 v[180:181], v[180:181], v[182:183]
	s_waitcnt lgkmcnt(0)
	v_xor_b32_e32 v183, 0x80000000, v177
	v_xor_b32_e32 v185, 0x80000000, v179
	v_cmp_gt_f64_e32 vcc, 0, v[178:179]
	v_cmp_gt_f64_e64 s[0:1], 0, v[176:177]
	v_mov_b32_e32 v182, v176
	v_mov_b32_e32 v184, v178
	v_cndmask_b32_e64 v183, v177, v183, s[0:1]
	v_cndmask_b32_e32 v185, v179, v185, vcc
	v_add_f64 v[182:183], v[182:183], v[184:185]
	v_mov_b32_e32 v186, s16
	s_add_i32 s16, s16, 1
	v_cmp_lt_f64_e32 vcc, v[180:181], v[182:183]
	v_add_u32_e32 v171, 16, v171
	s_cmp_lg_u32 s20, s16
	v_cndmask_b32_e32 v161, v161, v177, vcc
	v_cndmask_b32_e32 v160, v160, v176, vcc
	;; [unrolled: 1-line block ×5, first 2 shown]
	s_cbranch_scc1 .LBB78_169
.LBB78_170:
	s_waitcnt lgkmcnt(0)
	v_cmp_eq_f64_e32 vcc, 0, v[160:161]
	v_cmp_eq_f64_e64 s[0:1], 0, v[162:163]
	s_and_b64 s[0:1], vcc, s[0:1]
	s_and_saveexec_b64 s[16:17], s[0:1]
	s_xor_b64 s[0:1], exec, s[16:17]
; %bb.171:
	v_cmp_ne_u32_e32 vcc, 0, v174
	s_nop 1
	v_cndmask_b32_e32 v174, 9, v174, vcc
; %bb.172:
	s_andn2_saveexec_b64 s[0:1], s[0:1]
	s_cbranch_execz .LBB78_178
; %bb.173:
	v_cmp_ngt_f64_e64 s[16:17], |v[160:161]|, |v[162:163]|
	s_and_saveexec_b64 s[18:19], s[16:17]
	s_xor_b64 s[16:17], exec, s[18:19]
	s_cbranch_execz .LBB78_175
; %bb.174:
	v_div_scale_f64 v[176:177], s[18:19], v[162:163], v[162:163], v[160:161]
	v_rcp_f64_e32 v[178:179], v[176:177]
	v_div_scale_f64 v[180:181], vcc, v[160:161], v[162:163], v[160:161]
	v_fma_f64 v[182:183], -v[176:177], v[178:179], 1.0
	v_fmac_f64_e32 v[178:179], v[178:179], v[182:183]
	v_fma_f64 v[182:183], -v[176:177], v[178:179], 1.0
	v_fmac_f64_e32 v[178:179], v[178:179], v[182:183]
	v_mul_f64 v[182:183], v[180:181], v[178:179]
	v_fma_f64 v[176:177], -v[176:177], v[182:183], v[180:181]
	v_div_fmas_f64 v[176:177], v[176:177], v[178:179], v[182:183]
	v_div_fixup_f64 v[176:177], v[176:177], v[162:163], v[160:161]
	v_fmac_f64_e32 v[162:163], v[160:161], v[176:177]
	v_div_scale_f64 v[160:161], s[18:19], v[162:163], v[162:163], 1.0
	v_rcp_f64_e32 v[178:179], v[160:161]
	s_nop 0
	v_fma_f64 v[180:181], -v[160:161], v[178:179], 1.0
	v_fmac_f64_e32 v[178:179], v[178:179], v[180:181]
	v_fma_f64 v[180:181], -v[160:161], v[178:179], 1.0
	v_fmac_f64_e32 v[178:179], v[178:179], v[180:181]
	v_div_scale_f64 v[180:181], vcc, 1.0, v[162:163], 1.0
	v_mul_f64 v[182:183], v[180:181], v[178:179]
	v_fma_f64 v[160:161], -v[160:161], v[182:183], v[180:181]
	s_nop 1
	v_div_fmas_f64 v[160:161], v[160:161], v[178:179], v[182:183]
	v_div_fixup_f64 v[162:163], v[160:161], v[162:163], 1.0
	v_mul_f64 v[160:161], v[176:177], v[162:163]
	v_xor_b32_e32 v163, 0x80000000, v163
.LBB78_175:
	s_andn2_saveexec_b64 s[16:17], s[16:17]
	s_cbranch_execz .LBB78_177
; %bb.176:
	v_div_scale_f64 v[176:177], s[18:19], v[160:161], v[160:161], v[162:163]
	v_rcp_f64_e32 v[178:179], v[176:177]
	v_div_scale_f64 v[180:181], vcc, v[162:163], v[160:161], v[162:163]
	v_fma_f64 v[182:183], -v[176:177], v[178:179], 1.0
	v_fmac_f64_e32 v[178:179], v[178:179], v[182:183]
	v_fma_f64 v[182:183], -v[176:177], v[178:179], 1.0
	v_fmac_f64_e32 v[178:179], v[178:179], v[182:183]
	v_mul_f64 v[182:183], v[180:181], v[178:179]
	v_fma_f64 v[176:177], -v[176:177], v[182:183], v[180:181]
	v_div_fmas_f64 v[176:177], v[176:177], v[178:179], v[182:183]
	v_div_fixup_f64 v[176:177], v[176:177], v[160:161], v[162:163]
	v_fmac_f64_e32 v[160:161], v[162:163], v[176:177]
	v_div_scale_f64 v[162:163], s[18:19], v[160:161], v[160:161], 1.0
	v_rcp_f64_e32 v[178:179], v[162:163]
	s_nop 0
	v_fma_f64 v[180:181], -v[162:163], v[178:179], 1.0
	v_fmac_f64_e32 v[178:179], v[178:179], v[180:181]
	v_fma_f64 v[180:181], -v[162:163], v[178:179], 1.0
	v_fmac_f64_e32 v[178:179], v[178:179], v[180:181]
	v_div_scale_f64 v[180:181], vcc, 1.0, v[160:161], 1.0
	v_mul_f64 v[182:183], v[180:181], v[178:179]
	v_fma_f64 v[162:163], -v[162:163], v[182:183], v[180:181]
	s_nop 1
	v_div_fmas_f64 v[162:163], v[162:163], v[178:179], v[182:183]
	v_div_fixup_f64 v[160:161], v[162:163], v[160:161], 1.0
	v_mul_f64 v[162:163], v[176:177], -v[160:161]
.LBB78_177:
	s_or_b64 exec, exec, s[16:17]
.LBB78_178:
	s_or_b64 exec, exec, s[0:1]
	v_cmp_ne_u32_e32 vcc, v173, v170
	s_and_saveexec_b64 s[0:1], vcc
	s_xor_b64 s[0:1], exec, s[0:1]
	s_cbranch_execz .LBB78_184
; %bb.179:
	v_cmp_eq_u32_e32 vcc, 8, v173
	s_and_saveexec_b64 s[16:17], vcc
	s_cbranch_execz .LBB78_183
; %bb.180:
	v_cmp_ne_u32_e32 vcc, 8, v170
	s_xor_b64 s[18:19], s[14:15], -1
	s_and_b64 s[22:23], s[18:19], vcc
	s_and_saveexec_b64 s[18:19], s[22:23]
	s_cbranch_execz .LBB78_182
; %bb.181:
	v_ashrrev_i32_e32 v171, 31, v170
	v_lshl_add_u64 v[176:177], v[170:171], 2, v[168:169]
	global_load_dword v171, v[176:177], off
	global_load_dword v173, v[168:169], off offset:32
	s_waitcnt vmcnt(1)
	global_store_dword v[168:169], v171, off offset:32
	s_waitcnt vmcnt(1)
	global_store_dword v[176:177], v173, off
.LBB78_182:
	s_or_b64 exec, exec, s[18:19]
	v_mov_b32_e32 v173, v170
	v_mov_b32_e32 v175, v170
.LBB78_183:
	s_or_b64 exec, exec, s[16:17]
.LBB78_184:
	s_andn2_saveexec_b64 s[0:1], s[0:1]
	s_cbranch_execz .LBB78_186
; %bb.185:
	v_mov_b32_e32 v173, 8
	s_waitcnt vmcnt(30)
	ds_write2_b64 v172, v[124:125], v[126:127] offset0:18 offset1:19
	s_waitcnt vmcnt(29)
	ds_write2_b64 v172, v[120:121], v[122:123] offset0:20 offset1:21
	;; [unrolled: 2-line block ×31, first 2 shown]
.LBB78_186:
	s_or_b64 exec, exec, s[0:1]
	v_cmp_lt_i32_e32 vcc, 8, v173
	s_waitcnt lgkmcnt(0)
	s_barrier
	s_and_saveexec_b64 s[0:1], vcc
	s_cbranch_execz .LBB78_188
; %bb.187:
	ds_read2_b64 v[176:179], v172 offset0:18 offset1:19
	v_mul_f64 v[170:171], v[162:163], v[130:131]
	v_mul_f64 v[130:131], v[160:161], v[130:131]
	v_fmac_f64_e32 v[130:131], v[162:163], v[128:129]
	v_fma_f64 v[170:171], v[160:161], v[128:129], -v[170:171]
	ds_read2_b64 v[160:163], v172 offset0:20 offset1:21
	s_waitcnt lgkmcnt(1)
	v_mul_f64 v[128:129], v[178:179], v[130:131]
	v_fma_f64 v[128:129], v[176:177], v[170:171], -v[128:129]
	v_mul_f64 v[176:177], v[176:177], v[130:131]
	v_fmac_f64_e32 v[176:177], v[178:179], v[170:171]
	s_waitcnt vmcnt(30)
	v_add_f64 v[126:127], v[126:127], -v[176:177]
	ds_read2_b64 v[176:179], v172 offset0:22 offset1:23
	v_add_f64 v[124:125], v[124:125], -v[128:129]
	s_waitcnt lgkmcnt(1)
	v_mul_f64 v[128:129], v[162:163], v[130:131]
	v_fma_f64 v[128:129], v[160:161], v[170:171], -v[128:129]
	v_mul_f64 v[160:161], v[160:161], v[130:131]
	v_fmac_f64_e32 v[160:161], v[162:163], v[170:171]
	s_waitcnt vmcnt(29)
	v_add_f64 v[120:121], v[120:121], -v[128:129]
	v_add_f64 v[122:123], v[122:123], -v[160:161]
	ds_read2_b64 v[160:163], v172 offset0:24 offset1:25
	s_waitcnt lgkmcnt(1)
	v_mul_f64 v[128:129], v[178:179], v[130:131]
	v_fma_f64 v[128:129], v[176:177], v[170:171], -v[128:129]
	v_mul_f64 v[176:177], v[176:177], v[130:131]
	v_fmac_f64_e32 v[176:177], v[178:179], v[170:171]
	s_waitcnt vmcnt(28)
	v_add_f64 v[118:119], v[118:119], -v[176:177]
	ds_read2_b64 v[176:179], v172 offset0:26 offset1:27
	v_add_f64 v[116:117], v[116:117], -v[128:129]
	s_waitcnt lgkmcnt(1)
	v_mul_f64 v[128:129], v[162:163], v[130:131]
	v_fma_f64 v[128:129], v[160:161], v[170:171], -v[128:129]
	v_mul_f64 v[160:161], v[160:161], v[130:131]
	v_fmac_f64_e32 v[160:161], v[162:163], v[170:171]
	s_waitcnt vmcnt(27)
	v_add_f64 v[112:113], v[112:113], -v[128:129]
	v_add_f64 v[114:115], v[114:115], -v[160:161]
	;; [unrolled: 18-line block ×15, first 2 shown]
	s_waitcnt lgkmcnt(0)
	v_mul_f64 v[128:129], v[178:179], v[130:131]
	v_mul_f64 v[160:161], v[176:177], v[130:131]
	v_fma_f64 v[128:129], v[176:177], v[170:171], -v[128:129]
	v_fmac_f64_e32 v[160:161], v[178:179], v[170:171]
	s_waitcnt vmcnt(0)
	v_add_f64 v[156:157], v[156:157], -v[128:129]
	v_add_f64 v[158:159], v[158:159], -v[160:161]
	v_mov_b64_e32 v[128:129], v[170:171]
.LBB78_188:
	s_or_b64 exec, exec, s[0:1]
	v_lshl_add_u32 v160, v173, 4, v172
	s_barrier
	s_waitcnt vmcnt(30)
	ds_write2_b64 v160, v[124:125], v[126:127] offset1:1
	s_waitcnt lgkmcnt(0)
	s_barrier
	ds_read2_b64 v[160:163], v172 offset0:18 offset1:19
	s_cmp_lt_i32 s20, 11
	v_mov_b32_e32 v170, 9
	s_cbranch_scc1 .LBB78_191
; %bb.189:
	v_add_u32_e32 v171, 0xa0, v172
	s_mov_b32 s16, 10
	v_mov_b32_e32 v170, 9
.LBB78_190:                             ; =>This Inner Loop Header: Depth=1
	ds_read2_b64 v[176:179], v171 offset1:1
	s_waitcnt lgkmcnt(1)
	v_xor_b32_e32 v181, 0x80000000, v161
	v_xor_b32_e32 v183, 0x80000000, v163
	v_cmp_gt_f64_e32 vcc, 0, v[162:163]
	v_cmp_gt_f64_e64 s[0:1], 0, v[160:161]
	v_mov_b32_e32 v180, v160
	v_mov_b32_e32 v182, v162
	v_cndmask_b32_e64 v181, v161, v181, s[0:1]
	v_cndmask_b32_e32 v183, v163, v183, vcc
	v_add_f64 v[180:181], v[180:181], v[182:183]
	s_waitcnt lgkmcnt(0)
	v_xor_b32_e32 v183, 0x80000000, v177
	v_xor_b32_e32 v185, 0x80000000, v179
	v_cmp_gt_f64_e32 vcc, 0, v[178:179]
	v_cmp_gt_f64_e64 s[0:1], 0, v[176:177]
	v_mov_b32_e32 v182, v176
	v_mov_b32_e32 v184, v178
	v_cndmask_b32_e64 v183, v177, v183, s[0:1]
	v_cndmask_b32_e32 v185, v179, v185, vcc
	v_add_f64 v[182:183], v[182:183], v[184:185]
	v_mov_b32_e32 v186, s16
	s_add_i32 s16, s16, 1
	v_cmp_lt_f64_e32 vcc, v[180:181], v[182:183]
	v_add_u32_e32 v171, 16, v171
	s_cmp_lg_u32 s20, s16
	v_cndmask_b32_e32 v161, v161, v177, vcc
	v_cndmask_b32_e32 v160, v160, v176, vcc
	v_cndmask_b32_e32 v163, v163, v179, vcc
	v_cndmask_b32_e32 v162, v162, v178, vcc
	v_cndmask_b32_e32 v170, v170, v186, vcc
	s_cbranch_scc1 .LBB78_190
.LBB78_191:
	s_waitcnt lgkmcnt(0)
	v_cmp_eq_f64_e32 vcc, 0, v[160:161]
	v_cmp_eq_f64_e64 s[0:1], 0, v[162:163]
	s_and_b64 s[0:1], vcc, s[0:1]
	s_and_saveexec_b64 s[16:17], s[0:1]
	s_xor_b64 s[0:1], exec, s[16:17]
; %bb.192:
	v_cmp_ne_u32_e32 vcc, 0, v174
	s_nop 1
	v_cndmask_b32_e32 v174, 10, v174, vcc
; %bb.193:
	s_andn2_saveexec_b64 s[0:1], s[0:1]
	s_cbranch_execz .LBB78_199
; %bb.194:
	v_cmp_ngt_f64_e64 s[16:17], |v[160:161]|, |v[162:163]|
	s_and_saveexec_b64 s[18:19], s[16:17]
	s_xor_b64 s[16:17], exec, s[18:19]
	s_cbranch_execz .LBB78_196
; %bb.195:
	v_div_scale_f64 v[176:177], s[18:19], v[162:163], v[162:163], v[160:161]
	v_rcp_f64_e32 v[178:179], v[176:177]
	v_div_scale_f64 v[180:181], vcc, v[160:161], v[162:163], v[160:161]
	v_fma_f64 v[182:183], -v[176:177], v[178:179], 1.0
	v_fmac_f64_e32 v[178:179], v[178:179], v[182:183]
	v_fma_f64 v[182:183], -v[176:177], v[178:179], 1.0
	v_fmac_f64_e32 v[178:179], v[178:179], v[182:183]
	v_mul_f64 v[182:183], v[180:181], v[178:179]
	v_fma_f64 v[176:177], -v[176:177], v[182:183], v[180:181]
	v_div_fmas_f64 v[176:177], v[176:177], v[178:179], v[182:183]
	v_div_fixup_f64 v[176:177], v[176:177], v[162:163], v[160:161]
	v_fmac_f64_e32 v[162:163], v[160:161], v[176:177]
	v_div_scale_f64 v[160:161], s[18:19], v[162:163], v[162:163], 1.0
	v_rcp_f64_e32 v[178:179], v[160:161]
	s_nop 0
	v_fma_f64 v[180:181], -v[160:161], v[178:179], 1.0
	v_fmac_f64_e32 v[178:179], v[178:179], v[180:181]
	v_fma_f64 v[180:181], -v[160:161], v[178:179], 1.0
	v_fmac_f64_e32 v[178:179], v[178:179], v[180:181]
	v_div_scale_f64 v[180:181], vcc, 1.0, v[162:163], 1.0
	v_mul_f64 v[182:183], v[180:181], v[178:179]
	v_fma_f64 v[160:161], -v[160:161], v[182:183], v[180:181]
	s_nop 1
	v_div_fmas_f64 v[160:161], v[160:161], v[178:179], v[182:183]
	v_div_fixup_f64 v[162:163], v[160:161], v[162:163], 1.0
	v_mul_f64 v[160:161], v[176:177], v[162:163]
	v_xor_b32_e32 v163, 0x80000000, v163
.LBB78_196:
	s_andn2_saveexec_b64 s[16:17], s[16:17]
	s_cbranch_execz .LBB78_198
; %bb.197:
	v_div_scale_f64 v[176:177], s[18:19], v[160:161], v[160:161], v[162:163]
	v_rcp_f64_e32 v[178:179], v[176:177]
	v_div_scale_f64 v[180:181], vcc, v[162:163], v[160:161], v[162:163]
	v_fma_f64 v[182:183], -v[176:177], v[178:179], 1.0
	v_fmac_f64_e32 v[178:179], v[178:179], v[182:183]
	v_fma_f64 v[182:183], -v[176:177], v[178:179], 1.0
	v_fmac_f64_e32 v[178:179], v[178:179], v[182:183]
	v_mul_f64 v[182:183], v[180:181], v[178:179]
	v_fma_f64 v[176:177], -v[176:177], v[182:183], v[180:181]
	v_div_fmas_f64 v[176:177], v[176:177], v[178:179], v[182:183]
	v_div_fixup_f64 v[176:177], v[176:177], v[160:161], v[162:163]
	v_fmac_f64_e32 v[160:161], v[162:163], v[176:177]
	v_div_scale_f64 v[162:163], s[18:19], v[160:161], v[160:161], 1.0
	v_rcp_f64_e32 v[178:179], v[162:163]
	s_nop 0
	v_fma_f64 v[180:181], -v[162:163], v[178:179], 1.0
	v_fmac_f64_e32 v[178:179], v[178:179], v[180:181]
	v_fma_f64 v[180:181], -v[162:163], v[178:179], 1.0
	v_fmac_f64_e32 v[178:179], v[178:179], v[180:181]
	v_div_scale_f64 v[180:181], vcc, 1.0, v[160:161], 1.0
	v_mul_f64 v[182:183], v[180:181], v[178:179]
	v_fma_f64 v[162:163], -v[162:163], v[182:183], v[180:181]
	s_nop 1
	v_div_fmas_f64 v[162:163], v[162:163], v[178:179], v[182:183]
	v_div_fixup_f64 v[160:161], v[162:163], v[160:161], 1.0
	v_mul_f64 v[162:163], v[176:177], -v[160:161]
.LBB78_198:
	s_or_b64 exec, exec, s[16:17]
.LBB78_199:
	s_or_b64 exec, exec, s[0:1]
	v_cmp_ne_u32_e32 vcc, v173, v170
	s_and_saveexec_b64 s[0:1], vcc
	s_xor_b64 s[0:1], exec, s[0:1]
	s_cbranch_execz .LBB78_205
; %bb.200:
	v_cmp_eq_u32_e32 vcc, 9, v173
	s_and_saveexec_b64 s[16:17], vcc
	s_cbranch_execz .LBB78_204
; %bb.201:
	v_cmp_ne_u32_e32 vcc, 9, v170
	s_xor_b64 s[18:19], s[14:15], -1
	s_and_b64 s[22:23], s[18:19], vcc
	s_and_saveexec_b64 s[18:19], s[22:23]
	s_cbranch_execz .LBB78_203
; %bb.202:
	v_ashrrev_i32_e32 v171, 31, v170
	v_lshl_add_u64 v[176:177], v[170:171], 2, v[168:169]
	global_load_dword v171, v[176:177], off
	global_load_dword v173, v[168:169], off offset:36
	s_waitcnt vmcnt(1)
	global_store_dword v[168:169], v171, off offset:36
	s_waitcnt vmcnt(1)
	global_store_dword v[176:177], v173, off
.LBB78_203:
	s_or_b64 exec, exec, s[18:19]
	v_mov_b32_e32 v173, v170
	v_mov_b32_e32 v175, v170
.LBB78_204:
	s_or_b64 exec, exec, s[16:17]
.LBB78_205:
	s_andn2_saveexec_b64 s[0:1], s[0:1]
	s_cbranch_execz .LBB78_207
; %bb.206:
	v_mov_b32_e32 v173, 9
	s_waitcnt vmcnt(29)
	ds_write2_b64 v172, v[120:121], v[122:123] offset0:20 offset1:21
	s_waitcnt vmcnt(28)
	ds_write2_b64 v172, v[116:117], v[118:119] offset0:22 offset1:23
	;; [unrolled: 2-line block ×30, first 2 shown]
.LBB78_207:
	s_or_b64 exec, exec, s[0:1]
	v_cmp_lt_i32_e32 vcc, 9, v173
	s_waitcnt lgkmcnt(0)
	s_barrier
	s_and_saveexec_b64 s[0:1], vcc
	s_cbranch_execz .LBB78_209
; %bb.208:
	ds_read2_b64 v[176:179], v172 offset0:20 offset1:21
	v_mul_f64 v[170:171], v[162:163], v[126:127]
	v_mul_f64 v[126:127], v[160:161], v[126:127]
	v_fma_f64 v[170:171], v[160:161], v[124:125], -v[170:171]
	v_fmac_f64_e32 v[126:127], v[162:163], v[124:125]
	ds_read2_b64 v[160:163], v172 offset0:22 offset1:23
	s_waitcnt lgkmcnt(1)
	v_mul_f64 v[124:125], v[178:179], v[126:127]
	v_fma_f64 v[124:125], v[176:177], v[170:171], -v[124:125]
	v_mul_f64 v[176:177], v[176:177], v[126:127]
	v_fmac_f64_e32 v[176:177], v[178:179], v[170:171]
	s_waitcnt vmcnt(29)
	v_add_f64 v[120:121], v[120:121], -v[124:125]
	s_waitcnt lgkmcnt(0)
	v_mul_f64 v[124:125], v[162:163], v[126:127]
	v_add_f64 v[122:123], v[122:123], -v[176:177]
	v_fma_f64 v[124:125], v[160:161], v[170:171], -v[124:125]
	v_mul_f64 v[160:161], v[160:161], v[126:127]
	ds_read2_b64 v[176:179], v172 offset0:24 offset1:25
	v_fmac_f64_e32 v[160:161], v[162:163], v[170:171]
	s_waitcnt vmcnt(28)
	v_add_f64 v[118:119], v[118:119], -v[160:161]
	ds_read2_b64 v[160:163], v172 offset0:26 offset1:27
	v_add_f64 v[116:117], v[116:117], -v[124:125]
	s_waitcnt lgkmcnt(1)
	v_mul_f64 v[124:125], v[178:179], v[126:127]
	v_fma_f64 v[124:125], v[176:177], v[170:171], -v[124:125]
	v_mul_f64 v[176:177], v[176:177], v[126:127]
	v_fmac_f64_e32 v[176:177], v[178:179], v[170:171]
	s_waitcnt vmcnt(27)
	v_add_f64 v[112:113], v[112:113], -v[124:125]
	s_waitcnt lgkmcnt(0)
	v_mul_f64 v[124:125], v[162:163], v[126:127]
	v_add_f64 v[114:115], v[114:115], -v[176:177]
	v_fma_f64 v[124:125], v[160:161], v[170:171], -v[124:125]
	v_mul_f64 v[160:161], v[160:161], v[126:127]
	ds_read2_b64 v[176:179], v172 offset0:28 offset1:29
	v_fmac_f64_e32 v[160:161], v[162:163], v[170:171]
	s_waitcnt vmcnt(26)
	v_add_f64 v[110:111], v[110:111], -v[160:161]
	ds_read2_b64 v[160:163], v172 offset0:30 offset1:31
	v_add_f64 v[108:109], v[108:109], -v[124:125]
	;; [unrolled: 18-line block ×14, first 2 shown]
	s_waitcnt lgkmcnt(1)
	v_mul_f64 v[124:125], v[178:179], v[126:127]
	v_fma_f64 v[124:125], v[176:177], v[170:171], -v[124:125]
	s_waitcnt vmcnt(1)
	v_add_f64 v[0:1], v[0:1], -v[124:125]
	s_waitcnt lgkmcnt(0)
	v_mul_f64 v[124:125], v[162:163], v[126:127]
	v_mul_f64 v[176:177], v[176:177], v[126:127]
	v_fma_f64 v[124:125], v[160:161], v[170:171], -v[124:125]
	v_mul_f64 v[160:161], v[160:161], v[126:127]
	v_fmac_f64_e32 v[176:177], v[178:179], v[170:171]
	v_fmac_f64_e32 v[160:161], v[162:163], v[170:171]
	v_add_f64 v[2:3], v[2:3], -v[176:177]
	s_waitcnt vmcnt(0)
	v_add_f64 v[156:157], v[156:157], -v[124:125]
	v_add_f64 v[158:159], v[158:159], -v[160:161]
	v_mov_b64_e32 v[124:125], v[170:171]
.LBB78_209:
	s_or_b64 exec, exec, s[0:1]
	v_lshl_add_u32 v160, v173, 4, v172
	s_barrier
	s_waitcnt vmcnt(29)
	ds_write2_b64 v160, v[120:121], v[122:123] offset1:1
	s_waitcnt lgkmcnt(0)
	s_barrier
	ds_read2_b64 v[160:163], v172 offset0:20 offset1:21
	s_cmp_lt_i32 s20, 12
	v_mov_b32_e32 v170, 10
	s_cbranch_scc1 .LBB78_212
; %bb.210:
	v_add_u32_e32 v171, 0xb0, v172
	s_mov_b32 s16, 11
	v_mov_b32_e32 v170, 10
.LBB78_211:                             ; =>This Inner Loop Header: Depth=1
	ds_read2_b64 v[176:179], v171 offset1:1
	s_waitcnt lgkmcnt(1)
	v_xor_b32_e32 v181, 0x80000000, v161
	v_xor_b32_e32 v183, 0x80000000, v163
	v_cmp_gt_f64_e32 vcc, 0, v[162:163]
	v_cmp_gt_f64_e64 s[0:1], 0, v[160:161]
	v_mov_b32_e32 v180, v160
	v_mov_b32_e32 v182, v162
	v_cndmask_b32_e64 v181, v161, v181, s[0:1]
	v_cndmask_b32_e32 v183, v163, v183, vcc
	v_add_f64 v[180:181], v[180:181], v[182:183]
	s_waitcnt lgkmcnt(0)
	v_xor_b32_e32 v183, 0x80000000, v177
	v_xor_b32_e32 v185, 0x80000000, v179
	v_cmp_gt_f64_e32 vcc, 0, v[178:179]
	v_cmp_gt_f64_e64 s[0:1], 0, v[176:177]
	v_mov_b32_e32 v182, v176
	v_mov_b32_e32 v184, v178
	v_cndmask_b32_e64 v183, v177, v183, s[0:1]
	v_cndmask_b32_e32 v185, v179, v185, vcc
	v_add_f64 v[182:183], v[182:183], v[184:185]
	v_mov_b32_e32 v186, s16
	s_add_i32 s16, s16, 1
	v_cmp_lt_f64_e32 vcc, v[180:181], v[182:183]
	v_add_u32_e32 v171, 16, v171
	s_cmp_lg_u32 s20, s16
	v_cndmask_b32_e32 v161, v161, v177, vcc
	v_cndmask_b32_e32 v160, v160, v176, vcc
	;; [unrolled: 1-line block ×5, first 2 shown]
	s_cbranch_scc1 .LBB78_211
.LBB78_212:
	s_waitcnt lgkmcnt(0)
	v_cmp_eq_f64_e32 vcc, 0, v[160:161]
	v_cmp_eq_f64_e64 s[0:1], 0, v[162:163]
	s_and_b64 s[0:1], vcc, s[0:1]
	s_and_saveexec_b64 s[16:17], s[0:1]
	s_xor_b64 s[0:1], exec, s[16:17]
; %bb.213:
	v_cmp_ne_u32_e32 vcc, 0, v174
	s_nop 1
	v_cndmask_b32_e32 v174, 11, v174, vcc
; %bb.214:
	s_andn2_saveexec_b64 s[0:1], s[0:1]
	s_cbranch_execz .LBB78_220
; %bb.215:
	v_cmp_ngt_f64_e64 s[16:17], |v[160:161]|, |v[162:163]|
	s_and_saveexec_b64 s[18:19], s[16:17]
	s_xor_b64 s[16:17], exec, s[18:19]
	s_cbranch_execz .LBB78_217
; %bb.216:
	v_div_scale_f64 v[176:177], s[18:19], v[162:163], v[162:163], v[160:161]
	v_rcp_f64_e32 v[178:179], v[176:177]
	v_div_scale_f64 v[180:181], vcc, v[160:161], v[162:163], v[160:161]
	v_fma_f64 v[182:183], -v[176:177], v[178:179], 1.0
	v_fmac_f64_e32 v[178:179], v[178:179], v[182:183]
	v_fma_f64 v[182:183], -v[176:177], v[178:179], 1.0
	v_fmac_f64_e32 v[178:179], v[178:179], v[182:183]
	v_mul_f64 v[182:183], v[180:181], v[178:179]
	v_fma_f64 v[176:177], -v[176:177], v[182:183], v[180:181]
	v_div_fmas_f64 v[176:177], v[176:177], v[178:179], v[182:183]
	v_div_fixup_f64 v[176:177], v[176:177], v[162:163], v[160:161]
	v_fmac_f64_e32 v[162:163], v[160:161], v[176:177]
	v_div_scale_f64 v[160:161], s[18:19], v[162:163], v[162:163], 1.0
	v_rcp_f64_e32 v[178:179], v[160:161]
	s_nop 0
	v_fma_f64 v[180:181], -v[160:161], v[178:179], 1.0
	v_fmac_f64_e32 v[178:179], v[178:179], v[180:181]
	v_fma_f64 v[180:181], -v[160:161], v[178:179], 1.0
	v_fmac_f64_e32 v[178:179], v[178:179], v[180:181]
	v_div_scale_f64 v[180:181], vcc, 1.0, v[162:163], 1.0
	v_mul_f64 v[182:183], v[180:181], v[178:179]
	v_fma_f64 v[160:161], -v[160:161], v[182:183], v[180:181]
	s_nop 1
	v_div_fmas_f64 v[160:161], v[160:161], v[178:179], v[182:183]
	v_div_fixup_f64 v[162:163], v[160:161], v[162:163], 1.0
	v_mul_f64 v[160:161], v[176:177], v[162:163]
	v_xor_b32_e32 v163, 0x80000000, v163
.LBB78_217:
	s_andn2_saveexec_b64 s[16:17], s[16:17]
	s_cbranch_execz .LBB78_219
; %bb.218:
	v_div_scale_f64 v[176:177], s[18:19], v[160:161], v[160:161], v[162:163]
	v_rcp_f64_e32 v[178:179], v[176:177]
	v_div_scale_f64 v[180:181], vcc, v[162:163], v[160:161], v[162:163]
	v_fma_f64 v[182:183], -v[176:177], v[178:179], 1.0
	v_fmac_f64_e32 v[178:179], v[178:179], v[182:183]
	v_fma_f64 v[182:183], -v[176:177], v[178:179], 1.0
	v_fmac_f64_e32 v[178:179], v[178:179], v[182:183]
	v_mul_f64 v[182:183], v[180:181], v[178:179]
	v_fma_f64 v[176:177], -v[176:177], v[182:183], v[180:181]
	v_div_fmas_f64 v[176:177], v[176:177], v[178:179], v[182:183]
	v_div_fixup_f64 v[176:177], v[176:177], v[160:161], v[162:163]
	v_fmac_f64_e32 v[160:161], v[162:163], v[176:177]
	v_div_scale_f64 v[162:163], s[18:19], v[160:161], v[160:161], 1.0
	v_rcp_f64_e32 v[178:179], v[162:163]
	s_nop 0
	v_fma_f64 v[180:181], -v[162:163], v[178:179], 1.0
	v_fmac_f64_e32 v[178:179], v[178:179], v[180:181]
	v_fma_f64 v[180:181], -v[162:163], v[178:179], 1.0
	v_fmac_f64_e32 v[178:179], v[178:179], v[180:181]
	v_div_scale_f64 v[180:181], vcc, 1.0, v[160:161], 1.0
	v_mul_f64 v[182:183], v[180:181], v[178:179]
	v_fma_f64 v[162:163], -v[162:163], v[182:183], v[180:181]
	s_nop 1
	v_div_fmas_f64 v[162:163], v[162:163], v[178:179], v[182:183]
	v_div_fixup_f64 v[160:161], v[162:163], v[160:161], 1.0
	v_mul_f64 v[162:163], v[176:177], -v[160:161]
.LBB78_219:
	s_or_b64 exec, exec, s[16:17]
.LBB78_220:
	s_or_b64 exec, exec, s[0:1]
	v_cmp_ne_u32_e32 vcc, v173, v170
	s_and_saveexec_b64 s[0:1], vcc
	s_xor_b64 s[0:1], exec, s[0:1]
	s_cbranch_execz .LBB78_226
; %bb.221:
	v_cmp_eq_u32_e32 vcc, 10, v173
	s_and_saveexec_b64 s[16:17], vcc
	s_cbranch_execz .LBB78_225
; %bb.222:
	v_cmp_ne_u32_e32 vcc, 10, v170
	s_xor_b64 s[18:19], s[14:15], -1
	s_and_b64 s[22:23], s[18:19], vcc
	s_and_saveexec_b64 s[18:19], s[22:23]
	s_cbranch_execz .LBB78_224
; %bb.223:
	v_ashrrev_i32_e32 v171, 31, v170
	v_lshl_add_u64 v[176:177], v[170:171], 2, v[168:169]
	global_load_dword v171, v[176:177], off
	global_load_dword v173, v[168:169], off offset:40
	s_waitcnt vmcnt(1)
	global_store_dword v[168:169], v171, off offset:40
	s_waitcnt vmcnt(1)
	global_store_dword v[176:177], v173, off
.LBB78_224:
	s_or_b64 exec, exec, s[18:19]
	v_mov_b32_e32 v173, v170
	v_mov_b32_e32 v175, v170
.LBB78_225:
	s_or_b64 exec, exec, s[16:17]
.LBB78_226:
	s_andn2_saveexec_b64 s[0:1], s[0:1]
	s_cbranch_execz .LBB78_228
; %bb.227:
	v_mov_b32_e32 v173, 10
	s_waitcnt vmcnt(28)
	ds_write2_b64 v172, v[116:117], v[118:119] offset0:22 offset1:23
	s_waitcnt vmcnt(27)
	ds_write2_b64 v172, v[112:113], v[114:115] offset0:24 offset1:25
	;; [unrolled: 2-line block ×29, first 2 shown]
.LBB78_228:
	s_or_b64 exec, exec, s[0:1]
	v_cmp_lt_i32_e32 vcc, 10, v173
	s_waitcnt lgkmcnt(0)
	s_barrier
	s_and_saveexec_b64 s[0:1], vcc
	s_cbranch_execz .LBB78_230
; %bb.229:
	ds_read2_b64 v[176:179], v172 offset0:22 offset1:23
	v_mul_f64 v[170:171], v[162:163], v[122:123]
	v_mul_f64 v[122:123], v[160:161], v[122:123]
	v_fmac_f64_e32 v[122:123], v[162:163], v[120:121]
	v_fma_f64 v[170:171], v[160:161], v[120:121], -v[170:171]
	ds_read2_b64 v[160:163], v172 offset0:24 offset1:25
	s_waitcnt lgkmcnt(1)
	v_mul_f64 v[120:121], v[178:179], v[122:123]
	v_fma_f64 v[120:121], v[176:177], v[170:171], -v[120:121]
	v_mul_f64 v[176:177], v[176:177], v[122:123]
	v_fmac_f64_e32 v[176:177], v[178:179], v[170:171]
	s_waitcnt vmcnt(28)
	v_add_f64 v[118:119], v[118:119], -v[176:177]
	ds_read2_b64 v[176:179], v172 offset0:26 offset1:27
	v_add_f64 v[116:117], v[116:117], -v[120:121]
	s_waitcnt lgkmcnt(1)
	v_mul_f64 v[120:121], v[162:163], v[122:123]
	v_fma_f64 v[120:121], v[160:161], v[170:171], -v[120:121]
	v_mul_f64 v[160:161], v[160:161], v[122:123]
	v_fmac_f64_e32 v[160:161], v[162:163], v[170:171]
	s_waitcnt vmcnt(27)
	v_add_f64 v[112:113], v[112:113], -v[120:121]
	v_add_f64 v[114:115], v[114:115], -v[160:161]
	ds_read2_b64 v[160:163], v172 offset0:28 offset1:29
	s_waitcnt lgkmcnt(1)
	v_mul_f64 v[120:121], v[178:179], v[122:123]
	v_fma_f64 v[120:121], v[176:177], v[170:171], -v[120:121]
	v_mul_f64 v[176:177], v[176:177], v[122:123]
	v_fmac_f64_e32 v[176:177], v[178:179], v[170:171]
	s_waitcnt vmcnt(26)
	v_add_f64 v[110:111], v[110:111], -v[176:177]
	ds_read2_b64 v[176:179], v172 offset0:30 offset1:31
	v_add_f64 v[108:109], v[108:109], -v[120:121]
	s_waitcnt lgkmcnt(1)
	v_mul_f64 v[120:121], v[162:163], v[122:123]
	v_fma_f64 v[120:121], v[160:161], v[170:171], -v[120:121]
	v_mul_f64 v[160:161], v[160:161], v[122:123]
	v_fmac_f64_e32 v[160:161], v[162:163], v[170:171]
	s_waitcnt vmcnt(25)
	v_add_f64 v[100:101], v[100:101], -v[120:121]
	v_add_f64 v[102:103], v[102:103], -v[160:161]
	ds_read2_b64 v[160:163], v172 offset0:32 offset1:33
	s_waitcnt lgkmcnt(1)
	v_mul_f64 v[120:121], v[178:179], v[122:123]
	v_fma_f64 v[120:121], v[176:177], v[170:171], -v[120:121]
	v_mul_f64 v[176:177], v[176:177], v[122:123]
	v_fmac_f64_e32 v[176:177], v[178:179], v[170:171]
	s_waitcnt vmcnt(24)
	v_add_f64 v[94:95], v[94:95], -v[176:177]
	ds_read2_b64 v[176:179], v172 offset0:34 offset1:35
	v_add_f64 v[92:93], v[92:93], -v[120:121]
	s_waitcnt lgkmcnt(1)
	v_mul_f64 v[120:121], v[162:163], v[122:123]
	v_fma_f64 v[120:121], v[160:161], v[170:171], -v[120:121]
	v_mul_f64 v[160:161], v[160:161], v[122:123]
	v_fmac_f64_e32 v[160:161], v[162:163], v[170:171]
	s_waitcnt vmcnt(23)
	v_add_f64 v[88:89], v[88:89], -v[120:121]
	v_add_f64 v[90:91], v[90:91], -v[160:161]
	ds_read2_b64 v[160:163], v172 offset0:36 offset1:37
	s_waitcnt lgkmcnt(1)
	v_mul_f64 v[120:121], v[178:179], v[122:123]
	v_fma_f64 v[120:121], v[176:177], v[170:171], -v[120:121]
	v_mul_f64 v[176:177], v[176:177], v[122:123]
	v_fmac_f64_e32 v[176:177], v[178:179], v[170:171]
	s_waitcnt vmcnt(22)
	v_add_f64 v[86:87], v[86:87], -v[176:177]
	ds_read2_b64 v[176:179], v172 offset0:38 offset1:39
	v_add_f64 v[84:85], v[84:85], -v[120:121]
	s_waitcnt lgkmcnt(1)
	v_mul_f64 v[120:121], v[162:163], v[122:123]
	v_fma_f64 v[120:121], v[160:161], v[170:171], -v[120:121]
	v_mul_f64 v[160:161], v[160:161], v[122:123]
	v_fmac_f64_e32 v[160:161], v[162:163], v[170:171]
	s_waitcnt vmcnt(21)
	v_add_f64 v[80:81], v[80:81], -v[120:121]
	v_add_f64 v[82:83], v[82:83], -v[160:161]
	ds_read2_b64 v[160:163], v172 offset0:40 offset1:41
	s_waitcnt lgkmcnt(1)
	v_mul_f64 v[120:121], v[178:179], v[122:123]
	v_fma_f64 v[120:121], v[176:177], v[170:171], -v[120:121]
	v_mul_f64 v[176:177], v[176:177], v[122:123]
	v_fmac_f64_e32 v[176:177], v[178:179], v[170:171]
	s_waitcnt vmcnt(20)
	v_add_f64 v[78:79], v[78:79], -v[176:177]
	ds_read2_b64 v[176:179], v172 offset0:42 offset1:43
	v_add_f64 v[76:77], v[76:77], -v[120:121]
	s_waitcnt lgkmcnt(1)
	v_mul_f64 v[120:121], v[162:163], v[122:123]
	v_fma_f64 v[120:121], v[160:161], v[170:171], -v[120:121]
	v_mul_f64 v[160:161], v[160:161], v[122:123]
	v_fmac_f64_e32 v[160:161], v[162:163], v[170:171]
	s_waitcnt vmcnt(19)
	v_add_f64 v[72:73], v[72:73], -v[120:121]
	v_add_f64 v[74:75], v[74:75], -v[160:161]
	ds_read2_b64 v[160:163], v172 offset0:44 offset1:45
	s_waitcnt lgkmcnt(1)
	v_mul_f64 v[120:121], v[178:179], v[122:123]
	v_fma_f64 v[120:121], v[176:177], v[170:171], -v[120:121]
	v_mul_f64 v[176:177], v[176:177], v[122:123]
	v_fmac_f64_e32 v[176:177], v[178:179], v[170:171]
	s_waitcnt vmcnt(18)
	v_add_f64 v[70:71], v[70:71], -v[176:177]
	ds_read2_b64 v[176:179], v172 offset0:46 offset1:47
	v_add_f64 v[68:69], v[68:69], -v[120:121]
	s_waitcnt lgkmcnt(1)
	v_mul_f64 v[120:121], v[162:163], v[122:123]
	v_fma_f64 v[120:121], v[160:161], v[170:171], -v[120:121]
	v_mul_f64 v[160:161], v[160:161], v[122:123]
	v_fmac_f64_e32 v[160:161], v[162:163], v[170:171]
	s_waitcnt vmcnt(17)
	v_add_f64 v[64:65], v[64:65], -v[120:121]
	v_add_f64 v[66:67], v[66:67], -v[160:161]
	ds_read2_b64 v[160:163], v172 offset0:48 offset1:49
	s_waitcnt lgkmcnt(1)
	v_mul_f64 v[120:121], v[178:179], v[122:123]
	v_fma_f64 v[120:121], v[176:177], v[170:171], -v[120:121]
	v_mul_f64 v[176:177], v[176:177], v[122:123]
	v_fmac_f64_e32 v[176:177], v[178:179], v[170:171]
	s_waitcnt vmcnt(16)
	v_add_f64 v[62:63], v[62:63], -v[176:177]
	ds_read2_b64 v[176:179], v172 offset0:50 offset1:51
	v_add_f64 v[60:61], v[60:61], -v[120:121]
	s_waitcnt lgkmcnt(1)
	v_mul_f64 v[120:121], v[162:163], v[122:123]
	v_fma_f64 v[120:121], v[160:161], v[170:171], -v[120:121]
	v_mul_f64 v[160:161], v[160:161], v[122:123]
	v_fmac_f64_e32 v[160:161], v[162:163], v[170:171]
	s_waitcnt vmcnt(15)
	v_add_f64 v[56:57], v[56:57], -v[120:121]
	v_add_f64 v[58:59], v[58:59], -v[160:161]
	ds_read2_b64 v[160:163], v172 offset0:52 offset1:53
	s_waitcnt lgkmcnt(1)
	v_mul_f64 v[120:121], v[178:179], v[122:123]
	v_fma_f64 v[120:121], v[176:177], v[170:171], -v[120:121]
	v_mul_f64 v[176:177], v[176:177], v[122:123]
	v_fmac_f64_e32 v[176:177], v[178:179], v[170:171]
	s_waitcnt vmcnt(14)
	v_add_f64 v[54:55], v[54:55], -v[176:177]
	ds_read2_b64 v[176:179], v172 offset0:54 offset1:55
	v_add_f64 v[52:53], v[52:53], -v[120:121]
	s_waitcnt lgkmcnt(1)
	v_mul_f64 v[120:121], v[162:163], v[122:123]
	v_fma_f64 v[120:121], v[160:161], v[170:171], -v[120:121]
	v_mul_f64 v[160:161], v[160:161], v[122:123]
	v_fmac_f64_e32 v[160:161], v[162:163], v[170:171]
	s_waitcnt vmcnt(13)
	v_add_f64 v[48:49], v[48:49], -v[120:121]
	v_add_f64 v[50:51], v[50:51], -v[160:161]
	ds_read2_b64 v[160:163], v172 offset0:56 offset1:57
	s_waitcnt lgkmcnt(1)
	v_mul_f64 v[120:121], v[178:179], v[122:123]
	v_fma_f64 v[120:121], v[176:177], v[170:171], -v[120:121]
	v_mul_f64 v[176:177], v[176:177], v[122:123]
	v_fmac_f64_e32 v[176:177], v[178:179], v[170:171]
	s_waitcnt vmcnt(12)
	v_add_f64 v[46:47], v[46:47], -v[176:177]
	ds_read2_b64 v[176:179], v172 offset0:58 offset1:59
	v_add_f64 v[44:45], v[44:45], -v[120:121]
	s_waitcnt lgkmcnt(1)
	v_mul_f64 v[120:121], v[162:163], v[122:123]
	v_fma_f64 v[120:121], v[160:161], v[170:171], -v[120:121]
	v_mul_f64 v[160:161], v[160:161], v[122:123]
	v_fmac_f64_e32 v[160:161], v[162:163], v[170:171]
	s_waitcnt vmcnt(11)
	v_add_f64 v[40:41], v[40:41], -v[120:121]
	v_add_f64 v[42:43], v[42:43], -v[160:161]
	ds_read2_b64 v[160:163], v172 offset0:60 offset1:61
	s_waitcnt lgkmcnt(1)
	v_mul_f64 v[120:121], v[178:179], v[122:123]
	v_fma_f64 v[120:121], v[176:177], v[170:171], -v[120:121]
	v_mul_f64 v[176:177], v[176:177], v[122:123]
	v_fmac_f64_e32 v[176:177], v[178:179], v[170:171]
	s_waitcnt vmcnt(10)
	v_add_f64 v[38:39], v[38:39], -v[176:177]
	ds_read2_b64 v[176:179], v172 offset0:62 offset1:63
	v_add_f64 v[36:37], v[36:37], -v[120:121]
	s_waitcnt lgkmcnt(1)
	v_mul_f64 v[120:121], v[162:163], v[122:123]
	v_fma_f64 v[120:121], v[160:161], v[170:171], -v[120:121]
	v_mul_f64 v[160:161], v[160:161], v[122:123]
	v_fmac_f64_e32 v[160:161], v[162:163], v[170:171]
	s_waitcnt vmcnt(9)
	v_add_f64 v[32:33], v[32:33], -v[120:121]
	v_add_f64 v[34:35], v[34:35], -v[160:161]
	ds_read2_b64 v[160:163], v172 offset0:64 offset1:65
	s_waitcnt lgkmcnt(1)
	v_mul_f64 v[120:121], v[178:179], v[122:123]
	v_fma_f64 v[120:121], v[176:177], v[170:171], -v[120:121]
	v_mul_f64 v[176:177], v[176:177], v[122:123]
	v_fmac_f64_e32 v[176:177], v[178:179], v[170:171]
	s_waitcnt vmcnt(8)
	v_add_f64 v[30:31], v[30:31], -v[176:177]
	ds_read2_b64 v[176:179], v172 offset0:66 offset1:67
	v_add_f64 v[28:29], v[28:29], -v[120:121]
	s_waitcnt lgkmcnt(1)
	v_mul_f64 v[120:121], v[162:163], v[122:123]
	v_fma_f64 v[120:121], v[160:161], v[170:171], -v[120:121]
	v_mul_f64 v[160:161], v[160:161], v[122:123]
	v_fmac_f64_e32 v[160:161], v[162:163], v[170:171]
	s_waitcnt vmcnt(7)
	v_add_f64 v[24:25], v[24:25], -v[120:121]
	v_add_f64 v[26:27], v[26:27], -v[160:161]
	ds_read2_b64 v[160:163], v172 offset0:68 offset1:69
	s_waitcnt lgkmcnt(1)
	v_mul_f64 v[120:121], v[178:179], v[122:123]
	v_fma_f64 v[120:121], v[176:177], v[170:171], -v[120:121]
	v_mul_f64 v[176:177], v[176:177], v[122:123]
	v_fmac_f64_e32 v[176:177], v[178:179], v[170:171]
	s_waitcnt vmcnt(6)
	v_add_f64 v[22:23], v[22:23], -v[176:177]
	ds_read2_b64 v[176:179], v172 offset0:70 offset1:71
	v_add_f64 v[20:21], v[20:21], -v[120:121]
	s_waitcnt lgkmcnt(1)
	v_mul_f64 v[120:121], v[162:163], v[122:123]
	v_fma_f64 v[120:121], v[160:161], v[170:171], -v[120:121]
	v_mul_f64 v[160:161], v[160:161], v[122:123]
	v_fmac_f64_e32 v[160:161], v[162:163], v[170:171]
	s_waitcnt vmcnt(5)
	v_add_f64 v[16:17], v[16:17], -v[120:121]
	v_add_f64 v[18:19], v[18:19], -v[160:161]
	ds_read2_b64 v[160:163], v172 offset0:72 offset1:73
	s_waitcnt lgkmcnt(1)
	v_mul_f64 v[120:121], v[178:179], v[122:123]
	v_fma_f64 v[120:121], v[176:177], v[170:171], -v[120:121]
	v_mul_f64 v[176:177], v[176:177], v[122:123]
	v_fmac_f64_e32 v[176:177], v[178:179], v[170:171]
	s_waitcnt vmcnt(4)
	v_add_f64 v[14:15], v[14:15], -v[176:177]
	ds_read2_b64 v[176:179], v172 offset0:74 offset1:75
	v_add_f64 v[12:13], v[12:13], -v[120:121]
	s_waitcnt lgkmcnt(1)
	v_mul_f64 v[120:121], v[162:163], v[122:123]
	v_fma_f64 v[120:121], v[160:161], v[170:171], -v[120:121]
	v_mul_f64 v[160:161], v[160:161], v[122:123]
	v_fmac_f64_e32 v[160:161], v[162:163], v[170:171]
	s_waitcnt vmcnt(3)
	v_add_f64 v[8:9], v[8:9], -v[120:121]
	v_add_f64 v[10:11], v[10:11], -v[160:161]
	ds_read2_b64 v[160:163], v172 offset0:76 offset1:77
	s_waitcnt lgkmcnt(1)
	v_mul_f64 v[120:121], v[178:179], v[122:123]
	v_fma_f64 v[120:121], v[176:177], v[170:171], -v[120:121]
	v_mul_f64 v[176:177], v[176:177], v[122:123]
	v_fmac_f64_e32 v[176:177], v[178:179], v[170:171]
	s_waitcnt vmcnt(2)
	v_add_f64 v[6:7], v[6:7], -v[176:177]
	ds_read2_b64 v[176:179], v172 offset0:78 offset1:79
	v_add_f64 v[4:5], v[4:5], -v[120:121]
	s_waitcnt lgkmcnt(1)
	v_mul_f64 v[120:121], v[162:163], v[122:123]
	v_fma_f64 v[120:121], v[160:161], v[170:171], -v[120:121]
	v_mul_f64 v[160:161], v[160:161], v[122:123]
	v_fmac_f64_e32 v[160:161], v[162:163], v[170:171]
	s_waitcnt vmcnt(1)
	v_add_f64 v[0:1], v[0:1], -v[120:121]
	v_add_f64 v[2:3], v[2:3], -v[160:161]
	s_waitcnt lgkmcnt(0)
	v_mul_f64 v[120:121], v[178:179], v[122:123]
	v_mul_f64 v[160:161], v[176:177], v[122:123]
	v_fma_f64 v[120:121], v[176:177], v[170:171], -v[120:121]
	v_fmac_f64_e32 v[160:161], v[178:179], v[170:171]
	s_waitcnt vmcnt(0)
	v_add_f64 v[156:157], v[156:157], -v[120:121]
	v_add_f64 v[158:159], v[158:159], -v[160:161]
	v_mov_b64_e32 v[120:121], v[170:171]
.LBB78_230:
	s_or_b64 exec, exec, s[0:1]
	v_lshl_add_u32 v160, v173, 4, v172
	s_barrier
	s_waitcnt vmcnt(28)
	ds_write2_b64 v160, v[116:117], v[118:119] offset1:1
	s_waitcnt lgkmcnt(0)
	s_barrier
	ds_read2_b64 v[160:163], v172 offset0:22 offset1:23
	s_cmp_lt_i32 s20, 13
	v_mov_b32_e32 v170, 11
	s_cbranch_scc1 .LBB78_233
; %bb.231:
	v_add_u32_e32 v171, 0xc0, v172
	s_mov_b32 s16, 12
	v_mov_b32_e32 v170, 11
.LBB78_232:                             ; =>This Inner Loop Header: Depth=1
	ds_read2_b64 v[176:179], v171 offset1:1
	s_waitcnt lgkmcnt(1)
	v_xor_b32_e32 v181, 0x80000000, v161
	v_xor_b32_e32 v183, 0x80000000, v163
	v_cmp_gt_f64_e32 vcc, 0, v[162:163]
	v_cmp_gt_f64_e64 s[0:1], 0, v[160:161]
	v_mov_b32_e32 v180, v160
	v_mov_b32_e32 v182, v162
	v_cndmask_b32_e64 v181, v161, v181, s[0:1]
	v_cndmask_b32_e32 v183, v163, v183, vcc
	v_add_f64 v[180:181], v[180:181], v[182:183]
	s_waitcnt lgkmcnt(0)
	v_xor_b32_e32 v183, 0x80000000, v177
	v_xor_b32_e32 v185, 0x80000000, v179
	v_cmp_gt_f64_e32 vcc, 0, v[178:179]
	v_cmp_gt_f64_e64 s[0:1], 0, v[176:177]
	v_mov_b32_e32 v182, v176
	v_mov_b32_e32 v184, v178
	v_cndmask_b32_e64 v183, v177, v183, s[0:1]
	v_cndmask_b32_e32 v185, v179, v185, vcc
	v_add_f64 v[182:183], v[182:183], v[184:185]
	v_mov_b32_e32 v186, s16
	s_add_i32 s16, s16, 1
	v_cmp_lt_f64_e32 vcc, v[180:181], v[182:183]
	v_add_u32_e32 v171, 16, v171
	s_cmp_lg_u32 s20, s16
	v_cndmask_b32_e32 v161, v161, v177, vcc
	v_cndmask_b32_e32 v160, v160, v176, vcc
	;; [unrolled: 1-line block ×5, first 2 shown]
	s_cbranch_scc1 .LBB78_232
.LBB78_233:
	s_waitcnt lgkmcnt(0)
	v_cmp_eq_f64_e32 vcc, 0, v[160:161]
	v_cmp_eq_f64_e64 s[0:1], 0, v[162:163]
	s_and_b64 s[0:1], vcc, s[0:1]
	s_and_saveexec_b64 s[16:17], s[0:1]
	s_xor_b64 s[0:1], exec, s[16:17]
; %bb.234:
	v_cmp_ne_u32_e32 vcc, 0, v174
	s_nop 1
	v_cndmask_b32_e32 v174, 12, v174, vcc
; %bb.235:
	s_andn2_saveexec_b64 s[0:1], s[0:1]
	s_cbranch_execz .LBB78_241
; %bb.236:
	v_cmp_ngt_f64_e64 s[16:17], |v[160:161]|, |v[162:163]|
	s_and_saveexec_b64 s[18:19], s[16:17]
	s_xor_b64 s[16:17], exec, s[18:19]
	s_cbranch_execz .LBB78_238
; %bb.237:
	v_div_scale_f64 v[176:177], s[18:19], v[162:163], v[162:163], v[160:161]
	v_rcp_f64_e32 v[178:179], v[176:177]
	v_div_scale_f64 v[180:181], vcc, v[160:161], v[162:163], v[160:161]
	v_fma_f64 v[182:183], -v[176:177], v[178:179], 1.0
	v_fmac_f64_e32 v[178:179], v[178:179], v[182:183]
	v_fma_f64 v[182:183], -v[176:177], v[178:179], 1.0
	v_fmac_f64_e32 v[178:179], v[178:179], v[182:183]
	v_mul_f64 v[182:183], v[180:181], v[178:179]
	v_fma_f64 v[176:177], -v[176:177], v[182:183], v[180:181]
	v_div_fmas_f64 v[176:177], v[176:177], v[178:179], v[182:183]
	v_div_fixup_f64 v[176:177], v[176:177], v[162:163], v[160:161]
	v_fmac_f64_e32 v[162:163], v[160:161], v[176:177]
	v_div_scale_f64 v[160:161], s[18:19], v[162:163], v[162:163], 1.0
	v_rcp_f64_e32 v[178:179], v[160:161]
	s_nop 0
	v_fma_f64 v[180:181], -v[160:161], v[178:179], 1.0
	v_fmac_f64_e32 v[178:179], v[178:179], v[180:181]
	v_fma_f64 v[180:181], -v[160:161], v[178:179], 1.0
	v_fmac_f64_e32 v[178:179], v[178:179], v[180:181]
	v_div_scale_f64 v[180:181], vcc, 1.0, v[162:163], 1.0
	v_mul_f64 v[182:183], v[180:181], v[178:179]
	v_fma_f64 v[160:161], -v[160:161], v[182:183], v[180:181]
	s_nop 1
	v_div_fmas_f64 v[160:161], v[160:161], v[178:179], v[182:183]
	v_div_fixup_f64 v[162:163], v[160:161], v[162:163], 1.0
	v_mul_f64 v[160:161], v[176:177], v[162:163]
	v_xor_b32_e32 v163, 0x80000000, v163
.LBB78_238:
	s_andn2_saveexec_b64 s[16:17], s[16:17]
	s_cbranch_execz .LBB78_240
; %bb.239:
	v_div_scale_f64 v[176:177], s[18:19], v[160:161], v[160:161], v[162:163]
	v_rcp_f64_e32 v[178:179], v[176:177]
	v_div_scale_f64 v[180:181], vcc, v[162:163], v[160:161], v[162:163]
	v_fma_f64 v[182:183], -v[176:177], v[178:179], 1.0
	v_fmac_f64_e32 v[178:179], v[178:179], v[182:183]
	v_fma_f64 v[182:183], -v[176:177], v[178:179], 1.0
	v_fmac_f64_e32 v[178:179], v[178:179], v[182:183]
	v_mul_f64 v[182:183], v[180:181], v[178:179]
	v_fma_f64 v[176:177], -v[176:177], v[182:183], v[180:181]
	v_div_fmas_f64 v[176:177], v[176:177], v[178:179], v[182:183]
	v_div_fixup_f64 v[176:177], v[176:177], v[160:161], v[162:163]
	v_fmac_f64_e32 v[160:161], v[162:163], v[176:177]
	v_div_scale_f64 v[162:163], s[18:19], v[160:161], v[160:161], 1.0
	v_rcp_f64_e32 v[178:179], v[162:163]
	s_nop 0
	v_fma_f64 v[180:181], -v[162:163], v[178:179], 1.0
	v_fmac_f64_e32 v[178:179], v[178:179], v[180:181]
	v_fma_f64 v[180:181], -v[162:163], v[178:179], 1.0
	v_fmac_f64_e32 v[178:179], v[178:179], v[180:181]
	v_div_scale_f64 v[180:181], vcc, 1.0, v[160:161], 1.0
	v_mul_f64 v[182:183], v[180:181], v[178:179]
	v_fma_f64 v[162:163], -v[162:163], v[182:183], v[180:181]
	s_nop 1
	v_div_fmas_f64 v[162:163], v[162:163], v[178:179], v[182:183]
	v_div_fixup_f64 v[160:161], v[162:163], v[160:161], 1.0
	v_mul_f64 v[162:163], v[176:177], -v[160:161]
.LBB78_240:
	s_or_b64 exec, exec, s[16:17]
.LBB78_241:
	s_or_b64 exec, exec, s[0:1]
	v_cmp_ne_u32_e32 vcc, v173, v170
	s_and_saveexec_b64 s[0:1], vcc
	s_xor_b64 s[0:1], exec, s[0:1]
	s_cbranch_execz .LBB78_247
; %bb.242:
	v_cmp_eq_u32_e32 vcc, 11, v173
	s_and_saveexec_b64 s[16:17], vcc
	s_cbranch_execz .LBB78_246
; %bb.243:
	v_cmp_ne_u32_e32 vcc, 11, v170
	s_xor_b64 s[18:19], s[14:15], -1
	s_and_b64 s[22:23], s[18:19], vcc
	s_and_saveexec_b64 s[18:19], s[22:23]
	s_cbranch_execz .LBB78_245
; %bb.244:
	v_ashrrev_i32_e32 v171, 31, v170
	v_lshl_add_u64 v[176:177], v[170:171], 2, v[168:169]
	global_load_dword v171, v[176:177], off
	global_load_dword v173, v[168:169], off offset:44
	s_waitcnt vmcnt(1)
	global_store_dword v[168:169], v171, off offset:44
	s_waitcnt vmcnt(1)
	global_store_dword v[176:177], v173, off
.LBB78_245:
	s_or_b64 exec, exec, s[18:19]
	v_mov_b32_e32 v173, v170
	v_mov_b32_e32 v175, v170
.LBB78_246:
	s_or_b64 exec, exec, s[16:17]
.LBB78_247:
	s_andn2_saveexec_b64 s[0:1], s[0:1]
	s_cbranch_execz .LBB78_249
; %bb.248:
	v_mov_b32_e32 v173, 11
	s_waitcnt vmcnt(27)
	ds_write2_b64 v172, v[112:113], v[114:115] offset0:24 offset1:25
	s_waitcnt vmcnt(26)
	ds_write2_b64 v172, v[108:109], v[110:111] offset0:26 offset1:27
	;; [unrolled: 2-line block ×28, first 2 shown]
.LBB78_249:
	s_or_b64 exec, exec, s[0:1]
	v_cmp_lt_i32_e32 vcc, 11, v173
	s_waitcnt lgkmcnt(0)
	s_barrier
	s_and_saveexec_b64 s[0:1], vcc
	s_cbranch_execz .LBB78_251
; %bb.250:
	ds_read2_b64 v[176:179], v172 offset0:24 offset1:25
	v_mul_f64 v[170:171], v[162:163], v[118:119]
	v_mul_f64 v[118:119], v[160:161], v[118:119]
	v_fma_f64 v[170:171], v[160:161], v[116:117], -v[170:171]
	v_fmac_f64_e32 v[118:119], v[162:163], v[116:117]
	ds_read2_b64 v[160:163], v172 offset0:26 offset1:27
	s_waitcnt lgkmcnt(1)
	v_mul_f64 v[116:117], v[178:179], v[118:119]
	v_fma_f64 v[116:117], v[176:177], v[170:171], -v[116:117]
	v_mul_f64 v[176:177], v[176:177], v[118:119]
	v_fmac_f64_e32 v[176:177], v[178:179], v[170:171]
	s_waitcnt vmcnt(27)
	v_add_f64 v[112:113], v[112:113], -v[116:117]
	s_waitcnt lgkmcnt(0)
	v_mul_f64 v[116:117], v[162:163], v[118:119]
	v_add_f64 v[114:115], v[114:115], -v[176:177]
	v_fma_f64 v[116:117], v[160:161], v[170:171], -v[116:117]
	v_mul_f64 v[160:161], v[160:161], v[118:119]
	ds_read2_b64 v[176:179], v172 offset0:28 offset1:29
	v_fmac_f64_e32 v[160:161], v[162:163], v[170:171]
	s_waitcnt vmcnt(26)
	v_add_f64 v[110:111], v[110:111], -v[160:161]
	ds_read2_b64 v[160:163], v172 offset0:30 offset1:31
	v_add_f64 v[108:109], v[108:109], -v[116:117]
	s_waitcnt lgkmcnt(1)
	v_mul_f64 v[116:117], v[178:179], v[118:119]
	v_fma_f64 v[116:117], v[176:177], v[170:171], -v[116:117]
	v_mul_f64 v[176:177], v[176:177], v[118:119]
	v_fmac_f64_e32 v[176:177], v[178:179], v[170:171]
	s_waitcnt vmcnt(25)
	v_add_f64 v[100:101], v[100:101], -v[116:117]
	s_waitcnt lgkmcnt(0)
	v_mul_f64 v[116:117], v[162:163], v[118:119]
	v_add_f64 v[102:103], v[102:103], -v[176:177]
	v_fma_f64 v[116:117], v[160:161], v[170:171], -v[116:117]
	v_mul_f64 v[160:161], v[160:161], v[118:119]
	ds_read2_b64 v[176:179], v172 offset0:32 offset1:33
	v_fmac_f64_e32 v[160:161], v[162:163], v[170:171]
	s_waitcnt vmcnt(24)
	v_add_f64 v[94:95], v[94:95], -v[160:161]
	ds_read2_b64 v[160:163], v172 offset0:34 offset1:35
	v_add_f64 v[92:93], v[92:93], -v[116:117]
	;; [unrolled: 18-line block ×13, first 2 shown]
	s_waitcnt lgkmcnt(1)
	v_mul_f64 v[116:117], v[178:179], v[118:119]
	v_fma_f64 v[116:117], v[176:177], v[170:171], -v[116:117]
	s_waitcnt vmcnt(1)
	v_add_f64 v[0:1], v[0:1], -v[116:117]
	s_waitcnt lgkmcnt(0)
	v_mul_f64 v[116:117], v[162:163], v[118:119]
	v_mul_f64 v[176:177], v[176:177], v[118:119]
	v_fma_f64 v[116:117], v[160:161], v[170:171], -v[116:117]
	v_mul_f64 v[160:161], v[160:161], v[118:119]
	v_fmac_f64_e32 v[176:177], v[178:179], v[170:171]
	v_fmac_f64_e32 v[160:161], v[162:163], v[170:171]
	v_add_f64 v[2:3], v[2:3], -v[176:177]
	s_waitcnt vmcnt(0)
	v_add_f64 v[156:157], v[156:157], -v[116:117]
	v_add_f64 v[158:159], v[158:159], -v[160:161]
	v_mov_b64_e32 v[116:117], v[170:171]
.LBB78_251:
	s_or_b64 exec, exec, s[0:1]
	v_lshl_add_u32 v160, v173, 4, v172
	s_barrier
	s_waitcnt vmcnt(27)
	ds_write2_b64 v160, v[112:113], v[114:115] offset1:1
	s_waitcnt lgkmcnt(0)
	s_barrier
	ds_read2_b64 v[160:163], v172 offset0:24 offset1:25
	s_cmp_lt_i32 s20, 14
	v_mov_b32_e32 v170, 12
	s_cbranch_scc1 .LBB78_254
; %bb.252:
	v_add_u32_e32 v171, 0xd0, v172
	s_mov_b32 s16, 13
	v_mov_b32_e32 v170, 12
.LBB78_253:                             ; =>This Inner Loop Header: Depth=1
	ds_read2_b64 v[176:179], v171 offset1:1
	s_waitcnt lgkmcnt(1)
	v_xor_b32_e32 v181, 0x80000000, v161
	v_xor_b32_e32 v183, 0x80000000, v163
	v_cmp_gt_f64_e32 vcc, 0, v[162:163]
	v_cmp_gt_f64_e64 s[0:1], 0, v[160:161]
	v_mov_b32_e32 v180, v160
	v_mov_b32_e32 v182, v162
	v_cndmask_b32_e64 v181, v161, v181, s[0:1]
	v_cndmask_b32_e32 v183, v163, v183, vcc
	v_add_f64 v[180:181], v[180:181], v[182:183]
	s_waitcnt lgkmcnt(0)
	v_xor_b32_e32 v183, 0x80000000, v177
	v_xor_b32_e32 v185, 0x80000000, v179
	v_cmp_gt_f64_e32 vcc, 0, v[178:179]
	v_cmp_gt_f64_e64 s[0:1], 0, v[176:177]
	v_mov_b32_e32 v182, v176
	v_mov_b32_e32 v184, v178
	v_cndmask_b32_e64 v183, v177, v183, s[0:1]
	v_cndmask_b32_e32 v185, v179, v185, vcc
	v_add_f64 v[182:183], v[182:183], v[184:185]
	v_mov_b32_e32 v186, s16
	s_add_i32 s16, s16, 1
	v_cmp_lt_f64_e32 vcc, v[180:181], v[182:183]
	v_add_u32_e32 v171, 16, v171
	s_cmp_lg_u32 s20, s16
	v_cndmask_b32_e32 v161, v161, v177, vcc
	v_cndmask_b32_e32 v160, v160, v176, vcc
	;; [unrolled: 1-line block ×5, first 2 shown]
	s_cbranch_scc1 .LBB78_253
.LBB78_254:
	s_waitcnt lgkmcnt(0)
	v_cmp_eq_f64_e32 vcc, 0, v[160:161]
	v_cmp_eq_f64_e64 s[0:1], 0, v[162:163]
	s_and_b64 s[0:1], vcc, s[0:1]
	s_and_saveexec_b64 s[16:17], s[0:1]
	s_xor_b64 s[0:1], exec, s[16:17]
; %bb.255:
	v_cmp_ne_u32_e32 vcc, 0, v174
	s_nop 1
	v_cndmask_b32_e32 v174, 13, v174, vcc
; %bb.256:
	s_andn2_saveexec_b64 s[0:1], s[0:1]
	s_cbranch_execz .LBB78_262
; %bb.257:
	v_cmp_ngt_f64_e64 s[16:17], |v[160:161]|, |v[162:163]|
	s_and_saveexec_b64 s[18:19], s[16:17]
	s_xor_b64 s[16:17], exec, s[18:19]
	s_cbranch_execz .LBB78_259
; %bb.258:
	v_div_scale_f64 v[176:177], s[18:19], v[162:163], v[162:163], v[160:161]
	v_rcp_f64_e32 v[178:179], v[176:177]
	v_div_scale_f64 v[180:181], vcc, v[160:161], v[162:163], v[160:161]
	v_fma_f64 v[182:183], -v[176:177], v[178:179], 1.0
	v_fmac_f64_e32 v[178:179], v[178:179], v[182:183]
	v_fma_f64 v[182:183], -v[176:177], v[178:179], 1.0
	v_fmac_f64_e32 v[178:179], v[178:179], v[182:183]
	v_mul_f64 v[182:183], v[180:181], v[178:179]
	v_fma_f64 v[176:177], -v[176:177], v[182:183], v[180:181]
	v_div_fmas_f64 v[176:177], v[176:177], v[178:179], v[182:183]
	v_div_fixup_f64 v[176:177], v[176:177], v[162:163], v[160:161]
	v_fmac_f64_e32 v[162:163], v[160:161], v[176:177]
	v_div_scale_f64 v[160:161], s[18:19], v[162:163], v[162:163], 1.0
	v_rcp_f64_e32 v[178:179], v[160:161]
	s_nop 0
	v_fma_f64 v[180:181], -v[160:161], v[178:179], 1.0
	v_fmac_f64_e32 v[178:179], v[178:179], v[180:181]
	v_fma_f64 v[180:181], -v[160:161], v[178:179], 1.0
	v_fmac_f64_e32 v[178:179], v[178:179], v[180:181]
	v_div_scale_f64 v[180:181], vcc, 1.0, v[162:163], 1.0
	v_mul_f64 v[182:183], v[180:181], v[178:179]
	v_fma_f64 v[160:161], -v[160:161], v[182:183], v[180:181]
	s_nop 1
	v_div_fmas_f64 v[160:161], v[160:161], v[178:179], v[182:183]
	v_div_fixup_f64 v[162:163], v[160:161], v[162:163], 1.0
	v_mul_f64 v[160:161], v[176:177], v[162:163]
	v_xor_b32_e32 v163, 0x80000000, v163
.LBB78_259:
	s_andn2_saveexec_b64 s[16:17], s[16:17]
	s_cbranch_execz .LBB78_261
; %bb.260:
	v_div_scale_f64 v[176:177], s[18:19], v[160:161], v[160:161], v[162:163]
	v_rcp_f64_e32 v[178:179], v[176:177]
	v_div_scale_f64 v[180:181], vcc, v[162:163], v[160:161], v[162:163]
	v_fma_f64 v[182:183], -v[176:177], v[178:179], 1.0
	v_fmac_f64_e32 v[178:179], v[178:179], v[182:183]
	v_fma_f64 v[182:183], -v[176:177], v[178:179], 1.0
	v_fmac_f64_e32 v[178:179], v[178:179], v[182:183]
	v_mul_f64 v[182:183], v[180:181], v[178:179]
	v_fma_f64 v[176:177], -v[176:177], v[182:183], v[180:181]
	v_div_fmas_f64 v[176:177], v[176:177], v[178:179], v[182:183]
	v_div_fixup_f64 v[176:177], v[176:177], v[160:161], v[162:163]
	v_fmac_f64_e32 v[160:161], v[162:163], v[176:177]
	v_div_scale_f64 v[162:163], s[18:19], v[160:161], v[160:161], 1.0
	v_rcp_f64_e32 v[178:179], v[162:163]
	s_nop 0
	v_fma_f64 v[180:181], -v[162:163], v[178:179], 1.0
	v_fmac_f64_e32 v[178:179], v[178:179], v[180:181]
	v_fma_f64 v[180:181], -v[162:163], v[178:179], 1.0
	v_fmac_f64_e32 v[178:179], v[178:179], v[180:181]
	v_div_scale_f64 v[180:181], vcc, 1.0, v[160:161], 1.0
	v_mul_f64 v[182:183], v[180:181], v[178:179]
	v_fma_f64 v[162:163], -v[162:163], v[182:183], v[180:181]
	s_nop 1
	v_div_fmas_f64 v[162:163], v[162:163], v[178:179], v[182:183]
	v_div_fixup_f64 v[160:161], v[162:163], v[160:161], 1.0
	v_mul_f64 v[162:163], v[176:177], -v[160:161]
.LBB78_261:
	s_or_b64 exec, exec, s[16:17]
.LBB78_262:
	s_or_b64 exec, exec, s[0:1]
	v_cmp_ne_u32_e32 vcc, v173, v170
	s_and_saveexec_b64 s[0:1], vcc
	s_xor_b64 s[0:1], exec, s[0:1]
	s_cbranch_execz .LBB78_268
; %bb.263:
	v_cmp_eq_u32_e32 vcc, 12, v173
	s_and_saveexec_b64 s[16:17], vcc
	s_cbranch_execz .LBB78_267
; %bb.264:
	v_cmp_ne_u32_e32 vcc, 12, v170
	s_xor_b64 s[18:19], s[14:15], -1
	s_and_b64 s[22:23], s[18:19], vcc
	s_and_saveexec_b64 s[18:19], s[22:23]
	s_cbranch_execz .LBB78_266
; %bb.265:
	v_ashrrev_i32_e32 v171, 31, v170
	v_lshl_add_u64 v[176:177], v[170:171], 2, v[168:169]
	global_load_dword v171, v[176:177], off
	global_load_dword v173, v[168:169], off offset:48
	s_waitcnt vmcnt(1)
	global_store_dword v[168:169], v171, off offset:48
	s_waitcnt vmcnt(1)
	global_store_dword v[176:177], v173, off
.LBB78_266:
	s_or_b64 exec, exec, s[18:19]
	v_mov_b32_e32 v173, v170
	v_mov_b32_e32 v175, v170
.LBB78_267:
	s_or_b64 exec, exec, s[16:17]
.LBB78_268:
	s_andn2_saveexec_b64 s[0:1], s[0:1]
	s_cbranch_execz .LBB78_270
; %bb.269:
	v_mov_b32_e32 v173, 12
	s_waitcnt vmcnt(26)
	ds_write2_b64 v172, v[108:109], v[110:111] offset0:26 offset1:27
	s_waitcnt vmcnt(25)
	ds_write2_b64 v172, v[100:101], v[102:103] offset0:28 offset1:29
	;; [unrolled: 2-line block ×27, first 2 shown]
.LBB78_270:
	s_or_b64 exec, exec, s[0:1]
	v_cmp_lt_i32_e32 vcc, 12, v173
	s_waitcnt lgkmcnt(0)
	s_barrier
	s_and_saveexec_b64 s[0:1], vcc
	s_cbranch_execz .LBB78_272
; %bb.271:
	ds_read2_b64 v[176:179], v172 offset0:26 offset1:27
	v_mul_f64 v[170:171], v[162:163], v[114:115]
	v_mul_f64 v[114:115], v[160:161], v[114:115]
	v_fmac_f64_e32 v[114:115], v[162:163], v[112:113]
	v_fma_f64 v[170:171], v[160:161], v[112:113], -v[170:171]
	ds_read2_b64 v[160:163], v172 offset0:28 offset1:29
	s_waitcnt lgkmcnt(1)
	v_mul_f64 v[112:113], v[178:179], v[114:115]
	v_fma_f64 v[112:113], v[176:177], v[170:171], -v[112:113]
	v_mul_f64 v[176:177], v[176:177], v[114:115]
	v_fmac_f64_e32 v[176:177], v[178:179], v[170:171]
	s_waitcnt vmcnt(26)
	v_add_f64 v[110:111], v[110:111], -v[176:177]
	ds_read2_b64 v[176:179], v172 offset0:30 offset1:31
	v_add_f64 v[108:109], v[108:109], -v[112:113]
	s_waitcnt lgkmcnt(1)
	v_mul_f64 v[112:113], v[162:163], v[114:115]
	v_fma_f64 v[112:113], v[160:161], v[170:171], -v[112:113]
	v_mul_f64 v[160:161], v[160:161], v[114:115]
	v_fmac_f64_e32 v[160:161], v[162:163], v[170:171]
	s_waitcnt vmcnt(25)
	v_add_f64 v[100:101], v[100:101], -v[112:113]
	v_add_f64 v[102:103], v[102:103], -v[160:161]
	ds_read2_b64 v[160:163], v172 offset0:32 offset1:33
	s_waitcnt lgkmcnt(1)
	v_mul_f64 v[112:113], v[178:179], v[114:115]
	v_fma_f64 v[112:113], v[176:177], v[170:171], -v[112:113]
	v_mul_f64 v[176:177], v[176:177], v[114:115]
	v_fmac_f64_e32 v[176:177], v[178:179], v[170:171]
	s_waitcnt vmcnt(24)
	v_add_f64 v[94:95], v[94:95], -v[176:177]
	ds_read2_b64 v[176:179], v172 offset0:34 offset1:35
	v_add_f64 v[92:93], v[92:93], -v[112:113]
	s_waitcnt lgkmcnt(1)
	v_mul_f64 v[112:113], v[162:163], v[114:115]
	v_fma_f64 v[112:113], v[160:161], v[170:171], -v[112:113]
	v_mul_f64 v[160:161], v[160:161], v[114:115]
	v_fmac_f64_e32 v[160:161], v[162:163], v[170:171]
	s_waitcnt vmcnt(23)
	v_add_f64 v[88:89], v[88:89], -v[112:113]
	v_add_f64 v[90:91], v[90:91], -v[160:161]
	;; [unrolled: 18-line block ×13, first 2 shown]
	s_waitcnt lgkmcnt(0)
	v_mul_f64 v[112:113], v[178:179], v[114:115]
	v_mul_f64 v[160:161], v[176:177], v[114:115]
	v_fma_f64 v[112:113], v[176:177], v[170:171], -v[112:113]
	v_fmac_f64_e32 v[160:161], v[178:179], v[170:171]
	s_waitcnt vmcnt(0)
	v_add_f64 v[156:157], v[156:157], -v[112:113]
	v_add_f64 v[158:159], v[158:159], -v[160:161]
	v_mov_b64_e32 v[112:113], v[170:171]
.LBB78_272:
	s_or_b64 exec, exec, s[0:1]
	v_lshl_add_u32 v160, v173, 4, v172
	s_barrier
	s_waitcnt vmcnt(26)
	ds_write2_b64 v160, v[108:109], v[110:111] offset1:1
	s_waitcnt lgkmcnt(0)
	s_barrier
	ds_read2_b64 v[160:163], v172 offset0:26 offset1:27
	s_cmp_lt_i32 s20, 15
	v_mov_b32_e32 v170, 13
	s_cbranch_scc1 .LBB78_275
; %bb.273:
	v_add_u32_e32 v171, 0xe0, v172
	s_mov_b32 s16, 14
	v_mov_b32_e32 v170, 13
.LBB78_274:                             ; =>This Inner Loop Header: Depth=1
	ds_read2_b64 v[176:179], v171 offset1:1
	s_waitcnt lgkmcnt(1)
	v_xor_b32_e32 v181, 0x80000000, v161
	v_xor_b32_e32 v183, 0x80000000, v163
	v_cmp_gt_f64_e32 vcc, 0, v[162:163]
	v_cmp_gt_f64_e64 s[0:1], 0, v[160:161]
	v_mov_b32_e32 v180, v160
	v_mov_b32_e32 v182, v162
	v_cndmask_b32_e64 v181, v161, v181, s[0:1]
	v_cndmask_b32_e32 v183, v163, v183, vcc
	v_add_f64 v[180:181], v[180:181], v[182:183]
	s_waitcnt lgkmcnt(0)
	v_xor_b32_e32 v183, 0x80000000, v177
	v_xor_b32_e32 v185, 0x80000000, v179
	v_cmp_gt_f64_e32 vcc, 0, v[178:179]
	v_cmp_gt_f64_e64 s[0:1], 0, v[176:177]
	v_mov_b32_e32 v182, v176
	v_mov_b32_e32 v184, v178
	v_cndmask_b32_e64 v183, v177, v183, s[0:1]
	v_cndmask_b32_e32 v185, v179, v185, vcc
	v_add_f64 v[182:183], v[182:183], v[184:185]
	v_mov_b32_e32 v186, s16
	s_add_i32 s16, s16, 1
	v_cmp_lt_f64_e32 vcc, v[180:181], v[182:183]
	v_add_u32_e32 v171, 16, v171
	s_cmp_lg_u32 s20, s16
	v_cndmask_b32_e32 v161, v161, v177, vcc
	v_cndmask_b32_e32 v160, v160, v176, vcc
	;; [unrolled: 1-line block ×5, first 2 shown]
	s_cbranch_scc1 .LBB78_274
.LBB78_275:
	s_waitcnt lgkmcnt(0)
	v_cmp_eq_f64_e32 vcc, 0, v[160:161]
	v_cmp_eq_f64_e64 s[0:1], 0, v[162:163]
	s_and_b64 s[0:1], vcc, s[0:1]
	s_and_saveexec_b64 s[16:17], s[0:1]
	s_xor_b64 s[0:1], exec, s[16:17]
; %bb.276:
	v_cmp_ne_u32_e32 vcc, 0, v174
	s_nop 1
	v_cndmask_b32_e32 v174, 14, v174, vcc
; %bb.277:
	s_andn2_saveexec_b64 s[0:1], s[0:1]
	s_cbranch_execz .LBB78_283
; %bb.278:
	v_cmp_ngt_f64_e64 s[16:17], |v[160:161]|, |v[162:163]|
	s_and_saveexec_b64 s[18:19], s[16:17]
	s_xor_b64 s[16:17], exec, s[18:19]
	s_cbranch_execz .LBB78_280
; %bb.279:
	v_div_scale_f64 v[176:177], s[18:19], v[162:163], v[162:163], v[160:161]
	v_rcp_f64_e32 v[178:179], v[176:177]
	v_div_scale_f64 v[180:181], vcc, v[160:161], v[162:163], v[160:161]
	v_fma_f64 v[182:183], -v[176:177], v[178:179], 1.0
	v_fmac_f64_e32 v[178:179], v[178:179], v[182:183]
	v_fma_f64 v[182:183], -v[176:177], v[178:179], 1.0
	v_fmac_f64_e32 v[178:179], v[178:179], v[182:183]
	v_mul_f64 v[182:183], v[180:181], v[178:179]
	v_fma_f64 v[176:177], -v[176:177], v[182:183], v[180:181]
	v_div_fmas_f64 v[176:177], v[176:177], v[178:179], v[182:183]
	v_div_fixup_f64 v[176:177], v[176:177], v[162:163], v[160:161]
	v_fmac_f64_e32 v[162:163], v[160:161], v[176:177]
	v_div_scale_f64 v[160:161], s[18:19], v[162:163], v[162:163], 1.0
	v_rcp_f64_e32 v[178:179], v[160:161]
	s_nop 0
	v_fma_f64 v[180:181], -v[160:161], v[178:179], 1.0
	v_fmac_f64_e32 v[178:179], v[178:179], v[180:181]
	v_fma_f64 v[180:181], -v[160:161], v[178:179], 1.0
	v_fmac_f64_e32 v[178:179], v[178:179], v[180:181]
	v_div_scale_f64 v[180:181], vcc, 1.0, v[162:163], 1.0
	v_mul_f64 v[182:183], v[180:181], v[178:179]
	v_fma_f64 v[160:161], -v[160:161], v[182:183], v[180:181]
	s_nop 1
	v_div_fmas_f64 v[160:161], v[160:161], v[178:179], v[182:183]
	v_div_fixup_f64 v[162:163], v[160:161], v[162:163], 1.0
	v_mul_f64 v[160:161], v[176:177], v[162:163]
	v_xor_b32_e32 v163, 0x80000000, v163
.LBB78_280:
	s_andn2_saveexec_b64 s[16:17], s[16:17]
	s_cbranch_execz .LBB78_282
; %bb.281:
	v_div_scale_f64 v[176:177], s[18:19], v[160:161], v[160:161], v[162:163]
	v_rcp_f64_e32 v[178:179], v[176:177]
	v_div_scale_f64 v[180:181], vcc, v[162:163], v[160:161], v[162:163]
	v_fma_f64 v[182:183], -v[176:177], v[178:179], 1.0
	v_fmac_f64_e32 v[178:179], v[178:179], v[182:183]
	v_fma_f64 v[182:183], -v[176:177], v[178:179], 1.0
	v_fmac_f64_e32 v[178:179], v[178:179], v[182:183]
	v_mul_f64 v[182:183], v[180:181], v[178:179]
	v_fma_f64 v[176:177], -v[176:177], v[182:183], v[180:181]
	v_div_fmas_f64 v[176:177], v[176:177], v[178:179], v[182:183]
	v_div_fixup_f64 v[176:177], v[176:177], v[160:161], v[162:163]
	v_fmac_f64_e32 v[160:161], v[162:163], v[176:177]
	v_div_scale_f64 v[162:163], s[18:19], v[160:161], v[160:161], 1.0
	v_rcp_f64_e32 v[178:179], v[162:163]
	s_nop 0
	v_fma_f64 v[180:181], -v[162:163], v[178:179], 1.0
	v_fmac_f64_e32 v[178:179], v[178:179], v[180:181]
	v_fma_f64 v[180:181], -v[162:163], v[178:179], 1.0
	v_fmac_f64_e32 v[178:179], v[178:179], v[180:181]
	v_div_scale_f64 v[180:181], vcc, 1.0, v[160:161], 1.0
	v_mul_f64 v[182:183], v[180:181], v[178:179]
	v_fma_f64 v[162:163], -v[162:163], v[182:183], v[180:181]
	s_nop 1
	v_div_fmas_f64 v[162:163], v[162:163], v[178:179], v[182:183]
	v_div_fixup_f64 v[160:161], v[162:163], v[160:161], 1.0
	v_mul_f64 v[162:163], v[176:177], -v[160:161]
.LBB78_282:
	s_or_b64 exec, exec, s[16:17]
.LBB78_283:
	s_or_b64 exec, exec, s[0:1]
	v_cmp_ne_u32_e32 vcc, v173, v170
	s_and_saveexec_b64 s[0:1], vcc
	s_xor_b64 s[0:1], exec, s[0:1]
	s_cbranch_execz .LBB78_289
; %bb.284:
	v_cmp_eq_u32_e32 vcc, 13, v173
	s_and_saveexec_b64 s[16:17], vcc
	s_cbranch_execz .LBB78_288
; %bb.285:
	v_cmp_ne_u32_e32 vcc, 13, v170
	s_xor_b64 s[18:19], s[14:15], -1
	s_and_b64 s[22:23], s[18:19], vcc
	s_and_saveexec_b64 s[18:19], s[22:23]
	s_cbranch_execz .LBB78_287
; %bb.286:
	v_ashrrev_i32_e32 v171, 31, v170
	v_lshl_add_u64 v[176:177], v[170:171], 2, v[168:169]
	global_load_dword v171, v[176:177], off
	global_load_dword v173, v[168:169], off offset:52
	s_waitcnt vmcnt(1)
	global_store_dword v[168:169], v171, off offset:52
	s_waitcnt vmcnt(1)
	global_store_dword v[176:177], v173, off
.LBB78_287:
	s_or_b64 exec, exec, s[18:19]
	v_mov_b32_e32 v173, v170
	v_mov_b32_e32 v175, v170
.LBB78_288:
	s_or_b64 exec, exec, s[16:17]
.LBB78_289:
	s_andn2_saveexec_b64 s[0:1], s[0:1]
	s_cbranch_execz .LBB78_291
; %bb.290:
	v_mov_b32_e32 v173, 13
	s_waitcnt vmcnt(25)
	ds_write2_b64 v172, v[100:101], v[102:103] offset0:28 offset1:29
	s_waitcnt vmcnt(24)
	ds_write2_b64 v172, v[92:93], v[94:95] offset0:30 offset1:31
	;; [unrolled: 2-line block ×26, first 2 shown]
.LBB78_291:
	s_or_b64 exec, exec, s[0:1]
	v_cmp_lt_i32_e32 vcc, 13, v173
	s_waitcnt lgkmcnt(0)
	s_barrier
	s_and_saveexec_b64 s[0:1], vcc
	s_cbranch_execz .LBB78_293
; %bb.292:
	ds_read2_b64 v[176:179], v172 offset0:28 offset1:29
	v_mul_f64 v[170:171], v[162:163], v[110:111]
	v_mul_f64 v[110:111], v[160:161], v[110:111]
	v_fma_f64 v[170:171], v[160:161], v[108:109], -v[170:171]
	v_fmac_f64_e32 v[110:111], v[162:163], v[108:109]
	ds_read2_b64 v[160:163], v172 offset0:30 offset1:31
	s_waitcnt lgkmcnt(1)
	v_mul_f64 v[108:109], v[178:179], v[110:111]
	v_fma_f64 v[108:109], v[176:177], v[170:171], -v[108:109]
	v_mul_f64 v[176:177], v[176:177], v[110:111]
	v_fmac_f64_e32 v[176:177], v[178:179], v[170:171]
	s_waitcnt vmcnt(25)
	v_add_f64 v[100:101], v[100:101], -v[108:109]
	s_waitcnt lgkmcnt(0)
	v_mul_f64 v[108:109], v[162:163], v[110:111]
	v_add_f64 v[102:103], v[102:103], -v[176:177]
	v_fma_f64 v[108:109], v[160:161], v[170:171], -v[108:109]
	v_mul_f64 v[160:161], v[160:161], v[110:111]
	ds_read2_b64 v[176:179], v172 offset0:32 offset1:33
	v_fmac_f64_e32 v[160:161], v[162:163], v[170:171]
	s_waitcnt vmcnt(24)
	v_add_f64 v[94:95], v[94:95], -v[160:161]
	ds_read2_b64 v[160:163], v172 offset0:34 offset1:35
	v_add_f64 v[92:93], v[92:93], -v[108:109]
	s_waitcnt lgkmcnt(1)
	v_mul_f64 v[108:109], v[178:179], v[110:111]
	v_fma_f64 v[108:109], v[176:177], v[170:171], -v[108:109]
	v_mul_f64 v[176:177], v[176:177], v[110:111]
	v_fmac_f64_e32 v[176:177], v[178:179], v[170:171]
	s_waitcnt vmcnt(23)
	v_add_f64 v[88:89], v[88:89], -v[108:109]
	s_waitcnt lgkmcnt(0)
	v_mul_f64 v[108:109], v[162:163], v[110:111]
	v_add_f64 v[90:91], v[90:91], -v[176:177]
	v_fma_f64 v[108:109], v[160:161], v[170:171], -v[108:109]
	v_mul_f64 v[160:161], v[160:161], v[110:111]
	ds_read2_b64 v[176:179], v172 offset0:36 offset1:37
	v_fmac_f64_e32 v[160:161], v[162:163], v[170:171]
	s_waitcnt vmcnt(22)
	v_add_f64 v[86:87], v[86:87], -v[160:161]
	ds_read2_b64 v[160:163], v172 offset0:38 offset1:39
	v_add_f64 v[84:85], v[84:85], -v[108:109]
	s_waitcnt lgkmcnt(1)
	v_mul_f64 v[108:109], v[178:179], v[110:111]
	v_fma_f64 v[108:109], v[176:177], v[170:171], -v[108:109]
	v_mul_f64 v[176:177], v[176:177], v[110:111]
	v_fmac_f64_e32 v[176:177], v[178:179], v[170:171]
	s_waitcnt vmcnt(21)
	v_add_f64 v[80:81], v[80:81], -v[108:109]
	s_waitcnt lgkmcnt(0)
	v_mul_f64 v[108:109], v[162:163], v[110:111]
	v_add_f64 v[82:83], v[82:83], -v[176:177]
	v_fma_f64 v[108:109], v[160:161], v[170:171], -v[108:109]
	v_mul_f64 v[160:161], v[160:161], v[110:111]
	ds_read2_b64 v[176:179], v172 offset0:40 offset1:41
	v_fmac_f64_e32 v[160:161], v[162:163], v[170:171]
	s_waitcnt vmcnt(20)
	v_add_f64 v[78:79], v[78:79], -v[160:161]
	ds_read2_b64 v[160:163], v172 offset0:42 offset1:43
	v_add_f64 v[76:77], v[76:77], -v[108:109]
	s_waitcnt lgkmcnt(1)
	v_mul_f64 v[108:109], v[178:179], v[110:111]
	v_fma_f64 v[108:109], v[176:177], v[170:171], -v[108:109]
	v_mul_f64 v[176:177], v[176:177], v[110:111]
	v_fmac_f64_e32 v[176:177], v[178:179], v[170:171]
	s_waitcnt vmcnt(19)
	v_add_f64 v[72:73], v[72:73], -v[108:109]
	s_waitcnt lgkmcnt(0)
	v_mul_f64 v[108:109], v[162:163], v[110:111]
	v_add_f64 v[74:75], v[74:75], -v[176:177]
	v_fma_f64 v[108:109], v[160:161], v[170:171], -v[108:109]
	v_mul_f64 v[160:161], v[160:161], v[110:111]
	ds_read2_b64 v[176:179], v172 offset0:44 offset1:45
	v_fmac_f64_e32 v[160:161], v[162:163], v[170:171]
	s_waitcnt vmcnt(18)
	v_add_f64 v[70:71], v[70:71], -v[160:161]
	ds_read2_b64 v[160:163], v172 offset0:46 offset1:47
	v_add_f64 v[68:69], v[68:69], -v[108:109]
	s_waitcnt lgkmcnt(1)
	v_mul_f64 v[108:109], v[178:179], v[110:111]
	v_fma_f64 v[108:109], v[176:177], v[170:171], -v[108:109]
	v_mul_f64 v[176:177], v[176:177], v[110:111]
	v_fmac_f64_e32 v[176:177], v[178:179], v[170:171]
	s_waitcnt vmcnt(17)
	v_add_f64 v[64:65], v[64:65], -v[108:109]
	s_waitcnt lgkmcnt(0)
	v_mul_f64 v[108:109], v[162:163], v[110:111]
	v_add_f64 v[66:67], v[66:67], -v[176:177]
	v_fma_f64 v[108:109], v[160:161], v[170:171], -v[108:109]
	v_mul_f64 v[160:161], v[160:161], v[110:111]
	ds_read2_b64 v[176:179], v172 offset0:48 offset1:49
	v_fmac_f64_e32 v[160:161], v[162:163], v[170:171]
	s_waitcnt vmcnt(16)
	v_add_f64 v[62:63], v[62:63], -v[160:161]
	ds_read2_b64 v[160:163], v172 offset0:50 offset1:51
	v_add_f64 v[60:61], v[60:61], -v[108:109]
	s_waitcnt lgkmcnt(1)
	v_mul_f64 v[108:109], v[178:179], v[110:111]
	v_fma_f64 v[108:109], v[176:177], v[170:171], -v[108:109]
	v_mul_f64 v[176:177], v[176:177], v[110:111]
	v_fmac_f64_e32 v[176:177], v[178:179], v[170:171]
	s_waitcnt vmcnt(15)
	v_add_f64 v[56:57], v[56:57], -v[108:109]
	s_waitcnt lgkmcnt(0)
	v_mul_f64 v[108:109], v[162:163], v[110:111]
	v_add_f64 v[58:59], v[58:59], -v[176:177]
	v_fma_f64 v[108:109], v[160:161], v[170:171], -v[108:109]
	v_mul_f64 v[160:161], v[160:161], v[110:111]
	ds_read2_b64 v[176:179], v172 offset0:52 offset1:53
	v_fmac_f64_e32 v[160:161], v[162:163], v[170:171]
	s_waitcnt vmcnt(14)
	v_add_f64 v[54:55], v[54:55], -v[160:161]
	ds_read2_b64 v[160:163], v172 offset0:54 offset1:55
	v_add_f64 v[52:53], v[52:53], -v[108:109]
	s_waitcnt lgkmcnt(1)
	v_mul_f64 v[108:109], v[178:179], v[110:111]
	v_fma_f64 v[108:109], v[176:177], v[170:171], -v[108:109]
	v_mul_f64 v[176:177], v[176:177], v[110:111]
	v_fmac_f64_e32 v[176:177], v[178:179], v[170:171]
	s_waitcnt vmcnt(13)
	v_add_f64 v[48:49], v[48:49], -v[108:109]
	s_waitcnt lgkmcnt(0)
	v_mul_f64 v[108:109], v[162:163], v[110:111]
	v_add_f64 v[50:51], v[50:51], -v[176:177]
	v_fma_f64 v[108:109], v[160:161], v[170:171], -v[108:109]
	v_mul_f64 v[160:161], v[160:161], v[110:111]
	ds_read2_b64 v[176:179], v172 offset0:56 offset1:57
	v_fmac_f64_e32 v[160:161], v[162:163], v[170:171]
	s_waitcnt vmcnt(12)
	v_add_f64 v[46:47], v[46:47], -v[160:161]
	ds_read2_b64 v[160:163], v172 offset0:58 offset1:59
	v_add_f64 v[44:45], v[44:45], -v[108:109]
	s_waitcnt lgkmcnt(1)
	v_mul_f64 v[108:109], v[178:179], v[110:111]
	v_fma_f64 v[108:109], v[176:177], v[170:171], -v[108:109]
	v_mul_f64 v[176:177], v[176:177], v[110:111]
	v_fmac_f64_e32 v[176:177], v[178:179], v[170:171]
	s_waitcnt vmcnt(11)
	v_add_f64 v[40:41], v[40:41], -v[108:109]
	s_waitcnt lgkmcnt(0)
	v_mul_f64 v[108:109], v[162:163], v[110:111]
	v_add_f64 v[42:43], v[42:43], -v[176:177]
	v_fma_f64 v[108:109], v[160:161], v[170:171], -v[108:109]
	v_mul_f64 v[160:161], v[160:161], v[110:111]
	ds_read2_b64 v[176:179], v172 offset0:60 offset1:61
	v_fmac_f64_e32 v[160:161], v[162:163], v[170:171]
	s_waitcnt vmcnt(10)
	v_add_f64 v[38:39], v[38:39], -v[160:161]
	ds_read2_b64 v[160:163], v172 offset0:62 offset1:63
	v_add_f64 v[36:37], v[36:37], -v[108:109]
	s_waitcnt lgkmcnt(1)
	v_mul_f64 v[108:109], v[178:179], v[110:111]
	v_fma_f64 v[108:109], v[176:177], v[170:171], -v[108:109]
	v_mul_f64 v[176:177], v[176:177], v[110:111]
	v_fmac_f64_e32 v[176:177], v[178:179], v[170:171]
	s_waitcnt vmcnt(9)
	v_add_f64 v[32:33], v[32:33], -v[108:109]
	s_waitcnt lgkmcnt(0)
	v_mul_f64 v[108:109], v[162:163], v[110:111]
	v_add_f64 v[34:35], v[34:35], -v[176:177]
	v_fma_f64 v[108:109], v[160:161], v[170:171], -v[108:109]
	v_mul_f64 v[160:161], v[160:161], v[110:111]
	ds_read2_b64 v[176:179], v172 offset0:64 offset1:65
	v_fmac_f64_e32 v[160:161], v[162:163], v[170:171]
	s_waitcnt vmcnt(8)
	v_add_f64 v[30:31], v[30:31], -v[160:161]
	ds_read2_b64 v[160:163], v172 offset0:66 offset1:67
	v_add_f64 v[28:29], v[28:29], -v[108:109]
	s_waitcnt lgkmcnt(1)
	v_mul_f64 v[108:109], v[178:179], v[110:111]
	v_fma_f64 v[108:109], v[176:177], v[170:171], -v[108:109]
	v_mul_f64 v[176:177], v[176:177], v[110:111]
	v_fmac_f64_e32 v[176:177], v[178:179], v[170:171]
	s_waitcnt vmcnt(7)
	v_add_f64 v[24:25], v[24:25], -v[108:109]
	s_waitcnt lgkmcnt(0)
	v_mul_f64 v[108:109], v[162:163], v[110:111]
	v_add_f64 v[26:27], v[26:27], -v[176:177]
	v_fma_f64 v[108:109], v[160:161], v[170:171], -v[108:109]
	v_mul_f64 v[160:161], v[160:161], v[110:111]
	ds_read2_b64 v[176:179], v172 offset0:68 offset1:69
	v_fmac_f64_e32 v[160:161], v[162:163], v[170:171]
	s_waitcnt vmcnt(6)
	v_add_f64 v[22:23], v[22:23], -v[160:161]
	ds_read2_b64 v[160:163], v172 offset0:70 offset1:71
	v_add_f64 v[20:21], v[20:21], -v[108:109]
	s_waitcnt lgkmcnt(1)
	v_mul_f64 v[108:109], v[178:179], v[110:111]
	v_fma_f64 v[108:109], v[176:177], v[170:171], -v[108:109]
	v_mul_f64 v[176:177], v[176:177], v[110:111]
	v_fmac_f64_e32 v[176:177], v[178:179], v[170:171]
	s_waitcnt vmcnt(5)
	v_add_f64 v[16:17], v[16:17], -v[108:109]
	s_waitcnt lgkmcnt(0)
	v_mul_f64 v[108:109], v[162:163], v[110:111]
	v_add_f64 v[18:19], v[18:19], -v[176:177]
	v_fma_f64 v[108:109], v[160:161], v[170:171], -v[108:109]
	v_mul_f64 v[160:161], v[160:161], v[110:111]
	ds_read2_b64 v[176:179], v172 offset0:72 offset1:73
	v_fmac_f64_e32 v[160:161], v[162:163], v[170:171]
	s_waitcnt vmcnt(4)
	v_add_f64 v[14:15], v[14:15], -v[160:161]
	ds_read2_b64 v[160:163], v172 offset0:74 offset1:75
	v_add_f64 v[12:13], v[12:13], -v[108:109]
	s_waitcnt lgkmcnt(1)
	v_mul_f64 v[108:109], v[178:179], v[110:111]
	v_fma_f64 v[108:109], v[176:177], v[170:171], -v[108:109]
	v_mul_f64 v[176:177], v[176:177], v[110:111]
	v_fmac_f64_e32 v[176:177], v[178:179], v[170:171]
	s_waitcnt vmcnt(3)
	v_add_f64 v[8:9], v[8:9], -v[108:109]
	s_waitcnt lgkmcnt(0)
	v_mul_f64 v[108:109], v[162:163], v[110:111]
	v_add_f64 v[10:11], v[10:11], -v[176:177]
	v_fma_f64 v[108:109], v[160:161], v[170:171], -v[108:109]
	v_mul_f64 v[160:161], v[160:161], v[110:111]
	ds_read2_b64 v[176:179], v172 offset0:76 offset1:77
	v_fmac_f64_e32 v[160:161], v[162:163], v[170:171]
	s_waitcnt vmcnt(2)
	v_add_f64 v[6:7], v[6:7], -v[160:161]
	ds_read2_b64 v[160:163], v172 offset0:78 offset1:79
	v_add_f64 v[4:5], v[4:5], -v[108:109]
	s_waitcnt lgkmcnt(1)
	v_mul_f64 v[108:109], v[178:179], v[110:111]
	v_fma_f64 v[108:109], v[176:177], v[170:171], -v[108:109]
	s_waitcnt vmcnt(1)
	v_add_f64 v[0:1], v[0:1], -v[108:109]
	s_waitcnt lgkmcnt(0)
	v_mul_f64 v[108:109], v[162:163], v[110:111]
	v_mul_f64 v[176:177], v[176:177], v[110:111]
	v_fma_f64 v[108:109], v[160:161], v[170:171], -v[108:109]
	v_mul_f64 v[160:161], v[160:161], v[110:111]
	v_fmac_f64_e32 v[176:177], v[178:179], v[170:171]
	v_fmac_f64_e32 v[160:161], v[162:163], v[170:171]
	v_add_f64 v[2:3], v[2:3], -v[176:177]
	s_waitcnt vmcnt(0)
	v_add_f64 v[156:157], v[156:157], -v[108:109]
	v_add_f64 v[158:159], v[158:159], -v[160:161]
	v_mov_b64_e32 v[108:109], v[170:171]
.LBB78_293:
	s_or_b64 exec, exec, s[0:1]
	v_lshl_add_u32 v160, v173, 4, v172
	s_barrier
	s_waitcnt vmcnt(25)
	ds_write2_b64 v160, v[100:101], v[102:103] offset1:1
	s_waitcnt lgkmcnt(0)
	s_barrier
	ds_read2_b64 v[160:163], v172 offset0:28 offset1:29
	s_cmp_lt_i32 s20, 16
	v_mov_b32_e32 v170, 14
	s_cbranch_scc1 .LBB78_296
; %bb.294:
	v_add_u32_e32 v171, 0xf0, v172
	s_mov_b32 s16, 15
	v_mov_b32_e32 v170, 14
.LBB78_295:                             ; =>This Inner Loop Header: Depth=1
	ds_read2_b64 v[176:179], v171 offset1:1
	s_waitcnt lgkmcnt(1)
	v_xor_b32_e32 v181, 0x80000000, v161
	v_xor_b32_e32 v183, 0x80000000, v163
	v_cmp_gt_f64_e32 vcc, 0, v[162:163]
	v_cmp_gt_f64_e64 s[0:1], 0, v[160:161]
	v_mov_b32_e32 v180, v160
	v_mov_b32_e32 v182, v162
	v_cndmask_b32_e64 v181, v161, v181, s[0:1]
	v_cndmask_b32_e32 v183, v163, v183, vcc
	v_add_f64 v[180:181], v[180:181], v[182:183]
	s_waitcnt lgkmcnt(0)
	v_xor_b32_e32 v183, 0x80000000, v177
	v_xor_b32_e32 v185, 0x80000000, v179
	v_cmp_gt_f64_e32 vcc, 0, v[178:179]
	v_cmp_gt_f64_e64 s[0:1], 0, v[176:177]
	v_mov_b32_e32 v182, v176
	v_mov_b32_e32 v184, v178
	v_cndmask_b32_e64 v183, v177, v183, s[0:1]
	v_cndmask_b32_e32 v185, v179, v185, vcc
	v_add_f64 v[182:183], v[182:183], v[184:185]
	v_mov_b32_e32 v186, s16
	s_add_i32 s16, s16, 1
	v_cmp_lt_f64_e32 vcc, v[180:181], v[182:183]
	v_add_u32_e32 v171, 16, v171
	s_cmp_lg_u32 s20, s16
	v_cndmask_b32_e32 v161, v161, v177, vcc
	v_cndmask_b32_e32 v160, v160, v176, vcc
	;; [unrolled: 1-line block ×5, first 2 shown]
	s_cbranch_scc1 .LBB78_295
.LBB78_296:
	s_waitcnt lgkmcnt(0)
	v_cmp_eq_f64_e32 vcc, 0, v[160:161]
	v_cmp_eq_f64_e64 s[0:1], 0, v[162:163]
	s_and_b64 s[0:1], vcc, s[0:1]
	s_and_saveexec_b64 s[16:17], s[0:1]
	s_xor_b64 s[0:1], exec, s[16:17]
; %bb.297:
	v_cmp_ne_u32_e32 vcc, 0, v174
	s_nop 1
	v_cndmask_b32_e32 v174, 15, v174, vcc
; %bb.298:
	s_andn2_saveexec_b64 s[0:1], s[0:1]
	s_cbranch_execz .LBB78_304
; %bb.299:
	v_cmp_ngt_f64_e64 s[16:17], |v[160:161]|, |v[162:163]|
	s_and_saveexec_b64 s[18:19], s[16:17]
	s_xor_b64 s[16:17], exec, s[18:19]
	s_cbranch_execz .LBB78_301
; %bb.300:
	v_div_scale_f64 v[176:177], s[18:19], v[162:163], v[162:163], v[160:161]
	v_rcp_f64_e32 v[178:179], v[176:177]
	v_div_scale_f64 v[180:181], vcc, v[160:161], v[162:163], v[160:161]
	v_fma_f64 v[182:183], -v[176:177], v[178:179], 1.0
	v_fmac_f64_e32 v[178:179], v[178:179], v[182:183]
	v_fma_f64 v[182:183], -v[176:177], v[178:179], 1.0
	v_fmac_f64_e32 v[178:179], v[178:179], v[182:183]
	v_mul_f64 v[182:183], v[180:181], v[178:179]
	v_fma_f64 v[176:177], -v[176:177], v[182:183], v[180:181]
	v_div_fmas_f64 v[176:177], v[176:177], v[178:179], v[182:183]
	v_div_fixup_f64 v[176:177], v[176:177], v[162:163], v[160:161]
	v_fmac_f64_e32 v[162:163], v[160:161], v[176:177]
	v_div_scale_f64 v[160:161], s[18:19], v[162:163], v[162:163], 1.0
	v_rcp_f64_e32 v[178:179], v[160:161]
	s_nop 0
	v_fma_f64 v[180:181], -v[160:161], v[178:179], 1.0
	v_fmac_f64_e32 v[178:179], v[178:179], v[180:181]
	v_fma_f64 v[180:181], -v[160:161], v[178:179], 1.0
	v_fmac_f64_e32 v[178:179], v[178:179], v[180:181]
	v_div_scale_f64 v[180:181], vcc, 1.0, v[162:163], 1.0
	v_mul_f64 v[182:183], v[180:181], v[178:179]
	v_fma_f64 v[160:161], -v[160:161], v[182:183], v[180:181]
	s_nop 1
	v_div_fmas_f64 v[160:161], v[160:161], v[178:179], v[182:183]
	v_div_fixup_f64 v[162:163], v[160:161], v[162:163], 1.0
	v_mul_f64 v[160:161], v[176:177], v[162:163]
	v_xor_b32_e32 v163, 0x80000000, v163
.LBB78_301:
	s_andn2_saveexec_b64 s[16:17], s[16:17]
	s_cbranch_execz .LBB78_303
; %bb.302:
	v_div_scale_f64 v[176:177], s[18:19], v[160:161], v[160:161], v[162:163]
	v_rcp_f64_e32 v[178:179], v[176:177]
	v_div_scale_f64 v[180:181], vcc, v[162:163], v[160:161], v[162:163]
	v_fma_f64 v[182:183], -v[176:177], v[178:179], 1.0
	v_fmac_f64_e32 v[178:179], v[178:179], v[182:183]
	v_fma_f64 v[182:183], -v[176:177], v[178:179], 1.0
	v_fmac_f64_e32 v[178:179], v[178:179], v[182:183]
	v_mul_f64 v[182:183], v[180:181], v[178:179]
	v_fma_f64 v[176:177], -v[176:177], v[182:183], v[180:181]
	v_div_fmas_f64 v[176:177], v[176:177], v[178:179], v[182:183]
	v_div_fixup_f64 v[176:177], v[176:177], v[160:161], v[162:163]
	v_fmac_f64_e32 v[160:161], v[162:163], v[176:177]
	v_div_scale_f64 v[162:163], s[18:19], v[160:161], v[160:161], 1.0
	v_rcp_f64_e32 v[178:179], v[162:163]
	s_nop 0
	v_fma_f64 v[180:181], -v[162:163], v[178:179], 1.0
	v_fmac_f64_e32 v[178:179], v[178:179], v[180:181]
	v_fma_f64 v[180:181], -v[162:163], v[178:179], 1.0
	v_fmac_f64_e32 v[178:179], v[178:179], v[180:181]
	v_div_scale_f64 v[180:181], vcc, 1.0, v[160:161], 1.0
	v_mul_f64 v[182:183], v[180:181], v[178:179]
	v_fma_f64 v[162:163], -v[162:163], v[182:183], v[180:181]
	s_nop 1
	v_div_fmas_f64 v[162:163], v[162:163], v[178:179], v[182:183]
	v_div_fixup_f64 v[160:161], v[162:163], v[160:161], 1.0
	v_mul_f64 v[162:163], v[176:177], -v[160:161]
.LBB78_303:
	s_or_b64 exec, exec, s[16:17]
.LBB78_304:
	s_or_b64 exec, exec, s[0:1]
	v_cmp_ne_u32_e32 vcc, v173, v170
	s_and_saveexec_b64 s[0:1], vcc
	s_xor_b64 s[0:1], exec, s[0:1]
	s_cbranch_execz .LBB78_310
; %bb.305:
	v_cmp_eq_u32_e32 vcc, 14, v173
	s_and_saveexec_b64 s[16:17], vcc
	s_cbranch_execz .LBB78_309
; %bb.306:
	v_cmp_ne_u32_e32 vcc, 14, v170
	s_xor_b64 s[18:19], s[14:15], -1
	s_and_b64 s[22:23], s[18:19], vcc
	s_and_saveexec_b64 s[18:19], s[22:23]
	s_cbranch_execz .LBB78_308
; %bb.307:
	v_ashrrev_i32_e32 v171, 31, v170
	v_lshl_add_u64 v[176:177], v[170:171], 2, v[168:169]
	global_load_dword v171, v[176:177], off
	global_load_dword v173, v[168:169], off offset:56
	s_waitcnt vmcnt(1)
	global_store_dword v[168:169], v171, off offset:56
	s_waitcnt vmcnt(1)
	global_store_dword v[176:177], v173, off
.LBB78_308:
	s_or_b64 exec, exec, s[18:19]
	v_mov_b32_e32 v173, v170
	v_mov_b32_e32 v175, v170
.LBB78_309:
	s_or_b64 exec, exec, s[16:17]
.LBB78_310:
	s_andn2_saveexec_b64 s[0:1], s[0:1]
	s_cbranch_execz .LBB78_312
; %bb.311:
	v_mov_b32_e32 v173, 14
	s_waitcnt vmcnt(24)
	ds_write2_b64 v172, v[92:93], v[94:95] offset0:30 offset1:31
	s_waitcnt vmcnt(23)
	ds_write2_b64 v172, v[88:89], v[90:91] offset0:32 offset1:33
	;; [unrolled: 2-line block ×25, first 2 shown]
.LBB78_312:
	s_or_b64 exec, exec, s[0:1]
	v_cmp_lt_i32_e32 vcc, 14, v173
	s_waitcnt lgkmcnt(0)
	s_barrier
	s_and_saveexec_b64 s[0:1], vcc
	s_cbranch_execz .LBB78_314
; %bb.313:
	ds_read2_b64 v[176:179], v172 offset0:30 offset1:31
	v_mul_f64 v[170:171], v[162:163], v[102:103]
	v_mul_f64 v[102:103], v[160:161], v[102:103]
	v_fmac_f64_e32 v[102:103], v[162:163], v[100:101]
	v_fma_f64 v[170:171], v[160:161], v[100:101], -v[170:171]
	ds_read2_b64 v[160:163], v172 offset0:32 offset1:33
	s_waitcnt lgkmcnt(1)
	v_mul_f64 v[100:101], v[178:179], v[102:103]
	v_fma_f64 v[100:101], v[176:177], v[170:171], -v[100:101]
	v_mul_f64 v[176:177], v[176:177], v[102:103]
	v_fmac_f64_e32 v[176:177], v[178:179], v[170:171]
	s_waitcnt vmcnt(24)
	v_add_f64 v[94:95], v[94:95], -v[176:177]
	ds_read2_b64 v[176:179], v172 offset0:34 offset1:35
	v_add_f64 v[92:93], v[92:93], -v[100:101]
	s_waitcnt lgkmcnt(1)
	v_mul_f64 v[100:101], v[162:163], v[102:103]
	v_fma_f64 v[100:101], v[160:161], v[170:171], -v[100:101]
	v_mul_f64 v[160:161], v[160:161], v[102:103]
	v_fmac_f64_e32 v[160:161], v[162:163], v[170:171]
	s_waitcnt vmcnt(23)
	v_add_f64 v[88:89], v[88:89], -v[100:101]
	v_add_f64 v[90:91], v[90:91], -v[160:161]
	ds_read2_b64 v[160:163], v172 offset0:36 offset1:37
	s_waitcnt lgkmcnt(1)
	v_mul_f64 v[100:101], v[178:179], v[102:103]
	v_fma_f64 v[100:101], v[176:177], v[170:171], -v[100:101]
	v_mul_f64 v[176:177], v[176:177], v[102:103]
	v_fmac_f64_e32 v[176:177], v[178:179], v[170:171]
	s_waitcnt vmcnt(22)
	v_add_f64 v[86:87], v[86:87], -v[176:177]
	ds_read2_b64 v[176:179], v172 offset0:38 offset1:39
	v_add_f64 v[84:85], v[84:85], -v[100:101]
	s_waitcnt lgkmcnt(1)
	v_mul_f64 v[100:101], v[162:163], v[102:103]
	v_fma_f64 v[100:101], v[160:161], v[170:171], -v[100:101]
	v_mul_f64 v[160:161], v[160:161], v[102:103]
	v_fmac_f64_e32 v[160:161], v[162:163], v[170:171]
	s_waitcnt vmcnt(21)
	v_add_f64 v[80:81], v[80:81], -v[100:101]
	v_add_f64 v[82:83], v[82:83], -v[160:161]
	;; [unrolled: 18-line block ×12, first 2 shown]
	s_waitcnt lgkmcnt(0)
	v_mul_f64 v[100:101], v[178:179], v[102:103]
	v_mul_f64 v[160:161], v[176:177], v[102:103]
	v_fma_f64 v[100:101], v[176:177], v[170:171], -v[100:101]
	v_fmac_f64_e32 v[160:161], v[178:179], v[170:171]
	s_waitcnt vmcnt(0)
	v_add_f64 v[156:157], v[156:157], -v[100:101]
	v_add_f64 v[158:159], v[158:159], -v[160:161]
	v_mov_b64_e32 v[100:101], v[170:171]
.LBB78_314:
	s_or_b64 exec, exec, s[0:1]
	v_lshl_add_u32 v160, v173, 4, v172
	s_barrier
	s_waitcnt vmcnt(24)
	ds_write2_b64 v160, v[92:93], v[94:95] offset1:1
	s_waitcnt lgkmcnt(0)
	s_barrier
	ds_read2_b64 v[160:163], v172 offset0:30 offset1:31
	s_cmp_lt_i32 s20, 17
	v_mov_b32_e32 v170, 15
	s_cbranch_scc1 .LBB78_317
; %bb.315:
	v_add_u32_e32 v171, 0x100, v172
	s_mov_b32 s16, 16
	v_mov_b32_e32 v170, 15
.LBB78_316:                             ; =>This Inner Loop Header: Depth=1
	ds_read2_b64 v[176:179], v171 offset1:1
	s_waitcnt lgkmcnt(1)
	v_xor_b32_e32 v181, 0x80000000, v161
	v_xor_b32_e32 v183, 0x80000000, v163
	v_cmp_gt_f64_e32 vcc, 0, v[162:163]
	v_cmp_gt_f64_e64 s[0:1], 0, v[160:161]
	v_mov_b32_e32 v180, v160
	v_mov_b32_e32 v182, v162
	v_cndmask_b32_e64 v181, v161, v181, s[0:1]
	v_cndmask_b32_e32 v183, v163, v183, vcc
	v_add_f64 v[180:181], v[180:181], v[182:183]
	s_waitcnt lgkmcnt(0)
	v_xor_b32_e32 v183, 0x80000000, v177
	v_xor_b32_e32 v185, 0x80000000, v179
	v_cmp_gt_f64_e32 vcc, 0, v[178:179]
	v_cmp_gt_f64_e64 s[0:1], 0, v[176:177]
	v_mov_b32_e32 v182, v176
	v_mov_b32_e32 v184, v178
	v_cndmask_b32_e64 v183, v177, v183, s[0:1]
	v_cndmask_b32_e32 v185, v179, v185, vcc
	v_add_f64 v[182:183], v[182:183], v[184:185]
	v_mov_b32_e32 v186, s16
	s_add_i32 s16, s16, 1
	v_cmp_lt_f64_e32 vcc, v[180:181], v[182:183]
	v_add_u32_e32 v171, 16, v171
	s_cmp_lg_u32 s20, s16
	v_cndmask_b32_e32 v161, v161, v177, vcc
	v_cndmask_b32_e32 v160, v160, v176, vcc
	;; [unrolled: 1-line block ×5, first 2 shown]
	s_cbranch_scc1 .LBB78_316
.LBB78_317:
	s_waitcnt lgkmcnt(0)
	v_cmp_eq_f64_e32 vcc, 0, v[160:161]
	v_cmp_eq_f64_e64 s[0:1], 0, v[162:163]
	s_and_b64 s[0:1], vcc, s[0:1]
	s_and_saveexec_b64 s[16:17], s[0:1]
	s_xor_b64 s[0:1], exec, s[16:17]
; %bb.318:
	v_cmp_ne_u32_e32 vcc, 0, v174
	s_nop 1
	v_cndmask_b32_e32 v174, 16, v174, vcc
; %bb.319:
	s_andn2_saveexec_b64 s[0:1], s[0:1]
	s_cbranch_execz .LBB78_325
; %bb.320:
	v_cmp_ngt_f64_e64 s[16:17], |v[160:161]|, |v[162:163]|
	s_and_saveexec_b64 s[18:19], s[16:17]
	s_xor_b64 s[16:17], exec, s[18:19]
	s_cbranch_execz .LBB78_322
; %bb.321:
	v_div_scale_f64 v[176:177], s[18:19], v[162:163], v[162:163], v[160:161]
	v_rcp_f64_e32 v[178:179], v[176:177]
	v_div_scale_f64 v[180:181], vcc, v[160:161], v[162:163], v[160:161]
	v_fma_f64 v[182:183], -v[176:177], v[178:179], 1.0
	v_fmac_f64_e32 v[178:179], v[178:179], v[182:183]
	v_fma_f64 v[182:183], -v[176:177], v[178:179], 1.0
	v_fmac_f64_e32 v[178:179], v[178:179], v[182:183]
	v_mul_f64 v[182:183], v[180:181], v[178:179]
	v_fma_f64 v[176:177], -v[176:177], v[182:183], v[180:181]
	v_div_fmas_f64 v[176:177], v[176:177], v[178:179], v[182:183]
	v_div_fixup_f64 v[176:177], v[176:177], v[162:163], v[160:161]
	v_fmac_f64_e32 v[162:163], v[160:161], v[176:177]
	v_div_scale_f64 v[160:161], s[18:19], v[162:163], v[162:163], 1.0
	v_rcp_f64_e32 v[178:179], v[160:161]
	s_nop 0
	v_fma_f64 v[180:181], -v[160:161], v[178:179], 1.0
	v_fmac_f64_e32 v[178:179], v[178:179], v[180:181]
	v_fma_f64 v[180:181], -v[160:161], v[178:179], 1.0
	v_fmac_f64_e32 v[178:179], v[178:179], v[180:181]
	v_div_scale_f64 v[180:181], vcc, 1.0, v[162:163], 1.0
	v_mul_f64 v[182:183], v[180:181], v[178:179]
	v_fma_f64 v[160:161], -v[160:161], v[182:183], v[180:181]
	s_nop 1
	v_div_fmas_f64 v[160:161], v[160:161], v[178:179], v[182:183]
	v_div_fixup_f64 v[162:163], v[160:161], v[162:163], 1.0
	v_mul_f64 v[160:161], v[176:177], v[162:163]
	v_xor_b32_e32 v163, 0x80000000, v163
.LBB78_322:
	s_andn2_saveexec_b64 s[16:17], s[16:17]
	s_cbranch_execz .LBB78_324
; %bb.323:
	v_div_scale_f64 v[176:177], s[18:19], v[160:161], v[160:161], v[162:163]
	v_rcp_f64_e32 v[178:179], v[176:177]
	v_div_scale_f64 v[180:181], vcc, v[162:163], v[160:161], v[162:163]
	v_fma_f64 v[182:183], -v[176:177], v[178:179], 1.0
	v_fmac_f64_e32 v[178:179], v[178:179], v[182:183]
	v_fma_f64 v[182:183], -v[176:177], v[178:179], 1.0
	v_fmac_f64_e32 v[178:179], v[178:179], v[182:183]
	v_mul_f64 v[182:183], v[180:181], v[178:179]
	v_fma_f64 v[176:177], -v[176:177], v[182:183], v[180:181]
	v_div_fmas_f64 v[176:177], v[176:177], v[178:179], v[182:183]
	v_div_fixup_f64 v[176:177], v[176:177], v[160:161], v[162:163]
	v_fmac_f64_e32 v[160:161], v[162:163], v[176:177]
	v_div_scale_f64 v[162:163], s[18:19], v[160:161], v[160:161], 1.0
	v_rcp_f64_e32 v[178:179], v[162:163]
	s_nop 0
	v_fma_f64 v[180:181], -v[162:163], v[178:179], 1.0
	v_fmac_f64_e32 v[178:179], v[178:179], v[180:181]
	v_fma_f64 v[180:181], -v[162:163], v[178:179], 1.0
	v_fmac_f64_e32 v[178:179], v[178:179], v[180:181]
	v_div_scale_f64 v[180:181], vcc, 1.0, v[160:161], 1.0
	v_mul_f64 v[182:183], v[180:181], v[178:179]
	v_fma_f64 v[162:163], -v[162:163], v[182:183], v[180:181]
	s_nop 1
	v_div_fmas_f64 v[162:163], v[162:163], v[178:179], v[182:183]
	v_div_fixup_f64 v[160:161], v[162:163], v[160:161], 1.0
	v_mul_f64 v[162:163], v[176:177], -v[160:161]
.LBB78_324:
	s_or_b64 exec, exec, s[16:17]
.LBB78_325:
	s_or_b64 exec, exec, s[0:1]
	v_cmp_ne_u32_e32 vcc, v173, v170
	s_and_saveexec_b64 s[0:1], vcc
	s_xor_b64 s[0:1], exec, s[0:1]
	s_cbranch_execz .LBB78_331
; %bb.326:
	v_cmp_eq_u32_e32 vcc, 15, v173
	s_and_saveexec_b64 s[16:17], vcc
	s_cbranch_execz .LBB78_330
; %bb.327:
	v_cmp_ne_u32_e32 vcc, 15, v170
	s_xor_b64 s[18:19], s[14:15], -1
	s_and_b64 s[22:23], s[18:19], vcc
	s_and_saveexec_b64 s[18:19], s[22:23]
	s_cbranch_execz .LBB78_329
; %bb.328:
	v_ashrrev_i32_e32 v171, 31, v170
	v_lshl_add_u64 v[176:177], v[170:171], 2, v[168:169]
	global_load_dword v171, v[176:177], off
	global_load_dword v173, v[168:169], off offset:60
	s_waitcnt vmcnt(1)
	global_store_dword v[168:169], v171, off offset:60
	s_waitcnt vmcnt(1)
	global_store_dword v[176:177], v173, off
.LBB78_329:
	s_or_b64 exec, exec, s[18:19]
	v_mov_b32_e32 v173, v170
	v_mov_b32_e32 v175, v170
.LBB78_330:
	s_or_b64 exec, exec, s[16:17]
.LBB78_331:
	s_andn2_saveexec_b64 s[0:1], s[0:1]
	s_cbranch_execz .LBB78_333
; %bb.332:
	v_mov_b32_e32 v173, 15
	s_waitcnt vmcnt(23)
	ds_write2_b64 v172, v[88:89], v[90:91] offset0:32 offset1:33
	s_waitcnt vmcnt(22)
	ds_write2_b64 v172, v[84:85], v[86:87] offset0:34 offset1:35
	;; [unrolled: 2-line block ×24, first 2 shown]
.LBB78_333:
	s_or_b64 exec, exec, s[0:1]
	v_cmp_lt_i32_e32 vcc, 15, v173
	s_waitcnt lgkmcnt(0)
	s_barrier
	s_and_saveexec_b64 s[0:1], vcc
	s_cbranch_execz .LBB78_335
; %bb.334:
	ds_read2_b64 v[176:179], v172 offset0:32 offset1:33
	v_mul_f64 v[170:171], v[162:163], v[94:95]
	v_mul_f64 v[94:95], v[160:161], v[94:95]
	v_fma_f64 v[170:171], v[160:161], v[92:93], -v[170:171]
	v_fmac_f64_e32 v[94:95], v[162:163], v[92:93]
	ds_read2_b64 v[160:163], v172 offset0:34 offset1:35
	s_waitcnt lgkmcnt(1)
	v_mul_f64 v[92:93], v[178:179], v[94:95]
	v_fma_f64 v[92:93], v[176:177], v[170:171], -v[92:93]
	v_mul_f64 v[176:177], v[176:177], v[94:95]
	v_fmac_f64_e32 v[176:177], v[178:179], v[170:171]
	s_waitcnt vmcnt(23)
	v_add_f64 v[88:89], v[88:89], -v[92:93]
	s_waitcnt lgkmcnt(0)
	v_mul_f64 v[92:93], v[162:163], v[94:95]
	v_add_f64 v[90:91], v[90:91], -v[176:177]
	v_fma_f64 v[92:93], v[160:161], v[170:171], -v[92:93]
	v_mul_f64 v[160:161], v[160:161], v[94:95]
	ds_read2_b64 v[176:179], v172 offset0:36 offset1:37
	v_fmac_f64_e32 v[160:161], v[162:163], v[170:171]
	s_waitcnt vmcnt(22)
	v_add_f64 v[86:87], v[86:87], -v[160:161]
	ds_read2_b64 v[160:163], v172 offset0:38 offset1:39
	v_add_f64 v[84:85], v[84:85], -v[92:93]
	s_waitcnt lgkmcnt(1)
	v_mul_f64 v[92:93], v[178:179], v[94:95]
	v_fma_f64 v[92:93], v[176:177], v[170:171], -v[92:93]
	v_mul_f64 v[176:177], v[176:177], v[94:95]
	v_fmac_f64_e32 v[176:177], v[178:179], v[170:171]
	s_waitcnt vmcnt(21)
	v_add_f64 v[80:81], v[80:81], -v[92:93]
	s_waitcnt lgkmcnt(0)
	v_mul_f64 v[92:93], v[162:163], v[94:95]
	v_add_f64 v[82:83], v[82:83], -v[176:177]
	v_fma_f64 v[92:93], v[160:161], v[170:171], -v[92:93]
	v_mul_f64 v[160:161], v[160:161], v[94:95]
	ds_read2_b64 v[176:179], v172 offset0:40 offset1:41
	v_fmac_f64_e32 v[160:161], v[162:163], v[170:171]
	s_waitcnt vmcnt(20)
	v_add_f64 v[78:79], v[78:79], -v[160:161]
	ds_read2_b64 v[160:163], v172 offset0:42 offset1:43
	v_add_f64 v[76:77], v[76:77], -v[92:93]
	;; [unrolled: 18-line block ×11, first 2 shown]
	s_waitcnt lgkmcnt(1)
	v_mul_f64 v[92:93], v[178:179], v[94:95]
	v_fma_f64 v[92:93], v[176:177], v[170:171], -v[92:93]
	s_waitcnt vmcnt(1)
	v_add_f64 v[0:1], v[0:1], -v[92:93]
	s_waitcnt lgkmcnt(0)
	v_mul_f64 v[92:93], v[162:163], v[94:95]
	v_mul_f64 v[176:177], v[176:177], v[94:95]
	v_fma_f64 v[92:93], v[160:161], v[170:171], -v[92:93]
	v_mul_f64 v[160:161], v[160:161], v[94:95]
	v_fmac_f64_e32 v[176:177], v[178:179], v[170:171]
	v_fmac_f64_e32 v[160:161], v[162:163], v[170:171]
	v_add_f64 v[2:3], v[2:3], -v[176:177]
	s_waitcnt vmcnt(0)
	v_add_f64 v[156:157], v[156:157], -v[92:93]
	v_add_f64 v[158:159], v[158:159], -v[160:161]
	v_mov_b64_e32 v[92:93], v[170:171]
.LBB78_335:
	s_or_b64 exec, exec, s[0:1]
	v_lshl_add_u32 v160, v173, 4, v172
	s_barrier
	s_waitcnt vmcnt(23)
	ds_write2_b64 v160, v[88:89], v[90:91] offset1:1
	s_waitcnt lgkmcnt(0)
	s_barrier
	ds_read2_b64 v[160:163], v172 offset0:32 offset1:33
	s_cmp_lt_i32 s20, 18
	v_mov_b32_e32 v170, 16
	s_cbranch_scc1 .LBB78_338
; %bb.336:
	v_add_u32_e32 v171, 0x110, v172
	s_mov_b32 s16, 17
	v_mov_b32_e32 v170, 16
.LBB78_337:                             ; =>This Inner Loop Header: Depth=1
	ds_read2_b64 v[176:179], v171 offset1:1
	s_waitcnt lgkmcnt(1)
	v_xor_b32_e32 v181, 0x80000000, v161
	v_xor_b32_e32 v183, 0x80000000, v163
	v_cmp_gt_f64_e32 vcc, 0, v[162:163]
	v_cmp_gt_f64_e64 s[0:1], 0, v[160:161]
	v_mov_b32_e32 v180, v160
	v_mov_b32_e32 v182, v162
	v_cndmask_b32_e64 v181, v161, v181, s[0:1]
	v_cndmask_b32_e32 v183, v163, v183, vcc
	v_add_f64 v[180:181], v[180:181], v[182:183]
	s_waitcnt lgkmcnt(0)
	v_xor_b32_e32 v183, 0x80000000, v177
	v_xor_b32_e32 v185, 0x80000000, v179
	v_cmp_gt_f64_e32 vcc, 0, v[178:179]
	v_cmp_gt_f64_e64 s[0:1], 0, v[176:177]
	v_mov_b32_e32 v182, v176
	v_mov_b32_e32 v184, v178
	v_cndmask_b32_e64 v183, v177, v183, s[0:1]
	v_cndmask_b32_e32 v185, v179, v185, vcc
	v_add_f64 v[182:183], v[182:183], v[184:185]
	v_mov_b32_e32 v186, s16
	s_add_i32 s16, s16, 1
	v_cmp_lt_f64_e32 vcc, v[180:181], v[182:183]
	v_add_u32_e32 v171, 16, v171
	s_cmp_lg_u32 s20, s16
	v_cndmask_b32_e32 v161, v161, v177, vcc
	v_cndmask_b32_e32 v160, v160, v176, vcc
	;; [unrolled: 1-line block ×5, first 2 shown]
	s_cbranch_scc1 .LBB78_337
.LBB78_338:
	s_waitcnt lgkmcnt(0)
	v_cmp_eq_f64_e32 vcc, 0, v[160:161]
	v_cmp_eq_f64_e64 s[0:1], 0, v[162:163]
	s_and_b64 s[0:1], vcc, s[0:1]
	s_and_saveexec_b64 s[16:17], s[0:1]
	s_xor_b64 s[0:1], exec, s[16:17]
; %bb.339:
	v_cmp_ne_u32_e32 vcc, 0, v174
	s_nop 1
	v_cndmask_b32_e32 v174, 17, v174, vcc
; %bb.340:
	s_andn2_saveexec_b64 s[0:1], s[0:1]
	s_cbranch_execz .LBB78_346
; %bb.341:
	v_cmp_ngt_f64_e64 s[16:17], |v[160:161]|, |v[162:163]|
	s_and_saveexec_b64 s[18:19], s[16:17]
	s_xor_b64 s[16:17], exec, s[18:19]
	s_cbranch_execz .LBB78_343
; %bb.342:
	v_div_scale_f64 v[176:177], s[18:19], v[162:163], v[162:163], v[160:161]
	v_rcp_f64_e32 v[178:179], v[176:177]
	v_div_scale_f64 v[180:181], vcc, v[160:161], v[162:163], v[160:161]
	v_fma_f64 v[182:183], -v[176:177], v[178:179], 1.0
	v_fmac_f64_e32 v[178:179], v[178:179], v[182:183]
	v_fma_f64 v[182:183], -v[176:177], v[178:179], 1.0
	v_fmac_f64_e32 v[178:179], v[178:179], v[182:183]
	v_mul_f64 v[182:183], v[180:181], v[178:179]
	v_fma_f64 v[176:177], -v[176:177], v[182:183], v[180:181]
	v_div_fmas_f64 v[176:177], v[176:177], v[178:179], v[182:183]
	v_div_fixup_f64 v[176:177], v[176:177], v[162:163], v[160:161]
	v_fmac_f64_e32 v[162:163], v[160:161], v[176:177]
	v_div_scale_f64 v[160:161], s[18:19], v[162:163], v[162:163], 1.0
	v_rcp_f64_e32 v[178:179], v[160:161]
	s_nop 0
	v_fma_f64 v[180:181], -v[160:161], v[178:179], 1.0
	v_fmac_f64_e32 v[178:179], v[178:179], v[180:181]
	v_fma_f64 v[180:181], -v[160:161], v[178:179], 1.0
	v_fmac_f64_e32 v[178:179], v[178:179], v[180:181]
	v_div_scale_f64 v[180:181], vcc, 1.0, v[162:163], 1.0
	v_mul_f64 v[182:183], v[180:181], v[178:179]
	v_fma_f64 v[160:161], -v[160:161], v[182:183], v[180:181]
	s_nop 1
	v_div_fmas_f64 v[160:161], v[160:161], v[178:179], v[182:183]
	v_div_fixup_f64 v[162:163], v[160:161], v[162:163], 1.0
	v_mul_f64 v[160:161], v[176:177], v[162:163]
	v_xor_b32_e32 v163, 0x80000000, v163
.LBB78_343:
	s_andn2_saveexec_b64 s[16:17], s[16:17]
	s_cbranch_execz .LBB78_345
; %bb.344:
	v_div_scale_f64 v[176:177], s[18:19], v[160:161], v[160:161], v[162:163]
	v_rcp_f64_e32 v[178:179], v[176:177]
	v_div_scale_f64 v[180:181], vcc, v[162:163], v[160:161], v[162:163]
	v_fma_f64 v[182:183], -v[176:177], v[178:179], 1.0
	v_fmac_f64_e32 v[178:179], v[178:179], v[182:183]
	v_fma_f64 v[182:183], -v[176:177], v[178:179], 1.0
	v_fmac_f64_e32 v[178:179], v[178:179], v[182:183]
	v_mul_f64 v[182:183], v[180:181], v[178:179]
	v_fma_f64 v[176:177], -v[176:177], v[182:183], v[180:181]
	v_div_fmas_f64 v[176:177], v[176:177], v[178:179], v[182:183]
	v_div_fixup_f64 v[176:177], v[176:177], v[160:161], v[162:163]
	v_fmac_f64_e32 v[160:161], v[162:163], v[176:177]
	v_div_scale_f64 v[162:163], s[18:19], v[160:161], v[160:161], 1.0
	v_rcp_f64_e32 v[178:179], v[162:163]
	s_nop 0
	v_fma_f64 v[180:181], -v[162:163], v[178:179], 1.0
	v_fmac_f64_e32 v[178:179], v[178:179], v[180:181]
	v_fma_f64 v[180:181], -v[162:163], v[178:179], 1.0
	v_fmac_f64_e32 v[178:179], v[178:179], v[180:181]
	v_div_scale_f64 v[180:181], vcc, 1.0, v[160:161], 1.0
	v_mul_f64 v[182:183], v[180:181], v[178:179]
	v_fma_f64 v[162:163], -v[162:163], v[182:183], v[180:181]
	s_nop 1
	v_div_fmas_f64 v[162:163], v[162:163], v[178:179], v[182:183]
	v_div_fixup_f64 v[160:161], v[162:163], v[160:161], 1.0
	v_mul_f64 v[162:163], v[176:177], -v[160:161]
.LBB78_345:
	s_or_b64 exec, exec, s[16:17]
.LBB78_346:
	s_or_b64 exec, exec, s[0:1]
	v_cmp_ne_u32_e32 vcc, v173, v170
	s_and_saveexec_b64 s[0:1], vcc
	s_xor_b64 s[0:1], exec, s[0:1]
	s_cbranch_execz .LBB78_352
; %bb.347:
	v_cmp_eq_u32_e32 vcc, 16, v173
	s_and_saveexec_b64 s[16:17], vcc
	s_cbranch_execz .LBB78_351
; %bb.348:
	v_cmp_ne_u32_e32 vcc, 16, v170
	s_xor_b64 s[18:19], s[14:15], -1
	s_and_b64 s[22:23], s[18:19], vcc
	s_and_saveexec_b64 s[18:19], s[22:23]
	s_cbranch_execz .LBB78_350
; %bb.349:
	v_ashrrev_i32_e32 v171, 31, v170
	v_lshl_add_u64 v[176:177], v[170:171], 2, v[168:169]
	global_load_dword v171, v[176:177], off
	global_load_dword v173, v[168:169], off offset:64
	s_waitcnt vmcnt(1)
	global_store_dword v[168:169], v171, off offset:64
	s_waitcnt vmcnt(1)
	global_store_dword v[176:177], v173, off
.LBB78_350:
	s_or_b64 exec, exec, s[18:19]
	v_mov_b32_e32 v173, v170
	v_mov_b32_e32 v175, v170
.LBB78_351:
	s_or_b64 exec, exec, s[16:17]
.LBB78_352:
	s_andn2_saveexec_b64 s[0:1], s[0:1]
	s_cbranch_execz .LBB78_354
; %bb.353:
	v_mov_b32_e32 v173, 16
	s_waitcnt vmcnt(22)
	ds_write2_b64 v172, v[84:85], v[86:87] offset0:34 offset1:35
	s_waitcnt vmcnt(21)
	ds_write2_b64 v172, v[80:81], v[82:83] offset0:36 offset1:37
	;; [unrolled: 2-line block ×23, first 2 shown]
.LBB78_354:
	s_or_b64 exec, exec, s[0:1]
	v_cmp_lt_i32_e32 vcc, 16, v173
	s_waitcnt lgkmcnt(0)
	s_barrier
	s_and_saveexec_b64 s[0:1], vcc
	s_cbranch_execz .LBB78_356
; %bb.355:
	ds_read2_b64 v[176:179], v172 offset0:34 offset1:35
	v_mul_f64 v[170:171], v[162:163], v[90:91]
	v_mul_f64 v[90:91], v[160:161], v[90:91]
	v_fmac_f64_e32 v[90:91], v[162:163], v[88:89]
	v_fma_f64 v[170:171], v[160:161], v[88:89], -v[170:171]
	ds_read2_b64 v[160:163], v172 offset0:36 offset1:37
	s_waitcnt lgkmcnt(1)
	v_mul_f64 v[88:89], v[178:179], v[90:91]
	v_fma_f64 v[88:89], v[176:177], v[170:171], -v[88:89]
	v_mul_f64 v[176:177], v[176:177], v[90:91]
	v_fmac_f64_e32 v[176:177], v[178:179], v[170:171]
	s_waitcnt vmcnt(22)
	v_add_f64 v[86:87], v[86:87], -v[176:177]
	ds_read2_b64 v[176:179], v172 offset0:38 offset1:39
	v_add_f64 v[84:85], v[84:85], -v[88:89]
	s_waitcnt lgkmcnt(1)
	v_mul_f64 v[88:89], v[162:163], v[90:91]
	v_fma_f64 v[88:89], v[160:161], v[170:171], -v[88:89]
	v_mul_f64 v[160:161], v[160:161], v[90:91]
	v_fmac_f64_e32 v[160:161], v[162:163], v[170:171]
	s_waitcnt vmcnt(21)
	v_add_f64 v[80:81], v[80:81], -v[88:89]
	v_add_f64 v[82:83], v[82:83], -v[160:161]
	ds_read2_b64 v[160:163], v172 offset0:40 offset1:41
	s_waitcnt lgkmcnt(1)
	v_mul_f64 v[88:89], v[178:179], v[90:91]
	v_fma_f64 v[88:89], v[176:177], v[170:171], -v[88:89]
	v_mul_f64 v[176:177], v[176:177], v[90:91]
	v_fmac_f64_e32 v[176:177], v[178:179], v[170:171]
	s_waitcnt vmcnt(20)
	v_add_f64 v[78:79], v[78:79], -v[176:177]
	ds_read2_b64 v[176:179], v172 offset0:42 offset1:43
	v_add_f64 v[76:77], v[76:77], -v[88:89]
	s_waitcnt lgkmcnt(1)
	v_mul_f64 v[88:89], v[162:163], v[90:91]
	v_fma_f64 v[88:89], v[160:161], v[170:171], -v[88:89]
	v_mul_f64 v[160:161], v[160:161], v[90:91]
	v_fmac_f64_e32 v[160:161], v[162:163], v[170:171]
	s_waitcnt vmcnt(19)
	v_add_f64 v[72:73], v[72:73], -v[88:89]
	v_add_f64 v[74:75], v[74:75], -v[160:161]
	;; [unrolled: 18-line block ×11, first 2 shown]
	s_waitcnt lgkmcnt(0)
	v_mul_f64 v[88:89], v[178:179], v[90:91]
	v_mul_f64 v[160:161], v[176:177], v[90:91]
	v_fma_f64 v[88:89], v[176:177], v[170:171], -v[88:89]
	v_fmac_f64_e32 v[160:161], v[178:179], v[170:171]
	s_waitcnt vmcnt(0)
	v_add_f64 v[156:157], v[156:157], -v[88:89]
	v_add_f64 v[158:159], v[158:159], -v[160:161]
	v_mov_b64_e32 v[88:89], v[170:171]
.LBB78_356:
	s_or_b64 exec, exec, s[0:1]
	v_lshl_add_u32 v160, v173, 4, v172
	s_barrier
	s_waitcnt vmcnt(22)
	ds_write2_b64 v160, v[84:85], v[86:87] offset1:1
	s_waitcnt lgkmcnt(0)
	s_barrier
	ds_read2_b64 v[160:163], v172 offset0:34 offset1:35
	s_cmp_lt_i32 s20, 19
	v_mov_b32_e32 v170, 17
	s_cbranch_scc1 .LBB78_359
; %bb.357:
	v_add_u32_e32 v171, 0x120, v172
	s_mov_b32 s16, 18
	v_mov_b32_e32 v170, 17
.LBB78_358:                             ; =>This Inner Loop Header: Depth=1
	ds_read2_b64 v[176:179], v171 offset1:1
	s_waitcnt lgkmcnt(1)
	v_xor_b32_e32 v181, 0x80000000, v161
	v_xor_b32_e32 v183, 0x80000000, v163
	v_cmp_gt_f64_e32 vcc, 0, v[162:163]
	v_cmp_gt_f64_e64 s[0:1], 0, v[160:161]
	v_mov_b32_e32 v180, v160
	v_mov_b32_e32 v182, v162
	v_cndmask_b32_e64 v181, v161, v181, s[0:1]
	v_cndmask_b32_e32 v183, v163, v183, vcc
	v_add_f64 v[180:181], v[180:181], v[182:183]
	s_waitcnt lgkmcnt(0)
	v_xor_b32_e32 v183, 0x80000000, v177
	v_xor_b32_e32 v185, 0x80000000, v179
	v_cmp_gt_f64_e32 vcc, 0, v[178:179]
	v_cmp_gt_f64_e64 s[0:1], 0, v[176:177]
	v_mov_b32_e32 v182, v176
	v_mov_b32_e32 v184, v178
	v_cndmask_b32_e64 v183, v177, v183, s[0:1]
	v_cndmask_b32_e32 v185, v179, v185, vcc
	v_add_f64 v[182:183], v[182:183], v[184:185]
	v_mov_b32_e32 v186, s16
	s_add_i32 s16, s16, 1
	v_cmp_lt_f64_e32 vcc, v[180:181], v[182:183]
	v_add_u32_e32 v171, 16, v171
	s_cmp_lg_u32 s20, s16
	v_cndmask_b32_e32 v161, v161, v177, vcc
	v_cndmask_b32_e32 v160, v160, v176, vcc
	;; [unrolled: 1-line block ×5, first 2 shown]
	s_cbranch_scc1 .LBB78_358
.LBB78_359:
	s_waitcnt lgkmcnt(0)
	v_cmp_eq_f64_e32 vcc, 0, v[160:161]
	v_cmp_eq_f64_e64 s[0:1], 0, v[162:163]
	s_and_b64 s[0:1], vcc, s[0:1]
	s_and_saveexec_b64 s[16:17], s[0:1]
	s_xor_b64 s[0:1], exec, s[16:17]
; %bb.360:
	v_cmp_ne_u32_e32 vcc, 0, v174
	s_nop 1
	v_cndmask_b32_e32 v174, 18, v174, vcc
; %bb.361:
	s_andn2_saveexec_b64 s[0:1], s[0:1]
	s_cbranch_execz .LBB78_367
; %bb.362:
	v_cmp_ngt_f64_e64 s[16:17], |v[160:161]|, |v[162:163]|
	s_and_saveexec_b64 s[18:19], s[16:17]
	s_xor_b64 s[16:17], exec, s[18:19]
	s_cbranch_execz .LBB78_364
; %bb.363:
	v_div_scale_f64 v[176:177], s[18:19], v[162:163], v[162:163], v[160:161]
	v_rcp_f64_e32 v[178:179], v[176:177]
	v_div_scale_f64 v[180:181], vcc, v[160:161], v[162:163], v[160:161]
	v_fma_f64 v[182:183], -v[176:177], v[178:179], 1.0
	v_fmac_f64_e32 v[178:179], v[178:179], v[182:183]
	v_fma_f64 v[182:183], -v[176:177], v[178:179], 1.0
	v_fmac_f64_e32 v[178:179], v[178:179], v[182:183]
	v_mul_f64 v[182:183], v[180:181], v[178:179]
	v_fma_f64 v[176:177], -v[176:177], v[182:183], v[180:181]
	v_div_fmas_f64 v[176:177], v[176:177], v[178:179], v[182:183]
	v_div_fixup_f64 v[176:177], v[176:177], v[162:163], v[160:161]
	v_fmac_f64_e32 v[162:163], v[160:161], v[176:177]
	v_div_scale_f64 v[160:161], s[18:19], v[162:163], v[162:163], 1.0
	v_rcp_f64_e32 v[178:179], v[160:161]
	s_nop 0
	v_fma_f64 v[180:181], -v[160:161], v[178:179], 1.0
	v_fmac_f64_e32 v[178:179], v[178:179], v[180:181]
	v_fma_f64 v[180:181], -v[160:161], v[178:179], 1.0
	v_fmac_f64_e32 v[178:179], v[178:179], v[180:181]
	v_div_scale_f64 v[180:181], vcc, 1.0, v[162:163], 1.0
	v_mul_f64 v[182:183], v[180:181], v[178:179]
	v_fma_f64 v[160:161], -v[160:161], v[182:183], v[180:181]
	s_nop 1
	v_div_fmas_f64 v[160:161], v[160:161], v[178:179], v[182:183]
	v_div_fixup_f64 v[162:163], v[160:161], v[162:163], 1.0
	v_mul_f64 v[160:161], v[176:177], v[162:163]
	v_xor_b32_e32 v163, 0x80000000, v163
.LBB78_364:
	s_andn2_saveexec_b64 s[16:17], s[16:17]
	s_cbranch_execz .LBB78_366
; %bb.365:
	v_div_scale_f64 v[176:177], s[18:19], v[160:161], v[160:161], v[162:163]
	v_rcp_f64_e32 v[178:179], v[176:177]
	v_div_scale_f64 v[180:181], vcc, v[162:163], v[160:161], v[162:163]
	v_fma_f64 v[182:183], -v[176:177], v[178:179], 1.0
	v_fmac_f64_e32 v[178:179], v[178:179], v[182:183]
	v_fma_f64 v[182:183], -v[176:177], v[178:179], 1.0
	v_fmac_f64_e32 v[178:179], v[178:179], v[182:183]
	v_mul_f64 v[182:183], v[180:181], v[178:179]
	v_fma_f64 v[176:177], -v[176:177], v[182:183], v[180:181]
	v_div_fmas_f64 v[176:177], v[176:177], v[178:179], v[182:183]
	v_div_fixup_f64 v[176:177], v[176:177], v[160:161], v[162:163]
	v_fmac_f64_e32 v[160:161], v[162:163], v[176:177]
	v_div_scale_f64 v[162:163], s[18:19], v[160:161], v[160:161], 1.0
	v_rcp_f64_e32 v[178:179], v[162:163]
	s_nop 0
	v_fma_f64 v[180:181], -v[162:163], v[178:179], 1.0
	v_fmac_f64_e32 v[178:179], v[178:179], v[180:181]
	v_fma_f64 v[180:181], -v[162:163], v[178:179], 1.0
	v_fmac_f64_e32 v[178:179], v[178:179], v[180:181]
	v_div_scale_f64 v[180:181], vcc, 1.0, v[160:161], 1.0
	v_mul_f64 v[182:183], v[180:181], v[178:179]
	v_fma_f64 v[162:163], -v[162:163], v[182:183], v[180:181]
	s_nop 1
	v_div_fmas_f64 v[162:163], v[162:163], v[178:179], v[182:183]
	v_div_fixup_f64 v[160:161], v[162:163], v[160:161], 1.0
	v_mul_f64 v[162:163], v[176:177], -v[160:161]
.LBB78_366:
	s_or_b64 exec, exec, s[16:17]
.LBB78_367:
	s_or_b64 exec, exec, s[0:1]
	v_cmp_ne_u32_e32 vcc, v173, v170
	s_and_saveexec_b64 s[0:1], vcc
	s_xor_b64 s[0:1], exec, s[0:1]
	s_cbranch_execz .LBB78_373
; %bb.368:
	v_cmp_eq_u32_e32 vcc, 17, v173
	s_and_saveexec_b64 s[16:17], vcc
	s_cbranch_execz .LBB78_372
; %bb.369:
	v_cmp_ne_u32_e32 vcc, 17, v170
	s_xor_b64 s[18:19], s[14:15], -1
	s_and_b64 s[22:23], s[18:19], vcc
	s_and_saveexec_b64 s[18:19], s[22:23]
	s_cbranch_execz .LBB78_371
; %bb.370:
	v_ashrrev_i32_e32 v171, 31, v170
	v_lshl_add_u64 v[176:177], v[170:171], 2, v[168:169]
	global_load_dword v171, v[176:177], off
	global_load_dword v173, v[168:169], off offset:68
	s_waitcnt vmcnt(1)
	global_store_dword v[168:169], v171, off offset:68
	s_waitcnt vmcnt(1)
	global_store_dword v[176:177], v173, off
.LBB78_371:
	s_or_b64 exec, exec, s[18:19]
	v_mov_b32_e32 v173, v170
	v_mov_b32_e32 v175, v170
.LBB78_372:
	s_or_b64 exec, exec, s[16:17]
.LBB78_373:
	s_andn2_saveexec_b64 s[0:1], s[0:1]
	s_cbranch_execz .LBB78_375
; %bb.374:
	v_mov_b32_e32 v173, 17
	s_waitcnt vmcnt(21)
	ds_write2_b64 v172, v[80:81], v[82:83] offset0:36 offset1:37
	s_waitcnt vmcnt(20)
	ds_write2_b64 v172, v[76:77], v[78:79] offset0:38 offset1:39
	;; [unrolled: 2-line block ×22, first 2 shown]
.LBB78_375:
	s_or_b64 exec, exec, s[0:1]
	v_cmp_lt_i32_e32 vcc, 17, v173
	s_waitcnt lgkmcnt(0)
	s_barrier
	s_and_saveexec_b64 s[0:1], vcc
	s_cbranch_execz .LBB78_377
; %bb.376:
	ds_read2_b64 v[176:179], v172 offset0:36 offset1:37
	v_mul_f64 v[170:171], v[162:163], v[86:87]
	v_mul_f64 v[86:87], v[160:161], v[86:87]
	v_fma_f64 v[170:171], v[160:161], v[84:85], -v[170:171]
	v_fmac_f64_e32 v[86:87], v[162:163], v[84:85]
	ds_read2_b64 v[160:163], v172 offset0:38 offset1:39
	s_waitcnt lgkmcnt(1)
	v_mul_f64 v[84:85], v[178:179], v[86:87]
	v_fma_f64 v[84:85], v[176:177], v[170:171], -v[84:85]
	v_mul_f64 v[176:177], v[176:177], v[86:87]
	v_fmac_f64_e32 v[176:177], v[178:179], v[170:171]
	s_waitcnt vmcnt(21)
	v_add_f64 v[80:81], v[80:81], -v[84:85]
	s_waitcnt lgkmcnt(0)
	v_mul_f64 v[84:85], v[162:163], v[86:87]
	v_add_f64 v[82:83], v[82:83], -v[176:177]
	v_fma_f64 v[84:85], v[160:161], v[170:171], -v[84:85]
	v_mul_f64 v[160:161], v[160:161], v[86:87]
	ds_read2_b64 v[176:179], v172 offset0:40 offset1:41
	v_fmac_f64_e32 v[160:161], v[162:163], v[170:171]
	s_waitcnt vmcnt(20)
	v_add_f64 v[78:79], v[78:79], -v[160:161]
	ds_read2_b64 v[160:163], v172 offset0:42 offset1:43
	v_add_f64 v[76:77], v[76:77], -v[84:85]
	s_waitcnt lgkmcnt(1)
	v_mul_f64 v[84:85], v[178:179], v[86:87]
	v_fma_f64 v[84:85], v[176:177], v[170:171], -v[84:85]
	v_mul_f64 v[176:177], v[176:177], v[86:87]
	v_fmac_f64_e32 v[176:177], v[178:179], v[170:171]
	s_waitcnt vmcnt(19)
	v_add_f64 v[72:73], v[72:73], -v[84:85]
	s_waitcnt lgkmcnt(0)
	v_mul_f64 v[84:85], v[162:163], v[86:87]
	v_add_f64 v[74:75], v[74:75], -v[176:177]
	v_fma_f64 v[84:85], v[160:161], v[170:171], -v[84:85]
	v_mul_f64 v[160:161], v[160:161], v[86:87]
	ds_read2_b64 v[176:179], v172 offset0:44 offset1:45
	v_fmac_f64_e32 v[160:161], v[162:163], v[170:171]
	s_waitcnt vmcnt(18)
	v_add_f64 v[70:71], v[70:71], -v[160:161]
	ds_read2_b64 v[160:163], v172 offset0:46 offset1:47
	v_add_f64 v[68:69], v[68:69], -v[84:85]
	;; [unrolled: 18-line block ×10, first 2 shown]
	s_waitcnt lgkmcnt(1)
	v_mul_f64 v[84:85], v[178:179], v[86:87]
	v_fma_f64 v[84:85], v[176:177], v[170:171], -v[84:85]
	s_waitcnt vmcnt(1)
	v_add_f64 v[0:1], v[0:1], -v[84:85]
	s_waitcnt lgkmcnt(0)
	v_mul_f64 v[84:85], v[162:163], v[86:87]
	v_mul_f64 v[176:177], v[176:177], v[86:87]
	v_fma_f64 v[84:85], v[160:161], v[170:171], -v[84:85]
	v_mul_f64 v[160:161], v[160:161], v[86:87]
	v_fmac_f64_e32 v[176:177], v[178:179], v[170:171]
	v_fmac_f64_e32 v[160:161], v[162:163], v[170:171]
	v_add_f64 v[2:3], v[2:3], -v[176:177]
	s_waitcnt vmcnt(0)
	v_add_f64 v[156:157], v[156:157], -v[84:85]
	v_add_f64 v[158:159], v[158:159], -v[160:161]
	v_mov_b64_e32 v[84:85], v[170:171]
.LBB78_377:
	s_or_b64 exec, exec, s[0:1]
	v_lshl_add_u32 v160, v173, 4, v172
	s_barrier
	s_waitcnt vmcnt(21)
	ds_write2_b64 v160, v[80:81], v[82:83] offset1:1
	s_waitcnt lgkmcnt(0)
	s_barrier
	ds_read2_b64 v[160:163], v172 offset0:36 offset1:37
	s_cmp_lt_i32 s20, 20
	v_mov_b32_e32 v170, 18
	s_cbranch_scc1 .LBB78_380
; %bb.378:
	v_add_u32_e32 v171, 0x130, v172
	s_mov_b32 s16, 19
	v_mov_b32_e32 v170, 18
.LBB78_379:                             ; =>This Inner Loop Header: Depth=1
	ds_read2_b64 v[176:179], v171 offset1:1
	s_waitcnt lgkmcnt(1)
	v_xor_b32_e32 v181, 0x80000000, v161
	v_xor_b32_e32 v183, 0x80000000, v163
	v_cmp_gt_f64_e32 vcc, 0, v[162:163]
	v_cmp_gt_f64_e64 s[0:1], 0, v[160:161]
	v_mov_b32_e32 v180, v160
	v_mov_b32_e32 v182, v162
	v_cndmask_b32_e64 v181, v161, v181, s[0:1]
	v_cndmask_b32_e32 v183, v163, v183, vcc
	v_add_f64 v[180:181], v[180:181], v[182:183]
	s_waitcnt lgkmcnt(0)
	v_xor_b32_e32 v183, 0x80000000, v177
	v_xor_b32_e32 v185, 0x80000000, v179
	v_cmp_gt_f64_e32 vcc, 0, v[178:179]
	v_cmp_gt_f64_e64 s[0:1], 0, v[176:177]
	v_mov_b32_e32 v182, v176
	v_mov_b32_e32 v184, v178
	v_cndmask_b32_e64 v183, v177, v183, s[0:1]
	v_cndmask_b32_e32 v185, v179, v185, vcc
	v_add_f64 v[182:183], v[182:183], v[184:185]
	v_mov_b32_e32 v186, s16
	s_add_i32 s16, s16, 1
	v_cmp_lt_f64_e32 vcc, v[180:181], v[182:183]
	v_add_u32_e32 v171, 16, v171
	s_cmp_lg_u32 s20, s16
	v_cndmask_b32_e32 v161, v161, v177, vcc
	v_cndmask_b32_e32 v160, v160, v176, vcc
	;; [unrolled: 1-line block ×5, first 2 shown]
	s_cbranch_scc1 .LBB78_379
.LBB78_380:
	s_waitcnt lgkmcnt(0)
	v_cmp_eq_f64_e32 vcc, 0, v[160:161]
	v_cmp_eq_f64_e64 s[0:1], 0, v[162:163]
	s_and_b64 s[0:1], vcc, s[0:1]
	s_and_saveexec_b64 s[16:17], s[0:1]
	s_xor_b64 s[0:1], exec, s[16:17]
; %bb.381:
	v_cmp_ne_u32_e32 vcc, 0, v174
	s_nop 1
	v_cndmask_b32_e32 v174, 19, v174, vcc
; %bb.382:
	s_andn2_saveexec_b64 s[0:1], s[0:1]
	s_cbranch_execz .LBB78_388
; %bb.383:
	v_cmp_ngt_f64_e64 s[16:17], |v[160:161]|, |v[162:163]|
	s_and_saveexec_b64 s[18:19], s[16:17]
	s_xor_b64 s[16:17], exec, s[18:19]
	s_cbranch_execz .LBB78_385
; %bb.384:
	v_div_scale_f64 v[176:177], s[18:19], v[162:163], v[162:163], v[160:161]
	v_rcp_f64_e32 v[178:179], v[176:177]
	v_div_scale_f64 v[180:181], vcc, v[160:161], v[162:163], v[160:161]
	v_fma_f64 v[182:183], -v[176:177], v[178:179], 1.0
	v_fmac_f64_e32 v[178:179], v[178:179], v[182:183]
	v_fma_f64 v[182:183], -v[176:177], v[178:179], 1.0
	v_fmac_f64_e32 v[178:179], v[178:179], v[182:183]
	v_mul_f64 v[182:183], v[180:181], v[178:179]
	v_fma_f64 v[176:177], -v[176:177], v[182:183], v[180:181]
	v_div_fmas_f64 v[176:177], v[176:177], v[178:179], v[182:183]
	v_div_fixup_f64 v[176:177], v[176:177], v[162:163], v[160:161]
	v_fmac_f64_e32 v[162:163], v[160:161], v[176:177]
	v_div_scale_f64 v[160:161], s[18:19], v[162:163], v[162:163], 1.0
	v_rcp_f64_e32 v[178:179], v[160:161]
	s_nop 0
	v_fma_f64 v[180:181], -v[160:161], v[178:179], 1.0
	v_fmac_f64_e32 v[178:179], v[178:179], v[180:181]
	v_fma_f64 v[180:181], -v[160:161], v[178:179], 1.0
	v_fmac_f64_e32 v[178:179], v[178:179], v[180:181]
	v_div_scale_f64 v[180:181], vcc, 1.0, v[162:163], 1.0
	v_mul_f64 v[182:183], v[180:181], v[178:179]
	v_fma_f64 v[160:161], -v[160:161], v[182:183], v[180:181]
	s_nop 1
	v_div_fmas_f64 v[160:161], v[160:161], v[178:179], v[182:183]
	v_div_fixup_f64 v[162:163], v[160:161], v[162:163], 1.0
	v_mul_f64 v[160:161], v[176:177], v[162:163]
	v_xor_b32_e32 v163, 0x80000000, v163
.LBB78_385:
	s_andn2_saveexec_b64 s[16:17], s[16:17]
	s_cbranch_execz .LBB78_387
; %bb.386:
	v_div_scale_f64 v[176:177], s[18:19], v[160:161], v[160:161], v[162:163]
	v_rcp_f64_e32 v[178:179], v[176:177]
	v_div_scale_f64 v[180:181], vcc, v[162:163], v[160:161], v[162:163]
	v_fma_f64 v[182:183], -v[176:177], v[178:179], 1.0
	v_fmac_f64_e32 v[178:179], v[178:179], v[182:183]
	v_fma_f64 v[182:183], -v[176:177], v[178:179], 1.0
	v_fmac_f64_e32 v[178:179], v[178:179], v[182:183]
	v_mul_f64 v[182:183], v[180:181], v[178:179]
	v_fma_f64 v[176:177], -v[176:177], v[182:183], v[180:181]
	v_div_fmas_f64 v[176:177], v[176:177], v[178:179], v[182:183]
	v_div_fixup_f64 v[176:177], v[176:177], v[160:161], v[162:163]
	v_fmac_f64_e32 v[160:161], v[162:163], v[176:177]
	v_div_scale_f64 v[162:163], s[18:19], v[160:161], v[160:161], 1.0
	v_rcp_f64_e32 v[178:179], v[162:163]
	s_nop 0
	v_fma_f64 v[180:181], -v[162:163], v[178:179], 1.0
	v_fmac_f64_e32 v[178:179], v[178:179], v[180:181]
	v_fma_f64 v[180:181], -v[162:163], v[178:179], 1.0
	v_fmac_f64_e32 v[178:179], v[178:179], v[180:181]
	v_div_scale_f64 v[180:181], vcc, 1.0, v[160:161], 1.0
	v_mul_f64 v[182:183], v[180:181], v[178:179]
	v_fma_f64 v[162:163], -v[162:163], v[182:183], v[180:181]
	s_nop 1
	v_div_fmas_f64 v[162:163], v[162:163], v[178:179], v[182:183]
	v_div_fixup_f64 v[160:161], v[162:163], v[160:161], 1.0
	v_mul_f64 v[162:163], v[176:177], -v[160:161]
.LBB78_387:
	s_or_b64 exec, exec, s[16:17]
.LBB78_388:
	s_or_b64 exec, exec, s[0:1]
	v_cmp_ne_u32_e32 vcc, v173, v170
	s_and_saveexec_b64 s[0:1], vcc
	s_xor_b64 s[0:1], exec, s[0:1]
	s_cbranch_execz .LBB78_394
; %bb.389:
	v_cmp_eq_u32_e32 vcc, 18, v173
	s_and_saveexec_b64 s[16:17], vcc
	s_cbranch_execz .LBB78_393
; %bb.390:
	v_cmp_ne_u32_e32 vcc, 18, v170
	s_xor_b64 s[18:19], s[14:15], -1
	s_and_b64 s[22:23], s[18:19], vcc
	s_and_saveexec_b64 s[18:19], s[22:23]
	s_cbranch_execz .LBB78_392
; %bb.391:
	v_ashrrev_i32_e32 v171, 31, v170
	v_lshl_add_u64 v[176:177], v[170:171], 2, v[168:169]
	global_load_dword v171, v[176:177], off
	global_load_dword v173, v[168:169], off offset:72
	s_waitcnt vmcnt(1)
	global_store_dword v[168:169], v171, off offset:72
	s_waitcnt vmcnt(1)
	global_store_dword v[176:177], v173, off
.LBB78_392:
	s_or_b64 exec, exec, s[18:19]
	v_mov_b32_e32 v173, v170
	v_mov_b32_e32 v175, v170
.LBB78_393:
	s_or_b64 exec, exec, s[16:17]
.LBB78_394:
	s_andn2_saveexec_b64 s[0:1], s[0:1]
	s_cbranch_execz .LBB78_396
; %bb.395:
	v_mov_b32_e32 v173, 18
	s_waitcnt vmcnt(20)
	ds_write2_b64 v172, v[76:77], v[78:79] offset0:38 offset1:39
	s_waitcnt vmcnt(19)
	ds_write2_b64 v172, v[72:73], v[74:75] offset0:40 offset1:41
	;; [unrolled: 2-line block ×21, first 2 shown]
.LBB78_396:
	s_or_b64 exec, exec, s[0:1]
	v_cmp_lt_i32_e32 vcc, 18, v173
	s_waitcnt lgkmcnt(0)
	s_barrier
	s_and_saveexec_b64 s[0:1], vcc
	s_cbranch_execz .LBB78_398
; %bb.397:
	ds_read2_b64 v[176:179], v172 offset0:38 offset1:39
	v_mul_f64 v[170:171], v[162:163], v[82:83]
	v_mul_f64 v[82:83], v[160:161], v[82:83]
	v_fmac_f64_e32 v[82:83], v[162:163], v[80:81]
	v_fma_f64 v[170:171], v[160:161], v[80:81], -v[170:171]
	ds_read2_b64 v[160:163], v172 offset0:40 offset1:41
	s_waitcnt lgkmcnt(1)
	v_mul_f64 v[80:81], v[178:179], v[82:83]
	v_fma_f64 v[80:81], v[176:177], v[170:171], -v[80:81]
	v_mul_f64 v[176:177], v[176:177], v[82:83]
	v_fmac_f64_e32 v[176:177], v[178:179], v[170:171]
	s_waitcnt vmcnt(20)
	v_add_f64 v[78:79], v[78:79], -v[176:177]
	ds_read2_b64 v[176:179], v172 offset0:42 offset1:43
	v_add_f64 v[76:77], v[76:77], -v[80:81]
	s_waitcnt lgkmcnt(1)
	v_mul_f64 v[80:81], v[162:163], v[82:83]
	v_fma_f64 v[80:81], v[160:161], v[170:171], -v[80:81]
	v_mul_f64 v[160:161], v[160:161], v[82:83]
	v_fmac_f64_e32 v[160:161], v[162:163], v[170:171]
	s_waitcnt vmcnt(19)
	v_add_f64 v[72:73], v[72:73], -v[80:81]
	v_add_f64 v[74:75], v[74:75], -v[160:161]
	ds_read2_b64 v[160:163], v172 offset0:44 offset1:45
	s_waitcnt lgkmcnt(1)
	v_mul_f64 v[80:81], v[178:179], v[82:83]
	v_fma_f64 v[80:81], v[176:177], v[170:171], -v[80:81]
	v_mul_f64 v[176:177], v[176:177], v[82:83]
	v_fmac_f64_e32 v[176:177], v[178:179], v[170:171]
	s_waitcnt vmcnt(18)
	v_add_f64 v[70:71], v[70:71], -v[176:177]
	ds_read2_b64 v[176:179], v172 offset0:46 offset1:47
	v_add_f64 v[68:69], v[68:69], -v[80:81]
	s_waitcnt lgkmcnt(1)
	v_mul_f64 v[80:81], v[162:163], v[82:83]
	v_fma_f64 v[80:81], v[160:161], v[170:171], -v[80:81]
	v_mul_f64 v[160:161], v[160:161], v[82:83]
	v_fmac_f64_e32 v[160:161], v[162:163], v[170:171]
	s_waitcnt vmcnt(17)
	v_add_f64 v[64:65], v[64:65], -v[80:81]
	v_add_f64 v[66:67], v[66:67], -v[160:161]
	;; [unrolled: 18-line block ×10, first 2 shown]
	s_waitcnt lgkmcnt(0)
	v_mul_f64 v[80:81], v[178:179], v[82:83]
	v_mul_f64 v[160:161], v[176:177], v[82:83]
	v_fma_f64 v[80:81], v[176:177], v[170:171], -v[80:81]
	v_fmac_f64_e32 v[160:161], v[178:179], v[170:171]
	s_waitcnt vmcnt(0)
	v_add_f64 v[156:157], v[156:157], -v[80:81]
	v_add_f64 v[158:159], v[158:159], -v[160:161]
	v_mov_b64_e32 v[80:81], v[170:171]
.LBB78_398:
	s_or_b64 exec, exec, s[0:1]
	v_lshl_add_u32 v160, v173, 4, v172
	s_barrier
	s_waitcnt vmcnt(20)
	ds_write2_b64 v160, v[76:77], v[78:79] offset1:1
	s_waitcnt lgkmcnt(0)
	s_barrier
	ds_read2_b64 v[160:163], v172 offset0:38 offset1:39
	s_cmp_lt_i32 s20, 21
	v_mov_b32_e32 v170, 19
	s_cbranch_scc1 .LBB78_401
; %bb.399:
	v_add_u32_e32 v171, 0x140, v172
	s_mov_b32 s16, 20
	v_mov_b32_e32 v170, 19
.LBB78_400:                             ; =>This Inner Loop Header: Depth=1
	ds_read2_b64 v[176:179], v171 offset1:1
	s_waitcnt lgkmcnt(1)
	v_xor_b32_e32 v181, 0x80000000, v161
	v_xor_b32_e32 v183, 0x80000000, v163
	v_cmp_gt_f64_e32 vcc, 0, v[162:163]
	v_cmp_gt_f64_e64 s[0:1], 0, v[160:161]
	v_mov_b32_e32 v180, v160
	v_mov_b32_e32 v182, v162
	v_cndmask_b32_e64 v181, v161, v181, s[0:1]
	v_cndmask_b32_e32 v183, v163, v183, vcc
	v_add_f64 v[180:181], v[180:181], v[182:183]
	s_waitcnt lgkmcnt(0)
	v_xor_b32_e32 v183, 0x80000000, v177
	v_xor_b32_e32 v185, 0x80000000, v179
	v_cmp_gt_f64_e32 vcc, 0, v[178:179]
	v_cmp_gt_f64_e64 s[0:1], 0, v[176:177]
	v_mov_b32_e32 v182, v176
	v_mov_b32_e32 v184, v178
	v_cndmask_b32_e64 v183, v177, v183, s[0:1]
	v_cndmask_b32_e32 v185, v179, v185, vcc
	v_add_f64 v[182:183], v[182:183], v[184:185]
	v_mov_b32_e32 v186, s16
	s_add_i32 s16, s16, 1
	v_cmp_lt_f64_e32 vcc, v[180:181], v[182:183]
	v_add_u32_e32 v171, 16, v171
	s_cmp_lg_u32 s20, s16
	v_cndmask_b32_e32 v161, v161, v177, vcc
	v_cndmask_b32_e32 v160, v160, v176, vcc
	;; [unrolled: 1-line block ×5, first 2 shown]
	s_cbranch_scc1 .LBB78_400
.LBB78_401:
	s_waitcnt lgkmcnt(0)
	v_cmp_eq_f64_e32 vcc, 0, v[160:161]
	v_cmp_eq_f64_e64 s[0:1], 0, v[162:163]
	s_and_b64 s[0:1], vcc, s[0:1]
	s_and_saveexec_b64 s[16:17], s[0:1]
	s_xor_b64 s[0:1], exec, s[16:17]
; %bb.402:
	v_cmp_ne_u32_e32 vcc, 0, v174
	s_nop 1
	v_cndmask_b32_e32 v174, 20, v174, vcc
; %bb.403:
	s_andn2_saveexec_b64 s[0:1], s[0:1]
	s_cbranch_execz .LBB78_409
; %bb.404:
	v_cmp_ngt_f64_e64 s[16:17], |v[160:161]|, |v[162:163]|
	s_and_saveexec_b64 s[18:19], s[16:17]
	s_xor_b64 s[16:17], exec, s[18:19]
	s_cbranch_execz .LBB78_406
; %bb.405:
	v_div_scale_f64 v[176:177], s[18:19], v[162:163], v[162:163], v[160:161]
	v_rcp_f64_e32 v[178:179], v[176:177]
	v_div_scale_f64 v[180:181], vcc, v[160:161], v[162:163], v[160:161]
	v_fma_f64 v[182:183], -v[176:177], v[178:179], 1.0
	v_fmac_f64_e32 v[178:179], v[178:179], v[182:183]
	v_fma_f64 v[182:183], -v[176:177], v[178:179], 1.0
	v_fmac_f64_e32 v[178:179], v[178:179], v[182:183]
	v_mul_f64 v[182:183], v[180:181], v[178:179]
	v_fma_f64 v[176:177], -v[176:177], v[182:183], v[180:181]
	v_div_fmas_f64 v[176:177], v[176:177], v[178:179], v[182:183]
	v_div_fixup_f64 v[176:177], v[176:177], v[162:163], v[160:161]
	v_fmac_f64_e32 v[162:163], v[160:161], v[176:177]
	v_div_scale_f64 v[160:161], s[18:19], v[162:163], v[162:163], 1.0
	v_rcp_f64_e32 v[178:179], v[160:161]
	s_nop 0
	v_fma_f64 v[180:181], -v[160:161], v[178:179], 1.0
	v_fmac_f64_e32 v[178:179], v[178:179], v[180:181]
	v_fma_f64 v[180:181], -v[160:161], v[178:179], 1.0
	v_fmac_f64_e32 v[178:179], v[178:179], v[180:181]
	v_div_scale_f64 v[180:181], vcc, 1.0, v[162:163], 1.0
	v_mul_f64 v[182:183], v[180:181], v[178:179]
	v_fma_f64 v[160:161], -v[160:161], v[182:183], v[180:181]
	s_nop 1
	v_div_fmas_f64 v[160:161], v[160:161], v[178:179], v[182:183]
	v_div_fixup_f64 v[162:163], v[160:161], v[162:163], 1.0
	v_mul_f64 v[160:161], v[176:177], v[162:163]
	v_xor_b32_e32 v163, 0x80000000, v163
.LBB78_406:
	s_andn2_saveexec_b64 s[16:17], s[16:17]
	s_cbranch_execz .LBB78_408
; %bb.407:
	v_div_scale_f64 v[176:177], s[18:19], v[160:161], v[160:161], v[162:163]
	v_rcp_f64_e32 v[178:179], v[176:177]
	v_div_scale_f64 v[180:181], vcc, v[162:163], v[160:161], v[162:163]
	v_fma_f64 v[182:183], -v[176:177], v[178:179], 1.0
	v_fmac_f64_e32 v[178:179], v[178:179], v[182:183]
	v_fma_f64 v[182:183], -v[176:177], v[178:179], 1.0
	v_fmac_f64_e32 v[178:179], v[178:179], v[182:183]
	v_mul_f64 v[182:183], v[180:181], v[178:179]
	v_fma_f64 v[176:177], -v[176:177], v[182:183], v[180:181]
	v_div_fmas_f64 v[176:177], v[176:177], v[178:179], v[182:183]
	v_div_fixup_f64 v[176:177], v[176:177], v[160:161], v[162:163]
	v_fmac_f64_e32 v[160:161], v[162:163], v[176:177]
	v_div_scale_f64 v[162:163], s[18:19], v[160:161], v[160:161], 1.0
	v_rcp_f64_e32 v[178:179], v[162:163]
	s_nop 0
	v_fma_f64 v[180:181], -v[162:163], v[178:179], 1.0
	v_fmac_f64_e32 v[178:179], v[178:179], v[180:181]
	v_fma_f64 v[180:181], -v[162:163], v[178:179], 1.0
	v_fmac_f64_e32 v[178:179], v[178:179], v[180:181]
	v_div_scale_f64 v[180:181], vcc, 1.0, v[160:161], 1.0
	v_mul_f64 v[182:183], v[180:181], v[178:179]
	v_fma_f64 v[162:163], -v[162:163], v[182:183], v[180:181]
	s_nop 1
	v_div_fmas_f64 v[162:163], v[162:163], v[178:179], v[182:183]
	v_div_fixup_f64 v[160:161], v[162:163], v[160:161], 1.0
	v_mul_f64 v[162:163], v[176:177], -v[160:161]
.LBB78_408:
	s_or_b64 exec, exec, s[16:17]
.LBB78_409:
	s_or_b64 exec, exec, s[0:1]
	v_cmp_ne_u32_e32 vcc, v173, v170
	s_and_saveexec_b64 s[0:1], vcc
	s_xor_b64 s[0:1], exec, s[0:1]
	s_cbranch_execz .LBB78_415
; %bb.410:
	v_cmp_eq_u32_e32 vcc, 19, v173
	s_and_saveexec_b64 s[16:17], vcc
	s_cbranch_execz .LBB78_414
; %bb.411:
	v_cmp_ne_u32_e32 vcc, 19, v170
	s_xor_b64 s[18:19], s[14:15], -1
	s_and_b64 s[22:23], s[18:19], vcc
	s_and_saveexec_b64 s[18:19], s[22:23]
	s_cbranch_execz .LBB78_413
; %bb.412:
	v_ashrrev_i32_e32 v171, 31, v170
	v_lshl_add_u64 v[176:177], v[170:171], 2, v[168:169]
	global_load_dword v171, v[176:177], off
	global_load_dword v173, v[168:169], off offset:76
	s_waitcnt vmcnt(1)
	global_store_dword v[168:169], v171, off offset:76
	s_waitcnt vmcnt(1)
	global_store_dword v[176:177], v173, off
.LBB78_413:
	s_or_b64 exec, exec, s[18:19]
	v_mov_b32_e32 v173, v170
	v_mov_b32_e32 v175, v170
.LBB78_414:
	s_or_b64 exec, exec, s[16:17]
.LBB78_415:
	s_andn2_saveexec_b64 s[0:1], s[0:1]
	s_cbranch_execz .LBB78_417
; %bb.416:
	v_mov_b32_e32 v173, 19
	s_waitcnt vmcnt(19)
	ds_write2_b64 v172, v[72:73], v[74:75] offset0:40 offset1:41
	s_waitcnt vmcnt(18)
	ds_write2_b64 v172, v[68:69], v[70:71] offset0:42 offset1:43
	;; [unrolled: 2-line block ×20, first 2 shown]
.LBB78_417:
	s_or_b64 exec, exec, s[0:1]
	v_cmp_lt_i32_e32 vcc, 19, v173
	s_waitcnt lgkmcnt(0)
	s_barrier
	s_and_saveexec_b64 s[0:1], vcc
	s_cbranch_execz .LBB78_419
; %bb.418:
	ds_read2_b64 v[176:179], v172 offset0:40 offset1:41
	v_mul_f64 v[170:171], v[162:163], v[78:79]
	v_mul_f64 v[78:79], v[160:161], v[78:79]
	v_fma_f64 v[170:171], v[160:161], v[76:77], -v[170:171]
	v_fmac_f64_e32 v[78:79], v[162:163], v[76:77]
	ds_read2_b64 v[160:163], v172 offset0:42 offset1:43
	s_waitcnt lgkmcnt(1)
	v_mul_f64 v[76:77], v[178:179], v[78:79]
	v_fma_f64 v[76:77], v[176:177], v[170:171], -v[76:77]
	v_mul_f64 v[176:177], v[176:177], v[78:79]
	v_fmac_f64_e32 v[176:177], v[178:179], v[170:171]
	s_waitcnt vmcnt(19)
	v_add_f64 v[72:73], v[72:73], -v[76:77]
	s_waitcnt lgkmcnt(0)
	v_mul_f64 v[76:77], v[162:163], v[78:79]
	v_add_f64 v[74:75], v[74:75], -v[176:177]
	v_fma_f64 v[76:77], v[160:161], v[170:171], -v[76:77]
	v_mul_f64 v[160:161], v[160:161], v[78:79]
	ds_read2_b64 v[176:179], v172 offset0:44 offset1:45
	v_fmac_f64_e32 v[160:161], v[162:163], v[170:171]
	s_waitcnt vmcnt(18)
	v_add_f64 v[70:71], v[70:71], -v[160:161]
	ds_read2_b64 v[160:163], v172 offset0:46 offset1:47
	v_add_f64 v[68:69], v[68:69], -v[76:77]
	s_waitcnt lgkmcnt(1)
	v_mul_f64 v[76:77], v[178:179], v[78:79]
	v_fma_f64 v[76:77], v[176:177], v[170:171], -v[76:77]
	v_mul_f64 v[176:177], v[176:177], v[78:79]
	v_fmac_f64_e32 v[176:177], v[178:179], v[170:171]
	s_waitcnt vmcnt(17)
	v_add_f64 v[64:65], v[64:65], -v[76:77]
	s_waitcnt lgkmcnt(0)
	v_mul_f64 v[76:77], v[162:163], v[78:79]
	v_add_f64 v[66:67], v[66:67], -v[176:177]
	v_fma_f64 v[76:77], v[160:161], v[170:171], -v[76:77]
	v_mul_f64 v[160:161], v[160:161], v[78:79]
	ds_read2_b64 v[176:179], v172 offset0:48 offset1:49
	v_fmac_f64_e32 v[160:161], v[162:163], v[170:171]
	s_waitcnt vmcnt(16)
	v_add_f64 v[62:63], v[62:63], -v[160:161]
	ds_read2_b64 v[160:163], v172 offset0:50 offset1:51
	v_add_f64 v[60:61], v[60:61], -v[76:77]
	;; [unrolled: 18-line block ×9, first 2 shown]
	s_waitcnt lgkmcnt(1)
	v_mul_f64 v[76:77], v[178:179], v[78:79]
	v_fma_f64 v[76:77], v[176:177], v[170:171], -v[76:77]
	s_waitcnt vmcnt(1)
	v_add_f64 v[0:1], v[0:1], -v[76:77]
	s_waitcnt lgkmcnt(0)
	v_mul_f64 v[76:77], v[162:163], v[78:79]
	v_mul_f64 v[176:177], v[176:177], v[78:79]
	v_fma_f64 v[76:77], v[160:161], v[170:171], -v[76:77]
	v_mul_f64 v[160:161], v[160:161], v[78:79]
	v_fmac_f64_e32 v[176:177], v[178:179], v[170:171]
	v_fmac_f64_e32 v[160:161], v[162:163], v[170:171]
	v_add_f64 v[2:3], v[2:3], -v[176:177]
	s_waitcnt vmcnt(0)
	v_add_f64 v[156:157], v[156:157], -v[76:77]
	v_add_f64 v[158:159], v[158:159], -v[160:161]
	v_mov_b64_e32 v[76:77], v[170:171]
.LBB78_419:
	s_or_b64 exec, exec, s[0:1]
	v_lshl_add_u32 v160, v173, 4, v172
	s_barrier
	s_waitcnt vmcnt(19)
	ds_write2_b64 v160, v[72:73], v[74:75] offset1:1
	s_waitcnt lgkmcnt(0)
	s_barrier
	ds_read2_b64 v[160:163], v172 offset0:40 offset1:41
	s_cmp_lt_i32 s20, 22
	v_mov_b32_e32 v170, 20
	s_cbranch_scc1 .LBB78_422
; %bb.420:
	v_add_u32_e32 v171, 0x150, v172
	s_mov_b32 s16, 21
	v_mov_b32_e32 v170, 20
.LBB78_421:                             ; =>This Inner Loop Header: Depth=1
	ds_read2_b64 v[176:179], v171 offset1:1
	s_waitcnt lgkmcnt(1)
	v_xor_b32_e32 v181, 0x80000000, v161
	v_xor_b32_e32 v183, 0x80000000, v163
	v_cmp_gt_f64_e32 vcc, 0, v[162:163]
	v_cmp_gt_f64_e64 s[0:1], 0, v[160:161]
	v_mov_b32_e32 v180, v160
	v_mov_b32_e32 v182, v162
	v_cndmask_b32_e64 v181, v161, v181, s[0:1]
	v_cndmask_b32_e32 v183, v163, v183, vcc
	v_add_f64 v[180:181], v[180:181], v[182:183]
	s_waitcnt lgkmcnt(0)
	v_xor_b32_e32 v183, 0x80000000, v177
	v_xor_b32_e32 v185, 0x80000000, v179
	v_cmp_gt_f64_e32 vcc, 0, v[178:179]
	v_cmp_gt_f64_e64 s[0:1], 0, v[176:177]
	v_mov_b32_e32 v182, v176
	v_mov_b32_e32 v184, v178
	v_cndmask_b32_e64 v183, v177, v183, s[0:1]
	v_cndmask_b32_e32 v185, v179, v185, vcc
	v_add_f64 v[182:183], v[182:183], v[184:185]
	v_mov_b32_e32 v186, s16
	s_add_i32 s16, s16, 1
	v_cmp_lt_f64_e32 vcc, v[180:181], v[182:183]
	v_add_u32_e32 v171, 16, v171
	s_cmp_lg_u32 s20, s16
	v_cndmask_b32_e32 v161, v161, v177, vcc
	v_cndmask_b32_e32 v160, v160, v176, vcc
	;; [unrolled: 1-line block ×5, first 2 shown]
	s_cbranch_scc1 .LBB78_421
.LBB78_422:
	s_waitcnt lgkmcnt(0)
	v_cmp_eq_f64_e32 vcc, 0, v[160:161]
	v_cmp_eq_f64_e64 s[0:1], 0, v[162:163]
	s_and_b64 s[0:1], vcc, s[0:1]
	s_and_saveexec_b64 s[16:17], s[0:1]
	s_xor_b64 s[0:1], exec, s[16:17]
; %bb.423:
	v_cmp_ne_u32_e32 vcc, 0, v174
	s_nop 1
	v_cndmask_b32_e32 v174, 21, v174, vcc
; %bb.424:
	s_andn2_saveexec_b64 s[0:1], s[0:1]
	s_cbranch_execz .LBB78_430
; %bb.425:
	v_cmp_ngt_f64_e64 s[16:17], |v[160:161]|, |v[162:163]|
	s_and_saveexec_b64 s[18:19], s[16:17]
	s_xor_b64 s[16:17], exec, s[18:19]
	s_cbranch_execz .LBB78_427
; %bb.426:
	v_div_scale_f64 v[176:177], s[18:19], v[162:163], v[162:163], v[160:161]
	v_rcp_f64_e32 v[178:179], v[176:177]
	v_div_scale_f64 v[180:181], vcc, v[160:161], v[162:163], v[160:161]
	v_fma_f64 v[182:183], -v[176:177], v[178:179], 1.0
	v_fmac_f64_e32 v[178:179], v[178:179], v[182:183]
	v_fma_f64 v[182:183], -v[176:177], v[178:179], 1.0
	v_fmac_f64_e32 v[178:179], v[178:179], v[182:183]
	v_mul_f64 v[182:183], v[180:181], v[178:179]
	v_fma_f64 v[176:177], -v[176:177], v[182:183], v[180:181]
	v_div_fmas_f64 v[176:177], v[176:177], v[178:179], v[182:183]
	v_div_fixup_f64 v[176:177], v[176:177], v[162:163], v[160:161]
	v_fmac_f64_e32 v[162:163], v[160:161], v[176:177]
	v_div_scale_f64 v[160:161], s[18:19], v[162:163], v[162:163], 1.0
	v_rcp_f64_e32 v[178:179], v[160:161]
	s_nop 0
	v_fma_f64 v[180:181], -v[160:161], v[178:179], 1.0
	v_fmac_f64_e32 v[178:179], v[178:179], v[180:181]
	v_fma_f64 v[180:181], -v[160:161], v[178:179], 1.0
	v_fmac_f64_e32 v[178:179], v[178:179], v[180:181]
	v_div_scale_f64 v[180:181], vcc, 1.0, v[162:163], 1.0
	v_mul_f64 v[182:183], v[180:181], v[178:179]
	v_fma_f64 v[160:161], -v[160:161], v[182:183], v[180:181]
	s_nop 1
	v_div_fmas_f64 v[160:161], v[160:161], v[178:179], v[182:183]
	v_div_fixup_f64 v[162:163], v[160:161], v[162:163], 1.0
	v_mul_f64 v[160:161], v[176:177], v[162:163]
	v_xor_b32_e32 v163, 0x80000000, v163
.LBB78_427:
	s_andn2_saveexec_b64 s[16:17], s[16:17]
	s_cbranch_execz .LBB78_429
; %bb.428:
	v_div_scale_f64 v[176:177], s[18:19], v[160:161], v[160:161], v[162:163]
	v_rcp_f64_e32 v[178:179], v[176:177]
	v_div_scale_f64 v[180:181], vcc, v[162:163], v[160:161], v[162:163]
	v_fma_f64 v[182:183], -v[176:177], v[178:179], 1.0
	v_fmac_f64_e32 v[178:179], v[178:179], v[182:183]
	v_fma_f64 v[182:183], -v[176:177], v[178:179], 1.0
	v_fmac_f64_e32 v[178:179], v[178:179], v[182:183]
	v_mul_f64 v[182:183], v[180:181], v[178:179]
	v_fma_f64 v[176:177], -v[176:177], v[182:183], v[180:181]
	v_div_fmas_f64 v[176:177], v[176:177], v[178:179], v[182:183]
	v_div_fixup_f64 v[176:177], v[176:177], v[160:161], v[162:163]
	v_fmac_f64_e32 v[160:161], v[162:163], v[176:177]
	v_div_scale_f64 v[162:163], s[18:19], v[160:161], v[160:161], 1.0
	v_rcp_f64_e32 v[178:179], v[162:163]
	s_nop 0
	v_fma_f64 v[180:181], -v[162:163], v[178:179], 1.0
	v_fmac_f64_e32 v[178:179], v[178:179], v[180:181]
	v_fma_f64 v[180:181], -v[162:163], v[178:179], 1.0
	v_fmac_f64_e32 v[178:179], v[178:179], v[180:181]
	v_div_scale_f64 v[180:181], vcc, 1.0, v[160:161], 1.0
	v_mul_f64 v[182:183], v[180:181], v[178:179]
	v_fma_f64 v[162:163], -v[162:163], v[182:183], v[180:181]
	s_nop 1
	v_div_fmas_f64 v[162:163], v[162:163], v[178:179], v[182:183]
	v_div_fixup_f64 v[160:161], v[162:163], v[160:161], 1.0
	v_mul_f64 v[162:163], v[176:177], -v[160:161]
.LBB78_429:
	s_or_b64 exec, exec, s[16:17]
.LBB78_430:
	s_or_b64 exec, exec, s[0:1]
	v_cmp_ne_u32_e32 vcc, v173, v170
	s_and_saveexec_b64 s[0:1], vcc
	s_xor_b64 s[0:1], exec, s[0:1]
	s_cbranch_execz .LBB78_436
; %bb.431:
	v_cmp_eq_u32_e32 vcc, 20, v173
	s_and_saveexec_b64 s[16:17], vcc
	s_cbranch_execz .LBB78_435
; %bb.432:
	v_cmp_ne_u32_e32 vcc, 20, v170
	s_xor_b64 s[18:19], s[14:15], -1
	s_and_b64 s[22:23], s[18:19], vcc
	s_and_saveexec_b64 s[18:19], s[22:23]
	s_cbranch_execz .LBB78_434
; %bb.433:
	v_ashrrev_i32_e32 v171, 31, v170
	v_lshl_add_u64 v[176:177], v[170:171], 2, v[168:169]
	global_load_dword v171, v[176:177], off
	global_load_dword v173, v[168:169], off offset:80
	s_waitcnt vmcnt(1)
	global_store_dword v[168:169], v171, off offset:80
	s_waitcnt vmcnt(1)
	global_store_dword v[176:177], v173, off
.LBB78_434:
	s_or_b64 exec, exec, s[18:19]
	v_mov_b32_e32 v173, v170
	v_mov_b32_e32 v175, v170
.LBB78_435:
	s_or_b64 exec, exec, s[16:17]
.LBB78_436:
	s_andn2_saveexec_b64 s[0:1], s[0:1]
	s_cbranch_execz .LBB78_438
; %bb.437:
	v_mov_b32_e32 v173, 20
	s_waitcnt vmcnt(18)
	ds_write2_b64 v172, v[68:69], v[70:71] offset0:42 offset1:43
	s_waitcnt vmcnt(17)
	ds_write2_b64 v172, v[64:65], v[66:67] offset0:44 offset1:45
	s_waitcnt vmcnt(16)
	ds_write2_b64 v172, v[60:61], v[62:63] offset0:46 offset1:47
	s_waitcnt vmcnt(15)
	ds_write2_b64 v172, v[56:57], v[58:59] offset0:48 offset1:49
	s_waitcnt vmcnt(14)
	ds_write2_b64 v172, v[52:53], v[54:55] offset0:50 offset1:51
	s_waitcnt vmcnt(13)
	ds_write2_b64 v172, v[48:49], v[50:51] offset0:52 offset1:53
	s_waitcnt vmcnt(12)
	ds_write2_b64 v172, v[44:45], v[46:47] offset0:54 offset1:55
	s_waitcnt vmcnt(11)
	ds_write2_b64 v172, v[40:41], v[42:43] offset0:56 offset1:57
	s_waitcnt vmcnt(10)
	ds_write2_b64 v172, v[36:37], v[38:39] offset0:58 offset1:59
	s_waitcnt vmcnt(9)
	ds_write2_b64 v172, v[32:33], v[34:35] offset0:60 offset1:61
	s_waitcnt vmcnt(8)
	ds_write2_b64 v172, v[28:29], v[30:31] offset0:62 offset1:63
	s_waitcnt vmcnt(7)
	ds_write2_b64 v172, v[24:25], v[26:27] offset0:64 offset1:65
	s_waitcnt vmcnt(6)
	ds_write2_b64 v172, v[20:21], v[22:23] offset0:66 offset1:67
	s_waitcnt vmcnt(5)
	ds_write2_b64 v172, v[16:17], v[18:19] offset0:68 offset1:69
	s_waitcnt vmcnt(4)
	ds_write2_b64 v172, v[12:13], v[14:15] offset0:70 offset1:71
	s_waitcnt vmcnt(3)
	ds_write2_b64 v172, v[8:9], v[10:11] offset0:72 offset1:73
	s_waitcnt vmcnt(2)
	ds_write2_b64 v172, v[4:5], v[6:7] offset0:74 offset1:75
	s_waitcnt vmcnt(1)
	ds_write2_b64 v172, v[0:1], v[2:3] offset0:76 offset1:77
	s_waitcnt vmcnt(0)
	ds_write2_b64 v172, v[156:157], v[158:159] offset0:78 offset1:79
.LBB78_438:
	s_or_b64 exec, exec, s[0:1]
	v_cmp_lt_i32_e32 vcc, 20, v173
	s_waitcnt lgkmcnt(0)
	s_barrier
	s_and_saveexec_b64 s[0:1], vcc
	s_cbranch_execz .LBB78_440
; %bb.439:
	ds_read2_b64 v[176:179], v172 offset0:42 offset1:43
	v_mul_f64 v[170:171], v[162:163], v[74:75]
	v_mul_f64 v[74:75], v[160:161], v[74:75]
	v_fmac_f64_e32 v[74:75], v[162:163], v[72:73]
	v_fma_f64 v[170:171], v[160:161], v[72:73], -v[170:171]
	ds_read2_b64 v[160:163], v172 offset0:44 offset1:45
	s_waitcnt lgkmcnt(1)
	v_mul_f64 v[72:73], v[178:179], v[74:75]
	v_fma_f64 v[72:73], v[176:177], v[170:171], -v[72:73]
	v_mul_f64 v[176:177], v[176:177], v[74:75]
	v_fmac_f64_e32 v[176:177], v[178:179], v[170:171]
	s_waitcnt vmcnt(18)
	v_add_f64 v[70:71], v[70:71], -v[176:177]
	ds_read2_b64 v[176:179], v172 offset0:46 offset1:47
	v_add_f64 v[68:69], v[68:69], -v[72:73]
	s_waitcnt lgkmcnt(1)
	v_mul_f64 v[72:73], v[162:163], v[74:75]
	v_fma_f64 v[72:73], v[160:161], v[170:171], -v[72:73]
	v_mul_f64 v[160:161], v[160:161], v[74:75]
	v_fmac_f64_e32 v[160:161], v[162:163], v[170:171]
	s_waitcnt vmcnt(17)
	v_add_f64 v[64:65], v[64:65], -v[72:73]
	v_add_f64 v[66:67], v[66:67], -v[160:161]
	ds_read2_b64 v[160:163], v172 offset0:48 offset1:49
	s_waitcnt lgkmcnt(1)
	v_mul_f64 v[72:73], v[178:179], v[74:75]
	v_fma_f64 v[72:73], v[176:177], v[170:171], -v[72:73]
	v_mul_f64 v[176:177], v[176:177], v[74:75]
	v_fmac_f64_e32 v[176:177], v[178:179], v[170:171]
	s_waitcnt vmcnt(16)
	v_add_f64 v[62:63], v[62:63], -v[176:177]
	ds_read2_b64 v[176:179], v172 offset0:50 offset1:51
	v_add_f64 v[60:61], v[60:61], -v[72:73]
	s_waitcnt lgkmcnt(1)
	v_mul_f64 v[72:73], v[162:163], v[74:75]
	v_fma_f64 v[72:73], v[160:161], v[170:171], -v[72:73]
	v_mul_f64 v[160:161], v[160:161], v[74:75]
	v_fmac_f64_e32 v[160:161], v[162:163], v[170:171]
	s_waitcnt vmcnt(15)
	v_add_f64 v[56:57], v[56:57], -v[72:73]
	v_add_f64 v[58:59], v[58:59], -v[160:161]
	;; [unrolled: 18-line block ×9, first 2 shown]
	s_waitcnt lgkmcnt(0)
	v_mul_f64 v[72:73], v[178:179], v[74:75]
	v_mul_f64 v[160:161], v[176:177], v[74:75]
	v_fma_f64 v[72:73], v[176:177], v[170:171], -v[72:73]
	v_fmac_f64_e32 v[160:161], v[178:179], v[170:171]
	s_waitcnt vmcnt(0)
	v_add_f64 v[156:157], v[156:157], -v[72:73]
	v_add_f64 v[158:159], v[158:159], -v[160:161]
	v_mov_b64_e32 v[72:73], v[170:171]
.LBB78_440:
	s_or_b64 exec, exec, s[0:1]
	v_lshl_add_u32 v160, v173, 4, v172
	s_barrier
	s_waitcnt vmcnt(18)
	ds_write2_b64 v160, v[68:69], v[70:71] offset1:1
	s_waitcnt lgkmcnt(0)
	s_barrier
	ds_read2_b64 v[160:163], v172 offset0:42 offset1:43
	s_cmp_lt_i32 s20, 23
	v_mov_b32_e32 v170, 21
	s_cbranch_scc1 .LBB78_443
; %bb.441:
	v_add_u32_e32 v171, 0x160, v172
	s_mov_b32 s16, 22
	v_mov_b32_e32 v170, 21
.LBB78_442:                             ; =>This Inner Loop Header: Depth=1
	ds_read2_b64 v[176:179], v171 offset1:1
	s_waitcnt lgkmcnt(1)
	v_xor_b32_e32 v181, 0x80000000, v161
	v_xor_b32_e32 v183, 0x80000000, v163
	v_cmp_gt_f64_e32 vcc, 0, v[162:163]
	v_cmp_gt_f64_e64 s[0:1], 0, v[160:161]
	v_mov_b32_e32 v180, v160
	v_mov_b32_e32 v182, v162
	v_cndmask_b32_e64 v181, v161, v181, s[0:1]
	v_cndmask_b32_e32 v183, v163, v183, vcc
	v_add_f64 v[180:181], v[180:181], v[182:183]
	s_waitcnt lgkmcnt(0)
	v_xor_b32_e32 v183, 0x80000000, v177
	v_xor_b32_e32 v185, 0x80000000, v179
	v_cmp_gt_f64_e32 vcc, 0, v[178:179]
	v_cmp_gt_f64_e64 s[0:1], 0, v[176:177]
	v_mov_b32_e32 v182, v176
	v_mov_b32_e32 v184, v178
	v_cndmask_b32_e64 v183, v177, v183, s[0:1]
	v_cndmask_b32_e32 v185, v179, v185, vcc
	v_add_f64 v[182:183], v[182:183], v[184:185]
	v_mov_b32_e32 v186, s16
	s_add_i32 s16, s16, 1
	v_cmp_lt_f64_e32 vcc, v[180:181], v[182:183]
	v_add_u32_e32 v171, 16, v171
	s_cmp_lg_u32 s20, s16
	v_cndmask_b32_e32 v161, v161, v177, vcc
	v_cndmask_b32_e32 v160, v160, v176, vcc
	;; [unrolled: 1-line block ×5, first 2 shown]
	s_cbranch_scc1 .LBB78_442
.LBB78_443:
	s_waitcnt lgkmcnt(0)
	v_cmp_eq_f64_e32 vcc, 0, v[160:161]
	v_cmp_eq_f64_e64 s[0:1], 0, v[162:163]
	s_and_b64 s[0:1], vcc, s[0:1]
	s_and_saveexec_b64 s[16:17], s[0:1]
	s_xor_b64 s[0:1], exec, s[16:17]
; %bb.444:
	v_cmp_ne_u32_e32 vcc, 0, v174
	s_nop 1
	v_cndmask_b32_e32 v174, 22, v174, vcc
; %bb.445:
	s_andn2_saveexec_b64 s[0:1], s[0:1]
	s_cbranch_execz .LBB78_451
; %bb.446:
	v_cmp_ngt_f64_e64 s[16:17], |v[160:161]|, |v[162:163]|
	s_and_saveexec_b64 s[18:19], s[16:17]
	s_xor_b64 s[16:17], exec, s[18:19]
	s_cbranch_execz .LBB78_448
; %bb.447:
	v_div_scale_f64 v[176:177], s[18:19], v[162:163], v[162:163], v[160:161]
	v_rcp_f64_e32 v[178:179], v[176:177]
	v_div_scale_f64 v[180:181], vcc, v[160:161], v[162:163], v[160:161]
	v_fma_f64 v[182:183], -v[176:177], v[178:179], 1.0
	v_fmac_f64_e32 v[178:179], v[178:179], v[182:183]
	v_fma_f64 v[182:183], -v[176:177], v[178:179], 1.0
	v_fmac_f64_e32 v[178:179], v[178:179], v[182:183]
	v_mul_f64 v[182:183], v[180:181], v[178:179]
	v_fma_f64 v[176:177], -v[176:177], v[182:183], v[180:181]
	v_div_fmas_f64 v[176:177], v[176:177], v[178:179], v[182:183]
	v_div_fixup_f64 v[176:177], v[176:177], v[162:163], v[160:161]
	v_fmac_f64_e32 v[162:163], v[160:161], v[176:177]
	v_div_scale_f64 v[160:161], s[18:19], v[162:163], v[162:163], 1.0
	v_rcp_f64_e32 v[178:179], v[160:161]
	s_nop 0
	v_fma_f64 v[180:181], -v[160:161], v[178:179], 1.0
	v_fmac_f64_e32 v[178:179], v[178:179], v[180:181]
	v_fma_f64 v[180:181], -v[160:161], v[178:179], 1.0
	v_fmac_f64_e32 v[178:179], v[178:179], v[180:181]
	v_div_scale_f64 v[180:181], vcc, 1.0, v[162:163], 1.0
	v_mul_f64 v[182:183], v[180:181], v[178:179]
	v_fma_f64 v[160:161], -v[160:161], v[182:183], v[180:181]
	s_nop 1
	v_div_fmas_f64 v[160:161], v[160:161], v[178:179], v[182:183]
	v_div_fixup_f64 v[162:163], v[160:161], v[162:163], 1.0
	v_mul_f64 v[160:161], v[176:177], v[162:163]
	v_xor_b32_e32 v163, 0x80000000, v163
.LBB78_448:
	s_andn2_saveexec_b64 s[16:17], s[16:17]
	s_cbranch_execz .LBB78_450
; %bb.449:
	v_div_scale_f64 v[176:177], s[18:19], v[160:161], v[160:161], v[162:163]
	v_rcp_f64_e32 v[178:179], v[176:177]
	v_div_scale_f64 v[180:181], vcc, v[162:163], v[160:161], v[162:163]
	v_fma_f64 v[182:183], -v[176:177], v[178:179], 1.0
	v_fmac_f64_e32 v[178:179], v[178:179], v[182:183]
	v_fma_f64 v[182:183], -v[176:177], v[178:179], 1.0
	v_fmac_f64_e32 v[178:179], v[178:179], v[182:183]
	v_mul_f64 v[182:183], v[180:181], v[178:179]
	v_fma_f64 v[176:177], -v[176:177], v[182:183], v[180:181]
	v_div_fmas_f64 v[176:177], v[176:177], v[178:179], v[182:183]
	v_div_fixup_f64 v[176:177], v[176:177], v[160:161], v[162:163]
	v_fmac_f64_e32 v[160:161], v[162:163], v[176:177]
	v_div_scale_f64 v[162:163], s[18:19], v[160:161], v[160:161], 1.0
	v_rcp_f64_e32 v[178:179], v[162:163]
	s_nop 0
	v_fma_f64 v[180:181], -v[162:163], v[178:179], 1.0
	v_fmac_f64_e32 v[178:179], v[178:179], v[180:181]
	v_fma_f64 v[180:181], -v[162:163], v[178:179], 1.0
	v_fmac_f64_e32 v[178:179], v[178:179], v[180:181]
	v_div_scale_f64 v[180:181], vcc, 1.0, v[160:161], 1.0
	v_mul_f64 v[182:183], v[180:181], v[178:179]
	v_fma_f64 v[162:163], -v[162:163], v[182:183], v[180:181]
	s_nop 1
	v_div_fmas_f64 v[162:163], v[162:163], v[178:179], v[182:183]
	v_div_fixup_f64 v[160:161], v[162:163], v[160:161], 1.0
	v_mul_f64 v[162:163], v[176:177], -v[160:161]
.LBB78_450:
	s_or_b64 exec, exec, s[16:17]
.LBB78_451:
	s_or_b64 exec, exec, s[0:1]
	v_cmp_ne_u32_e32 vcc, v173, v170
	s_and_saveexec_b64 s[0:1], vcc
	s_xor_b64 s[0:1], exec, s[0:1]
	s_cbranch_execz .LBB78_457
; %bb.452:
	v_cmp_eq_u32_e32 vcc, 21, v173
	s_and_saveexec_b64 s[16:17], vcc
	s_cbranch_execz .LBB78_456
; %bb.453:
	v_cmp_ne_u32_e32 vcc, 21, v170
	s_xor_b64 s[18:19], s[14:15], -1
	s_and_b64 s[22:23], s[18:19], vcc
	s_and_saveexec_b64 s[18:19], s[22:23]
	s_cbranch_execz .LBB78_455
; %bb.454:
	v_ashrrev_i32_e32 v171, 31, v170
	v_lshl_add_u64 v[176:177], v[170:171], 2, v[168:169]
	global_load_dword v171, v[176:177], off
	global_load_dword v173, v[168:169], off offset:84
	s_waitcnt vmcnt(1)
	global_store_dword v[168:169], v171, off offset:84
	s_waitcnt vmcnt(1)
	global_store_dword v[176:177], v173, off
.LBB78_455:
	s_or_b64 exec, exec, s[18:19]
	v_mov_b32_e32 v173, v170
	v_mov_b32_e32 v175, v170
.LBB78_456:
	s_or_b64 exec, exec, s[16:17]
.LBB78_457:
	s_andn2_saveexec_b64 s[0:1], s[0:1]
	s_cbranch_execz .LBB78_459
; %bb.458:
	v_mov_b32_e32 v173, 21
	s_waitcnt vmcnt(17)
	ds_write2_b64 v172, v[64:65], v[66:67] offset0:44 offset1:45
	s_waitcnt vmcnt(16)
	ds_write2_b64 v172, v[60:61], v[62:63] offset0:46 offset1:47
	;; [unrolled: 2-line block ×18, first 2 shown]
.LBB78_459:
	s_or_b64 exec, exec, s[0:1]
	v_cmp_lt_i32_e32 vcc, 21, v173
	s_waitcnt lgkmcnt(0)
	s_barrier
	s_and_saveexec_b64 s[0:1], vcc
	s_cbranch_execz .LBB78_461
; %bb.460:
	ds_read2_b64 v[176:179], v172 offset0:44 offset1:45
	v_mul_f64 v[170:171], v[162:163], v[70:71]
	v_mul_f64 v[70:71], v[160:161], v[70:71]
	v_fma_f64 v[170:171], v[160:161], v[68:69], -v[170:171]
	v_fmac_f64_e32 v[70:71], v[162:163], v[68:69]
	ds_read2_b64 v[160:163], v172 offset0:46 offset1:47
	s_waitcnt lgkmcnt(1)
	v_mul_f64 v[68:69], v[178:179], v[70:71]
	v_fma_f64 v[68:69], v[176:177], v[170:171], -v[68:69]
	v_mul_f64 v[176:177], v[176:177], v[70:71]
	v_fmac_f64_e32 v[176:177], v[178:179], v[170:171]
	s_waitcnt vmcnt(17)
	v_add_f64 v[64:65], v[64:65], -v[68:69]
	s_waitcnt lgkmcnt(0)
	v_mul_f64 v[68:69], v[162:163], v[70:71]
	v_add_f64 v[66:67], v[66:67], -v[176:177]
	v_fma_f64 v[68:69], v[160:161], v[170:171], -v[68:69]
	v_mul_f64 v[160:161], v[160:161], v[70:71]
	ds_read2_b64 v[176:179], v172 offset0:48 offset1:49
	v_fmac_f64_e32 v[160:161], v[162:163], v[170:171]
	s_waitcnt vmcnt(16)
	v_add_f64 v[62:63], v[62:63], -v[160:161]
	ds_read2_b64 v[160:163], v172 offset0:50 offset1:51
	v_add_f64 v[60:61], v[60:61], -v[68:69]
	s_waitcnt lgkmcnt(1)
	v_mul_f64 v[68:69], v[178:179], v[70:71]
	v_fma_f64 v[68:69], v[176:177], v[170:171], -v[68:69]
	v_mul_f64 v[176:177], v[176:177], v[70:71]
	v_fmac_f64_e32 v[176:177], v[178:179], v[170:171]
	s_waitcnt vmcnt(15)
	v_add_f64 v[56:57], v[56:57], -v[68:69]
	s_waitcnt lgkmcnt(0)
	v_mul_f64 v[68:69], v[162:163], v[70:71]
	v_add_f64 v[58:59], v[58:59], -v[176:177]
	v_fma_f64 v[68:69], v[160:161], v[170:171], -v[68:69]
	v_mul_f64 v[160:161], v[160:161], v[70:71]
	ds_read2_b64 v[176:179], v172 offset0:52 offset1:53
	v_fmac_f64_e32 v[160:161], v[162:163], v[170:171]
	s_waitcnt vmcnt(14)
	v_add_f64 v[54:55], v[54:55], -v[160:161]
	ds_read2_b64 v[160:163], v172 offset0:54 offset1:55
	v_add_f64 v[52:53], v[52:53], -v[68:69]
	;; [unrolled: 18-line block ×8, first 2 shown]
	s_waitcnt lgkmcnt(1)
	v_mul_f64 v[68:69], v[178:179], v[70:71]
	v_fma_f64 v[68:69], v[176:177], v[170:171], -v[68:69]
	s_waitcnt vmcnt(1)
	v_add_f64 v[0:1], v[0:1], -v[68:69]
	s_waitcnt lgkmcnt(0)
	v_mul_f64 v[68:69], v[162:163], v[70:71]
	v_mul_f64 v[176:177], v[176:177], v[70:71]
	v_fma_f64 v[68:69], v[160:161], v[170:171], -v[68:69]
	v_mul_f64 v[160:161], v[160:161], v[70:71]
	v_fmac_f64_e32 v[176:177], v[178:179], v[170:171]
	v_fmac_f64_e32 v[160:161], v[162:163], v[170:171]
	v_add_f64 v[2:3], v[2:3], -v[176:177]
	s_waitcnt vmcnt(0)
	v_add_f64 v[156:157], v[156:157], -v[68:69]
	v_add_f64 v[158:159], v[158:159], -v[160:161]
	v_mov_b64_e32 v[68:69], v[170:171]
.LBB78_461:
	s_or_b64 exec, exec, s[0:1]
	v_lshl_add_u32 v160, v173, 4, v172
	s_barrier
	s_waitcnt vmcnt(17)
	ds_write2_b64 v160, v[64:65], v[66:67] offset1:1
	s_waitcnt lgkmcnt(0)
	s_barrier
	ds_read2_b64 v[160:163], v172 offset0:44 offset1:45
	s_cmp_lt_i32 s20, 24
	v_mov_b32_e32 v170, 22
	s_cbranch_scc1 .LBB78_464
; %bb.462:
	v_add_u32_e32 v171, 0x170, v172
	s_mov_b32 s16, 23
	v_mov_b32_e32 v170, 22
.LBB78_463:                             ; =>This Inner Loop Header: Depth=1
	ds_read2_b64 v[176:179], v171 offset1:1
	s_waitcnt lgkmcnt(1)
	v_xor_b32_e32 v181, 0x80000000, v161
	v_xor_b32_e32 v183, 0x80000000, v163
	v_cmp_gt_f64_e32 vcc, 0, v[162:163]
	v_cmp_gt_f64_e64 s[0:1], 0, v[160:161]
	v_mov_b32_e32 v180, v160
	v_mov_b32_e32 v182, v162
	v_cndmask_b32_e64 v181, v161, v181, s[0:1]
	v_cndmask_b32_e32 v183, v163, v183, vcc
	v_add_f64 v[180:181], v[180:181], v[182:183]
	s_waitcnt lgkmcnt(0)
	v_xor_b32_e32 v183, 0x80000000, v177
	v_xor_b32_e32 v185, 0x80000000, v179
	v_cmp_gt_f64_e32 vcc, 0, v[178:179]
	v_cmp_gt_f64_e64 s[0:1], 0, v[176:177]
	v_mov_b32_e32 v182, v176
	v_mov_b32_e32 v184, v178
	v_cndmask_b32_e64 v183, v177, v183, s[0:1]
	v_cndmask_b32_e32 v185, v179, v185, vcc
	v_add_f64 v[182:183], v[182:183], v[184:185]
	v_mov_b32_e32 v186, s16
	s_add_i32 s16, s16, 1
	v_cmp_lt_f64_e32 vcc, v[180:181], v[182:183]
	v_add_u32_e32 v171, 16, v171
	s_cmp_lg_u32 s20, s16
	v_cndmask_b32_e32 v161, v161, v177, vcc
	v_cndmask_b32_e32 v160, v160, v176, vcc
	;; [unrolled: 1-line block ×5, first 2 shown]
	s_cbranch_scc1 .LBB78_463
.LBB78_464:
	s_waitcnt lgkmcnt(0)
	v_cmp_eq_f64_e32 vcc, 0, v[160:161]
	v_cmp_eq_f64_e64 s[0:1], 0, v[162:163]
	s_and_b64 s[0:1], vcc, s[0:1]
	s_and_saveexec_b64 s[16:17], s[0:1]
	s_xor_b64 s[0:1], exec, s[16:17]
; %bb.465:
	v_cmp_ne_u32_e32 vcc, 0, v174
	s_nop 1
	v_cndmask_b32_e32 v174, 23, v174, vcc
; %bb.466:
	s_andn2_saveexec_b64 s[0:1], s[0:1]
	s_cbranch_execz .LBB78_472
; %bb.467:
	v_cmp_ngt_f64_e64 s[16:17], |v[160:161]|, |v[162:163]|
	s_and_saveexec_b64 s[18:19], s[16:17]
	s_xor_b64 s[16:17], exec, s[18:19]
	s_cbranch_execz .LBB78_469
; %bb.468:
	v_div_scale_f64 v[176:177], s[18:19], v[162:163], v[162:163], v[160:161]
	v_rcp_f64_e32 v[178:179], v[176:177]
	v_div_scale_f64 v[180:181], vcc, v[160:161], v[162:163], v[160:161]
	v_fma_f64 v[182:183], -v[176:177], v[178:179], 1.0
	v_fmac_f64_e32 v[178:179], v[178:179], v[182:183]
	v_fma_f64 v[182:183], -v[176:177], v[178:179], 1.0
	v_fmac_f64_e32 v[178:179], v[178:179], v[182:183]
	v_mul_f64 v[182:183], v[180:181], v[178:179]
	v_fma_f64 v[176:177], -v[176:177], v[182:183], v[180:181]
	v_div_fmas_f64 v[176:177], v[176:177], v[178:179], v[182:183]
	v_div_fixup_f64 v[176:177], v[176:177], v[162:163], v[160:161]
	v_fmac_f64_e32 v[162:163], v[160:161], v[176:177]
	v_div_scale_f64 v[160:161], s[18:19], v[162:163], v[162:163], 1.0
	v_rcp_f64_e32 v[178:179], v[160:161]
	s_nop 0
	v_fma_f64 v[180:181], -v[160:161], v[178:179], 1.0
	v_fmac_f64_e32 v[178:179], v[178:179], v[180:181]
	v_fma_f64 v[180:181], -v[160:161], v[178:179], 1.0
	v_fmac_f64_e32 v[178:179], v[178:179], v[180:181]
	v_div_scale_f64 v[180:181], vcc, 1.0, v[162:163], 1.0
	v_mul_f64 v[182:183], v[180:181], v[178:179]
	v_fma_f64 v[160:161], -v[160:161], v[182:183], v[180:181]
	s_nop 1
	v_div_fmas_f64 v[160:161], v[160:161], v[178:179], v[182:183]
	v_div_fixup_f64 v[162:163], v[160:161], v[162:163], 1.0
	v_mul_f64 v[160:161], v[176:177], v[162:163]
	v_xor_b32_e32 v163, 0x80000000, v163
.LBB78_469:
	s_andn2_saveexec_b64 s[16:17], s[16:17]
	s_cbranch_execz .LBB78_471
; %bb.470:
	v_div_scale_f64 v[176:177], s[18:19], v[160:161], v[160:161], v[162:163]
	v_rcp_f64_e32 v[178:179], v[176:177]
	v_div_scale_f64 v[180:181], vcc, v[162:163], v[160:161], v[162:163]
	v_fma_f64 v[182:183], -v[176:177], v[178:179], 1.0
	v_fmac_f64_e32 v[178:179], v[178:179], v[182:183]
	v_fma_f64 v[182:183], -v[176:177], v[178:179], 1.0
	v_fmac_f64_e32 v[178:179], v[178:179], v[182:183]
	v_mul_f64 v[182:183], v[180:181], v[178:179]
	v_fma_f64 v[176:177], -v[176:177], v[182:183], v[180:181]
	v_div_fmas_f64 v[176:177], v[176:177], v[178:179], v[182:183]
	v_div_fixup_f64 v[176:177], v[176:177], v[160:161], v[162:163]
	v_fmac_f64_e32 v[160:161], v[162:163], v[176:177]
	v_div_scale_f64 v[162:163], s[18:19], v[160:161], v[160:161], 1.0
	v_rcp_f64_e32 v[178:179], v[162:163]
	s_nop 0
	v_fma_f64 v[180:181], -v[162:163], v[178:179], 1.0
	v_fmac_f64_e32 v[178:179], v[178:179], v[180:181]
	v_fma_f64 v[180:181], -v[162:163], v[178:179], 1.0
	v_fmac_f64_e32 v[178:179], v[178:179], v[180:181]
	v_div_scale_f64 v[180:181], vcc, 1.0, v[160:161], 1.0
	v_mul_f64 v[182:183], v[180:181], v[178:179]
	v_fma_f64 v[162:163], -v[162:163], v[182:183], v[180:181]
	s_nop 1
	v_div_fmas_f64 v[162:163], v[162:163], v[178:179], v[182:183]
	v_div_fixup_f64 v[160:161], v[162:163], v[160:161], 1.0
	v_mul_f64 v[162:163], v[176:177], -v[160:161]
.LBB78_471:
	s_or_b64 exec, exec, s[16:17]
.LBB78_472:
	s_or_b64 exec, exec, s[0:1]
	v_cmp_ne_u32_e32 vcc, v173, v170
	s_and_saveexec_b64 s[0:1], vcc
	s_xor_b64 s[0:1], exec, s[0:1]
	s_cbranch_execz .LBB78_478
; %bb.473:
	v_cmp_eq_u32_e32 vcc, 22, v173
	s_and_saveexec_b64 s[16:17], vcc
	s_cbranch_execz .LBB78_477
; %bb.474:
	v_cmp_ne_u32_e32 vcc, 22, v170
	s_xor_b64 s[18:19], s[14:15], -1
	s_and_b64 s[22:23], s[18:19], vcc
	s_and_saveexec_b64 s[18:19], s[22:23]
	s_cbranch_execz .LBB78_476
; %bb.475:
	v_ashrrev_i32_e32 v171, 31, v170
	v_lshl_add_u64 v[176:177], v[170:171], 2, v[168:169]
	global_load_dword v171, v[176:177], off
	global_load_dword v173, v[168:169], off offset:88
	s_waitcnt vmcnt(1)
	global_store_dword v[168:169], v171, off offset:88
	s_waitcnt vmcnt(1)
	global_store_dword v[176:177], v173, off
.LBB78_476:
	s_or_b64 exec, exec, s[18:19]
	v_mov_b32_e32 v173, v170
	v_mov_b32_e32 v175, v170
.LBB78_477:
	s_or_b64 exec, exec, s[16:17]
.LBB78_478:
	s_andn2_saveexec_b64 s[0:1], s[0:1]
	s_cbranch_execz .LBB78_480
; %bb.479:
	v_mov_b32_e32 v173, 22
	s_waitcnt vmcnt(16)
	ds_write2_b64 v172, v[60:61], v[62:63] offset0:46 offset1:47
	s_waitcnt vmcnt(15)
	ds_write2_b64 v172, v[56:57], v[58:59] offset0:48 offset1:49
	;; [unrolled: 2-line block ×17, first 2 shown]
.LBB78_480:
	s_or_b64 exec, exec, s[0:1]
	v_cmp_lt_i32_e32 vcc, 22, v173
	s_waitcnt lgkmcnt(0)
	s_barrier
	s_and_saveexec_b64 s[0:1], vcc
	s_cbranch_execz .LBB78_482
; %bb.481:
	ds_read2_b64 v[176:179], v172 offset0:46 offset1:47
	v_mul_f64 v[170:171], v[162:163], v[66:67]
	v_mul_f64 v[66:67], v[160:161], v[66:67]
	v_fmac_f64_e32 v[66:67], v[162:163], v[64:65]
	v_fma_f64 v[170:171], v[160:161], v[64:65], -v[170:171]
	ds_read2_b64 v[160:163], v172 offset0:48 offset1:49
	s_waitcnt lgkmcnt(1)
	v_mul_f64 v[64:65], v[178:179], v[66:67]
	v_fma_f64 v[64:65], v[176:177], v[170:171], -v[64:65]
	v_mul_f64 v[176:177], v[176:177], v[66:67]
	v_fmac_f64_e32 v[176:177], v[178:179], v[170:171]
	s_waitcnt vmcnt(16)
	v_add_f64 v[62:63], v[62:63], -v[176:177]
	ds_read2_b64 v[176:179], v172 offset0:50 offset1:51
	v_add_f64 v[60:61], v[60:61], -v[64:65]
	s_waitcnt lgkmcnt(1)
	v_mul_f64 v[64:65], v[162:163], v[66:67]
	v_fma_f64 v[64:65], v[160:161], v[170:171], -v[64:65]
	v_mul_f64 v[160:161], v[160:161], v[66:67]
	v_fmac_f64_e32 v[160:161], v[162:163], v[170:171]
	s_waitcnt vmcnt(15)
	v_add_f64 v[56:57], v[56:57], -v[64:65]
	v_add_f64 v[58:59], v[58:59], -v[160:161]
	ds_read2_b64 v[160:163], v172 offset0:52 offset1:53
	s_waitcnt lgkmcnt(1)
	v_mul_f64 v[64:65], v[178:179], v[66:67]
	v_fma_f64 v[64:65], v[176:177], v[170:171], -v[64:65]
	v_mul_f64 v[176:177], v[176:177], v[66:67]
	v_fmac_f64_e32 v[176:177], v[178:179], v[170:171]
	s_waitcnt vmcnt(14)
	v_add_f64 v[54:55], v[54:55], -v[176:177]
	ds_read2_b64 v[176:179], v172 offset0:54 offset1:55
	v_add_f64 v[52:53], v[52:53], -v[64:65]
	s_waitcnt lgkmcnt(1)
	v_mul_f64 v[64:65], v[162:163], v[66:67]
	v_fma_f64 v[64:65], v[160:161], v[170:171], -v[64:65]
	v_mul_f64 v[160:161], v[160:161], v[66:67]
	v_fmac_f64_e32 v[160:161], v[162:163], v[170:171]
	s_waitcnt vmcnt(13)
	v_add_f64 v[48:49], v[48:49], -v[64:65]
	v_add_f64 v[50:51], v[50:51], -v[160:161]
	;; [unrolled: 18-line block ×8, first 2 shown]
	s_waitcnt lgkmcnt(0)
	v_mul_f64 v[64:65], v[178:179], v[66:67]
	v_mul_f64 v[160:161], v[176:177], v[66:67]
	v_fma_f64 v[64:65], v[176:177], v[170:171], -v[64:65]
	v_fmac_f64_e32 v[160:161], v[178:179], v[170:171]
	s_waitcnt vmcnt(0)
	v_add_f64 v[156:157], v[156:157], -v[64:65]
	v_add_f64 v[158:159], v[158:159], -v[160:161]
	v_mov_b64_e32 v[64:65], v[170:171]
.LBB78_482:
	s_or_b64 exec, exec, s[0:1]
	v_lshl_add_u32 v160, v173, 4, v172
	s_barrier
	s_waitcnt vmcnt(16)
	ds_write2_b64 v160, v[60:61], v[62:63] offset1:1
	s_waitcnt lgkmcnt(0)
	s_barrier
	ds_read2_b64 v[160:163], v172 offset0:46 offset1:47
	s_cmp_lt_i32 s20, 25
	v_mov_b32_e32 v170, 23
	s_cbranch_scc1 .LBB78_485
; %bb.483:
	v_add_u32_e32 v171, 0x180, v172
	s_mov_b32 s16, 24
	v_mov_b32_e32 v170, 23
.LBB78_484:                             ; =>This Inner Loop Header: Depth=1
	ds_read2_b64 v[176:179], v171 offset1:1
	s_waitcnt lgkmcnt(1)
	v_xor_b32_e32 v181, 0x80000000, v161
	v_xor_b32_e32 v183, 0x80000000, v163
	v_cmp_gt_f64_e32 vcc, 0, v[162:163]
	v_cmp_gt_f64_e64 s[0:1], 0, v[160:161]
	v_mov_b32_e32 v180, v160
	v_mov_b32_e32 v182, v162
	v_cndmask_b32_e64 v181, v161, v181, s[0:1]
	v_cndmask_b32_e32 v183, v163, v183, vcc
	v_add_f64 v[180:181], v[180:181], v[182:183]
	s_waitcnt lgkmcnt(0)
	v_xor_b32_e32 v183, 0x80000000, v177
	v_xor_b32_e32 v185, 0x80000000, v179
	v_cmp_gt_f64_e32 vcc, 0, v[178:179]
	v_cmp_gt_f64_e64 s[0:1], 0, v[176:177]
	v_mov_b32_e32 v182, v176
	v_mov_b32_e32 v184, v178
	v_cndmask_b32_e64 v183, v177, v183, s[0:1]
	v_cndmask_b32_e32 v185, v179, v185, vcc
	v_add_f64 v[182:183], v[182:183], v[184:185]
	v_mov_b32_e32 v186, s16
	s_add_i32 s16, s16, 1
	v_cmp_lt_f64_e32 vcc, v[180:181], v[182:183]
	v_add_u32_e32 v171, 16, v171
	s_cmp_lg_u32 s20, s16
	v_cndmask_b32_e32 v161, v161, v177, vcc
	v_cndmask_b32_e32 v160, v160, v176, vcc
	;; [unrolled: 1-line block ×5, first 2 shown]
	s_cbranch_scc1 .LBB78_484
.LBB78_485:
	s_waitcnt lgkmcnt(0)
	v_cmp_eq_f64_e32 vcc, 0, v[160:161]
	v_cmp_eq_f64_e64 s[0:1], 0, v[162:163]
	s_and_b64 s[0:1], vcc, s[0:1]
	s_and_saveexec_b64 s[16:17], s[0:1]
	s_xor_b64 s[0:1], exec, s[16:17]
; %bb.486:
	v_cmp_ne_u32_e32 vcc, 0, v174
	s_nop 1
	v_cndmask_b32_e32 v174, 24, v174, vcc
; %bb.487:
	s_andn2_saveexec_b64 s[0:1], s[0:1]
	s_cbranch_execz .LBB78_493
; %bb.488:
	v_cmp_ngt_f64_e64 s[16:17], |v[160:161]|, |v[162:163]|
	s_and_saveexec_b64 s[18:19], s[16:17]
	s_xor_b64 s[16:17], exec, s[18:19]
	s_cbranch_execz .LBB78_490
; %bb.489:
	v_div_scale_f64 v[176:177], s[18:19], v[162:163], v[162:163], v[160:161]
	v_rcp_f64_e32 v[178:179], v[176:177]
	v_div_scale_f64 v[180:181], vcc, v[160:161], v[162:163], v[160:161]
	v_fma_f64 v[182:183], -v[176:177], v[178:179], 1.0
	v_fmac_f64_e32 v[178:179], v[178:179], v[182:183]
	v_fma_f64 v[182:183], -v[176:177], v[178:179], 1.0
	v_fmac_f64_e32 v[178:179], v[178:179], v[182:183]
	v_mul_f64 v[182:183], v[180:181], v[178:179]
	v_fma_f64 v[176:177], -v[176:177], v[182:183], v[180:181]
	v_div_fmas_f64 v[176:177], v[176:177], v[178:179], v[182:183]
	v_div_fixup_f64 v[176:177], v[176:177], v[162:163], v[160:161]
	v_fmac_f64_e32 v[162:163], v[160:161], v[176:177]
	v_div_scale_f64 v[160:161], s[18:19], v[162:163], v[162:163], 1.0
	v_rcp_f64_e32 v[178:179], v[160:161]
	s_nop 0
	v_fma_f64 v[180:181], -v[160:161], v[178:179], 1.0
	v_fmac_f64_e32 v[178:179], v[178:179], v[180:181]
	v_fma_f64 v[180:181], -v[160:161], v[178:179], 1.0
	v_fmac_f64_e32 v[178:179], v[178:179], v[180:181]
	v_div_scale_f64 v[180:181], vcc, 1.0, v[162:163], 1.0
	v_mul_f64 v[182:183], v[180:181], v[178:179]
	v_fma_f64 v[160:161], -v[160:161], v[182:183], v[180:181]
	s_nop 1
	v_div_fmas_f64 v[160:161], v[160:161], v[178:179], v[182:183]
	v_div_fixup_f64 v[162:163], v[160:161], v[162:163], 1.0
	v_mul_f64 v[160:161], v[176:177], v[162:163]
	v_xor_b32_e32 v163, 0x80000000, v163
.LBB78_490:
	s_andn2_saveexec_b64 s[16:17], s[16:17]
	s_cbranch_execz .LBB78_492
; %bb.491:
	v_div_scale_f64 v[176:177], s[18:19], v[160:161], v[160:161], v[162:163]
	v_rcp_f64_e32 v[178:179], v[176:177]
	v_div_scale_f64 v[180:181], vcc, v[162:163], v[160:161], v[162:163]
	v_fma_f64 v[182:183], -v[176:177], v[178:179], 1.0
	v_fmac_f64_e32 v[178:179], v[178:179], v[182:183]
	v_fma_f64 v[182:183], -v[176:177], v[178:179], 1.0
	v_fmac_f64_e32 v[178:179], v[178:179], v[182:183]
	v_mul_f64 v[182:183], v[180:181], v[178:179]
	v_fma_f64 v[176:177], -v[176:177], v[182:183], v[180:181]
	v_div_fmas_f64 v[176:177], v[176:177], v[178:179], v[182:183]
	v_div_fixup_f64 v[176:177], v[176:177], v[160:161], v[162:163]
	v_fmac_f64_e32 v[160:161], v[162:163], v[176:177]
	v_div_scale_f64 v[162:163], s[18:19], v[160:161], v[160:161], 1.0
	v_rcp_f64_e32 v[178:179], v[162:163]
	s_nop 0
	v_fma_f64 v[180:181], -v[162:163], v[178:179], 1.0
	v_fmac_f64_e32 v[178:179], v[178:179], v[180:181]
	v_fma_f64 v[180:181], -v[162:163], v[178:179], 1.0
	v_fmac_f64_e32 v[178:179], v[178:179], v[180:181]
	v_div_scale_f64 v[180:181], vcc, 1.0, v[160:161], 1.0
	v_mul_f64 v[182:183], v[180:181], v[178:179]
	v_fma_f64 v[162:163], -v[162:163], v[182:183], v[180:181]
	s_nop 1
	v_div_fmas_f64 v[162:163], v[162:163], v[178:179], v[182:183]
	v_div_fixup_f64 v[160:161], v[162:163], v[160:161], 1.0
	v_mul_f64 v[162:163], v[176:177], -v[160:161]
.LBB78_492:
	s_or_b64 exec, exec, s[16:17]
.LBB78_493:
	s_or_b64 exec, exec, s[0:1]
	v_cmp_ne_u32_e32 vcc, v173, v170
	s_and_saveexec_b64 s[0:1], vcc
	s_xor_b64 s[0:1], exec, s[0:1]
	s_cbranch_execz .LBB78_499
; %bb.494:
	v_cmp_eq_u32_e32 vcc, 23, v173
	s_and_saveexec_b64 s[16:17], vcc
	s_cbranch_execz .LBB78_498
; %bb.495:
	v_cmp_ne_u32_e32 vcc, 23, v170
	s_xor_b64 s[18:19], s[14:15], -1
	s_and_b64 s[22:23], s[18:19], vcc
	s_and_saveexec_b64 s[18:19], s[22:23]
	s_cbranch_execz .LBB78_497
; %bb.496:
	v_ashrrev_i32_e32 v171, 31, v170
	v_lshl_add_u64 v[176:177], v[170:171], 2, v[168:169]
	global_load_dword v171, v[176:177], off
	global_load_dword v173, v[168:169], off offset:92
	s_waitcnt vmcnt(1)
	global_store_dword v[168:169], v171, off offset:92
	s_waitcnt vmcnt(1)
	global_store_dword v[176:177], v173, off
.LBB78_497:
	s_or_b64 exec, exec, s[18:19]
	v_mov_b32_e32 v173, v170
	v_mov_b32_e32 v175, v170
.LBB78_498:
	s_or_b64 exec, exec, s[16:17]
.LBB78_499:
	s_andn2_saveexec_b64 s[0:1], s[0:1]
	s_cbranch_execz .LBB78_501
; %bb.500:
	v_mov_b32_e32 v173, 23
	s_waitcnt vmcnt(15)
	ds_write2_b64 v172, v[56:57], v[58:59] offset0:48 offset1:49
	s_waitcnt vmcnt(14)
	ds_write2_b64 v172, v[52:53], v[54:55] offset0:50 offset1:51
	s_waitcnt vmcnt(13)
	ds_write2_b64 v172, v[48:49], v[50:51] offset0:52 offset1:53
	s_waitcnt vmcnt(12)
	ds_write2_b64 v172, v[44:45], v[46:47] offset0:54 offset1:55
	s_waitcnt vmcnt(11)
	ds_write2_b64 v172, v[40:41], v[42:43] offset0:56 offset1:57
	s_waitcnt vmcnt(10)
	ds_write2_b64 v172, v[36:37], v[38:39] offset0:58 offset1:59
	s_waitcnt vmcnt(9)
	ds_write2_b64 v172, v[32:33], v[34:35] offset0:60 offset1:61
	s_waitcnt vmcnt(8)
	ds_write2_b64 v172, v[28:29], v[30:31] offset0:62 offset1:63
	s_waitcnt vmcnt(7)
	ds_write2_b64 v172, v[24:25], v[26:27] offset0:64 offset1:65
	s_waitcnt vmcnt(6)
	ds_write2_b64 v172, v[20:21], v[22:23] offset0:66 offset1:67
	s_waitcnt vmcnt(5)
	ds_write2_b64 v172, v[16:17], v[18:19] offset0:68 offset1:69
	s_waitcnt vmcnt(4)
	ds_write2_b64 v172, v[12:13], v[14:15] offset0:70 offset1:71
	s_waitcnt vmcnt(3)
	ds_write2_b64 v172, v[8:9], v[10:11] offset0:72 offset1:73
	s_waitcnt vmcnt(2)
	ds_write2_b64 v172, v[4:5], v[6:7] offset0:74 offset1:75
	s_waitcnt vmcnt(1)
	ds_write2_b64 v172, v[0:1], v[2:3] offset0:76 offset1:77
	s_waitcnt vmcnt(0)
	ds_write2_b64 v172, v[156:157], v[158:159] offset0:78 offset1:79
.LBB78_501:
	s_or_b64 exec, exec, s[0:1]
	v_cmp_lt_i32_e32 vcc, 23, v173
	s_waitcnt lgkmcnt(0)
	s_barrier
	s_and_saveexec_b64 s[0:1], vcc
	s_cbranch_execz .LBB78_503
; %bb.502:
	ds_read2_b64 v[176:179], v172 offset0:48 offset1:49
	v_mul_f64 v[170:171], v[160:161], v[62:63]
	v_mul_f64 v[62:63], v[162:163], v[62:63]
	v_fmac_f64_e32 v[170:171], v[162:163], v[60:61]
	v_fma_f64 v[60:61], v[160:161], v[60:61], -v[62:63]
	ds_read2_b64 v[160:163], v172 offset0:50 offset1:51
	s_waitcnt lgkmcnt(1)
	v_mul_f64 v[62:63], v[178:179], v[170:171]
	v_fma_f64 v[62:63], v[176:177], v[60:61], -v[62:63]
	v_mul_f64 v[176:177], v[176:177], v[170:171]
	v_fmac_f64_e32 v[176:177], v[178:179], v[60:61]
	s_waitcnt vmcnt(15)
	v_add_f64 v[56:57], v[56:57], -v[62:63]
	s_waitcnt lgkmcnt(0)
	v_mul_f64 v[62:63], v[162:163], v[170:171]
	v_add_f64 v[58:59], v[58:59], -v[176:177]
	v_fma_f64 v[62:63], v[160:161], v[60:61], -v[62:63]
	v_mul_f64 v[160:161], v[160:161], v[170:171]
	ds_read2_b64 v[176:179], v172 offset0:52 offset1:53
	v_fmac_f64_e32 v[160:161], v[162:163], v[60:61]
	s_waitcnt vmcnt(14)
	v_add_f64 v[54:55], v[54:55], -v[160:161]
	ds_read2_b64 v[160:163], v172 offset0:54 offset1:55
	v_add_f64 v[52:53], v[52:53], -v[62:63]
	s_waitcnt lgkmcnt(1)
	v_mul_f64 v[62:63], v[178:179], v[170:171]
	v_fma_f64 v[62:63], v[176:177], v[60:61], -v[62:63]
	v_mul_f64 v[176:177], v[176:177], v[170:171]
	v_fmac_f64_e32 v[176:177], v[178:179], v[60:61]
	s_waitcnt vmcnt(13)
	v_add_f64 v[48:49], v[48:49], -v[62:63]
	s_waitcnt lgkmcnt(0)
	v_mul_f64 v[62:63], v[162:163], v[170:171]
	v_add_f64 v[50:51], v[50:51], -v[176:177]
	v_fma_f64 v[62:63], v[160:161], v[60:61], -v[62:63]
	v_mul_f64 v[160:161], v[160:161], v[170:171]
	ds_read2_b64 v[176:179], v172 offset0:56 offset1:57
	v_fmac_f64_e32 v[160:161], v[162:163], v[60:61]
	s_waitcnt vmcnt(12)
	v_add_f64 v[46:47], v[46:47], -v[160:161]
	ds_read2_b64 v[160:163], v172 offset0:58 offset1:59
	v_add_f64 v[44:45], v[44:45], -v[62:63]
	s_waitcnt lgkmcnt(1)
	v_mul_f64 v[62:63], v[178:179], v[170:171]
	v_fma_f64 v[62:63], v[176:177], v[60:61], -v[62:63]
	v_mul_f64 v[176:177], v[176:177], v[170:171]
	v_fmac_f64_e32 v[176:177], v[178:179], v[60:61]
	s_waitcnt vmcnt(11)
	v_add_f64 v[40:41], v[40:41], -v[62:63]
	s_waitcnt lgkmcnt(0)
	v_mul_f64 v[62:63], v[162:163], v[170:171]
	v_add_f64 v[42:43], v[42:43], -v[176:177]
	v_fma_f64 v[62:63], v[160:161], v[60:61], -v[62:63]
	v_mul_f64 v[160:161], v[160:161], v[170:171]
	ds_read2_b64 v[176:179], v172 offset0:60 offset1:61
	v_fmac_f64_e32 v[160:161], v[162:163], v[60:61]
	s_waitcnt vmcnt(10)
	v_add_f64 v[38:39], v[38:39], -v[160:161]
	ds_read2_b64 v[160:163], v172 offset0:62 offset1:63
	v_add_f64 v[36:37], v[36:37], -v[62:63]
	s_waitcnt lgkmcnt(1)
	v_mul_f64 v[62:63], v[178:179], v[170:171]
	v_fma_f64 v[62:63], v[176:177], v[60:61], -v[62:63]
	v_mul_f64 v[176:177], v[176:177], v[170:171]
	v_fmac_f64_e32 v[176:177], v[178:179], v[60:61]
	s_waitcnt vmcnt(9)
	v_add_f64 v[32:33], v[32:33], -v[62:63]
	s_waitcnt lgkmcnt(0)
	v_mul_f64 v[62:63], v[162:163], v[170:171]
	v_add_f64 v[34:35], v[34:35], -v[176:177]
	v_fma_f64 v[62:63], v[160:161], v[60:61], -v[62:63]
	v_mul_f64 v[160:161], v[160:161], v[170:171]
	ds_read2_b64 v[176:179], v172 offset0:64 offset1:65
	v_fmac_f64_e32 v[160:161], v[162:163], v[60:61]
	s_waitcnt vmcnt(8)
	v_add_f64 v[30:31], v[30:31], -v[160:161]
	ds_read2_b64 v[160:163], v172 offset0:66 offset1:67
	v_add_f64 v[28:29], v[28:29], -v[62:63]
	s_waitcnt lgkmcnt(1)
	v_mul_f64 v[62:63], v[178:179], v[170:171]
	v_fma_f64 v[62:63], v[176:177], v[60:61], -v[62:63]
	v_mul_f64 v[176:177], v[176:177], v[170:171]
	v_fmac_f64_e32 v[176:177], v[178:179], v[60:61]
	s_waitcnt vmcnt(7)
	v_add_f64 v[24:25], v[24:25], -v[62:63]
	s_waitcnt lgkmcnt(0)
	v_mul_f64 v[62:63], v[162:163], v[170:171]
	v_add_f64 v[26:27], v[26:27], -v[176:177]
	v_fma_f64 v[62:63], v[160:161], v[60:61], -v[62:63]
	v_mul_f64 v[160:161], v[160:161], v[170:171]
	ds_read2_b64 v[176:179], v172 offset0:68 offset1:69
	v_fmac_f64_e32 v[160:161], v[162:163], v[60:61]
	s_waitcnt vmcnt(6)
	v_add_f64 v[22:23], v[22:23], -v[160:161]
	ds_read2_b64 v[160:163], v172 offset0:70 offset1:71
	v_add_f64 v[20:21], v[20:21], -v[62:63]
	s_waitcnt lgkmcnt(1)
	v_mul_f64 v[62:63], v[178:179], v[170:171]
	v_fma_f64 v[62:63], v[176:177], v[60:61], -v[62:63]
	v_mul_f64 v[176:177], v[176:177], v[170:171]
	v_fmac_f64_e32 v[176:177], v[178:179], v[60:61]
	s_waitcnt vmcnt(5)
	v_add_f64 v[16:17], v[16:17], -v[62:63]
	s_waitcnt lgkmcnt(0)
	v_mul_f64 v[62:63], v[162:163], v[170:171]
	v_add_f64 v[18:19], v[18:19], -v[176:177]
	v_fma_f64 v[62:63], v[160:161], v[60:61], -v[62:63]
	v_mul_f64 v[160:161], v[160:161], v[170:171]
	ds_read2_b64 v[176:179], v172 offset0:72 offset1:73
	v_fmac_f64_e32 v[160:161], v[162:163], v[60:61]
	s_waitcnt vmcnt(4)
	v_add_f64 v[14:15], v[14:15], -v[160:161]
	ds_read2_b64 v[160:163], v172 offset0:74 offset1:75
	v_add_f64 v[12:13], v[12:13], -v[62:63]
	s_waitcnt lgkmcnt(1)
	v_mul_f64 v[62:63], v[178:179], v[170:171]
	v_fma_f64 v[62:63], v[176:177], v[60:61], -v[62:63]
	v_mul_f64 v[176:177], v[176:177], v[170:171]
	v_fmac_f64_e32 v[176:177], v[178:179], v[60:61]
	s_waitcnt vmcnt(3)
	v_add_f64 v[8:9], v[8:9], -v[62:63]
	s_waitcnt lgkmcnt(0)
	v_mul_f64 v[62:63], v[162:163], v[170:171]
	v_add_f64 v[10:11], v[10:11], -v[176:177]
	v_fma_f64 v[62:63], v[160:161], v[60:61], -v[62:63]
	v_mul_f64 v[160:161], v[160:161], v[170:171]
	ds_read2_b64 v[176:179], v172 offset0:76 offset1:77
	v_fmac_f64_e32 v[160:161], v[162:163], v[60:61]
	s_waitcnt vmcnt(2)
	v_add_f64 v[6:7], v[6:7], -v[160:161]
	ds_read2_b64 v[160:163], v172 offset0:78 offset1:79
	v_add_f64 v[4:5], v[4:5], -v[62:63]
	s_waitcnt lgkmcnt(1)
	v_mul_f64 v[62:63], v[178:179], v[170:171]
	v_fma_f64 v[62:63], v[176:177], v[60:61], -v[62:63]
	s_waitcnt vmcnt(1)
	v_add_f64 v[0:1], v[0:1], -v[62:63]
	s_waitcnt lgkmcnt(0)
	v_mul_f64 v[62:63], v[162:163], v[170:171]
	v_mul_f64 v[176:177], v[176:177], v[170:171]
	v_fma_f64 v[62:63], v[160:161], v[60:61], -v[62:63]
	v_mul_f64 v[160:161], v[160:161], v[170:171]
	v_fmac_f64_e32 v[176:177], v[178:179], v[60:61]
	v_fmac_f64_e32 v[160:161], v[162:163], v[60:61]
	v_add_f64 v[2:3], v[2:3], -v[176:177]
	s_waitcnt vmcnt(0)
	v_add_f64 v[156:157], v[156:157], -v[62:63]
	v_add_f64 v[158:159], v[158:159], -v[160:161]
	v_mov_b64_e32 v[62:63], v[170:171]
.LBB78_503:
	s_or_b64 exec, exec, s[0:1]
	v_lshl_add_u32 v160, v173, 4, v172
	s_barrier
	s_waitcnt vmcnt(15)
	ds_write2_b64 v160, v[56:57], v[58:59] offset1:1
	s_waitcnt lgkmcnt(0)
	s_barrier
	ds_read2_b64 v[160:163], v172 offset0:48 offset1:49
	s_cmp_lt_i32 s20, 26
	v_mov_b32_e32 v170, 24
	s_cbranch_scc1 .LBB78_506
; %bb.504:
	v_add_u32_e32 v171, 0x190, v172
	s_mov_b32 s16, 25
	v_mov_b32_e32 v170, 24
.LBB78_505:                             ; =>This Inner Loop Header: Depth=1
	ds_read2_b64 v[176:179], v171 offset1:1
	s_waitcnt lgkmcnt(1)
	v_xor_b32_e32 v181, 0x80000000, v161
	v_xor_b32_e32 v183, 0x80000000, v163
	v_cmp_gt_f64_e32 vcc, 0, v[162:163]
	v_cmp_gt_f64_e64 s[0:1], 0, v[160:161]
	v_mov_b32_e32 v180, v160
	v_mov_b32_e32 v182, v162
	v_cndmask_b32_e64 v181, v161, v181, s[0:1]
	v_cndmask_b32_e32 v183, v163, v183, vcc
	v_add_f64 v[180:181], v[180:181], v[182:183]
	s_waitcnt lgkmcnt(0)
	v_xor_b32_e32 v183, 0x80000000, v177
	v_xor_b32_e32 v185, 0x80000000, v179
	v_cmp_gt_f64_e32 vcc, 0, v[178:179]
	v_cmp_gt_f64_e64 s[0:1], 0, v[176:177]
	v_mov_b32_e32 v182, v176
	v_mov_b32_e32 v184, v178
	v_cndmask_b32_e64 v183, v177, v183, s[0:1]
	v_cndmask_b32_e32 v185, v179, v185, vcc
	v_add_f64 v[182:183], v[182:183], v[184:185]
	v_mov_b32_e32 v186, s16
	s_add_i32 s16, s16, 1
	v_cmp_lt_f64_e32 vcc, v[180:181], v[182:183]
	v_add_u32_e32 v171, 16, v171
	s_cmp_lg_u32 s20, s16
	v_cndmask_b32_e32 v161, v161, v177, vcc
	v_cndmask_b32_e32 v160, v160, v176, vcc
	;; [unrolled: 1-line block ×5, first 2 shown]
	s_cbranch_scc1 .LBB78_505
.LBB78_506:
	s_waitcnt lgkmcnt(0)
	v_cmp_eq_f64_e32 vcc, 0, v[160:161]
	v_cmp_eq_f64_e64 s[0:1], 0, v[162:163]
	s_and_b64 s[0:1], vcc, s[0:1]
	s_and_saveexec_b64 s[16:17], s[0:1]
	s_xor_b64 s[0:1], exec, s[16:17]
; %bb.507:
	v_cmp_ne_u32_e32 vcc, 0, v174
	s_nop 1
	v_cndmask_b32_e32 v174, 25, v174, vcc
; %bb.508:
	s_andn2_saveexec_b64 s[0:1], s[0:1]
	s_cbranch_execz .LBB78_514
; %bb.509:
	v_cmp_ngt_f64_e64 s[16:17], |v[160:161]|, |v[162:163]|
	s_and_saveexec_b64 s[18:19], s[16:17]
	s_xor_b64 s[16:17], exec, s[18:19]
	s_cbranch_execz .LBB78_511
; %bb.510:
	v_div_scale_f64 v[176:177], s[18:19], v[162:163], v[162:163], v[160:161]
	v_rcp_f64_e32 v[178:179], v[176:177]
	v_div_scale_f64 v[180:181], vcc, v[160:161], v[162:163], v[160:161]
	v_fma_f64 v[182:183], -v[176:177], v[178:179], 1.0
	v_fmac_f64_e32 v[178:179], v[178:179], v[182:183]
	v_fma_f64 v[182:183], -v[176:177], v[178:179], 1.0
	v_fmac_f64_e32 v[178:179], v[178:179], v[182:183]
	v_mul_f64 v[182:183], v[180:181], v[178:179]
	v_fma_f64 v[176:177], -v[176:177], v[182:183], v[180:181]
	v_div_fmas_f64 v[176:177], v[176:177], v[178:179], v[182:183]
	v_div_fixup_f64 v[176:177], v[176:177], v[162:163], v[160:161]
	v_fmac_f64_e32 v[162:163], v[160:161], v[176:177]
	v_div_scale_f64 v[160:161], s[18:19], v[162:163], v[162:163], 1.0
	v_rcp_f64_e32 v[178:179], v[160:161]
	s_nop 0
	v_fma_f64 v[180:181], -v[160:161], v[178:179], 1.0
	v_fmac_f64_e32 v[178:179], v[178:179], v[180:181]
	v_fma_f64 v[180:181], -v[160:161], v[178:179], 1.0
	v_fmac_f64_e32 v[178:179], v[178:179], v[180:181]
	v_div_scale_f64 v[180:181], vcc, 1.0, v[162:163], 1.0
	v_mul_f64 v[182:183], v[180:181], v[178:179]
	v_fma_f64 v[160:161], -v[160:161], v[182:183], v[180:181]
	s_nop 1
	v_div_fmas_f64 v[160:161], v[160:161], v[178:179], v[182:183]
	v_div_fixup_f64 v[162:163], v[160:161], v[162:163], 1.0
	v_mul_f64 v[160:161], v[176:177], v[162:163]
	v_xor_b32_e32 v163, 0x80000000, v163
.LBB78_511:
	s_andn2_saveexec_b64 s[16:17], s[16:17]
	s_cbranch_execz .LBB78_513
; %bb.512:
	v_div_scale_f64 v[176:177], s[18:19], v[160:161], v[160:161], v[162:163]
	v_rcp_f64_e32 v[178:179], v[176:177]
	v_div_scale_f64 v[180:181], vcc, v[162:163], v[160:161], v[162:163]
	v_fma_f64 v[182:183], -v[176:177], v[178:179], 1.0
	v_fmac_f64_e32 v[178:179], v[178:179], v[182:183]
	v_fma_f64 v[182:183], -v[176:177], v[178:179], 1.0
	v_fmac_f64_e32 v[178:179], v[178:179], v[182:183]
	v_mul_f64 v[182:183], v[180:181], v[178:179]
	v_fma_f64 v[176:177], -v[176:177], v[182:183], v[180:181]
	v_div_fmas_f64 v[176:177], v[176:177], v[178:179], v[182:183]
	v_div_fixup_f64 v[176:177], v[176:177], v[160:161], v[162:163]
	v_fmac_f64_e32 v[160:161], v[162:163], v[176:177]
	v_div_scale_f64 v[162:163], s[18:19], v[160:161], v[160:161], 1.0
	v_rcp_f64_e32 v[178:179], v[162:163]
	s_nop 0
	v_fma_f64 v[180:181], -v[162:163], v[178:179], 1.0
	v_fmac_f64_e32 v[178:179], v[178:179], v[180:181]
	v_fma_f64 v[180:181], -v[162:163], v[178:179], 1.0
	v_fmac_f64_e32 v[178:179], v[178:179], v[180:181]
	v_div_scale_f64 v[180:181], vcc, 1.0, v[160:161], 1.0
	v_mul_f64 v[182:183], v[180:181], v[178:179]
	v_fma_f64 v[162:163], -v[162:163], v[182:183], v[180:181]
	s_nop 1
	v_div_fmas_f64 v[162:163], v[162:163], v[178:179], v[182:183]
	v_div_fixup_f64 v[160:161], v[162:163], v[160:161], 1.0
	v_mul_f64 v[162:163], v[176:177], -v[160:161]
.LBB78_513:
	s_or_b64 exec, exec, s[16:17]
.LBB78_514:
	s_or_b64 exec, exec, s[0:1]
	v_cmp_ne_u32_e32 vcc, v173, v170
	s_and_saveexec_b64 s[0:1], vcc
	s_xor_b64 s[0:1], exec, s[0:1]
	s_cbranch_execz .LBB78_520
; %bb.515:
	v_cmp_eq_u32_e32 vcc, 24, v173
	s_and_saveexec_b64 s[16:17], vcc
	s_cbranch_execz .LBB78_519
; %bb.516:
	v_cmp_ne_u32_e32 vcc, 24, v170
	s_xor_b64 s[18:19], s[14:15], -1
	s_and_b64 s[22:23], s[18:19], vcc
	s_and_saveexec_b64 s[18:19], s[22:23]
	s_cbranch_execz .LBB78_518
; %bb.517:
	v_ashrrev_i32_e32 v171, 31, v170
	v_lshl_add_u64 v[176:177], v[170:171], 2, v[168:169]
	global_load_dword v171, v[176:177], off
	global_load_dword v173, v[168:169], off offset:96
	s_waitcnt vmcnt(1)
	global_store_dword v[168:169], v171, off offset:96
	s_waitcnt vmcnt(1)
	global_store_dword v[176:177], v173, off
.LBB78_518:
	s_or_b64 exec, exec, s[18:19]
	v_mov_b32_e32 v173, v170
	v_mov_b32_e32 v175, v170
.LBB78_519:
	s_or_b64 exec, exec, s[16:17]
.LBB78_520:
	s_andn2_saveexec_b64 s[0:1], s[0:1]
	s_cbranch_execz .LBB78_522
; %bb.521:
	v_mov_b32_e32 v173, 24
	s_waitcnt vmcnt(14)
	ds_write2_b64 v172, v[52:53], v[54:55] offset0:50 offset1:51
	s_waitcnt vmcnt(13)
	ds_write2_b64 v172, v[48:49], v[50:51] offset0:52 offset1:53
	s_waitcnt vmcnt(12)
	ds_write2_b64 v172, v[44:45], v[46:47] offset0:54 offset1:55
	s_waitcnt vmcnt(11)
	ds_write2_b64 v172, v[40:41], v[42:43] offset0:56 offset1:57
	s_waitcnt vmcnt(10)
	ds_write2_b64 v172, v[36:37], v[38:39] offset0:58 offset1:59
	s_waitcnt vmcnt(9)
	ds_write2_b64 v172, v[32:33], v[34:35] offset0:60 offset1:61
	s_waitcnt vmcnt(8)
	ds_write2_b64 v172, v[28:29], v[30:31] offset0:62 offset1:63
	s_waitcnt vmcnt(7)
	ds_write2_b64 v172, v[24:25], v[26:27] offset0:64 offset1:65
	s_waitcnt vmcnt(6)
	ds_write2_b64 v172, v[20:21], v[22:23] offset0:66 offset1:67
	s_waitcnt vmcnt(5)
	ds_write2_b64 v172, v[16:17], v[18:19] offset0:68 offset1:69
	s_waitcnt vmcnt(4)
	ds_write2_b64 v172, v[12:13], v[14:15] offset0:70 offset1:71
	s_waitcnt vmcnt(3)
	ds_write2_b64 v172, v[8:9], v[10:11] offset0:72 offset1:73
	s_waitcnt vmcnt(2)
	ds_write2_b64 v172, v[4:5], v[6:7] offset0:74 offset1:75
	s_waitcnt vmcnt(1)
	ds_write2_b64 v172, v[0:1], v[2:3] offset0:76 offset1:77
	s_waitcnt vmcnt(0)
	ds_write2_b64 v172, v[156:157], v[158:159] offset0:78 offset1:79
.LBB78_522:
	s_or_b64 exec, exec, s[0:1]
	v_cmp_lt_i32_e32 vcc, 24, v173
	s_waitcnt lgkmcnt(0)
	s_barrier
	s_and_saveexec_b64 s[0:1], vcc
	s_cbranch_execz .LBB78_524
; %bb.523:
	ds_read2_b64 v[176:179], v172 offset0:50 offset1:51
	v_mul_f64 v[170:171], v[160:161], v[58:59]
	v_fmac_f64_e32 v[170:171], v[162:163], v[56:57]
	v_mul_f64 v[58:59], v[162:163], v[58:59]
	v_fma_f64 v[56:57], v[160:161], v[56:57], -v[58:59]
	ds_read2_b64 v[160:163], v172 offset0:52 offset1:53
	s_waitcnt lgkmcnt(1)
	v_mul_f64 v[58:59], v[178:179], v[170:171]
	v_fma_f64 v[58:59], v[176:177], v[56:57], -v[58:59]
	v_mul_f64 v[176:177], v[176:177], v[170:171]
	v_fmac_f64_e32 v[176:177], v[178:179], v[56:57]
	s_waitcnt vmcnt(14)
	v_add_f64 v[54:55], v[54:55], -v[176:177]
	ds_read2_b64 v[176:179], v172 offset0:54 offset1:55
	v_add_f64 v[52:53], v[52:53], -v[58:59]
	s_waitcnt lgkmcnt(1)
	v_mul_f64 v[58:59], v[162:163], v[170:171]
	v_fma_f64 v[58:59], v[160:161], v[56:57], -v[58:59]
	v_mul_f64 v[160:161], v[160:161], v[170:171]
	v_fmac_f64_e32 v[160:161], v[162:163], v[56:57]
	s_waitcnt vmcnt(13)
	v_add_f64 v[48:49], v[48:49], -v[58:59]
	v_add_f64 v[50:51], v[50:51], -v[160:161]
	ds_read2_b64 v[160:163], v172 offset0:56 offset1:57
	s_waitcnt lgkmcnt(1)
	v_mul_f64 v[58:59], v[178:179], v[170:171]
	v_fma_f64 v[58:59], v[176:177], v[56:57], -v[58:59]
	v_mul_f64 v[176:177], v[176:177], v[170:171]
	v_fmac_f64_e32 v[176:177], v[178:179], v[56:57]
	s_waitcnt vmcnt(12)
	v_add_f64 v[46:47], v[46:47], -v[176:177]
	ds_read2_b64 v[176:179], v172 offset0:58 offset1:59
	v_add_f64 v[44:45], v[44:45], -v[58:59]
	s_waitcnt lgkmcnt(1)
	v_mul_f64 v[58:59], v[162:163], v[170:171]
	v_fma_f64 v[58:59], v[160:161], v[56:57], -v[58:59]
	v_mul_f64 v[160:161], v[160:161], v[170:171]
	v_fmac_f64_e32 v[160:161], v[162:163], v[56:57]
	s_waitcnt vmcnt(11)
	v_add_f64 v[40:41], v[40:41], -v[58:59]
	v_add_f64 v[42:43], v[42:43], -v[160:161]
	;; [unrolled: 18-line block ×7, first 2 shown]
	s_waitcnt lgkmcnt(0)
	v_mul_f64 v[58:59], v[178:179], v[170:171]
	v_mul_f64 v[160:161], v[176:177], v[170:171]
	v_fma_f64 v[58:59], v[176:177], v[56:57], -v[58:59]
	v_fmac_f64_e32 v[160:161], v[178:179], v[56:57]
	s_waitcnt vmcnt(0)
	v_add_f64 v[156:157], v[156:157], -v[58:59]
	v_add_f64 v[158:159], v[158:159], -v[160:161]
	v_mov_b64_e32 v[58:59], v[170:171]
.LBB78_524:
	s_or_b64 exec, exec, s[0:1]
	v_lshl_add_u32 v160, v173, 4, v172
	s_barrier
	s_waitcnt vmcnt(14)
	ds_write2_b64 v160, v[52:53], v[54:55] offset1:1
	s_waitcnt lgkmcnt(0)
	s_barrier
	ds_read2_b64 v[160:163], v172 offset0:50 offset1:51
	s_cmp_lt_i32 s20, 27
	v_mov_b32_e32 v170, 25
	s_cbranch_scc1 .LBB78_527
; %bb.525:
	v_add_u32_e32 v171, 0x1a0, v172
	s_mov_b32 s16, 26
	v_mov_b32_e32 v170, 25
.LBB78_526:                             ; =>This Inner Loop Header: Depth=1
	ds_read2_b64 v[176:179], v171 offset1:1
	s_waitcnt lgkmcnt(1)
	v_xor_b32_e32 v181, 0x80000000, v161
	v_xor_b32_e32 v183, 0x80000000, v163
	v_cmp_gt_f64_e32 vcc, 0, v[162:163]
	v_cmp_gt_f64_e64 s[0:1], 0, v[160:161]
	v_mov_b32_e32 v180, v160
	v_mov_b32_e32 v182, v162
	v_cndmask_b32_e64 v181, v161, v181, s[0:1]
	v_cndmask_b32_e32 v183, v163, v183, vcc
	v_add_f64 v[180:181], v[180:181], v[182:183]
	s_waitcnt lgkmcnt(0)
	v_xor_b32_e32 v183, 0x80000000, v177
	v_xor_b32_e32 v185, 0x80000000, v179
	v_cmp_gt_f64_e32 vcc, 0, v[178:179]
	v_cmp_gt_f64_e64 s[0:1], 0, v[176:177]
	v_mov_b32_e32 v182, v176
	v_mov_b32_e32 v184, v178
	v_cndmask_b32_e64 v183, v177, v183, s[0:1]
	v_cndmask_b32_e32 v185, v179, v185, vcc
	v_add_f64 v[182:183], v[182:183], v[184:185]
	v_mov_b32_e32 v186, s16
	s_add_i32 s16, s16, 1
	v_cmp_lt_f64_e32 vcc, v[180:181], v[182:183]
	v_add_u32_e32 v171, 16, v171
	s_cmp_lg_u32 s20, s16
	v_cndmask_b32_e32 v161, v161, v177, vcc
	v_cndmask_b32_e32 v160, v160, v176, vcc
	;; [unrolled: 1-line block ×5, first 2 shown]
	s_cbranch_scc1 .LBB78_526
.LBB78_527:
	s_waitcnt lgkmcnt(0)
	v_cmp_eq_f64_e32 vcc, 0, v[160:161]
	v_cmp_eq_f64_e64 s[0:1], 0, v[162:163]
	s_and_b64 s[0:1], vcc, s[0:1]
	s_and_saveexec_b64 s[16:17], s[0:1]
	s_xor_b64 s[0:1], exec, s[16:17]
; %bb.528:
	v_cmp_ne_u32_e32 vcc, 0, v174
	s_nop 1
	v_cndmask_b32_e32 v174, 26, v174, vcc
; %bb.529:
	s_andn2_saveexec_b64 s[0:1], s[0:1]
	s_cbranch_execz .LBB78_535
; %bb.530:
	v_cmp_ngt_f64_e64 s[16:17], |v[160:161]|, |v[162:163]|
	s_and_saveexec_b64 s[18:19], s[16:17]
	s_xor_b64 s[16:17], exec, s[18:19]
	s_cbranch_execz .LBB78_532
; %bb.531:
	v_div_scale_f64 v[176:177], s[18:19], v[162:163], v[162:163], v[160:161]
	v_rcp_f64_e32 v[178:179], v[176:177]
	v_div_scale_f64 v[180:181], vcc, v[160:161], v[162:163], v[160:161]
	v_fma_f64 v[182:183], -v[176:177], v[178:179], 1.0
	v_fmac_f64_e32 v[178:179], v[178:179], v[182:183]
	v_fma_f64 v[182:183], -v[176:177], v[178:179], 1.0
	v_fmac_f64_e32 v[178:179], v[178:179], v[182:183]
	v_mul_f64 v[182:183], v[180:181], v[178:179]
	v_fma_f64 v[176:177], -v[176:177], v[182:183], v[180:181]
	v_div_fmas_f64 v[176:177], v[176:177], v[178:179], v[182:183]
	v_div_fixup_f64 v[176:177], v[176:177], v[162:163], v[160:161]
	v_fmac_f64_e32 v[162:163], v[160:161], v[176:177]
	v_div_scale_f64 v[160:161], s[18:19], v[162:163], v[162:163], 1.0
	v_rcp_f64_e32 v[178:179], v[160:161]
	s_nop 0
	v_fma_f64 v[180:181], -v[160:161], v[178:179], 1.0
	v_fmac_f64_e32 v[178:179], v[178:179], v[180:181]
	v_fma_f64 v[180:181], -v[160:161], v[178:179], 1.0
	v_fmac_f64_e32 v[178:179], v[178:179], v[180:181]
	v_div_scale_f64 v[180:181], vcc, 1.0, v[162:163], 1.0
	v_mul_f64 v[182:183], v[180:181], v[178:179]
	v_fma_f64 v[160:161], -v[160:161], v[182:183], v[180:181]
	s_nop 1
	v_div_fmas_f64 v[160:161], v[160:161], v[178:179], v[182:183]
	v_div_fixup_f64 v[162:163], v[160:161], v[162:163], 1.0
	v_mul_f64 v[160:161], v[176:177], v[162:163]
	v_xor_b32_e32 v163, 0x80000000, v163
.LBB78_532:
	s_andn2_saveexec_b64 s[16:17], s[16:17]
	s_cbranch_execz .LBB78_534
; %bb.533:
	v_div_scale_f64 v[176:177], s[18:19], v[160:161], v[160:161], v[162:163]
	v_rcp_f64_e32 v[178:179], v[176:177]
	v_div_scale_f64 v[180:181], vcc, v[162:163], v[160:161], v[162:163]
	v_fma_f64 v[182:183], -v[176:177], v[178:179], 1.0
	v_fmac_f64_e32 v[178:179], v[178:179], v[182:183]
	v_fma_f64 v[182:183], -v[176:177], v[178:179], 1.0
	v_fmac_f64_e32 v[178:179], v[178:179], v[182:183]
	v_mul_f64 v[182:183], v[180:181], v[178:179]
	v_fma_f64 v[176:177], -v[176:177], v[182:183], v[180:181]
	v_div_fmas_f64 v[176:177], v[176:177], v[178:179], v[182:183]
	v_div_fixup_f64 v[176:177], v[176:177], v[160:161], v[162:163]
	v_fmac_f64_e32 v[160:161], v[162:163], v[176:177]
	v_div_scale_f64 v[162:163], s[18:19], v[160:161], v[160:161], 1.0
	v_rcp_f64_e32 v[178:179], v[162:163]
	s_nop 0
	v_fma_f64 v[180:181], -v[162:163], v[178:179], 1.0
	v_fmac_f64_e32 v[178:179], v[178:179], v[180:181]
	v_fma_f64 v[180:181], -v[162:163], v[178:179], 1.0
	v_fmac_f64_e32 v[178:179], v[178:179], v[180:181]
	v_div_scale_f64 v[180:181], vcc, 1.0, v[160:161], 1.0
	v_mul_f64 v[182:183], v[180:181], v[178:179]
	v_fma_f64 v[162:163], -v[162:163], v[182:183], v[180:181]
	s_nop 1
	v_div_fmas_f64 v[162:163], v[162:163], v[178:179], v[182:183]
	v_div_fixup_f64 v[160:161], v[162:163], v[160:161], 1.0
	v_mul_f64 v[162:163], v[176:177], -v[160:161]
.LBB78_534:
	s_or_b64 exec, exec, s[16:17]
.LBB78_535:
	s_or_b64 exec, exec, s[0:1]
	v_cmp_ne_u32_e32 vcc, v173, v170
	s_and_saveexec_b64 s[0:1], vcc
	s_xor_b64 s[0:1], exec, s[0:1]
	s_cbranch_execz .LBB78_541
; %bb.536:
	v_cmp_eq_u32_e32 vcc, 25, v173
	s_and_saveexec_b64 s[16:17], vcc
	s_cbranch_execz .LBB78_540
; %bb.537:
	v_cmp_ne_u32_e32 vcc, 25, v170
	s_xor_b64 s[18:19], s[14:15], -1
	s_and_b64 s[22:23], s[18:19], vcc
	s_and_saveexec_b64 s[18:19], s[22:23]
	s_cbranch_execz .LBB78_539
; %bb.538:
	v_ashrrev_i32_e32 v171, 31, v170
	v_lshl_add_u64 v[176:177], v[170:171], 2, v[168:169]
	global_load_dword v171, v[176:177], off
	global_load_dword v173, v[168:169], off offset:100
	s_waitcnt vmcnt(1)
	global_store_dword v[168:169], v171, off offset:100
	s_waitcnt vmcnt(1)
	global_store_dword v[176:177], v173, off
.LBB78_539:
	s_or_b64 exec, exec, s[18:19]
	v_mov_b32_e32 v173, v170
	v_mov_b32_e32 v175, v170
.LBB78_540:
	s_or_b64 exec, exec, s[16:17]
.LBB78_541:
	s_andn2_saveexec_b64 s[0:1], s[0:1]
	s_cbranch_execz .LBB78_543
; %bb.542:
	v_mov_b32_e32 v173, 25
	s_waitcnt vmcnt(13)
	ds_write2_b64 v172, v[48:49], v[50:51] offset0:52 offset1:53
	s_waitcnt vmcnt(12)
	ds_write2_b64 v172, v[44:45], v[46:47] offset0:54 offset1:55
	s_waitcnt vmcnt(11)
	ds_write2_b64 v172, v[40:41], v[42:43] offset0:56 offset1:57
	s_waitcnt vmcnt(10)
	ds_write2_b64 v172, v[36:37], v[38:39] offset0:58 offset1:59
	s_waitcnt vmcnt(9)
	ds_write2_b64 v172, v[32:33], v[34:35] offset0:60 offset1:61
	s_waitcnt vmcnt(8)
	ds_write2_b64 v172, v[28:29], v[30:31] offset0:62 offset1:63
	s_waitcnt vmcnt(7)
	ds_write2_b64 v172, v[24:25], v[26:27] offset0:64 offset1:65
	s_waitcnt vmcnt(6)
	ds_write2_b64 v172, v[20:21], v[22:23] offset0:66 offset1:67
	s_waitcnt vmcnt(5)
	ds_write2_b64 v172, v[16:17], v[18:19] offset0:68 offset1:69
	s_waitcnt vmcnt(4)
	ds_write2_b64 v172, v[12:13], v[14:15] offset0:70 offset1:71
	s_waitcnt vmcnt(3)
	ds_write2_b64 v172, v[8:9], v[10:11] offset0:72 offset1:73
	s_waitcnt vmcnt(2)
	ds_write2_b64 v172, v[4:5], v[6:7] offset0:74 offset1:75
	s_waitcnt vmcnt(1)
	ds_write2_b64 v172, v[0:1], v[2:3] offset0:76 offset1:77
	s_waitcnt vmcnt(0)
	ds_write2_b64 v172, v[156:157], v[158:159] offset0:78 offset1:79
.LBB78_543:
	s_or_b64 exec, exec, s[0:1]
	v_cmp_lt_i32_e32 vcc, 25, v173
	s_waitcnt lgkmcnt(0)
	s_barrier
	s_and_saveexec_b64 s[0:1], vcc
	s_cbranch_execz .LBB78_545
; %bb.544:
	ds_read2_b64 v[176:179], v172 offset0:52 offset1:53
	v_mul_f64 v[170:171], v[160:161], v[54:55]
	v_mul_f64 v[54:55], v[162:163], v[54:55]
	v_fmac_f64_e32 v[170:171], v[162:163], v[52:53]
	v_fma_f64 v[52:53], v[160:161], v[52:53], -v[54:55]
	ds_read2_b64 v[160:163], v172 offset0:54 offset1:55
	s_waitcnt lgkmcnt(1)
	v_mul_f64 v[54:55], v[178:179], v[170:171]
	v_fma_f64 v[54:55], v[176:177], v[52:53], -v[54:55]
	v_mul_f64 v[176:177], v[176:177], v[170:171]
	v_fmac_f64_e32 v[176:177], v[178:179], v[52:53]
	s_waitcnt vmcnt(13)
	v_add_f64 v[48:49], v[48:49], -v[54:55]
	s_waitcnt lgkmcnt(0)
	v_mul_f64 v[54:55], v[162:163], v[170:171]
	v_add_f64 v[50:51], v[50:51], -v[176:177]
	v_fma_f64 v[54:55], v[160:161], v[52:53], -v[54:55]
	v_mul_f64 v[160:161], v[160:161], v[170:171]
	ds_read2_b64 v[176:179], v172 offset0:56 offset1:57
	v_fmac_f64_e32 v[160:161], v[162:163], v[52:53]
	s_waitcnt vmcnt(12)
	v_add_f64 v[46:47], v[46:47], -v[160:161]
	ds_read2_b64 v[160:163], v172 offset0:58 offset1:59
	v_add_f64 v[44:45], v[44:45], -v[54:55]
	s_waitcnt lgkmcnt(1)
	v_mul_f64 v[54:55], v[178:179], v[170:171]
	v_fma_f64 v[54:55], v[176:177], v[52:53], -v[54:55]
	v_mul_f64 v[176:177], v[176:177], v[170:171]
	v_fmac_f64_e32 v[176:177], v[178:179], v[52:53]
	s_waitcnt vmcnt(11)
	v_add_f64 v[40:41], v[40:41], -v[54:55]
	s_waitcnt lgkmcnt(0)
	v_mul_f64 v[54:55], v[162:163], v[170:171]
	v_add_f64 v[42:43], v[42:43], -v[176:177]
	v_fma_f64 v[54:55], v[160:161], v[52:53], -v[54:55]
	v_mul_f64 v[160:161], v[160:161], v[170:171]
	ds_read2_b64 v[176:179], v172 offset0:60 offset1:61
	v_fmac_f64_e32 v[160:161], v[162:163], v[52:53]
	s_waitcnt vmcnt(10)
	v_add_f64 v[38:39], v[38:39], -v[160:161]
	ds_read2_b64 v[160:163], v172 offset0:62 offset1:63
	v_add_f64 v[36:37], v[36:37], -v[54:55]
	;; [unrolled: 18-line block ×6, first 2 shown]
	s_waitcnt lgkmcnt(1)
	v_mul_f64 v[54:55], v[178:179], v[170:171]
	v_fma_f64 v[54:55], v[176:177], v[52:53], -v[54:55]
	s_waitcnt vmcnt(1)
	v_add_f64 v[0:1], v[0:1], -v[54:55]
	s_waitcnt lgkmcnt(0)
	v_mul_f64 v[54:55], v[162:163], v[170:171]
	v_mul_f64 v[176:177], v[176:177], v[170:171]
	v_fma_f64 v[54:55], v[160:161], v[52:53], -v[54:55]
	v_mul_f64 v[160:161], v[160:161], v[170:171]
	v_fmac_f64_e32 v[176:177], v[178:179], v[52:53]
	v_fmac_f64_e32 v[160:161], v[162:163], v[52:53]
	v_add_f64 v[2:3], v[2:3], -v[176:177]
	s_waitcnt vmcnt(0)
	v_add_f64 v[156:157], v[156:157], -v[54:55]
	v_add_f64 v[158:159], v[158:159], -v[160:161]
	v_mov_b64_e32 v[54:55], v[170:171]
.LBB78_545:
	s_or_b64 exec, exec, s[0:1]
	v_lshl_add_u32 v160, v173, 4, v172
	s_barrier
	s_waitcnt vmcnt(13)
	ds_write2_b64 v160, v[48:49], v[50:51] offset1:1
	s_waitcnt lgkmcnt(0)
	s_barrier
	ds_read2_b64 v[160:163], v172 offset0:52 offset1:53
	s_cmp_lt_i32 s20, 28
	v_mov_b32_e32 v170, 26
	s_cbranch_scc1 .LBB78_548
; %bb.546:
	v_add_u32_e32 v171, 0x1b0, v172
	s_mov_b32 s16, 27
	v_mov_b32_e32 v170, 26
.LBB78_547:                             ; =>This Inner Loop Header: Depth=1
	ds_read2_b64 v[176:179], v171 offset1:1
	s_waitcnt lgkmcnt(1)
	v_xor_b32_e32 v181, 0x80000000, v161
	v_xor_b32_e32 v183, 0x80000000, v163
	v_cmp_gt_f64_e32 vcc, 0, v[162:163]
	v_cmp_gt_f64_e64 s[0:1], 0, v[160:161]
	v_mov_b32_e32 v180, v160
	v_mov_b32_e32 v182, v162
	v_cndmask_b32_e64 v181, v161, v181, s[0:1]
	v_cndmask_b32_e32 v183, v163, v183, vcc
	v_add_f64 v[180:181], v[180:181], v[182:183]
	s_waitcnt lgkmcnt(0)
	v_xor_b32_e32 v183, 0x80000000, v177
	v_xor_b32_e32 v185, 0x80000000, v179
	v_cmp_gt_f64_e32 vcc, 0, v[178:179]
	v_cmp_gt_f64_e64 s[0:1], 0, v[176:177]
	v_mov_b32_e32 v182, v176
	v_mov_b32_e32 v184, v178
	v_cndmask_b32_e64 v183, v177, v183, s[0:1]
	v_cndmask_b32_e32 v185, v179, v185, vcc
	v_add_f64 v[182:183], v[182:183], v[184:185]
	v_mov_b32_e32 v186, s16
	s_add_i32 s16, s16, 1
	v_cmp_lt_f64_e32 vcc, v[180:181], v[182:183]
	v_add_u32_e32 v171, 16, v171
	s_cmp_lg_u32 s20, s16
	v_cndmask_b32_e32 v161, v161, v177, vcc
	v_cndmask_b32_e32 v160, v160, v176, vcc
	v_cndmask_b32_e32 v163, v163, v179, vcc
	v_cndmask_b32_e32 v162, v162, v178, vcc
	v_cndmask_b32_e32 v170, v170, v186, vcc
	s_cbranch_scc1 .LBB78_547
.LBB78_548:
	s_waitcnt lgkmcnt(0)
	v_cmp_eq_f64_e32 vcc, 0, v[160:161]
	v_cmp_eq_f64_e64 s[0:1], 0, v[162:163]
	s_and_b64 s[0:1], vcc, s[0:1]
	s_and_saveexec_b64 s[16:17], s[0:1]
	s_xor_b64 s[0:1], exec, s[16:17]
; %bb.549:
	v_cmp_ne_u32_e32 vcc, 0, v174
	s_nop 1
	v_cndmask_b32_e32 v174, 27, v174, vcc
; %bb.550:
	s_andn2_saveexec_b64 s[0:1], s[0:1]
	s_cbranch_execz .LBB78_556
; %bb.551:
	v_cmp_ngt_f64_e64 s[16:17], |v[160:161]|, |v[162:163]|
	s_and_saveexec_b64 s[18:19], s[16:17]
	s_xor_b64 s[16:17], exec, s[18:19]
	s_cbranch_execz .LBB78_553
; %bb.552:
	v_div_scale_f64 v[176:177], s[18:19], v[162:163], v[162:163], v[160:161]
	v_rcp_f64_e32 v[178:179], v[176:177]
	v_div_scale_f64 v[180:181], vcc, v[160:161], v[162:163], v[160:161]
	v_fma_f64 v[182:183], -v[176:177], v[178:179], 1.0
	v_fmac_f64_e32 v[178:179], v[178:179], v[182:183]
	v_fma_f64 v[182:183], -v[176:177], v[178:179], 1.0
	v_fmac_f64_e32 v[178:179], v[178:179], v[182:183]
	v_mul_f64 v[182:183], v[180:181], v[178:179]
	v_fma_f64 v[176:177], -v[176:177], v[182:183], v[180:181]
	v_div_fmas_f64 v[176:177], v[176:177], v[178:179], v[182:183]
	v_div_fixup_f64 v[176:177], v[176:177], v[162:163], v[160:161]
	v_fmac_f64_e32 v[162:163], v[160:161], v[176:177]
	v_div_scale_f64 v[160:161], s[18:19], v[162:163], v[162:163], 1.0
	v_rcp_f64_e32 v[178:179], v[160:161]
	s_nop 0
	v_fma_f64 v[180:181], -v[160:161], v[178:179], 1.0
	v_fmac_f64_e32 v[178:179], v[178:179], v[180:181]
	v_fma_f64 v[180:181], -v[160:161], v[178:179], 1.0
	v_fmac_f64_e32 v[178:179], v[178:179], v[180:181]
	v_div_scale_f64 v[180:181], vcc, 1.0, v[162:163], 1.0
	v_mul_f64 v[182:183], v[180:181], v[178:179]
	v_fma_f64 v[160:161], -v[160:161], v[182:183], v[180:181]
	s_nop 1
	v_div_fmas_f64 v[160:161], v[160:161], v[178:179], v[182:183]
	v_div_fixup_f64 v[162:163], v[160:161], v[162:163], 1.0
	v_mul_f64 v[160:161], v[176:177], v[162:163]
	v_xor_b32_e32 v163, 0x80000000, v163
.LBB78_553:
	s_andn2_saveexec_b64 s[16:17], s[16:17]
	s_cbranch_execz .LBB78_555
; %bb.554:
	v_div_scale_f64 v[176:177], s[18:19], v[160:161], v[160:161], v[162:163]
	v_rcp_f64_e32 v[178:179], v[176:177]
	v_div_scale_f64 v[180:181], vcc, v[162:163], v[160:161], v[162:163]
	v_fma_f64 v[182:183], -v[176:177], v[178:179], 1.0
	v_fmac_f64_e32 v[178:179], v[178:179], v[182:183]
	v_fma_f64 v[182:183], -v[176:177], v[178:179], 1.0
	v_fmac_f64_e32 v[178:179], v[178:179], v[182:183]
	v_mul_f64 v[182:183], v[180:181], v[178:179]
	v_fma_f64 v[176:177], -v[176:177], v[182:183], v[180:181]
	v_div_fmas_f64 v[176:177], v[176:177], v[178:179], v[182:183]
	v_div_fixup_f64 v[176:177], v[176:177], v[160:161], v[162:163]
	v_fmac_f64_e32 v[160:161], v[162:163], v[176:177]
	v_div_scale_f64 v[162:163], s[18:19], v[160:161], v[160:161], 1.0
	v_rcp_f64_e32 v[178:179], v[162:163]
	s_nop 0
	v_fma_f64 v[180:181], -v[162:163], v[178:179], 1.0
	v_fmac_f64_e32 v[178:179], v[178:179], v[180:181]
	v_fma_f64 v[180:181], -v[162:163], v[178:179], 1.0
	v_fmac_f64_e32 v[178:179], v[178:179], v[180:181]
	v_div_scale_f64 v[180:181], vcc, 1.0, v[160:161], 1.0
	v_mul_f64 v[182:183], v[180:181], v[178:179]
	v_fma_f64 v[162:163], -v[162:163], v[182:183], v[180:181]
	s_nop 1
	v_div_fmas_f64 v[162:163], v[162:163], v[178:179], v[182:183]
	v_div_fixup_f64 v[160:161], v[162:163], v[160:161], 1.0
	v_mul_f64 v[162:163], v[176:177], -v[160:161]
.LBB78_555:
	s_or_b64 exec, exec, s[16:17]
.LBB78_556:
	s_or_b64 exec, exec, s[0:1]
	v_cmp_ne_u32_e32 vcc, v173, v170
	s_and_saveexec_b64 s[0:1], vcc
	s_xor_b64 s[0:1], exec, s[0:1]
	s_cbranch_execz .LBB78_562
; %bb.557:
	v_cmp_eq_u32_e32 vcc, 26, v173
	s_and_saveexec_b64 s[16:17], vcc
	s_cbranch_execz .LBB78_561
; %bb.558:
	v_cmp_ne_u32_e32 vcc, 26, v170
	s_xor_b64 s[18:19], s[14:15], -1
	s_and_b64 s[22:23], s[18:19], vcc
	s_and_saveexec_b64 s[18:19], s[22:23]
	s_cbranch_execz .LBB78_560
; %bb.559:
	v_ashrrev_i32_e32 v171, 31, v170
	v_lshl_add_u64 v[176:177], v[170:171], 2, v[168:169]
	global_load_dword v171, v[176:177], off
	global_load_dword v173, v[168:169], off offset:104
	s_waitcnt vmcnt(1)
	global_store_dword v[168:169], v171, off offset:104
	s_waitcnt vmcnt(1)
	global_store_dword v[176:177], v173, off
.LBB78_560:
	s_or_b64 exec, exec, s[18:19]
	v_mov_b32_e32 v173, v170
	v_mov_b32_e32 v175, v170
.LBB78_561:
	s_or_b64 exec, exec, s[16:17]
.LBB78_562:
	s_andn2_saveexec_b64 s[0:1], s[0:1]
	s_cbranch_execz .LBB78_564
; %bb.563:
	v_mov_b32_e32 v173, 26
	s_waitcnt vmcnt(12)
	ds_write2_b64 v172, v[44:45], v[46:47] offset0:54 offset1:55
	s_waitcnt vmcnt(11)
	ds_write2_b64 v172, v[40:41], v[42:43] offset0:56 offset1:57
	;; [unrolled: 2-line block ×13, first 2 shown]
.LBB78_564:
	s_or_b64 exec, exec, s[0:1]
	v_cmp_lt_i32_e32 vcc, 26, v173
	s_waitcnt lgkmcnt(0)
	s_barrier
	s_and_saveexec_b64 s[0:1], vcc
	s_cbranch_execz .LBB78_566
; %bb.565:
	ds_read2_b64 v[176:179], v172 offset0:54 offset1:55
	v_mul_f64 v[170:171], v[160:161], v[50:51]
	v_fmac_f64_e32 v[170:171], v[162:163], v[48:49]
	v_mul_f64 v[50:51], v[162:163], v[50:51]
	v_fma_f64 v[48:49], v[160:161], v[48:49], -v[50:51]
	ds_read2_b64 v[160:163], v172 offset0:56 offset1:57
	s_waitcnt lgkmcnt(1)
	v_mul_f64 v[50:51], v[178:179], v[170:171]
	v_fma_f64 v[50:51], v[176:177], v[48:49], -v[50:51]
	v_mul_f64 v[176:177], v[176:177], v[170:171]
	v_fmac_f64_e32 v[176:177], v[178:179], v[48:49]
	s_waitcnt vmcnt(12)
	v_add_f64 v[46:47], v[46:47], -v[176:177]
	ds_read2_b64 v[176:179], v172 offset0:58 offset1:59
	v_add_f64 v[44:45], v[44:45], -v[50:51]
	s_waitcnt lgkmcnt(1)
	v_mul_f64 v[50:51], v[162:163], v[170:171]
	v_fma_f64 v[50:51], v[160:161], v[48:49], -v[50:51]
	v_mul_f64 v[160:161], v[160:161], v[170:171]
	v_fmac_f64_e32 v[160:161], v[162:163], v[48:49]
	s_waitcnt vmcnt(11)
	v_add_f64 v[40:41], v[40:41], -v[50:51]
	v_add_f64 v[42:43], v[42:43], -v[160:161]
	ds_read2_b64 v[160:163], v172 offset0:60 offset1:61
	s_waitcnt lgkmcnt(1)
	v_mul_f64 v[50:51], v[178:179], v[170:171]
	v_fma_f64 v[50:51], v[176:177], v[48:49], -v[50:51]
	v_mul_f64 v[176:177], v[176:177], v[170:171]
	v_fmac_f64_e32 v[176:177], v[178:179], v[48:49]
	s_waitcnt vmcnt(10)
	v_add_f64 v[38:39], v[38:39], -v[176:177]
	ds_read2_b64 v[176:179], v172 offset0:62 offset1:63
	v_add_f64 v[36:37], v[36:37], -v[50:51]
	s_waitcnt lgkmcnt(1)
	v_mul_f64 v[50:51], v[162:163], v[170:171]
	v_fma_f64 v[50:51], v[160:161], v[48:49], -v[50:51]
	v_mul_f64 v[160:161], v[160:161], v[170:171]
	v_fmac_f64_e32 v[160:161], v[162:163], v[48:49]
	s_waitcnt vmcnt(9)
	v_add_f64 v[32:33], v[32:33], -v[50:51]
	v_add_f64 v[34:35], v[34:35], -v[160:161]
	;; [unrolled: 18-line block ×6, first 2 shown]
	s_waitcnt lgkmcnt(0)
	v_mul_f64 v[50:51], v[178:179], v[170:171]
	v_mul_f64 v[160:161], v[176:177], v[170:171]
	v_fma_f64 v[50:51], v[176:177], v[48:49], -v[50:51]
	v_fmac_f64_e32 v[160:161], v[178:179], v[48:49]
	s_waitcnt vmcnt(0)
	v_add_f64 v[156:157], v[156:157], -v[50:51]
	v_add_f64 v[158:159], v[158:159], -v[160:161]
	v_mov_b64_e32 v[50:51], v[170:171]
.LBB78_566:
	s_or_b64 exec, exec, s[0:1]
	v_lshl_add_u32 v160, v173, 4, v172
	s_barrier
	s_waitcnt vmcnt(12)
	ds_write2_b64 v160, v[44:45], v[46:47] offset1:1
	s_waitcnt lgkmcnt(0)
	s_barrier
	ds_read2_b64 v[160:163], v172 offset0:54 offset1:55
	s_cmp_lt_i32 s20, 29
	v_mov_b32_e32 v170, 27
	s_cbranch_scc1 .LBB78_569
; %bb.567:
	v_add_u32_e32 v171, 0x1c0, v172
	s_mov_b32 s16, 28
	v_mov_b32_e32 v170, 27
.LBB78_568:                             ; =>This Inner Loop Header: Depth=1
	ds_read2_b64 v[176:179], v171 offset1:1
	s_waitcnt lgkmcnt(1)
	v_xor_b32_e32 v181, 0x80000000, v161
	v_xor_b32_e32 v183, 0x80000000, v163
	v_cmp_gt_f64_e32 vcc, 0, v[162:163]
	v_cmp_gt_f64_e64 s[0:1], 0, v[160:161]
	v_mov_b32_e32 v180, v160
	v_mov_b32_e32 v182, v162
	v_cndmask_b32_e64 v181, v161, v181, s[0:1]
	v_cndmask_b32_e32 v183, v163, v183, vcc
	v_add_f64 v[180:181], v[180:181], v[182:183]
	s_waitcnt lgkmcnt(0)
	v_xor_b32_e32 v183, 0x80000000, v177
	v_xor_b32_e32 v185, 0x80000000, v179
	v_cmp_gt_f64_e32 vcc, 0, v[178:179]
	v_cmp_gt_f64_e64 s[0:1], 0, v[176:177]
	v_mov_b32_e32 v182, v176
	v_mov_b32_e32 v184, v178
	v_cndmask_b32_e64 v183, v177, v183, s[0:1]
	v_cndmask_b32_e32 v185, v179, v185, vcc
	v_add_f64 v[182:183], v[182:183], v[184:185]
	v_mov_b32_e32 v186, s16
	s_add_i32 s16, s16, 1
	v_cmp_lt_f64_e32 vcc, v[180:181], v[182:183]
	v_add_u32_e32 v171, 16, v171
	s_cmp_lg_u32 s20, s16
	v_cndmask_b32_e32 v161, v161, v177, vcc
	v_cndmask_b32_e32 v160, v160, v176, vcc
	;; [unrolled: 1-line block ×5, first 2 shown]
	s_cbranch_scc1 .LBB78_568
.LBB78_569:
	s_waitcnt lgkmcnt(0)
	v_cmp_eq_f64_e32 vcc, 0, v[160:161]
	v_cmp_eq_f64_e64 s[0:1], 0, v[162:163]
	s_and_b64 s[0:1], vcc, s[0:1]
	s_and_saveexec_b64 s[16:17], s[0:1]
	s_xor_b64 s[0:1], exec, s[16:17]
; %bb.570:
	v_cmp_ne_u32_e32 vcc, 0, v174
	s_nop 1
	v_cndmask_b32_e32 v174, 28, v174, vcc
; %bb.571:
	s_andn2_saveexec_b64 s[0:1], s[0:1]
	s_cbranch_execz .LBB78_577
; %bb.572:
	v_cmp_ngt_f64_e64 s[16:17], |v[160:161]|, |v[162:163]|
	s_and_saveexec_b64 s[18:19], s[16:17]
	s_xor_b64 s[16:17], exec, s[18:19]
	s_cbranch_execz .LBB78_574
; %bb.573:
	v_div_scale_f64 v[176:177], s[18:19], v[162:163], v[162:163], v[160:161]
	v_rcp_f64_e32 v[178:179], v[176:177]
	v_div_scale_f64 v[180:181], vcc, v[160:161], v[162:163], v[160:161]
	v_fma_f64 v[182:183], -v[176:177], v[178:179], 1.0
	v_fmac_f64_e32 v[178:179], v[178:179], v[182:183]
	v_fma_f64 v[182:183], -v[176:177], v[178:179], 1.0
	v_fmac_f64_e32 v[178:179], v[178:179], v[182:183]
	v_mul_f64 v[182:183], v[180:181], v[178:179]
	v_fma_f64 v[176:177], -v[176:177], v[182:183], v[180:181]
	v_div_fmas_f64 v[176:177], v[176:177], v[178:179], v[182:183]
	v_div_fixup_f64 v[176:177], v[176:177], v[162:163], v[160:161]
	v_fmac_f64_e32 v[162:163], v[160:161], v[176:177]
	v_div_scale_f64 v[160:161], s[18:19], v[162:163], v[162:163], 1.0
	v_rcp_f64_e32 v[178:179], v[160:161]
	s_nop 0
	v_fma_f64 v[180:181], -v[160:161], v[178:179], 1.0
	v_fmac_f64_e32 v[178:179], v[178:179], v[180:181]
	v_fma_f64 v[180:181], -v[160:161], v[178:179], 1.0
	v_fmac_f64_e32 v[178:179], v[178:179], v[180:181]
	v_div_scale_f64 v[180:181], vcc, 1.0, v[162:163], 1.0
	v_mul_f64 v[182:183], v[180:181], v[178:179]
	v_fma_f64 v[160:161], -v[160:161], v[182:183], v[180:181]
	s_nop 1
	v_div_fmas_f64 v[160:161], v[160:161], v[178:179], v[182:183]
	v_div_fixup_f64 v[162:163], v[160:161], v[162:163], 1.0
	v_mul_f64 v[160:161], v[176:177], v[162:163]
	v_xor_b32_e32 v163, 0x80000000, v163
.LBB78_574:
	s_andn2_saveexec_b64 s[16:17], s[16:17]
	s_cbranch_execz .LBB78_576
; %bb.575:
	v_div_scale_f64 v[176:177], s[18:19], v[160:161], v[160:161], v[162:163]
	v_rcp_f64_e32 v[178:179], v[176:177]
	v_div_scale_f64 v[180:181], vcc, v[162:163], v[160:161], v[162:163]
	v_fma_f64 v[182:183], -v[176:177], v[178:179], 1.0
	v_fmac_f64_e32 v[178:179], v[178:179], v[182:183]
	v_fma_f64 v[182:183], -v[176:177], v[178:179], 1.0
	v_fmac_f64_e32 v[178:179], v[178:179], v[182:183]
	v_mul_f64 v[182:183], v[180:181], v[178:179]
	v_fma_f64 v[176:177], -v[176:177], v[182:183], v[180:181]
	v_div_fmas_f64 v[176:177], v[176:177], v[178:179], v[182:183]
	v_div_fixup_f64 v[176:177], v[176:177], v[160:161], v[162:163]
	v_fmac_f64_e32 v[160:161], v[162:163], v[176:177]
	v_div_scale_f64 v[162:163], s[18:19], v[160:161], v[160:161], 1.0
	v_rcp_f64_e32 v[178:179], v[162:163]
	s_nop 0
	v_fma_f64 v[180:181], -v[162:163], v[178:179], 1.0
	v_fmac_f64_e32 v[178:179], v[178:179], v[180:181]
	v_fma_f64 v[180:181], -v[162:163], v[178:179], 1.0
	v_fmac_f64_e32 v[178:179], v[178:179], v[180:181]
	v_div_scale_f64 v[180:181], vcc, 1.0, v[160:161], 1.0
	v_mul_f64 v[182:183], v[180:181], v[178:179]
	v_fma_f64 v[162:163], -v[162:163], v[182:183], v[180:181]
	s_nop 1
	v_div_fmas_f64 v[162:163], v[162:163], v[178:179], v[182:183]
	v_div_fixup_f64 v[160:161], v[162:163], v[160:161], 1.0
	v_mul_f64 v[162:163], v[176:177], -v[160:161]
.LBB78_576:
	s_or_b64 exec, exec, s[16:17]
.LBB78_577:
	s_or_b64 exec, exec, s[0:1]
	v_cmp_ne_u32_e32 vcc, v173, v170
	s_and_saveexec_b64 s[0:1], vcc
	s_xor_b64 s[0:1], exec, s[0:1]
	s_cbranch_execz .LBB78_583
; %bb.578:
	v_cmp_eq_u32_e32 vcc, 27, v173
	s_and_saveexec_b64 s[16:17], vcc
	s_cbranch_execz .LBB78_582
; %bb.579:
	v_cmp_ne_u32_e32 vcc, 27, v170
	s_xor_b64 s[18:19], s[14:15], -1
	s_and_b64 s[22:23], s[18:19], vcc
	s_and_saveexec_b64 s[18:19], s[22:23]
	s_cbranch_execz .LBB78_581
; %bb.580:
	v_ashrrev_i32_e32 v171, 31, v170
	v_lshl_add_u64 v[176:177], v[170:171], 2, v[168:169]
	global_load_dword v171, v[176:177], off
	global_load_dword v173, v[168:169], off offset:108
	s_waitcnt vmcnt(1)
	global_store_dword v[168:169], v171, off offset:108
	s_waitcnt vmcnt(1)
	global_store_dword v[176:177], v173, off
.LBB78_581:
	s_or_b64 exec, exec, s[18:19]
	v_mov_b32_e32 v173, v170
	v_mov_b32_e32 v175, v170
.LBB78_582:
	s_or_b64 exec, exec, s[16:17]
.LBB78_583:
	s_andn2_saveexec_b64 s[0:1], s[0:1]
	s_cbranch_execz .LBB78_585
; %bb.584:
	v_mov_b32_e32 v173, 27
	s_waitcnt vmcnt(11)
	ds_write2_b64 v172, v[40:41], v[42:43] offset0:56 offset1:57
	s_waitcnt vmcnt(10)
	ds_write2_b64 v172, v[36:37], v[38:39] offset0:58 offset1:59
	;; [unrolled: 2-line block ×12, first 2 shown]
.LBB78_585:
	s_or_b64 exec, exec, s[0:1]
	v_cmp_lt_i32_e32 vcc, 27, v173
	s_waitcnt lgkmcnt(0)
	s_barrier
	s_and_saveexec_b64 s[0:1], vcc
	s_cbranch_execz .LBB78_587
; %bb.586:
	ds_read2_b64 v[176:179], v172 offset0:56 offset1:57
	v_mul_f64 v[170:171], v[160:161], v[46:47]
	v_mul_f64 v[46:47], v[162:163], v[46:47]
	v_fmac_f64_e32 v[170:171], v[162:163], v[44:45]
	v_fma_f64 v[44:45], v[160:161], v[44:45], -v[46:47]
	ds_read2_b64 v[160:163], v172 offset0:58 offset1:59
	s_waitcnt lgkmcnt(1)
	v_mul_f64 v[46:47], v[178:179], v[170:171]
	v_fma_f64 v[46:47], v[176:177], v[44:45], -v[46:47]
	v_mul_f64 v[176:177], v[176:177], v[170:171]
	v_fmac_f64_e32 v[176:177], v[178:179], v[44:45]
	s_waitcnt vmcnt(11)
	v_add_f64 v[40:41], v[40:41], -v[46:47]
	s_waitcnt lgkmcnt(0)
	v_mul_f64 v[46:47], v[162:163], v[170:171]
	v_add_f64 v[42:43], v[42:43], -v[176:177]
	v_fma_f64 v[46:47], v[160:161], v[44:45], -v[46:47]
	v_mul_f64 v[160:161], v[160:161], v[170:171]
	ds_read2_b64 v[176:179], v172 offset0:60 offset1:61
	v_fmac_f64_e32 v[160:161], v[162:163], v[44:45]
	s_waitcnt vmcnt(10)
	v_add_f64 v[38:39], v[38:39], -v[160:161]
	ds_read2_b64 v[160:163], v172 offset0:62 offset1:63
	v_add_f64 v[36:37], v[36:37], -v[46:47]
	s_waitcnt lgkmcnt(1)
	v_mul_f64 v[46:47], v[178:179], v[170:171]
	v_fma_f64 v[46:47], v[176:177], v[44:45], -v[46:47]
	v_mul_f64 v[176:177], v[176:177], v[170:171]
	v_fmac_f64_e32 v[176:177], v[178:179], v[44:45]
	s_waitcnt vmcnt(9)
	v_add_f64 v[32:33], v[32:33], -v[46:47]
	s_waitcnt lgkmcnt(0)
	v_mul_f64 v[46:47], v[162:163], v[170:171]
	v_add_f64 v[34:35], v[34:35], -v[176:177]
	v_fma_f64 v[46:47], v[160:161], v[44:45], -v[46:47]
	v_mul_f64 v[160:161], v[160:161], v[170:171]
	ds_read2_b64 v[176:179], v172 offset0:64 offset1:65
	v_fmac_f64_e32 v[160:161], v[162:163], v[44:45]
	s_waitcnt vmcnt(8)
	v_add_f64 v[30:31], v[30:31], -v[160:161]
	ds_read2_b64 v[160:163], v172 offset0:66 offset1:67
	v_add_f64 v[28:29], v[28:29], -v[46:47]
	;; [unrolled: 18-line block ×5, first 2 shown]
	s_waitcnt lgkmcnt(1)
	v_mul_f64 v[46:47], v[178:179], v[170:171]
	v_fma_f64 v[46:47], v[176:177], v[44:45], -v[46:47]
	s_waitcnt vmcnt(1)
	v_add_f64 v[0:1], v[0:1], -v[46:47]
	s_waitcnt lgkmcnt(0)
	v_mul_f64 v[46:47], v[162:163], v[170:171]
	v_mul_f64 v[176:177], v[176:177], v[170:171]
	v_fma_f64 v[46:47], v[160:161], v[44:45], -v[46:47]
	v_mul_f64 v[160:161], v[160:161], v[170:171]
	v_fmac_f64_e32 v[176:177], v[178:179], v[44:45]
	v_fmac_f64_e32 v[160:161], v[162:163], v[44:45]
	v_add_f64 v[2:3], v[2:3], -v[176:177]
	s_waitcnt vmcnt(0)
	v_add_f64 v[156:157], v[156:157], -v[46:47]
	v_add_f64 v[158:159], v[158:159], -v[160:161]
	v_mov_b64_e32 v[46:47], v[170:171]
.LBB78_587:
	s_or_b64 exec, exec, s[0:1]
	v_lshl_add_u32 v160, v173, 4, v172
	s_barrier
	s_waitcnt vmcnt(11)
	ds_write2_b64 v160, v[40:41], v[42:43] offset1:1
	s_waitcnt lgkmcnt(0)
	s_barrier
	ds_read2_b64 v[160:163], v172 offset0:56 offset1:57
	s_cmp_lt_i32 s20, 30
	v_mov_b32_e32 v170, 28
	s_cbranch_scc1 .LBB78_590
; %bb.588:
	v_add_u32_e32 v171, 0x1d0, v172
	s_mov_b32 s16, 29
	v_mov_b32_e32 v170, 28
.LBB78_589:                             ; =>This Inner Loop Header: Depth=1
	ds_read2_b64 v[176:179], v171 offset1:1
	s_waitcnt lgkmcnt(1)
	v_xor_b32_e32 v181, 0x80000000, v161
	v_xor_b32_e32 v183, 0x80000000, v163
	v_cmp_gt_f64_e32 vcc, 0, v[162:163]
	v_cmp_gt_f64_e64 s[0:1], 0, v[160:161]
	v_mov_b32_e32 v180, v160
	v_mov_b32_e32 v182, v162
	v_cndmask_b32_e64 v181, v161, v181, s[0:1]
	v_cndmask_b32_e32 v183, v163, v183, vcc
	v_add_f64 v[180:181], v[180:181], v[182:183]
	s_waitcnt lgkmcnt(0)
	v_xor_b32_e32 v183, 0x80000000, v177
	v_xor_b32_e32 v185, 0x80000000, v179
	v_cmp_gt_f64_e32 vcc, 0, v[178:179]
	v_cmp_gt_f64_e64 s[0:1], 0, v[176:177]
	v_mov_b32_e32 v182, v176
	v_mov_b32_e32 v184, v178
	v_cndmask_b32_e64 v183, v177, v183, s[0:1]
	v_cndmask_b32_e32 v185, v179, v185, vcc
	v_add_f64 v[182:183], v[182:183], v[184:185]
	v_mov_b32_e32 v186, s16
	s_add_i32 s16, s16, 1
	v_cmp_lt_f64_e32 vcc, v[180:181], v[182:183]
	v_add_u32_e32 v171, 16, v171
	s_cmp_lg_u32 s20, s16
	v_cndmask_b32_e32 v161, v161, v177, vcc
	v_cndmask_b32_e32 v160, v160, v176, vcc
	;; [unrolled: 1-line block ×5, first 2 shown]
	s_cbranch_scc1 .LBB78_589
.LBB78_590:
	s_waitcnt lgkmcnt(0)
	v_cmp_eq_f64_e32 vcc, 0, v[160:161]
	v_cmp_eq_f64_e64 s[0:1], 0, v[162:163]
	s_and_b64 s[0:1], vcc, s[0:1]
	s_and_saveexec_b64 s[16:17], s[0:1]
	s_xor_b64 s[0:1], exec, s[16:17]
; %bb.591:
	v_cmp_ne_u32_e32 vcc, 0, v174
	s_nop 1
	v_cndmask_b32_e32 v174, 29, v174, vcc
; %bb.592:
	s_andn2_saveexec_b64 s[0:1], s[0:1]
	s_cbranch_execz .LBB78_598
; %bb.593:
	v_cmp_ngt_f64_e64 s[16:17], |v[160:161]|, |v[162:163]|
	s_and_saveexec_b64 s[18:19], s[16:17]
	s_xor_b64 s[16:17], exec, s[18:19]
	s_cbranch_execz .LBB78_595
; %bb.594:
	v_div_scale_f64 v[176:177], s[18:19], v[162:163], v[162:163], v[160:161]
	v_rcp_f64_e32 v[178:179], v[176:177]
	v_div_scale_f64 v[180:181], vcc, v[160:161], v[162:163], v[160:161]
	v_fma_f64 v[182:183], -v[176:177], v[178:179], 1.0
	v_fmac_f64_e32 v[178:179], v[178:179], v[182:183]
	v_fma_f64 v[182:183], -v[176:177], v[178:179], 1.0
	v_fmac_f64_e32 v[178:179], v[178:179], v[182:183]
	v_mul_f64 v[182:183], v[180:181], v[178:179]
	v_fma_f64 v[176:177], -v[176:177], v[182:183], v[180:181]
	v_div_fmas_f64 v[176:177], v[176:177], v[178:179], v[182:183]
	v_div_fixup_f64 v[176:177], v[176:177], v[162:163], v[160:161]
	v_fmac_f64_e32 v[162:163], v[160:161], v[176:177]
	v_div_scale_f64 v[160:161], s[18:19], v[162:163], v[162:163], 1.0
	v_rcp_f64_e32 v[178:179], v[160:161]
	s_nop 0
	v_fma_f64 v[180:181], -v[160:161], v[178:179], 1.0
	v_fmac_f64_e32 v[178:179], v[178:179], v[180:181]
	v_fma_f64 v[180:181], -v[160:161], v[178:179], 1.0
	v_fmac_f64_e32 v[178:179], v[178:179], v[180:181]
	v_div_scale_f64 v[180:181], vcc, 1.0, v[162:163], 1.0
	v_mul_f64 v[182:183], v[180:181], v[178:179]
	v_fma_f64 v[160:161], -v[160:161], v[182:183], v[180:181]
	s_nop 1
	v_div_fmas_f64 v[160:161], v[160:161], v[178:179], v[182:183]
	v_div_fixup_f64 v[162:163], v[160:161], v[162:163], 1.0
	v_mul_f64 v[160:161], v[176:177], v[162:163]
	v_xor_b32_e32 v163, 0x80000000, v163
.LBB78_595:
	s_andn2_saveexec_b64 s[16:17], s[16:17]
	s_cbranch_execz .LBB78_597
; %bb.596:
	v_div_scale_f64 v[176:177], s[18:19], v[160:161], v[160:161], v[162:163]
	v_rcp_f64_e32 v[178:179], v[176:177]
	v_div_scale_f64 v[180:181], vcc, v[162:163], v[160:161], v[162:163]
	v_fma_f64 v[182:183], -v[176:177], v[178:179], 1.0
	v_fmac_f64_e32 v[178:179], v[178:179], v[182:183]
	v_fma_f64 v[182:183], -v[176:177], v[178:179], 1.0
	v_fmac_f64_e32 v[178:179], v[178:179], v[182:183]
	v_mul_f64 v[182:183], v[180:181], v[178:179]
	v_fma_f64 v[176:177], -v[176:177], v[182:183], v[180:181]
	v_div_fmas_f64 v[176:177], v[176:177], v[178:179], v[182:183]
	v_div_fixup_f64 v[176:177], v[176:177], v[160:161], v[162:163]
	v_fmac_f64_e32 v[160:161], v[162:163], v[176:177]
	v_div_scale_f64 v[162:163], s[18:19], v[160:161], v[160:161], 1.0
	v_rcp_f64_e32 v[178:179], v[162:163]
	s_nop 0
	v_fma_f64 v[180:181], -v[162:163], v[178:179], 1.0
	v_fmac_f64_e32 v[178:179], v[178:179], v[180:181]
	v_fma_f64 v[180:181], -v[162:163], v[178:179], 1.0
	v_fmac_f64_e32 v[178:179], v[178:179], v[180:181]
	v_div_scale_f64 v[180:181], vcc, 1.0, v[160:161], 1.0
	v_mul_f64 v[182:183], v[180:181], v[178:179]
	v_fma_f64 v[162:163], -v[162:163], v[182:183], v[180:181]
	s_nop 1
	v_div_fmas_f64 v[162:163], v[162:163], v[178:179], v[182:183]
	v_div_fixup_f64 v[160:161], v[162:163], v[160:161], 1.0
	v_mul_f64 v[162:163], v[176:177], -v[160:161]
.LBB78_597:
	s_or_b64 exec, exec, s[16:17]
.LBB78_598:
	s_or_b64 exec, exec, s[0:1]
	v_cmp_ne_u32_e32 vcc, v173, v170
	s_and_saveexec_b64 s[0:1], vcc
	s_xor_b64 s[0:1], exec, s[0:1]
	s_cbranch_execz .LBB78_604
; %bb.599:
	v_cmp_eq_u32_e32 vcc, 28, v173
	s_and_saveexec_b64 s[16:17], vcc
	s_cbranch_execz .LBB78_603
; %bb.600:
	v_cmp_ne_u32_e32 vcc, 28, v170
	s_xor_b64 s[18:19], s[14:15], -1
	s_and_b64 s[22:23], s[18:19], vcc
	s_and_saveexec_b64 s[18:19], s[22:23]
	s_cbranch_execz .LBB78_602
; %bb.601:
	v_ashrrev_i32_e32 v171, 31, v170
	v_lshl_add_u64 v[176:177], v[170:171], 2, v[168:169]
	global_load_dword v171, v[176:177], off
	global_load_dword v173, v[168:169], off offset:112
	s_waitcnt vmcnt(1)
	global_store_dword v[168:169], v171, off offset:112
	s_waitcnt vmcnt(1)
	global_store_dword v[176:177], v173, off
.LBB78_602:
	s_or_b64 exec, exec, s[18:19]
	v_mov_b32_e32 v173, v170
	v_mov_b32_e32 v175, v170
.LBB78_603:
	s_or_b64 exec, exec, s[16:17]
.LBB78_604:
	s_andn2_saveexec_b64 s[0:1], s[0:1]
	s_cbranch_execz .LBB78_606
; %bb.605:
	v_mov_b32_e32 v173, 28
	s_waitcnt vmcnt(10)
	ds_write2_b64 v172, v[36:37], v[38:39] offset0:58 offset1:59
	s_waitcnt vmcnt(9)
	ds_write2_b64 v172, v[32:33], v[34:35] offset0:60 offset1:61
	;; [unrolled: 2-line block ×11, first 2 shown]
.LBB78_606:
	s_or_b64 exec, exec, s[0:1]
	v_cmp_lt_i32_e32 vcc, 28, v173
	s_waitcnt lgkmcnt(0)
	s_barrier
	s_and_saveexec_b64 s[0:1], vcc
	s_cbranch_execz .LBB78_608
; %bb.607:
	ds_read2_b64 v[176:179], v172 offset0:58 offset1:59
	v_mul_f64 v[170:171], v[160:161], v[42:43]
	v_fmac_f64_e32 v[170:171], v[162:163], v[40:41]
	v_mul_f64 v[42:43], v[162:163], v[42:43]
	v_fma_f64 v[40:41], v[160:161], v[40:41], -v[42:43]
	ds_read2_b64 v[160:163], v172 offset0:60 offset1:61
	s_waitcnt lgkmcnt(1)
	v_mul_f64 v[42:43], v[178:179], v[170:171]
	v_fma_f64 v[42:43], v[176:177], v[40:41], -v[42:43]
	v_mul_f64 v[176:177], v[176:177], v[170:171]
	v_fmac_f64_e32 v[176:177], v[178:179], v[40:41]
	s_waitcnt vmcnt(10)
	v_add_f64 v[38:39], v[38:39], -v[176:177]
	ds_read2_b64 v[176:179], v172 offset0:62 offset1:63
	v_add_f64 v[36:37], v[36:37], -v[42:43]
	s_waitcnt lgkmcnt(1)
	v_mul_f64 v[42:43], v[162:163], v[170:171]
	v_fma_f64 v[42:43], v[160:161], v[40:41], -v[42:43]
	v_mul_f64 v[160:161], v[160:161], v[170:171]
	v_fmac_f64_e32 v[160:161], v[162:163], v[40:41]
	s_waitcnt vmcnt(9)
	v_add_f64 v[32:33], v[32:33], -v[42:43]
	v_add_f64 v[34:35], v[34:35], -v[160:161]
	ds_read2_b64 v[160:163], v172 offset0:64 offset1:65
	s_waitcnt lgkmcnt(1)
	v_mul_f64 v[42:43], v[178:179], v[170:171]
	v_fma_f64 v[42:43], v[176:177], v[40:41], -v[42:43]
	v_mul_f64 v[176:177], v[176:177], v[170:171]
	v_fmac_f64_e32 v[176:177], v[178:179], v[40:41]
	s_waitcnt vmcnt(8)
	v_add_f64 v[30:31], v[30:31], -v[176:177]
	ds_read2_b64 v[176:179], v172 offset0:66 offset1:67
	v_add_f64 v[28:29], v[28:29], -v[42:43]
	s_waitcnt lgkmcnt(1)
	v_mul_f64 v[42:43], v[162:163], v[170:171]
	v_fma_f64 v[42:43], v[160:161], v[40:41], -v[42:43]
	v_mul_f64 v[160:161], v[160:161], v[170:171]
	v_fmac_f64_e32 v[160:161], v[162:163], v[40:41]
	s_waitcnt vmcnt(7)
	v_add_f64 v[24:25], v[24:25], -v[42:43]
	v_add_f64 v[26:27], v[26:27], -v[160:161]
	;; [unrolled: 18-line block ×5, first 2 shown]
	s_waitcnt lgkmcnt(0)
	v_mul_f64 v[42:43], v[178:179], v[170:171]
	v_mul_f64 v[160:161], v[176:177], v[170:171]
	v_fma_f64 v[42:43], v[176:177], v[40:41], -v[42:43]
	v_fmac_f64_e32 v[160:161], v[178:179], v[40:41]
	s_waitcnt vmcnt(0)
	v_add_f64 v[156:157], v[156:157], -v[42:43]
	v_add_f64 v[158:159], v[158:159], -v[160:161]
	v_mov_b64_e32 v[42:43], v[170:171]
.LBB78_608:
	s_or_b64 exec, exec, s[0:1]
	v_lshl_add_u32 v160, v173, 4, v172
	s_barrier
	s_waitcnt vmcnt(10)
	ds_write2_b64 v160, v[36:37], v[38:39] offset1:1
	s_waitcnt lgkmcnt(0)
	s_barrier
	ds_read2_b64 v[160:163], v172 offset0:58 offset1:59
	s_cmp_lt_i32 s20, 31
	v_mov_b32_e32 v170, 29
	s_cbranch_scc1 .LBB78_611
; %bb.609:
	v_add_u32_e32 v171, 0x1e0, v172
	s_mov_b32 s16, 30
	v_mov_b32_e32 v170, 29
.LBB78_610:                             ; =>This Inner Loop Header: Depth=1
	ds_read2_b64 v[176:179], v171 offset1:1
	s_waitcnt lgkmcnt(1)
	v_xor_b32_e32 v181, 0x80000000, v161
	v_xor_b32_e32 v183, 0x80000000, v163
	v_cmp_gt_f64_e32 vcc, 0, v[162:163]
	v_cmp_gt_f64_e64 s[0:1], 0, v[160:161]
	v_mov_b32_e32 v180, v160
	v_mov_b32_e32 v182, v162
	v_cndmask_b32_e64 v181, v161, v181, s[0:1]
	v_cndmask_b32_e32 v183, v163, v183, vcc
	v_add_f64 v[180:181], v[180:181], v[182:183]
	s_waitcnt lgkmcnt(0)
	v_xor_b32_e32 v183, 0x80000000, v177
	v_xor_b32_e32 v185, 0x80000000, v179
	v_cmp_gt_f64_e32 vcc, 0, v[178:179]
	v_cmp_gt_f64_e64 s[0:1], 0, v[176:177]
	v_mov_b32_e32 v182, v176
	v_mov_b32_e32 v184, v178
	v_cndmask_b32_e64 v183, v177, v183, s[0:1]
	v_cndmask_b32_e32 v185, v179, v185, vcc
	v_add_f64 v[182:183], v[182:183], v[184:185]
	v_mov_b32_e32 v186, s16
	s_add_i32 s16, s16, 1
	v_cmp_lt_f64_e32 vcc, v[180:181], v[182:183]
	v_add_u32_e32 v171, 16, v171
	s_cmp_lg_u32 s20, s16
	v_cndmask_b32_e32 v161, v161, v177, vcc
	v_cndmask_b32_e32 v160, v160, v176, vcc
	;; [unrolled: 1-line block ×5, first 2 shown]
	s_cbranch_scc1 .LBB78_610
.LBB78_611:
	s_waitcnt lgkmcnt(0)
	v_cmp_eq_f64_e32 vcc, 0, v[160:161]
	v_cmp_eq_f64_e64 s[0:1], 0, v[162:163]
	s_and_b64 s[0:1], vcc, s[0:1]
	s_and_saveexec_b64 s[16:17], s[0:1]
	s_xor_b64 s[0:1], exec, s[16:17]
; %bb.612:
	v_cmp_ne_u32_e32 vcc, 0, v174
	s_nop 1
	v_cndmask_b32_e32 v174, 30, v174, vcc
; %bb.613:
	s_andn2_saveexec_b64 s[0:1], s[0:1]
	s_cbranch_execz .LBB78_619
; %bb.614:
	v_cmp_ngt_f64_e64 s[16:17], |v[160:161]|, |v[162:163]|
	s_and_saveexec_b64 s[18:19], s[16:17]
	s_xor_b64 s[16:17], exec, s[18:19]
	s_cbranch_execz .LBB78_616
; %bb.615:
	v_div_scale_f64 v[176:177], s[18:19], v[162:163], v[162:163], v[160:161]
	v_rcp_f64_e32 v[178:179], v[176:177]
	v_div_scale_f64 v[180:181], vcc, v[160:161], v[162:163], v[160:161]
	v_fma_f64 v[182:183], -v[176:177], v[178:179], 1.0
	v_fmac_f64_e32 v[178:179], v[178:179], v[182:183]
	v_fma_f64 v[182:183], -v[176:177], v[178:179], 1.0
	v_fmac_f64_e32 v[178:179], v[178:179], v[182:183]
	v_mul_f64 v[182:183], v[180:181], v[178:179]
	v_fma_f64 v[176:177], -v[176:177], v[182:183], v[180:181]
	v_div_fmas_f64 v[176:177], v[176:177], v[178:179], v[182:183]
	v_div_fixup_f64 v[176:177], v[176:177], v[162:163], v[160:161]
	v_fmac_f64_e32 v[162:163], v[160:161], v[176:177]
	v_div_scale_f64 v[160:161], s[18:19], v[162:163], v[162:163], 1.0
	v_rcp_f64_e32 v[178:179], v[160:161]
	s_nop 0
	v_fma_f64 v[180:181], -v[160:161], v[178:179], 1.0
	v_fmac_f64_e32 v[178:179], v[178:179], v[180:181]
	v_fma_f64 v[180:181], -v[160:161], v[178:179], 1.0
	v_fmac_f64_e32 v[178:179], v[178:179], v[180:181]
	v_div_scale_f64 v[180:181], vcc, 1.0, v[162:163], 1.0
	v_mul_f64 v[182:183], v[180:181], v[178:179]
	v_fma_f64 v[160:161], -v[160:161], v[182:183], v[180:181]
	s_nop 1
	v_div_fmas_f64 v[160:161], v[160:161], v[178:179], v[182:183]
	v_div_fixup_f64 v[162:163], v[160:161], v[162:163], 1.0
	v_mul_f64 v[160:161], v[176:177], v[162:163]
	v_xor_b32_e32 v163, 0x80000000, v163
.LBB78_616:
	s_andn2_saveexec_b64 s[16:17], s[16:17]
	s_cbranch_execz .LBB78_618
; %bb.617:
	v_div_scale_f64 v[176:177], s[18:19], v[160:161], v[160:161], v[162:163]
	v_rcp_f64_e32 v[178:179], v[176:177]
	v_div_scale_f64 v[180:181], vcc, v[162:163], v[160:161], v[162:163]
	v_fma_f64 v[182:183], -v[176:177], v[178:179], 1.0
	v_fmac_f64_e32 v[178:179], v[178:179], v[182:183]
	v_fma_f64 v[182:183], -v[176:177], v[178:179], 1.0
	v_fmac_f64_e32 v[178:179], v[178:179], v[182:183]
	v_mul_f64 v[182:183], v[180:181], v[178:179]
	v_fma_f64 v[176:177], -v[176:177], v[182:183], v[180:181]
	v_div_fmas_f64 v[176:177], v[176:177], v[178:179], v[182:183]
	v_div_fixup_f64 v[176:177], v[176:177], v[160:161], v[162:163]
	v_fmac_f64_e32 v[160:161], v[162:163], v[176:177]
	v_div_scale_f64 v[162:163], s[18:19], v[160:161], v[160:161], 1.0
	v_rcp_f64_e32 v[178:179], v[162:163]
	s_nop 0
	v_fma_f64 v[180:181], -v[162:163], v[178:179], 1.0
	v_fmac_f64_e32 v[178:179], v[178:179], v[180:181]
	v_fma_f64 v[180:181], -v[162:163], v[178:179], 1.0
	v_fmac_f64_e32 v[178:179], v[178:179], v[180:181]
	v_div_scale_f64 v[180:181], vcc, 1.0, v[160:161], 1.0
	v_mul_f64 v[182:183], v[180:181], v[178:179]
	v_fma_f64 v[162:163], -v[162:163], v[182:183], v[180:181]
	s_nop 1
	v_div_fmas_f64 v[162:163], v[162:163], v[178:179], v[182:183]
	v_div_fixup_f64 v[160:161], v[162:163], v[160:161], 1.0
	v_mul_f64 v[162:163], v[176:177], -v[160:161]
.LBB78_618:
	s_or_b64 exec, exec, s[16:17]
.LBB78_619:
	s_or_b64 exec, exec, s[0:1]
	v_cmp_ne_u32_e32 vcc, v173, v170
	s_and_saveexec_b64 s[0:1], vcc
	s_xor_b64 s[0:1], exec, s[0:1]
	s_cbranch_execz .LBB78_625
; %bb.620:
	v_cmp_eq_u32_e32 vcc, 29, v173
	s_and_saveexec_b64 s[16:17], vcc
	s_cbranch_execz .LBB78_624
; %bb.621:
	v_cmp_ne_u32_e32 vcc, 29, v170
	s_xor_b64 s[18:19], s[14:15], -1
	s_and_b64 s[22:23], s[18:19], vcc
	s_and_saveexec_b64 s[18:19], s[22:23]
	s_cbranch_execz .LBB78_623
; %bb.622:
	v_ashrrev_i32_e32 v171, 31, v170
	v_lshl_add_u64 v[176:177], v[170:171], 2, v[168:169]
	global_load_dword v171, v[176:177], off
	global_load_dword v173, v[168:169], off offset:116
	s_waitcnt vmcnt(1)
	global_store_dword v[168:169], v171, off offset:116
	s_waitcnt vmcnt(1)
	global_store_dword v[176:177], v173, off
.LBB78_623:
	s_or_b64 exec, exec, s[18:19]
	v_mov_b32_e32 v173, v170
	v_mov_b32_e32 v175, v170
.LBB78_624:
	s_or_b64 exec, exec, s[16:17]
.LBB78_625:
	s_andn2_saveexec_b64 s[0:1], s[0:1]
	s_cbranch_execz .LBB78_627
; %bb.626:
	v_mov_b32_e32 v173, 29
	s_waitcnt vmcnt(9)
	ds_write2_b64 v172, v[32:33], v[34:35] offset0:60 offset1:61
	s_waitcnt vmcnt(8)
	ds_write2_b64 v172, v[28:29], v[30:31] offset0:62 offset1:63
	;; [unrolled: 2-line block ×10, first 2 shown]
.LBB78_627:
	s_or_b64 exec, exec, s[0:1]
	v_cmp_lt_i32_e32 vcc, 29, v173
	s_waitcnt lgkmcnt(0)
	s_barrier
	s_and_saveexec_b64 s[0:1], vcc
	s_cbranch_execz .LBB78_629
; %bb.628:
	ds_read2_b64 v[176:179], v172 offset0:60 offset1:61
	v_mul_f64 v[170:171], v[160:161], v[38:39]
	v_mul_f64 v[38:39], v[162:163], v[38:39]
	v_fmac_f64_e32 v[170:171], v[162:163], v[36:37]
	v_fma_f64 v[36:37], v[160:161], v[36:37], -v[38:39]
	ds_read2_b64 v[160:163], v172 offset0:62 offset1:63
	s_waitcnt lgkmcnt(1)
	v_mul_f64 v[38:39], v[178:179], v[170:171]
	v_fma_f64 v[38:39], v[176:177], v[36:37], -v[38:39]
	v_mul_f64 v[176:177], v[176:177], v[170:171]
	v_fmac_f64_e32 v[176:177], v[178:179], v[36:37]
	s_waitcnt vmcnt(9)
	v_add_f64 v[32:33], v[32:33], -v[38:39]
	s_waitcnt lgkmcnt(0)
	v_mul_f64 v[38:39], v[162:163], v[170:171]
	v_add_f64 v[34:35], v[34:35], -v[176:177]
	v_fma_f64 v[38:39], v[160:161], v[36:37], -v[38:39]
	v_mul_f64 v[160:161], v[160:161], v[170:171]
	ds_read2_b64 v[176:179], v172 offset0:64 offset1:65
	v_fmac_f64_e32 v[160:161], v[162:163], v[36:37]
	s_waitcnt vmcnt(8)
	v_add_f64 v[30:31], v[30:31], -v[160:161]
	ds_read2_b64 v[160:163], v172 offset0:66 offset1:67
	v_add_f64 v[28:29], v[28:29], -v[38:39]
	s_waitcnt lgkmcnt(1)
	v_mul_f64 v[38:39], v[178:179], v[170:171]
	v_fma_f64 v[38:39], v[176:177], v[36:37], -v[38:39]
	v_mul_f64 v[176:177], v[176:177], v[170:171]
	v_fmac_f64_e32 v[176:177], v[178:179], v[36:37]
	s_waitcnt vmcnt(7)
	v_add_f64 v[24:25], v[24:25], -v[38:39]
	s_waitcnt lgkmcnt(0)
	v_mul_f64 v[38:39], v[162:163], v[170:171]
	v_add_f64 v[26:27], v[26:27], -v[176:177]
	v_fma_f64 v[38:39], v[160:161], v[36:37], -v[38:39]
	v_mul_f64 v[160:161], v[160:161], v[170:171]
	ds_read2_b64 v[176:179], v172 offset0:68 offset1:69
	v_fmac_f64_e32 v[160:161], v[162:163], v[36:37]
	s_waitcnt vmcnt(6)
	v_add_f64 v[22:23], v[22:23], -v[160:161]
	ds_read2_b64 v[160:163], v172 offset0:70 offset1:71
	v_add_f64 v[20:21], v[20:21], -v[38:39]
	;; [unrolled: 18-line block ×4, first 2 shown]
	s_waitcnt lgkmcnt(1)
	v_mul_f64 v[38:39], v[178:179], v[170:171]
	v_fma_f64 v[38:39], v[176:177], v[36:37], -v[38:39]
	s_waitcnt vmcnt(1)
	v_add_f64 v[0:1], v[0:1], -v[38:39]
	s_waitcnt lgkmcnt(0)
	v_mul_f64 v[38:39], v[162:163], v[170:171]
	v_mul_f64 v[176:177], v[176:177], v[170:171]
	v_fma_f64 v[38:39], v[160:161], v[36:37], -v[38:39]
	v_mul_f64 v[160:161], v[160:161], v[170:171]
	v_fmac_f64_e32 v[176:177], v[178:179], v[36:37]
	v_fmac_f64_e32 v[160:161], v[162:163], v[36:37]
	v_add_f64 v[2:3], v[2:3], -v[176:177]
	s_waitcnt vmcnt(0)
	v_add_f64 v[156:157], v[156:157], -v[38:39]
	v_add_f64 v[158:159], v[158:159], -v[160:161]
	v_mov_b64_e32 v[38:39], v[170:171]
.LBB78_629:
	s_or_b64 exec, exec, s[0:1]
	v_lshl_add_u32 v160, v173, 4, v172
	s_barrier
	s_waitcnt vmcnt(9)
	ds_write2_b64 v160, v[32:33], v[34:35] offset1:1
	s_waitcnt lgkmcnt(0)
	s_barrier
	ds_read2_b64 v[160:163], v172 offset0:60 offset1:61
	s_cmp_lt_i32 s20, 32
	v_mov_b32_e32 v170, 30
	s_cbranch_scc1 .LBB78_632
; %bb.630:
	v_add_u32_e32 v171, 0x1f0, v172
	s_mov_b32 s16, 31
	v_mov_b32_e32 v170, 30
.LBB78_631:                             ; =>This Inner Loop Header: Depth=1
	ds_read2_b64 v[176:179], v171 offset1:1
	s_waitcnt lgkmcnt(1)
	v_xor_b32_e32 v181, 0x80000000, v161
	v_xor_b32_e32 v183, 0x80000000, v163
	v_cmp_gt_f64_e32 vcc, 0, v[162:163]
	v_cmp_gt_f64_e64 s[0:1], 0, v[160:161]
	v_mov_b32_e32 v180, v160
	v_mov_b32_e32 v182, v162
	v_cndmask_b32_e64 v181, v161, v181, s[0:1]
	v_cndmask_b32_e32 v183, v163, v183, vcc
	v_add_f64 v[180:181], v[180:181], v[182:183]
	s_waitcnt lgkmcnt(0)
	v_xor_b32_e32 v183, 0x80000000, v177
	v_xor_b32_e32 v185, 0x80000000, v179
	v_cmp_gt_f64_e32 vcc, 0, v[178:179]
	v_cmp_gt_f64_e64 s[0:1], 0, v[176:177]
	v_mov_b32_e32 v182, v176
	v_mov_b32_e32 v184, v178
	v_cndmask_b32_e64 v183, v177, v183, s[0:1]
	v_cndmask_b32_e32 v185, v179, v185, vcc
	v_add_f64 v[182:183], v[182:183], v[184:185]
	v_mov_b32_e32 v186, s16
	s_add_i32 s16, s16, 1
	v_cmp_lt_f64_e32 vcc, v[180:181], v[182:183]
	v_add_u32_e32 v171, 16, v171
	s_cmp_lg_u32 s20, s16
	v_cndmask_b32_e32 v161, v161, v177, vcc
	v_cndmask_b32_e32 v160, v160, v176, vcc
	;; [unrolled: 1-line block ×5, first 2 shown]
	s_cbranch_scc1 .LBB78_631
.LBB78_632:
	s_waitcnt lgkmcnt(0)
	v_cmp_eq_f64_e32 vcc, 0, v[160:161]
	v_cmp_eq_f64_e64 s[0:1], 0, v[162:163]
	s_and_b64 s[0:1], vcc, s[0:1]
	s_and_saveexec_b64 s[16:17], s[0:1]
	s_xor_b64 s[0:1], exec, s[16:17]
; %bb.633:
	v_cmp_ne_u32_e32 vcc, 0, v174
	s_nop 1
	v_cndmask_b32_e32 v174, 31, v174, vcc
; %bb.634:
	s_andn2_saveexec_b64 s[0:1], s[0:1]
	s_cbranch_execz .LBB78_640
; %bb.635:
	v_cmp_ngt_f64_e64 s[16:17], |v[160:161]|, |v[162:163]|
	s_and_saveexec_b64 s[18:19], s[16:17]
	s_xor_b64 s[16:17], exec, s[18:19]
	s_cbranch_execz .LBB78_637
; %bb.636:
	v_div_scale_f64 v[176:177], s[18:19], v[162:163], v[162:163], v[160:161]
	v_rcp_f64_e32 v[178:179], v[176:177]
	v_div_scale_f64 v[180:181], vcc, v[160:161], v[162:163], v[160:161]
	v_fma_f64 v[182:183], -v[176:177], v[178:179], 1.0
	v_fmac_f64_e32 v[178:179], v[178:179], v[182:183]
	v_fma_f64 v[182:183], -v[176:177], v[178:179], 1.0
	v_fmac_f64_e32 v[178:179], v[178:179], v[182:183]
	v_mul_f64 v[182:183], v[180:181], v[178:179]
	v_fma_f64 v[176:177], -v[176:177], v[182:183], v[180:181]
	v_div_fmas_f64 v[176:177], v[176:177], v[178:179], v[182:183]
	v_div_fixup_f64 v[176:177], v[176:177], v[162:163], v[160:161]
	v_fmac_f64_e32 v[162:163], v[160:161], v[176:177]
	v_div_scale_f64 v[160:161], s[18:19], v[162:163], v[162:163], 1.0
	v_rcp_f64_e32 v[178:179], v[160:161]
	s_nop 0
	v_fma_f64 v[180:181], -v[160:161], v[178:179], 1.0
	v_fmac_f64_e32 v[178:179], v[178:179], v[180:181]
	v_fma_f64 v[180:181], -v[160:161], v[178:179], 1.0
	v_fmac_f64_e32 v[178:179], v[178:179], v[180:181]
	v_div_scale_f64 v[180:181], vcc, 1.0, v[162:163], 1.0
	v_mul_f64 v[182:183], v[180:181], v[178:179]
	v_fma_f64 v[160:161], -v[160:161], v[182:183], v[180:181]
	s_nop 1
	v_div_fmas_f64 v[160:161], v[160:161], v[178:179], v[182:183]
	v_div_fixup_f64 v[162:163], v[160:161], v[162:163], 1.0
	v_mul_f64 v[160:161], v[176:177], v[162:163]
	v_xor_b32_e32 v163, 0x80000000, v163
.LBB78_637:
	s_andn2_saveexec_b64 s[16:17], s[16:17]
	s_cbranch_execz .LBB78_639
; %bb.638:
	v_div_scale_f64 v[176:177], s[18:19], v[160:161], v[160:161], v[162:163]
	v_rcp_f64_e32 v[178:179], v[176:177]
	v_div_scale_f64 v[180:181], vcc, v[162:163], v[160:161], v[162:163]
	v_fma_f64 v[182:183], -v[176:177], v[178:179], 1.0
	v_fmac_f64_e32 v[178:179], v[178:179], v[182:183]
	v_fma_f64 v[182:183], -v[176:177], v[178:179], 1.0
	v_fmac_f64_e32 v[178:179], v[178:179], v[182:183]
	v_mul_f64 v[182:183], v[180:181], v[178:179]
	v_fma_f64 v[176:177], -v[176:177], v[182:183], v[180:181]
	v_div_fmas_f64 v[176:177], v[176:177], v[178:179], v[182:183]
	v_div_fixup_f64 v[176:177], v[176:177], v[160:161], v[162:163]
	v_fmac_f64_e32 v[160:161], v[162:163], v[176:177]
	v_div_scale_f64 v[162:163], s[18:19], v[160:161], v[160:161], 1.0
	v_rcp_f64_e32 v[178:179], v[162:163]
	s_nop 0
	v_fma_f64 v[180:181], -v[162:163], v[178:179], 1.0
	v_fmac_f64_e32 v[178:179], v[178:179], v[180:181]
	v_fma_f64 v[180:181], -v[162:163], v[178:179], 1.0
	v_fmac_f64_e32 v[178:179], v[178:179], v[180:181]
	v_div_scale_f64 v[180:181], vcc, 1.0, v[160:161], 1.0
	v_mul_f64 v[182:183], v[180:181], v[178:179]
	v_fma_f64 v[162:163], -v[162:163], v[182:183], v[180:181]
	s_nop 1
	v_div_fmas_f64 v[162:163], v[162:163], v[178:179], v[182:183]
	v_div_fixup_f64 v[160:161], v[162:163], v[160:161], 1.0
	v_mul_f64 v[162:163], v[176:177], -v[160:161]
.LBB78_639:
	s_or_b64 exec, exec, s[16:17]
.LBB78_640:
	s_or_b64 exec, exec, s[0:1]
	v_cmp_ne_u32_e32 vcc, v173, v170
	s_and_saveexec_b64 s[0:1], vcc
	s_xor_b64 s[0:1], exec, s[0:1]
	s_cbranch_execz .LBB78_646
; %bb.641:
	v_cmp_eq_u32_e32 vcc, 30, v173
	s_and_saveexec_b64 s[16:17], vcc
	s_cbranch_execz .LBB78_645
; %bb.642:
	v_cmp_ne_u32_e32 vcc, 30, v170
	s_xor_b64 s[18:19], s[14:15], -1
	s_and_b64 s[22:23], s[18:19], vcc
	s_and_saveexec_b64 s[18:19], s[22:23]
	s_cbranch_execz .LBB78_644
; %bb.643:
	v_ashrrev_i32_e32 v171, 31, v170
	v_lshl_add_u64 v[176:177], v[170:171], 2, v[168:169]
	global_load_dword v171, v[176:177], off
	global_load_dword v173, v[168:169], off offset:120
	s_waitcnt vmcnt(1)
	global_store_dword v[168:169], v171, off offset:120
	s_waitcnt vmcnt(1)
	global_store_dword v[176:177], v173, off
.LBB78_644:
	s_or_b64 exec, exec, s[18:19]
	v_mov_b32_e32 v173, v170
	v_mov_b32_e32 v175, v170
.LBB78_645:
	s_or_b64 exec, exec, s[16:17]
.LBB78_646:
	s_andn2_saveexec_b64 s[0:1], s[0:1]
	s_cbranch_execz .LBB78_648
; %bb.647:
	v_mov_b32_e32 v173, 30
	s_waitcnt vmcnt(8)
	ds_write2_b64 v172, v[28:29], v[30:31] offset0:62 offset1:63
	s_waitcnt vmcnt(7)
	ds_write2_b64 v172, v[24:25], v[26:27] offset0:64 offset1:65
	;; [unrolled: 2-line block ×9, first 2 shown]
.LBB78_648:
	s_or_b64 exec, exec, s[0:1]
	v_cmp_lt_i32_e32 vcc, 30, v173
	s_waitcnt lgkmcnt(0)
	s_barrier
	s_and_saveexec_b64 s[0:1], vcc
	s_cbranch_execz .LBB78_650
; %bb.649:
	ds_read2_b64 v[176:179], v172 offset0:62 offset1:63
	v_mul_f64 v[170:171], v[160:161], v[34:35]
	v_fmac_f64_e32 v[170:171], v[162:163], v[32:33]
	v_mul_f64 v[34:35], v[162:163], v[34:35]
	v_fma_f64 v[32:33], v[160:161], v[32:33], -v[34:35]
	ds_read2_b64 v[160:163], v172 offset0:64 offset1:65
	s_waitcnt lgkmcnt(1)
	v_mul_f64 v[34:35], v[178:179], v[170:171]
	v_fma_f64 v[34:35], v[176:177], v[32:33], -v[34:35]
	v_mul_f64 v[176:177], v[176:177], v[170:171]
	v_fmac_f64_e32 v[176:177], v[178:179], v[32:33]
	s_waitcnt vmcnt(8)
	v_add_f64 v[30:31], v[30:31], -v[176:177]
	ds_read2_b64 v[176:179], v172 offset0:66 offset1:67
	v_add_f64 v[28:29], v[28:29], -v[34:35]
	s_waitcnt lgkmcnt(1)
	v_mul_f64 v[34:35], v[162:163], v[170:171]
	v_fma_f64 v[34:35], v[160:161], v[32:33], -v[34:35]
	v_mul_f64 v[160:161], v[160:161], v[170:171]
	v_fmac_f64_e32 v[160:161], v[162:163], v[32:33]
	s_waitcnt vmcnt(7)
	v_add_f64 v[24:25], v[24:25], -v[34:35]
	v_add_f64 v[26:27], v[26:27], -v[160:161]
	ds_read2_b64 v[160:163], v172 offset0:68 offset1:69
	s_waitcnt lgkmcnt(1)
	v_mul_f64 v[34:35], v[178:179], v[170:171]
	v_fma_f64 v[34:35], v[176:177], v[32:33], -v[34:35]
	v_mul_f64 v[176:177], v[176:177], v[170:171]
	v_fmac_f64_e32 v[176:177], v[178:179], v[32:33]
	s_waitcnt vmcnt(6)
	v_add_f64 v[22:23], v[22:23], -v[176:177]
	ds_read2_b64 v[176:179], v172 offset0:70 offset1:71
	v_add_f64 v[20:21], v[20:21], -v[34:35]
	s_waitcnt lgkmcnt(1)
	v_mul_f64 v[34:35], v[162:163], v[170:171]
	v_fma_f64 v[34:35], v[160:161], v[32:33], -v[34:35]
	v_mul_f64 v[160:161], v[160:161], v[170:171]
	v_fmac_f64_e32 v[160:161], v[162:163], v[32:33]
	s_waitcnt vmcnt(5)
	v_add_f64 v[16:17], v[16:17], -v[34:35]
	v_add_f64 v[18:19], v[18:19], -v[160:161]
	;; [unrolled: 18-line block ×4, first 2 shown]
	s_waitcnt lgkmcnt(0)
	v_mul_f64 v[34:35], v[178:179], v[170:171]
	v_mul_f64 v[160:161], v[176:177], v[170:171]
	v_fma_f64 v[34:35], v[176:177], v[32:33], -v[34:35]
	v_fmac_f64_e32 v[160:161], v[178:179], v[32:33]
	s_waitcnt vmcnt(0)
	v_add_f64 v[156:157], v[156:157], -v[34:35]
	v_add_f64 v[158:159], v[158:159], -v[160:161]
	v_mov_b64_e32 v[34:35], v[170:171]
.LBB78_650:
	s_or_b64 exec, exec, s[0:1]
	v_lshl_add_u32 v160, v173, 4, v172
	s_barrier
	s_waitcnt vmcnt(8)
	ds_write2_b64 v160, v[28:29], v[30:31] offset1:1
	s_waitcnt lgkmcnt(0)
	s_barrier
	ds_read2_b64 v[160:163], v172 offset0:62 offset1:63
	s_cmp_lt_i32 s20, 33
	v_mov_b32_e32 v170, 31
	s_cbranch_scc1 .LBB78_653
; %bb.651:
	v_add_u32_e32 v171, 0x200, v172
	s_mov_b32 s16, 32
	v_mov_b32_e32 v170, 31
.LBB78_652:                             ; =>This Inner Loop Header: Depth=1
	ds_read2_b64 v[176:179], v171 offset1:1
	s_waitcnt lgkmcnt(1)
	v_xor_b32_e32 v181, 0x80000000, v161
	v_xor_b32_e32 v183, 0x80000000, v163
	v_cmp_gt_f64_e32 vcc, 0, v[162:163]
	v_cmp_gt_f64_e64 s[0:1], 0, v[160:161]
	v_mov_b32_e32 v180, v160
	v_mov_b32_e32 v182, v162
	v_cndmask_b32_e64 v181, v161, v181, s[0:1]
	v_cndmask_b32_e32 v183, v163, v183, vcc
	v_add_f64 v[180:181], v[180:181], v[182:183]
	s_waitcnt lgkmcnt(0)
	v_xor_b32_e32 v183, 0x80000000, v177
	v_xor_b32_e32 v185, 0x80000000, v179
	v_cmp_gt_f64_e32 vcc, 0, v[178:179]
	v_cmp_gt_f64_e64 s[0:1], 0, v[176:177]
	v_mov_b32_e32 v182, v176
	v_mov_b32_e32 v184, v178
	v_cndmask_b32_e64 v183, v177, v183, s[0:1]
	v_cndmask_b32_e32 v185, v179, v185, vcc
	v_add_f64 v[182:183], v[182:183], v[184:185]
	v_mov_b32_e32 v186, s16
	s_add_i32 s16, s16, 1
	v_cmp_lt_f64_e32 vcc, v[180:181], v[182:183]
	v_add_u32_e32 v171, 16, v171
	s_cmp_lg_u32 s20, s16
	v_cndmask_b32_e32 v161, v161, v177, vcc
	v_cndmask_b32_e32 v160, v160, v176, vcc
	;; [unrolled: 1-line block ×5, first 2 shown]
	s_cbranch_scc1 .LBB78_652
.LBB78_653:
	s_waitcnt lgkmcnt(0)
	v_cmp_eq_f64_e32 vcc, 0, v[160:161]
	v_cmp_eq_f64_e64 s[0:1], 0, v[162:163]
	s_and_b64 s[0:1], vcc, s[0:1]
	s_and_saveexec_b64 s[16:17], s[0:1]
	s_xor_b64 s[0:1], exec, s[16:17]
; %bb.654:
	v_cmp_ne_u32_e32 vcc, 0, v174
	s_nop 1
	v_cndmask_b32_e32 v174, 32, v174, vcc
; %bb.655:
	s_andn2_saveexec_b64 s[0:1], s[0:1]
	s_cbranch_execz .LBB78_661
; %bb.656:
	v_cmp_ngt_f64_e64 s[16:17], |v[160:161]|, |v[162:163]|
	s_and_saveexec_b64 s[18:19], s[16:17]
	s_xor_b64 s[16:17], exec, s[18:19]
	s_cbranch_execz .LBB78_658
; %bb.657:
	v_div_scale_f64 v[176:177], s[18:19], v[162:163], v[162:163], v[160:161]
	v_rcp_f64_e32 v[178:179], v[176:177]
	v_div_scale_f64 v[180:181], vcc, v[160:161], v[162:163], v[160:161]
	v_fma_f64 v[182:183], -v[176:177], v[178:179], 1.0
	v_fmac_f64_e32 v[178:179], v[178:179], v[182:183]
	v_fma_f64 v[182:183], -v[176:177], v[178:179], 1.0
	v_fmac_f64_e32 v[178:179], v[178:179], v[182:183]
	v_mul_f64 v[182:183], v[180:181], v[178:179]
	v_fma_f64 v[176:177], -v[176:177], v[182:183], v[180:181]
	v_div_fmas_f64 v[176:177], v[176:177], v[178:179], v[182:183]
	v_div_fixup_f64 v[176:177], v[176:177], v[162:163], v[160:161]
	v_fmac_f64_e32 v[162:163], v[160:161], v[176:177]
	v_div_scale_f64 v[160:161], s[18:19], v[162:163], v[162:163], 1.0
	v_rcp_f64_e32 v[178:179], v[160:161]
	s_nop 0
	v_fma_f64 v[180:181], -v[160:161], v[178:179], 1.0
	v_fmac_f64_e32 v[178:179], v[178:179], v[180:181]
	v_fma_f64 v[180:181], -v[160:161], v[178:179], 1.0
	v_fmac_f64_e32 v[178:179], v[178:179], v[180:181]
	v_div_scale_f64 v[180:181], vcc, 1.0, v[162:163], 1.0
	v_mul_f64 v[182:183], v[180:181], v[178:179]
	v_fma_f64 v[160:161], -v[160:161], v[182:183], v[180:181]
	s_nop 1
	v_div_fmas_f64 v[160:161], v[160:161], v[178:179], v[182:183]
	v_div_fixup_f64 v[162:163], v[160:161], v[162:163], 1.0
	v_mul_f64 v[160:161], v[176:177], v[162:163]
	v_xor_b32_e32 v163, 0x80000000, v163
.LBB78_658:
	s_andn2_saveexec_b64 s[16:17], s[16:17]
	s_cbranch_execz .LBB78_660
; %bb.659:
	v_div_scale_f64 v[176:177], s[18:19], v[160:161], v[160:161], v[162:163]
	v_rcp_f64_e32 v[178:179], v[176:177]
	v_div_scale_f64 v[180:181], vcc, v[162:163], v[160:161], v[162:163]
	v_fma_f64 v[182:183], -v[176:177], v[178:179], 1.0
	v_fmac_f64_e32 v[178:179], v[178:179], v[182:183]
	v_fma_f64 v[182:183], -v[176:177], v[178:179], 1.0
	v_fmac_f64_e32 v[178:179], v[178:179], v[182:183]
	v_mul_f64 v[182:183], v[180:181], v[178:179]
	v_fma_f64 v[176:177], -v[176:177], v[182:183], v[180:181]
	v_div_fmas_f64 v[176:177], v[176:177], v[178:179], v[182:183]
	v_div_fixup_f64 v[176:177], v[176:177], v[160:161], v[162:163]
	v_fmac_f64_e32 v[160:161], v[162:163], v[176:177]
	v_div_scale_f64 v[162:163], s[18:19], v[160:161], v[160:161], 1.0
	v_rcp_f64_e32 v[178:179], v[162:163]
	s_nop 0
	v_fma_f64 v[180:181], -v[162:163], v[178:179], 1.0
	v_fmac_f64_e32 v[178:179], v[178:179], v[180:181]
	v_fma_f64 v[180:181], -v[162:163], v[178:179], 1.0
	v_fmac_f64_e32 v[178:179], v[178:179], v[180:181]
	v_div_scale_f64 v[180:181], vcc, 1.0, v[160:161], 1.0
	v_mul_f64 v[182:183], v[180:181], v[178:179]
	v_fma_f64 v[162:163], -v[162:163], v[182:183], v[180:181]
	s_nop 1
	v_div_fmas_f64 v[162:163], v[162:163], v[178:179], v[182:183]
	v_div_fixup_f64 v[160:161], v[162:163], v[160:161], 1.0
	v_mul_f64 v[162:163], v[176:177], -v[160:161]
.LBB78_660:
	s_or_b64 exec, exec, s[16:17]
.LBB78_661:
	s_or_b64 exec, exec, s[0:1]
	v_cmp_ne_u32_e32 vcc, v173, v170
	s_and_saveexec_b64 s[0:1], vcc
	s_xor_b64 s[0:1], exec, s[0:1]
	s_cbranch_execz .LBB78_667
; %bb.662:
	v_cmp_eq_u32_e32 vcc, 31, v173
	s_and_saveexec_b64 s[16:17], vcc
	s_cbranch_execz .LBB78_666
; %bb.663:
	v_cmp_ne_u32_e32 vcc, 31, v170
	s_xor_b64 s[18:19], s[14:15], -1
	s_and_b64 s[22:23], s[18:19], vcc
	s_and_saveexec_b64 s[18:19], s[22:23]
	s_cbranch_execz .LBB78_665
; %bb.664:
	v_ashrrev_i32_e32 v171, 31, v170
	v_lshl_add_u64 v[176:177], v[170:171], 2, v[168:169]
	global_load_dword v171, v[176:177], off
	global_load_dword v173, v[168:169], off offset:124
	s_waitcnt vmcnt(1)
	global_store_dword v[168:169], v171, off offset:124
	s_waitcnt vmcnt(1)
	global_store_dword v[176:177], v173, off
.LBB78_665:
	s_or_b64 exec, exec, s[18:19]
	v_mov_b32_e32 v173, v170
	v_mov_b32_e32 v175, v170
.LBB78_666:
	s_or_b64 exec, exec, s[16:17]
.LBB78_667:
	s_andn2_saveexec_b64 s[0:1], s[0:1]
	s_cbranch_execz .LBB78_669
; %bb.668:
	v_mov_b32_e32 v173, 31
	s_waitcnt vmcnt(7)
	ds_write2_b64 v172, v[24:25], v[26:27] offset0:64 offset1:65
	s_waitcnt vmcnt(6)
	ds_write2_b64 v172, v[20:21], v[22:23] offset0:66 offset1:67
	;; [unrolled: 2-line block ×8, first 2 shown]
.LBB78_669:
	s_or_b64 exec, exec, s[0:1]
	v_cmp_lt_i32_e32 vcc, 31, v173
	s_waitcnt lgkmcnt(0)
	s_barrier
	s_and_saveexec_b64 s[0:1], vcc
	s_cbranch_execz .LBB78_671
; %bb.670:
	ds_read2_b64 v[176:179], v172 offset0:64 offset1:65
	v_mul_f64 v[170:171], v[160:161], v[30:31]
	v_mul_f64 v[30:31], v[162:163], v[30:31]
	v_fmac_f64_e32 v[170:171], v[162:163], v[28:29]
	v_fma_f64 v[28:29], v[160:161], v[28:29], -v[30:31]
	ds_read2_b64 v[160:163], v172 offset0:66 offset1:67
	s_waitcnt lgkmcnt(1)
	v_mul_f64 v[30:31], v[178:179], v[170:171]
	v_fma_f64 v[30:31], v[176:177], v[28:29], -v[30:31]
	v_mul_f64 v[176:177], v[176:177], v[170:171]
	v_fmac_f64_e32 v[176:177], v[178:179], v[28:29]
	s_waitcnt vmcnt(7)
	v_add_f64 v[24:25], v[24:25], -v[30:31]
	s_waitcnt lgkmcnt(0)
	v_mul_f64 v[30:31], v[162:163], v[170:171]
	v_add_f64 v[26:27], v[26:27], -v[176:177]
	v_fma_f64 v[30:31], v[160:161], v[28:29], -v[30:31]
	v_mul_f64 v[160:161], v[160:161], v[170:171]
	ds_read2_b64 v[176:179], v172 offset0:68 offset1:69
	v_fmac_f64_e32 v[160:161], v[162:163], v[28:29]
	s_waitcnt vmcnt(6)
	v_add_f64 v[22:23], v[22:23], -v[160:161]
	ds_read2_b64 v[160:163], v172 offset0:70 offset1:71
	v_add_f64 v[20:21], v[20:21], -v[30:31]
	s_waitcnt lgkmcnt(1)
	v_mul_f64 v[30:31], v[178:179], v[170:171]
	v_fma_f64 v[30:31], v[176:177], v[28:29], -v[30:31]
	v_mul_f64 v[176:177], v[176:177], v[170:171]
	v_fmac_f64_e32 v[176:177], v[178:179], v[28:29]
	s_waitcnt vmcnt(5)
	v_add_f64 v[16:17], v[16:17], -v[30:31]
	s_waitcnt lgkmcnt(0)
	v_mul_f64 v[30:31], v[162:163], v[170:171]
	v_add_f64 v[18:19], v[18:19], -v[176:177]
	v_fma_f64 v[30:31], v[160:161], v[28:29], -v[30:31]
	v_mul_f64 v[160:161], v[160:161], v[170:171]
	ds_read2_b64 v[176:179], v172 offset0:72 offset1:73
	v_fmac_f64_e32 v[160:161], v[162:163], v[28:29]
	s_waitcnt vmcnt(4)
	v_add_f64 v[14:15], v[14:15], -v[160:161]
	ds_read2_b64 v[160:163], v172 offset0:74 offset1:75
	v_add_f64 v[12:13], v[12:13], -v[30:31]
	;; [unrolled: 18-line block ×3, first 2 shown]
	s_waitcnt lgkmcnt(1)
	v_mul_f64 v[30:31], v[178:179], v[170:171]
	v_fma_f64 v[30:31], v[176:177], v[28:29], -v[30:31]
	s_waitcnt vmcnt(1)
	v_add_f64 v[0:1], v[0:1], -v[30:31]
	s_waitcnt lgkmcnt(0)
	v_mul_f64 v[30:31], v[162:163], v[170:171]
	v_mul_f64 v[176:177], v[176:177], v[170:171]
	v_fma_f64 v[30:31], v[160:161], v[28:29], -v[30:31]
	v_mul_f64 v[160:161], v[160:161], v[170:171]
	v_fmac_f64_e32 v[176:177], v[178:179], v[28:29]
	v_fmac_f64_e32 v[160:161], v[162:163], v[28:29]
	v_add_f64 v[2:3], v[2:3], -v[176:177]
	s_waitcnt vmcnt(0)
	v_add_f64 v[156:157], v[156:157], -v[30:31]
	v_add_f64 v[158:159], v[158:159], -v[160:161]
	v_mov_b64_e32 v[30:31], v[170:171]
.LBB78_671:
	s_or_b64 exec, exec, s[0:1]
	v_lshl_add_u32 v160, v173, 4, v172
	s_barrier
	s_waitcnt vmcnt(7)
	ds_write2_b64 v160, v[24:25], v[26:27] offset1:1
	s_waitcnt lgkmcnt(0)
	s_barrier
	ds_read2_b64 v[160:163], v172 offset0:64 offset1:65
	s_cmp_lt_i32 s20, 34
	v_mov_b32_e32 v170, 32
	s_cbranch_scc1 .LBB78_674
; %bb.672:
	v_add_u32_e32 v171, 0x210, v172
	s_mov_b32 s16, 33
	v_mov_b32_e32 v170, 32
.LBB78_673:                             ; =>This Inner Loop Header: Depth=1
	ds_read2_b64 v[176:179], v171 offset1:1
	s_waitcnt lgkmcnt(1)
	v_xor_b32_e32 v181, 0x80000000, v161
	v_xor_b32_e32 v183, 0x80000000, v163
	v_cmp_gt_f64_e32 vcc, 0, v[162:163]
	v_cmp_gt_f64_e64 s[0:1], 0, v[160:161]
	v_mov_b32_e32 v180, v160
	v_mov_b32_e32 v182, v162
	v_cndmask_b32_e64 v181, v161, v181, s[0:1]
	v_cndmask_b32_e32 v183, v163, v183, vcc
	v_add_f64 v[180:181], v[180:181], v[182:183]
	s_waitcnt lgkmcnt(0)
	v_xor_b32_e32 v183, 0x80000000, v177
	v_xor_b32_e32 v185, 0x80000000, v179
	v_cmp_gt_f64_e32 vcc, 0, v[178:179]
	v_cmp_gt_f64_e64 s[0:1], 0, v[176:177]
	v_mov_b32_e32 v182, v176
	v_mov_b32_e32 v184, v178
	v_cndmask_b32_e64 v183, v177, v183, s[0:1]
	v_cndmask_b32_e32 v185, v179, v185, vcc
	v_add_f64 v[182:183], v[182:183], v[184:185]
	v_mov_b32_e32 v186, s16
	s_add_i32 s16, s16, 1
	v_cmp_lt_f64_e32 vcc, v[180:181], v[182:183]
	v_add_u32_e32 v171, 16, v171
	s_cmp_lg_u32 s20, s16
	v_cndmask_b32_e32 v161, v161, v177, vcc
	v_cndmask_b32_e32 v160, v160, v176, vcc
	;; [unrolled: 1-line block ×5, first 2 shown]
	s_cbranch_scc1 .LBB78_673
.LBB78_674:
	s_waitcnt lgkmcnt(0)
	v_cmp_eq_f64_e32 vcc, 0, v[160:161]
	v_cmp_eq_f64_e64 s[0:1], 0, v[162:163]
	s_and_b64 s[0:1], vcc, s[0:1]
	s_and_saveexec_b64 s[16:17], s[0:1]
	s_xor_b64 s[0:1], exec, s[16:17]
; %bb.675:
	v_cmp_ne_u32_e32 vcc, 0, v174
	s_nop 1
	v_cndmask_b32_e32 v174, 33, v174, vcc
; %bb.676:
	s_andn2_saveexec_b64 s[0:1], s[0:1]
	s_cbranch_execz .LBB78_682
; %bb.677:
	v_cmp_ngt_f64_e64 s[16:17], |v[160:161]|, |v[162:163]|
	s_and_saveexec_b64 s[18:19], s[16:17]
	s_xor_b64 s[16:17], exec, s[18:19]
	s_cbranch_execz .LBB78_679
; %bb.678:
	v_div_scale_f64 v[176:177], s[18:19], v[162:163], v[162:163], v[160:161]
	v_rcp_f64_e32 v[178:179], v[176:177]
	v_div_scale_f64 v[180:181], vcc, v[160:161], v[162:163], v[160:161]
	v_fma_f64 v[182:183], -v[176:177], v[178:179], 1.0
	v_fmac_f64_e32 v[178:179], v[178:179], v[182:183]
	v_fma_f64 v[182:183], -v[176:177], v[178:179], 1.0
	v_fmac_f64_e32 v[178:179], v[178:179], v[182:183]
	v_mul_f64 v[182:183], v[180:181], v[178:179]
	v_fma_f64 v[176:177], -v[176:177], v[182:183], v[180:181]
	v_div_fmas_f64 v[176:177], v[176:177], v[178:179], v[182:183]
	v_div_fixup_f64 v[176:177], v[176:177], v[162:163], v[160:161]
	v_fmac_f64_e32 v[162:163], v[160:161], v[176:177]
	v_div_scale_f64 v[160:161], s[18:19], v[162:163], v[162:163], 1.0
	v_rcp_f64_e32 v[178:179], v[160:161]
	s_nop 0
	v_fma_f64 v[180:181], -v[160:161], v[178:179], 1.0
	v_fmac_f64_e32 v[178:179], v[178:179], v[180:181]
	v_fma_f64 v[180:181], -v[160:161], v[178:179], 1.0
	v_fmac_f64_e32 v[178:179], v[178:179], v[180:181]
	v_div_scale_f64 v[180:181], vcc, 1.0, v[162:163], 1.0
	v_mul_f64 v[182:183], v[180:181], v[178:179]
	v_fma_f64 v[160:161], -v[160:161], v[182:183], v[180:181]
	s_nop 1
	v_div_fmas_f64 v[160:161], v[160:161], v[178:179], v[182:183]
	v_div_fixup_f64 v[162:163], v[160:161], v[162:163], 1.0
	v_mul_f64 v[160:161], v[176:177], v[162:163]
	v_xor_b32_e32 v163, 0x80000000, v163
.LBB78_679:
	s_andn2_saveexec_b64 s[16:17], s[16:17]
	s_cbranch_execz .LBB78_681
; %bb.680:
	v_div_scale_f64 v[176:177], s[18:19], v[160:161], v[160:161], v[162:163]
	v_rcp_f64_e32 v[178:179], v[176:177]
	v_div_scale_f64 v[180:181], vcc, v[162:163], v[160:161], v[162:163]
	v_fma_f64 v[182:183], -v[176:177], v[178:179], 1.0
	v_fmac_f64_e32 v[178:179], v[178:179], v[182:183]
	v_fma_f64 v[182:183], -v[176:177], v[178:179], 1.0
	v_fmac_f64_e32 v[178:179], v[178:179], v[182:183]
	v_mul_f64 v[182:183], v[180:181], v[178:179]
	v_fma_f64 v[176:177], -v[176:177], v[182:183], v[180:181]
	v_div_fmas_f64 v[176:177], v[176:177], v[178:179], v[182:183]
	v_div_fixup_f64 v[176:177], v[176:177], v[160:161], v[162:163]
	v_fmac_f64_e32 v[160:161], v[162:163], v[176:177]
	v_div_scale_f64 v[162:163], s[18:19], v[160:161], v[160:161], 1.0
	v_rcp_f64_e32 v[178:179], v[162:163]
	s_nop 0
	v_fma_f64 v[180:181], -v[162:163], v[178:179], 1.0
	v_fmac_f64_e32 v[178:179], v[178:179], v[180:181]
	v_fma_f64 v[180:181], -v[162:163], v[178:179], 1.0
	v_fmac_f64_e32 v[178:179], v[178:179], v[180:181]
	v_div_scale_f64 v[180:181], vcc, 1.0, v[160:161], 1.0
	v_mul_f64 v[182:183], v[180:181], v[178:179]
	v_fma_f64 v[162:163], -v[162:163], v[182:183], v[180:181]
	s_nop 1
	v_div_fmas_f64 v[162:163], v[162:163], v[178:179], v[182:183]
	v_div_fixup_f64 v[160:161], v[162:163], v[160:161], 1.0
	v_mul_f64 v[162:163], v[176:177], -v[160:161]
.LBB78_681:
	s_or_b64 exec, exec, s[16:17]
.LBB78_682:
	s_or_b64 exec, exec, s[0:1]
	v_cmp_ne_u32_e32 vcc, v173, v170
	s_and_saveexec_b64 s[0:1], vcc
	s_xor_b64 s[0:1], exec, s[0:1]
	s_cbranch_execz .LBB78_688
; %bb.683:
	v_cmp_eq_u32_e32 vcc, 32, v173
	s_and_saveexec_b64 s[16:17], vcc
	s_cbranch_execz .LBB78_687
; %bb.684:
	v_cmp_ne_u32_e32 vcc, 32, v170
	s_xor_b64 s[18:19], s[14:15], -1
	s_and_b64 s[22:23], s[18:19], vcc
	s_and_saveexec_b64 s[18:19], s[22:23]
	s_cbranch_execz .LBB78_686
; %bb.685:
	v_ashrrev_i32_e32 v171, 31, v170
	v_lshl_add_u64 v[176:177], v[170:171], 2, v[168:169]
	global_load_dword v171, v[176:177], off
	global_load_dword v173, v[168:169], off offset:128
	s_waitcnt vmcnt(1)
	global_store_dword v[168:169], v171, off offset:128
	s_waitcnt vmcnt(1)
	global_store_dword v[176:177], v173, off
.LBB78_686:
	s_or_b64 exec, exec, s[18:19]
	v_mov_b32_e32 v173, v170
	v_mov_b32_e32 v175, v170
.LBB78_687:
	s_or_b64 exec, exec, s[16:17]
.LBB78_688:
	s_andn2_saveexec_b64 s[0:1], s[0:1]
	s_cbranch_execz .LBB78_690
; %bb.689:
	v_mov_b32_e32 v173, 32
	s_waitcnt vmcnt(6)
	ds_write2_b64 v172, v[20:21], v[22:23] offset0:66 offset1:67
	s_waitcnt vmcnt(5)
	ds_write2_b64 v172, v[16:17], v[18:19] offset0:68 offset1:69
	s_waitcnt vmcnt(4)
	ds_write2_b64 v172, v[12:13], v[14:15] offset0:70 offset1:71
	s_waitcnt vmcnt(3)
	ds_write2_b64 v172, v[8:9], v[10:11] offset0:72 offset1:73
	s_waitcnt vmcnt(2)
	ds_write2_b64 v172, v[4:5], v[6:7] offset0:74 offset1:75
	s_waitcnt vmcnt(1)
	ds_write2_b64 v172, v[0:1], v[2:3] offset0:76 offset1:77
	s_waitcnt vmcnt(0)
	ds_write2_b64 v172, v[156:157], v[158:159] offset0:78 offset1:79
.LBB78_690:
	s_or_b64 exec, exec, s[0:1]
	v_cmp_lt_i32_e32 vcc, 32, v173
	s_waitcnt lgkmcnt(0)
	s_barrier
	s_and_saveexec_b64 s[0:1], vcc
	s_cbranch_execz .LBB78_692
; %bb.691:
	ds_read2_b64 v[176:179], v172 offset0:66 offset1:67
	v_mul_f64 v[170:171], v[160:161], v[26:27]
	v_fmac_f64_e32 v[170:171], v[162:163], v[24:25]
	v_mul_f64 v[26:27], v[162:163], v[26:27]
	v_fma_f64 v[24:25], v[160:161], v[24:25], -v[26:27]
	ds_read2_b64 v[160:163], v172 offset0:68 offset1:69
	s_waitcnt lgkmcnt(1)
	v_mul_f64 v[26:27], v[178:179], v[170:171]
	v_fma_f64 v[26:27], v[176:177], v[24:25], -v[26:27]
	v_mul_f64 v[176:177], v[176:177], v[170:171]
	v_fmac_f64_e32 v[176:177], v[178:179], v[24:25]
	s_waitcnt vmcnt(6)
	v_add_f64 v[22:23], v[22:23], -v[176:177]
	ds_read2_b64 v[176:179], v172 offset0:70 offset1:71
	v_add_f64 v[20:21], v[20:21], -v[26:27]
	s_waitcnt lgkmcnt(1)
	v_mul_f64 v[26:27], v[162:163], v[170:171]
	v_fma_f64 v[26:27], v[160:161], v[24:25], -v[26:27]
	v_mul_f64 v[160:161], v[160:161], v[170:171]
	v_fmac_f64_e32 v[160:161], v[162:163], v[24:25]
	s_waitcnt vmcnt(5)
	v_add_f64 v[16:17], v[16:17], -v[26:27]
	v_add_f64 v[18:19], v[18:19], -v[160:161]
	ds_read2_b64 v[160:163], v172 offset0:72 offset1:73
	s_waitcnt lgkmcnt(1)
	v_mul_f64 v[26:27], v[178:179], v[170:171]
	v_fma_f64 v[26:27], v[176:177], v[24:25], -v[26:27]
	v_mul_f64 v[176:177], v[176:177], v[170:171]
	v_fmac_f64_e32 v[176:177], v[178:179], v[24:25]
	s_waitcnt vmcnt(4)
	v_add_f64 v[14:15], v[14:15], -v[176:177]
	ds_read2_b64 v[176:179], v172 offset0:74 offset1:75
	v_add_f64 v[12:13], v[12:13], -v[26:27]
	s_waitcnt lgkmcnt(1)
	v_mul_f64 v[26:27], v[162:163], v[170:171]
	v_fma_f64 v[26:27], v[160:161], v[24:25], -v[26:27]
	v_mul_f64 v[160:161], v[160:161], v[170:171]
	v_fmac_f64_e32 v[160:161], v[162:163], v[24:25]
	s_waitcnt vmcnt(3)
	v_add_f64 v[8:9], v[8:9], -v[26:27]
	v_add_f64 v[10:11], v[10:11], -v[160:161]
	;; [unrolled: 18-line block ×3, first 2 shown]
	s_waitcnt lgkmcnt(0)
	v_mul_f64 v[26:27], v[178:179], v[170:171]
	v_mul_f64 v[160:161], v[176:177], v[170:171]
	v_fma_f64 v[26:27], v[176:177], v[24:25], -v[26:27]
	v_fmac_f64_e32 v[160:161], v[178:179], v[24:25]
	s_waitcnt vmcnt(0)
	v_add_f64 v[156:157], v[156:157], -v[26:27]
	v_add_f64 v[158:159], v[158:159], -v[160:161]
	v_mov_b64_e32 v[26:27], v[170:171]
.LBB78_692:
	s_or_b64 exec, exec, s[0:1]
	v_lshl_add_u32 v160, v173, 4, v172
	s_barrier
	s_waitcnt vmcnt(6)
	ds_write2_b64 v160, v[20:21], v[22:23] offset1:1
	s_waitcnt lgkmcnt(0)
	s_barrier
	ds_read2_b64 v[160:163], v172 offset0:66 offset1:67
	s_cmp_lt_i32 s20, 35
	v_mov_b32_e32 v170, 33
	s_cbranch_scc1 .LBB78_695
; %bb.693:
	v_add_u32_e32 v171, 0x220, v172
	s_mov_b32 s16, 34
	v_mov_b32_e32 v170, 33
.LBB78_694:                             ; =>This Inner Loop Header: Depth=1
	ds_read2_b64 v[176:179], v171 offset1:1
	s_waitcnt lgkmcnt(1)
	v_xor_b32_e32 v181, 0x80000000, v161
	v_xor_b32_e32 v183, 0x80000000, v163
	v_cmp_gt_f64_e32 vcc, 0, v[162:163]
	v_cmp_gt_f64_e64 s[0:1], 0, v[160:161]
	v_mov_b32_e32 v180, v160
	v_mov_b32_e32 v182, v162
	v_cndmask_b32_e64 v181, v161, v181, s[0:1]
	v_cndmask_b32_e32 v183, v163, v183, vcc
	v_add_f64 v[180:181], v[180:181], v[182:183]
	s_waitcnt lgkmcnt(0)
	v_xor_b32_e32 v183, 0x80000000, v177
	v_xor_b32_e32 v185, 0x80000000, v179
	v_cmp_gt_f64_e32 vcc, 0, v[178:179]
	v_cmp_gt_f64_e64 s[0:1], 0, v[176:177]
	v_mov_b32_e32 v182, v176
	v_mov_b32_e32 v184, v178
	v_cndmask_b32_e64 v183, v177, v183, s[0:1]
	v_cndmask_b32_e32 v185, v179, v185, vcc
	v_add_f64 v[182:183], v[182:183], v[184:185]
	v_mov_b32_e32 v186, s16
	s_add_i32 s16, s16, 1
	v_cmp_lt_f64_e32 vcc, v[180:181], v[182:183]
	v_add_u32_e32 v171, 16, v171
	s_cmp_lg_u32 s20, s16
	v_cndmask_b32_e32 v161, v161, v177, vcc
	v_cndmask_b32_e32 v160, v160, v176, vcc
	;; [unrolled: 1-line block ×5, first 2 shown]
	s_cbranch_scc1 .LBB78_694
.LBB78_695:
	s_waitcnt lgkmcnt(0)
	v_cmp_eq_f64_e32 vcc, 0, v[160:161]
	v_cmp_eq_f64_e64 s[0:1], 0, v[162:163]
	s_and_b64 s[0:1], vcc, s[0:1]
	s_and_saveexec_b64 s[16:17], s[0:1]
	s_xor_b64 s[0:1], exec, s[16:17]
; %bb.696:
	v_cmp_ne_u32_e32 vcc, 0, v174
	s_nop 1
	v_cndmask_b32_e32 v174, 34, v174, vcc
; %bb.697:
	s_andn2_saveexec_b64 s[0:1], s[0:1]
	s_cbranch_execz .LBB78_703
; %bb.698:
	v_cmp_ngt_f64_e64 s[16:17], |v[160:161]|, |v[162:163]|
	s_and_saveexec_b64 s[18:19], s[16:17]
	s_xor_b64 s[16:17], exec, s[18:19]
	s_cbranch_execz .LBB78_700
; %bb.699:
	v_div_scale_f64 v[176:177], s[18:19], v[162:163], v[162:163], v[160:161]
	v_rcp_f64_e32 v[178:179], v[176:177]
	v_div_scale_f64 v[180:181], vcc, v[160:161], v[162:163], v[160:161]
	v_fma_f64 v[182:183], -v[176:177], v[178:179], 1.0
	v_fmac_f64_e32 v[178:179], v[178:179], v[182:183]
	v_fma_f64 v[182:183], -v[176:177], v[178:179], 1.0
	v_fmac_f64_e32 v[178:179], v[178:179], v[182:183]
	v_mul_f64 v[182:183], v[180:181], v[178:179]
	v_fma_f64 v[176:177], -v[176:177], v[182:183], v[180:181]
	v_div_fmas_f64 v[176:177], v[176:177], v[178:179], v[182:183]
	v_div_fixup_f64 v[176:177], v[176:177], v[162:163], v[160:161]
	v_fmac_f64_e32 v[162:163], v[160:161], v[176:177]
	v_div_scale_f64 v[160:161], s[18:19], v[162:163], v[162:163], 1.0
	v_rcp_f64_e32 v[178:179], v[160:161]
	s_nop 0
	v_fma_f64 v[180:181], -v[160:161], v[178:179], 1.0
	v_fmac_f64_e32 v[178:179], v[178:179], v[180:181]
	v_fma_f64 v[180:181], -v[160:161], v[178:179], 1.0
	v_fmac_f64_e32 v[178:179], v[178:179], v[180:181]
	v_div_scale_f64 v[180:181], vcc, 1.0, v[162:163], 1.0
	v_mul_f64 v[182:183], v[180:181], v[178:179]
	v_fma_f64 v[160:161], -v[160:161], v[182:183], v[180:181]
	s_nop 1
	v_div_fmas_f64 v[160:161], v[160:161], v[178:179], v[182:183]
	v_div_fixup_f64 v[162:163], v[160:161], v[162:163], 1.0
	v_mul_f64 v[160:161], v[176:177], v[162:163]
	v_xor_b32_e32 v163, 0x80000000, v163
.LBB78_700:
	s_andn2_saveexec_b64 s[16:17], s[16:17]
	s_cbranch_execz .LBB78_702
; %bb.701:
	v_div_scale_f64 v[176:177], s[18:19], v[160:161], v[160:161], v[162:163]
	v_rcp_f64_e32 v[178:179], v[176:177]
	v_div_scale_f64 v[180:181], vcc, v[162:163], v[160:161], v[162:163]
	v_fma_f64 v[182:183], -v[176:177], v[178:179], 1.0
	v_fmac_f64_e32 v[178:179], v[178:179], v[182:183]
	v_fma_f64 v[182:183], -v[176:177], v[178:179], 1.0
	v_fmac_f64_e32 v[178:179], v[178:179], v[182:183]
	v_mul_f64 v[182:183], v[180:181], v[178:179]
	v_fma_f64 v[176:177], -v[176:177], v[182:183], v[180:181]
	v_div_fmas_f64 v[176:177], v[176:177], v[178:179], v[182:183]
	v_div_fixup_f64 v[176:177], v[176:177], v[160:161], v[162:163]
	v_fmac_f64_e32 v[160:161], v[162:163], v[176:177]
	v_div_scale_f64 v[162:163], s[18:19], v[160:161], v[160:161], 1.0
	v_rcp_f64_e32 v[178:179], v[162:163]
	s_nop 0
	v_fma_f64 v[180:181], -v[162:163], v[178:179], 1.0
	v_fmac_f64_e32 v[178:179], v[178:179], v[180:181]
	v_fma_f64 v[180:181], -v[162:163], v[178:179], 1.0
	v_fmac_f64_e32 v[178:179], v[178:179], v[180:181]
	v_div_scale_f64 v[180:181], vcc, 1.0, v[160:161], 1.0
	v_mul_f64 v[182:183], v[180:181], v[178:179]
	v_fma_f64 v[162:163], -v[162:163], v[182:183], v[180:181]
	s_nop 1
	v_div_fmas_f64 v[162:163], v[162:163], v[178:179], v[182:183]
	v_div_fixup_f64 v[160:161], v[162:163], v[160:161], 1.0
	v_mul_f64 v[162:163], v[176:177], -v[160:161]
.LBB78_702:
	s_or_b64 exec, exec, s[16:17]
.LBB78_703:
	s_or_b64 exec, exec, s[0:1]
	v_cmp_ne_u32_e32 vcc, v173, v170
	s_and_saveexec_b64 s[0:1], vcc
	s_xor_b64 s[0:1], exec, s[0:1]
	s_cbranch_execz .LBB78_709
; %bb.704:
	v_cmp_eq_u32_e32 vcc, 33, v173
	s_and_saveexec_b64 s[16:17], vcc
	s_cbranch_execz .LBB78_708
; %bb.705:
	v_cmp_ne_u32_e32 vcc, 33, v170
	s_xor_b64 s[18:19], s[14:15], -1
	s_and_b64 s[22:23], s[18:19], vcc
	s_and_saveexec_b64 s[18:19], s[22:23]
	s_cbranch_execz .LBB78_707
; %bb.706:
	v_ashrrev_i32_e32 v171, 31, v170
	v_lshl_add_u64 v[176:177], v[170:171], 2, v[168:169]
	global_load_dword v171, v[176:177], off
	global_load_dword v173, v[168:169], off offset:132
	s_waitcnt vmcnt(1)
	global_store_dword v[168:169], v171, off offset:132
	s_waitcnt vmcnt(1)
	global_store_dword v[176:177], v173, off
.LBB78_707:
	s_or_b64 exec, exec, s[18:19]
	v_mov_b32_e32 v173, v170
	v_mov_b32_e32 v175, v170
.LBB78_708:
	s_or_b64 exec, exec, s[16:17]
.LBB78_709:
	s_andn2_saveexec_b64 s[0:1], s[0:1]
	s_cbranch_execz .LBB78_711
; %bb.710:
	v_mov_b32_e32 v173, 33
	s_waitcnt vmcnt(5)
	ds_write2_b64 v172, v[16:17], v[18:19] offset0:68 offset1:69
	s_waitcnt vmcnt(4)
	ds_write2_b64 v172, v[12:13], v[14:15] offset0:70 offset1:71
	;; [unrolled: 2-line block ×6, first 2 shown]
.LBB78_711:
	s_or_b64 exec, exec, s[0:1]
	v_cmp_lt_i32_e32 vcc, 33, v173
	s_waitcnt lgkmcnt(0)
	s_barrier
	s_and_saveexec_b64 s[0:1], vcc
	s_cbranch_execz .LBB78_713
; %bb.712:
	ds_read2_b64 v[176:179], v172 offset0:68 offset1:69
	v_mul_f64 v[170:171], v[160:161], v[22:23]
	v_mul_f64 v[22:23], v[162:163], v[22:23]
	v_fmac_f64_e32 v[170:171], v[162:163], v[20:21]
	v_fma_f64 v[20:21], v[160:161], v[20:21], -v[22:23]
	ds_read2_b64 v[160:163], v172 offset0:70 offset1:71
	s_waitcnt lgkmcnt(1)
	v_mul_f64 v[22:23], v[178:179], v[170:171]
	v_fma_f64 v[22:23], v[176:177], v[20:21], -v[22:23]
	v_mul_f64 v[176:177], v[176:177], v[170:171]
	v_fmac_f64_e32 v[176:177], v[178:179], v[20:21]
	s_waitcnt vmcnt(5)
	v_add_f64 v[16:17], v[16:17], -v[22:23]
	s_waitcnt lgkmcnt(0)
	v_mul_f64 v[22:23], v[162:163], v[170:171]
	v_add_f64 v[18:19], v[18:19], -v[176:177]
	v_fma_f64 v[22:23], v[160:161], v[20:21], -v[22:23]
	v_mul_f64 v[160:161], v[160:161], v[170:171]
	ds_read2_b64 v[176:179], v172 offset0:72 offset1:73
	v_fmac_f64_e32 v[160:161], v[162:163], v[20:21]
	s_waitcnt vmcnt(4)
	v_add_f64 v[14:15], v[14:15], -v[160:161]
	ds_read2_b64 v[160:163], v172 offset0:74 offset1:75
	v_add_f64 v[12:13], v[12:13], -v[22:23]
	s_waitcnt lgkmcnt(1)
	v_mul_f64 v[22:23], v[178:179], v[170:171]
	v_fma_f64 v[22:23], v[176:177], v[20:21], -v[22:23]
	v_mul_f64 v[176:177], v[176:177], v[170:171]
	v_fmac_f64_e32 v[176:177], v[178:179], v[20:21]
	s_waitcnt vmcnt(3)
	v_add_f64 v[8:9], v[8:9], -v[22:23]
	s_waitcnt lgkmcnt(0)
	v_mul_f64 v[22:23], v[162:163], v[170:171]
	v_add_f64 v[10:11], v[10:11], -v[176:177]
	v_fma_f64 v[22:23], v[160:161], v[20:21], -v[22:23]
	v_mul_f64 v[160:161], v[160:161], v[170:171]
	ds_read2_b64 v[176:179], v172 offset0:76 offset1:77
	v_fmac_f64_e32 v[160:161], v[162:163], v[20:21]
	s_waitcnt vmcnt(2)
	v_add_f64 v[6:7], v[6:7], -v[160:161]
	ds_read2_b64 v[160:163], v172 offset0:78 offset1:79
	v_add_f64 v[4:5], v[4:5], -v[22:23]
	s_waitcnt lgkmcnt(1)
	v_mul_f64 v[22:23], v[178:179], v[170:171]
	v_fma_f64 v[22:23], v[176:177], v[20:21], -v[22:23]
	s_waitcnt vmcnt(1)
	v_add_f64 v[0:1], v[0:1], -v[22:23]
	s_waitcnt lgkmcnt(0)
	v_mul_f64 v[22:23], v[162:163], v[170:171]
	v_mul_f64 v[176:177], v[176:177], v[170:171]
	v_fma_f64 v[22:23], v[160:161], v[20:21], -v[22:23]
	v_mul_f64 v[160:161], v[160:161], v[170:171]
	v_fmac_f64_e32 v[176:177], v[178:179], v[20:21]
	v_fmac_f64_e32 v[160:161], v[162:163], v[20:21]
	v_add_f64 v[2:3], v[2:3], -v[176:177]
	s_waitcnt vmcnt(0)
	v_add_f64 v[156:157], v[156:157], -v[22:23]
	v_add_f64 v[158:159], v[158:159], -v[160:161]
	v_mov_b64_e32 v[22:23], v[170:171]
.LBB78_713:
	s_or_b64 exec, exec, s[0:1]
	v_lshl_add_u32 v160, v173, 4, v172
	s_barrier
	s_waitcnt vmcnt(5)
	ds_write2_b64 v160, v[16:17], v[18:19] offset1:1
	s_waitcnt lgkmcnt(0)
	s_barrier
	ds_read2_b64 v[160:163], v172 offset0:68 offset1:69
	s_cmp_lt_i32 s20, 36
	v_mov_b32_e32 v170, 34
	s_cbranch_scc1 .LBB78_716
; %bb.714:
	v_add_u32_e32 v171, 0x230, v172
	s_mov_b32 s16, 35
	v_mov_b32_e32 v170, 34
.LBB78_715:                             ; =>This Inner Loop Header: Depth=1
	ds_read2_b64 v[176:179], v171 offset1:1
	s_waitcnt lgkmcnt(1)
	v_xor_b32_e32 v181, 0x80000000, v161
	v_xor_b32_e32 v183, 0x80000000, v163
	v_cmp_gt_f64_e32 vcc, 0, v[162:163]
	v_cmp_gt_f64_e64 s[0:1], 0, v[160:161]
	v_mov_b32_e32 v180, v160
	v_mov_b32_e32 v182, v162
	v_cndmask_b32_e64 v181, v161, v181, s[0:1]
	v_cndmask_b32_e32 v183, v163, v183, vcc
	v_add_f64 v[180:181], v[180:181], v[182:183]
	s_waitcnt lgkmcnt(0)
	v_xor_b32_e32 v183, 0x80000000, v177
	v_xor_b32_e32 v185, 0x80000000, v179
	v_cmp_gt_f64_e32 vcc, 0, v[178:179]
	v_cmp_gt_f64_e64 s[0:1], 0, v[176:177]
	v_mov_b32_e32 v182, v176
	v_mov_b32_e32 v184, v178
	v_cndmask_b32_e64 v183, v177, v183, s[0:1]
	v_cndmask_b32_e32 v185, v179, v185, vcc
	v_add_f64 v[182:183], v[182:183], v[184:185]
	v_mov_b32_e32 v186, s16
	s_add_i32 s16, s16, 1
	v_cmp_lt_f64_e32 vcc, v[180:181], v[182:183]
	v_add_u32_e32 v171, 16, v171
	s_cmp_lg_u32 s20, s16
	v_cndmask_b32_e32 v161, v161, v177, vcc
	v_cndmask_b32_e32 v160, v160, v176, vcc
	;; [unrolled: 1-line block ×5, first 2 shown]
	s_cbranch_scc1 .LBB78_715
.LBB78_716:
	s_waitcnt lgkmcnt(0)
	v_cmp_eq_f64_e32 vcc, 0, v[160:161]
	v_cmp_eq_f64_e64 s[0:1], 0, v[162:163]
	s_and_b64 s[0:1], vcc, s[0:1]
	s_and_saveexec_b64 s[16:17], s[0:1]
	s_xor_b64 s[0:1], exec, s[16:17]
; %bb.717:
	v_cmp_ne_u32_e32 vcc, 0, v174
	s_nop 1
	v_cndmask_b32_e32 v174, 35, v174, vcc
; %bb.718:
	s_andn2_saveexec_b64 s[0:1], s[0:1]
	s_cbranch_execz .LBB78_724
; %bb.719:
	v_cmp_ngt_f64_e64 s[16:17], |v[160:161]|, |v[162:163]|
	s_and_saveexec_b64 s[18:19], s[16:17]
	s_xor_b64 s[16:17], exec, s[18:19]
	s_cbranch_execz .LBB78_721
; %bb.720:
	v_div_scale_f64 v[176:177], s[18:19], v[162:163], v[162:163], v[160:161]
	v_rcp_f64_e32 v[178:179], v[176:177]
	v_div_scale_f64 v[180:181], vcc, v[160:161], v[162:163], v[160:161]
	v_fma_f64 v[182:183], -v[176:177], v[178:179], 1.0
	v_fmac_f64_e32 v[178:179], v[178:179], v[182:183]
	v_fma_f64 v[182:183], -v[176:177], v[178:179], 1.0
	v_fmac_f64_e32 v[178:179], v[178:179], v[182:183]
	v_mul_f64 v[182:183], v[180:181], v[178:179]
	v_fma_f64 v[176:177], -v[176:177], v[182:183], v[180:181]
	v_div_fmas_f64 v[176:177], v[176:177], v[178:179], v[182:183]
	v_div_fixup_f64 v[176:177], v[176:177], v[162:163], v[160:161]
	v_fmac_f64_e32 v[162:163], v[160:161], v[176:177]
	v_div_scale_f64 v[160:161], s[18:19], v[162:163], v[162:163], 1.0
	v_rcp_f64_e32 v[178:179], v[160:161]
	s_nop 0
	v_fma_f64 v[180:181], -v[160:161], v[178:179], 1.0
	v_fmac_f64_e32 v[178:179], v[178:179], v[180:181]
	v_fma_f64 v[180:181], -v[160:161], v[178:179], 1.0
	v_fmac_f64_e32 v[178:179], v[178:179], v[180:181]
	v_div_scale_f64 v[180:181], vcc, 1.0, v[162:163], 1.0
	v_mul_f64 v[182:183], v[180:181], v[178:179]
	v_fma_f64 v[160:161], -v[160:161], v[182:183], v[180:181]
	s_nop 1
	v_div_fmas_f64 v[160:161], v[160:161], v[178:179], v[182:183]
	v_div_fixup_f64 v[162:163], v[160:161], v[162:163], 1.0
	v_mul_f64 v[160:161], v[176:177], v[162:163]
	v_xor_b32_e32 v163, 0x80000000, v163
.LBB78_721:
	s_andn2_saveexec_b64 s[16:17], s[16:17]
	s_cbranch_execz .LBB78_723
; %bb.722:
	v_div_scale_f64 v[176:177], s[18:19], v[160:161], v[160:161], v[162:163]
	v_rcp_f64_e32 v[178:179], v[176:177]
	v_div_scale_f64 v[180:181], vcc, v[162:163], v[160:161], v[162:163]
	v_fma_f64 v[182:183], -v[176:177], v[178:179], 1.0
	v_fmac_f64_e32 v[178:179], v[178:179], v[182:183]
	v_fma_f64 v[182:183], -v[176:177], v[178:179], 1.0
	v_fmac_f64_e32 v[178:179], v[178:179], v[182:183]
	v_mul_f64 v[182:183], v[180:181], v[178:179]
	v_fma_f64 v[176:177], -v[176:177], v[182:183], v[180:181]
	v_div_fmas_f64 v[176:177], v[176:177], v[178:179], v[182:183]
	v_div_fixup_f64 v[176:177], v[176:177], v[160:161], v[162:163]
	v_fmac_f64_e32 v[160:161], v[162:163], v[176:177]
	v_div_scale_f64 v[162:163], s[18:19], v[160:161], v[160:161], 1.0
	v_rcp_f64_e32 v[178:179], v[162:163]
	s_nop 0
	v_fma_f64 v[180:181], -v[162:163], v[178:179], 1.0
	v_fmac_f64_e32 v[178:179], v[178:179], v[180:181]
	v_fma_f64 v[180:181], -v[162:163], v[178:179], 1.0
	v_fmac_f64_e32 v[178:179], v[178:179], v[180:181]
	v_div_scale_f64 v[180:181], vcc, 1.0, v[160:161], 1.0
	v_mul_f64 v[182:183], v[180:181], v[178:179]
	v_fma_f64 v[162:163], -v[162:163], v[182:183], v[180:181]
	s_nop 1
	v_div_fmas_f64 v[162:163], v[162:163], v[178:179], v[182:183]
	v_div_fixup_f64 v[160:161], v[162:163], v[160:161], 1.0
	v_mul_f64 v[162:163], v[176:177], -v[160:161]
.LBB78_723:
	s_or_b64 exec, exec, s[16:17]
.LBB78_724:
	s_or_b64 exec, exec, s[0:1]
	v_cmp_ne_u32_e32 vcc, v173, v170
	s_and_saveexec_b64 s[0:1], vcc
	s_xor_b64 s[0:1], exec, s[0:1]
	s_cbranch_execz .LBB78_730
; %bb.725:
	v_cmp_eq_u32_e32 vcc, 34, v173
	s_and_saveexec_b64 s[16:17], vcc
	s_cbranch_execz .LBB78_729
; %bb.726:
	v_cmp_ne_u32_e32 vcc, 34, v170
	s_xor_b64 s[18:19], s[14:15], -1
	s_and_b64 s[22:23], s[18:19], vcc
	s_and_saveexec_b64 s[18:19], s[22:23]
	s_cbranch_execz .LBB78_728
; %bb.727:
	v_ashrrev_i32_e32 v171, 31, v170
	v_lshl_add_u64 v[176:177], v[170:171], 2, v[168:169]
	global_load_dword v171, v[176:177], off
	global_load_dword v173, v[168:169], off offset:136
	s_waitcnt vmcnt(1)
	global_store_dword v[168:169], v171, off offset:136
	s_waitcnt vmcnt(1)
	global_store_dword v[176:177], v173, off
.LBB78_728:
	s_or_b64 exec, exec, s[18:19]
	v_mov_b32_e32 v173, v170
	v_mov_b32_e32 v175, v170
.LBB78_729:
	s_or_b64 exec, exec, s[16:17]
.LBB78_730:
	s_andn2_saveexec_b64 s[0:1], s[0:1]
	s_cbranch_execz .LBB78_732
; %bb.731:
	v_mov_b32_e32 v173, 34
	s_waitcnt vmcnt(4)
	ds_write2_b64 v172, v[12:13], v[14:15] offset0:70 offset1:71
	s_waitcnt vmcnt(3)
	ds_write2_b64 v172, v[8:9], v[10:11] offset0:72 offset1:73
	s_waitcnt vmcnt(2)
	ds_write2_b64 v172, v[4:5], v[6:7] offset0:74 offset1:75
	s_waitcnt vmcnt(1)
	ds_write2_b64 v172, v[0:1], v[2:3] offset0:76 offset1:77
	s_waitcnt vmcnt(0)
	ds_write2_b64 v172, v[156:157], v[158:159] offset0:78 offset1:79
.LBB78_732:
	s_or_b64 exec, exec, s[0:1]
	v_cmp_lt_i32_e32 vcc, 34, v173
	s_waitcnt lgkmcnt(0)
	s_barrier
	s_and_saveexec_b64 s[0:1], vcc
	s_cbranch_execz .LBB78_734
; %bb.733:
	ds_read2_b64 v[176:179], v172 offset0:70 offset1:71
	v_mul_f64 v[170:171], v[160:161], v[18:19]
	v_fmac_f64_e32 v[170:171], v[162:163], v[16:17]
	v_mul_f64 v[18:19], v[162:163], v[18:19]
	v_fma_f64 v[16:17], v[160:161], v[16:17], -v[18:19]
	ds_read2_b64 v[160:163], v172 offset0:72 offset1:73
	s_waitcnt lgkmcnt(1)
	v_mul_f64 v[18:19], v[178:179], v[170:171]
	v_fma_f64 v[18:19], v[176:177], v[16:17], -v[18:19]
	v_mul_f64 v[176:177], v[176:177], v[170:171]
	v_fmac_f64_e32 v[176:177], v[178:179], v[16:17]
	s_waitcnt vmcnt(4)
	v_add_f64 v[14:15], v[14:15], -v[176:177]
	ds_read2_b64 v[176:179], v172 offset0:74 offset1:75
	v_add_f64 v[12:13], v[12:13], -v[18:19]
	s_waitcnt lgkmcnt(1)
	v_mul_f64 v[18:19], v[162:163], v[170:171]
	v_fma_f64 v[18:19], v[160:161], v[16:17], -v[18:19]
	v_mul_f64 v[160:161], v[160:161], v[170:171]
	v_fmac_f64_e32 v[160:161], v[162:163], v[16:17]
	s_waitcnt vmcnt(3)
	v_add_f64 v[8:9], v[8:9], -v[18:19]
	v_add_f64 v[10:11], v[10:11], -v[160:161]
	ds_read2_b64 v[160:163], v172 offset0:76 offset1:77
	s_waitcnt lgkmcnt(1)
	v_mul_f64 v[18:19], v[178:179], v[170:171]
	v_fma_f64 v[18:19], v[176:177], v[16:17], -v[18:19]
	v_mul_f64 v[176:177], v[176:177], v[170:171]
	v_fmac_f64_e32 v[176:177], v[178:179], v[16:17]
	s_waitcnt vmcnt(2)
	v_add_f64 v[6:7], v[6:7], -v[176:177]
	ds_read2_b64 v[176:179], v172 offset0:78 offset1:79
	v_add_f64 v[4:5], v[4:5], -v[18:19]
	s_waitcnt lgkmcnt(1)
	v_mul_f64 v[18:19], v[162:163], v[170:171]
	v_fma_f64 v[18:19], v[160:161], v[16:17], -v[18:19]
	v_mul_f64 v[160:161], v[160:161], v[170:171]
	v_fmac_f64_e32 v[160:161], v[162:163], v[16:17]
	s_waitcnt vmcnt(1)
	v_add_f64 v[0:1], v[0:1], -v[18:19]
	v_add_f64 v[2:3], v[2:3], -v[160:161]
	s_waitcnt lgkmcnt(0)
	v_mul_f64 v[18:19], v[178:179], v[170:171]
	v_mul_f64 v[160:161], v[176:177], v[170:171]
	v_fma_f64 v[18:19], v[176:177], v[16:17], -v[18:19]
	v_fmac_f64_e32 v[160:161], v[178:179], v[16:17]
	s_waitcnt vmcnt(0)
	v_add_f64 v[156:157], v[156:157], -v[18:19]
	v_add_f64 v[158:159], v[158:159], -v[160:161]
	v_mov_b64_e32 v[18:19], v[170:171]
.LBB78_734:
	s_or_b64 exec, exec, s[0:1]
	v_lshl_add_u32 v160, v173, 4, v172
	s_barrier
	s_waitcnt vmcnt(4)
	ds_write2_b64 v160, v[12:13], v[14:15] offset1:1
	s_waitcnt lgkmcnt(0)
	s_barrier
	ds_read2_b64 v[160:163], v172 offset0:70 offset1:71
	s_cmp_lt_i32 s20, 37
	v_mov_b32_e32 v170, 35
	s_cbranch_scc1 .LBB78_737
; %bb.735:
	v_add_u32_e32 v171, 0x240, v172
	s_mov_b32 s16, 36
	v_mov_b32_e32 v170, 35
.LBB78_736:                             ; =>This Inner Loop Header: Depth=1
	ds_read2_b64 v[176:179], v171 offset1:1
	s_waitcnt lgkmcnt(1)
	v_xor_b32_e32 v181, 0x80000000, v161
	v_xor_b32_e32 v183, 0x80000000, v163
	v_cmp_gt_f64_e32 vcc, 0, v[162:163]
	v_cmp_gt_f64_e64 s[0:1], 0, v[160:161]
	v_mov_b32_e32 v180, v160
	v_mov_b32_e32 v182, v162
	v_cndmask_b32_e64 v181, v161, v181, s[0:1]
	v_cndmask_b32_e32 v183, v163, v183, vcc
	v_add_f64 v[180:181], v[180:181], v[182:183]
	s_waitcnt lgkmcnt(0)
	v_xor_b32_e32 v183, 0x80000000, v177
	v_xor_b32_e32 v185, 0x80000000, v179
	v_cmp_gt_f64_e32 vcc, 0, v[178:179]
	v_cmp_gt_f64_e64 s[0:1], 0, v[176:177]
	v_mov_b32_e32 v182, v176
	v_mov_b32_e32 v184, v178
	v_cndmask_b32_e64 v183, v177, v183, s[0:1]
	v_cndmask_b32_e32 v185, v179, v185, vcc
	v_add_f64 v[182:183], v[182:183], v[184:185]
	v_mov_b32_e32 v186, s16
	s_add_i32 s16, s16, 1
	v_cmp_lt_f64_e32 vcc, v[180:181], v[182:183]
	v_add_u32_e32 v171, 16, v171
	s_cmp_lg_u32 s20, s16
	v_cndmask_b32_e32 v161, v161, v177, vcc
	v_cndmask_b32_e32 v160, v160, v176, vcc
	v_cndmask_b32_e32 v163, v163, v179, vcc
	v_cndmask_b32_e32 v162, v162, v178, vcc
	v_cndmask_b32_e32 v170, v170, v186, vcc
	s_cbranch_scc1 .LBB78_736
.LBB78_737:
	s_waitcnt lgkmcnt(0)
	v_cmp_eq_f64_e32 vcc, 0, v[160:161]
	v_cmp_eq_f64_e64 s[0:1], 0, v[162:163]
	s_and_b64 s[0:1], vcc, s[0:1]
	s_and_saveexec_b64 s[16:17], s[0:1]
	s_xor_b64 s[0:1], exec, s[16:17]
; %bb.738:
	v_cmp_ne_u32_e32 vcc, 0, v174
	s_nop 1
	v_cndmask_b32_e32 v174, 36, v174, vcc
; %bb.739:
	s_andn2_saveexec_b64 s[0:1], s[0:1]
	s_cbranch_execz .LBB78_745
; %bb.740:
	v_cmp_ngt_f64_e64 s[16:17], |v[160:161]|, |v[162:163]|
	s_and_saveexec_b64 s[18:19], s[16:17]
	s_xor_b64 s[16:17], exec, s[18:19]
	s_cbranch_execz .LBB78_742
; %bb.741:
	v_div_scale_f64 v[176:177], s[18:19], v[162:163], v[162:163], v[160:161]
	v_rcp_f64_e32 v[178:179], v[176:177]
	v_div_scale_f64 v[180:181], vcc, v[160:161], v[162:163], v[160:161]
	v_fma_f64 v[182:183], -v[176:177], v[178:179], 1.0
	v_fmac_f64_e32 v[178:179], v[178:179], v[182:183]
	v_fma_f64 v[182:183], -v[176:177], v[178:179], 1.0
	v_fmac_f64_e32 v[178:179], v[178:179], v[182:183]
	v_mul_f64 v[182:183], v[180:181], v[178:179]
	v_fma_f64 v[176:177], -v[176:177], v[182:183], v[180:181]
	v_div_fmas_f64 v[176:177], v[176:177], v[178:179], v[182:183]
	v_div_fixup_f64 v[176:177], v[176:177], v[162:163], v[160:161]
	v_fmac_f64_e32 v[162:163], v[160:161], v[176:177]
	v_div_scale_f64 v[160:161], s[18:19], v[162:163], v[162:163], 1.0
	v_rcp_f64_e32 v[178:179], v[160:161]
	s_nop 0
	v_fma_f64 v[180:181], -v[160:161], v[178:179], 1.0
	v_fmac_f64_e32 v[178:179], v[178:179], v[180:181]
	v_fma_f64 v[180:181], -v[160:161], v[178:179], 1.0
	v_fmac_f64_e32 v[178:179], v[178:179], v[180:181]
	v_div_scale_f64 v[180:181], vcc, 1.0, v[162:163], 1.0
	v_mul_f64 v[182:183], v[180:181], v[178:179]
	v_fma_f64 v[160:161], -v[160:161], v[182:183], v[180:181]
	s_nop 1
	v_div_fmas_f64 v[160:161], v[160:161], v[178:179], v[182:183]
	v_div_fixup_f64 v[162:163], v[160:161], v[162:163], 1.0
	v_mul_f64 v[160:161], v[176:177], v[162:163]
	v_xor_b32_e32 v163, 0x80000000, v163
.LBB78_742:
	s_andn2_saveexec_b64 s[16:17], s[16:17]
	s_cbranch_execz .LBB78_744
; %bb.743:
	v_div_scale_f64 v[176:177], s[18:19], v[160:161], v[160:161], v[162:163]
	v_rcp_f64_e32 v[178:179], v[176:177]
	v_div_scale_f64 v[180:181], vcc, v[162:163], v[160:161], v[162:163]
	v_fma_f64 v[182:183], -v[176:177], v[178:179], 1.0
	v_fmac_f64_e32 v[178:179], v[178:179], v[182:183]
	v_fma_f64 v[182:183], -v[176:177], v[178:179], 1.0
	v_fmac_f64_e32 v[178:179], v[178:179], v[182:183]
	v_mul_f64 v[182:183], v[180:181], v[178:179]
	v_fma_f64 v[176:177], -v[176:177], v[182:183], v[180:181]
	v_div_fmas_f64 v[176:177], v[176:177], v[178:179], v[182:183]
	v_div_fixup_f64 v[176:177], v[176:177], v[160:161], v[162:163]
	v_fmac_f64_e32 v[160:161], v[162:163], v[176:177]
	v_div_scale_f64 v[162:163], s[18:19], v[160:161], v[160:161], 1.0
	v_rcp_f64_e32 v[178:179], v[162:163]
	s_nop 0
	v_fma_f64 v[180:181], -v[162:163], v[178:179], 1.0
	v_fmac_f64_e32 v[178:179], v[178:179], v[180:181]
	v_fma_f64 v[180:181], -v[162:163], v[178:179], 1.0
	v_fmac_f64_e32 v[178:179], v[178:179], v[180:181]
	v_div_scale_f64 v[180:181], vcc, 1.0, v[160:161], 1.0
	v_mul_f64 v[182:183], v[180:181], v[178:179]
	v_fma_f64 v[162:163], -v[162:163], v[182:183], v[180:181]
	s_nop 1
	v_div_fmas_f64 v[162:163], v[162:163], v[178:179], v[182:183]
	v_div_fixup_f64 v[160:161], v[162:163], v[160:161], 1.0
	v_mul_f64 v[162:163], v[176:177], -v[160:161]
.LBB78_744:
	s_or_b64 exec, exec, s[16:17]
.LBB78_745:
	s_or_b64 exec, exec, s[0:1]
	v_cmp_ne_u32_e32 vcc, v173, v170
	s_and_saveexec_b64 s[0:1], vcc
	s_xor_b64 s[0:1], exec, s[0:1]
	s_cbranch_execz .LBB78_751
; %bb.746:
	v_cmp_eq_u32_e32 vcc, 35, v173
	s_and_saveexec_b64 s[16:17], vcc
	s_cbranch_execz .LBB78_750
; %bb.747:
	v_cmp_ne_u32_e32 vcc, 35, v170
	s_xor_b64 s[18:19], s[14:15], -1
	s_and_b64 s[22:23], s[18:19], vcc
	s_and_saveexec_b64 s[18:19], s[22:23]
	s_cbranch_execz .LBB78_749
; %bb.748:
	v_ashrrev_i32_e32 v171, 31, v170
	v_lshl_add_u64 v[176:177], v[170:171], 2, v[168:169]
	global_load_dword v171, v[176:177], off
	global_load_dword v173, v[168:169], off offset:140
	s_waitcnt vmcnt(1)
	global_store_dword v[168:169], v171, off offset:140
	s_waitcnt vmcnt(1)
	global_store_dword v[176:177], v173, off
.LBB78_749:
	s_or_b64 exec, exec, s[18:19]
	v_mov_b32_e32 v173, v170
	v_mov_b32_e32 v175, v170
.LBB78_750:
	s_or_b64 exec, exec, s[16:17]
.LBB78_751:
	s_andn2_saveexec_b64 s[0:1], s[0:1]
	s_cbranch_execz .LBB78_753
; %bb.752:
	v_mov_b32_e32 v173, 35
	s_waitcnt vmcnt(3)
	ds_write2_b64 v172, v[8:9], v[10:11] offset0:72 offset1:73
	s_waitcnt vmcnt(2)
	ds_write2_b64 v172, v[4:5], v[6:7] offset0:74 offset1:75
	;; [unrolled: 2-line block ×4, first 2 shown]
.LBB78_753:
	s_or_b64 exec, exec, s[0:1]
	v_cmp_lt_i32_e32 vcc, 35, v173
	s_waitcnt lgkmcnt(0)
	s_barrier
	s_and_saveexec_b64 s[0:1], vcc
	s_cbranch_execz .LBB78_755
; %bb.754:
	ds_read2_b64 v[176:179], v172 offset0:72 offset1:73
	v_mul_f64 v[170:171], v[160:161], v[14:15]
	v_mul_f64 v[14:15], v[162:163], v[14:15]
	v_fmac_f64_e32 v[170:171], v[162:163], v[12:13]
	v_fma_f64 v[12:13], v[160:161], v[12:13], -v[14:15]
	ds_read2_b64 v[160:163], v172 offset0:74 offset1:75
	s_waitcnt lgkmcnt(1)
	v_mul_f64 v[14:15], v[178:179], v[170:171]
	v_fma_f64 v[14:15], v[176:177], v[12:13], -v[14:15]
	v_mul_f64 v[176:177], v[176:177], v[170:171]
	v_fmac_f64_e32 v[176:177], v[178:179], v[12:13]
	s_waitcnt vmcnt(3)
	v_add_f64 v[8:9], v[8:9], -v[14:15]
	s_waitcnt lgkmcnt(0)
	v_mul_f64 v[14:15], v[162:163], v[170:171]
	v_add_f64 v[10:11], v[10:11], -v[176:177]
	v_fma_f64 v[14:15], v[160:161], v[12:13], -v[14:15]
	v_mul_f64 v[160:161], v[160:161], v[170:171]
	ds_read2_b64 v[176:179], v172 offset0:76 offset1:77
	v_fmac_f64_e32 v[160:161], v[162:163], v[12:13]
	s_waitcnt vmcnt(2)
	v_add_f64 v[6:7], v[6:7], -v[160:161]
	ds_read2_b64 v[160:163], v172 offset0:78 offset1:79
	v_add_f64 v[4:5], v[4:5], -v[14:15]
	s_waitcnt lgkmcnt(1)
	v_mul_f64 v[14:15], v[178:179], v[170:171]
	v_fma_f64 v[14:15], v[176:177], v[12:13], -v[14:15]
	s_waitcnt vmcnt(1)
	v_add_f64 v[0:1], v[0:1], -v[14:15]
	s_waitcnt lgkmcnt(0)
	v_mul_f64 v[14:15], v[162:163], v[170:171]
	v_mul_f64 v[176:177], v[176:177], v[170:171]
	v_fma_f64 v[14:15], v[160:161], v[12:13], -v[14:15]
	v_mul_f64 v[160:161], v[160:161], v[170:171]
	v_fmac_f64_e32 v[176:177], v[178:179], v[12:13]
	v_fmac_f64_e32 v[160:161], v[162:163], v[12:13]
	v_add_f64 v[2:3], v[2:3], -v[176:177]
	s_waitcnt vmcnt(0)
	v_add_f64 v[156:157], v[156:157], -v[14:15]
	v_add_f64 v[158:159], v[158:159], -v[160:161]
	v_mov_b64_e32 v[14:15], v[170:171]
.LBB78_755:
	s_or_b64 exec, exec, s[0:1]
	v_lshl_add_u32 v160, v173, 4, v172
	s_barrier
	s_waitcnt vmcnt(3)
	ds_write2_b64 v160, v[8:9], v[10:11] offset1:1
	s_waitcnt lgkmcnt(0)
	s_barrier
	ds_read2_b64 v[160:163], v172 offset0:72 offset1:73
	s_cmp_lt_i32 s20, 38
	v_mov_b32_e32 v170, 36
	s_cbranch_scc1 .LBB78_758
; %bb.756:
	v_add_u32_e32 v171, 0x250, v172
	s_mov_b32 s16, 37
	v_mov_b32_e32 v170, 36
.LBB78_757:                             ; =>This Inner Loop Header: Depth=1
	ds_read2_b64 v[176:179], v171 offset1:1
	s_waitcnt lgkmcnt(1)
	v_xor_b32_e32 v181, 0x80000000, v161
	v_xor_b32_e32 v183, 0x80000000, v163
	v_cmp_gt_f64_e32 vcc, 0, v[162:163]
	v_cmp_gt_f64_e64 s[0:1], 0, v[160:161]
	v_mov_b32_e32 v180, v160
	v_mov_b32_e32 v182, v162
	v_cndmask_b32_e64 v181, v161, v181, s[0:1]
	v_cndmask_b32_e32 v183, v163, v183, vcc
	v_add_f64 v[180:181], v[180:181], v[182:183]
	s_waitcnt lgkmcnt(0)
	v_xor_b32_e32 v183, 0x80000000, v177
	v_xor_b32_e32 v185, 0x80000000, v179
	v_cmp_gt_f64_e32 vcc, 0, v[178:179]
	v_cmp_gt_f64_e64 s[0:1], 0, v[176:177]
	v_mov_b32_e32 v182, v176
	v_mov_b32_e32 v184, v178
	v_cndmask_b32_e64 v183, v177, v183, s[0:1]
	v_cndmask_b32_e32 v185, v179, v185, vcc
	v_add_f64 v[182:183], v[182:183], v[184:185]
	v_mov_b32_e32 v186, s16
	s_add_i32 s16, s16, 1
	v_cmp_lt_f64_e32 vcc, v[180:181], v[182:183]
	v_add_u32_e32 v171, 16, v171
	s_cmp_lg_u32 s20, s16
	v_cndmask_b32_e32 v161, v161, v177, vcc
	v_cndmask_b32_e32 v160, v160, v176, vcc
	;; [unrolled: 1-line block ×5, first 2 shown]
	s_cbranch_scc1 .LBB78_757
.LBB78_758:
	s_waitcnt lgkmcnt(0)
	v_cmp_eq_f64_e32 vcc, 0, v[160:161]
	v_cmp_eq_f64_e64 s[0:1], 0, v[162:163]
	s_and_b64 s[0:1], vcc, s[0:1]
	s_and_saveexec_b64 s[16:17], s[0:1]
	s_xor_b64 s[0:1], exec, s[16:17]
; %bb.759:
	v_cmp_ne_u32_e32 vcc, 0, v174
	s_nop 1
	v_cndmask_b32_e32 v174, 37, v174, vcc
; %bb.760:
	s_andn2_saveexec_b64 s[0:1], s[0:1]
	s_cbranch_execz .LBB78_766
; %bb.761:
	v_cmp_ngt_f64_e64 s[16:17], |v[160:161]|, |v[162:163]|
	s_and_saveexec_b64 s[18:19], s[16:17]
	s_xor_b64 s[16:17], exec, s[18:19]
	s_cbranch_execz .LBB78_763
; %bb.762:
	v_div_scale_f64 v[176:177], s[18:19], v[162:163], v[162:163], v[160:161]
	v_rcp_f64_e32 v[178:179], v[176:177]
	v_div_scale_f64 v[180:181], vcc, v[160:161], v[162:163], v[160:161]
	v_fma_f64 v[182:183], -v[176:177], v[178:179], 1.0
	v_fmac_f64_e32 v[178:179], v[178:179], v[182:183]
	v_fma_f64 v[182:183], -v[176:177], v[178:179], 1.0
	v_fmac_f64_e32 v[178:179], v[178:179], v[182:183]
	v_mul_f64 v[182:183], v[180:181], v[178:179]
	v_fma_f64 v[176:177], -v[176:177], v[182:183], v[180:181]
	v_div_fmas_f64 v[176:177], v[176:177], v[178:179], v[182:183]
	v_div_fixup_f64 v[176:177], v[176:177], v[162:163], v[160:161]
	v_fmac_f64_e32 v[162:163], v[160:161], v[176:177]
	v_div_scale_f64 v[160:161], s[18:19], v[162:163], v[162:163], 1.0
	v_rcp_f64_e32 v[178:179], v[160:161]
	s_nop 0
	v_fma_f64 v[180:181], -v[160:161], v[178:179], 1.0
	v_fmac_f64_e32 v[178:179], v[178:179], v[180:181]
	v_fma_f64 v[180:181], -v[160:161], v[178:179], 1.0
	v_fmac_f64_e32 v[178:179], v[178:179], v[180:181]
	v_div_scale_f64 v[180:181], vcc, 1.0, v[162:163], 1.0
	v_mul_f64 v[182:183], v[180:181], v[178:179]
	v_fma_f64 v[160:161], -v[160:161], v[182:183], v[180:181]
	s_nop 1
	v_div_fmas_f64 v[160:161], v[160:161], v[178:179], v[182:183]
	v_div_fixup_f64 v[162:163], v[160:161], v[162:163], 1.0
	v_mul_f64 v[160:161], v[176:177], v[162:163]
	v_xor_b32_e32 v163, 0x80000000, v163
.LBB78_763:
	s_andn2_saveexec_b64 s[16:17], s[16:17]
	s_cbranch_execz .LBB78_765
; %bb.764:
	v_div_scale_f64 v[176:177], s[18:19], v[160:161], v[160:161], v[162:163]
	v_rcp_f64_e32 v[178:179], v[176:177]
	v_div_scale_f64 v[180:181], vcc, v[162:163], v[160:161], v[162:163]
	v_fma_f64 v[182:183], -v[176:177], v[178:179], 1.0
	v_fmac_f64_e32 v[178:179], v[178:179], v[182:183]
	v_fma_f64 v[182:183], -v[176:177], v[178:179], 1.0
	v_fmac_f64_e32 v[178:179], v[178:179], v[182:183]
	v_mul_f64 v[182:183], v[180:181], v[178:179]
	v_fma_f64 v[176:177], -v[176:177], v[182:183], v[180:181]
	v_div_fmas_f64 v[176:177], v[176:177], v[178:179], v[182:183]
	v_div_fixup_f64 v[176:177], v[176:177], v[160:161], v[162:163]
	v_fmac_f64_e32 v[160:161], v[162:163], v[176:177]
	v_div_scale_f64 v[162:163], s[18:19], v[160:161], v[160:161], 1.0
	v_rcp_f64_e32 v[178:179], v[162:163]
	s_nop 0
	v_fma_f64 v[180:181], -v[162:163], v[178:179], 1.0
	v_fmac_f64_e32 v[178:179], v[178:179], v[180:181]
	v_fma_f64 v[180:181], -v[162:163], v[178:179], 1.0
	v_fmac_f64_e32 v[178:179], v[178:179], v[180:181]
	v_div_scale_f64 v[180:181], vcc, 1.0, v[160:161], 1.0
	v_mul_f64 v[182:183], v[180:181], v[178:179]
	v_fma_f64 v[162:163], -v[162:163], v[182:183], v[180:181]
	s_nop 1
	v_div_fmas_f64 v[162:163], v[162:163], v[178:179], v[182:183]
	v_div_fixup_f64 v[160:161], v[162:163], v[160:161], 1.0
	v_mul_f64 v[162:163], v[176:177], -v[160:161]
.LBB78_765:
	s_or_b64 exec, exec, s[16:17]
.LBB78_766:
	s_or_b64 exec, exec, s[0:1]
	v_cmp_ne_u32_e32 vcc, v173, v170
	s_and_saveexec_b64 s[0:1], vcc
	s_xor_b64 s[0:1], exec, s[0:1]
	s_cbranch_execz .LBB78_772
; %bb.767:
	v_cmp_eq_u32_e32 vcc, 36, v173
	s_and_saveexec_b64 s[16:17], vcc
	s_cbranch_execz .LBB78_771
; %bb.768:
	v_cmp_ne_u32_e32 vcc, 36, v170
	s_xor_b64 s[18:19], s[14:15], -1
	s_and_b64 s[22:23], s[18:19], vcc
	s_and_saveexec_b64 s[18:19], s[22:23]
	s_cbranch_execz .LBB78_770
; %bb.769:
	v_ashrrev_i32_e32 v171, 31, v170
	v_lshl_add_u64 v[176:177], v[170:171], 2, v[168:169]
	global_load_dword v171, v[176:177], off
	global_load_dword v173, v[168:169], off offset:144
	s_waitcnt vmcnt(1)
	global_store_dword v[168:169], v171, off offset:144
	s_waitcnt vmcnt(1)
	global_store_dword v[176:177], v173, off
.LBB78_770:
	s_or_b64 exec, exec, s[18:19]
	v_mov_b32_e32 v173, v170
	v_mov_b32_e32 v175, v170
.LBB78_771:
	s_or_b64 exec, exec, s[16:17]
.LBB78_772:
	s_andn2_saveexec_b64 s[0:1], s[0:1]
	s_cbranch_execz .LBB78_774
; %bb.773:
	v_mov_b32_e32 v173, 36
	s_waitcnt vmcnt(2)
	ds_write2_b64 v172, v[4:5], v[6:7] offset0:74 offset1:75
	s_waitcnt vmcnt(1)
	ds_write2_b64 v172, v[0:1], v[2:3] offset0:76 offset1:77
	;; [unrolled: 2-line block ×3, first 2 shown]
.LBB78_774:
	s_or_b64 exec, exec, s[0:1]
	v_cmp_lt_i32_e32 vcc, 36, v173
	s_waitcnt lgkmcnt(0)
	s_barrier
	s_and_saveexec_b64 s[0:1], vcc
	s_cbranch_execz .LBB78_776
; %bb.775:
	ds_read2_b64 v[176:179], v172 offset0:74 offset1:75
	v_mul_f64 v[170:171], v[160:161], v[10:11]
	v_fmac_f64_e32 v[170:171], v[162:163], v[8:9]
	v_mul_f64 v[10:11], v[162:163], v[10:11]
	v_fma_f64 v[8:9], v[160:161], v[8:9], -v[10:11]
	ds_read2_b64 v[160:163], v172 offset0:76 offset1:77
	s_waitcnt lgkmcnt(1)
	v_mul_f64 v[10:11], v[178:179], v[170:171]
	v_fma_f64 v[10:11], v[176:177], v[8:9], -v[10:11]
	v_mul_f64 v[176:177], v[176:177], v[170:171]
	v_fmac_f64_e32 v[176:177], v[178:179], v[8:9]
	s_waitcnt vmcnt(2)
	v_add_f64 v[6:7], v[6:7], -v[176:177]
	ds_read2_b64 v[176:179], v172 offset0:78 offset1:79
	v_add_f64 v[4:5], v[4:5], -v[10:11]
	s_waitcnt lgkmcnt(1)
	v_mul_f64 v[10:11], v[162:163], v[170:171]
	v_fma_f64 v[10:11], v[160:161], v[8:9], -v[10:11]
	v_mul_f64 v[160:161], v[160:161], v[170:171]
	v_fmac_f64_e32 v[160:161], v[162:163], v[8:9]
	s_waitcnt vmcnt(1)
	v_add_f64 v[0:1], v[0:1], -v[10:11]
	v_add_f64 v[2:3], v[2:3], -v[160:161]
	s_waitcnt lgkmcnt(0)
	v_mul_f64 v[10:11], v[178:179], v[170:171]
	v_mul_f64 v[160:161], v[176:177], v[170:171]
	v_fma_f64 v[10:11], v[176:177], v[8:9], -v[10:11]
	v_fmac_f64_e32 v[160:161], v[178:179], v[8:9]
	s_waitcnt vmcnt(0)
	v_add_f64 v[156:157], v[156:157], -v[10:11]
	v_add_f64 v[158:159], v[158:159], -v[160:161]
	v_mov_b64_e32 v[10:11], v[170:171]
.LBB78_776:
	s_or_b64 exec, exec, s[0:1]
	v_lshl_add_u32 v160, v173, 4, v172
	s_barrier
	s_waitcnt vmcnt(2)
	ds_write2_b64 v160, v[4:5], v[6:7] offset1:1
	s_waitcnt lgkmcnt(0)
	s_barrier
	ds_read2_b64 v[160:163], v172 offset0:74 offset1:75
	s_cmp_lt_i32 s20, 39
	v_mov_b32_e32 v170, 37
	s_cbranch_scc1 .LBB78_779
; %bb.777:
	v_add_u32_e32 v171, 0x260, v172
	s_mov_b32 s16, 38
	v_mov_b32_e32 v170, 37
.LBB78_778:                             ; =>This Inner Loop Header: Depth=1
	ds_read2_b64 v[176:179], v171 offset1:1
	s_waitcnt lgkmcnt(1)
	v_xor_b32_e32 v181, 0x80000000, v161
	v_xor_b32_e32 v183, 0x80000000, v163
	v_cmp_gt_f64_e32 vcc, 0, v[162:163]
	v_cmp_gt_f64_e64 s[0:1], 0, v[160:161]
	v_mov_b32_e32 v180, v160
	v_mov_b32_e32 v182, v162
	v_cndmask_b32_e64 v181, v161, v181, s[0:1]
	v_cndmask_b32_e32 v183, v163, v183, vcc
	v_add_f64 v[180:181], v[180:181], v[182:183]
	s_waitcnt lgkmcnt(0)
	v_xor_b32_e32 v183, 0x80000000, v177
	v_xor_b32_e32 v185, 0x80000000, v179
	v_cmp_gt_f64_e32 vcc, 0, v[178:179]
	v_cmp_gt_f64_e64 s[0:1], 0, v[176:177]
	v_mov_b32_e32 v182, v176
	v_mov_b32_e32 v184, v178
	v_cndmask_b32_e64 v183, v177, v183, s[0:1]
	v_cndmask_b32_e32 v185, v179, v185, vcc
	v_add_f64 v[182:183], v[182:183], v[184:185]
	v_mov_b32_e32 v186, s16
	s_add_i32 s16, s16, 1
	v_cmp_lt_f64_e32 vcc, v[180:181], v[182:183]
	v_add_u32_e32 v171, 16, v171
	s_cmp_lg_u32 s20, s16
	v_cndmask_b32_e32 v161, v161, v177, vcc
	v_cndmask_b32_e32 v160, v160, v176, vcc
	;; [unrolled: 1-line block ×5, first 2 shown]
	s_cbranch_scc1 .LBB78_778
.LBB78_779:
	s_waitcnt lgkmcnt(0)
	v_cmp_eq_f64_e32 vcc, 0, v[160:161]
	v_cmp_eq_f64_e64 s[0:1], 0, v[162:163]
	s_and_b64 s[0:1], vcc, s[0:1]
	s_and_saveexec_b64 s[16:17], s[0:1]
	s_xor_b64 s[0:1], exec, s[16:17]
; %bb.780:
	v_cmp_ne_u32_e32 vcc, 0, v174
	s_nop 1
	v_cndmask_b32_e32 v174, 38, v174, vcc
; %bb.781:
	s_andn2_saveexec_b64 s[0:1], s[0:1]
	s_cbranch_execz .LBB78_787
; %bb.782:
	v_cmp_ngt_f64_e64 s[16:17], |v[160:161]|, |v[162:163]|
	s_and_saveexec_b64 s[18:19], s[16:17]
	s_xor_b64 s[16:17], exec, s[18:19]
	s_cbranch_execz .LBB78_784
; %bb.783:
	v_div_scale_f64 v[176:177], s[18:19], v[162:163], v[162:163], v[160:161]
	v_rcp_f64_e32 v[178:179], v[176:177]
	v_div_scale_f64 v[180:181], vcc, v[160:161], v[162:163], v[160:161]
	v_fma_f64 v[182:183], -v[176:177], v[178:179], 1.0
	v_fmac_f64_e32 v[178:179], v[178:179], v[182:183]
	v_fma_f64 v[182:183], -v[176:177], v[178:179], 1.0
	v_fmac_f64_e32 v[178:179], v[178:179], v[182:183]
	v_mul_f64 v[182:183], v[180:181], v[178:179]
	v_fma_f64 v[176:177], -v[176:177], v[182:183], v[180:181]
	v_div_fmas_f64 v[176:177], v[176:177], v[178:179], v[182:183]
	v_div_fixup_f64 v[176:177], v[176:177], v[162:163], v[160:161]
	v_fmac_f64_e32 v[162:163], v[160:161], v[176:177]
	v_div_scale_f64 v[160:161], s[18:19], v[162:163], v[162:163], 1.0
	v_rcp_f64_e32 v[178:179], v[160:161]
	s_nop 0
	v_fma_f64 v[180:181], -v[160:161], v[178:179], 1.0
	v_fmac_f64_e32 v[178:179], v[178:179], v[180:181]
	v_fma_f64 v[180:181], -v[160:161], v[178:179], 1.0
	v_fmac_f64_e32 v[178:179], v[178:179], v[180:181]
	v_div_scale_f64 v[180:181], vcc, 1.0, v[162:163], 1.0
	v_mul_f64 v[182:183], v[180:181], v[178:179]
	v_fma_f64 v[160:161], -v[160:161], v[182:183], v[180:181]
	s_nop 1
	v_div_fmas_f64 v[160:161], v[160:161], v[178:179], v[182:183]
	v_div_fixup_f64 v[162:163], v[160:161], v[162:163], 1.0
	v_mul_f64 v[160:161], v[176:177], v[162:163]
	v_xor_b32_e32 v163, 0x80000000, v163
.LBB78_784:
	s_andn2_saveexec_b64 s[16:17], s[16:17]
	s_cbranch_execz .LBB78_786
; %bb.785:
	v_div_scale_f64 v[176:177], s[18:19], v[160:161], v[160:161], v[162:163]
	v_rcp_f64_e32 v[178:179], v[176:177]
	v_div_scale_f64 v[180:181], vcc, v[162:163], v[160:161], v[162:163]
	v_fma_f64 v[182:183], -v[176:177], v[178:179], 1.0
	v_fmac_f64_e32 v[178:179], v[178:179], v[182:183]
	v_fma_f64 v[182:183], -v[176:177], v[178:179], 1.0
	v_fmac_f64_e32 v[178:179], v[178:179], v[182:183]
	v_mul_f64 v[182:183], v[180:181], v[178:179]
	v_fma_f64 v[176:177], -v[176:177], v[182:183], v[180:181]
	v_div_fmas_f64 v[176:177], v[176:177], v[178:179], v[182:183]
	v_div_fixup_f64 v[176:177], v[176:177], v[160:161], v[162:163]
	v_fmac_f64_e32 v[160:161], v[162:163], v[176:177]
	v_div_scale_f64 v[162:163], s[18:19], v[160:161], v[160:161], 1.0
	v_rcp_f64_e32 v[178:179], v[162:163]
	s_nop 0
	v_fma_f64 v[180:181], -v[162:163], v[178:179], 1.0
	v_fmac_f64_e32 v[178:179], v[178:179], v[180:181]
	v_fma_f64 v[180:181], -v[162:163], v[178:179], 1.0
	v_fmac_f64_e32 v[178:179], v[178:179], v[180:181]
	v_div_scale_f64 v[180:181], vcc, 1.0, v[160:161], 1.0
	v_mul_f64 v[182:183], v[180:181], v[178:179]
	v_fma_f64 v[162:163], -v[162:163], v[182:183], v[180:181]
	s_nop 1
	v_div_fmas_f64 v[162:163], v[162:163], v[178:179], v[182:183]
	v_div_fixup_f64 v[160:161], v[162:163], v[160:161], 1.0
	v_mul_f64 v[162:163], v[176:177], -v[160:161]
.LBB78_786:
	s_or_b64 exec, exec, s[16:17]
.LBB78_787:
	s_or_b64 exec, exec, s[0:1]
	v_cmp_ne_u32_e32 vcc, v173, v170
	s_and_saveexec_b64 s[0:1], vcc
	s_xor_b64 s[0:1], exec, s[0:1]
	s_cbranch_execz .LBB78_793
; %bb.788:
	v_cmp_eq_u32_e32 vcc, 37, v173
	s_and_saveexec_b64 s[16:17], vcc
	s_cbranch_execz .LBB78_792
; %bb.789:
	v_cmp_ne_u32_e32 vcc, 37, v170
	s_xor_b64 s[18:19], s[14:15], -1
	s_and_b64 s[22:23], s[18:19], vcc
	s_and_saveexec_b64 s[18:19], s[22:23]
	s_cbranch_execz .LBB78_791
; %bb.790:
	v_ashrrev_i32_e32 v171, 31, v170
	v_lshl_add_u64 v[176:177], v[170:171], 2, v[168:169]
	global_load_dword v171, v[176:177], off
	global_load_dword v173, v[168:169], off offset:148
	s_waitcnt vmcnt(1)
	global_store_dword v[168:169], v171, off offset:148
	s_waitcnt vmcnt(1)
	global_store_dword v[176:177], v173, off
.LBB78_791:
	s_or_b64 exec, exec, s[18:19]
	v_mov_b32_e32 v173, v170
	v_mov_b32_e32 v175, v170
.LBB78_792:
	s_or_b64 exec, exec, s[16:17]
.LBB78_793:
	s_andn2_saveexec_b64 s[0:1], s[0:1]
	s_cbranch_execz .LBB78_795
; %bb.794:
	v_mov_b32_e32 v173, 37
	s_waitcnt vmcnt(1)
	ds_write2_b64 v172, v[0:1], v[2:3] offset0:76 offset1:77
	s_waitcnt vmcnt(0)
	ds_write2_b64 v172, v[156:157], v[158:159] offset0:78 offset1:79
.LBB78_795:
	s_or_b64 exec, exec, s[0:1]
	v_cmp_lt_i32_e32 vcc, 37, v173
	s_waitcnt lgkmcnt(0)
	s_barrier
	s_and_saveexec_b64 s[0:1], vcc
	s_cbranch_execz .LBB78_797
; %bb.796:
	ds_read2_b64 v[176:179], v172 offset0:76 offset1:77
	v_mul_f64 v[170:171], v[160:161], v[6:7]
	v_mul_f64 v[6:7], v[162:163], v[6:7]
	v_fmac_f64_e32 v[170:171], v[162:163], v[4:5]
	v_fma_f64 v[4:5], v[160:161], v[4:5], -v[6:7]
	ds_read2_b64 v[160:163], v172 offset0:78 offset1:79
	s_waitcnt lgkmcnt(1)
	v_mul_f64 v[6:7], v[178:179], v[170:171]
	v_fma_f64 v[6:7], v[176:177], v[4:5], -v[6:7]
	s_waitcnt vmcnt(1)
	v_add_f64 v[0:1], v[0:1], -v[6:7]
	v_mul_f64 v[176:177], v[176:177], v[170:171]
	s_waitcnt lgkmcnt(0)
	v_mul_f64 v[6:7], v[162:163], v[170:171]
	v_fma_f64 v[6:7], v[160:161], v[4:5], -v[6:7]
	v_mul_f64 v[160:161], v[160:161], v[170:171]
	v_fmac_f64_e32 v[176:177], v[178:179], v[4:5]
	v_fmac_f64_e32 v[160:161], v[162:163], v[4:5]
	v_add_f64 v[2:3], v[2:3], -v[176:177]
	s_waitcnt vmcnt(0)
	v_add_f64 v[156:157], v[156:157], -v[6:7]
	v_add_f64 v[158:159], v[158:159], -v[160:161]
	v_mov_b64_e32 v[6:7], v[170:171]
.LBB78_797:
	s_or_b64 exec, exec, s[0:1]
	v_lshl_add_u32 v160, v173, 4, v172
	s_barrier
	s_waitcnt vmcnt(1)
	ds_write2_b64 v160, v[0:1], v[2:3] offset1:1
	s_waitcnt lgkmcnt(0)
	s_barrier
	ds_read2_b64 v[160:163], v172 offset0:76 offset1:77
	s_cmp_lt_i32 s20, 40
	v_mov_b32_e32 v170, 38
	s_cbranch_scc1 .LBB78_800
; %bb.798:
	v_add_u32_e32 v171, 0x270, v172
	s_mov_b32 s16, 39
	v_mov_b32_e32 v170, 38
.LBB78_799:                             ; =>This Inner Loop Header: Depth=1
	ds_read2_b64 v[176:179], v171 offset1:1
	s_waitcnt lgkmcnt(1)
	v_xor_b32_e32 v181, 0x80000000, v161
	v_xor_b32_e32 v183, 0x80000000, v163
	v_cmp_gt_f64_e32 vcc, 0, v[162:163]
	v_cmp_gt_f64_e64 s[0:1], 0, v[160:161]
	v_mov_b32_e32 v180, v160
	v_mov_b32_e32 v182, v162
	v_cndmask_b32_e64 v181, v161, v181, s[0:1]
	v_cndmask_b32_e32 v183, v163, v183, vcc
	v_add_f64 v[180:181], v[180:181], v[182:183]
	s_waitcnt lgkmcnt(0)
	v_xor_b32_e32 v183, 0x80000000, v177
	v_xor_b32_e32 v185, 0x80000000, v179
	v_cmp_gt_f64_e32 vcc, 0, v[178:179]
	v_cmp_gt_f64_e64 s[0:1], 0, v[176:177]
	v_mov_b32_e32 v182, v176
	v_mov_b32_e32 v184, v178
	v_cndmask_b32_e64 v183, v177, v183, s[0:1]
	v_cndmask_b32_e32 v185, v179, v185, vcc
	v_add_f64 v[182:183], v[182:183], v[184:185]
	v_mov_b32_e32 v186, s16
	s_add_i32 s16, s16, 1
	v_cmp_lt_f64_e32 vcc, v[180:181], v[182:183]
	v_add_u32_e32 v171, 16, v171
	s_cmp_lg_u32 s20, s16
	v_cndmask_b32_e32 v161, v161, v177, vcc
	v_cndmask_b32_e32 v160, v160, v176, vcc
	v_cndmask_b32_e32 v163, v163, v179, vcc
	v_cndmask_b32_e32 v162, v162, v178, vcc
	v_cndmask_b32_e32 v170, v170, v186, vcc
	s_cbranch_scc1 .LBB78_799
.LBB78_800:
	s_waitcnt lgkmcnt(0)
	v_cmp_eq_f64_e32 vcc, 0, v[160:161]
	v_cmp_eq_f64_e64 s[0:1], 0, v[162:163]
	s_and_b64 s[0:1], vcc, s[0:1]
	s_and_saveexec_b64 s[16:17], s[0:1]
	s_xor_b64 s[0:1], exec, s[16:17]
; %bb.801:
	v_cmp_ne_u32_e32 vcc, 0, v174
	s_nop 1
	v_cndmask_b32_e32 v174, 39, v174, vcc
; %bb.802:
	s_andn2_saveexec_b64 s[0:1], s[0:1]
	s_cbranch_execz .LBB78_808
; %bb.803:
	v_cmp_ngt_f64_e64 s[16:17], |v[160:161]|, |v[162:163]|
	s_and_saveexec_b64 s[18:19], s[16:17]
	s_xor_b64 s[16:17], exec, s[18:19]
	s_cbranch_execz .LBB78_805
; %bb.804:
	v_div_scale_f64 v[176:177], s[18:19], v[162:163], v[162:163], v[160:161]
	v_rcp_f64_e32 v[178:179], v[176:177]
	v_div_scale_f64 v[180:181], vcc, v[160:161], v[162:163], v[160:161]
	v_fma_f64 v[182:183], -v[176:177], v[178:179], 1.0
	v_fmac_f64_e32 v[178:179], v[178:179], v[182:183]
	v_fma_f64 v[182:183], -v[176:177], v[178:179], 1.0
	v_fmac_f64_e32 v[178:179], v[178:179], v[182:183]
	v_mul_f64 v[182:183], v[180:181], v[178:179]
	v_fma_f64 v[176:177], -v[176:177], v[182:183], v[180:181]
	v_div_fmas_f64 v[176:177], v[176:177], v[178:179], v[182:183]
	v_div_fixup_f64 v[176:177], v[176:177], v[162:163], v[160:161]
	v_fmac_f64_e32 v[162:163], v[160:161], v[176:177]
	v_div_scale_f64 v[160:161], s[18:19], v[162:163], v[162:163], 1.0
	v_rcp_f64_e32 v[178:179], v[160:161]
	s_nop 0
	v_fma_f64 v[180:181], -v[160:161], v[178:179], 1.0
	v_fmac_f64_e32 v[178:179], v[178:179], v[180:181]
	v_fma_f64 v[180:181], -v[160:161], v[178:179], 1.0
	v_fmac_f64_e32 v[178:179], v[178:179], v[180:181]
	v_div_scale_f64 v[180:181], vcc, 1.0, v[162:163], 1.0
	v_mul_f64 v[182:183], v[180:181], v[178:179]
	v_fma_f64 v[160:161], -v[160:161], v[182:183], v[180:181]
	s_nop 1
	v_div_fmas_f64 v[160:161], v[160:161], v[178:179], v[182:183]
	v_div_fixup_f64 v[162:163], v[160:161], v[162:163], 1.0
	v_mul_f64 v[160:161], v[176:177], v[162:163]
	v_xor_b32_e32 v163, 0x80000000, v163
.LBB78_805:
	s_andn2_saveexec_b64 s[16:17], s[16:17]
	s_cbranch_execz .LBB78_807
; %bb.806:
	v_div_scale_f64 v[176:177], s[18:19], v[160:161], v[160:161], v[162:163]
	v_rcp_f64_e32 v[178:179], v[176:177]
	v_div_scale_f64 v[180:181], vcc, v[162:163], v[160:161], v[162:163]
	v_fma_f64 v[182:183], -v[176:177], v[178:179], 1.0
	v_fmac_f64_e32 v[178:179], v[178:179], v[182:183]
	v_fma_f64 v[182:183], -v[176:177], v[178:179], 1.0
	v_fmac_f64_e32 v[178:179], v[178:179], v[182:183]
	v_mul_f64 v[182:183], v[180:181], v[178:179]
	v_fma_f64 v[176:177], -v[176:177], v[182:183], v[180:181]
	v_div_fmas_f64 v[176:177], v[176:177], v[178:179], v[182:183]
	v_div_fixup_f64 v[176:177], v[176:177], v[160:161], v[162:163]
	v_fmac_f64_e32 v[160:161], v[162:163], v[176:177]
	v_div_scale_f64 v[162:163], s[18:19], v[160:161], v[160:161], 1.0
	v_rcp_f64_e32 v[178:179], v[162:163]
	s_nop 0
	v_fma_f64 v[180:181], -v[162:163], v[178:179], 1.0
	v_fmac_f64_e32 v[178:179], v[178:179], v[180:181]
	v_fma_f64 v[180:181], -v[162:163], v[178:179], 1.0
	v_fmac_f64_e32 v[178:179], v[178:179], v[180:181]
	v_div_scale_f64 v[180:181], vcc, 1.0, v[160:161], 1.0
	v_mul_f64 v[182:183], v[180:181], v[178:179]
	v_fma_f64 v[162:163], -v[162:163], v[182:183], v[180:181]
	s_nop 1
	v_div_fmas_f64 v[162:163], v[162:163], v[178:179], v[182:183]
	v_div_fixup_f64 v[160:161], v[162:163], v[160:161], 1.0
	v_mul_f64 v[162:163], v[176:177], -v[160:161]
.LBB78_807:
	s_or_b64 exec, exec, s[16:17]
.LBB78_808:
	s_or_b64 exec, exec, s[0:1]
	v_cmp_ne_u32_e32 vcc, v173, v170
	s_and_saveexec_b64 s[0:1], vcc
	s_xor_b64 s[0:1], exec, s[0:1]
	s_cbranch_execz .LBB78_814
; %bb.809:
	v_cmp_eq_u32_e32 vcc, 38, v173
	s_and_saveexec_b64 s[16:17], vcc
	s_cbranch_execz .LBB78_813
; %bb.810:
	v_cmp_ne_u32_e32 vcc, 38, v170
	s_xor_b64 s[18:19], s[14:15], -1
	s_and_b64 s[22:23], s[18:19], vcc
	s_and_saveexec_b64 s[18:19], s[22:23]
	s_cbranch_execz .LBB78_812
; %bb.811:
	v_ashrrev_i32_e32 v171, 31, v170
	v_lshl_add_u64 v[176:177], v[170:171], 2, v[168:169]
	global_load_dword v171, v[176:177], off
	global_load_dword v173, v[168:169], off offset:152
	s_waitcnt vmcnt(1)
	global_store_dword v[168:169], v171, off offset:152
	s_waitcnt vmcnt(1)
	global_store_dword v[176:177], v173, off
.LBB78_812:
	s_or_b64 exec, exec, s[18:19]
	v_mov_b32_e32 v173, v170
	v_mov_b32_e32 v175, v170
.LBB78_813:
	s_or_b64 exec, exec, s[16:17]
.LBB78_814:
	s_andn2_saveexec_b64 s[0:1], s[0:1]
	s_cbranch_execz .LBB78_816
; %bb.815:
	v_mov_b32_e32 v173, 38
	s_waitcnt vmcnt(0)
	ds_write2_b64 v172, v[156:157], v[158:159] offset0:78 offset1:79
.LBB78_816:
	s_or_b64 exec, exec, s[0:1]
	v_cmp_lt_i32_e32 vcc, 38, v173
	s_waitcnt lgkmcnt(0)
	s_barrier
	s_and_saveexec_b64 s[0:1], vcc
	s_cbranch_execz .LBB78_818
; %bb.817:
	ds_read2_b64 v[176:179], v172 offset0:78 offset1:79
	v_mul_f64 v[170:171], v[160:161], v[2:3]
	v_mul_f64 v[2:3], v[162:163], v[2:3]
	v_fmac_f64_e32 v[170:171], v[162:163], v[0:1]
	v_fma_f64 v[0:1], v[160:161], v[0:1], -v[2:3]
	s_waitcnt lgkmcnt(0)
	v_mul_f64 v[2:3], v[178:179], v[170:171]
	v_mul_f64 v[160:161], v[176:177], v[170:171]
	v_fma_f64 v[2:3], v[176:177], v[0:1], -v[2:3]
	v_fmac_f64_e32 v[160:161], v[178:179], v[0:1]
	s_waitcnt vmcnt(0)
	v_add_f64 v[156:157], v[156:157], -v[2:3]
	v_add_f64 v[158:159], v[158:159], -v[160:161]
	v_mov_b64_e32 v[2:3], v[170:171]
.LBB78_818:
	s_or_b64 exec, exec, s[0:1]
	v_lshl_add_u32 v160, v173, 4, v172
	s_barrier
	s_waitcnt vmcnt(0)
	ds_write2_b64 v160, v[156:157], v[158:159] offset1:1
	s_waitcnt lgkmcnt(0)
	s_barrier
	ds_read2_b64 v[160:163], v172 offset0:78 offset1:79
	s_cmp_lt_i32 s20, 41
	v_mov_b32_e32 v170, 39
	s_cbranch_scc1 .LBB78_821
; %bb.819:
	v_add_u32_e32 v171, 0x280, v172
	s_mov_b32 s16, 40
	v_mov_b32_e32 v170, 39
.LBB78_820:                             ; =>This Inner Loop Header: Depth=1
	ds_read2_b64 v[176:179], v171 offset1:1
	s_waitcnt lgkmcnt(1)
	v_xor_b32_e32 v172, 0x80000000, v161
	v_xor_b32_e32 v183, 0x80000000, v163
	v_cmp_gt_f64_e32 vcc, 0, v[162:163]
	v_cmp_gt_f64_e64 s[0:1], 0, v[160:161]
	v_mov_b32_e32 v180, v160
	v_mov_b32_e32 v182, v162
	v_cndmask_b32_e64 v181, v161, v172, s[0:1]
	v_cndmask_b32_e32 v183, v163, v183, vcc
	s_waitcnt lgkmcnt(0)
	v_xor_b32_e32 v172, 0x80000000, v177
	v_xor_b32_e32 v185, 0x80000000, v179
	v_cmp_gt_f64_e32 vcc, 0, v[178:179]
	v_cmp_gt_f64_e64 s[0:1], 0, v[176:177]
	v_add_f64 v[180:181], v[180:181], v[182:183]
	v_mov_b32_e32 v182, v176
	v_mov_b32_e32 v184, v178
	v_cndmask_b32_e64 v183, v177, v172, s[0:1]
	v_cndmask_b32_e32 v185, v179, v185, vcc
	v_add_f64 v[182:183], v[182:183], v[184:185]
	v_mov_b32_e32 v186, s16
	s_add_i32 s16, s16, 1
	v_cmp_lt_f64_e32 vcc, v[180:181], v[182:183]
	v_add_u32_e32 v171, 16, v171
	s_cmp_lg_u32 s20, s16
	v_cndmask_b32_e32 v161, v161, v177, vcc
	v_cndmask_b32_e32 v160, v160, v176, vcc
	;; [unrolled: 1-line block ×5, first 2 shown]
	s_cbranch_scc1 .LBB78_820
.LBB78_821:
	s_waitcnt lgkmcnt(0)
	v_cmp_eq_f64_e32 vcc, 0, v[160:161]
	v_cmp_eq_f64_e64 s[0:1], 0, v[162:163]
	s_and_b64 s[0:1], vcc, s[0:1]
	s_and_saveexec_b64 s[16:17], s[0:1]
	s_xor_b64 s[0:1], exec, s[16:17]
; %bb.822:
	v_cmp_ne_u32_e32 vcc, 0, v174
	s_nop 1
	v_cndmask_b32_e32 v174, 40, v174, vcc
; %bb.823:
	s_andn2_saveexec_b64 s[0:1], s[0:1]
	s_cbranch_execz .LBB78_829
; %bb.824:
	v_cmp_ngt_f64_e64 s[16:17], |v[160:161]|, |v[162:163]|
	s_and_saveexec_b64 s[18:19], s[16:17]
	s_xor_b64 s[16:17], exec, s[18:19]
	s_cbranch_execz .LBB78_826
; %bb.825:
	v_div_scale_f64 v[176:177], s[18:19], v[162:163], v[162:163], v[160:161]
	v_rcp_f64_e32 v[178:179], v[176:177]
	v_div_scale_f64 v[180:181], vcc, v[160:161], v[162:163], v[160:161]
	v_fma_f64 v[182:183], -v[176:177], v[178:179], 1.0
	v_fmac_f64_e32 v[178:179], v[178:179], v[182:183]
	v_fma_f64 v[182:183], -v[176:177], v[178:179], 1.0
	v_fmac_f64_e32 v[178:179], v[178:179], v[182:183]
	v_mul_f64 v[182:183], v[180:181], v[178:179]
	v_fma_f64 v[176:177], -v[176:177], v[182:183], v[180:181]
	v_div_fmas_f64 v[176:177], v[176:177], v[178:179], v[182:183]
	v_div_fixup_f64 v[176:177], v[176:177], v[162:163], v[160:161]
	v_fmac_f64_e32 v[162:163], v[160:161], v[176:177]
	v_div_scale_f64 v[160:161], s[18:19], v[162:163], v[162:163], 1.0
	v_rcp_f64_e32 v[178:179], v[160:161]
	s_nop 0
	v_fma_f64 v[180:181], -v[160:161], v[178:179], 1.0
	v_fmac_f64_e32 v[178:179], v[178:179], v[180:181]
	v_fma_f64 v[180:181], -v[160:161], v[178:179], 1.0
	v_fmac_f64_e32 v[178:179], v[178:179], v[180:181]
	v_div_scale_f64 v[180:181], vcc, 1.0, v[162:163], 1.0
	v_mul_f64 v[182:183], v[180:181], v[178:179]
	v_fma_f64 v[160:161], -v[160:161], v[182:183], v[180:181]
	s_nop 1
	v_div_fmas_f64 v[160:161], v[160:161], v[178:179], v[182:183]
	v_div_fixup_f64 v[162:163], v[160:161], v[162:163], 1.0
	v_mul_f64 v[160:161], v[176:177], v[162:163]
	v_xor_b32_e32 v163, 0x80000000, v163
.LBB78_826:
	s_andn2_saveexec_b64 s[16:17], s[16:17]
	s_cbranch_execz .LBB78_828
; %bb.827:
	v_div_scale_f64 v[176:177], s[18:19], v[160:161], v[160:161], v[162:163]
	v_rcp_f64_e32 v[178:179], v[176:177]
	v_div_scale_f64 v[180:181], vcc, v[162:163], v[160:161], v[162:163]
	v_fma_f64 v[182:183], -v[176:177], v[178:179], 1.0
	v_fmac_f64_e32 v[178:179], v[178:179], v[182:183]
	v_fma_f64 v[182:183], -v[176:177], v[178:179], 1.0
	v_fmac_f64_e32 v[178:179], v[178:179], v[182:183]
	v_mul_f64 v[182:183], v[180:181], v[178:179]
	v_fma_f64 v[176:177], -v[176:177], v[182:183], v[180:181]
	v_div_fmas_f64 v[176:177], v[176:177], v[178:179], v[182:183]
	v_div_fixup_f64 v[176:177], v[176:177], v[160:161], v[162:163]
	v_fmac_f64_e32 v[160:161], v[162:163], v[176:177]
	v_div_scale_f64 v[162:163], s[18:19], v[160:161], v[160:161], 1.0
	v_rcp_f64_e32 v[178:179], v[162:163]
	s_nop 0
	v_fma_f64 v[180:181], -v[162:163], v[178:179], 1.0
	v_fmac_f64_e32 v[178:179], v[178:179], v[180:181]
	v_fma_f64 v[180:181], -v[162:163], v[178:179], 1.0
	v_fmac_f64_e32 v[178:179], v[178:179], v[180:181]
	v_div_scale_f64 v[180:181], vcc, 1.0, v[160:161], 1.0
	v_mul_f64 v[182:183], v[180:181], v[178:179]
	v_fma_f64 v[162:163], -v[162:163], v[182:183], v[180:181]
	s_nop 1
	v_div_fmas_f64 v[162:163], v[162:163], v[178:179], v[182:183]
	v_div_fixup_f64 v[160:161], v[162:163], v[160:161], 1.0
	v_mul_f64 v[162:163], v[176:177], -v[160:161]
.LBB78_828:
	s_or_b64 exec, exec, s[16:17]
.LBB78_829:
	s_or_b64 exec, exec, s[0:1]
	v_cmp_ne_u32_e32 vcc, v173, v170
	v_mov_b32_e32 v172, 39
	s_and_saveexec_b64 s[0:1], vcc
	s_cbranch_execz .LBB78_835
; %bb.830:
	v_cmp_eq_u32_e32 vcc, 39, v173
	s_and_saveexec_b64 s[16:17], vcc
	s_cbranch_execz .LBB78_834
; %bb.831:
	v_cmp_ne_u32_e32 vcc, 39, v170
	s_xor_b64 s[14:15], s[14:15], -1
	s_and_b64 s[18:19], s[14:15], vcc
	s_and_saveexec_b64 s[14:15], s[18:19]
	s_cbranch_execz .LBB78_833
; %bb.832:
	v_ashrrev_i32_e32 v171, 31, v170
	v_lshl_add_u64 v[172:173], v[170:171], 2, v[168:169]
	global_load_dword v171, v[172:173], off
	global_load_dword v175, v[168:169], off offset:156
	s_waitcnt vmcnt(1)
	global_store_dword v[168:169], v171, off offset:156
	s_waitcnt vmcnt(1)
	global_store_dword v[172:173], v175, off
.LBB78_833:
	s_or_b64 exec, exec, s[14:15]
	v_mov_b32_e32 v173, v170
	v_mov_b32_e32 v175, v170
.LBB78_834:
	s_or_b64 exec, exec, s[16:17]
	v_mov_b32_e32 v172, v173
.LBB78_835:
	s_or_b64 exec, exec, s[0:1]
	v_cmp_gt_i32_e32 vcc, 40, v172
	v_ashrrev_i32_e32 v173, 31, v172
	s_barrier
	s_barrier
	s_and_saveexec_b64 s[0:1], vcc
	s_cbranch_execz .LBB78_837
; %bb.836:
	v_mov_b32_e32 v168, s6
	v_mov_b32_e32 v169, s7
	v_mul_lo_u32 v176, s11, v166
	v_mul_lo_u32 v177, s10, v167
	v_mad_u64_u32 v[170:171], s[6:7], s10, v166, 0
	v_add3_u32 v171, v171, v177, v176
	v_lshl_add_u64 v[168:169], v[170:171], 2, v[168:169]
	v_lshl_add_u64 v[168:169], s[8:9], 2, v[168:169]
	;; [unrolled: 1-line block ×3, first 2 shown]
	v_add3_u32 v170, v175, s13, 1
	global_store_dword v[168:169], v170, off
.LBB78_837:
	s_or_b64 exec, exec, s[0:1]
	v_cmp_eq_u32_e32 vcc, 0, v172
	s_and_saveexec_b64 s[6:7], vcc
	s_cbranch_execz .LBB78_840
; %bb.838:
	v_mov_b32_e32 v168, s4
	v_mov_b32_e32 v169, s5
	v_lshl_add_u64 v[166:167], v[166:167], 2, v[168:169]
	global_load_dword v168, v[166:167], off
	v_cmp_ne_u32_e64 s[0:1], 0, v174
	s_waitcnt vmcnt(0)
	v_cmp_eq_u32_e32 vcc, 0, v168
	s_and_b64 s[0:1], vcc, s[0:1]
	s_and_b64 exec, exec, s[0:1]
	s_cbranch_execz .LBB78_840
; %bb.839:
	v_add_u32_e32 v168, s13, v174
	global_store_dword v[166:167], v168, off
.LBB78_840:
	s_or_b64 exec, exec, s[6:7]
	v_mul_f64 v[166:167], v[162:163], v[158:159]
	v_fma_f64 v[166:167], v[160:161], v[156:157], -v[166:167]
	v_mul_f64 v[160:161], v[160:161], v[158:159]
	v_fmac_f64_e32 v[160:161], v[162:163], v[156:157]
	v_cmp_lt_i32_e32 vcc, 39, v172
	s_nop 1
	v_cndmask_b32_e32 v159, v159, v161, vcc
	v_cndmask_b32_e32 v158, v158, v160, vcc
	v_lshl_add_u64 v[160:161], v[172:173], 4, v[164:165]
	global_store_dwordx4 v[160:161], v[104:107], off
	v_cndmask_b32_e32 v157, v157, v167, vcc
	v_cndmask_b32_e32 v156, v156, v166, vcc
	v_lshl_add_u64 v[104:105], s[2:3], 4, v[160:161]
	global_store_dwordx4 v[104:105], v[96:99], off
	s_nop 1
	v_add_u32_e32 v96, s12, v172
	v_ashrrev_i32_e32 v97, 31, v96
	v_lshl_add_u64 v[98:99], v[96:97], 4, v[164:165]
	v_add_u32_e32 v96, s2, v96
	v_ashrrev_i32_e32 v97, 31, v96
	global_store_dwordx4 v[98:99], v[152:155], off
	v_lshl_add_u64 v[98:99], v[96:97], 4, v[164:165]
	v_add_u32_e32 v96, s2, v96
	v_ashrrev_i32_e32 v97, 31, v96
	global_store_dwordx4 v[98:99], v[148:151], off
	;; [unrolled: 4-line block ×13, first 2 shown]
	v_lshl_add_u64 v[98:99], v[96:97], 4, v[164:165]
	global_store_dwordx4 v[98:99], v[92:95], off
	s_nop 1
	v_add_u32_e32 v92, s2, v96
	v_ashrrev_i32_e32 v93, 31, v92
	v_lshl_add_u64 v[94:95], v[92:93], 4, v[164:165]
	global_store_dwordx4 v[94:95], v[88:91], off
	s_nop 1
	v_add_u32_e32 v88, s2, v92
	v_ashrrev_i32_e32 v89, 31, v88
	;; [unrolled: 5-line block ×24, first 2 shown]
	v_lshl_add_u64 v[0:1], v[0:1], 4, v[164:165]
	global_store_dwordx4 v[0:1], v[156:159], off
.LBB78_841:
	s_endpgm
	.section	.rodata,"a",@progbits
	.p2align	6, 0x0
	.amdhsa_kernel _ZN9rocsolver6v33100L18getf2_small_kernelILi40E19rocblas_complex_numIdEiiPS3_EEvT1_T3_lS5_lPS5_llPT2_S5_S5_S7_l
		.amdhsa_group_segment_fixed_size 0
		.amdhsa_private_segment_fixed_size 0
		.amdhsa_kernarg_size 352
		.amdhsa_user_sgpr_count 2
		.amdhsa_user_sgpr_dispatch_ptr 0
		.amdhsa_user_sgpr_queue_ptr 0
		.amdhsa_user_sgpr_kernarg_segment_ptr 1
		.amdhsa_user_sgpr_dispatch_id 0
		.amdhsa_user_sgpr_kernarg_preload_length 0
		.amdhsa_user_sgpr_kernarg_preload_offset 0
		.amdhsa_user_sgpr_private_segment_size 0
		.amdhsa_uses_dynamic_stack 0
		.amdhsa_enable_private_segment 0
		.amdhsa_system_sgpr_workgroup_id_x 1
		.amdhsa_system_sgpr_workgroup_id_y 1
		.amdhsa_system_sgpr_workgroup_id_z 0
		.amdhsa_system_sgpr_workgroup_info 0
		.amdhsa_system_vgpr_workitem_id 1
		.amdhsa_next_free_vgpr 194
		.amdhsa_next_free_sgpr 24
		.amdhsa_accum_offset 196
		.amdhsa_reserve_vcc 1
		.amdhsa_float_round_mode_32 0
		.amdhsa_float_round_mode_16_64 0
		.amdhsa_float_denorm_mode_32 3
		.amdhsa_float_denorm_mode_16_64 3
		.amdhsa_dx10_clamp 1
		.amdhsa_ieee_mode 1
		.amdhsa_fp16_overflow 0
		.amdhsa_tg_split 0
		.amdhsa_exception_fp_ieee_invalid_op 0
		.amdhsa_exception_fp_denorm_src 0
		.amdhsa_exception_fp_ieee_div_zero 0
		.amdhsa_exception_fp_ieee_overflow 0
		.amdhsa_exception_fp_ieee_underflow 0
		.amdhsa_exception_fp_ieee_inexact 0
		.amdhsa_exception_int_div_zero 0
	.end_amdhsa_kernel
	.section	.text._ZN9rocsolver6v33100L18getf2_small_kernelILi40E19rocblas_complex_numIdEiiPS3_EEvT1_T3_lS5_lPS5_llPT2_S5_S5_S7_l,"axG",@progbits,_ZN9rocsolver6v33100L18getf2_small_kernelILi40E19rocblas_complex_numIdEiiPS3_EEvT1_T3_lS5_lPS5_llPT2_S5_S5_S7_l,comdat
.Lfunc_end78:
	.size	_ZN9rocsolver6v33100L18getf2_small_kernelILi40E19rocblas_complex_numIdEiiPS3_EEvT1_T3_lS5_lPS5_llPT2_S5_S5_S7_l, .Lfunc_end78-_ZN9rocsolver6v33100L18getf2_small_kernelILi40E19rocblas_complex_numIdEiiPS3_EEvT1_T3_lS5_lPS5_llPT2_S5_S5_S7_l
                                        ; -- End function
	.set _ZN9rocsolver6v33100L18getf2_small_kernelILi40E19rocblas_complex_numIdEiiPS3_EEvT1_T3_lS5_lPS5_llPT2_S5_S5_S7_l.num_vgpr, 194
	.set _ZN9rocsolver6v33100L18getf2_small_kernelILi40E19rocblas_complex_numIdEiiPS3_EEvT1_T3_lS5_lPS5_llPT2_S5_S5_S7_l.num_agpr, 0
	.set _ZN9rocsolver6v33100L18getf2_small_kernelILi40E19rocblas_complex_numIdEiiPS3_EEvT1_T3_lS5_lPS5_llPT2_S5_S5_S7_l.numbered_sgpr, 24
	.set _ZN9rocsolver6v33100L18getf2_small_kernelILi40E19rocblas_complex_numIdEiiPS3_EEvT1_T3_lS5_lPS5_llPT2_S5_S5_S7_l.num_named_barrier, 0
	.set _ZN9rocsolver6v33100L18getf2_small_kernelILi40E19rocblas_complex_numIdEiiPS3_EEvT1_T3_lS5_lPS5_llPT2_S5_S5_S7_l.private_seg_size, 0
	.set _ZN9rocsolver6v33100L18getf2_small_kernelILi40E19rocblas_complex_numIdEiiPS3_EEvT1_T3_lS5_lPS5_llPT2_S5_S5_S7_l.uses_vcc, 1
	.set _ZN9rocsolver6v33100L18getf2_small_kernelILi40E19rocblas_complex_numIdEiiPS3_EEvT1_T3_lS5_lPS5_llPT2_S5_S5_S7_l.uses_flat_scratch, 0
	.set _ZN9rocsolver6v33100L18getf2_small_kernelILi40E19rocblas_complex_numIdEiiPS3_EEvT1_T3_lS5_lPS5_llPT2_S5_S5_S7_l.has_dyn_sized_stack, 0
	.set _ZN9rocsolver6v33100L18getf2_small_kernelILi40E19rocblas_complex_numIdEiiPS3_EEvT1_T3_lS5_lPS5_llPT2_S5_S5_S7_l.has_recursion, 0
	.set _ZN9rocsolver6v33100L18getf2_small_kernelILi40E19rocblas_complex_numIdEiiPS3_EEvT1_T3_lS5_lPS5_llPT2_S5_S5_S7_l.has_indirect_call, 0
	.section	.AMDGPU.csdata,"",@progbits
; Kernel info:
; codeLenInByte = 93148
; TotalNumSgprs: 30
; NumVgprs: 194
; NumAgprs: 0
; TotalNumVgprs: 194
; ScratchSize: 0
; MemoryBound: 0
; FloatMode: 240
; IeeeMode: 1
; LDSByteSize: 0 bytes/workgroup (compile time only)
; SGPRBlocks: 3
; VGPRBlocks: 24
; NumSGPRsForWavesPerEU: 30
; NumVGPRsForWavesPerEU: 194
; AccumOffset: 196
; Occupancy: 2
; WaveLimiterHint : 0
; COMPUTE_PGM_RSRC2:SCRATCH_EN: 0
; COMPUTE_PGM_RSRC2:USER_SGPR: 2
; COMPUTE_PGM_RSRC2:TRAP_HANDLER: 0
; COMPUTE_PGM_RSRC2:TGID_X_EN: 1
; COMPUTE_PGM_RSRC2:TGID_Y_EN: 1
; COMPUTE_PGM_RSRC2:TGID_Z_EN: 0
; COMPUTE_PGM_RSRC2:TIDIG_COMP_CNT: 1
; COMPUTE_PGM_RSRC3_GFX90A:ACCUM_OFFSET: 48
; COMPUTE_PGM_RSRC3_GFX90A:TG_SPLIT: 0
	.section	.text._ZN9rocsolver6v33100L23getf2_npvt_small_kernelILi40E19rocblas_complex_numIdEiiPS3_EEvT1_T3_lS5_lPT2_S5_S5_,"axG",@progbits,_ZN9rocsolver6v33100L23getf2_npvt_small_kernelILi40E19rocblas_complex_numIdEiiPS3_EEvT1_T3_lS5_lPT2_S5_S5_,comdat
	.globl	_ZN9rocsolver6v33100L23getf2_npvt_small_kernelILi40E19rocblas_complex_numIdEiiPS3_EEvT1_T3_lS5_lPT2_S5_S5_ ; -- Begin function _ZN9rocsolver6v33100L23getf2_npvt_small_kernelILi40E19rocblas_complex_numIdEiiPS3_EEvT1_T3_lS5_lPT2_S5_S5_
	.p2align	8
	.type	_ZN9rocsolver6v33100L23getf2_npvt_small_kernelILi40E19rocblas_complex_numIdEiiPS3_EEvT1_T3_lS5_lPT2_S5_S5_,@function
_ZN9rocsolver6v33100L23getf2_npvt_small_kernelILi40E19rocblas_complex_numIdEiiPS3_EEvT1_T3_lS5_lPT2_S5_S5_: ; @_ZN9rocsolver6v33100L23getf2_npvt_small_kernelILi40E19rocblas_complex_numIdEiiPS3_EEvT1_T3_lS5_lPT2_S5_S5_
; %bb.0:
	s_load_dword s2, s[0:1], 0x44
	s_load_dwordx2 s[8:9], s[0:1], 0x30
	v_bfe_u32 v160, v0, 10, 10
	s_waitcnt lgkmcnt(0)
	s_lshr_b32 s10, s2, 16
	s_mul_i32 s3, s3, s10
	v_add_u32_e32 v254, s3, v160
	v_cmp_gt_i32_e32 vcc, s8, v254
	s_and_saveexec_b64 s[2:3], vcc
	s_cbranch_execz .LBB79_363
; %bb.1:
	s_load_dwordx4 s[12:15], s[0:1], 0x8
	s_load_dword s2, s[0:1], 0x18
	s_load_dwordx4 s[4:7], s[0:1], 0x20
	v_ashrrev_i32_e32 v255, 31, v254
	v_and_b32_e32 v224, 0x3ff, v0
	s_waitcnt lgkmcnt(0)
	v_mov_b32_e32 v0, s12
	v_mov_b32_e32 v1, s13
	v_mul_lo_u32 v4, s5, v254
	v_mul_lo_u32 v5, s4, v255
	v_mad_u64_u32 v[2:3], s[0:1], s4, v254, 0
	v_add3_u32 v3, v3, v5, v4
	v_lshl_add_u64 v[0:1], v[2:3], 4, v[0:1]
	v_lshl_add_u64 v[0:1], s[14:15], 4, v[0:1]
	v_lshlrev_b32_e32 v2, 4, v224
	v_mov_b32_e32 v3, 0
	v_lshl_add_u64 v[234:235], v[0:1], 0, v[2:3]
	global_load_dwordx4 v[36:39], v[234:235], off
	s_add_i32 s0, s2, s2
	v_add_u32_e32 v2, s0, v224
	v_ashrrev_i32_e32 v3, 31, v2
	v_lshl_add_u64 v[232:233], v[2:3], 4, v[0:1]
	v_add_u32_e32 v2, s2, v2
	v_ashrrev_i32_e32 v3, 31, v2
	v_lshl_add_u64 v[238:239], v[2:3], 4, v[0:1]
	;; [unrolled: 3-line block ×37, first 2 shown]
	v_add_u32_e32 v2, s2, v2
	v_ashrrev_i32_e32 v3, 31, v2
	s_ashr_i32 s3, s2, 31
	v_lshl_add_u64 v[176:177], v[2:3], 4, v[0:1]
	v_lshl_add_u64 v[0:1], s[2:3], 4, v[234:235]
	s_waitcnt vmcnt(0)
	scratch_store_dwordx4 off, v[36:39], off ; 16-byte Folded Spill
	scratch_store_dwordx2 off, v[0:1], off offset:224 ; 8-byte Folded Spill
	global_load_dwordx4 v[148:151], v[0:1], off
	global_load_dwordx4 v[144:147], v[232:233], off
	;; [unrolled: 1-line block ×30, first 2 shown]
	s_mulk_i32 s10, 0x280
	scratch_store_dwordx2 off, v[4:5], off offset:16 ; 8-byte Folded Spill
	scratch_store_dwordx2 off, v[6:7], off offset:24 ; 8-byte Folded Spill
	;; [unrolled: 1-line block ×17, first 2 shown]
	global_load_dwordx4 v[32:35], v[156:157], off
	s_movk_i32 s0, 0x280
	scratch_store_dwordx2 off, v[158:159], off offset:152 ; 8-byte Folded Spill
	global_load_dwordx4 v[28:31], v[158:159], off
	global_load_dwordx4 v[24:27], v[162:163], off
	;; [unrolled: 1-line block ×8, first 2 shown]
	s_add_i32 s1, s10, 0
	v_mad_u32_u24 v226, v160, s0, 0
	v_lshl_add_u32 v225, v160, 4, s1
	v_cmp_ne_u32_e64 s[2:3], 0, v224
	v_cmp_eq_u32_e64 s[0:1], 0, v224
	scratch_store_dwordx2 off, v[162:163], off offset:160 ; 8-byte Folded Spill
	scratch_store_dwordx2 off, v[164:165], off offset:168 ; 8-byte Folded Spill
	;; [unrolled: 1-line block ×8, first 2 shown]
	s_and_saveexec_b64 s[10:11], s[0:1]
	s_cbranch_execz .LBB79_8
; %bb.2:
	scratch_load_dwordx4 v[152:155], off, off ; 16-byte Folded Reload
	s_waitcnt vmcnt(0)
	ds_write2_b64 v225, v[152:153], v[154:155] offset1:1
	ds_write2_b64 v226, v[148:149], v[150:151] offset0:2 offset1:3
	ds_write2_b64 v226, v[144:145], v[146:147] offset0:4 offset1:5
	;; [unrolled: 1-line block ×39, first 2 shown]
	ds_read2_b64 v[160:163], v225 offset1:1
	s_waitcnt lgkmcnt(0)
	v_cmp_neq_f64_e32 vcc, 0, v[160:161]
	v_cmp_neq_f64_e64 s[4:5], 0, v[162:163]
	s_or_b64 s[4:5], vcc, s[4:5]
	s_and_b64 exec, exec, s[4:5]
	s_cbranch_execz .LBB79_8
; %bb.3:
	v_cmp_ngt_f64_e64 s[4:5], |v[160:161]|, |v[162:163]|
                                        ; implicit-def: $vgpr164_vgpr165
	s_and_saveexec_b64 s[12:13], s[4:5]
	s_xor_b64 s[4:5], exec, s[12:13]
                                        ; implicit-def: $vgpr166_vgpr167
	s_cbranch_execz .LBB79_5
; %bb.4:
	v_div_scale_f64 v[164:165], s[12:13], v[162:163], v[162:163], v[160:161]
	v_rcp_f64_e32 v[166:167], v[164:165]
	v_div_scale_f64 v[168:169], vcc, v[160:161], v[162:163], v[160:161]
	v_fma_f64 v[170:171], -v[164:165], v[166:167], 1.0
	v_fmac_f64_e32 v[166:167], v[166:167], v[170:171]
	v_fma_f64 v[170:171], -v[164:165], v[166:167], 1.0
	v_fmac_f64_e32 v[166:167], v[166:167], v[170:171]
	v_mul_f64 v[170:171], v[168:169], v[166:167]
	v_fma_f64 v[164:165], -v[164:165], v[170:171], v[168:169]
	v_div_fmas_f64 v[164:165], v[164:165], v[166:167], v[170:171]
	v_div_fixup_f64 v[164:165], v[164:165], v[162:163], v[160:161]
	v_fmac_f64_e32 v[162:163], v[160:161], v[164:165]
	v_div_scale_f64 v[160:161], s[12:13], v[162:163], v[162:163], 1.0
	v_rcp_f64_e32 v[166:167], v[160:161]
	s_nop 0
	v_fma_f64 v[168:169], -v[160:161], v[166:167], 1.0
	v_fmac_f64_e32 v[166:167], v[166:167], v[168:169]
	v_fma_f64 v[168:169], -v[160:161], v[166:167], 1.0
	v_fmac_f64_e32 v[166:167], v[166:167], v[168:169]
	v_div_scale_f64 v[168:169], vcc, 1.0, v[162:163], 1.0
	v_mul_f64 v[170:171], v[168:169], v[166:167]
	v_fma_f64 v[160:161], -v[160:161], v[170:171], v[168:169]
	s_nop 1
	v_div_fmas_f64 v[160:161], v[160:161], v[166:167], v[170:171]
	v_div_fixup_f64 v[166:167], v[160:161], v[162:163], 1.0
	v_mul_f64 v[164:165], v[164:165], v[166:167]
	v_xor_b32_e32 v167, 0x80000000, v167
                                        ; implicit-def: $vgpr160_vgpr161
.LBB79_5:
	s_andn2_saveexec_b64 s[4:5], s[4:5]
	s_cbranch_execz .LBB79_7
; %bb.6:
	v_div_scale_f64 v[164:165], s[12:13], v[160:161], v[160:161], v[162:163]
	v_rcp_f64_e32 v[166:167], v[164:165]
	v_div_scale_f64 v[168:169], vcc, v[162:163], v[160:161], v[162:163]
	v_fma_f64 v[170:171], -v[164:165], v[166:167], 1.0
	v_fmac_f64_e32 v[166:167], v[166:167], v[170:171]
	v_fma_f64 v[170:171], -v[164:165], v[166:167], 1.0
	v_fmac_f64_e32 v[166:167], v[166:167], v[170:171]
	v_mul_f64 v[170:171], v[168:169], v[166:167]
	v_fma_f64 v[164:165], -v[164:165], v[170:171], v[168:169]
	v_div_fmas_f64 v[164:165], v[164:165], v[166:167], v[170:171]
	v_div_fixup_f64 v[166:167], v[164:165], v[160:161], v[162:163]
	v_fmac_f64_e32 v[160:161], v[162:163], v[166:167]
	v_div_scale_f64 v[162:163], s[12:13], v[160:161], v[160:161], 1.0
	v_rcp_f64_e32 v[164:165], v[162:163]
	s_nop 0
	v_fma_f64 v[168:169], -v[162:163], v[164:165], 1.0
	v_fmac_f64_e32 v[164:165], v[164:165], v[168:169]
	v_fma_f64 v[168:169], -v[162:163], v[164:165], 1.0
	v_fmac_f64_e32 v[164:165], v[164:165], v[168:169]
	v_div_scale_f64 v[168:169], vcc, 1.0, v[160:161], 1.0
	v_mul_f64 v[170:171], v[168:169], v[164:165]
	v_fma_f64 v[162:163], -v[162:163], v[170:171], v[168:169]
	s_nop 1
	v_div_fmas_f64 v[162:163], v[162:163], v[164:165], v[170:171]
	v_div_fixup_f64 v[164:165], v[162:163], v[160:161], 1.0
	v_mul_f64 v[166:167], v[166:167], -v[164:165]
.LBB79_7:
	s_or_b64 exec, exec, s[4:5]
	ds_write2_b64 v225, v[164:165], v[166:167] offset1:1
.LBB79_8:
	s_or_b64 exec, exec, s[10:11]
	s_waitcnt lgkmcnt(0)
	s_barrier
	ds_read2_b64 v[160:163], v225 offset1:1
	s_waitcnt lgkmcnt(0)
	scratch_store_dwordx4 off, v[160:163], off offset:232 ; 16-byte Folded Spill
	s_and_saveexec_b64 s[4:5], s[2:3]
	s_cbranch_execz .LBB79_10
; %bb.9:
	scratch_load_dwordx4 v[162:165], off, off offset:232 ; 16-byte Folded Reload
	scratch_load_dwordx4 v[152:155], off, off ; 16-byte Folded Reload
	s_waitcnt vmcnt(0)
	v_mul_f64 v[160:161], v[164:165], v[154:155]
	v_mul_f64 v[154:155], v[162:163], v[154:155]
	v_fma_f64 v[160:161], v[162:163], v[152:153], -v[160:161]
	v_fmac_f64_e32 v[154:155], v[164:165], v[152:153]
	ds_read2_b64 v[162:165], v226 offset0:2 offset1:3
	s_waitcnt lgkmcnt(0)
	v_mul_f64 v[152:153], v[164:165], v[154:155]
	v_fma_f64 v[152:153], v[162:163], v[160:161], -v[152:153]
	v_mul_f64 v[162:163], v[162:163], v[154:155]
	v_fmac_f64_e32 v[162:163], v[164:165], v[160:161]
	v_add_f64 v[150:151], v[150:151], -v[162:163]
	ds_read2_b64 v[162:165], v226 offset0:4 offset1:5
	v_add_f64 v[148:149], v[148:149], -v[152:153]
	s_waitcnt lgkmcnt(0)
	v_mul_f64 v[152:153], v[164:165], v[154:155]
	v_fma_f64 v[152:153], v[162:163], v[160:161], -v[152:153]
	v_mul_f64 v[162:163], v[162:163], v[154:155]
	v_fmac_f64_e32 v[162:163], v[164:165], v[160:161]
	v_add_f64 v[146:147], v[146:147], -v[162:163]
	ds_read2_b64 v[162:165], v226 offset0:6 offset1:7
	v_add_f64 v[144:145], v[144:145], -v[152:153]
	;; [unrolled: 8-line block ×38, first 2 shown]
	s_waitcnt lgkmcnt(0)
	v_mul_f64 v[152:153], v[164:165], v[154:155]
	v_fma_f64 v[152:153], v[162:163], v[160:161], -v[152:153]
	v_mul_f64 v[162:163], v[162:163], v[154:155]
	v_fmac_f64_e32 v[162:163], v[164:165], v[160:161]
	v_add_f64 v[156:157], v[156:157], -v[152:153]
	v_add_f64 v[158:159], v[158:159], -v[162:163]
	v_mov_b64_e32 v[152:153], v[160:161]
	scratch_store_dwordx4 off, v[152:155], off ; 16-byte Folded Spill
.LBB79_10:
	s_or_b64 exec, exec, s[4:5]
	v_cmp_eq_u32_e32 vcc, 1, v224
	s_waitcnt vmcnt(63) expcnt(7) lgkmcnt(15)
	s_barrier
	s_and_saveexec_b64 s[4:5], vcc
	s_cbranch_execz .LBB79_17
; %bb.11:
	ds_write2_b64 v225, v[148:149], v[150:151] offset1:1
	ds_write2_b64 v226, v[144:145], v[146:147] offset0:4 offset1:5
	ds_write2_b64 v226, v[140:141], v[142:143] offset0:6 offset1:7
	s_waitcnt vmcnt(62)
	ds_write2_b64 v226, v[136:137], v[138:139] offset0:8 offset1:9
	s_waitcnt vmcnt(61)
	;; [unrolled: 2-line block ×34, first 2 shown]
	ds_write2_b64 v226, v[4:5], v[6:7] offset0:74 offset1:75
	ds_write2_b64 v226, v[0:1], v[2:3] offset0:76 offset1:77
	s_waitcnt vmcnt(9)
	ds_write2_b64 v226, v[156:157], v[158:159] offset0:78 offset1:79
	ds_read2_b64 v[160:163], v225 offset1:1
	s_waitcnt lgkmcnt(0)
	v_cmp_neq_f64_e32 vcc, 0, v[160:161]
	v_cmp_neq_f64_e64 s[2:3], 0, v[162:163]
	s_or_b64 s[2:3], vcc, s[2:3]
	s_and_b64 exec, exec, s[2:3]
	s_cbranch_execz .LBB79_17
; %bb.12:
	v_cmp_ngt_f64_e64 s[2:3], |v[160:161]|, |v[162:163]|
                                        ; implicit-def: $vgpr164_vgpr165
	s_and_saveexec_b64 s[10:11], s[2:3]
	s_xor_b64 s[2:3], exec, s[10:11]
                                        ; implicit-def: $vgpr166_vgpr167
	s_cbranch_execz .LBB79_14
; %bb.13:
	v_div_scale_f64 v[164:165], s[10:11], v[162:163], v[162:163], v[160:161]
	v_rcp_f64_e32 v[166:167], v[164:165]
	v_div_scale_f64 v[168:169], vcc, v[160:161], v[162:163], v[160:161]
	v_fma_f64 v[170:171], -v[164:165], v[166:167], 1.0
	v_fmac_f64_e32 v[166:167], v[166:167], v[170:171]
	v_fma_f64 v[170:171], -v[164:165], v[166:167], 1.0
	v_fmac_f64_e32 v[166:167], v[166:167], v[170:171]
	v_mul_f64 v[170:171], v[168:169], v[166:167]
	v_fma_f64 v[164:165], -v[164:165], v[170:171], v[168:169]
	v_div_fmas_f64 v[164:165], v[164:165], v[166:167], v[170:171]
	v_div_fixup_f64 v[164:165], v[164:165], v[162:163], v[160:161]
	v_fmac_f64_e32 v[162:163], v[160:161], v[164:165]
	v_div_scale_f64 v[160:161], s[10:11], v[162:163], v[162:163], 1.0
	v_rcp_f64_e32 v[166:167], v[160:161]
	s_nop 0
	v_fma_f64 v[168:169], -v[160:161], v[166:167], 1.0
	v_fmac_f64_e32 v[166:167], v[166:167], v[168:169]
	v_fma_f64 v[168:169], -v[160:161], v[166:167], 1.0
	v_fmac_f64_e32 v[166:167], v[166:167], v[168:169]
	v_div_scale_f64 v[168:169], vcc, 1.0, v[162:163], 1.0
	v_mul_f64 v[170:171], v[168:169], v[166:167]
	v_fma_f64 v[160:161], -v[160:161], v[170:171], v[168:169]
	s_nop 1
	v_div_fmas_f64 v[160:161], v[160:161], v[166:167], v[170:171]
	v_div_fixup_f64 v[166:167], v[160:161], v[162:163], 1.0
	v_mul_f64 v[164:165], v[164:165], v[166:167]
	v_xor_b32_e32 v167, 0x80000000, v167
                                        ; implicit-def: $vgpr160_vgpr161
.LBB79_14:
	s_andn2_saveexec_b64 s[2:3], s[2:3]
	s_cbranch_execz .LBB79_16
; %bb.15:
	v_div_scale_f64 v[164:165], s[10:11], v[160:161], v[160:161], v[162:163]
	v_rcp_f64_e32 v[166:167], v[164:165]
	v_div_scale_f64 v[168:169], vcc, v[162:163], v[160:161], v[162:163]
	v_fma_f64 v[170:171], -v[164:165], v[166:167], 1.0
	v_fmac_f64_e32 v[166:167], v[166:167], v[170:171]
	v_fma_f64 v[170:171], -v[164:165], v[166:167], 1.0
	v_fmac_f64_e32 v[166:167], v[166:167], v[170:171]
	v_mul_f64 v[170:171], v[168:169], v[166:167]
	v_fma_f64 v[164:165], -v[164:165], v[170:171], v[168:169]
	v_div_fmas_f64 v[164:165], v[164:165], v[166:167], v[170:171]
	v_div_fixup_f64 v[166:167], v[164:165], v[160:161], v[162:163]
	v_fmac_f64_e32 v[160:161], v[162:163], v[166:167]
	v_div_scale_f64 v[162:163], s[10:11], v[160:161], v[160:161], 1.0
	v_rcp_f64_e32 v[164:165], v[162:163]
	s_nop 0
	v_fma_f64 v[168:169], -v[162:163], v[164:165], 1.0
	v_fmac_f64_e32 v[164:165], v[164:165], v[168:169]
	v_fma_f64 v[168:169], -v[162:163], v[164:165], 1.0
	v_fmac_f64_e32 v[164:165], v[164:165], v[168:169]
	v_div_scale_f64 v[168:169], vcc, 1.0, v[160:161], 1.0
	v_mul_f64 v[170:171], v[168:169], v[164:165]
	v_fma_f64 v[162:163], -v[162:163], v[170:171], v[168:169]
	s_nop 1
	v_div_fmas_f64 v[162:163], v[162:163], v[164:165], v[170:171]
	v_div_fixup_f64 v[164:165], v[162:163], v[160:161], 1.0
	v_mul_f64 v[166:167], v[166:167], -v[164:165]
.LBB79_16:
	s_or_b64 exec, exec, s[2:3]
	ds_write2_b64 v225, v[164:165], v[166:167] offset1:1
.LBB79_17:
	s_or_b64 exec, exec, s[4:5]
	s_waitcnt lgkmcnt(0)
	s_barrier
	ds_read2_b64 v[160:163], v225 offset1:1
	v_cmp_lt_u32_e32 vcc, 1, v224
	s_waitcnt lgkmcnt(0)
	scratch_store_dwordx4 off, v[160:163], off offset:248 ; 16-byte Folded Spill
	s_and_saveexec_b64 s[2:3], vcc
	s_cbranch_execz .LBB79_19
; %bb.18:
	scratch_load_dwordx4 v[162:165], off, off offset:248 ; 16-byte Folded Reload
	s_waitcnt vmcnt(0)
	v_mul_f64 v[160:161], v[164:165], v[150:151]
	v_mul_f64 v[150:151], v[162:163], v[150:151]
	v_fma_f64 v[160:161], v[162:163], v[148:149], -v[160:161]
	v_fmac_f64_e32 v[150:151], v[164:165], v[148:149]
	ds_read2_b64 v[162:165], v226 offset0:4 offset1:5
	s_waitcnt lgkmcnt(0)
	v_mul_f64 v[148:149], v[164:165], v[150:151]
	v_fma_f64 v[148:149], v[162:163], v[160:161], -v[148:149]
	v_mul_f64 v[162:163], v[162:163], v[150:151]
	v_fmac_f64_e32 v[162:163], v[164:165], v[160:161]
	v_add_f64 v[146:147], v[146:147], -v[162:163]
	ds_read2_b64 v[162:165], v226 offset0:6 offset1:7
	v_add_f64 v[144:145], v[144:145], -v[148:149]
	s_waitcnt lgkmcnt(0)
	v_mul_f64 v[148:149], v[164:165], v[150:151]
	v_fma_f64 v[148:149], v[162:163], v[160:161], -v[148:149]
	v_mul_f64 v[162:163], v[162:163], v[150:151]
	v_fmac_f64_e32 v[162:163], v[164:165], v[160:161]
	v_add_f64 v[142:143], v[142:143], -v[162:163]
	ds_read2_b64 v[162:165], v226 offset0:8 offset1:9
	v_add_f64 v[140:141], v[140:141], -v[148:149]
	;; [unrolled: 8-line block ×37, first 2 shown]
	s_waitcnt lgkmcnt(0)
	v_mul_f64 v[148:149], v[164:165], v[150:151]
	v_fma_f64 v[148:149], v[162:163], v[160:161], -v[148:149]
	v_mul_f64 v[162:163], v[162:163], v[150:151]
	v_fmac_f64_e32 v[162:163], v[164:165], v[160:161]
	v_add_f64 v[156:157], v[156:157], -v[148:149]
	v_add_f64 v[158:159], v[158:159], -v[162:163]
	v_mov_b64_e32 v[148:149], v[160:161]
.LBB79_19:
	s_or_b64 exec, exec, s[2:3]
	v_cmp_eq_u32_e32 vcc, 2, v224
	s_waitcnt vmcnt(63) expcnt(7) lgkmcnt(15)
	s_barrier
	s_and_saveexec_b64 s[4:5], vcc
	s_cbranch_execz .LBB79_26
; %bb.20:
	ds_write2_b64 v225, v[144:145], v[146:147] offset1:1
	ds_write2_b64 v226, v[140:141], v[142:143] offset0:6 offset1:7
	ds_write2_b64 v226, v[136:137], v[138:139] offset0:8 offset1:9
	s_waitcnt vmcnt(62)
	ds_write2_b64 v226, v[132:133], v[134:135] offset0:10 offset1:11
	s_waitcnt vmcnt(61)
	;; [unrolled: 2-line block ×33, first 2 shown]
	ds_write2_b64 v226, v[4:5], v[6:7] offset0:74 offset1:75
	ds_write2_b64 v226, v[0:1], v[2:3] offset0:76 offset1:77
	s_waitcnt vmcnt(10)
	ds_write2_b64 v226, v[156:157], v[158:159] offset0:78 offset1:79
	ds_read2_b64 v[160:163], v225 offset1:1
	s_waitcnt lgkmcnt(0)
	v_cmp_neq_f64_e32 vcc, 0, v[160:161]
	v_cmp_neq_f64_e64 s[2:3], 0, v[162:163]
	s_or_b64 s[2:3], vcc, s[2:3]
	s_and_b64 exec, exec, s[2:3]
	s_cbranch_execz .LBB79_26
; %bb.21:
	v_cmp_ngt_f64_e64 s[2:3], |v[160:161]|, |v[162:163]|
                                        ; implicit-def: $vgpr164_vgpr165
	s_and_saveexec_b64 s[10:11], s[2:3]
	s_xor_b64 s[2:3], exec, s[10:11]
                                        ; implicit-def: $vgpr166_vgpr167
	s_cbranch_execz .LBB79_23
; %bb.22:
	v_div_scale_f64 v[164:165], s[10:11], v[162:163], v[162:163], v[160:161]
	v_rcp_f64_e32 v[166:167], v[164:165]
	v_div_scale_f64 v[168:169], vcc, v[160:161], v[162:163], v[160:161]
	v_fma_f64 v[170:171], -v[164:165], v[166:167], 1.0
	v_fmac_f64_e32 v[166:167], v[166:167], v[170:171]
	v_fma_f64 v[170:171], -v[164:165], v[166:167], 1.0
	v_fmac_f64_e32 v[166:167], v[166:167], v[170:171]
	v_mul_f64 v[170:171], v[168:169], v[166:167]
	v_fma_f64 v[164:165], -v[164:165], v[170:171], v[168:169]
	v_div_fmas_f64 v[164:165], v[164:165], v[166:167], v[170:171]
	v_div_fixup_f64 v[164:165], v[164:165], v[162:163], v[160:161]
	v_fmac_f64_e32 v[162:163], v[160:161], v[164:165]
	v_div_scale_f64 v[160:161], s[10:11], v[162:163], v[162:163], 1.0
	v_rcp_f64_e32 v[166:167], v[160:161]
	s_nop 0
	v_fma_f64 v[168:169], -v[160:161], v[166:167], 1.0
	v_fmac_f64_e32 v[166:167], v[166:167], v[168:169]
	v_fma_f64 v[168:169], -v[160:161], v[166:167], 1.0
	v_fmac_f64_e32 v[166:167], v[166:167], v[168:169]
	v_div_scale_f64 v[168:169], vcc, 1.0, v[162:163], 1.0
	v_mul_f64 v[170:171], v[168:169], v[166:167]
	v_fma_f64 v[160:161], -v[160:161], v[170:171], v[168:169]
	s_nop 1
	v_div_fmas_f64 v[160:161], v[160:161], v[166:167], v[170:171]
	v_div_fixup_f64 v[166:167], v[160:161], v[162:163], 1.0
	v_mul_f64 v[164:165], v[164:165], v[166:167]
	v_xor_b32_e32 v167, 0x80000000, v167
                                        ; implicit-def: $vgpr160_vgpr161
.LBB79_23:
	s_andn2_saveexec_b64 s[2:3], s[2:3]
	s_cbranch_execz .LBB79_25
; %bb.24:
	v_div_scale_f64 v[164:165], s[10:11], v[160:161], v[160:161], v[162:163]
	v_rcp_f64_e32 v[166:167], v[164:165]
	v_div_scale_f64 v[168:169], vcc, v[162:163], v[160:161], v[162:163]
	v_fma_f64 v[170:171], -v[164:165], v[166:167], 1.0
	v_fmac_f64_e32 v[166:167], v[166:167], v[170:171]
	v_fma_f64 v[170:171], -v[164:165], v[166:167], 1.0
	v_fmac_f64_e32 v[166:167], v[166:167], v[170:171]
	v_mul_f64 v[170:171], v[168:169], v[166:167]
	v_fma_f64 v[164:165], -v[164:165], v[170:171], v[168:169]
	v_div_fmas_f64 v[164:165], v[164:165], v[166:167], v[170:171]
	v_div_fixup_f64 v[166:167], v[164:165], v[160:161], v[162:163]
	v_fmac_f64_e32 v[160:161], v[162:163], v[166:167]
	v_div_scale_f64 v[162:163], s[10:11], v[160:161], v[160:161], 1.0
	v_rcp_f64_e32 v[164:165], v[162:163]
	s_nop 0
	v_fma_f64 v[168:169], -v[162:163], v[164:165], 1.0
	v_fmac_f64_e32 v[164:165], v[164:165], v[168:169]
	v_fma_f64 v[168:169], -v[162:163], v[164:165], 1.0
	v_fmac_f64_e32 v[164:165], v[164:165], v[168:169]
	v_div_scale_f64 v[168:169], vcc, 1.0, v[160:161], 1.0
	v_mul_f64 v[170:171], v[168:169], v[164:165]
	v_fma_f64 v[162:163], -v[162:163], v[170:171], v[168:169]
	s_nop 1
	v_div_fmas_f64 v[162:163], v[162:163], v[164:165], v[170:171]
	v_div_fixup_f64 v[164:165], v[162:163], v[160:161], 1.0
	v_mul_f64 v[166:167], v[166:167], -v[164:165]
.LBB79_25:
	s_or_b64 exec, exec, s[2:3]
	ds_write2_b64 v225, v[164:165], v[166:167] offset1:1
.LBB79_26:
	s_or_b64 exec, exec, s[4:5]
	s_waitcnt lgkmcnt(0)
	s_barrier
	ds_read2_b64 v[160:163], v225 offset1:1
	v_cmp_lt_u32_e32 vcc, 2, v224
	s_waitcnt lgkmcnt(0)
	scratch_store_dwordx4 off, v[160:163], off offset:264 ; 16-byte Folded Spill
	s_and_saveexec_b64 s[2:3], vcc
	s_cbranch_execz .LBB79_28
; %bb.27:
	scratch_load_dwordx4 v[162:165], off, off offset:264 ; 16-byte Folded Reload
	s_waitcnt vmcnt(0)
	v_mul_f64 v[160:161], v[164:165], v[146:147]
	v_mul_f64 v[146:147], v[162:163], v[146:147]
	v_fma_f64 v[160:161], v[162:163], v[144:145], -v[160:161]
	v_fmac_f64_e32 v[146:147], v[164:165], v[144:145]
	ds_read2_b64 v[162:165], v226 offset0:6 offset1:7
	s_waitcnt lgkmcnt(0)
	v_mul_f64 v[144:145], v[164:165], v[146:147]
	v_fma_f64 v[144:145], v[162:163], v[160:161], -v[144:145]
	v_mul_f64 v[162:163], v[162:163], v[146:147]
	v_fmac_f64_e32 v[162:163], v[164:165], v[160:161]
	v_add_f64 v[142:143], v[142:143], -v[162:163]
	ds_read2_b64 v[162:165], v226 offset0:8 offset1:9
	v_add_f64 v[140:141], v[140:141], -v[144:145]
	s_waitcnt lgkmcnt(0)
	v_mul_f64 v[144:145], v[164:165], v[146:147]
	v_fma_f64 v[144:145], v[162:163], v[160:161], -v[144:145]
	v_mul_f64 v[162:163], v[162:163], v[146:147]
	v_fmac_f64_e32 v[162:163], v[164:165], v[160:161]
	v_add_f64 v[138:139], v[138:139], -v[162:163]
	ds_read2_b64 v[162:165], v226 offset0:10 offset1:11
	v_add_f64 v[136:137], v[136:137], -v[144:145]
	;; [unrolled: 8-line block ×36, first 2 shown]
	s_waitcnt lgkmcnt(0)
	v_mul_f64 v[144:145], v[164:165], v[146:147]
	v_fma_f64 v[144:145], v[162:163], v[160:161], -v[144:145]
	v_mul_f64 v[162:163], v[162:163], v[146:147]
	v_fmac_f64_e32 v[162:163], v[164:165], v[160:161]
	v_add_f64 v[156:157], v[156:157], -v[144:145]
	v_add_f64 v[158:159], v[158:159], -v[162:163]
	v_mov_b64_e32 v[144:145], v[160:161]
.LBB79_28:
	s_or_b64 exec, exec, s[2:3]
	v_cmp_eq_u32_e32 vcc, 3, v224
	s_waitcnt vmcnt(63) expcnt(7) lgkmcnt(15)
	s_barrier
	s_and_saveexec_b64 s[4:5], vcc
	s_cbranch_execz .LBB79_35
; %bb.29:
	ds_write2_b64 v225, v[140:141], v[142:143] offset1:1
	ds_write2_b64 v226, v[136:137], v[138:139] offset0:8 offset1:9
	ds_write2_b64 v226, v[132:133], v[134:135] offset0:10 offset1:11
	s_waitcnt vmcnt(62)
	ds_write2_b64 v226, v[128:129], v[130:131] offset0:12 offset1:13
	s_waitcnt vmcnt(61)
	;; [unrolled: 2-line block ×32, first 2 shown]
	ds_write2_b64 v226, v[4:5], v[6:7] offset0:74 offset1:75
	ds_write2_b64 v226, v[0:1], v[2:3] offset0:76 offset1:77
	s_waitcnt vmcnt(11)
	ds_write2_b64 v226, v[156:157], v[158:159] offset0:78 offset1:79
	ds_read2_b64 v[160:163], v225 offset1:1
	s_waitcnt lgkmcnt(0)
	v_cmp_neq_f64_e32 vcc, 0, v[160:161]
	v_cmp_neq_f64_e64 s[2:3], 0, v[162:163]
	s_or_b64 s[2:3], vcc, s[2:3]
	s_and_b64 exec, exec, s[2:3]
	s_cbranch_execz .LBB79_35
; %bb.30:
	v_cmp_ngt_f64_e64 s[2:3], |v[160:161]|, |v[162:163]|
                                        ; implicit-def: $vgpr164_vgpr165
	s_and_saveexec_b64 s[10:11], s[2:3]
	s_xor_b64 s[2:3], exec, s[10:11]
                                        ; implicit-def: $vgpr166_vgpr167
	s_cbranch_execz .LBB79_32
; %bb.31:
	v_div_scale_f64 v[164:165], s[10:11], v[162:163], v[162:163], v[160:161]
	v_rcp_f64_e32 v[166:167], v[164:165]
	v_div_scale_f64 v[168:169], vcc, v[160:161], v[162:163], v[160:161]
	v_fma_f64 v[170:171], -v[164:165], v[166:167], 1.0
	v_fmac_f64_e32 v[166:167], v[166:167], v[170:171]
	v_fma_f64 v[170:171], -v[164:165], v[166:167], 1.0
	v_fmac_f64_e32 v[166:167], v[166:167], v[170:171]
	v_mul_f64 v[170:171], v[168:169], v[166:167]
	v_fma_f64 v[164:165], -v[164:165], v[170:171], v[168:169]
	v_div_fmas_f64 v[164:165], v[164:165], v[166:167], v[170:171]
	v_div_fixup_f64 v[164:165], v[164:165], v[162:163], v[160:161]
	v_fmac_f64_e32 v[162:163], v[160:161], v[164:165]
	v_div_scale_f64 v[160:161], s[10:11], v[162:163], v[162:163], 1.0
	v_rcp_f64_e32 v[166:167], v[160:161]
	s_nop 0
	v_fma_f64 v[168:169], -v[160:161], v[166:167], 1.0
	v_fmac_f64_e32 v[166:167], v[166:167], v[168:169]
	v_fma_f64 v[168:169], -v[160:161], v[166:167], 1.0
	v_fmac_f64_e32 v[166:167], v[166:167], v[168:169]
	v_div_scale_f64 v[168:169], vcc, 1.0, v[162:163], 1.0
	v_mul_f64 v[170:171], v[168:169], v[166:167]
	v_fma_f64 v[160:161], -v[160:161], v[170:171], v[168:169]
	s_nop 1
	v_div_fmas_f64 v[160:161], v[160:161], v[166:167], v[170:171]
	v_div_fixup_f64 v[166:167], v[160:161], v[162:163], 1.0
	v_mul_f64 v[164:165], v[164:165], v[166:167]
	v_xor_b32_e32 v167, 0x80000000, v167
                                        ; implicit-def: $vgpr160_vgpr161
.LBB79_32:
	s_andn2_saveexec_b64 s[2:3], s[2:3]
	s_cbranch_execz .LBB79_34
; %bb.33:
	v_div_scale_f64 v[164:165], s[10:11], v[160:161], v[160:161], v[162:163]
	v_rcp_f64_e32 v[166:167], v[164:165]
	v_div_scale_f64 v[168:169], vcc, v[162:163], v[160:161], v[162:163]
	v_fma_f64 v[170:171], -v[164:165], v[166:167], 1.0
	v_fmac_f64_e32 v[166:167], v[166:167], v[170:171]
	v_fma_f64 v[170:171], -v[164:165], v[166:167], 1.0
	v_fmac_f64_e32 v[166:167], v[166:167], v[170:171]
	v_mul_f64 v[170:171], v[168:169], v[166:167]
	v_fma_f64 v[164:165], -v[164:165], v[170:171], v[168:169]
	v_div_fmas_f64 v[164:165], v[164:165], v[166:167], v[170:171]
	v_div_fixup_f64 v[166:167], v[164:165], v[160:161], v[162:163]
	v_fmac_f64_e32 v[160:161], v[162:163], v[166:167]
	v_div_scale_f64 v[162:163], s[10:11], v[160:161], v[160:161], 1.0
	v_rcp_f64_e32 v[164:165], v[162:163]
	s_nop 0
	v_fma_f64 v[168:169], -v[162:163], v[164:165], 1.0
	v_fmac_f64_e32 v[164:165], v[164:165], v[168:169]
	v_fma_f64 v[168:169], -v[162:163], v[164:165], 1.0
	v_fmac_f64_e32 v[164:165], v[164:165], v[168:169]
	v_div_scale_f64 v[168:169], vcc, 1.0, v[160:161], 1.0
	v_mul_f64 v[170:171], v[168:169], v[164:165]
	v_fma_f64 v[162:163], -v[162:163], v[170:171], v[168:169]
	s_nop 1
	v_div_fmas_f64 v[162:163], v[162:163], v[164:165], v[170:171]
	v_div_fixup_f64 v[164:165], v[162:163], v[160:161], 1.0
	v_mul_f64 v[166:167], v[166:167], -v[164:165]
.LBB79_34:
	s_or_b64 exec, exec, s[2:3]
	ds_write2_b64 v225, v[164:165], v[166:167] offset1:1
.LBB79_35:
	s_or_b64 exec, exec, s[4:5]
	s_waitcnt lgkmcnt(0)
	s_barrier
	ds_read2_b64 v[160:163], v225 offset1:1
	v_cmp_lt_u32_e32 vcc, 3, v224
	s_waitcnt lgkmcnt(0)
	scratch_store_dwordx4 off, v[160:163], off offset:280 ; 16-byte Folded Spill
	s_and_saveexec_b64 s[2:3], vcc
	s_cbranch_execz .LBB79_37
; %bb.36:
	scratch_load_dwordx4 v[162:165], off, off offset:280 ; 16-byte Folded Reload
	s_waitcnt vmcnt(0)
	v_mul_f64 v[160:161], v[164:165], v[142:143]
	v_mul_f64 v[142:143], v[162:163], v[142:143]
	v_fma_f64 v[160:161], v[162:163], v[140:141], -v[160:161]
	v_fmac_f64_e32 v[142:143], v[164:165], v[140:141]
	ds_read2_b64 v[162:165], v226 offset0:8 offset1:9
	s_waitcnt lgkmcnt(0)
	v_mul_f64 v[140:141], v[164:165], v[142:143]
	v_fma_f64 v[140:141], v[162:163], v[160:161], -v[140:141]
	v_mul_f64 v[162:163], v[162:163], v[142:143]
	v_fmac_f64_e32 v[162:163], v[164:165], v[160:161]
	v_add_f64 v[138:139], v[138:139], -v[162:163]
	ds_read2_b64 v[162:165], v226 offset0:10 offset1:11
	v_add_f64 v[136:137], v[136:137], -v[140:141]
	s_waitcnt lgkmcnt(0)
	v_mul_f64 v[140:141], v[164:165], v[142:143]
	v_fma_f64 v[140:141], v[162:163], v[160:161], -v[140:141]
	v_mul_f64 v[162:163], v[162:163], v[142:143]
	v_fmac_f64_e32 v[162:163], v[164:165], v[160:161]
	v_add_f64 v[134:135], v[134:135], -v[162:163]
	ds_read2_b64 v[162:165], v226 offset0:12 offset1:13
	v_add_f64 v[132:133], v[132:133], -v[140:141]
	;; [unrolled: 8-line block ×35, first 2 shown]
	s_waitcnt lgkmcnt(0)
	v_mul_f64 v[140:141], v[164:165], v[142:143]
	v_fma_f64 v[140:141], v[162:163], v[160:161], -v[140:141]
	v_mul_f64 v[162:163], v[162:163], v[142:143]
	v_fmac_f64_e32 v[162:163], v[164:165], v[160:161]
	v_add_f64 v[156:157], v[156:157], -v[140:141]
	v_add_f64 v[158:159], v[158:159], -v[162:163]
	v_mov_b64_e32 v[140:141], v[160:161]
.LBB79_37:
	s_or_b64 exec, exec, s[2:3]
	v_cmp_eq_u32_e32 vcc, 4, v224
	s_waitcnt vmcnt(63) expcnt(7) lgkmcnt(15)
	s_barrier
	s_and_saveexec_b64 s[4:5], vcc
	s_cbranch_execz .LBB79_44
; %bb.38:
	ds_write2_b64 v225, v[136:137], v[138:139] offset1:1
	ds_write2_b64 v226, v[132:133], v[134:135] offset0:10 offset1:11
	ds_write2_b64 v226, v[128:129], v[130:131] offset0:12 offset1:13
	s_waitcnt vmcnt(62)
	ds_write2_b64 v226, v[124:125], v[126:127] offset0:14 offset1:15
	s_waitcnt vmcnt(61)
	;; [unrolled: 2-line block ×31, first 2 shown]
	ds_write2_b64 v226, v[4:5], v[6:7] offset0:74 offset1:75
	ds_write2_b64 v226, v[0:1], v[2:3] offset0:76 offset1:77
	s_waitcnt vmcnt(12)
	ds_write2_b64 v226, v[156:157], v[158:159] offset0:78 offset1:79
	ds_read2_b64 v[160:163], v225 offset1:1
	s_waitcnt lgkmcnt(0)
	v_cmp_neq_f64_e32 vcc, 0, v[160:161]
	v_cmp_neq_f64_e64 s[2:3], 0, v[162:163]
	s_or_b64 s[2:3], vcc, s[2:3]
	s_and_b64 exec, exec, s[2:3]
	s_cbranch_execz .LBB79_44
; %bb.39:
	v_cmp_ngt_f64_e64 s[2:3], |v[160:161]|, |v[162:163]|
                                        ; implicit-def: $vgpr164_vgpr165
	s_and_saveexec_b64 s[10:11], s[2:3]
	s_xor_b64 s[2:3], exec, s[10:11]
                                        ; implicit-def: $vgpr166_vgpr167
	s_cbranch_execz .LBB79_41
; %bb.40:
	v_div_scale_f64 v[164:165], s[10:11], v[162:163], v[162:163], v[160:161]
	v_rcp_f64_e32 v[166:167], v[164:165]
	v_div_scale_f64 v[168:169], vcc, v[160:161], v[162:163], v[160:161]
	v_fma_f64 v[170:171], -v[164:165], v[166:167], 1.0
	v_fmac_f64_e32 v[166:167], v[166:167], v[170:171]
	v_fma_f64 v[170:171], -v[164:165], v[166:167], 1.0
	v_fmac_f64_e32 v[166:167], v[166:167], v[170:171]
	v_mul_f64 v[170:171], v[168:169], v[166:167]
	v_fma_f64 v[164:165], -v[164:165], v[170:171], v[168:169]
	v_div_fmas_f64 v[164:165], v[164:165], v[166:167], v[170:171]
	v_div_fixup_f64 v[164:165], v[164:165], v[162:163], v[160:161]
	v_fmac_f64_e32 v[162:163], v[160:161], v[164:165]
	v_div_scale_f64 v[160:161], s[10:11], v[162:163], v[162:163], 1.0
	v_rcp_f64_e32 v[166:167], v[160:161]
	s_nop 0
	v_fma_f64 v[168:169], -v[160:161], v[166:167], 1.0
	v_fmac_f64_e32 v[166:167], v[166:167], v[168:169]
	v_fma_f64 v[168:169], -v[160:161], v[166:167], 1.0
	v_fmac_f64_e32 v[166:167], v[166:167], v[168:169]
	v_div_scale_f64 v[168:169], vcc, 1.0, v[162:163], 1.0
	v_mul_f64 v[170:171], v[168:169], v[166:167]
	v_fma_f64 v[160:161], -v[160:161], v[170:171], v[168:169]
	s_nop 1
	v_div_fmas_f64 v[160:161], v[160:161], v[166:167], v[170:171]
	v_div_fixup_f64 v[166:167], v[160:161], v[162:163], 1.0
	v_mul_f64 v[164:165], v[164:165], v[166:167]
	v_xor_b32_e32 v167, 0x80000000, v167
                                        ; implicit-def: $vgpr160_vgpr161
.LBB79_41:
	s_andn2_saveexec_b64 s[2:3], s[2:3]
	s_cbranch_execz .LBB79_43
; %bb.42:
	v_div_scale_f64 v[164:165], s[10:11], v[160:161], v[160:161], v[162:163]
	v_rcp_f64_e32 v[166:167], v[164:165]
	v_div_scale_f64 v[168:169], vcc, v[162:163], v[160:161], v[162:163]
	v_fma_f64 v[170:171], -v[164:165], v[166:167], 1.0
	v_fmac_f64_e32 v[166:167], v[166:167], v[170:171]
	v_fma_f64 v[170:171], -v[164:165], v[166:167], 1.0
	v_fmac_f64_e32 v[166:167], v[166:167], v[170:171]
	v_mul_f64 v[170:171], v[168:169], v[166:167]
	v_fma_f64 v[164:165], -v[164:165], v[170:171], v[168:169]
	v_div_fmas_f64 v[164:165], v[164:165], v[166:167], v[170:171]
	v_div_fixup_f64 v[166:167], v[164:165], v[160:161], v[162:163]
	v_fmac_f64_e32 v[160:161], v[162:163], v[166:167]
	v_div_scale_f64 v[162:163], s[10:11], v[160:161], v[160:161], 1.0
	v_rcp_f64_e32 v[164:165], v[162:163]
	s_nop 0
	v_fma_f64 v[168:169], -v[162:163], v[164:165], 1.0
	v_fmac_f64_e32 v[164:165], v[164:165], v[168:169]
	v_fma_f64 v[168:169], -v[162:163], v[164:165], 1.0
	v_fmac_f64_e32 v[164:165], v[164:165], v[168:169]
	v_div_scale_f64 v[168:169], vcc, 1.0, v[160:161], 1.0
	v_mul_f64 v[170:171], v[168:169], v[164:165]
	v_fma_f64 v[162:163], -v[162:163], v[170:171], v[168:169]
	s_nop 1
	v_div_fmas_f64 v[162:163], v[162:163], v[164:165], v[170:171]
	v_div_fixup_f64 v[164:165], v[162:163], v[160:161], 1.0
	v_mul_f64 v[166:167], v[166:167], -v[164:165]
.LBB79_43:
	s_or_b64 exec, exec, s[2:3]
	ds_write2_b64 v225, v[164:165], v[166:167] offset1:1
.LBB79_44:
	s_or_b64 exec, exec, s[4:5]
	s_waitcnt lgkmcnt(0)
	s_barrier
	ds_read2_b64 v[160:163], v225 offset1:1
	v_cmp_lt_u32_e32 vcc, 4, v224
	s_waitcnt lgkmcnt(0)
	scratch_store_dwordx4 off, v[160:163], off offset:296 ; 16-byte Folded Spill
	s_and_saveexec_b64 s[2:3], vcc
	s_cbranch_execz .LBB79_46
; %bb.45:
	scratch_load_dwordx4 v[162:165], off, off offset:296 ; 16-byte Folded Reload
	s_waitcnt vmcnt(0)
	v_mul_f64 v[160:161], v[164:165], v[138:139]
	v_mul_f64 v[138:139], v[162:163], v[138:139]
	v_fma_f64 v[160:161], v[162:163], v[136:137], -v[160:161]
	v_fmac_f64_e32 v[138:139], v[164:165], v[136:137]
	ds_read2_b64 v[162:165], v226 offset0:10 offset1:11
	s_waitcnt lgkmcnt(0)
	v_mul_f64 v[136:137], v[164:165], v[138:139]
	v_fma_f64 v[136:137], v[162:163], v[160:161], -v[136:137]
	v_mul_f64 v[162:163], v[162:163], v[138:139]
	v_fmac_f64_e32 v[162:163], v[164:165], v[160:161]
	v_add_f64 v[134:135], v[134:135], -v[162:163]
	ds_read2_b64 v[162:165], v226 offset0:12 offset1:13
	v_add_f64 v[132:133], v[132:133], -v[136:137]
	s_waitcnt lgkmcnt(0)
	v_mul_f64 v[136:137], v[164:165], v[138:139]
	v_fma_f64 v[136:137], v[162:163], v[160:161], -v[136:137]
	v_mul_f64 v[162:163], v[162:163], v[138:139]
	v_fmac_f64_e32 v[162:163], v[164:165], v[160:161]
	v_add_f64 v[130:131], v[130:131], -v[162:163]
	ds_read2_b64 v[162:165], v226 offset0:14 offset1:15
	v_add_f64 v[128:129], v[128:129], -v[136:137]
	;; [unrolled: 8-line block ×34, first 2 shown]
	s_waitcnt lgkmcnt(0)
	v_mul_f64 v[136:137], v[164:165], v[138:139]
	v_fma_f64 v[136:137], v[162:163], v[160:161], -v[136:137]
	v_mul_f64 v[162:163], v[162:163], v[138:139]
	v_fmac_f64_e32 v[162:163], v[164:165], v[160:161]
	v_add_f64 v[156:157], v[156:157], -v[136:137]
	v_add_f64 v[158:159], v[158:159], -v[162:163]
	v_mov_b64_e32 v[136:137], v[160:161]
.LBB79_46:
	s_or_b64 exec, exec, s[2:3]
	v_cmp_eq_u32_e32 vcc, 5, v224
	s_waitcnt vmcnt(63) expcnt(7) lgkmcnt(15)
	s_barrier
	s_and_saveexec_b64 s[4:5], vcc
	s_cbranch_execz .LBB79_53
; %bb.47:
	ds_write2_b64 v225, v[132:133], v[134:135] offset1:1
	ds_write2_b64 v226, v[128:129], v[130:131] offset0:12 offset1:13
	ds_write2_b64 v226, v[124:125], v[126:127] offset0:14 offset1:15
	s_waitcnt vmcnt(62)
	ds_write2_b64 v226, v[120:121], v[122:123] offset0:16 offset1:17
	s_waitcnt vmcnt(61)
	;; [unrolled: 2-line block ×30, first 2 shown]
	ds_write2_b64 v226, v[4:5], v[6:7] offset0:74 offset1:75
	ds_write2_b64 v226, v[0:1], v[2:3] offset0:76 offset1:77
	s_waitcnt vmcnt(13)
	ds_write2_b64 v226, v[156:157], v[158:159] offset0:78 offset1:79
	ds_read2_b64 v[160:163], v225 offset1:1
	s_waitcnt lgkmcnt(0)
	v_cmp_neq_f64_e32 vcc, 0, v[160:161]
	v_cmp_neq_f64_e64 s[2:3], 0, v[162:163]
	s_or_b64 s[2:3], vcc, s[2:3]
	s_and_b64 exec, exec, s[2:3]
	s_cbranch_execz .LBB79_53
; %bb.48:
	v_cmp_ngt_f64_e64 s[2:3], |v[160:161]|, |v[162:163]|
                                        ; implicit-def: $vgpr164_vgpr165
	s_and_saveexec_b64 s[10:11], s[2:3]
	s_xor_b64 s[2:3], exec, s[10:11]
                                        ; implicit-def: $vgpr166_vgpr167
	s_cbranch_execz .LBB79_50
; %bb.49:
	v_div_scale_f64 v[164:165], s[10:11], v[162:163], v[162:163], v[160:161]
	v_rcp_f64_e32 v[166:167], v[164:165]
	v_div_scale_f64 v[168:169], vcc, v[160:161], v[162:163], v[160:161]
	v_fma_f64 v[170:171], -v[164:165], v[166:167], 1.0
	v_fmac_f64_e32 v[166:167], v[166:167], v[170:171]
	v_fma_f64 v[170:171], -v[164:165], v[166:167], 1.0
	v_fmac_f64_e32 v[166:167], v[166:167], v[170:171]
	v_mul_f64 v[170:171], v[168:169], v[166:167]
	v_fma_f64 v[164:165], -v[164:165], v[170:171], v[168:169]
	v_div_fmas_f64 v[164:165], v[164:165], v[166:167], v[170:171]
	v_div_fixup_f64 v[164:165], v[164:165], v[162:163], v[160:161]
	v_fmac_f64_e32 v[162:163], v[160:161], v[164:165]
	v_div_scale_f64 v[160:161], s[10:11], v[162:163], v[162:163], 1.0
	v_rcp_f64_e32 v[166:167], v[160:161]
	s_nop 0
	v_fma_f64 v[168:169], -v[160:161], v[166:167], 1.0
	v_fmac_f64_e32 v[166:167], v[166:167], v[168:169]
	v_fma_f64 v[168:169], -v[160:161], v[166:167], 1.0
	v_fmac_f64_e32 v[166:167], v[166:167], v[168:169]
	v_div_scale_f64 v[168:169], vcc, 1.0, v[162:163], 1.0
	v_mul_f64 v[170:171], v[168:169], v[166:167]
	v_fma_f64 v[160:161], -v[160:161], v[170:171], v[168:169]
	s_nop 1
	v_div_fmas_f64 v[160:161], v[160:161], v[166:167], v[170:171]
	v_div_fixup_f64 v[166:167], v[160:161], v[162:163], 1.0
	v_mul_f64 v[164:165], v[164:165], v[166:167]
	v_xor_b32_e32 v167, 0x80000000, v167
                                        ; implicit-def: $vgpr160_vgpr161
.LBB79_50:
	s_andn2_saveexec_b64 s[2:3], s[2:3]
	s_cbranch_execz .LBB79_52
; %bb.51:
	v_div_scale_f64 v[164:165], s[10:11], v[160:161], v[160:161], v[162:163]
	v_rcp_f64_e32 v[166:167], v[164:165]
	v_div_scale_f64 v[168:169], vcc, v[162:163], v[160:161], v[162:163]
	v_fma_f64 v[170:171], -v[164:165], v[166:167], 1.0
	v_fmac_f64_e32 v[166:167], v[166:167], v[170:171]
	v_fma_f64 v[170:171], -v[164:165], v[166:167], 1.0
	v_fmac_f64_e32 v[166:167], v[166:167], v[170:171]
	v_mul_f64 v[170:171], v[168:169], v[166:167]
	v_fma_f64 v[164:165], -v[164:165], v[170:171], v[168:169]
	v_div_fmas_f64 v[164:165], v[164:165], v[166:167], v[170:171]
	v_div_fixup_f64 v[166:167], v[164:165], v[160:161], v[162:163]
	v_fmac_f64_e32 v[160:161], v[162:163], v[166:167]
	v_div_scale_f64 v[162:163], s[10:11], v[160:161], v[160:161], 1.0
	v_rcp_f64_e32 v[164:165], v[162:163]
	s_nop 0
	v_fma_f64 v[168:169], -v[162:163], v[164:165], 1.0
	v_fmac_f64_e32 v[164:165], v[164:165], v[168:169]
	v_fma_f64 v[168:169], -v[162:163], v[164:165], 1.0
	v_fmac_f64_e32 v[164:165], v[164:165], v[168:169]
	v_div_scale_f64 v[168:169], vcc, 1.0, v[160:161], 1.0
	v_mul_f64 v[170:171], v[168:169], v[164:165]
	v_fma_f64 v[162:163], -v[162:163], v[170:171], v[168:169]
	s_nop 1
	v_div_fmas_f64 v[162:163], v[162:163], v[164:165], v[170:171]
	v_div_fixup_f64 v[164:165], v[162:163], v[160:161], 1.0
	v_mul_f64 v[166:167], v[166:167], -v[164:165]
.LBB79_52:
	s_or_b64 exec, exec, s[2:3]
	ds_write2_b64 v225, v[164:165], v[166:167] offset1:1
.LBB79_53:
	s_or_b64 exec, exec, s[4:5]
	s_waitcnt lgkmcnt(0)
	s_barrier
	ds_read2_b64 v[160:163], v225 offset1:1
	v_cmp_lt_u32_e32 vcc, 5, v224
	s_waitcnt lgkmcnt(0)
	scratch_store_dwordx4 off, v[160:163], off offset:312 ; 16-byte Folded Spill
	s_and_saveexec_b64 s[2:3], vcc
	s_cbranch_execz .LBB79_55
; %bb.54:
	scratch_load_dwordx4 v[162:165], off, off offset:312 ; 16-byte Folded Reload
	s_waitcnt vmcnt(0)
	v_mul_f64 v[160:161], v[164:165], v[134:135]
	v_mul_f64 v[134:135], v[162:163], v[134:135]
	v_fma_f64 v[160:161], v[162:163], v[132:133], -v[160:161]
	v_fmac_f64_e32 v[134:135], v[164:165], v[132:133]
	ds_read2_b64 v[162:165], v226 offset0:12 offset1:13
	s_waitcnt lgkmcnt(0)
	v_mul_f64 v[132:133], v[164:165], v[134:135]
	v_fma_f64 v[132:133], v[162:163], v[160:161], -v[132:133]
	v_mul_f64 v[162:163], v[162:163], v[134:135]
	v_fmac_f64_e32 v[162:163], v[164:165], v[160:161]
	v_add_f64 v[130:131], v[130:131], -v[162:163]
	ds_read2_b64 v[162:165], v226 offset0:14 offset1:15
	v_add_f64 v[128:129], v[128:129], -v[132:133]
	s_waitcnt lgkmcnt(0)
	v_mul_f64 v[132:133], v[164:165], v[134:135]
	v_fma_f64 v[132:133], v[162:163], v[160:161], -v[132:133]
	v_mul_f64 v[162:163], v[162:163], v[134:135]
	v_fmac_f64_e32 v[162:163], v[164:165], v[160:161]
	v_add_f64 v[126:127], v[126:127], -v[162:163]
	ds_read2_b64 v[162:165], v226 offset0:16 offset1:17
	v_add_f64 v[124:125], v[124:125], -v[132:133]
	;; [unrolled: 8-line block ×33, first 2 shown]
	s_waitcnt lgkmcnt(0)
	v_mul_f64 v[132:133], v[164:165], v[134:135]
	v_fma_f64 v[132:133], v[162:163], v[160:161], -v[132:133]
	v_mul_f64 v[162:163], v[162:163], v[134:135]
	v_fmac_f64_e32 v[162:163], v[164:165], v[160:161]
	v_add_f64 v[156:157], v[156:157], -v[132:133]
	v_add_f64 v[158:159], v[158:159], -v[162:163]
	v_mov_b64_e32 v[132:133], v[160:161]
.LBB79_55:
	s_or_b64 exec, exec, s[2:3]
	v_cmp_eq_u32_e32 vcc, 6, v224
	s_waitcnt vmcnt(63) expcnt(7) lgkmcnt(15)
	s_barrier
	s_and_saveexec_b64 s[4:5], vcc
	s_cbranch_execz .LBB79_62
; %bb.56:
	ds_write2_b64 v225, v[128:129], v[130:131] offset1:1
	ds_write2_b64 v226, v[124:125], v[126:127] offset0:14 offset1:15
	ds_write2_b64 v226, v[120:121], v[122:123] offset0:16 offset1:17
	s_waitcnt vmcnt(62)
	ds_write2_b64 v226, v[116:117], v[118:119] offset0:18 offset1:19
	s_waitcnt vmcnt(61)
	;; [unrolled: 2-line block ×29, first 2 shown]
	ds_write2_b64 v226, v[4:5], v[6:7] offset0:74 offset1:75
	ds_write2_b64 v226, v[0:1], v[2:3] offset0:76 offset1:77
	s_waitcnt vmcnt(14)
	ds_write2_b64 v226, v[156:157], v[158:159] offset0:78 offset1:79
	ds_read2_b64 v[160:163], v225 offset1:1
	s_waitcnt lgkmcnt(0)
	v_cmp_neq_f64_e32 vcc, 0, v[160:161]
	v_cmp_neq_f64_e64 s[2:3], 0, v[162:163]
	s_or_b64 s[2:3], vcc, s[2:3]
	s_and_b64 exec, exec, s[2:3]
	s_cbranch_execz .LBB79_62
; %bb.57:
	v_cmp_ngt_f64_e64 s[2:3], |v[160:161]|, |v[162:163]|
                                        ; implicit-def: $vgpr164_vgpr165
	s_and_saveexec_b64 s[10:11], s[2:3]
	s_xor_b64 s[2:3], exec, s[10:11]
                                        ; implicit-def: $vgpr166_vgpr167
	s_cbranch_execz .LBB79_59
; %bb.58:
	v_div_scale_f64 v[164:165], s[10:11], v[162:163], v[162:163], v[160:161]
	v_rcp_f64_e32 v[166:167], v[164:165]
	v_div_scale_f64 v[168:169], vcc, v[160:161], v[162:163], v[160:161]
	v_fma_f64 v[170:171], -v[164:165], v[166:167], 1.0
	v_fmac_f64_e32 v[166:167], v[166:167], v[170:171]
	v_fma_f64 v[170:171], -v[164:165], v[166:167], 1.0
	v_fmac_f64_e32 v[166:167], v[166:167], v[170:171]
	v_mul_f64 v[170:171], v[168:169], v[166:167]
	v_fma_f64 v[164:165], -v[164:165], v[170:171], v[168:169]
	v_div_fmas_f64 v[164:165], v[164:165], v[166:167], v[170:171]
	v_div_fixup_f64 v[164:165], v[164:165], v[162:163], v[160:161]
	v_fmac_f64_e32 v[162:163], v[160:161], v[164:165]
	v_div_scale_f64 v[160:161], s[10:11], v[162:163], v[162:163], 1.0
	v_rcp_f64_e32 v[166:167], v[160:161]
	s_nop 0
	v_fma_f64 v[168:169], -v[160:161], v[166:167], 1.0
	v_fmac_f64_e32 v[166:167], v[166:167], v[168:169]
	v_fma_f64 v[168:169], -v[160:161], v[166:167], 1.0
	v_fmac_f64_e32 v[166:167], v[166:167], v[168:169]
	v_div_scale_f64 v[168:169], vcc, 1.0, v[162:163], 1.0
	v_mul_f64 v[170:171], v[168:169], v[166:167]
	v_fma_f64 v[160:161], -v[160:161], v[170:171], v[168:169]
	s_nop 1
	v_div_fmas_f64 v[160:161], v[160:161], v[166:167], v[170:171]
	v_div_fixup_f64 v[166:167], v[160:161], v[162:163], 1.0
	v_mul_f64 v[164:165], v[164:165], v[166:167]
	v_xor_b32_e32 v167, 0x80000000, v167
                                        ; implicit-def: $vgpr160_vgpr161
.LBB79_59:
	s_andn2_saveexec_b64 s[2:3], s[2:3]
	s_cbranch_execz .LBB79_61
; %bb.60:
	v_div_scale_f64 v[164:165], s[10:11], v[160:161], v[160:161], v[162:163]
	v_rcp_f64_e32 v[166:167], v[164:165]
	v_div_scale_f64 v[168:169], vcc, v[162:163], v[160:161], v[162:163]
	v_fma_f64 v[170:171], -v[164:165], v[166:167], 1.0
	v_fmac_f64_e32 v[166:167], v[166:167], v[170:171]
	v_fma_f64 v[170:171], -v[164:165], v[166:167], 1.0
	v_fmac_f64_e32 v[166:167], v[166:167], v[170:171]
	v_mul_f64 v[170:171], v[168:169], v[166:167]
	v_fma_f64 v[164:165], -v[164:165], v[170:171], v[168:169]
	v_div_fmas_f64 v[164:165], v[164:165], v[166:167], v[170:171]
	v_div_fixup_f64 v[166:167], v[164:165], v[160:161], v[162:163]
	v_fmac_f64_e32 v[160:161], v[162:163], v[166:167]
	v_div_scale_f64 v[162:163], s[10:11], v[160:161], v[160:161], 1.0
	v_rcp_f64_e32 v[164:165], v[162:163]
	s_nop 0
	v_fma_f64 v[168:169], -v[162:163], v[164:165], 1.0
	v_fmac_f64_e32 v[164:165], v[164:165], v[168:169]
	v_fma_f64 v[168:169], -v[162:163], v[164:165], 1.0
	v_fmac_f64_e32 v[164:165], v[164:165], v[168:169]
	v_div_scale_f64 v[168:169], vcc, 1.0, v[160:161], 1.0
	v_mul_f64 v[170:171], v[168:169], v[164:165]
	v_fma_f64 v[162:163], -v[162:163], v[170:171], v[168:169]
	s_nop 1
	v_div_fmas_f64 v[162:163], v[162:163], v[164:165], v[170:171]
	v_div_fixup_f64 v[164:165], v[162:163], v[160:161], 1.0
	v_mul_f64 v[166:167], v[166:167], -v[164:165]
.LBB79_61:
	s_or_b64 exec, exec, s[2:3]
	ds_write2_b64 v225, v[164:165], v[166:167] offset1:1
.LBB79_62:
	s_or_b64 exec, exec, s[4:5]
	s_waitcnt lgkmcnt(0)
	s_barrier
	ds_read2_b64 v[160:163], v225 offset1:1
	v_cmp_lt_u32_e32 vcc, 6, v224
	s_waitcnt lgkmcnt(0)
	scratch_store_dwordx4 off, v[160:163], off offset:328 ; 16-byte Folded Spill
	s_and_saveexec_b64 s[2:3], vcc
	s_cbranch_execz .LBB79_64
; %bb.63:
	scratch_load_dwordx4 v[162:165], off, off offset:328 ; 16-byte Folded Reload
	s_waitcnt vmcnt(0)
	v_mul_f64 v[160:161], v[164:165], v[130:131]
	v_mul_f64 v[130:131], v[162:163], v[130:131]
	v_fma_f64 v[160:161], v[162:163], v[128:129], -v[160:161]
	v_fmac_f64_e32 v[130:131], v[164:165], v[128:129]
	ds_read2_b64 v[162:165], v226 offset0:14 offset1:15
	s_waitcnt lgkmcnt(0)
	v_mul_f64 v[128:129], v[164:165], v[130:131]
	v_fma_f64 v[128:129], v[162:163], v[160:161], -v[128:129]
	v_mul_f64 v[162:163], v[162:163], v[130:131]
	v_fmac_f64_e32 v[162:163], v[164:165], v[160:161]
	v_add_f64 v[126:127], v[126:127], -v[162:163]
	ds_read2_b64 v[162:165], v226 offset0:16 offset1:17
	v_add_f64 v[124:125], v[124:125], -v[128:129]
	s_waitcnt lgkmcnt(0)
	v_mul_f64 v[128:129], v[164:165], v[130:131]
	v_fma_f64 v[128:129], v[162:163], v[160:161], -v[128:129]
	v_mul_f64 v[162:163], v[162:163], v[130:131]
	v_fmac_f64_e32 v[162:163], v[164:165], v[160:161]
	v_add_f64 v[122:123], v[122:123], -v[162:163]
	ds_read2_b64 v[162:165], v226 offset0:18 offset1:19
	v_add_f64 v[120:121], v[120:121], -v[128:129]
	;; [unrolled: 8-line block ×32, first 2 shown]
	s_waitcnt lgkmcnt(0)
	v_mul_f64 v[128:129], v[164:165], v[130:131]
	v_fma_f64 v[128:129], v[162:163], v[160:161], -v[128:129]
	v_mul_f64 v[162:163], v[162:163], v[130:131]
	v_fmac_f64_e32 v[162:163], v[164:165], v[160:161]
	v_add_f64 v[156:157], v[156:157], -v[128:129]
	v_add_f64 v[158:159], v[158:159], -v[162:163]
	v_mov_b64_e32 v[128:129], v[160:161]
.LBB79_64:
	s_or_b64 exec, exec, s[2:3]
	v_cmp_eq_u32_e32 vcc, 7, v224
	s_waitcnt vmcnt(63) expcnt(7) lgkmcnt(15)
	s_barrier
	s_and_saveexec_b64 s[4:5], vcc
	s_cbranch_execz .LBB79_71
; %bb.65:
	ds_write2_b64 v225, v[124:125], v[126:127] offset1:1
	ds_write2_b64 v226, v[120:121], v[122:123] offset0:16 offset1:17
	ds_write2_b64 v226, v[116:117], v[118:119] offset0:18 offset1:19
	s_waitcnt vmcnt(62)
	ds_write2_b64 v226, v[112:113], v[114:115] offset0:20 offset1:21
	s_waitcnt vmcnt(61)
	;; [unrolled: 2-line block ×28, first 2 shown]
	ds_write2_b64 v226, v[4:5], v[6:7] offset0:74 offset1:75
	ds_write2_b64 v226, v[0:1], v[2:3] offset0:76 offset1:77
	s_waitcnt vmcnt(15)
	ds_write2_b64 v226, v[156:157], v[158:159] offset0:78 offset1:79
	ds_read2_b64 v[160:163], v225 offset1:1
	s_waitcnt lgkmcnt(0)
	v_cmp_neq_f64_e32 vcc, 0, v[160:161]
	v_cmp_neq_f64_e64 s[2:3], 0, v[162:163]
	s_or_b64 s[2:3], vcc, s[2:3]
	s_and_b64 exec, exec, s[2:3]
	s_cbranch_execz .LBB79_71
; %bb.66:
	v_cmp_ngt_f64_e64 s[2:3], |v[160:161]|, |v[162:163]|
                                        ; implicit-def: $vgpr164_vgpr165
	s_and_saveexec_b64 s[10:11], s[2:3]
	s_xor_b64 s[2:3], exec, s[10:11]
                                        ; implicit-def: $vgpr166_vgpr167
	s_cbranch_execz .LBB79_68
; %bb.67:
	v_div_scale_f64 v[164:165], s[10:11], v[162:163], v[162:163], v[160:161]
	v_rcp_f64_e32 v[166:167], v[164:165]
	v_div_scale_f64 v[168:169], vcc, v[160:161], v[162:163], v[160:161]
	v_fma_f64 v[170:171], -v[164:165], v[166:167], 1.0
	v_fmac_f64_e32 v[166:167], v[166:167], v[170:171]
	v_fma_f64 v[170:171], -v[164:165], v[166:167], 1.0
	v_fmac_f64_e32 v[166:167], v[166:167], v[170:171]
	v_mul_f64 v[170:171], v[168:169], v[166:167]
	v_fma_f64 v[164:165], -v[164:165], v[170:171], v[168:169]
	v_div_fmas_f64 v[164:165], v[164:165], v[166:167], v[170:171]
	v_div_fixup_f64 v[164:165], v[164:165], v[162:163], v[160:161]
	v_fmac_f64_e32 v[162:163], v[160:161], v[164:165]
	v_div_scale_f64 v[160:161], s[10:11], v[162:163], v[162:163], 1.0
	v_rcp_f64_e32 v[166:167], v[160:161]
	s_nop 0
	v_fma_f64 v[168:169], -v[160:161], v[166:167], 1.0
	v_fmac_f64_e32 v[166:167], v[166:167], v[168:169]
	v_fma_f64 v[168:169], -v[160:161], v[166:167], 1.0
	v_fmac_f64_e32 v[166:167], v[166:167], v[168:169]
	v_div_scale_f64 v[168:169], vcc, 1.0, v[162:163], 1.0
	v_mul_f64 v[170:171], v[168:169], v[166:167]
	v_fma_f64 v[160:161], -v[160:161], v[170:171], v[168:169]
	s_nop 1
	v_div_fmas_f64 v[160:161], v[160:161], v[166:167], v[170:171]
	v_div_fixup_f64 v[166:167], v[160:161], v[162:163], 1.0
	v_mul_f64 v[164:165], v[164:165], v[166:167]
	v_xor_b32_e32 v167, 0x80000000, v167
                                        ; implicit-def: $vgpr160_vgpr161
.LBB79_68:
	s_andn2_saveexec_b64 s[2:3], s[2:3]
	s_cbranch_execz .LBB79_70
; %bb.69:
	v_div_scale_f64 v[164:165], s[10:11], v[160:161], v[160:161], v[162:163]
	v_rcp_f64_e32 v[166:167], v[164:165]
	v_div_scale_f64 v[168:169], vcc, v[162:163], v[160:161], v[162:163]
	v_fma_f64 v[170:171], -v[164:165], v[166:167], 1.0
	v_fmac_f64_e32 v[166:167], v[166:167], v[170:171]
	v_fma_f64 v[170:171], -v[164:165], v[166:167], 1.0
	v_fmac_f64_e32 v[166:167], v[166:167], v[170:171]
	v_mul_f64 v[170:171], v[168:169], v[166:167]
	v_fma_f64 v[164:165], -v[164:165], v[170:171], v[168:169]
	v_div_fmas_f64 v[164:165], v[164:165], v[166:167], v[170:171]
	v_div_fixup_f64 v[166:167], v[164:165], v[160:161], v[162:163]
	v_fmac_f64_e32 v[160:161], v[162:163], v[166:167]
	v_div_scale_f64 v[162:163], s[10:11], v[160:161], v[160:161], 1.0
	v_rcp_f64_e32 v[164:165], v[162:163]
	s_nop 0
	v_fma_f64 v[168:169], -v[162:163], v[164:165], 1.0
	v_fmac_f64_e32 v[164:165], v[164:165], v[168:169]
	v_fma_f64 v[168:169], -v[162:163], v[164:165], 1.0
	v_fmac_f64_e32 v[164:165], v[164:165], v[168:169]
	v_div_scale_f64 v[168:169], vcc, 1.0, v[160:161], 1.0
	v_mul_f64 v[170:171], v[168:169], v[164:165]
	v_fma_f64 v[162:163], -v[162:163], v[170:171], v[168:169]
	s_nop 1
	v_div_fmas_f64 v[162:163], v[162:163], v[164:165], v[170:171]
	v_div_fixup_f64 v[164:165], v[162:163], v[160:161], 1.0
	v_mul_f64 v[166:167], v[166:167], -v[164:165]
.LBB79_70:
	s_or_b64 exec, exec, s[2:3]
	ds_write2_b64 v225, v[164:165], v[166:167] offset1:1
.LBB79_71:
	s_or_b64 exec, exec, s[4:5]
	s_waitcnt lgkmcnt(0)
	s_barrier
	ds_read2_b64 v[160:163], v225 offset1:1
	v_cmp_lt_u32_e32 vcc, 7, v224
	s_waitcnt lgkmcnt(0)
	scratch_store_dwordx4 off, v[160:163], off offset:344 ; 16-byte Folded Spill
	s_and_saveexec_b64 s[2:3], vcc
	s_cbranch_execz .LBB79_73
; %bb.72:
	scratch_load_dwordx4 v[162:165], off, off offset:344 ; 16-byte Folded Reload
	s_waitcnt vmcnt(0)
	v_mul_f64 v[160:161], v[164:165], v[126:127]
	v_mul_f64 v[126:127], v[162:163], v[126:127]
	v_fma_f64 v[160:161], v[162:163], v[124:125], -v[160:161]
	v_fmac_f64_e32 v[126:127], v[164:165], v[124:125]
	ds_read2_b64 v[162:165], v226 offset0:16 offset1:17
	s_waitcnt lgkmcnt(0)
	v_mul_f64 v[124:125], v[164:165], v[126:127]
	v_fma_f64 v[124:125], v[162:163], v[160:161], -v[124:125]
	v_mul_f64 v[162:163], v[162:163], v[126:127]
	v_fmac_f64_e32 v[162:163], v[164:165], v[160:161]
	v_add_f64 v[122:123], v[122:123], -v[162:163]
	ds_read2_b64 v[162:165], v226 offset0:18 offset1:19
	v_add_f64 v[120:121], v[120:121], -v[124:125]
	s_waitcnt lgkmcnt(0)
	v_mul_f64 v[124:125], v[164:165], v[126:127]
	v_fma_f64 v[124:125], v[162:163], v[160:161], -v[124:125]
	v_mul_f64 v[162:163], v[162:163], v[126:127]
	v_fmac_f64_e32 v[162:163], v[164:165], v[160:161]
	v_add_f64 v[118:119], v[118:119], -v[162:163]
	ds_read2_b64 v[162:165], v226 offset0:20 offset1:21
	v_add_f64 v[116:117], v[116:117], -v[124:125]
	;; [unrolled: 8-line block ×31, first 2 shown]
	s_waitcnt lgkmcnt(0)
	v_mul_f64 v[124:125], v[164:165], v[126:127]
	v_fma_f64 v[124:125], v[162:163], v[160:161], -v[124:125]
	v_mul_f64 v[162:163], v[162:163], v[126:127]
	v_fmac_f64_e32 v[162:163], v[164:165], v[160:161]
	v_add_f64 v[156:157], v[156:157], -v[124:125]
	v_add_f64 v[158:159], v[158:159], -v[162:163]
	v_mov_b64_e32 v[124:125], v[160:161]
.LBB79_73:
	s_or_b64 exec, exec, s[2:3]
	v_cmp_eq_u32_e32 vcc, 8, v224
	s_waitcnt vmcnt(63) expcnt(7) lgkmcnt(15)
	s_barrier
	s_and_saveexec_b64 s[4:5], vcc
	s_cbranch_execz .LBB79_80
; %bb.74:
	ds_write2_b64 v225, v[120:121], v[122:123] offset1:1
	ds_write2_b64 v226, v[116:117], v[118:119] offset0:18 offset1:19
	ds_write2_b64 v226, v[112:113], v[114:115] offset0:20 offset1:21
	s_waitcnt vmcnt(62)
	ds_write2_b64 v226, v[108:109], v[110:111] offset0:22 offset1:23
	s_waitcnt vmcnt(61)
	;; [unrolled: 2-line block ×27, first 2 shown]
	ds_write2_b64 v226, v[4:5], v[6:7] offset0:74 offset1:75
	ds_write2_b64 v226, v[0:1], v[2:3] offset0:76 offset1:77
	s_waitcnt vmcnt(16)
	ds_write2_b64 v226, v[156:157], v[158:159] offset0:78 offset1:79
	ds_read2_b64 v[160:163], v225 offset1:1
	s_waitcnt lgkmcnt(0)
	v_cmp_neq_f64_e32 vcc, 0, v[160:161]
	v_cmp_neq_f64_e64 s[2:3], 0, v[162:163]
	s_or_b64 s[2:3], vcc, s[2:3]
	s_and_b64 exec, exec, s[2:3]
	s_cbranch_execz .LBB79_80
; %bb.75:
	v_cmp_ngt_f64_e64 s[2:3], |v[160:161]|, |v[162:163]|
                                        ; implicit-def: $vgpr164_vgpr165
	s_and_saveexec_b64 s[10:11], s[2:3]
	s_xor_b64 s[2:3], exec, s[10:11]
                                        ; implicit-def: $vgpr166_vgpr167
	s_cbranch_execz .LBB79_77
; %bb.76:
	v_div_scale_f64 v[164:165], s[10:11], v[162:163], v[162:163], v[160:161]
	v_rcp_f64_e32 v[166:167], v[164:165]
	v_div_scale_f64 v[168:169], vcc, v[160:161], v[162:163], v[160:161]
	v_fma_f64 v[170:171], -v[164:165], v[166:167], 1.0
	v_fmac_f64_e32 v[166:167], v[166:167], v[170:171]
	v_fma_f64 v[170:171], -v[164:165], v[166:167], 1.0
	v_fmac_f64_e32 v[166:167], v[166:167], v[170:171]
	v_mul_f64 v[170:171], v[168:169], v[166:167]
	v_fma_f64 v[164:165], -v[164:165], v[170:171], v[168:169]
	v_div_fmas_f64 v[164:165], v[164:165], v[166:167], v[170:171]
	v_div_fixup_f64 v[164:165], v[164:165], v[162:163], v[160:161]
	v_fmac_f64_e32 v[162:163], v[160:161], v[164:165]
	v_div_scale_f64 v[160:161], s[10:11], v[162:163], v[162:163], 1.0
	v_rcp_f64_e32 v[166:167], v[160:161]
	s_nop 0
	v_fma_f64 v[168:169], -v[160:161], v[166:167], 1.0
	v_fmac_f64_e32 v[166:167], v[166:167], v[168:169]
	v_fma_f64 v[168:169], -v[160:161], v[166:167], 1.0
	v_fmac_f64_e32 v[166:167], v[166:167], v[168:169]
	v_div_scale_f64 v[168:169], vcc, 1.0, v[162:163], 1.0
	v_mul_f64 v[170:171], v[168:169], v[166:167]
	v_fma_f64 v[160:161], -v[160:161], v[170:171], v[168:169]
	s_nop 1
	v_div_fmas_f64 v[160:161], v[160:161], v[166:167], v[170:171]
	v_div_fixup_f64 v[166:167], v[160:161], v[162:163], 1.0
	v_mul_f64 v[164:165], v[164:165], v[166:167]
	v_xor_b32_e32 v167, 0x80000000, v167
                                        ; implicit-def: $vgpr160_vgpr161
.LBB79_77:
	s_andn2_saveexec_b64 s[2:3], s[2:3]
	s_cbranch_execz .LBB79_79
; %bb.78:
	v_div_scale_f64 v[164:165], s[10:11], v[160:161], v[160:161], v[162:163]
	v_rcp_f64_e32 v[166:167], v[164:165]
	v_div_scale_f64 v[168:169], vcc, v[162:163], v[160:161], v[162:163]
	v_fma_f64 v[170:171], -v[164:165], v[166:167], 1.0
	v_fmac_f64_e32 v[166:167], v[166:167], v[170:171]
	v_fma_f64 v[170:171], -v[164:165], v[166:167], 1.0
	v_fmac_f64_e32 v[166:167], v[166:167], v[170:171]
	v_mul_f64 v[170:171], v[168:169], v[166:167]
	v_fma_f64 v[164:165], -v[164:165], v[170:171], v[168:169]
	v_div_fmas_f64 v[164:165], v[164:165], v[166:167], v[170:171]
	v_div_fixup_f64 v[166:167], v[164:165], v[160:161], v[162:163]
	v_fmac_f64_e32 v[160:161], v[162:163], v[166:167]
	v_div_scale_f64 v[162:163], s[10:11], v[160:161], v[160:161], 1.0
	v_rcp_f64_e32 v[164:165], v[162:163]
	s_nop 0
	v_fma_f64 v[168:169], -v[162:163], v[164:165], 1.0
	v_fmac_f64_e32 v[164:165], v[164:165], v[168:169]
	v_fma_f64 v[168:169], -v[162:163], v[164:165], 1.0
	v_fmac_f64_e32 v[164:165], v[164:165], v[168:169]
	v_div_scale_f64 v[168:169], vcc, 1.0, v[160:161], 1.0
	v_mul_f64 v[170:171], v[168:169], v[164:165]
	v_fma_f64 v[162:163], -v[162:163], v[170:171], v[168:169]
	s_nop 1
	v_div_fmas_f64 v[162:163], v[162:163], v[164:165], v[170:171]
	v_div_fixup_f64 v[164:165], v[162:163], v[160:161], 1.0
	v_mul_f64 v[166:167], v[166:167], -v[164:165]
.LBB79_79:
	s_or_b64 exec, exec, s[2:3]
	ds_write2_b64 v225, v[164:165], v[166:167] offset1:1
.LBB79_80:
	s_or_b64 exec, exec, s[4:5]
	s_waitcnt lgkmcnt(0)
	s_barrier
	ds_read2_b64 v[160:163], v225 offset1:1
	v_cmp_lt_u32_e32 vcc, 8, v224
	s_waitcnt lgkmcnt(0)
	scratch_store_dwordx4 off, v[160:163], off offset:360 ; 16-byte Folded Spill
	s_and_saveexec_b64 s[2:3], vcc
	s_cbranch_execz .LBB79_82
; %bb.81:
	scratch_load_dwordx4 v[162:165], off, off offset:360 ; 16-byte Folded Reload
	s_waitcnt vmcnt(0)
	v_mul_f64 v[160:161], v[164:165], v[122:123]
	v_mul_f64 v[122:123], v[162:163], v[122:123]
	v_fma_f64 v[160:161], v[162:163], v[120:121], -v[160:161]
	v_fmac_f64_e32 v[122:123], v[164:165], v[120:121]
	ds_read2_b64 v[162:165], v226 offset0:18 offset1:19
	s_waitcnt lgkmcnt(0)
	v_mul_f64 v[120:121], v[164:165], v[122:123]
	v_fma_f64 v[120:121], v[162:163], v[160:161], -v[120:121]
	v_mul_f64 v[162:163], v[162:163], v[122:123]
	v_fmac_f64_e32 v[162:163], v[164:165], v[160:161]
	v_add_f64 v[118:119], v[118:119], -v[162:163]
	ds_read2_b64 v[162:165], v226 offset0:20 offset1:21
	v_add_f64 v[116:117], v[116:117], -v[120:121]
	s_waitcnt lgkmcnt(0)
	v_mul_f64 v[120:121], v[164:165], v[122:123]
	v_fma_f64 v[120:121], v[162:163], v[160:161], -v[120:121]
	v_mul_f64 v[162:163], v[162:163], v[122:123]
	v_fmac_f64_e32 v[162:163], v[164:165], v[160:161]
	v_add_f64 v[114:115], v[114:115], -v[162:163]
	ds_read2_b64 v[162:165], v226 offset0:22 offset1:23
	v_add_f64 v[112:113], v[112:113], -v[120:121]
	;; [unrolled: 8-line block ×30, first 2 shown]
	s_waitcnt lgkmcnt(0)
	v_mul_f64 v[120:121], v[164:165], v[122:123]
	v_fma_f64 v[120:121], v[162:163], v[160:161], -v[120:121]
	v_mul_f64 v[162:163], v[162:163], v[122:123]
	v_fmac_f64_e32 v[162:163], v[164:165], v[160:161]
	v_add_f64 v[156:157], v[156:157], -v[120:121]
	v_add_f64 v[158:159], v[158:159], -v[162:163]
	v_mov_b64_e32 v[120:121], v[160:161]
.LBB79_82:
	s_or_b64 exec, exec, s[2:3]
	v_cmp_eq_u32_e32 vcc, 9, v224
	s_waitcnt vmcnt(63) expcnt(7) lgkmcnt(15)
	s_barrier
	s_and_saveexec_b64 s[4:5], vcc
	s_cbranch_execz .LBB79_89
; %bb.83:
	ds_write2_b64 v225, v[116:117], v[118:119] offset1:1
	ds_write2_b64 v226, v[112:113], v[114:115] offset0:20 offset1:21
	ds_write2_b64 v226, v[108:109], v[110:111] offset0:22 offset1:23
	s_waitcnt vmcnt(62)
	ds_write2_b64 v226, v[104:105], v[106:107] offset0:24 offset1:25
	s_waitcnt vmcnt(61)
	;; [unrolled: 2-line block ×26, first 2 shown]
	ds_write2_b64 v226, v[4:5], v[6:7] offset0:74 offset1:75
	ds_write2_b64 v226, v[0:1], v[2:3] offset0:76 offset1:77
	s_waitcnt vmcnt(17)
	ds_write2_b64 v226, v[156:157], v[158:159] offset0:78 offset1:79
	ds_read2_b64 v[160:163], v225 offset1:1
	s_waitcnt lgkmcnt(0)
	v_cmp_neq_f64_e32 vcc, 0, v[160:161]
	v_cmp_neq_f64_e64 s[2:3], 0, v[162:163]
	s_or_b64 s[2:3], vcc, s[2:3]
	s_and_b64 exec, exec, s[2:3]
	s_cbranch_execz .LBB79_89
; %bb.84:
	v_cmp_ngt_f64_e64 s[2:3], |v[160:161]|, |v[162:163]|
                                        ; implicit-def: $vgpr164_vgpr165
	s_and_saveexec_b64 s[10:11], s[2:3]
	s_xor_b64 s[2:3], exec, s[10:11]
                                        ; implicit-def: $vgpr166_vgpr167
	s_cbranch_execz .LBB79_86
; %bb.85:
	v_div_scale_f64 v[164:165], s[10:11], v[162:163], v[162:163], v[160:161]
	v_rcp_f64_e32 v[166:167], v[164:165]
	v_div_scale_f64 v[168:169], vcc, v[160:161], v[162:163], v[160:161]
	v_fma_f64 v[170:171], -v[164:165], v[166:167], 1.0
	v_fmac_f64_e32 v[166:167], v[166:167], v[170:171]
	v_fma_f64 v[170:171], -v[164:165], v[166:167], 1.0
	v_fmac_f64_e32 v[166:167], v[166:167], v[170:171]
	v_mul_f64 v[170:171], v[168:169], v[166:167]
	v_fma_f64 v[164:165], -v[164:165], v[170:171], v[168:169]
	v_div_fmas_f64 v[164:165], v[164:165], v[166:167], v[170:171]
	v_div_fixup_f64 v[164:165], v[164:165], v[162:163], v[160:161]
	v_fmac_f64_e32 v[162:163], v[160:161], v[164:165]
	v_div_scale_f64 v[160:161], s[10:11], v[162:163], v[162:163], 1.0
	v_rcp_f64_e32 v[166:167], v[160:161]
	s_nop 0
	v_fma_f64 v[168:169], -v[160:161], v[166:167], 1.0
	v_fmac_f64_e32 v[166:167], v[166:167], v[168:169]
	v_fma_f64 v[168:169], -v[160:161], v[166:167], 1.0
	v_fmac_f64_e32 v[166:167], v[166:167], v[168:169]
	v_div_scale_f64 v[168:169], vcc, 1.0, v[162:163], 1.0
	v_mul_f64 v[170:171], v[168:169], v[166:167]
	v_fma_f64 v[160:161], -v[160:161], v[170:171], v[168:169]
	s_nop 1
	v_div_fmas_f64 v[160:161], v[160:161], v[166:167], v[170:171]
	v_div_fixup_f64 v[166:167], v[160:161], v[162:163], 1.0
	v_mul_f64 v[164:165], v[164:165], v[166:167]
	v_xor_b32_e32 v167, 0x80000000, v167
                                        ; implicit-def: $vgpr160_vgpr161
.LBB79_86:
	s_andn2_saveexec_b64 s[2:3], s[2:3]
	s_cbranch_execz .LBB79_88
; %bb.87:
	v_div_scale_f64 v[164:165], s[10:11], v[160:161], v[160:161], v[162:163]
	v_rcp_f64_e32 v[166:167], v[164:165]
	v_div_scale_f64 v[168:169], vcc, v[162:163], v[160:161], v[162:163]
	v_fma_f64 v[170:171], -v[164:165], v[166:167], 1.0
	v_fmac_f64_e32 v[166:167], v[166:167], v[170:171]
	v_fma_f64 v[170:171], -v[164:165], v[166:167], 1.0
	v_fmac_f64_e32 v[166:167], v[166:167], v[170:171]
	v_mul_f64 v[170:171], v[168:169], v[166:167]
	v_fma_f64 v[164:165], -v[164:165], v[170:171], v[168:169]
	v_div_fmas_f64 v[164:165], v[164:165], v[166:167], v[170:171]
	v_div_fixup_f64 v[166:167], v[164:165], v[160:161], v[162:163]
	v_fmac_f64_e32 v[160:161], v[162:163], v[166:167]
	v_div_scale_f64 v[162:163], s[10:11], v[160:161], v[160:161], 1.0
	v_rcp_f64_e32 v[164:165], v[162:163]
	s_nop 0
	v_fma_f64 v[168:169], -v[162:163], v[164:165], 1.0
	v_fmac_f64_e32 v[164:165], v[164:165], v[168:169]
	v_fma_f64 v[168:169], -v[162:163], v[164:165], 1.0
	v_fmac_f64_e32 v[164:165], v[164:165], v[168:169]
	v_div_scale_f64 v[168:169], vcc, 1.0, v[160:161], 1.0
	v_mul_f64 v[170:171], v[168:169], v[164:165]
	v_fma_f64 v[162:163], -v[162:163], v[170:171], v[168:169]
	s_nop 1
	v_div_fmas_f64 v[162:163], v[162:163], v[164:165], v[170:171]
	v_div_fixup_f64 v[164:165], v[162:163], v[160:161], 1.0
	v_mul_f64 v[166:167], v[166:167], -v[164:165]
.LBB79_88:
	s_or_b64 exec, exec, s[2:3]
	ds_write2_b64 v225, v[164:165], v[166:167] offset1:1
.LBB79_89:
	s_or_b64 exec, exec, s[4:5]
	s_waitcnt lgkmcnt(0)
	s_barrier
	ds_read2_b64 v[160:163], v225 offset1:1
	v_cmp_lt_u32_e32 vcc, 9, v224
	s_waitcnt lgkmcnt(0)
	scratch_store_dwordx4 off, v[160:163], off offset:376 ; 16-byte Folded Spill
	s_and_saveexec_b64 s[2:3], vcc
	s_cbranch_execz .LBB79_91
; %bb.90:
	scratch_load_dwordx4 v[162:165], off, off offset:376 ; 16-byte Folded Reload
	s_waitcnt vmcnt(0)
	v_mul_f64 v[160:161], v[164:165], v[118:119]
	v_mul_f64 v[118:119], v[162:163], v[118:119]
	v_fma_f64 v[160:161], v[162:163], v[116:117], -v[160:161]
	v_fmac_f64_e32 v[118:119], v[164:165], v[116:117]
	ds_read2_b64 v[162:165], v226 offset0:20 offset1:21
	s_waitcnt lgkmcnt(0)
	v_mul_f64 v[116:117], v[164:165], v[118:119]
	v_fma_f64 v[116:117], v[162:163], v[160:161], -v[116:117]
	v_mul_f64 v[162:163], v[162:163], v[118:119]
	v_fmac_f64_e32 v[162:163], v[164:165], v[160:161]
	v_add_f64 v[114:115], v[114:115], -v[162:163]
	ds_read2_b64 v[162:165], v226 offset0:22 offset1:23
	v_add_f64 v[112:113], v[112:113], -v[116:117]
	s_waitcnt lgkmcnt(0)
	v_mul_f64 v[116:117], v[164:165], v[118:119]
	v_fma_f64 v[116:117], v[162:163], v[160:161], -v[116:117]
	v_mul_f64 v[162:163], v[162:163], v[118:119]
	v_fmac_f64_e32 v[162:163], v[164:165], v[160:161]
	v_add_f64 v[110:111], v[110:111], -v[162:163]
	ds_read2_b64 v[162:165], v226 offset0:24 offset1:25
	v_add_f64 v[108:109], v[108:109], -v[116:117]
	;; [unrolled: 8-line block ×29, first 2 shown]
	s_waitcnt lgkmcnt(0)
	v_mul_f64 v[116:117], v[164:165], v[118:119]
	v_fma_f64 v[116:117], v[162:163], v[160:161], -v[116:117]
	v_mul_f64 v[162:163], v[162:163], v[118:119]
	v_fmac_f64_e32 v[162:163], v[164:165], v[160:161]
	v_add_f64 v[156:157], v[156:157], -v[116:117]
	v_add_f64 v[158:159], v[158:159], -v[162:163]
	v_mov_b64_e32 v[116:117], v[160:161]
.LBB79_91:
	s_or_b64 exec, exec, s[2:3]
	v_cmp_eq_u32_e32 vcc, 10, v224
	s_waitcnt vmcnt(63) expcnt(7) lgkmcnt(15)
	s_barrier
	s_and_saveexec_b64 s[4:5], vcc
	s_cbranch_execz .LBB79_98
; %bb.92:
	ds_write2_b64 v225, v[112:113], v[114:115] offset1:1
	ds_write2_b64 v226, v[108:109], v[110:111] offset0:22 offset1:23
	ds_write2_b64 v226, v[104:105], v[106:107] offset0:24 offset1:25
	s_waitcnt vmcnt(62)
	ds_write2_b64 v226, v[100:101], v[102:103] offset0:26 offset1:27
	s_waitcnt vmcnt(61)
	ds_write2_b64 v226, v[96:97], v[98:99] offset0:28 offset1:29
	s_waitcnt vmcnt(60)
	ds_write2_b64 v226, v[92:93], v[94:95] offset0:30 offset1:31
	s_waitcnt vmcnt(59)
	ds_write2_b64 v226, v[88:89], v[90:91] offset0:32 offset1:33
	s_waitcnt vmcnt(58)
	ds_write2_b64 v226, v[84:85], v[86:87] offset0:34 offset1:35
	s_waitcnt vmcnt(57)
	ds_write2_b64 v226, v[80:81], v[82:83] offset0:36 offset1:37
	s_waitcnt vmcnt(56)
	ds_write2_b64 v226, v[76:77], v[78:79] offset0:38 offset1:39
	s_waitcnt vmcnt(55)
	ds_write2_b64 v226, v[72:73], v[74:75] offset0:40 offset1:41
	s_waitcnt vmcnt(54)
	ds_write2_b64 v226, v[68:69], v[70:71] offset0:42 offset1:43
	s_waitcnt vmcnt(53)
	ds_write2_b64 v226, v[64:65], v[66:67] offset0:44 offset1:45
	s_waitcnt vmcnt(52)
	ds_write2_b64 v226, v[60:61], v[62:63] offset0:46 offset1:47
	s_waitcnt vmcnt(51)
	ds_write2_b64 v226, v[56:57], v[58:59] offset0:48 offset1:49
	s_waitcnt vmcnt(50)
	ds_write2_b64 v226, v[52:53], v[54:55] offset0:50 offset1:51
	s_waitcnt vmcnt(49)
	ds_write2_b64 v226, v[48:49], v[50:51] offset0:52 offset1:53
	s_waitcnt vmcnt(48)
	ds_write2_b64 v226, v[44:45], v[46:47] offset0:54 offset1:55
	s_waitcnt vmcnt(47)
	ds_write2_b64 v226, v[40:41], v[42:43] offset0:56 offset1:57
	s_waitcnt vmcnt(46)
	ds_write2_b64 v226, v[36:37], v[38:39] offset0:58 offset1:59
	s_waitcnt vmcnt(27)
	ds_write2_b64 v226, v[32:33], v[34:35] offset0:60 offset1:61
	s_waitcnt vmcnt(25)
	ds_write2_b64 v226, v[28:29], v[30:31] offset0:62 offset1:63
	s_waitcnt vmcnt(24)
	ds_write2_b64 v226, v[24:25], v[26:27] offset0:64 offset1:65
	s_waitcnt vmcnt(23)
	ds_write2_b64 v226, v[20:21], v[22:23] offset0:66 offset1:67
	s_waitcnt vmcnt(22)
	ds_write2_b64 v226, v[16:17], v[18:19] offset0:68 offset1:69
	s_waitcnt vmcnt(21)
	ds_write2_b64 v226, v[12:13], v[14:15] offset0:70 offset1:71
	s_waitcnt vmcnt(20)
	ds_write2_b64 v226, v[8:9], v[10:11] offset0:72 offset1:73
	s_waitcnt vmcnt(19)
	ds_write2_b64 v226, v[4:5], v[6:7] offset0:74 offset1:75
	ds_write2_b64 v226, v[0:1], v[2:3] offset0:76 offset1:77
	s_waitcnt vmcnt(18)
	ds_write2_b64 v226, v[156:157], v[158:159] offset0:78 offset1:79
	ds_read2_b64 v[160:163], v225 offset1:1
	s_waitcnt lgkmcnt(0)
	v_cmp_neq_f64_e32 vcc, 0, v[160:161]
	v_cmp_neq_f64_e64 s[2:3], 0, v[162:163]
	s_or_b64 s[2:3], vcc, s[2:3]
	s_and_b64 exec, exec, s[2:3]
	s_cbranch_execz .LBB79_98
; %bb.93:
	v_cmp_ngt_f64_e64 s[2:3], |v[160:161]|, |v[162:163]|
                                        ; implicit-def: $vgpr164_vgpr165
	s_and_saveexec_b64 s[10:11], s[2:3]
	s_xor_b64 s[2:3], exec, s[10:11]
                                        ; implicit-def: $vgpr166_vgpr167
	s_cbranch_execz .LBB79_95
; %bb.94:
	v_div_scale_f64 v[164:165], s[10:11], v[162:163], v[162:163], v[160:161]
	v_rcp_f64_e32 v[166:167], v[164:165]
	v_div_scale_f64 v[168:169], vcc, v[160:161], v[162:163], v[160:161]
	v_fma_f64 v[170:171], -v[164:165], v[166:167], 1.0
	v_fmac_f64_e32 v[166:167], v[166:167], v[170:171]
	v_fma_f64 v[170:171], -v[164:165], v[166:167], 1.0
	v_fmac_f64_e32 v[166:167], v[166:167], v[170:171]
	v_mul_f64 v[170:171], v[168:169], v[166:167]
	v_fma_f64 v[164:165], -v[164:165], v[170:171], v[168:169]
	v_div_fmas_f64 v[164:165], v[164:165], v[166:167], v[170:171]
	v_div_fixup_f64 v[164:165], v[164:165], v[162:163], v[160:161]
	v_fmac_f64_e32 v[162:163], v[160:161], v[164:165]
	v_div_scale_f64 v[160:161], s[10:11], v[162:163], v[162:163], 1.0
	v_rcp_f64_e32 v[166:167], v[160:161]
	s_nop 0
	v_fma_f64 v[168:169], -v[160:161], v[166:167], 1.0
	v_fmac_f64_e32 v[166:167], v[166:167], v[168:169]
	v_fma_f64 v[168:169], -v[160:161], v[166:167], 1.0
	v_fmac_f64_e32 v[166:167], v[166:167], v[168:169]
	v_div_scale_f64 v[168:169], vcc, 1.0, v[162:163], 1.0
	v_mul_f64 v[170:171], v[168:169], v[166:167]
	v_fma_f64 v[160:161], -v[160:161], v[170:171], v[168:169]
	s_nop 1
	v_div_fmas_f64 v[160:161], v[160:161], v[166:167], v[170:171]
	v_div_fixup_f64 v[166:167], v[160:161], v[162:163], 1.0
	v_mul_f64 v[164:165], v[164:165], v[166:167]
	v_xor_b32_e32 v167, 0x80000000, v167
                                        ; implicit-def: $vgpr160_vgpr161
.LBB79_95:
	s_andn2_saveexec_b64 s[2:3], s[2:3]
	s_cbranch_execz .LBB79_97
; %bb.96:
	v_div_scale_f64 v[164:165], s[10:11], v[160:161], v[160:161], v[162:163]
	v_rcp_f64_e32 v[166:167], v[164:165]
	v_div_scale_f64 v[168:169], vcc, v[162:163], v[160:161], v[162:163]
	v_fma_f64 v[170:171], -v[164:165], v[166:167], 1.0
	v_fmac_f64_e32 v[166:167], v[166:167], v[170:171]
	v_fma_f64 v[170:171], -v[164:165], v[166:167], 1.0
	v_fmac_f64_e32 v[166:167], v[166:167], v[170:171]
	v_mul_f64 v[170:171], v[168:169], v[166:167]
	v_fma_f64 v[164:165], -v[164:165], v[170:171], v[168:169]
	v_div_fmas_f64 v[164:165], v[164:165], v[166:167], v[170:171]
	v_div_fixup_f64 v[166:167], v[164:165], v[160:161], v[162:163]
	v_fmac_f64_e32 v[160:161], v[162:163], v[166:167]
	v_div_scale_f64 v[162:163], s[10:11], v[160:161], v[160:161], 1.0
	v_rcp_f64_e32 v[164:165], v[162:163]
	s_nop 0
	v_fma_f64 v[168:169], -v[162:163], v[164:165], 1.0
	v_fmac_f64_e32 v[164:165], v[164:165], v[168:169]
	v_fma_f64 v[168:169], -v[162:163], v[164:165], 1.0
	v_fmac_f64_e32 v[164:165], v[164:165], v[168:169]
	v_div_scale_f64 v[168:169], vcc, 1.0, v[160:161], 1.0
	v_mul_f64 v[170:171], v[168:169], v[164:165]
	v_fma_f64 v[162:163], -v[162:163], v[170:171], v[168:169]
	s_nop 1
	v_div_fmas_f64 v[162:163], v[162:163], v[164:165], v[170:171]
	v_div_fixup_f64 v[164:165], v[162:163], v[160:161], 1.0
	v_mul_f64 v[166:167], v[166:167], -v[164:165]
.LBB79_97:
	s_or_b64 exec, exec, s[2:3]
	ds_write2_b64 v225, v[164:165], v[166:167] offset1:1
.LBB79_98:
	s_or_b64 exec, exec, s[4:5]
	s_waitcnt lgkmcnt(0)
	s_barrier
	ds_read2_b64 v[160:163], v225 offset1:1
	v_cmp_lt_u32_e32 vcc, 10, v224
	s_waitcnt lgkmcnt(0)
	scratch_store_dwordx4 off, v[160:163], off offset:392 ; 16-byte Folded Spill
	s_and_saveexec_b64 s[2:3], vcc
	s_cbranch_execz .LBB79_100
; %bb.99:
	scratch_load_dwordx4 v[162:165], off, off offset:392 ; 16-byte Folded Reload
	s_waitcnt vmcnt(0)
	v_mul_f64 v[160:161], v[164:165], v[114:115]
	v_mul_f64 v[114:115], v[162:163], v[114:115]
	v_fma_f64 v[160:161], v[162:163], v[112:113], -v[160:161]
	v_fmac_f64_e32 v[114:115], v[164:165], v[112:113]
	ds_read2_b64 v[162:165], v226 offset0:22 offset1:23
	s_waitcnt lgkmcnt(0)
	v_mul_f64 v[112:113], v[164:165], v[114:115]
	v_fma_f64 v[112:113], v[162:163], v[160:161], -v[112:113]
	v_mul_f64 v[162:163], v[162:163], v[114:115]
	v_fmac_f64_e32 v[162:163], v[164:165], v[160:161]
	v_add_f64 v[110:111], v[110:111], -v[162:163]
	ds_read2_b64 v[162:165], v226 offset0:24 offset1:25
	v_add_f64 v[108:109], v[108:109], -v[112:113]
	s_waitcnt lgkmcnt(0)
	v_mul_f64 v[112:113], v[164:165], v[114:115]
	v_fma_f64 v[112:113], v[162:163], v[160:161], -v[112:113]
	v_mul_f64 v[162:163], v[162:163], v[114:115]
	v_fmac_f64_e32 v[162:163], v[164:165], v[160:161]
	v_add_f64 v[106:107], v[106:107], -v[162:163]
	ds_read2_b64 v[162:165], v226 offset0:26 offset1:27
	v_add_f64 v[104:105], v[104:105], -v[112:113]
	;; [unrolled: 8-line block ×28, first 2 shown]
	s_waitcnt lgkmcnt(0)
	v_mul_f64 v[112:113], v[164:165], v[114:115]
	v_fma_f64 v[112:113], v[162:163], v[160:161], -v[112:113]
	v_mul_f64 v[162:163], v[162:163], v[114:115]
	v_fmac_f64_e32 v[162:163], v[164:165], v[160:161]
	v_add_f64 v[156:157], v[156:157], -v[112:113]
	v_add_f64 v[158:159], v[158:159], -v[162:163]
	v_mov_b64_e32 v[112:113], v[160:161]
.LBB79_100:
	s_or_b64 exec, exec, s[2:3]
	v_cmp_eq_u32_e32 vcc, 11, v224
	s_waitcnt vmcnt(63) expcnt(7) lgkmcnt(15)
	s_barrier
	s_and_saveexec_b64 s[4:5], vcc
	s_cbranch_execz .LBB79_107
; %bb.101:
	ds_write2_b64 v225, v[108:109], v[110:111] offset1:1
	ds_write2_b64 v226, v[104:105], v[106:107] offset0:24 offset1:25
	ds_write2_b64 v226, v[100:101], v[102:103] offset0:26 offset1:27
	s_waitcnt vmcnt(62)
	ds_write2_b64 v226, v[96:97], v[98:99] offset0:28 offset1:29
	s_waitcnt vmcnt(61)
	;; [unrolled: 2-line block ×24, first 2 shown]
	ds_write2_b64 v226, v[4:5], v[6:7] offset0:74 offset1:75
	ds_write2_b64 v226, v[0:1], v[2:3] offset0:76 offset1:77
	s_waitcnt vmcnt(19)
	ds_write2_b64 v226, v[156:157], v[158:159] offset0:78 offset1:79
	ds_read2_b64 v[160:163], v225 offset1:1
	s_waitcnt lgkmcnt(0)
	v_cmp_neq_f64_e32 vcc, 0, v[160:161]
	v_cmp_neq_f64_e64 s[2:3], 0, v[162:163]
	s_or_b64 s[2:3], vcc, s[2:3]
	s_and_b64 exec, exec, s[2:3]
	s_cbranch_execz .LBB79_107
; %bb.102:
	v_cmp_ngt_f64_e64 s[2:3], |v[160:161]|, |v[162:163]|
                                        ; implicit-def: $vgpr164_vgpr165
	s_and_saveexec_b64 s[10:11], s[2:3]
	s_xor_b64 s[2:3], exec, s[10:11]
                                        ; implicit-def: $vgpr166_vgpr167
	s_cbranch_execz .LBB79_104
; %bb.103:
	v_div_scale_f64 v[164:165], s[10:11], v[162:163], v[162:163], v[160:161]
	v_rcp_f64_e32 v[166:167], v[164:165]
	v_div_scale_f64 v[168:169], vcc, v[160:161], v[162:163], v[160:161]
	v_fma_f64 v[170:171], -v[164:165], v[166:167], 1.0
	v_fmac_f64_e32 v[166:167], v[166:167], v[170:171]
	v_fma_f64 v[170:171], -v[164:165], v[166:167], 1.0
	v_fmac_f64_e32 v[166:167], v[166:167], v[170:171]
	v_mul_f64 v[170:171], v[168:169], v[166:167]
	v_fma_f64 v[164:165], -v[164:165], v[170:171], v[168:169]
	v_div_fmas_f64 v[164:165], v[164:165], v[166:167], v[170:171]
	v_div_fixup_f64 v[164:165], v[164:165], v[162:163], v[160:161]
	v_fmac_f64_e32 v[162:163], v[160:161], v[164:165]
	v_div_scale_f64 v[160:161], s[10:11], v[162:163], v[162:163], 1.0
	v_rcp_f64_e32 v[166:167], v[160:161]
	s_nop 0
	v_fma_f64 v[168:169], -v[160:161], v[166:167], 1.0
	v_fmac_f64_e32 v[166:167], v[166:167], v[168:169]
	v_fma_f64 v[168:169], -v[160:161], v[166:167], 1.0
	v_fmac_f64_e32 v[166:167], v[166:167], v[168:169]
	v_div_scale_f64 v[168:169], vcc, 1.0, v[162:163], 1.0
	v_mul_f64 v[170:171], v[168:169], v[166:167]
	v_fma_f64 v[160:161], -v[160:161], v[170:171], v[168:169]
	s_nop 1
	v_div_fmas_f64 v[160:161], v[160:161], v[166:167], v[170:171]
	v_div_fixup_f64 v[166:167], v[160:161], v[162:163], 1.0
	v_mul_f64 v[164:165], v[164:165], v[166:167]
	v_xor_b32_e32 v167, 0x80000000, v167
                                        ; implicit-def: $vgpr160_vgpr161
.LBB79_104:
	s_andn2_saveexec_b64 s[2:3], s[2:3]
	s_cbranch_execz .LBB79_106
; %bb.105:
	v_div_scale_f64 v[164:165], s[10:11], v[160:161], v[160:161], v[162:163]
	v_rcp_f64_e32 v[166:167], v[164:165]
	v_div_scale_f64 v[168:169], vcc, v[162:163], v[160:161], v[162:163]
	v_fma_f64 v[170:171], -v[164:165], v[166:167], 1.0
	v_fmac_f64_e32 v[166:167], v[166:167], v[170:171]
	v_fma_f64 v[170:171], -v[164:165], v[166:167], 1.0
	v_fmac_f64_e32 v[166:167], v[166:167], v[170:171]
	v_mul_f64 v[170:171], v[168:169], v[166:167]
	v_fma_f64 v[164:165], -v[164:165], v[170:171], v[168:169]
	v_div_fmas_f64 v[164:165], v[164:165], v[166:167], v[170:171]
	v_div_fixup_f64 v[166:167], v[164:165], v[160:161], v[162:163]
	v_fmac_f64_e32 v[160:161], v[162:163], v[166:167]
	v_div_scale_f64 v[162:163], s[10:11], v[160:161], v[160:161], 1.0
	v_rcp_f64_e32 v[164:165], v[162:163]
	s_nop 0
	v_fma_f64 v[168:169], -v[162:163], v[164:165], 1.0
	v_fmac_f64_e32 v[164:165], v[164:165], v[168:169]
	v_fma_f64 v[168:169], -v[162:163], v[164:165], 1.0
	v_fmac_f64_e32 v[164:165], v[164:165], v[168:169]
	v_div_scale_f64 v[168:169], vcc, 1.0, v[160:161], 1.0
	v_mul_f64 v[170:171], v[168:169], v[164:165]
	v_fma_f64 v[162:163], -v[162:163], v[170:171], v[168:169]
	s_nop 1
	v_div_fmas_f64 v[162:163], v[162:163], v[164:165], v[170:171]
	v_div_fixup_f64 v[164:165], v[162:163], v[160:161], 1.0
	v_mul_f64 v[166:167], v[166:167], -v[164:165]
.LBB79_106:
	s_or_b64 exec, exec, s[2:3]
	ds_write2_b64 v225, v[164:165], v[166:167] offset1:1
.LBB79_107:
	s_or_b64 exec, exec, s[4:5]
	s_waitcnt lgkmcnt(0)
	s_barrier
	ds_read2_b64 v[160:163], v225 offset1:1
	v_cmp_lt_u32_e32 vcc, 11, v224
	s_waitcnt lgkmcnt(0)
	scratch_store_dwordx4 off, v[160:163], off offset:408 ; 16-byte Folded Spill
	s_and_saveexec_b64 s[2:3], vcc
	s_cbranch_execz .LBB79_109
; %bb.108:
	scratch_load_dwordx4 v[162:165], off, off offset:408 ; 16-byte Folded Reload
	s_waitcnt vmcnt(0)
	v_mul_f64 v[160:161], v[164:165], v[110:111]
	v_mul_f64 v[110:111], v[162:163], v[110:111]
	v_fma_f64 v[160:161], v[162:163], v[108:109], -v[160:161]
	v_fmac_f64_e32 v[110:111], v[164:165], v[108:109]
	ds_read2_b64 v[162:165], v226 offset0:24 offset1:25
	s_waitcnt lgkmcnt(0)
	v_mul_f64 v[108:109], v[164:165], v[110:111]
	v_fma_f64 v[108:109], v[162:163], v[160:161], -v[108:109]
	v_mul_f64 v[162:163], v[162:163], v[110:111]
	v_fmac_f64_e32 v[162:163], v[164:165], v[160:161]
	v_add_f64 v[106:107], v[106:107], -v[162:163]
	ds_read2_b64 v[162:165], v226 offset0:26 offset1:27
	v_add_f64 v[104:105], v[104:105], -v[108:109]
	s_waitcnt lgkmcnt(0)
	v_mul_f64 v[108:109], v[164:165], v[110:111]
	v_fma_f64 v[108:109], v[162:163], v[160:161], -v[108:109]
	v_mul_f64 v[162:163], v[162:163], v[110:111]
	v_fmac_f64_e32 v[162:163], v[164:165], v[160:161]
	v_add_f64 v[102:103], v[102:103], -v[162:163]
	ds_read2_b64 v[162:165], v226 offset0:28 offset1:29
	v_add_f64 v[100:101], v[100:101], -v[108:109]
	;; [unrolled: 8-line block ×27, first 2 shown]
	s_waitcnt lgkmcnt(0)
	v_mul_f64 v[108:109], v[164:165], v[110:111]
	v_fma_f64 v[108:109], v[162:163], v[160:161], -v[108:109]
	v_mul_f64 v[162:163], v[162:163], v[110:111]
	v_fmac_f64_e32 v[162:163], v[164:165], v[160:161]
	v_add_f64 v[156:157], v[156:157], -v[108:109]
	v_add_f64 v[158:159], v[158:159], -v[162:163]
	v_mov_b64_e32 v[108:109], v[160:161]
.LBB79_109:
	s_or_b64 exec, exec, s[2:3]
	v_cmp_eq_u32_e32 vcc, 12, v224
	s_waitcnt vmcnt(63) expcnt(7) lgkmcnt(15)
	s_barrier
	s_and_saveexec_b64 s[4:5], vcc
	s_cbranch_execz .LBB79_116
; %bb.110:
	ds_write2_b64 v225, v[104:105], v[106:107] offset1:1
	ds_write2_b64 v226, v[100:101], v[102:103] offset0:26 offset1:27
	ds_write2_b64 v226, v[96:97], v[98:99] offset0:28 offset1:29
	s_waitcnt vmcnt(62)
	ds_write2_b64 v226, v[92:93], v[94:95] offset0:30 offset1:31
	s_waitcnt vmcnt(61)
	;; [unrolled: 2-line block ×23, first 2 shown]
	ds_write2_b64 v226, v[4:5], v[6:7] offset0:74 offset1:75
	ds_write2_b64 v226, v[0:1], v[2:3] offset0:76 offset1:77
	s_waitcnt vmcnt(20)
	ds_write2_b64 v226, v[156:157], v[158:159] offset0:78 offset1:79
	ds_read2_b64 v[160:163], v225 offset1:1
	s_waitcnt lgkmcnt(0)
	v_cmp_neq_f64_e32 vcc, 0, v[160:161]
	v_cmp_neq_f64_e64 s[2:3], 0, v[162:163]
	s_or_b64 s[2:3], vcc, s[2:3]
	s_and_b64 exec, exec, s[2:3]
	s_cbranch_execz .LBB79_116
; %bb.111:
	v_cmp_ngt_f64_e64 s[2:3], |v[160:161]|, |v[162:163]|
                                        ; implicit-def: $vgpr164_vgpr165
	s_and_saveexec_b64 s[10:11], s[2:3]
	s_xor_b64 s[2:3], exec, s[10:11]
                                        ; implicit-def: $vgpr166_vgpr167
	s_cbranch_execz .LBB79_113
; %bb.112:
	v_div_scale_f64 v[164:165], s[10:11], v[162:163], v[162:163], v[160:161]
	v_rcp_f64_e32 v[166:167], v[164:165]
	v_div_scale_f64 v[168:169], vcc, v[160:161], v[162:163], v[160:161]
	v_fma_f64 v[170:171], -v[164:165], v[166:167], 1.0
	v_fmac_f64_e32 v[166:167], v[166:167], v[170:171]
	v_fma_f64 v[170:171], -v[164:165], v[166:167], 1.0
	v_fmac_f64_e32 v[166:167], v[166:167], v[170:171]
	v_mul_f64 v[170:171], v[168:169], v[166:167]
	v_fma_f64 v[164:165], -v[164:165], v[170:171], v[168:169]
	v_div_fmas_f64 v[164:165], v[164:165], v[166:167], v[170:171]
	v_div_fixup_f64 v[164:165], v[164:165], v[162:163], v[160:161]
	v_fmac_f64_e32 v[162:163], v[160:161], v[164:165]
	v_div_scale_f64 v[160:161], s[10:11], v[162:163], v[162:163], 1.0
	v_rcp_f64_e32 v[166:167], v[160:161]
	s_nop 0
	v_fma_f64 v[168:169], -v[160:161], v[166:167], 1.0
	v_fmac_f64_e32 v[166:167], v[166:167], v[168:169]
	v_fma_f64 v[168:169], -v[160:161], v[166:167], 1.0
	v_fmac_f64_e32 v[166:167], v[166:167], v[168:169]
	v_div_scale_f64 v[168:169], vcc, 1.0, v[162:163], 1.0
	v_mul_f64 v[170:171], v[168:169], v[166:167]
	v_fma_f64 v[160:161], -v[160:161], v[170:171], v[168:169]
	s_nop 1
	v_div_fmas_f64 v[160:161], v[160:161], v[166:167], v[170:171]
	v_div_fixup_f64 v[166:167], v[160:161], v[162:163], 1.0
	v_mul_f64 v[164:165], v[164:165], v[166:167]
	v_xor_b32_e32 v167, 0x80000000, v167
                                        ; implicit-def: $vgpr160_vgpr161
.LBB79_113:
	s_andn2_saveexec_b64 s[2:3], s[2:3]
	s_cbranch_execz .LBB79_115
; %bb.114:
	v_div_scale_f64 v[164:165], s[10:11], v[160:161], v[160:161], v[162:163]
	v_rcp_f64_e32 v[166:167], v[164:165]
	v_div_scale_f64 v[168:169], vcc, v[162:163], v[160:161], v[162:163]
	v_fma_f64 v[170:171], -v[164:165], v[166:167], 1.0
	v_fmac_f64_e32 v[166:167], v[166:167], v[170:171]
	v_fma_f64 v[170:171], -v[164:165], v[166:167], 1.0
	v_fmac_f64_e32 v[166:167], v[166:167], v[170:171]
	v_mul_f64 v[170:171], v[168:169], v[166:167]
	v_fma_f64 v[164:165], -v[164:165], v[170:171], v[168:169]
	v_div_fmas_f64 v[164:165], v[164:165], v[166:167], v[170:171]
	v_div_fixup_f64 v[166:167], v[164:165], v[160:161], v[162:163]
	v_fmac_f64_e32 v[160:161], v[162:163], v[166:167]
	v_div_scale_f64 v[162:163], s[10:11], v[160:161], v[160:161], 1.0
	v_rcp_f64_e32 v[164:165], v[162:163]
	s_nop 0
	v_fma_f64 v[168:169], -v[162:163], v[164:165], 1.0
	v_fmac_f64_e32 v[164:165], v[164:165], v[168:169]
	v_fma_f64 v[168:169], -v[162:163], v[164:165], 1.0
	v_fmac_f64_e32 v[164:165], v[164:165], v[168:169]
	v_div_scale_f64 v[168:169], vcc, 1.0, v[160:161], 1.0
	v_mul_f64 v[170:171], v[168:169], v[164:165]
	v_fma_f64 v[162:163], -v[162:163], v[170:171], v[168:169]
	s_nop 1
	v_div_fmas_f64 v[162:163], v[162:163], v[164:165], v[170:171]
	v_div_fixup_f64 v[164:165], v[162:163], v[160:161], 1.0
	v_mul_f64 v[166:167], v[166:167], -v[164:165]
.LBB79_115:
	s_or_b64 exec, exec, s[2:3]
	ds_write2_b64 v225, v[164:165], v[166:167] offset1:1
.LBB79_116:
	s_or_b64 exec, exec, s[4:5]
	s_waitcnt lgkmcnt(0)
	s_barrier
	ds_read2_b64 v[160:163], v225 offset1:1
	v_cmp_lt_u32_e32 vcc, 12, v224
	s_waitcnt lgkmcnt(0)
	scratch_store_dwordx4 off, v[160:163], off offset:424 ; 16-byte Folded Spill
	s_and_saveexec_b64 s[2:3], vcc
	s_cbranch_execz .LBB79_118
; %bb.117:
	scratch_load_dwordx4 v[162:165], off, off offset:424 ; 16-byte Folded Reload
	s_waitcnt vmcnt(0)
	v_mul_f64 v[160:161], v[164:165], v[106:107]
	v_mul_f64 v[106:107], v[162:163], v[106:107]
	v_fma_f64 v[160:161], v[162:163], v[104:105], -v[160:161]
	v_fmac_f64_e32 v[106:107], v[164:165], v[104:105]
	ds_read2_b64 v[162:165], v226 offset0:26 offset1:27
	s_waitcnt lgkmcnt(0)
	v_mul_f64 v[104:105], v[164:165], v[106:107]
	v_fma_f64 v[104:105], v[162:163], v[160:161], -v[104:105]
	v_mul_f64 v[162:163], v[162:163], v[106:107]
	v_fmac_f64_e32 v[162:163], v[164:165], v[160:161]
	v_add_f64 v[102:103], v[102:103], -v[162:163]
	ds_read2_b64 v[162:165], v226 offset0:28 offset1:29
	v_add_f64 v[100:101], v[100:101], -v[104:105]
	s_waitcnt lgkmcnt(0)
	v_mul_f64 v[104:105], v[164:165], v[106:107]
	v_fma_f64 v[104:105], v[162:163], v[160:161], -v[104:105]
	v_mul_f64 v[162:163], v[162:163], v[106:107]
	v_fmac_f64_e32 v[162:163], v[164:165], v[160:161]
	v_add_f64 v[98:99], v[98:99], -v[162:163]
	ds_read2_b64 v[162:165], v226 offset0:30 offset1:31
	v_add_f64 v[96:97], v[96:97], -v[104:105]
	;; [unrolled: 8-line block ×26, first 2 shown]
	s_waitcnt lgkmcnt(0)
	v_mul_f64 v[104:105], v[164:165], v[106:107]
	v_fma_f64 v[104:105], v[162:163], v[160:161], -v[104:105]
	v_mul_f64 v[162:163], v[162:163], v[106:107]
	v_fmac_f64_e32 v[162:163], v[164:165], v[160:161]
	v_add_f64 v[156:157], v[156:157], -v[104:105]
	v_add_f64 v[158:159], v[158:159], -v[162:163]
	v_mov_b64_e32 v[104:105], v[160:161]
.LBB79_118:
	s_or_b64 exec, exec, s[2:3]
	v_cmp_eq_u32_e32 vcc, 13, v224
	s_waitcnt vmcnt(63) expcnt(7) lgkmcnt(15)
	s_barrier
	s_and_saveexec_b64 s[4:5], vcc
	s_cbranch_execz .LBB79_125
; %bb.119:
	ds_write2_b64 v225, v[100:101], v[102:103] offset1:1
	ds_write2_b64 v226, v[96:97], v[98:99] offset0:28 offset1:29
	ds_write2_b64 v226, v[92:93], v[94:95] offset0:30 offset1:31
	s_waitcnt vmcnt(62)
	ds_write2_b64 v226, v[88:89], v[90:91] offset0:32 offset1:33
	s_waitcnt vmcnt(61)
	;; [unrolled: 2-line block ×22, first 2 shown]
	ds_write2_b64 v226, v[4:5], v[6:7] offset0:74 offset1:75
	ds_write2_b64 v226, v[0:1], v[2:3] offset0:76 offset1:77
	s_waitcnt vmcnt(21)
	ds_write2_b64 v226, v[156:157], v[158:159] offset0:78 offset1:79
	ds_read2_b64 v[160:163], v225 offset1:1
	s_waitcnt lgkmcnt(0)
	v_cmp_neq_f64_e32 vcc, 0, v[160:161]
	v_cmp_neq_f64_e64 s[2:3], 0, v[162:163]
	s_or_b64 s[2:3], vcc, s[2:3]
	s_and_b64 exec, exec, s[2:3]
	s_cbranch_execz .LBB79_125
; %bb.120:
	v_cmp_ngt_f64_e64 s[2:3], |v[160:161]|, |v[162:163]|
                                        ; implicit-def: $vgpr164_vgpr165
	s_and_saveexec_b64 s[10:11], s[2:3]
	s_xor_b64 s[2:3], exec, s[10:11]
                                        ; implicit-def: $vgpr166_vgpr167
	s_cbranch_execz .LBB79_122
; %bb.121:
	v_div_scale_f64 v[164:165], s[10:11], v[162:163], v[162:163], v[160:161]
	v_rcp_f64_e32 v[166:167], v[164:165]
	v_div_scale_f64 v[168:169], vcc, v[160:161], v[162:163], v[160:161]
	v_fma_f64 v[170:171], -v[164:165], v[166:167], 1.0
	v_fmac_f64_e32 v[166:167], v[166:167], v[170:171]
	v_fma_f64 v[170:171], -v[164:165], v[166:167], 1.0
	v_fmac_f64_e32 v[166:167], v[166:167], v[170:171]
	v_mul_f64 v[170:171], v[168:169], v[166:167]
	v_fma_f64 v[164:165], -v[164:165], v[170:171], v[168:169]
	v_div_fmas_f64 v[164:165], v[164:165], v[166:167], v[170:171]
	v_div_fixup_f64 v[164:165], v[164:165], v[162:163], v[160:161]
	v_fmac_f64_e32 v[162:163], v[160:161], v[164:165]
	v_div_scale_f64 v[160:161], s[10:11], v[162:163], v[162:163], 1.0
	v_rcp_f64_e32 v[166:167], v[160:161]
	s_nop 0
	v_fma_f64 v[168:169], -v[160:161], v[166:167], 1.0
	v_fmac_f64_e32 v[166:167], v[166:167], v[168:169]
	v_fma_f64 v[168:169], -v[160:161], v[166:167], 1.0
	v_fmac_f64_e32 v[166:167], v[166:167], v[168:169]
	v_div_scale_f64 v[168:169], vcc, 1.0, v[162:163], 1.0
	v_mul_f64 v[170:171], v[168:169], v[166:167]
	v_fma_f64 v[160:161], -v[160:161], v[170:171], v[168:169]
	s_nop 1
	v_div_fmas_f64 v[160:161], v[160:161], v[166:167], v[170:171]
	v_div_fixup_f64 v[166:167], v[160:161], v[162:163], 1.0
	v_mul_f64 v[164:165], v[164:165], v[166:167]
	v_xor_b32_e32 v167, 0x80000000, v167
                                        ; implicit-def: $vgpr160_vgpr161
.LBB79_122:
	s_andn2_saveexec_b64 s[2:3], s[2:3]
	s_cbranch_execz .LBB79_124
; %bb.123:
	v_div_scale_f64 v[164:165], s[10:11], v[160:161], v[160:161], v[162:163]
	v_rcp_f64_e32 v[166:167], v[164:165]
	v_div_scale_f64 v[168:169], vcc, v[162:163], v[160:161], v[162:163]
	v_fma_f64 v[170:171], -v[164:165], v[166:167], 1.0
	v_fmac_f64_e32 v[166:167], v[166:167], v[170:171]
	v_fma_f64 v[170:171], -v[164:165], v[166:167], 1.0
	v_fmac_f64_e32 v[166:167], v[166:167], v[170:171]
	v_mul_f64 v[170:171], v[168:169], v[166:167]
	v_fma_f64 v[164:165], -v[164:165], v[170:171], v[168:169]
	v_div_fmas_f64 v[164:165], v[164:165], v[166:167], v[170:171]
	v_div_fixup_f64 v[166:167], v[164:165], v[160:161], v[162:163]
	v_fmac_f64_e32 v[160:161], v[162:163], v[166:167]
	v_div_scale_f64 v[162:163], s[10:11], v[160:161], v[160:161], 1.0
	v_rcp_f64_e32 v[164:165], v[162:163]
	s_nop 0
	v_fma_f64 v[168:169], -v[162:163], v[164:165], 1.0
	v_fmac_f64_e32 v[164:165], v[164:165], v[168:169]
	v_fma_f64 v[168:169], -v[162:163], v[164:165], 1.0
	v_fmac_f64_e32 v[164:165], v[164:165], v[168:169]
	v_div_scale_f64 v[168:169], vcc, 1.0, v[160:161], 1.0
	v_mul_f64 v[170:171], v[168:169], v[164:165]
	v_fma_f64 v[162:163], -v[162:163], v[170:171], v[168:169]
	s_nop 1
	v_div_fmas_f64 v[162:163], v[162:163], v[164:165], v[170:171]
	v_div_fixup_f64 v[164:165], v[162:163], v[160:161], 1.0
	v_mul_f64 v[166:167], v[166:167], -v[164:165]
.LBB79_124:
	s_or_b64 exec, exec, s[2:3]
	ds_write2_b64 v225, v[164:165], v[166:167] offset1:1
.LBB79_125:
	s_or_b64 exec, exec, s[4:5]
	s_waitcnt lgkmcnt(0)
	s_barrier
	ds_read2_b64 v[160:163], v225 offset1:1
	v_cmp_lt_u32_e32 vcc, 13, v224
	s_waitcnt lgkmcnt(0)
	scratch_store_dwordx4 off, v[160:163], off offset:440 ; 16-byte Folded Spill
	s_and_saveexec_b64 s[2:3], vcc
	s_cbranch_execz .LBB79_127
; %bb.126:
	scratch_load_dwordx4 v[162:165], off, off offset:440 ; 16-byte Folded Reload
	s_waitcnt vmcnt(0)
	v_mul_f64 v[160:161], v[164:165], v[102:103]
	v_mul_f64 v[102:103], v[162:163], v[102:103]
	v_fma_f64 v[160:161], v[162:163], v[100:101], -v[160:161]
	v_fmac_f64_e32 v[102:103], v[164:165], v[100:101]
	ds_read2_b64 v[162:165], v226 offset0:28 offset1:29
	s_waitcnt lgkmcnt(0)
	v_mul_f64 v[100:101], v[164:165], v[102:103]
	v_fma_f64 v[100:101], v[162:163], v[160:161], -v[100:101]
	v_mul_f64 v[162:163], v[162:163], v[102:103]
	v_fmac_f64_e32 v[162:163], v[164:165], v[160:161]
	v_add_f64 v[98:99], v[98:99], -v[162:163]
	ds_read2_b64 v[162:165], v226 offset0:30 offset1:31
	v_add_f64 v[96:97], v[96:97], -v[100:101]
	s_waitcnt lgkmcnt(0)
	v_mul_f64 v[100:101], v[164:165], v[102:103]
	v_fma_f64 v[100:101], v[162:163], v[160:161], -v[100:101]
	v_mul_f64 v[162:163], v[162:163], v[102:103]
	v_fmac_f64_e32 v[162:163], v[164:165], v[160:161]
	v_add_f64 v[94:95], v[94:95], -v[162:163]
	ds_read2_b64 v[162:165], v226 offset0:32 offset1:33
	v_add_f64 v[92:93], v[92:93], -v[100:101]
	;; [unrolled: 8-line block ×25, first 2 shown]
	s_waitcnt lgkmcnt(0)
	v_mul_f64 v[100:101], v[164:165], v[102:103]
	v_fma_f64 v[100:101], v[162:163], v[160:161], -v[100:101]
	v_mul_f64 v[162:163], v[162:163], v[102:103]
	v_fmac_f64_e32 v[162:163], v[164:165], v[160:161]
	v_add_f64 v[156:157], v[156:157], -v[100:101]
	v_add_f64 v[158:159], v[158:159], -v[162:163]
	v_mov_b64_e32 v[100:101], v[160:161]
.LBB79_127:
	s_or_b64 exec, exec, s[2:3]
	v_cmp_eq_u32_e32 vcc, 14, v224
	s_waitcnt vmcnt(63) expcnt(7) lgkmcnt(15)
	s_barrier
	s_and_saveexec_b64 s[4:5], vcc
	s_cbranch_execz .LBB79_134
; %bb.128:
	ds_write2_b64 v225, v[96:97], v[98:99] offset1:1
	ds_write2_b64 v226, v[92:93], v[94:95] offset0:30 offset1:31
	ds_write2_b64 v226, v[88:89], v[90:91] offset0:32 offset1:33
	s_waitcnt vmcnt(62)
	ds_write2_b64 v226, v[84:85], v[86:87] offset0:34 offset1:35
	s_waitcnt vmcnt(61)
	;; [unrolled: 2-line block ×21, first 2 shown]
	ds_write2_b64 v226, v[4:5], v[6:7] offset0:74 offset1:75
	ds_write2_b64 v226, v[0:1], v[2:3] offset0:76 offset1:77
	s_waitcnt vmcnt(22)
	ds_write2_b64 v226, v[156:157], v[158:159] offset0:78 offset1:79
	ds_read2_b64 v[160:163], v225 offset1:1
	s_waitcnt lgkmcnt(0)
	v_cmp_neq_f64_e32 vcc, 0, v[160:161]
	v_cmp_neq_f64_e64 s[2:3], 0, v[162:163]
	s_or_b64 s[2:3], vcc, s[2:3]
	s_and_b64 exec, exec, s[2:3]
	s_cbranch_execz .LBB79_134
; %bb.129:
	v_cmp_ngt_f64_e64 s[2:3], |v[160:161]|, |v[162:163]|
                                        ; implicit-def: $vgpr164_vgpr165
	s_and_saveexec_b64 s[10:11], s[2:3]
	s_xor_b64 s[2:3], exec, s[10:11]
                                        ; implicit-def: $vgpr166_vgpr167
	s_cbranch_execz .LBB79_131
; %bb.130:
	v_div_scale_f64 v[164:165], s[10:11], v[162:163], v[162:163], v[160:161]
	v_rcp_f64_e32 v[166:167], v[164:165]
	v_div_scale_f64 v[168:169], vcc, v[160:161], v[162:163], v[160:161]
	v_fma_f64 v[170:171], -v[164:165], v[166:167], 1.0
	v_fmac_f64_e32 v[166:167], v[166:167], v[170:171]
	v_fma_f64 v[170:171], -v[164:165], v[166:167], 1.0
	v_fmac_f64_e32 v[166:167], v[166:167], v[170:171]
	v_mul_f64 v[170:171], v[168:169], v[166:167]
	v_fma_f64 v[164:165], -v[164:165], v[170:171], v[168:169]
	v_div_fmas_f64 v[164:165], v[164:165], v[166:167], v[170:171]
	v_div_fixup_f64 v[164:165], v[164:165], v[162:163], v[160:161]
	v_fmac_f64_e32 v[162:163], v[160:161], v[164:165]
	v_div_scale_f64 v[160:161], s[10:11], v[162:163], v[162:163], 1.0
	v_rcp_f64_e32 v[166:167], v[160:161]
	s_nop 0
	v_fma_f64 v[168:169], -v[160:161], v[166:167], 1.0
	v_fmac_f64_e32 v[166:167], v[166:167], v[168:169]
	v_fma_f64 v[168:169], -v[160:161], v[166:167], 1.0
	v_fmac_f64_e32 v[166:167], v[166:167], v[168:169]
	v_div_scale_f64 v[168:169], vcc, 1.0, v[162:163], 1.0
	v_mul_f64 v[170:171], v[168:169], v[166:167]
	v_fma_f64 v[160:161], -v[160:161], v[170:171], v[168:169]
	s_nop 1
	v_div_fmas_f64 v[160:161], v[160:161], v[166:167], v[170:171]
	v_div_fixup_f64 v[166:167], v[160:161], v[162:163], 1.0
	v_mul_f64 v[164:165], v[164:165], v[166:167]
	v_xor_b32_e32 v167, 0x80000000, v167
                                        ; implicit-def: $vgpr160_vgpr161
.LBB79_131:
	s_andn2_saveexec_b64 s[2:3], s[2:3]
	s_cbranch_execz .LBB79_133
; %bb.132:
	v_div_scale_f64 v[164:165], s[10:11], v[160:161], v[160:161], v[162:163]
	v_rcp_f64_e32 v[166:167], v[164:165]
	v_div_scale_f64 v[168:169], vcc, v[162:163], v[160:161], v[162:163]
	v_fma_f64 v[170:171], -v[164:165], v[166:167], 1.0
	v_fmac_f64_e32 v[166:167], v[166:167], v[170:171]
	v_fma_f64 v[170:171], -v[164:165], v[166:167], 1.0
	v_fmac_f64_e32 v[166:167], v[166:167], v[170:171]
	v_mul_f64 v[170:171], v[168:169], v[166:167]
	v_fma_f64 v[164:165], -v[164:165], v[170:171], v[168:169]
	v_div_fmas_f64 v[164:165], v[164:165], v[166:167], v[170:171]
	v_div_fixup_f64 v[166:167], v[164:165], v[160:161], v[162:163]
	v_fmac_f64_e32 v[160:161], v[162:163], v[166:167]
	v_div_scale_f64 v[162:163], s[10:11], v[160:161], v[160:161], 1.0
	v_rcp_f64_e32 v[164:165], v[162:163]
	s_nop 0
	v_fma_f64 v[168:169], -v[162:163], v[164:165], 1.0
	v_fmac_f64_e32 v[164:165], v[164:165], v[168:169]
	v_fma_f64 v[168:169], -v[162:163], v[164:165], 1.0
	v_fmac_f64_e32 v[164:165], v[164:165], v[168:169]
	v_div_scale_f64 v[168:169], vcc, 1.0, v[160:161], 1.0
	v_mul_f64 v[170:171], v[168:169], v[164:165]
	v_fma_f64 v[162:163], -v[162:163], v[170:171], v[168:169]
	s_nop 1
	v_div_fmas_f64 v[162:163], v[162:163], v[164:165], v[170:171]
	v_div_fixup_f64 v[164:165], v[162:163], v[160:161], 1.0
	v_mul_f64 v[166:167], v[166:167], -v[164:165]
.LBB79_133:
	s_or_b64 exec, exec, s[2:3]
	ds_write2_b64 v225, v[164:165], v[166:167] offset1:1
.LBB79_134:
	s_or_b64 exec, exec, s[4:5]
	s_waitcnt lgkmcnt(0)
	s_barrier
	ds_read2_b64 v[160:163], v225 offset1:1
	v_cmp_lt_u32_e32 vcc, 14, v224
	s_waitcnt lgkmcnt(0)
	scratch_store_dwordx4 off, v[160:163], off offset:456 ; 16-byte Folded Spill
	s_and_saveexec_b64 s[2:3], vcc
	s_cbranch_execz .LBB79_136
; %bb.135:
	scratch_load_dwordx4 v[162:165], off, off offset:456 ; 16-byte Folded Reload
	s_waitcnt vmcnt(0)
	v_mul_f64 v[160:161], v[164:165], v[98:99]
	v_mul_f64 v[98:99], v[162:163], v[98:99]
	v_fma_f64 v[160:161], v[162:163], v[96:97], -v[160:161]
	v_fmac_f64_e32 v[98:99], v[164:165], v[96:97]
	ds_read2_b64 v[162:165], v226 offset0:30 offset1:31
	s_waitcnt lgkmcnt(0)
	v_mul_f64 v[96:97], v[164:165], v[98:99]
	v_fma_f64 v[96:97], v[162:163], v[160:161], -v[96:97]
	v_mul_f64 v[162:163], v[162:163], v[98:99]
	v_fmac_f64_e32 v[162:163], v[164:165], v[160:161]
	v_add_f64 v[94:95], v[94:95], -v[162:163]
	ds_read2_b64 v[162:165], v226 offset0:32 offset1:33
	v_add_f64 v[92:93], v[92:93], -v[96:97]
	s_waitcnt lgkmcnt(0)
	v_mul_f64 v[96:97], v[164:165], v[98:99]
	v_fma_f64 v[96:97], v[162:163], v[160:161], -v[96:97]
	v_mul_f64 v[162:163], v[162:163], v[98:99]
	v_fmac_f64_e32 v[162:163], v[164:165], v[160:161]
	v_add_f64 v[90:91], v[90:91], -v[162:163]
	ds_read2_b64 v[162:165], v226 offset0:34 offset1:35
	v_add_f64 v[88:89], v[88:89], -v[96:97]
	;; [unrolled: 8-line block ×24, first 2 shown]
	s_waitcnt lgkmcnt(0)
	v_mul_f64 v[96:97], v[164:165], v[98:99]
	v_fma_f64 v[96:97], v[162:163], v[160:161], -v[96:97]
	v_mul_f64 v[162:163], v[162:163], v[98:99]
	v_fmac_f64_e32 v[162:163], v[164:165], v[160:161]
	v_add_f64 v[156:157], v[156:157], -v[96:97]
	v_add_f64 v[158:159], v[158:159], -v[162:163]
	v_mov_b64_e32 v[96:97], v[160:161]
.LBB79_136:
	s_or_b64 exec, exec, s[2:3]
	v_cmp_eq_u32_e32 vcc, 15, v224
	s_waitcnt vmcnt(63) expcnt(7) lgkmcnt(15)
	s_barrier
	s_and_saveexec_b64 s[4:5], vcc
	s_cbranch_execz .LBB79_143
; %bb.137:
	ds_write2_b64 v225, v[92:93], v[94:95] offset1:1
	ds_write2_b64 v226, v[88:89], v[90:91] offset0:32 offset1:33
	ds_write2_b64 v226, v[84:85], v[86:87] offset0:34 offset1:35
	s_waitcnt vmcnt(62)
	ds_write2_b64 v226, v[80:81], v[82:83] offset0:36 offset1:37
	s_waitcnt vmcnt(61)
	;; [unrolled: 2-line block ×20, first 2 shown]
	ds_write2_b64 v226, v[4:5], v[6:7] offset0:74 offset1:75
	ds_write2_b64 v226, v[0:1], v[2:3] offset0:76 offset1:77
	s_waitcnt vmcnt(23)
	ds_write2_b64 v226, v[156:157], v[158:159] offset0:78 offset1:79
	ds_read2_b64 v[160:163], v225 offset1:1
	s_waitcnt lgkmcnt(0)
	v_cmp_neq_f64_e32 vcc, 0, v[160:161]
	v_cmp_neq_f64_e64 s[2:3], 0, v[162:163]
	s_or_b64 s[2:3], vcc, s[2:3]
	s_and_b64 exec, exec, s[2:3]
	s_cbranch_execz .LBB79_143
; %bb.138:
	v_cmp_ngt_f64_e64 s[2:3], |v[160:161]|, |v[162:163]|
                                        ; implicit-def: $vgpr164_vgpr165
	s_and_saveexec_b64 s[10:11], s[2:3]
	s_xor_b64 s[2:3], exec, s[10:11]
                                        ; implicit-def: $vgpr166_vgpr167
	s_cbranch_execz .LBB79_140
; %bb.139:
	v_div_scale_f64 v[164:165], s[10:11], v[162:163], v[162:163], v[160:161]
	v_rcp_f64_e32 v[166:167], v[164:165]
	v_div_scale_f64 v[168:169], vcc, v[160:161], v[162:163], v[160:161]
	v_fma_f64 v[170:171], -v[164:165], v[166:167], 1.0
	v_fmac_f64_e32 v[166:167], v[166:167], v[170:171]
	v_fma_f64 v[170:171], -v[164:165], v[166:167], 1.0
	v_fmac_f64_e32 v[166:167], v[166:167], v[170:171]
	v_mul_f64 v[170:171], v[168:169], v[166:167]
	v_fma_f64 v[164:165], -v[164:165], v[170:171], v[168:169]
	v_div_fmas_f64 v[164:165], v[164:165], v[166:167], v[170:171]
	v_div_fixup_f64 v[164:165], v[164:165], v[162:163], v[160:161]
	v_fmac_f64_e32 v[162:163], v[160:161], v[164:165]
	v_div_scale_f64 v[160:161], s[10:11], v[162:163], v[162:163], 1.0
	v_rcp_f64_e32 v[166:167], v[160:161]
	s_nop 0
	v_fma_f64 v[168:169], -v[160:161], v[166:167], 1.0
	v_fmac_f64_e32 v[166:167], v[166:167], v[168:169]
	v_fma_f64 v[168:169], -v[160:161], v[166:167], 1.0
	v_fmac_f64_e32 v[166:167], v[166:167], v[168:169]
	v_div_scale_f64 v[168:169], vcc, 1.0, v[162:163], 1.0
	v_mul_f64 v[170:171], v[168:169], v[166:167]
	v_fma_f64 v[160:161], -v[160:161], v[170:171], v[168:169]
	s_nop 1
	v_div_fmas_f64 v[160:161], v[160:161], v[166:167], v[170:171]
	v_div_fixup_f64 v[166:167], v[160:161], v[162:163], 1.0
	v_mul_f64 v[164:165], v[164:165], v[166:167]
	v_xor_b32_e32 v167, 0x80000000, v167
                                        ; implicit-def: $vgpr160_vgpr161
.LBB79_140:
	s_andn2_saveexec_b64 s[2:3], s[2:3]
	s_cbranch_execz .LBB79_142
; %bb.141:
	v_div_scale_f64 v[164:165], s[10:11], v[160:161], v[160:161], v[162:163]
	v_rcp_f64_e32 v[166:167], v[164:165]
	v_div_scale_f64 v[168:169], vcc, v[162:163], v[160:161], v[162:163]
	v_fma_f64 v[170:171], -v[164:165], v[166:167], 1.0
	v_fmac_f64_e32 v[166:167], v[166:167], v[170:171]
	v_fma_f64 v[170:171], -v[164:165], v[166:167], 1.0
	v_fmac_f64_e32 v[166:167], v[166:167], v[170:171]
	v_mul_f64 v[170:171], v[168:169], v[166:167]
	v_fma_f64 v[164:165], -v[164:165], v[170:171], v[168:169]
	v_div_fmas_f64 v[164:165], v[164:165], v[166:167], v[170:171]
	v_div_fixup_f64 v[166:167], v[164:165], v[160:161], v[162:163]
	v_fmac_f64_e32 v[160:161], v[162:163], v[166:167]
	v_div_scale_f64 v[162:163], s[10:11], v[160:161], v[160:161], 1.0
	v_rcp_f64_e32 v[164:165], v[162:163]
	s_nop 0
	v_fma_f64 v[168:169], -v[162:163], v[164:165], 1.0
	v_fmac_f64_e32 v[164:165], v[164:165], v[168:169]
	v_fma_f64 v[168:169], -v[162:163], v[164:165], 1.0
	v_fmac_f64_e32 v[164:165], v[164:165], v[168:169]
	v_div_scale_f64 v[168:169], vcc, 1.0, v[160:161], 1.0
	v_mul_f64 v[170:171], v[168:169], v[164:165]
	v_fma_f64 v[162:163], -v[162:163], v[170:171], v[168:169]
	s_nop 1
	v_div_fmas_f64 v[162:163], v[162:163], v[164:165], v[170:171]
	v_div_fixup_f64 v[164:165], v[162:163], v[160:161], 1.0
	v_mul_f64 v[166:167], v[166:167], -v[164:165]
.LBB79_142:
	s_or_b64 exec, exec, s[2:3]
	ds_write2_b64 v225, v[164:165], v[166:167] offset1:1
.LBB79_143:
	s_or_b64 exec, exec, s[4:5]
	s_waitcnt lgkmcnt(0)
	s_barrier
	ds_read2_b64 v[160:163], v225 offset1:1
	v_cmp_lt_u32_e32 vcc, 15, v224
	s_waitcnt lgkmcnt(0)
	scratch_store_dwordx4 off, v[160:163], off offset:472 ; 16-byte Folded Spill
	s_and_saveexec_b64 s[2:3], vcc
	s_cbranch_execz .LBB79_145
; %bb.144:
	scratch_load_dwordx4 v[162:165], off, off offset:472 ; 16-byte Folded Reload
	s_waitcnt vmcnt(0)
	v_mul_f64 v[160:161], v[164:165], v[94:95]
	v_mul_f64 v[94:95], v[162:163], v[94:95]
	v_fma_f64 v[160:161], v[162:163], v[92:93], -v[160:161]
	v_fmac_f64_e32 v[94:95], v[164:165], v[92:93]
	ds_read2_b64 v[162:165], v226 offset0:32 offset1:33
	s_waitcnt lgkmcnt(0)
	v_mul_f64 v[92:93], v[164:165], v[94:95]
	v_fma_f64 v[92:93], v[162:163], v[160:161], -v[92:93]
	v_mul_f64 v[162:163], v[162:163], v[94:95]
	v_fmac_f64_e32 v[162:163], v[164:165], v[160:161]
	v_add_f64 v[90:91], v[90:91], -v[162:163]
	ds_read2_b64 v[162:165], v226 offset0:34 offset1:35
	v_add_f64 v[88:89], v[88:89], -v[92:93]
	s_waitcnt lgkmcnt(0)
	v_mul_f64 v[92:93], v[164:165], v[94:95]
	v_fma_f64 v[92:93], v[162:163], v[160:161], -v[92:93]
	v_mul_f64 v[162:163], v[162:163], v[94:95]
	v_fmac_f64_e32 v[162:163], v[164:165], v[160:161]
	v_add_f64 v[86:87], v[86:87], -v[162:163]
	ds_read2_b64 v[162:165], v226 offset0:36 offset1:37
	v_add_f64 v[84:85], v[84:85], -v[92:93]
	;; [unrolled: 8-line block ×23, first 2 shown]
	s_waitcnt lgkmcnt(0)
	v_mul_f64 v[92:93], v[164:165], v[94:95]
	v_fma_f64 v[92:93], v[162:163], v[160:161], -v[92:93]
	v_mul_f64 v[162:163], v[162:163], v[94:95]
	v_fmac_f64_e32 v[162:163], v[164:165], v[160:161]
	v_add_f64 v[156:157], v[156:157], -v[92:93]
	v_add_f64 v[158:159], v[158:159], -v[162:163]
	v_mov_b64_e32 v[92:93], v[160:161]
.LBB79_145:
	s_or_b64 exec, exec, s[2:3]
	v_cmp_eq_u32_e32 vcc, 16, v224
	s_waitcnt vmcnt(63) expcnt(7) lgkmcnt(15)
	s_barrier
	s_and_saveexec_b64 s[4:5], vcc
	s_cbranch_execz .LBB79_152
; %bb.146:
	ds_write2_b64 v225, v[88:89], v[90:91] offset1:1
	ds_write2_b64 v226, v[84:85], v[86:87] offset0:34 offset1:35
	ds_write2_b64 v226, v[80:81], v[82:83] offset0:36 offset1:37
	s_waitcnt vmcnt(62)
	ds_write2_b64 v226, v[76:77], v[78:79] offset0:38 offset1:39
	s_waitcnt vmcnt(61)
	;; [unrolled: 2-line block ×19, first 2 shown]
	ds_write2_b64 v226, v[4:5], v[6:7] offset0:74 offset1:75
	ds_write2_b64 v226, v[0:1], v[2:3] offset0:76 offset1:77
	s_waitcnt vmcnt(24)
	ds_write2_b64 v226, v[156:157], v[158:159] offset0:78 offset1:79
	ds_read2_b64 v[160:163], v225 offset1:1
	s_waitcnt lgkmcnt(0)
	v_cmp_neq_f64_e32 vcc, 0, v[160:161]
	v_cmp_neq_f64_e64 s[2:3], 0, v[162:163]
	s_or_b64 s[2:3], vcc, s[2:3]
	s_and_b64 exec, exec, s[2:3]
	s_cbranch_execz .LBB79_152
; %bb.147:
	v_cmp_ngt_f64_e64 s[2:3], |v[160:161]|, |v[162:163]|
                                        ; implicit-def: $vgpr164_vgpr165
	s_and_saveexec_b64 s[10:11], s[2:3]
	s_xor_b64 s[2:3], exec, s[10:11]
                                        ; implicit-def: $vgpr166_vgpr167
	s_cbranch_execz .LBB79_149
; %bb.148:
	v_div_scale_f64 v[164:165], s[10:11], v[162:163], v[162:163], v[160:161]
	v_rcp_f64_e32 v[166:167], v[164:165]
	v_div_scale_f64 v[168:169], vcc, v[160:161], v[162:163], v[160:161]
	v_fma_f64 v[170:171], -v[164:165], v[166:167], 1.0
	v_fmac_f64_e32 v[166:167], v[166:167], v[170:171]
	v_fma_f64 v[170:171], -v[164:165], v[166:167], 1.0
	v_fmac_f64_e32 v[166:167], v[166:167], v[170:171]
	v_mul_f64 v[170:171], v[168:169], v[166:167]
	v_fma_f64 v[164:165], -v[164:165], v[170:171], v[168:169]
	v_div_fmas_f64 v[164:165], v[164:165], v[166:167], v[170:171]
	v_div_fixup_f64 v[164:165], v[164:165], v[162:163], v[160:161]
	v_fmac_f64_e32 v[162:163], v[160:161], v[164:165]
	v_div_scale_f64 v[160:161], s[10:11], v[162:163], v[162:163], 1.0
	v_rcp_f64_e32 v[166:167], v[160:161]
	s_nop 0
	v_fma_f64 v[168:169], -v[160:161], v[166:167], 1.0
	v_fmac_f64_e32 v[166:167], v[166:167], v[168:169]
	v_fma_f64 v[168:169], -v[160:161], v[166:167], 1.0
	v_fmac_f64_e32 v[166:167], v[166:167], v[168:169]
	v_div_scale_f64 v[168:169], vcc, 1.0, v[162:163], 1.0
	v_mul_f64 v[170:171], v[168:169], v[166:167]
	v_fma_f64 v[160:161], -v[160:161], v[170:171], v[168:169]
	s_nop 1
	v_div_fmas_f64 v[160:161], v[160:161], v[166:167], v[170:171]
	v_div_fixup_f64 v[166:167], v[160:161], v[162:163], 1.0
	v_mul_f64 v[164:165], v[164:165], v[166:167]
	v_xor_b32_e32 v167, 0x80000000, v167
                                        ; implicit-def: $vgpr160_vgpr161
.LBB79_149:
	s_andn2_saveexec_b64 s[2:3], s[2:3]
	s_cbranch_execz .LBB79_151
; %bb.150:
	v_div_scale_f64 v[164:165], s[10:11], v[160:161], v[160:161], v[162:163]
	v_rcp_f64_e32 v[166:167], v[164:165]
	v_div_scale_f64 v[168:169], vcc, v[162:163], v[160:161], v[162:163]
	v_fma_f64 v[170:171], -v[164:165], v[166:167], 1.0
	v_fmac_f64_e32 v[166:167], v[166:167], v[170:171]
	v_fma_f64 v[170:171], -v[164:165], v[166:167], 1.0
	v_fmac_f64_e32 v[166:167], v[166:167], v[170:171]
	v_mul_f64 v[170:171], v[168:169], v[166:167]
	v_fma_f64 v[164:165], -v[164:165], v[170:171], v[168:169]
	v_div_fmas_f64 v[164:165], v[164:165], v[166:167], v[170:171]
	v_div_fixup_f64 v[166:167], v[164:165], v[160:161], v[162:163]
	v_fmac_f64_e32 v[160:161], v[162:163], v[166:167]
	v_div_scale_f64 v[162:163], s[10:11], v[160:161], v[160:161], 1.0
	v_rcp_f64_e32 v[164:165], v[162:163]
	s_nop 0
	v_fma_f64 v[168:169], -v[162:163], v[164:165], 1.0
	v_fmac_f64_e32 v[164:165], v[164:165], v[168:169]
	v_fma_f64 v[168:169], -v[162:163], v[164:165], 1.0
	v_fmac_f64_e32 v[164:165], v[164:165], v[168:169]
	v_div_scale_f64 v[168:169], vcc, 1.0, v[160:161], 1.0
	v_mul_f64 v[170:171], v[168:169], v[164:165]
	v_fma_f64 v[162:163], -v[162:163], v[170:171], v[168:169]
	s_nop 1
	v_div_fmas_f64 v[162:163], v[162:163], v[164:165], v[170:171]
	v_div_fixup_f64 v[164:165], v[162:163], v[160:161], 1.0
	v_mul_f64 v[166:167], v[166:167], -v[164:165]
.LBB79_151:
	s_or_b64 exec, exec, s[2:3]
	ds_write2_b64 v225, v[164:165], v[166:167] offset1:1
.LBB79_152:
	s_or_b64 exec, exec, s[4:5]
	s_waitcnt lgkmcnt(0)
	s_barrier
	ds_read2_b64 v[160:163], v225 offset1:1
	v_cmp_lt_u32_e32 vcc, 16, v224
	s_waitcnt lgkmcnt(0)
	scratch_store_dwordx4 off, v[160:163], off offset:488 ; 16-byte Folded Spill
	s_and_saveexec_b64 s[2:3], vcc
	s_cbranch_execz .LBB79_154
; %bb.153:
	scratch_load_dwordx4 v[162:165], off, off offset:488 ; 16-byte Folded Reload
	s_waitcnt vmcnt(0)
	v_mul_f64 v[160:161], v[164:165], v[90:91]
	v_mul_f64 v[90:91], v[162:163], v[90:91]
	v_fma_f64 v[160:161], v[162:163], v[88:89], -v[160:161]
	v_fmac_f64_e32 v[90:91], v[164:165], v[88:89]
	ds_read2_b64 v[162:165], v226 offset0:34 offset1:35
	s_waitcnt lgkmcnt(0)
	v_mul_f64 v[88:89], v[164:165], v[90:91]
	v_fma_f64 v[88:89], v[162:163], v[160:161], -v[88:89]
	v_mul_f64 v[162:163], v[162:163], v[90:91]
	v_fmac_f64_e32 v[162:163], v[164:165], v[160:161]
	v_add_f64 v[86:87], v[86:87], -v[162:163]
	ds_read2_b64 v[162:165], v226 offset0:36 offset1:37
	v_add_f64 v[84:85], v[84:85], -v[88:89]
	s_waitcnt lgkmcnt(0)
	v_mul_f64 v[88:89], v[164:165], v[90:91]
	v_fma_f64 v[88:89], v[162:163], v[160:161], -v[88:89]
	v_mul_f64 v[162:163], v[162:163], v[90:91]
	v_fmac_f64_e32 v[162:163], v[164:165], v[160:161]
	v_add_f64 v[82:83], v[82:83], -v[162:163]
	ds_read2_b64 v[162:165], v226 offset0:38 offset1:39
	v_add_f64 v[80:81], v[80:81], -v[88:89]
	;; [unrolled: 8-line block ×22, first 2 shown]
	s_waitcnt lgkmcnt(0)
	v_mul_f64 v[88:89], v[164:165], v[90:91]
	v_fma_f64 v[88:89], v[162:163], v[160:161], -v[88:89]
	v_mul_f64 v[162:163], v[162:163], v[90:91]
	v_fmac_f64_e32 v[162:163], v[164:165], v[160:161]
	v_add_f64 v[156:157], v[156:157], -v[88:89]
	v_add_f64 v[158:159], v[158:159], -v[162:163]
	v_mov_b64_e32 v[88:89], v[160:161]
.LBB79_154:
	s_or_b64 exec, exec, s[2:3]
	v_cmp_eq_u32_e32 vcc, 17, v224
	s_waitcnt vmcnt(63) expcnt(7) lgkmcnt(15)
	s_barrier
	s_and_saveexec_b64 s[4:5], vcc
	s_cbranch_execz .LBB79_161
; %bb.155:
	ds_write2_b64 v225, v[84:85], v[86:87] offset1:1
	ds_write2_b64 v226, v[80:81], v[82:83] offset0:36 offset1:37
	ds_write2_b64 v226, v[76:77], v[78:79] offset0:38 offset1:39
	s_waitcnt vmcnt(62)
	ds_write2_b64 v226, v[72:73], v[74:75] offset0:40 offset1:41
	s_waitcnt vmcnt(61)
	;; [unrolled: 2-line block ×18, first 2 shown]
	ds_write2_b64 v226, v[4:5], v[6:7] offset0:74 offset1:75
	ds_write2_b64 v226, v[0:1], v[2:3] offset0:76 offset1:77
	s_waitcnt vmcnt(25)
	ds_write2_b64 v226, v[156:157], v[158:159] offset0:78 offset1:79
	ds_read2_b64 v[160:163], v225 offset1:1
	s_waitcnt lgkmcnt(0)
	v_cmp_neq_f64_e32 vcc, 0, v[160:161]
	v_cmp_neq_f64_e64 s[2:3], 0, v[162:163]
	s_or_b64 s[2:3], vcc, s[2:3]
	s_and_b64 exec, exec, s[2:3]
	s_cbranch_execz .LBB79_161
; %bb.156:
	v_cmp_ngt_f64_e64 s[2:3], |v[160:161]|, |v[162:163]|
                                        ; implicit-def: $vgpr164_vgpr165
	s_and_saveexec_b64 s[10:11], s[2:3]
	s_xor_b64 s[2:3], exec, s[10:11]
                                        ; implicit-def: $vgpr166_vgpr167
	s_cbranch_execz .LBB79_158
; %bb.157:
	v_div_scale_f64 v[164:165], s[10:11], v[162:163], v[162:163], v[160:161]
	v_rcp_f64_e32 v[166:167], v[164:165]
	v_div_scale_f64 v[168:169], vcc, v[160:161], v[162:163], v[160:161]
	v_fma_f64 v[170:171], -v[164:165], v[166:167], 1.0
	v_fmac_f64_e32 v[166:167], v[166:167], v[170:171]
	v_fma_f64 v[170:171], -v[164:165], v[166:167], 1.0
	v_fmac_f64_e32 v[166:167], v[166:167], v[170:171]
	v_mul_f64 v[170:171], v[168:169], v[166:167]
	v_fma_f64 v[164:165], -v[164:165], v[170:171], v[168:169]
	v_div_fmas_f64 v[164:165], v[164:165], v[166:167], v[170:171]
	v_div_fixup_f64 v[164:165], v[164:165], v[162:163], v[160:161]
	v_fmac_f64_e32 v[162:163], v[160:161], v[164:165]
	v_div_scale_f64 v[160:161], s[10:11], v[162:163], v[162:163], 1.0
	v_rcp_f64_e32 v[166:167], v[160:161]
	s_nop 0
	v_fma_f64 v[168:169], -v[160:161], v[166:167], 1.0
	v_fmac_f64_e32 v[166:167], v[166:167], v[168:169]
	v_fma_f64 v[168:169], -v[160:161], v[166:167], 1.0
	v_fmac_f64_e32 v[166:167], v[166:167], v[168:169]
	v_div_scale_f64 v[168:169], vcc, 1.0, v[162:163], 1.0
	v_mul_f64 v[170:171], v[168:169], v[166:167]
	v_fma_f64 v[160:161], -v[160:161], v[170:171], v[168:169]
	s_nop 1
	v_div_fmas_f64 v[160:161], v[160:161], v[166:167], v[170:171]
	v_div_fixup_f64 v[166:167], v[160:161], v[162:163], 1.0
	v_mul_f64 v[164:165], v[164:165], v[166:167]
	v_xor_b32_e32 v167, 0x80000000, v167
                                        ; implicit-def: $vgpr160_vgpr161
.LBB79_158:
	s_andn2_saveexec_b64 s[2:3], s[2:3]
	s_cbranch_execz .LBB79_160
; %bb.159:
	v_div_scale_f64 v[164:165], s[10:11], v[160:161], v[160:161], v[162:163]
	v_rcp_f64_e32 v[166:167], v[164:165]
	v_div_scale_f64 v[168:169], vcc, v[162:163], v[160:161], v[162:163]
	v_fma_f64 v[170:171], -v[164:165], v[166:167], 1.0
	v_fmac_f64_e32 v[166:167], v[166:167], v[170:171]
	v_fma_f64 v[170:171], -v[164:165], v[166:167], 1.0
	v_fmac_f64_e32 v[166:167], v[166:167], v[170:171]
	v_mul_f64 v[170:171], v[168:169], v[166:167]
	v_fma_f64 v[164:165], -v[164:165], v[170:171], v[168:169]
	v_div_fmas_f64 v[164:165], v[164:165], v[166:167], v[170:171]
	v_div_fixup_f64 v[166:167], v[164:165], v[160:161], v[162:163]
	v_fmac_f64_e32 v[160:161], v[162:163], v[166:167]
	v_div_scale_f64 v[162:163], s[10:11], v[160:161], v[160:161], 1.0
	v_rcp_f64_e32 v[164:165], v[162:163]
	s_nop 0
	v_fma_f64 v[168:169], -v[162:163], v[164:165], 1.0
	v_fmac_f64_e32 v[164:165], v[164:165], v[168:169]
	v_fma_f64 v[168:169], -v[162:163], v[164:165], 1.0
	v_fmac_f64_e32 v[164:165], v[164:165], v[168:169]
	v_div_scale_f64 v[168:169], vcc, 1.0, v[160:161], 1.0
	v_mul_f64 v[170:171], v[168:169], v[164:165]
	v_fma_f64 v[162:163], -v[162:163], v[170:171], v[168:169]
	s_nop 1
	v_div_fmas_f64 v[162:163], v[162:163], v[164:165], v[170:171]
	v_div_fixup_f64 v[164:165], v[162:163], v[160:161], 1.0
	v_mul_f64 v[166:167], v[166:167], -v[164:165]
.LBB79_160:
	s_or_b64 exec, exec, s[2:3]
	ds_write2_b64 v225, v[164:165], v[166:167] offset1:1
.LBB79_161:
	s_or_b64 exec, exec, s[4:5]
	s_waitcnt lgkmcnt(0)
	s_barrier
	ds_read2_b64 v[160:163], v225 offset1:1
	v_cmp_lt_u32_e32 vcc, 17, v224
	s_waitcnt lgkmcnt(0)
	scratch_store_dwordx4 off, v[160:163], off offset:504 ; 16-byte Folded Spill
	s_and_saveexec_b64 s[2:3], vcc
	s_cbranch_execz .LBB79_163
; %bb.162:
	scratch_load_dwordx4 v[162:165], off, off offset:504 ; 16-byte Folded Reload
	s_waitcnt vmcnt(0)
	v_mul_f64 v[160:161], v[164:165], v[86:87]
	v_mul_f64 v[86:87], v[162:163], v[86:87]
	v_fma_f64 v[160:161], v[162:163], v[84:85], -v[160:161]
	v_fmac_f64_e32 v[86:87], v[164:165], v[84:85]
	ds_read2_b64 v[162:165], v226 offset0:36 offset1:37
	s_waitcnt lgkmcnt(0)
	v_mul_f64 v[84:85], v[164:165], v[86:87]
	v_fma_f64 v[84:85], v[162:163], v[160:161], -v[84:85]
	v_mul_f64 v[162:163], v[162:163], v[86:87]
	v_fmac_f64_e32 v[162:163], v[164:165], v[160:161]
	v_add_f64 v[82:83], v[82:83], -v[162:163]
	ds_read2_b64 v[162:165], v226 offset0:38 offset1:39
	v_add_f64 v[80:81], v[80:81], -v[84:85]
	s_waitcnt lgkmcnt(0)
	v_mul_f64 v[84:85], v[164:165], v[86:87]
	v_fma_f64 v[84:85], v[162:163], v[160:161], -v[84:85]
	v_mul_f64 v[162:163], v[162:163], v[86:87]
	v_fmac_f64_e32 v[162:163], v[164:165], v[160:161]
	v_add_f64 v[78:79], v[78:79], -v[162:163]
	ds_read2_b64 v[162:165], v226 offset0:40 offset1:41
	v_add_f64 v[76:77], v[76:77], -v[84:85]
	;; [unrolled: 8-line block ×21, first 2 shown]
	s_waitcnt lgkmcnt(0)
	v_mul_f64 v[84:85], v[164:165], v[86:87]
	v_fma_f64 v[84:85], v[162:163], v[160:161], -v[84:85]
	v_mul_f64 v[162:163], v[162:163], v[86:87]
	v_fmac_f64_e32 v[162:163], v[164:165], v[160:161]
	v_add_f64 v[156:157], v[156:157], -v[84:85]
	v_add_f64 v[158:159], v[158:159], -v[162:163]
	v_mov_b64_e32 v[84:85], v[160:161]
.LBB79_163:
	s_or_b64 exec, exec, s[2:3]
	v_cmp_eq_u32_e32 vcc, 18, v224
	s_waitcnt vmcnt(63) expcnt(7) lgkmcnt(15)
	s_barrier
	s_and_saveexec_b64 s[4:5], vcc
	s_cbranch_execz .LBB79_170
; %bb.164:
	ds_write2_b64 v225, v[80:81], v[82:83] offset1:1
	ds_write2_b64 v226, v[76:77], v[78:79] offset0:38 offset1:39
	ds_write2_b64 v226, v[72:73], v[74:75] offset0:40 offset1:41
	s_waitcnt vmcnt(62)
	ds_write2_b64 v226, v[68:69], v[70:71] offset0:42 offset1:43
	s_waitcnt vmcnt(61)
	;; [unrolled: 2-line block ×17, first 2 shown]
	ds_write2_b64 v226, v[4:5], v[6:7] offset0:74 offset1:75
	ds_write2_b64 v226, v[0:1], v[2:3] offset0:76 offset1:77
	s_waitcnt vmcnt(26)
	ds_write2_b64 v226, v[156:157], v[158:159] offset0:78 offset1:79
	ds_read2_b64 v[160:163], v225 offset1:1
	s_waitcnt lgkmcnt(0)
	v_cmp_neq_f64_e32 vcc, 0, v[160:161]
	v_cmp_neq_f64_e64 s[2:3], 0, v[162:163]
	s_or_b64 s[2:3], vcc, s[2:3]
	s_and_b64 exec, exec, s[2:3]
	s_cbranch_execz .LBB79_170
; %bb.165:
	v_cmp_ngt_f64_e64 s[2:3], |v[160:161]|, |v[162:163]|
                                        ; implicit-def: $vgpr164_vgpr165
	s_and_saveexec_b64 s[10:11], s[2:3]
	s_xor_b64 s[2:3], exec, s[10:11]
                                        ; implicit-def: $vgpr166_vgpr167
	s_cbranch_execz .LBB79_167
; %bb.166:
	v_div_scale_f64 v[164:165], s[10:11], v[162:163], v[162:163], v[160:161]
	v_rcp_f64_e32 v[166:167], v[164:165]
	v_div_scale_f64 v[168:169], vcc, v[160:161], v[162:163], v[160:161]
	v_fma_f64 v[170:171], -v[164:165], v[166:167], 1.0
	v_fmac_f64_e32 v[166:167], v[166:167], v[170:171]
	v_fma_f64 v[170:171], -v[164:165], v[166:167], 1.0
	v_fmac_f64_e32 v[166:167], v[166:167], v[170:171]
	v_mul_f64 v[170:171], v[168:169], v[166:167]
	v_fma_f64 v[164:165], -v[164:165], v[170:171], v[168:169]
	v_div_fmas_f64 v[164:165], v[164:165], v[166:167], v[170:171]
	v_div_fixup_f64 v[164:165], v[164:165], v[162:163], v[160:161]
	v_fmac_f64_e32 v[162:163], v[160:161], v[164:165]
	v_div_scale_f64 v[160:161], s[10:11], v[162:163], v[162:163], 1.0
	v_rcp_f64_e32 v[166:167], v[160:161]
	s_nop 0
	v_fma_f64 v[168:169], -v[160:161], v[166:167], 1.0
	v_fmac_f64_e32 v[166:167], v[166:167], v[168:169]
	v_fma_f64 v[168:169], -v[160:161], v[166:167], 1.0
	v_fmac_f64_e32 v[166:167], v[166:167], v[168:169]
	v_div_scale_f64 v[168:169], vcc, 1.0, v[162:163], 1.0
	v_mul_f64 v[170:171], v[168:169], v[166:167]
	v_fma_f64 v[160:161], -v[160:161], v[170:171], v[168:169]
	s_nop 1
	v_div_fmas_f64 v[160:161], v[160:161], v[166:167], v[170:171]
	v_div_fixup_f64 v[166:167], v[160:161], v[162:163], 1.0
	v_mul_f64 v[164:165], v[164:165], v[166:167]
	v_xor_b32_e32 v167, 0x80000000, v167
                                        ; implicit-def: $vgpr160_vgpr161
.LBB79_167:
	s_andn2_saveexec_b64 s[2:3], s[2:3]
	s_cbranch_execz .LBB79_169
; %bb.168:
	v_div_scale_f64 v[164:165], s[10:11], v[160:161], v[160:161], v[162:163]
	v_rcp_f64_e32 v[166:167], v[164:165]
	v_div_scale_f64 v[168:169], vcc, v[162:163], v[160:161], v[162:163]
	v_fma_f64 v[170:171], -v[164:165], v[166:167], 1.0
	v_fmac_f64_e32 v[166:167], v[166:167], v[170:171]
	v_fma_f64 v[170:171], -v[164:165], v[166:167], 1.0
	v_fmac_f64_e32 v[166:167], v[166:167], v[170:171]
	v_mul_f64 v[170:171], v[168:169], v[166:167]
	v_fma_f64 v[164:165], -v[164:165], v[170:171], v[168:169]
	v_div_fmas_f64 v[164:165], v[164:165], v[166:167], v[170:171]
	v_div_fixup_f64 v[166:167], v[164:165], v[160:161], v[162:163]
	v_fmac_f64_e32 v[160:161], v[162:163], v[166:167]
	v_div_scale_f64 v[162:163], s[10:11], v[160:161], v[160:161], 1.0
	v_rcp_f64_e32 v[164:165], v[162:163]
	s_nop 0
	v_fma_f64 v[168:169], -v[162:163], v[164:165], 1.0
	v_fmac_f64_e32 v[164:165], v[164:165], v[168:169]
	v_fma_f64 v[168:169], -v[162:163], v[164:165], 1.0
	v_fmac_f64_e32 v[164:165], v[164:165], v[168:169]
	v_div_scale_f64 v[168:169], vcc, 1.0, v[160:161], 1.0
	v_mul_f64 v[170:171], v[168:169], v[164:165]
	v_fma_f64 v[162:163], -v[162:163], v[170:171], v[168:169]
	s_nop 1
	v_div_fmas_f64 v[162:163], v[162:163], v[164:165], v[170:171]
	v_div_fixup_f64 v[164:165], v[162:163], v[160:161], 1.0
	v_mul_f64 v[166:167], v[166:167], -v[164:165]
.LBB79_169:
	s_or_b64 exec, exec, s[2:3]
	ds_write2_b64 v225, v[164:165], v[166:167] offset1:1
.LBB79_170:
	s_or_b64 exec, exec, s[4:5]
	s_waitcnt lgkmcnt(0)
	s_barrier
	ds_read2_b64 v[160:163], v225 offset1:1
	v_cmp_lt_u32_e32 vcc, 18, v224
	s_waitcnt lgkmcnt(0)
	scratch_store_dwordx4 off, v[160:163], off offset:520 ; 16-byte Folded Spill
	s_and_saveexec_b64 s[2:3], vcc
	s_cbranch_execz .LBB79_172
; %bb.171:
	scratch_load_dwordx4 v[162:165], off, off offset:520 ; 16-byte Folded Reload
	s_waitcnt vmcnt(0)
	v_mul_f64 v[160:161], v[164:165], v[82:83]
	v_mul_f64 v[82:83], v[162:163], v[82:83]
	v_fma_f64 v[160:161], v[162:163], v[80:81], -v[160:161]
	v_fmac_f64_e32 v[82:83], v[164:165], v[80:81]
	ds_read2_b64 v[162:165], v226 offset0:38 offset1:39
	s_waitcnt lgkmcnt(0)
	v_mul_f64 v[80:81], v[164:165], v[82:83]
	v_fma_f64 v[80:81], v[162:163], v[160:161], -v[80:81]
	v_mul_f64 v[162:163], v[162:163], v[82:83]
	v_fmac_f64_e32 v[162:163], v[164:165], v[160:161]
	v_add_f64 v[78:79], v[78:79], -v[162:163]
	ds_read2_b64 v[162:165], v226 offset0:40 offset1:41
	v_add_f64 v[76:77], v[76:77], -v[80:81]
	s_waitcnt lgkmcnt(0)
	v_mul_f64 v[80:81], v[164:165], v[82:83]
	v_fma_f64 v[80:81], v[162:163], v[160:161], -v[80:81]
	v_mul_f64 v[162:163], v[162:163], v[82:83]
	v_fmac_f64_e32 v[162:163], v[164:165], v[160:161]
	v_add_f64 v[74:75], v[74:75], -v[162:163]
	ds_read2_b64 v[162:165], v226 offset0:42 offset1:43
	v_add_f64 v[72:73], v[72:73], -v[80:81]
	;; [unrolled: 8-line block ×20, first 2 shown]
	s_waitcnt lgkmcnt(0)
	v_mul_f64 v[80:81], v[164:165], v[82:83]
	v_fma_f64 v[80:81], v[162:163], v[160:161], -v[80:81]
	v_mul_f64 v[162:163], v[162:163], v[82:83]
	v_fmac_f64_e32 v[162:163], v[164:165], v[160:161]
	v_add_f64 v[156:157], v[156:157], -v[80:81]
	v_add_f64 v[158:159], v[158:159], -v[162:163]
	v_mov_b64_e32 v[80:81], v[160:161]
.LBB79_172:
	s_or_b64 exec, exec, s[2:3]
	v_cmp_eq_u32_e32 vcc, 19, v224
	s_waitcnt vmcnt(63) expcnt(7) lgkmcnt(15)
	s_barrier
	s_and_saveexec_b64 s[4:5], vcc
	s_cbranch_execz .LBB79_179
; %bb.173:
	ds_write2_b64 v225, v[76:77], v[78:79] offset1:1
	ds_write2_b64 v226, v[72:73], v[74:75] offset0:40 offset1:41
	ds_write2_b64 v226, v[68:69], v[70:71] offset0:42 offset1:43
	s_waitcnt vmcnt(62)
	ds_write2_b64 v226, v[64:65], v[66:67] offset0:44 offset1:45
	s_waitcnt vmcnt(61)
	ds_write2_b64 v226, v[60:61], v[62:63] offset0:46 offset1:47
	s_waitcnt vmcnt(60)
	ds_write2_b64 v226, v[56:57], v[58:59] offset0:48 offset1:49
	s_waitcnt vmcnt(59)
	ds_write2_b64 v226, v[52:53], v[54:55] offset0:50 offset1:51
	s_waitcnt vmcnt(58)
	ds_write2_b64 v226, v[48:49], v[50:51] offset0:52 offset1:53
	s_waitcnt vmcnt(57)
	ds_write2_b64 v226, v[44:45], v[46:47] offset0:54 offset1:55
	s_waitcnt vmcnt(56)
	ds_write2_b64 v226, v[40:41], v[42:43] offset0:56 offset1:57
	s_waitcnt vmcnt(55)
	ds_write2_b64 v226, v[36:37], v[38:39] offset0:58 offset1:59
	s_waitcnt vmcnt(36)
	ds_write2_b64 v226, v[32:33], v[34:35] offset0:60 offset1:61
	s_waitcnt vmcnt(34)
	ds_write2_b64 v226, v[28:29], v[30:31] offset0:62 offset1:63
	s_waitcnt vmcnt(33)
	ds_write2_b64 v226, v[24:25], v[26:27] offset0:64 offset1:65
	s_waitcnt vmcnt(32)
	ds_write2_b64 v226, v[20:21], v[22:23] offset0:66 offset1:67
	s_waitcnt vmcnt(31)
	ds_write2_b64 v226, v[16:17], v[18:19] offset0:68 offset1:69
	s_waitcnt vmcnt(30)
	ds_write2_b64 v226, v[12:13], v[14:15] offset0:70 offset1:71
	s_waitcnt vmcnt(29)
	ds_write2_b64 v226, v[8:9], v[10:11] offset0:72 offset1:73
	s_waitcnt vmcnt(28)
	ds_write2_b64 v226, v[4:5], v[6:7] offset0:74 offset1:75
	ds_write2_b64 v226, v[0:1], v[2:3] offset0:76 offset1:77
	s_waitcnt vmcnt(27)
	ds_write2_b64 v226, v[156:157], v[158:159] offset0:78 offset1:79
	ds_read2_b64 v[160:163], v225 offset1:1
	s_waitcnt lgkmcnt(0)
	v_cmp_neq_f64_e32 vcc, 0, v[160:161]
	v_cmp_neq_f64_e64 s[2:3], 0, v[162:163]
	s_or_b64 s[2:3], vcc, s[2:3]
	s_and_b64 exec, exec, s[2:3]
	s_cbranch_execz .LBB79_179
; %bb.174:
	v_cmp_ngt_f64_e64 s[2:3], |v[160:161]|, |v[162:163]|
                                        ; implicit-def: $vgpr164_vgpr165
	s_and_saveexec_b64 s[10:11], s[2:3]
	s_xor_b64 s[2:3], exec, s[10:11]
                                        ; implicit-def: $vgpr166_vgpr167
	s_cbranch_execz .LBB79_176
; %bb.175:
	v_div_scale_f64 v[164:165], s[10:11], v[162:163], v[162:163], v[160:161]
	v_rcp_f64_e32 v[166:167], v[164:165]
	v_div_scale_f64 v[168:169], vcc, v[160:161], v[162:163], v[160:161]
	v_fma_f64 v[170:171], -v[164:165], v[166:167], 1.0
	v_fmac_f64_e32 v[166:167], v[166:167], v[170:171]
	v_fma_f64 v[170:171], -v[164:165], v[166:167], 1.0
	v_fmac_f64_e32 v[166:167], v[166:167], v[170:171]
	v_mul_f64 v[170:171], v[168:169], v[166:167]
	v_fma_f64 v[164:165], -v[164:165], v[170:171], v[168:169]
	v_div_fmas_f64 v[164:165], v[164:165], v[166:167], v[170:171]
	v_div_fixup_f64 v[164:165], v[164:165], v[162:163], v[160:161]
	v_fmac_f64_e32 v[162:163], v[160:161], v[164:165]
	v_div_scale_f64 v[160:161], s[10:11], v[162:163], v[162:163], 1.0
	v_rcp_f64_e32 v[166:167], v[160:161]
	s_nop 0
	v_fma_f64 v[168:169], -v[160:161], v[166:167], 1.0
	v_fmac_f64_e32 v[166:167], v[166:167], v[168:169]
	v_fma_f64 v[168:169], -v[160:161], v[166:167], 1.0
	v_fmac_f64_e32 v[166:167], v[166:167], v[168:169]
	v_div_scale_f64 v[168:169], vcc, 1.0, v[162:163], 1.0
	v_mul_f64 v[170:171], v[168:169], v[166:167]
	v_fma_f64 v[160:161], -v[160:161], v[170:171], v[168:169]
	s_nop 1
	v_div_fmas_f64 v[160:161], v[160:161], v[166:167], v[170:171]
	v_div_fixup_f64 v[166:167], v[160:161], v[162:163], 1.0
	v_mul_f64 v[164:165], v[164:165], v[166:167]
	v_xor_b32_e32 v167, 0x80000000, v167
                                        ; implicit-def: $vgpr160_vgpr161
.LBB79_176:
	s_andn2_saveexec_b64 s[2:3], s[2:3]
	s_cbranch_execz .LBB79_178
; %bb.177:
	v_div_scale_f64 v[164:165], s[10:11], v[160:161], v[160:161], v[162:163]
	v_rcp_f64_e32 v[166:167], v[164:165]
	v_div_scale_f64 v[168:169], vcc, v[162:163], v[160:161], v[162:163]
	v_fma_f64 v[170:171], -v[164:165], v[166:167], 1.0
	v_fmac_f64_e32 v[166:167], v[166:167], v[170:171]
	v_fma_f64 v[170:171], -v[164:165], v[166:167], 1.0
	v_fmac_f64_e32 v[166:167], v[166:167], v[170:171]
	v_mul_f64 v[170:171], v[168:169], v[166:167]
	v_fma_f64 v[164:165], -v[164:165], v[170:171], v[168:169]
	v_div_fmas_f64 v[164:165], v[164:165], v[166:167], v[170:171]
	v_div_fixup_f64 v[166:167], v[164:165], v[160:161], v[162:163]
	v_fmac_f64_e32 v[160:161], v[162:163], v[166:167]
	v_div_scale_f64 v[162:163], s[10:11], v[160:161], v[160:161], 1.0
	v_rcp_f64_e32 v[164:165], v[162:163]
	s_nop 0
	v_fma_f64 v[168:169], -v[162:163], v[164:165], 1.0
	v_fmac_f64_e32 v[164:165], v[164:165], v[168:169]
	v_fma_f64 v[168:169], -v[162:163], v[164:165], 1.0
	v_fmac_f64_e32 v[164:165], v[164:165], v[168:169]
	v_div_scale_f64 v[168:169], vcc, 1.0, v[160:161], 1.0
	v_mul_f64 v[170:171], v[168:169], v[164:165]
	v_fma_f64 v[162:163], -v[162:163], v[170:171], v[168:169]
	s_nop 1
	v_div_fmas_f64 v[162:163], v[162:163], v[164:165], v[170:171]
	v_div_fixup_f64 v[164:165], v[162:163], v[160:161], 1.0
	v_mul_f64 v[166:167], v[166:167], -v[164:165]
.LBB79_178:
	s_or_b64 exec, exec, s[2:3]
	ds_write2_b64 v225, v[164:165], v[166:167] offset1:1
.LBB79_179:
	s_or_b64 exec, exec, s[4:5]
	s_waitcnt lgkmcnt(0)
	s_barrier
	ds_read2_b64 v[160:163], v225 offset1:1
	v_cmp_lt_u32_e32 vcc, 19, v224
	s_waitcnt lgkmcnt(0)
	scratch_store_dwordx4 off, v[160:163], off offset:536 ; 16-byte Folded Spill
	s_and_saveexec_b64 s[2:3], vcc
	s_cbranch_execz .LBB79_181
; %bb.180:
	scratch_load_dwordx4 v[162:165], off, off offset:536 ; 16-byte Folded Reload
	s_waitcnt vmcnt(0)
	v_mul_f64 v[160:161], v[164:165], v[78:79]
	v_mul_f64 v[78:79], v[162:163], v[78:79]
	v_fma_f64 v[160:161], v[162:163], v[76:77], -v[160:161]
	v_fmac_f64_e32 v[78:79], v[164:165], v[76:77]
	ds_read2_b64 v[162:165], v226 offset0:40 offset1:41
	s_waitcnt lgkmcnt(0)
	v_mul_f64 v[76:77], v[164:165], v[78:79]
	v_fma_f64 v[76:77], v[162:163], v[160:161], -v[76:77]
	v_mul_f64 v[162:163], v[162:163], v[78:79]
	v_fmac_f64_e32 v[162:163], v[164:165], v[160:161]
	v_add_f64 v[74:75], v[74:75], -v[162:163]
	ds_read2_b64 v[162:165], v226 offset0:42 offset1:43
	v_add_f64 v[72:73], v[72:73], -v[76:77]
	s_waitcnt lgkmcnt(0)
	v_mul_f64 v[76:77], v[164:165], v[78:79]
	v_fma_f64 v[76:77], v[162:163], v[160:161], -v[76:77]
	v_mul_f64 v[162:163], v[162:163], v[78:79]
	v_fmac_f64_e32 v[162:163], v[164:165], v[160:161]
	v_add_f64 v[70:71], v[70:71], -v[162:163]
	ds_read2_b64 v[162:165], v226 offset0:44 offset1:45
	v_add_f64 v[68:69], v[68:69], -v[76:77]
	;; [unrolled: 8-line block ×19, first 2 shown]
	s_waitcnt lgkmcnt(0)
	v_mul_f64 v[76:77], v[164:165], v[78:79]
	v_fma_f64 v[76:77], v[162:163], v[160:161], -v[76:77]
	v_mul_f64 v[162:163], v[162:163], v[78:79]
	v_fmac_f64_e32 v[162:163], v[164:165], v[160:161]
	v_add_f64 v[156:157], v[156:157], -v[76:77]
	v_add_f64 v[158:159], v[158:159], -v[162:163]
	v_mov_b64_e32 v[76:77], v[160:161]
.LBB79_181:
	s_or_b64 exec, exec, s[2:3]
	v_cmp_eq_u32_e32 vcc, 20, v224
	s_waitcnt vmcnt(63) expcnt(7) lgkmcnt(15)
	s_barrier
	s_and_saveexec_b64 s[4:5], vcc
	s_cbranch_execz .LBB79_188
; %bb.182:
	ds_write2_b64 v225, v[72:73], v[74:75] offset1:1
	ds_write2_b64 v226, v[68:69], v[70:71] offset0:42 offset1:43
	ds_write2_b64 v226, v[64:65], v[66:67] offset0:44 offset1:45
	s_waitcnt vmcnt(62)
	ds_write2_b64 v226, v[60:61], v[62:63] offset0:46 offset1:47
	s_waitcnt vmcnt(61)
	;; [unrolled: 2-line block ×15, first 2 shown]
	ds_write2_b64 v226, v[4:5], v[6:7] offset0:74 offset1:75
	ds_write2_b64 v226, v[0:1], v[2:3] offset0:76 offset1:77
	s_waitcnt vmcnt(28)
	ds_write2_b64 v226, v[156:157], v[158:159] offset0:78 offset1:79
	ds_read2_b64 v[160:163], v225 offset1:1
	s_waitcnt lgkmcnt(0)
	v_cmp_neq_f64_e32 vcc, 0, v[160:161]
	v_cmp_neq_f64_e64 s[2:3], 0, v[162:163]
	s_or_b64 s[2:3], vcc, s[2:3]
	s_and_b64 exec, exec, s[2:3]
	s_cbranch_execz .LBB79_188
; %bb.183:
	v_cmp_ngt_f64_e64 s[2:3], |v[160:161]|, |v[162:163]|
                                        ; implicit-def: $vgpr164_vgpr165
	s_and_saveexec_b64 s[10:11], s[2:3]
	s_xor_b64 s[2:3], exec, s[10:11]
                                        ; implicit-def: $vgpr166_vgpr167
	s_cbranch_execz .LBB79_185
; %bb.184:
	v_div_scale_f64 v[164:165], s[10:11], v[162:163], v[162:163], v[160:161]
	v_rcp_f64_e32 v[166:167], v[164:165]
	v_div_scale_f64 v[168:169], vcc, v[160:161], v[162:163], v[160:161]
	v_fma_f64 v[170:171], -v[164:165], v[166:167], 1.0
	v_fmac_f64_e32 v[166:167], v[166:167], v[170:171]
	v_fma_f64 v[170:171], -v[164:165], v[166:167], 1.0
	v_fmac_f64_e32 v[166:167], v[166:167], v[170:171]
	v_mul_f64 v[170:171], v[168:169], v[166:167]
	v_fma_f64 v[164:165], -v[164:165], v[170:171], v[168:169]
	v_div_fmas_f64 v[164:165], v[164:165], v[166:167], v[170:171]
	v_div_fixup_f64 v[164:165], v[164:165], v[162:163], v[160:161]
	v_fmac_f64_e32 v[162:163], v[160:161], v[164:165]
	v_div_scale_f64 v[160:161], s[10:11], v[162:163], v[162:163], 1.0
	v_rcp_f64_e32 v[166:167], v[160:161]
	s_nop 0
	v_fma_f64 v[168:169], -v[160:161], v[166:167], 1.0
	v_fmac_f64_e32 v[166:167], v[166:167], v[168:169]
	v_fma_f64 v[168:169], -v[160:161], v[166:167], 1.0
	v_fmac_f64_e32 v[166:167], v[166:167], v[168:169]
	v_div_scale_f64 v[168:169], vcc, 1.0, v[162:163], 1.0
	v_mul_f64 v[170:171], v[168:169], v[166:167]
	v_fma_f64 v[160:161], -v[160:161], v[170:171], v[168:169]
	s_nop 1
	v_div_fmas_f64 v[160:161], v[160:161], v[166:167], v[170:171]
	v_div_fixup_f64 v[166:167], v[160:161], v[162:163], 1.0
	v_mul_f64 v[164:165], v[164:165], v[166:167]
	v_xor_b32_e32 v167, 0x80000000, v167
                                        ; implicit-def: $vgpr160_vgpr161
.LBB79_185:
	s_andn2_saveexec_b64 s[2:3], s[2:3]
	s_cbranch_execz .LBB79_187
; %bb.186:
	v_div_scale_f64 v[164:165], s[10:11], v[160:161], v[160:161], v[162:163]
	v_rcp_f64_e32 v[166:167], v[164:165]
	v_div_scale_f64 v[168:169], vcc, v[162:163], v[160:161], v[162:163]
	v_fma_f64 v[170:171], -v[164:165], v[166:167], 1.0
	v_fmac_f64_e32 v[166:167], v[166:167], v[170:171]
	v_fma_f64 v[170:171], -v[164:165], v[166:167], 1.0
	v_fmac_f64_e32 v[166:167], v[166:167], v[170:171]
	v_mul_f64 v[170:171], v[168:169], v[166:167]
	v_fma_f64 v[164:165], -v[164:165], v[170:171], v[168:169]
	v_div_fmas_f64 v[164:165], v[164:165], v[166:167], v[170:171]
	v_div_fixup_f64 v[166:167], v[164:165], v[160:161], v[162:163]
	v_fmac_f64_e32 v[160:161], v[162:163], v[166:167]
	v_div_scale_f64 v[162:163], s[10:11], v[160:161], v[160:161], 1.0
	v_rcp_f64_e32 v[164:165], v[162:163]
	s_nop 0
	v_fma_f64 v[168:169], -v[162:163], v[164:165], 1.0
	v_fmac_f64_e32 v[164:165], v[164:165], v[168:169]
	v_fma_f64 v[168:169], -v[162:163], v[164:165], 1.0
	v_fmac_f64_e32 v[164:165], v[164:165], v[168:169]
	v_div_scale_f64 v[168:169], vcc, 1.0, v[160:161], 1.0
	v_mul_f64 v[170:171], v[168:169], v[164:165]
	v_fma_f64 v[162:163], -v[162:163], v[170:171], v[168:169]
	s_nop 1
	v_div_fmas_f64 v[162:163], v[162:163], v[164:165], v[170:171]
	v_div_fixup_f64 v[164:165], v[162:163], v[160:161], 1.0
	v_mul_f64 v[166:167], v[166:167], -v[164:165]
.LBB79_187:
	s_or_b64 exec, exec, s[2:3]
	ds_write2_b64 v225, v[164:165], v[166:167] offset1:1
.LBB79_188:
	s_or_b64 exec, exec, s[4:5]
	s_waitcnt lgkmcnt(0)
	s_barrier
	ds_read2_b64 v[160:163], v225 offset1:1
	v_cmp_lt_u32_e32 vcc, 20, v224
	s_waitcnt lgkmcnt(0)
	scratch_store_dwordx4 off, v[160:163], off offset:552 ; 16-byte Folded Spill
	s_and_saveexec_b64 s[2:3], vcc
	s_cbranch_execz .LBB79_190
; %bb.189:
	scratch_load_dwordx4 v[162:165], off, off offset:552 ; 16-byte Folded Reload
	s_waitcnt vmcnt(0)
	v_mul_f64 v[160:161], v[164:165], v[74:75]
	v_mul_f64 v[74:75], v[162:163], v[74:75]
	v_fma_f64 v[160:161], v[162:163], v[72:73], -v[160:161]
	v_fmac_f64_e32 v[74:75], v[164:165], v[72:73]
	ds_read2_b64 v[162:165], v226 offset0:42 offset1:43
	s_waitcnt lgkmcnt(0)
	v_mul_f64 v[72:73], v[164:165], v[74:75]
	v_fma_f64 v[72:73], v[162:163], v[160:161], -v[72:73]
	v_mul_f64 v[162:163], v[162:163], v[74:75]
	v_fmac_f64_e32 v[162:163], v[164:165], v[160:161]
	v_add_f64 v[70:71], v[70:71], -v[162:163]
	ds_read2_b64 v[162:165], v226 offset0:44 offset1:45
	v_add_f64 v[68:69], v[68:69], -v[72:73]
	s_waitcnt lgkmcnt(0)
	v_mul_f64 v[72:73], v[164:165], v[74:75]
	v_fma_f64 v[72:73], v[162:163], v[160:161], -v[72:73]
	v_mul_f64 v[162:163], v[162:163], v[74:75]
	v_fmac_f64_e32 v[162:163], v[164:165], v[160:161]
	v_add_f64 v[66:67], v[66:67], -v[162:163]
	ds_read2_b64 v[162:165], v226 offset0:46 offset1:47
	v_add_f64 v[64:65], v[64:65], -v[72:73]
	;; [unrolled: 8-line block ×18, first 2 shown]
	s_waitcnt lgkmcnt(0)
	v_mul_f64 v[72:73], v[164:165], v[74:75]
	v_fma_f64 v[72:73], v[162:163], v[160:161], -v[72:73]
	v_mul_f64 v[162:163], v[162:163], v[74:75]
	v_fmac_f64_e32 v[162:163], v[164:165], v[160:161]
	v_add_f64 v[156:157], v[156:157], -v[72:73]
	v_add_f64 v[158:159], v[158:159], -v[162:163]
	v_mov_b64_e32 v[72:73], v[160:161]
.LBB79_190:
	s_or_b64 exec, exec, s[2:3]
	v_cmp_eq_u32_e32 vcc, 21, v224
	s_waitcnt vmcnt(63) expcnt(7) lgkmcnt(15)
	s_barrier
	s_and_saveexec_b64 s[4:5], vcc
	s_cbranch_execz .LBB79_197
; %bb.191:
	ds_write2_b64 v225, v[68:69], v[70:71] offset1:1
	ds_write2_b64 v226, v[64:65], v[66:67] offset0:44 offset1:45
	ds_write2_b64 v226, v[60:61], v[62:63] offset0:46 offset1:47
	s_waitcnt vmcnt(62)
	ds_write2_b64 v226, v[56:57], v[58:59] offset0:48 offset1:49
	s_waitcnt vmcnt(61)
	ds_write2_b64 v226, v[52:53], v[54:55] offset0:50 offset1:51
	s_waitcnt vmcnt(60)
	ds_write2_b64 v226, v[48:49], v[50:51] offset0:52 offset1:53
	s_waitcnt vmcnt(59)
	ds_write2_b64 v226, v[44:45], v[46:47] offset0:54 offset1:55
	s_waitcnt vmcnt(58)
	ds_write2_b64 v226, v[40:41], v[42:43] offset0:56 offset1:57
	s_waitcnt vmcnt(57)
	ds_write2_b64 v226, v[36:37], v[38:39] offset0:58 offset1:59
	s_waitcnt vmcnt(38)
	ds_write2_b64 v226, v[32:33], v[34:35] offset0:60 offset1:61
	s_waitcnt vmcnt(36)
	ds_write2_b64 v226, v[28:29], v[30:31] offset0:62 offset1:63
	s_waitcnt vmcnt(35)
	ds_write2_b64 v226, v[24:25], v[26:27] offset0:64 offset1:65
	s_waitcnt vmcnt(34)
	ds_write2_b64 v226, v[20:21], v[22:23] offset0:66 offset1:67
	s_waitcnt vmcnt(33)
	ds_write2_b64 v226, v[16:17], v[18:19] offset0:68 offset1:69
	s_waitcnt vmcnt(32)
	ds_write2_b64 v226, v[12:13], v[14:15] offset0:70 offset1:71
	s_waitcnt vmcnt(31)
	ds_write2_b64 v226, v[8:9], v[10:11] offset0:72 offset1:73
	s_waitcnt vmcnt(30)
	ds_write2_b64 v226, v[4:5], v[6:7] offset0:74 offset1:75
	ds_write2_b64 v226, v[0:1], v[2:3] offset0:76 offset1:77
	s_waitcnt vmcnt(29)
	ds_write2_b64 v226, v[156:157], v[158:159] offset0:78 offset1:79
	ds_read2_b64 v[160:163], v225 offset1:1
	s_waitcnt lgkmcnt(0)
	v_cmp_neq_f64_e32 vcc, 0, v[160:161]
	v_cmp_neq_f64_e64 s[2:3], 0, v[162:163]
	s_or_b64 s[2:3], vcc, s[2:3]
	s_and_b64 exec, exec, s[2:3]
	s_cbranch_execz .LBB79_197
; %bb.192:
	v_cmp_ngt_f64_e64 s[2:3], |v[160:161]|, |v[162:163]|
                                        ; implicit-def: $vgpr164_vgpr165
	s_and_saveexec_b64 s[10:11], s[2:3]
	s_xor_b64 s[2:3], exec, s[10:11]
                                        ; implicit-def: $vgpr166_vgpr167
	s_cbranch_execz .LBB79_194
; %bb.193:
	v_div_scale_f64 v[164:165], s[10:11], v[162:163], v[162:163], v[160:161]
	v_rcp_f64_e32 v[166:167], v[164:165]
	v_div_scale_f64 v[168:169], vcc, v[160:161], v[162:163], v[160:161]
	v_fma_f64 v[170:171], -v[164:165], v[166:167], 1.0
	v_fmac_f64_e32 v[166:167], v[166:167], v[170:171]
	v_fma_f64 v[170:171], -v[164:165], v[166:167], 1.0
	v_fmac_f64_e32 v[166:167], v[166:167], v[170:171]
	v_mul_f64 v[170:171], v[168:169], v[166:167]
	v_fma_f64 v[164:165], -v[164:165], v[170:171], v[168:169]
	v_div_fmas_f64 v[164:165], v[164:165], v[166:167], v[170:171]
	v_div_fixup_f64 v[164:165], v[164:165], v[162:163], v[160:161]
	v_fmac_f64_e32 v[162:163], v[160:161], v[164:165]
	v_div_scale_f64 v[160:161], s[10:11], v[162:163], v[162:163], 1.0
	v_rcp_f64_e32 v[166:167], v[160:161]
	s_nop 0
	v_fma_f64 v[168:169], -v[160:161], v[166:167], 1.0
	v_fmac_f64_e32 v[166:167], v[166:167], v[168:169]
	v_fma_f64 v[168:169], -v[160:161], v[166:167], 1.0
	v_fmac_f64_e32 v[166:167], v[166:167], v[168:169]
	v_div_scale_f64 v[168:169], vcc, 1.0, v[162:163], 1.0
	v_mul_f64 v[170:171], v[168:169], v[166:167]
	v_fma_f64 v[160:161], -v[160:161], v[170:171], v[168:169]
	s_nop 1
	v_div_fmas_f64 v[160:161], v[160:161], v[166:167], v[170:171]
	v_div_fixup_f64 v[166:167], v[160:161], v[162:163], 1.0
	v_mul_f64 v[164:165], v[164:165], v[166:167]
	v_xor_b32_e32 v167, 0x80000000, v167
                                        ; implicit-def: $vgpr160_vgpr161
.LBB79_194:
	s_andn2_saveexec_b64 s[2:3], s[2:3]
	s_cbranch_execz .LBB79_196
; %bb.195:
	v_div_scale_f64 v[164:165], s[10:11], v[160:161], v[160:161], v[162:163]
	v_rcp_f64_e32 v[166:167], v[164:165]
	v_div_scale_f64 v[168:169], vcc, v[162:163], v[160:161], v[162:163]
	v_fma_f64 v[170:171], -v[164:165], v[166:167], 1.0
	v_fmac_f64_e32 v[166:167], v[166:167], v[170:171]
	v_fma_f64 v[170:171], -v[164:165], v[166:167], 1.0
	v_fmac_f64_e32 v[166:167], v[166:167], v[170:171]
	v_mul_f64 v[170:171], v[168:169], v[166:167]
	v_fma_f64 v[164:165], -v[164:165], v[170:171], v[168:169]
	v_div_fmas_f64 v[164:165], v[164:165], v[166:167], v[170:171]
	v_div_fixup_f64 v[166:167], v[164:165], v[160:161], v[162:163]
	v_fmac_f64_e32 v[160:161], v[162:163], v[166:167]
	v_div_scale_f64 v[162:163], s[10:11], v[160:161], v[160:161], 1.0
	v_rcp_f64_e32 v[164:165], v[162:163]
	s_nop 0
	v_fma_f64 v[168:169], -v[162:163], v[164:165], 1.0
	v_fmac_f64_e32 v[164:165], v[164:165], v[168:169]
	v_fma_f64 v[168:169], -v[162:163], v[164:165], 1.0
	v_fmac_f64_e32 v[164:165], v[164:165], v[168:169]
	v_div_scale_f64 v[168:169], vcc, 1.0, v[160:161], 1.0
	v_mul_f64 v[170:171], v[168:169], v[164:165]
	v_fma_f64 v[162:163], -v[162:163], v[170:171], v[168:169]
	s_nop 1
	v_div_fmas_f64 v[162:163], v[162:163], v[164:165], v[170:171]
	v_div_fixup_f64 v[164:165], v[162:163], v[160:161], 1.0
	v_mul_f64 v[166:167], v[166:167], -v[164:165]
.LBB79_196:
	s_or_b64 exec, exec, s[2:3]
	ds_write2_b64 v225, v[164:165], v[166:167] offset1:1
.LBB79_197:
	s_or_b64 exec, exec, s[4:5]
	s_waitcnt lgkmcnt(0)
	s_barrier
	ds_read2_b64 v[160:163], v225 offset1:1
	v_cmp_lt_u32_e32 vcc, 21, v224
	s_waitcnt lgkmcnt(0)
	scratch_store_dwordx4 off, v[160:163], off offset:568 ; 16-byte Folded Spill
	s_and_saveexec_b64 s[2:3], vcc
	s_cbranch_execz .LBB79_199
; %bb.198:
	scratch_load_dwordx4 v[162:165], off, off offset:568 ; 16-byte Folded Reload
	s_waitcnt vmcnt(0)
	v_mul_f64 v[160:161], v[164:165], v[70:71]
	v_mul_f64 v[70:71], v[162:163], v[70:71]
	v_fma_f64 v[160:161], v[162:163], v[68:69], -v[160:161]
	v_fmac_f64_e32 v[70:71], v[164:165], v[68:69]
	ds_read2_b64 v[162:165], v226 offset0:44 offset1:45
	s_waitcnt lgkmcnt(0)
	v_mul_f64 v[68:69], v[164:165], v[70:71]
	v_fma_f64 v[68:69], v[162:163], v[160:161], -v[68:69]
	v_mul_f64 v[162:163], v[162:163], v[70:71]
	v_fmac_f64_e32 v[162:163], v[164:165], v[160:161]
	v_add_f64 v[66:67], v[66:67], -v[162:163]
	ds_read2_b64 v[162:165], v226 offset0:46 offset1:47
	v_add_f64 v[64:65], v[64:65], -v[68:69]
	s_waitcnt lgkmcnt(0)
	v_mul_f64 v[68:69], v[164:165], v[70:71]
	v_fma_f64 v[68:69], v[162:163], v[160:161], -v[68:69]
	v_mul_f64 v[162:163], v[162:163], v[70:71]
	v_fmac_f64_e32 v[162:163], v[164:165], v[160:161]
	v_add_f64 v[62:63], v[62:63], -v[162:163]
	ds_read2_b64 v[162:165], v226 offset0:48 offset1:49
	v_add_f64 v[60:61], v[60:61], -v[68:69]
	;; [unrolled: 8-line block ×17, first 2 shown]
	s_waitcnt lgkmcnt(0)
	v_mul_f64 v[68:69], v[164:165], v[70:71]
	v_fma_f64 v[68:69], v[162:163], v[160:161], -v[68:69]
	v_mul_f64 v[162:163], v[162:163], v[70:71]
	v_fmac_f64_e32 v[162:163], v[164:165], v[160:161]
	v_add_f64 v[156:157], v[156:157], -v[68:69]
	v_add_f64 v[158:159], v[158:159], -v[162:163]
	v_mov_b64_e32 v[68:69], v[160:161]
.LBB79_199:
	s_or_b64 exec, exec, s[2:3]
	v_cmp_eq_u32_e32 vcc, 22, v224
	s_waitcnt vmcnt(63) expcnt(7) lgkmcnt(15)
	s_barrier
	s_and_saveexec_b64 s[4:5], vcc
	s_cbranch_execz .LBB79_206
; %bb.200:
	ds_write2_b64 v225, v[64:65], v[66:67] offset1:1
	ds_write2_b64 v226, v[60:61], v[62:63] offset0:46 offset1:47
	ds_write2_b64 v226, v[56:57], v[58:59] offset0:48 offset1:49
	s_waitcnt vmcnt(62)
	ds_write2_b64 v226, v[52:53], v[54:55] offset0:50 offset1:51
	s_waitcnt vmcnt(61)
	;; [unrolled: 2-line block ×13, first 2 shown]
	ds_write2_b64 v226, v[4:5], v[6:7] offset0:74 offset1:75
	ds_write2_b64 v226, v[0:1], v[2:3] offset0:76 offset1:77
	s_waitcnt vmcnt(30)
	ds_write2_b64 v226, v[156:157], v[158:159] offset0:78 offset1:79
	ds_read2_b64 v[160:163], v225 offset1:1
	s_waitcnt lgkmcnt(0)
	v_cmp_neq_f64_e32 vcc, 0, v[160:161]
	v_cmp_neq_f64_e64 s[2:3], 0, v[162:163]
	s_or_b64 s[2:3], vcc, s[2:3]
	s_and_b64 exec, exec, s[2:3]
	s_cbranch_execz .LBB79_206
; %bb.201:
	v_cmp_ngt_f64_e64 s[2:3], |v[160:161]|, |v[162:163]|
                                        ; implicit-def: $vgpr164_vgpr165
	s_and_saveexec_b64 s[10:11], s[2:3]
	s_xor_b64 s[2:3], exec, s[10:11]
                                        ; implicit-def: $vgpr166_vgpr167
	s_cbranch_execz .LBB79_203
; %bb.202:
	v_div_scale_f64 v[164:165], s[10:11], v[162:163], v[162:163], v[160:161]
	v_rcp_f64_e32 v[166:167], v[164:165]
	v_div_scale_f64 v[168:169], vcc, v[160:161], v[162:163], v[160:161]
	v_fma_f64 v[170:171], -v[164:165], v[166:167], 1.0
	v_fmac_f64_e32 v[166:167], v[166:167], v[170:171]
	v_fma_f64 v[170:171], -v[164:165], v[166:167], 1.0
	v_fmac_f64_e32 v[166:167], v[166:167], v[170:171]
	v_mul_f64 v[170:171], v[168:169], v[166:167]
	v_fma_f64 v[164:165], -v[164:165], v[170:171], v[168:169]
	v_div_fmas_f64 v[164:165], v[164:165], v[166:167], v[170:171]
	v_div_fixup_f64 v[164:165], v[164:165], v[162:163], v[160:161]
	v_fmac_f64_e32 v[162:163], v[160:161], v[164:165]
	v_div_scale_f64 v[160:161], s[10:11], v[162:163], v[162:163], 1.0
	v_rcp_f64_e32 v[166:167], v[160:161]
	s_nop 0
	v_fma_f64 v[168:169], -v[160:161], v[166:167], 1.0
	v_fmac_f64_e32 v[166:167], v[166:167], v[168:169]
	v_fma_f64 v[168:169], -v[160:161], v[166:167], 1.0
	v_fmac_f64_e32 v[166:167], v[166:167], v[168:169]
	v_div_scale_f64 v[168:169], vcc, 1.0, v[162:163], 1.0
	v_mul_f64 v[170:171], v[168:169], v[166:167]
	v_fma_f64 v[160:161], -v[160:161], v[170:171], v[168:169]
	s_nop 1
	v_div_fmas_f64 v[160:161], v[160:161], v[166:167], v[170:171]
	v_div_fixup_f64 v[166:167], v[160:161], v[162:163], 1.0
	v_mul_f64 v[164:165], v[164:165], v[166:167]
	v_xor_b32_e32 v167, 0x80000000, v167
                                        ; implicit-def: $vgpr160_vgpr161
.LBB79_203:
	s_andn2_saveexec_b64 s[2:3], s[2:3]
	s_cbranch_execz .LBB79_205
; %bb.204:
	v_div_scale_f64 v[164:165], s[10:11], v[160:161], v[160:161], v[162:163]
	v_rcp_f64_e32 v[166:167], v[164:165]
	v_div_scale_f64 v[168:169], vcc, v[162:163], v[160:161], v[162:163]
	v_fma_f64 v[170:171], -v[164:165], v[166:167], 1.0
	v_fmac_f64_e32 v[166:167], v[166:167], v[170:171]
	v_fma_f64 v[170:171], -v[164:165], v[166:167], 1.0
	v_fmac_f64_e32 v[166:167], v[166:167], v[170:171]
	v_mul_f64 v[170:171], v[168:169], v[166:167]
	v_fma_f64 v[164:165], -v[164:165], v[170:171], v[168:169]
	v_div_fmas_f64 v[164:165], v[164:165], v[166:167], v[170:171]
	v_div_fixup_f64 v[166:167], v[164:165], v[160:161], v[162:163]
	v_fmac_f64_e32 v[160:161], v[162:163], v[166:167]
	v_div_scale_f64 v[162:163], s[10:11], v[160:161], v[160:161], 1.0
	v_rcp_f64_e32 v[164:165], v[162:163]
	s_nop 0
	v_fma_f64 v[168:169], -v[162:163], v[164:165], 1.0
	v_fmac_f64_e32 v[164:165], v[164:165], v[168:169]
	v_fma_f64 v[168:169], -v[162:163], v[164:165], 1.0
	v_fmac_f64_e32 v[164:165], v[164:165], v[168:169]
	v_div_scale_f64 v[168:169], vcc, 1.0, v[160:161], 1.0
	v_mul_f64 v[170:171], v[168:169], v[164:165]
	v_fma_f64 v[162:163], -v[162:163], v[170:171], v[168:169]
	s_nop 1
	v_div_fmas_f64 v[162:163], v[162:163], v[164:165], v[170:171]
	v_div_fixup_f64 v[164:165], v[162:163], v[160:161], 1.0
	v_mul_f64 v[166:167], v[166:167], -v[164:165]
.LBB79_205:
	s_or_b64 exec, exec, s[2:3]
	ds_write2_b64 v225, v[164:165], v[166:167] offset1:1
.LBB79_206:
	s_or_b64 exec, exec, s[4:5]
	s_waitcnt lgkmcnt(0)
	s_barrier
	ds_read2_b64 v[160:163], v225 offset1:1
	v_cmp_lt_u32_e32 vcc, 22, v224
	s_waitcnt lgkmcnt(0)
	scratch_store_dwordx4 off, v[160:163], off offset:584 ; 16-byte Folded Spill
	s_and_saveexec_b64 s[2:3], vcc
	s_cbranch_execz .LBB79_208
; %bb.207:
	scratch_load_dwordx4 v[162:165], off, off offset:584 ; 16-byte Folded Reload
	s_waitcnt vmcnt(0)
	v_mul_f64 v[160:161], v[164:165], v[66:67]
	v_mul_f64 v[66:67], v[162:163], v[66:67]
	v_fma_f64 v[160:161], v[162:163], v[64:65], -v[160:161]
	v_fmac_f64_e32 v[66:67], v[164:165], v[64:65]
	ds_read2_b64 v[162:165], v226 offset0:46 offset1:47
	s_waitcnt lgkmcnt(0)
	v_mul_f64 v[64:65], v[164:165], v[66:67]
	v_fma_f64 v[64:65], v[162:163], v[160:161], -v[64:65]
	v_mul_f64 v[162:163], v[162:163], v[66:67]
	v_fmac_f64_e32 v[162:163], v[164:165], v[160:161]
	v_add_f64 v[62:63], v[62:63], -v[162:163]
	ds_read2_b64 v[162:165], v226 offset0:48 offset1:49
	v_add_f64 v[60:61], v[60:61], -v[64:65]
	s_waitcnt lgkmcnt(0)
	v_mul_f64 v[64:65], v[164:165], v[66:67]
	v_fma_f64 v[64:65], v[162:163], v[160:161], -v[64:65]
	v_mul_f64 v[162:163], v[162:163], v[66:67]
	v_fmac_f64_e32 v[162:163], v[164:165], v[160:161]
	v_add_f64 v[58:59], v[58:59], -v[162:163]
	ds_read2_b64 v[162:165], v226 offset0:50 offset1:51
	v_add_f64 v[56:57], v[56:57], -v[64:65]
	s_waitcnt lgkmcnt(0)
	v_mul_f64 v[64:65], v[164:165], v[66:67]
	v_fma_f64 v[64:65], v[162:163], v[160:161], -v[64:65]
	v_mul_f64 v[162:163], v[162:163], v[66:67]
	v_fmac_f64_e32 v[162:163], v[164:165], v[160:161]
	v_add_f64 v[54:55], v[54:55], -v[162:163]
	ds_read2_b64 v[162:165], v226 offset0:52 offset1:53
	v_add_f64 v[52:53], v[52:53], -v[64:65]
	s_waitcnt lgkmcnt(0)
	v_mul_f64 v[64:65], v[164:165], v[66:67]
	v_fma_f64 v[64:65], v[162:163], v[160:161], -v[64:65]
	v_mul_f64 v[162:163], v[162:163], v[66:67]
	v_fmac_f64_e32 v[162:163], v[164:165], v[160:161]
	v_add_f64 v[50:51], v[50:51], -v[162:163]
	ds_read2_b64 v[162:165], v226 offset0:54 offset1:55
	v_add_f64 v[48:49], v[48:49], -v[64:65]
	s_waitcnt lgkmcnt(0)
	v_mul_f64 v[64:65], v[164:165], v[66:67]
	v_fma_f64 v[64:65], v[162:163], v[160:161], -v[64:65]
	v_mul_f64 v[162:163], v[162:163], v[66:67]
	v_fmac_f64_e32 v[162:163], v[164:165], v[160:161]
	v_add_f64 v[46:47], v[46:47], -v[162:163]
	ds_read2_b64 v[162:165], v226 offset0:56 offset1:57
	v_add_f64 v[44:45], v[44:45], -v[64:65]
	s_waitcnt lgkmcnt(0)
	v_mul_f64 v[64:65], v[164:165], v[66:67]
	v_fma_f64 v[64:65], v[162:163], v[160:161], -v[64:65]
	v_mul_f64 v[162:163], v[162:163], v[66:67]
	v_fmac_f64_e32 v[162:163], v[164:165], v[160:161]
	v_add_f64 v[42:43], v[42:43], -v[162:163]
	ds_read2_b64 v[162:165], v226 offset0:58 offset1:59
	v_add_f64 v[40:41], v[40:41], -v[64:65]
	s_waitcnt lgkmcnt(0)
	v_mul_f64 v[64:65], v[164:165], v[66:67]
	v_fma_f64 v[64:65], v[162:163], v[160:161], -v[64:65]
	v_mul_f64 v[162:163], v[162:163], v[66:67]
	v_fmac_f64_e32 v[162:163], v[164:165], v[160:161]
	v_add_f64 v[38:39], v[38:39], -v[162:163]
	ds_read2_b64 v[162:165], v226 offset0:60 offset1:61
	v_add_f64 v[36:37], v[36:37], -v[64:65]
	s_waitcnt lgkmcnt(0)
	v_mul_f64 v[64:65], v[164:165], v[66:67]
	v_fma_f64 v[64:65], v[162:163], v[160:161], -v[64:65]
	v_mul_f64 v[162:163], v[162:163], v[66:67]
	v_fmac_f64_e32 v[162:163], v[164:165], v[160:161]
	v_add_f64 v[34:35], v[34:35], -v[162:163]
	ds_read2_b64 v[162:165], v226 offset0:62 offset1:63
	v_add_f64 v[32:33], v[32:33], -v[64:65]
	s_waitcnt lgkmcnt(0)
	v_mul_f64 v[64:65], v[164:165], v[66:67]
	v_fma_f64 v[64:65], v[162:163], v[160:161], -v[64:65]
	v_mul_f64 v[162:163], v[162:163], v[66:67]
	v_fmac_f64_e32 v[162:163], v[164:165], v[160:161]
	v_add_f64 v[30:31], v[30:31], -v[162:163]
	ds_read2_b64 v[162:165], v226 offset0:64 offset1:65
	v_add_f64 v[28:29], v[28:29], -v[64:65]
	s_waitcnt lgkmcnt(0)
	v_mul_f64 v[64:65], v[164:165], v[66:67]
	v_fma_f64 v[64:65], v[162:163], v[160:161], -v[64:65]
	v_mul_f64 v[162:163], v[162:163], v[66:67]
	v_fmac_f64_e32 v[162:163], v[164:165], v[160:161]
	v_add_f64 v[26:27], v[26:27], -v[162:163]
	ds_read2_b64 v[162:165], v226 offset0:66 offset1:67
	v_add_f64 v[24:25], v[24:25], -v[64:65]
	s_waitcnt lgkmcnt(0)
	v_mul_f64 v[64:65], v[164:165], v[66:67]
	v_fma_f64 v[64:65], v[162:163], v[160:161], -v[64:65]
	v_mul_f64 v[162:163], v[162:163], v[66:67]
	v_fmac_f64_e32 v[162:163], v[164:165], v[160:161]
	v_add_f64 v[22:23], v[22:23], -v[162:163]
	ds_read2_b64 v[162:165], v226 offset0:68 offset1:69
	v_add_f64 v[20:21], v[20:21], -v[64:65]
	s_waitcnt lgkmcnt(0)
	v_mul_f64 v[64:65], v[164:165], v[66:67]
	v_fma_f64 v[64:65], v[162:163], v[160:161], -v[64:65]
	v_mul_f64 v[162:163], v[162:163], v[66:67]
	v_fmac_f64_e32 v[162:163], v[164:165], v[160:161]
	v_add_f64 v[18:19], v[18:19], -v[162:163]
	ds_read2_b64 v[162:165], v226 offset0:70 offset1:71
	v_add_f64 v[16:17], v[16:17], -v[64:65]
	s_waitcnt lgkmcnt(0)
	v_mul_f64 v[64:65], v[164:165], v[66:67]
	v_fma_f64 v[64:65], v[162:163], v[160:161], -v[64:65]
	v_mul_f64 v[162:163], v[162:163], v[66:67]
	v_fmac_f64_e32 v[162:163], v[164:165], v[160:161]
	v_add_f64 v[14:15], v[14:15], -v[162:163]
	ds_read2_b64 v[162:165], v226 offset0:72 offset1:73
	v_add_f64 v[12:13], v[12:13], -v[64:65]
	s_waitcnt lgkmcnt(0)
	v_mul_f64 v[64:65], v[164:165], v[66:67]
	v_fma_f64 v[64:65], v[162:163], v[160:161], -v[64:65]
	v_mul_f64 v[162:163], v[162:163], v[66:67]
	v_fmac_f64_e32 v[162:163], v[164:165], v[160:161]
	v_add_f64 v[10:11], v[10:11], -v[162:163]
	ds_read2_b64 v[162:165], v226 offset0:74 offset1:75
	v_add_f64 v[8:9], v[8:9], -v[64:65]
	s_waitcnt lgkmcnt(0)
	v_mul_f64 v[64:65], v[164:165], v[66:67]
	v_fma_f64 v[64:65], v[162:163], v[160:161], -v[64:65]
	v_mul_f64 v[162:163], v[162:163], v[66:67]
	v_fmac_f64_e32 v[162:163], v[164:165], v[160:161]
	v_add_f64 v[6:7], v[6:7], -v[162:163]
	ds_read2_b64 v[162:165], v226 offset0:76 offset1:77
	v_add_f64 v[4:5], v[4:5], -v[64:65]
	s_waitcnt lgkmcnt(0)
	v_mul_f64 v[64:65], v[164:165], v[66:67]
	v_fma_f64 v[64:65], v[162:163], v[160:161], -v[64:65]
	v_mul_f64 v[162:163], v[162:163], v[66:67]
	v_fmac_f64_e32 v[162:163], v[164:165], v[160:161]
	v_add_f64 v[2:3], v[2:3], -v[162:163]
	ds_read2_b64 v[162:165], v226 offset0:78 offset1:79
	v_add_f64 v[0:1], v[0:1], -v[64:65]
	s_waitcnt lgkmcnt(0)
	v_mul_f64 v[64:65], v[164:165], v[66:67]
	v_fma_f64 v[64:65], v[162:163], v[160:161], -v[64:65]
	v_mul_f64 v[162:163], v[162:163], v[66:67]
	v_fmac_f64_e32 v[162:163], v[164:165], v[160:161]
	v_add_f64 v[156:157], v[156:157], -v[64:65]
	v_add_f64 v[158:159], v[158:159], -v[162:163]
	v_mov_b64_e32 v[64:65], v[160:161]
.LBB79_208:
	s_or_b64 exec, exec, s[2:3]
	v_cmp_eq_u32_e32 vcc, 23, v224
	s_waitcnt vmcnt(63) expcnt(7) lgkmcnt(15)
	s_barrier
	s_and_saveexec_b64 s[4:5], vcc
	s_cbranch_execz .LBB79_215
; %bb.209:
	ds_write2_b64 v225, v[60:61], v[62:63] offset1:1
	ds_write2_b64 v226, v[56:57], v[58:59] offset0:48 offset1:49
	ds_write2_b64 v226, v[52:53], v[54:55] offset0:50 offset1:51
	s_waitcnt vmcnt(62)
	ds_write2_b64 v226, v[48:49], v[50:51] offset0:52 offset1:53
	s_waitcnt vmcnt(61)
	;; [unrolled: 2-line block ×12, first 2 shown]
	ds_write2_b64 v226, v[4:5], v[6:7] offset0:74 offset1:75
	ds_write2_b64 v226, v[0:1], v[2:3] offset0:76 offset1:77
	s_waitcnt vmcnt(31)
	ds_write2_b64 v226, v[156:157], v[158:159] offset0:78 offset1:79
	ds_read2_b64 v[160:163], v225 offset1:1
	s_waitcnt lgkmcnt(0)
	v_cmp_neq_f64_e32 vcc, 0, v[160:161]
	v_cmp_neq_f64_e64 s[2:3], 0, v[162:163]
	s_or_b64 s[2:3], vcc, s[2:3]
	s_and_b64 exec, exec, s[2:3]
	s_cbranch_execz .LBB79_215
; %bb.210:
	v_cmp_ngt_f64_e64 s[2:3], |v[160:161]|, |v[162:163]|
                                        ; implicit-def: $vgpr164_vgpr165
	s_and_saveexec_b64 s[10:11], s[2:3]
	s_xor_b64 s[2:3], exec, s[10:11]
                                        ; implicit-def: $vgpr166_vgpr167
	s_cbranch_execz .LBB79_212
; %bb.211:
	v_div_scale_f64 v[164:165], s[10:11], v[162:163], v[162:163], v[160:161]
	v_rcp_f64_e32 v[166:167], v[164:165]
	v_div_scale_f64 v[168:169], vcc, v[160:161], v[162:163], v[160:161]
	v_fma_f64 v[170:171], -v[164:165], v[166:167], 1.0
	v_fmac_f64_e32 v[166:167], v[166:167], v[170:171]
	v_fma_f64 v[170:171], -v[164:165], v[166:167], 1.0
	v_fmac_f64_e32 v[166:167], v[166:167], v[170:171]
	v_mul_f64 v[170:171], v[168:169], v[166:167]
	v_fma_f64 v[164:165], -v[164:165], v[170:171], v[168:169]
	v_div_fmas_f64 v[164:165], v[164:165], v[166:167], v[170:171]
	v_div_fixup_f64 v[164:165], v[164:165], v[162:163], v[160:161]
	v_fmac_f64_e32 v[162:163], v[160:161], v[164:165]
	v_div_scale_f64 v[160:161], s[10:11], v[162:163], v[162:163], 1.0
	v_rcp_f64_e32 v[166:167], v[160:161]
	s_nop 0
	v_fma_f64 v[168:169], -v[160:161], v[166:167], 1.0
	v_fmac_f64_e32 v[166:167], v[166:167], v[168:169]
	v_fma_f64 v[168:169], -v[160:161], v[166:167], 1.0
	v_fmac_f64_e32 v[166:167], v[166:167], v[168:169]
	v_div_scale_f64 v[168:169], vcc, 1.0, v[162:163], 1.0
	v_mul_f64 v[170:171], v[168:169], v[166:167]
	v_fma_f64 v[160:161], -v[160:161], v[170:171], v[168:169]
	s_nop 1
	v_div_fmas_f64 v[160:161], v[160:161], v[166:167], v[170:171]
	v_div_fixup_f64 v[166:167], v[160:161], v[162:163], 1.0
	v_mul_f64 v[164:165], v[164:165], v[166:167]
	v_xor_b32_e32 v167, 0x80000000, v167
                                        ; implicit-def: $vgpr160_vgpr161
.LBB79_212:
	s_andn2_saveexec_b64 s[2:3], s[2:3]
	s_cbranch_execz .LBB79_214
; %bb.213:
	v_div_scale_f64 v[164:165], s[10:11], v[160:161], v[160:161], v[162:163]
	v_rcp_f64_e32 v[166:167], v[164:165]
	v_div_scale_f64 v[168:169], vcc, v[162:163], v[160:161], v[162:163]
	v_fma_f64 v[170:171], -v[164:165], v[166:167], 1.0
	v_fmac_f64_e32 v[166:167], v[166:167], v[170:171]
	v_fma_f64 v[170:171], -v[164:165], v[166:167], 1.0
	v_fmac_f64_e32 v[166:167], v[166:167], v[170:171]
	v_mul_f64 v[170:171], v[168:169], v[166:167]
	v_fma_f64 v[164:165], -v[164:165], v[170:171], v[168:169]
	v_div_fmas_f64 v[164:165], v[164:165], v[166:167], v[170:171]
	v_div_fixup_f64 v[166:167], v[164:165], v[160:161], v[162:163]
	v_fmac_f64_e32 v[160:161], v[162:163], v[166:167]
	v_div_scale_f64 v[162:163], s[10:11], v[160:161], v[160:161], 1.0
	v_rcp_f64_e32 v[164:165], v[162:163]
	s_nop 0
	v_fma_f64 v[168:169], -v[162:163], v[164:165], 1.0
	v_fmac_f64_e32 v[164:165], v[164:165], v[168:169]
	v_fma_f64 v[168:169], -v[162:163], v[164:165], 1.0
	v_fmac_f64_e32 v[164:165], v[164:165], v[168:169]
	v_div_scale_f64 v[168:169], vcc, 1.0, v[160:161], 1.0
	v_mul_f64 v[170:171], v[168:169], v[164:165]
	v_fma_f64 v[162:163], -v[162:163], v[170:171], v[168:169]
	s_nop 1
	v_div_fmas_f64 v[162:163], v[162:163], v[164:165], v[170:171]
	v_div_fixup_f64 v[164:165], v[162:163], v[160:161], 1.0
	v_mul_f64 v[166:167], v[166:167], -v[164:165]
.LBB79_214:
	s_or_b64 exec, exec, s[2:3]
	ds_write2_b64 v225, v[164:165], v[166:167] offset1:1
.LBB79_215:
	s_or_b64 exec, exec, s[4:5]
	s_waitcnt lgkmcnt(0)
	s_barrier
	ds_read2_b64 v[160:163], v225 offset1:1
	v_cmp_lt_u32_e32 vcc, 23, v224
	s_waitcnt lgkmcnt(0)
	scratch_store_dwordx4 off, v[160:163], off offset:600 ; 16-byte Folded Spill
	s_and_saveexec_b64 s[2:3], vcc
	s_cbranch_execz .LBB79_217
; %bb.216:
	scratch_load_dwordx4 v[162:165], off, off offset:600 ; 16-byte Folded Reload
	s_waitcnt vmcnt(0)
	v_mul_f64 v[160:161], v[162:163], v[62:63]
	v_mul_f64 v[62:63], v[164:165], v[62:63]
	v_fmac_f64_e32 v[160:161], v[164:165], v[60:61]
	v_fma_f64 v[60:61], v[162:163], v[60:61], -v[62:63]
	ds_read2_b64 v[162:165], v226 offset0:48 offset1:49
	s_waitcnt lgkmcnt(0)
	v_mul_f64 v[62:63], v[164:165], v[160:161]
	v_fma_f64 v[62:63], v[162:163], v[60:61], -v[62:63]
	v_mul_f64 v[162:163], v[162:163], v[160:161]
	v_fmac_f64_e32 v[162:163], v[164:165], v[60:61]
	v_add_f64 v[58:59], v[58:59], -v[162:163]
	ds_read2_b64 v[162:165], v226 offset0:50 offset1:51
	v_add_f64 v[56:57], v[56:57], -v[62:63]
	s_waitcnt lgkmcnt(0)
	v_mul_f64 v[62:63], v[164:165], v[160:161]
	v_fma_f64 v[62:63], v[162:163], v[60:61], -v[62:63]
	v_mul_f64 v[162:163], v[162:163], v[160:161]
	v_fmac_f64_e32 v[162:163], v[164:165], v[60:61]
	v_add_f64 v[54:55], v[54:55], -v[162:163]
	ds_read2_b64 v[162:165], v226 offset0:52 offset1:53
	v_add_f64 v[52:53], v[52:53], -v[62:63]
	;; [unrolled: 8-line block ×15, first 2 shown]
	s_waitcnt lgkmcnt(0)
	v_mul_f64 v[62:63], v[164:165], v[160:161]
	v_fma_f64 v[62:63], v[162:163], v[60:61], -v[62:63]
	v_mul_f64 v[162:163], v[162:163], v[160:161]
	v_fmac_f64_e32 v[162:163], v[164:165], v[60:61]
	v_add_f64 v[156:157], v[156:157], -v[62:63]
	v_add_f64 v[158:159], v[158:159], -v[162:163]
	v_mov_b64_e32 v[62:63], v[160:161]
.LBB79_217:
	s_or_b64 exec, exec, s[2:3]
	v_cmp_eq_u32_e32 vcc, 24, v224
	s_waitcnt vmcnt(63) expcnt(7) lgkmcnt(15)
	s_barrier
	s_and_saveexec_b64 s[4:5], vcc
	s_cbranch_execz .LBB79_224
; %bb.218:
	ds_write2_b64 v225, v[56:57], v[58:59] offset1:1
	ds_write2_b64 v226, v[52:53], v[54:55] offset0:50 offset1:51
	ds_write2_b64 v226, v[48:49], v[50:51] offset0:52 offset1:53
	s_waitcnt vmcnt(62)
	ds_write2_b64 v226, v[44:45], v[46:47] offset0:54 offset1:55
	s_waitcnt vmcnt(61)
	;; [unrolled: 2-line block ×11, first 2 shown]
	ds_write2_b64 v226, v[4:5], v[6:7] offset0:74 offset1:75
	ds_write2_b64 v226, v[0:1], v[2:3] offset0:76 offset1:77
	s_waitcnt vmcnt(32)
	ds_write2_b64 v226, v[156:157], v[158:159] offset0:78 offset1:79
	ds_read2_b64 v[160:163], v225 offset1:1
	s_waitcnt lgkmcnt(0)
	v_cmp_neq_f64_e32 vcc, 0, v[160:161]
	v_cmp_neq_f64_e64 s[2:3], 0, v[162:163]
	s_or_b64 s[2:3], vcc, s[2:3]
	s_and_b64 exec, exec, s[2:3]
	s_cbranch_execz .LBB79_224
; %bb.219:
	v_cmp_ngt_f64_e64 s[2:3], |v[160:161]|, |v[162:163]|
                                        ; implicit-def: $vgpr164_vgpr165
	s_and_saveexec_b64 s[10:11], s[2:3]
	s_xor_b64 s[2:3], exec, s[10:11]
                                        ; implicit-def: $vgpr166_vgpr167
	s_cbranch_execz .LBB79_221
; %bb.220:
	v_div_scale_f64 v[164:165], s[10:11], v[162:163], v[162:163], v[160:161]
	v_rcp_f64_e32 v[166:167], v[164:165]
	v_div_scale_f64 v[168:169], vcc, v[160:161], v[162:163], v[160:161]
	v_fma_f64 v[170:171], -v[164:165], v[166:167], 1.0
	v_fmac_f64_e32 v[166:167], v[166:167], v[170:171]
	v_fma_f64 v[170:171], -v[164:165], v[166:167], 1.0
	v_fmac_f64_e32 v[166:167], v[166:167], v[170:171]
	v_mul_f64 v[170:171], v[168:169], v[166:167]
	v_fma_f64 v[164:165], -v[164:165], v[170:171], v[168:169]
	v_div_fmas_f64 v[164:165], v[164:165], v[166:167], v[170:171]
	v_div_fixup_f64 v[164:165], v[164:165], v[162:163], v[160:161]
	v_fmac_f64_e32 v[162:163], v[160:161], v[164:165]
	v_div_scale_f64 v[160:161], s[10:11], v[162:163], v[162:163], 1.0
	v_rcp_f64_e32 v[166:167], v[160:161]
	s_nop 0
	v_fma_f64 v[168:169], -v[160:161], v[166:167], 1.0
	v_fmac_f64_e32 v[166:167], v[166:167], v[168:169]
	v_fma_f64 v[168:169], -v[160:161], v[166:167], 1.0
	v_fmac_f64_e32 v[166:167], v[166:167], v[168:169]
	v_div_scale_f64 v[168:169], vcc, 1.0, v[162:163], 1.0
	v_mul_f64 v[170:171], v[168:169], v[166:167]
	v_fma_f64 v[160:161], -v[160:161], v[170:171], v[168:169]
	s_nop 1
	v_div_fmas_f64 v[160:161], v[160:161], v[166:167], v[170:171]
	v_div_fixup_f64 v[166:167], v[160:161], v[162:163], 1.0
	v_mul_f64 v[164:165], v[164:165], v[166:167]
	v_xor_b32_e32 v167, 0x80000000, v167
                                        ; implicit-def: $vgpr160_vgpr161
.LBB79_221:
	s_andn2_saveexec_b64 s[2:3], s[2:3]
	s_cbranch_execz .LBB79_223
; %bb.222:
	v_div_scale_f64 v[164:165], s[10:11], v[160:161], v[160:161], v[162:163]
	v_rcp_f64_e32 v[166:167], v[164:165]
	v_div_scale_f64 v[168:169], vcc, v[162:163], v[160:161], v[162:163]
	v_fma_f64 v[170:171], -v[164:165], v[166:167], 1.0
	v_fmac_f64_e32 v[166:167], v[166:167], v[170:171]
	v_fma_f64 v[170:171], -v[164:165], v[166:167], 1.0
	v_fmac_f64_e32 v[166:167], v[166:167], v[170:171]
	v_mul_f64 v[170:171], v[168:169], v[166:167]
	v_fma_f64 v[164:165], -v[164:165], v[170:171], v[168:169]
	v_div_fmas_f64 v[164:165], v[164:165], v[166:167], v[170:171]
	v_div_fixup_f64 v[166:167], v[164:165], v[160:161], v[162:163]
	v_fmac_f64_e32 v[160:161], v[162:163], v[166:167]
	v_div_scale_f64 v[162:163], s[10:11], v[160:161], v[160:161], 1.0
	v_rcp_f64_e32 v[164:165], v[162:163]
	s_nop 0
	v_fma_f64 v[168:169], -v[162:163], v[164:165], 1.0
	v_fmac_f64_e32 v[164:165], v[164:165], v[168:169]
	v_fma_f64 v[168:169], -v[162:163], v[164:165], 1.0
	v_fmac_f64_e32 v[164:165], v[164:165], v[168:169]
	v_div_scale_f64 v[168:169], vcc, 1.0, v[160:161], 1.0
	v_mul_f64 v[170:171], v[168:169], v[164:165]
	v_fma_f64 v[162:163], -v[162:163], v[170:171], v[168:169]
	s_nop 1
	v_div_fmas_f64 v[162:163], v[162:163], v[164:165], v[170:171]
	v_div_fixup_f64 v[164:165], v[162:163], v[160:161], 1.0
	v_mul_f64 v[166:167], v[166:167], -v[164:165]
.LBB79_223:
	s_or_b64 exec, exec, s[2:3]
	ds_write2_b64 v225, v[164:165], v[166:167] offset1:1
.LBB79_224:
	s_or_b64 exec, exec, s[4:5]
	s_waitcnt lgkmcnt(0)
	s_barrier
	ds_read2_b64 v[160:163], v225 offset1:1
	v_cmp_lt_u32_e32 vcc, 24, v224
	s_waitcnt lgkmcnt(0)
	scratch_store_dwordx4 off, v[160:163], off offset:616 ; 16-byte Folded Spill
	s_and_saveexec_b64 s[2:3], vcc
	s_cbranch_execz .LBB79_226
; %bb.225:
	scratch_load_dwordx4 v[160:163], off, off offset:616 ; 16-byte Folded Reload
	ds_read2_b64 v[166:169], v226 offset0:50 offset1:51
	s_waitcnt vmcnt(0)
	v_mul_f64 v[164:165], v[160:161], v[58:59]
	v_fmac_f64_e32 v[164:165], v[162:163], v[56:57]
	v_mul_f64 v[58:59], v[162:163], v[58:59]
	v_fma_f64 v[56:57], v[160:161], v[56:57], -v[58:59]
	s_waitcnt lgkmcnt(0)
	v_mul_f64 v[58:59], v[168:169], v[164:165]
	v_fma_f64 v[58:59], v[166:167], v[56:57], -v[58:59]
	v_mul_f64 v[166:167], v[166:167], v[164:165]
	v_fmac_f64_e32 v[166:167], v[168:169], v[56:57]
	v_add_f64 v[54:55], v[54:55], -v[166:167]
	ds_read2_b64 v[166:169], v226 offset0:52 offset1:53
	v_add_f64 v[52:53], v[52:53], -v[58:59]
	s_waitcnt lgkmcnt(0)
	v_mul_f64 v[58:59], v[168:169], v[164:165]
	v_fma_f64 v[58:59], v[166:167], v[56:57], -v[58:59]
	v_mul_f64 v[166:167], v[166:167], v[164:165]
	v_fmac_f64_e32 v[166:167], v[168:169], v[56:57]
	v_add_f64 v[50:51], v[50:51], -v[166:167]
	ds_read2_b64 v[166:169], v226 offset0:54 offset1:55
	v_add_f64 v[48:49], v[48:49], -v[58:59]
	;; [unrolled: 8-line block ×14, first 2 shown]
	s_waitcnt lgkmcnt(0)
	v_mul_f64 v[58:59], v[168:169], v[164:165]
	v_fma_f64 v[58:59], v[166:167], v[56:57], -v[58:59]
	v_mul_f64 v[166:167], v[166:167], v[164:165]
	v_fmac_f64_e32 v[166:167], v[168:169], v[56:57]
	v_add_f64 v[156:157], v[156:157], -v[58:59]
	v_add_f64 v[158:159], v[158:159], -v[166:167]
	v_mov_b64_e32 v[58:59], v[164:165]
.LBB79_226:
	s_or_b64 exec, exec, s[2:3]
	v_cmp_eq_u32_e32 vcc, 25, v224
	s_waitcnt vmcnt(63) expcnt(7) lgkmcnt(15)
	s_barrier
	s_and_saveexec_b64 s[4:5], vcc
	s_cbranch_execz .LBB79_233
; %bb.227:
	ds_write2_b64 v225, v[52:53], v[54:55] offset1:1
	ds_write2_b64 v226, v[48:49], v[50:51] offset0:52 offset1:53
	ds_write2_b64 v226, v[44:45], v[46:47] offset0:54 offset1:55
	s_waitcnt vmcnt(62)
	ds_write2_b64 v226, v[40:41], v[42:43] offset0:56 offset1:57
	s_waitcnt vmcnt(61)
	;; [unrolled: 2-line block ×10, first 2 shown]
	ds_write2_b64 v226, v[4:5], v[6:7] offset0:74 offset1:75
	ds_write2_b64 v226, v[0:1], v[2:3] offset0:76 offset1:77
	s_waitcnt vmcnt(33)
	ds_write2_b64 v226, v[156:157], v[158:159] offset0:78 offset1:79
	ds_read2_b64 v[164:167], v225 offset1:1
	s_waitcnt lgkmcnt(0)
	v_cmp_neq_f64_e32 vcc, 0, v[164:165]
	v_cmp_neq_f64_e64 s[2:3], 0, v[166:167]
	s_or_b64 s[2:3], vcc, s[2:3]
	s_and_b64 exec, exec, s[2:3]
	s_cbranch_execz .LBB79_233
; %bb.228:
	v_cmp_ngt_f64_e64 s[2:3], |v[164:165]|, |v[166:167]|
                                        ; implicit-def: $vgpr168_vgpr169
	s_and_saveexec_b64 s[10:11], s[2:3]
	s_xor_b64 s[2:3], exec, s[10:11]
                                        ; implicit-def: $vgpr170_vgpr171
	s_cbranch_execz .LBB79_230
; %bb.229:
	v_div_scale_f64 v[168:169], s[10:11], v[166:167], v[166:167], v[164:165]
	v_rcp_f64_e32 v[170:171], v[168:169]
	v_div_scale_f64 v[172:173], vcc, v[164:165], v[166:167], v[164:165]
	v_fma_f64 v[174:175], -v[168:169], v[170:171], 1.0
	v_fmac_f64_e32 v[170:171], v[170:171], v[174:175]
	v_fma_f64 v[174:175], -v[168:169], v[170:171], 1.0
	v_fmac_f64_e32 v[170:171], v[170:171], v[174:175]
	v_mul_f64 v[174:175], v[172:173], v[170:171]
	v_fma_f64 v[168:169], -v[168:169], v[174:175], v[172:173]
	v_div_fmas_f64 v[168:169], v[168:169], v[170:171], v[174:175]
	v_div_fixup_f64 v[168:169], v[168:169], v[166:167], v[164:165]
	v_fmac_f64_e32 v[166:167], v[164:165], v[168:169]
	v_div_scale_f64 v[164:165], s[10:11], v[166:167], v[166:167], 1.0
	v_rcp_f64_e32 v[170:171], v[164:165]
	s_nop 0
	v_fma_f64 v[172:173], -v[164:165], v[170:171], 1.0
	v_fmac_f64_e32 v[170:171], v[170:171], v[172:173]
	v_fma_f64 v[172:173], -v[164:165], v[170:171], 1.0
	v_fmac_f64_e32 v[170:171], v[170:171], v[172:173]
	v_div_scale_f64 v[172:173], vcc, 1.0, v[166:167], 1.0
	v_mul_f64 v[174:175], v[172:173], v[170:171]
	v_fma_f64 v[164:165], -v[164:165], v[174:175], v[172:173]
	s_nop 1
	v_div_fmas_f64 v[164:165], v[164:165], v[170:171], v[174:175]
	v_div_fixup_f64 v[170:171], v[164:165], v[166:167], 1.0
	v_mul_f64 v[168:169], v[168:169], v[170:171]
	v_xor_b32_e32 v171, 0x80000000, v171
                                        ; implicit-def: $vgpr164_vgpr165
.LBB79_230:
	s_andn2_saveexec_b64 s[2:3], s[2:3]
	s_cbranch_execz .LBB79_232
; %bb.231:
	v_div_scale_f64 v[168:169], s[10:11], v[164:165], v[164:165], v[166:167]
	v_rcp_f64_e32 v[170:171], v[168:169]
	v_div_scale_f64 v[172:173], vcc, v[166:167], v[164:165], v[166:167]
	v_fma_f64 v[174:175], -v[168:169], v[170:171], 1.0
	v_fmac_f64_e32 v[170:171], v[170:171], v[174:175]
	v_fma_f64 v[174:175], -v[168:169], v[170:171], 1.0
	v_fmac_f64_e32 v[170:171], v[170:171], v[174:175]
	v_mul_f64 v[174:175], v[172:173], v[170:171]
	v_fma_f64 v[168:169], -v[168:169], v[174:175], v[172:173]
	v_div_fmas_f64 v[168:169], v[168:169], v[170:171], v[174:175]
	v_div_fixup_f64 v[170:171], v[168:169], v[164:165], v[166:167]
	v_fmac_f64_e32 v[164:165], v[166:167], v[170:171]
	v_div_scale_f64 v[166:167], s[10:11], v[164:165], v[164:165], 1.0
	v_rcp_f64_e32 v[168:169], v[166:167]
	s_nop 0
	v_fma_f64 v[172:173], -v[166:167], v[168:169], 1.0
	v_fmac_f64_e32 v[168:169], v[168:169], v[172:173]
	v_fma_f64 v[172:173], -v[166:167], v[168:169], 1.0
	v_fmac_f64_e32 v[168:169], v[168:169], v[172:173]
	v_div_scale_f64 v[172:173], vcc, 1.0, v[164:165], 1.0
	v_mul_f64 v[174:175], v[172:173], v[168:169]
	v_fma_f64 v[166:167], -v[166:167], v[174:175], v[172:173]
	s_nop 1
	v_div_fmas_f64 v[166:167], v[166:167], v[168:169], v[174:175]
	v_div_fixup_f64 v[168:169], v[166:167], v[164:165], 1.0
	v_mul_f64 v[170:171], v[170:171], -v[168:169]
.LBB79_232:
	s_or_b64 exec, exec, s[2:3]
	ds_write2_b64 v225, v[168:169], v[170:171] offset1:1
.LBB79_233:
	s_or_b64 exec, exec, s[4:5]
	s_waitcnt lgkmcnt(0)
	s_barrier
	ds_read2_b64 v[164:167], v225 offset1:1
	v_cmp_lt_u32_e32 vcc, 25, v224
	s_and_saveexec_b64 s[2:3], vcc
	s_cbranch_execz .LBB79_235
; %bb.234:
	ds_read2_b64 v[170:173], v226 offset0:52 offset1:53
	s_waitcnt lgkmcnt(1)
	v_mul_f64 v[168:169], v[164:165], v[54:55]
	v_fmac_f64_e32 v[168:169], v[166:167], v[52:53]
	v_mul_f64 v[54:55], v[166:167], v[54:55]
	v_fma_f64 v[52:53], v[164:165], v[52:53], -v[54:55]
	s_waitcnt lgkmcnt(0)
	v_mul_f64 v[54:55], v[172:173], v[168:169]
	v_fma_f64 v[54:55], v[170:171], v[52:53], -v[54:55]
	v_mul_f64 v[170:171], v[170:171], v[168:169]
	v_fmac_f64_e32 v[170:171], v[172:173], v[52:53]
	v_add_f64 v[50:51], v[50:51], -v[170:171]
	ds_read2_b64 v[170:173], v226 offset0:54 offset1:55
	v_add_f64 v[48:49], v[48:49], -v[54:55]
	s_waitcnt lgkmcnt(0)
	v_mul_f64 v[54:55], v[172:173], v[168:169]
	v_fma_f64 v[54:55], v[170:171], v[52:53], -v[54:55]
	v_mul_f64 v[170:171], v[170:171], v[168:169]
	v_fmac_f64_e32 v[170:171], v[172:173], v[52:53]
	v_add_f64 v[46:47], v[46:47], -v[170:171]
	ds_read2_b64 v[170:173], v226 offset0:56 offset1:57
	v_add_f64 v[44:45], v[44:45], -v[54:55]
	s_waitcnt lgkmcnt(0)
	v_mul_f64 v[54:55], v[172:173], v[168:169]
	v_fma_f64 v[54:55], v[170:171], v[52:53], -v[54:55]
	v_mul_f64 v[170:171], v[170:171], v[168:169]
	v_fmac_f64_e32 v[170:171], v[172:173], v[52:53]
	s_waitcnt vmcnt(62)
	v_add_f64 v[42:43], v[42:43], -v[170:171]
	ds_read2_b64 v[170:173], v226 offset0:58 offset1:59
	v_add_f64 v[40:41], v[40:41], -v[54:55]
	s_waitcnt lgkmcnt(0)
	v_mul_f64 v[54:55], v[172:173], v[168:169]
	v_fma_f64 v[54:55], v[170:171], v[52:53], -v[54:55]
	v_mul_f64 v[170:171], v[170:171], v[168:169]
	v_fmac_f64_e32 v[170:171], v[172:173], v[52:53]
	s_waitcnt vmcnt(61)
	;; [unrolled: 9-line block ×10, first 2 shown]
	v_add_f64 v[6:7], v[6:7], -v[170:171]
	ds_read2_b64 v[170:173], v226 offset0:76 offset1:77
	v_add_f64 v[4:5], v[4:5], -v[54:55]
	s_waitcnt lgkmcnt(0)
	v_mul_f64 v[54:55], v[172:173], v[168:169]
	v_fma_f64 v[54:55], v[170:171], v[52:53], -v[54:55]
	v_mul_f64 v[170:171], v[170:171], v[168:169]
	v_fmac_f64_e32 v[170:171], v[172:173], v[52:53]
	v_add_f64 v[2:3], v[2:3], -v[170:171]
	ds_read2_b64 v[170:173], v226 offset0:78 offset1:79
	v_add_f64 v[0:1], v[0:1], -v[54:55]
	s_waitcnt lgkmcnt(0)
	v_mul_f64 v[54:55], v[172:173], v[168:169]
	v_fma_f64 v[54:55], v[170:171], v[52:53], -v[54:55]
	v_mul_f64 v[170:171], v[170:171], v[168:169]
	v_fmac_f64_e32 v[170:171], v[172:173], v[52:53]
	s_waitcnt vmcnt(33)
	v_add_f64 v[156:157], v[156:157], -v[54:55]
	v_add_f64 v[158:159], v[158:159], -v[170:171]
	v_mov_b64_e32 v[54:55], v[168:169]
.LBB79_235:
	s_or_b64 exec, exec, s[2:3]
	v_cmp_eq_u32_e32 vcc, 26, v224
	s_waitcnt lgkmcnt(0)
	s_barrier
	s_and_saveexec_b64 s[4:5], vcc
	s_cbranch_execz .LBB79_242
; %bb.236:
	ds_write2_b64 v225, v[48:49], v[50:51] offset1:1
	ds_write2_b64 v226, v[44:45], v[46:47] offset0:54 offset1:55
	s_waitcnt vmcnt(62)
	ds_write2_b64 v226, v[40:41], v[42:43] offset0:56 offset1:57
	s_waitcnt vmcnt(61)
	;; [unrolled: 2-line block ×10, first 2 shown]
	ds_write2_b64 v226, v[4:5], v[6:7] offset0:74 offset1:75
	ds_write2_b64 v226, v[0:1], v[2:3] offset0:76 offset1:77
	s_waitcnt vmcnt(33)
	ds_write2_b64 v226, v[156:157], v[158:159] offset0:78 offset1:79
	ds_read2_b64 v[168:171], v225 offset1:1
	s_waitcnt lgkmcnt(0)
	v_cmp_neq_f64_e32 vcc, 0, v[168:169]
	v_cmp_neq_f64_e64 s[2:3], 0, v[170:171]
	s_or_b64 s[2:3], vcc, s[2:3]
	s_and_b64 exec, exec, s[2:3]
	s_cbranch_execz .LBB79_242
; %bb.237:
	v_cmp_ngt_f64_e64 s[2:3], |v[168:169]|, |v[170:171]|
                                        ; implicit-def: $vgpr172_vgpr173
	s_and_saveexec_b64 s[10:11], s[2:3]
	s_xor_b64 s[2:3], exec, s[10:11]
                                        ; implicit-def: $vgpr174_vgpr175
	s_cbranch_execz .LBB79_239
; %bb.238:
	v_div_scale_f64 v[172:173], s[10:11], v[170:171], v[170:171], v[168:169]
	v_rcp_f64_e32 v[174:175], v[172:173]
	v_div_scale_f64 v[176:177], vcc, v[168:169], v[170:171], v[168:169]
	v_fma_f64 v[178:179], -v[172:173], v[174:175], 1.0
	v_fmac_f64_e32 v[174:175], v[174:175], v[178:179]
	v_fma_f64 v[178:179], -v[172:173], v[174:175], 1.0
	v_fmac_f64_e32 v[174:175], v[174:175], v[178:179]
	v_mul_f64 v[178:179], v[176:177], v[174:175]
	v_fma_f64 v[172:173], -v[172:173], v[178:179], v[176:177]
	v_div_fmas_f64 v[172:173], v[172:173], v[174:175], v[178:179]
	v_div_fixup_f64 v[172:173], v[172:173], v[170:171], v[168:169]
	v_fmac_f64_e32 v[170:171], v[168:169], v[172:173]
	v_div_scale_f64 v[168:169], s[10:11], v[170:171], v[170:171], 1.0
	v_rcp_f64_e32 v[174:175], v[168:169]
	s_nop 0
	v_fma_f64 v[176:177], -v[168:169], v[174:175], 1.0
	v_fmac_f64_e32 v[174:175], v[174:175], v[176:177]
	v_fma_f64 v[176:177], -v[168:169], v[174:175], 1.0
	v_fmac_f64_e32 v[174:175], v[174:175], v[176:177]
	v_div_scale_f64 v[176:177], vcc, 1.0, v[170:171], 1.0
	v_mul_f64 v[178:179], v[176:177], v[174:175]
	v_fma_f64 v[168:169], -v[168:169], v[178:179], v[176:177]
	s_nop 1
	v_div_fmas_f64 v[168:169], v[168:169], v[174:175], v[178:179]
	v_div_fixup_f64 v[174:175], v[168:169], v[170:171], 1.0
	v_mul_f64 v[172:173], v[172:173], v[174:175]
	v_xor_b32_e32 v175, 0x80000000, v175
                                        ; implicit-def: $vgpr168_vgpr169
.LBB79_239:
	s_andn2_saveexec_b64 s[2:3], s[2:3]
	s_cbranch_execz .LBB79_241
; %bb.240:
	v_div_scale_f64 v[172:173], s[10:11], v[168:169], v[168:169], v[170:171]
	v_rcp_f64_e32 v[174:175], v[172:173]
	v_div_scale_f64 v[176:177], vcc, v[170:171], v[168:169], v[170:171]
	v_fma_f64 v[178:179], -v[172:173], v[174:175], 1.0
	v_fmac_f64_e32 v[174:175], v[174:175], v[178:179]
	v_fma_f64 v[178:179], -v[172:173], v[174:175], 1.0
	v_fmac_f64_e32 v[174:175], v[174:175], v[178:179]
	v_mul_f64 v[178:179], v[176:177], v[174:175]
	v_fma_f64 v[172:173], -v[172:173], v[178:179], v[176:177]
	v_div_fmas_f64 v[172:173], v[172:173], v[174:175], v[178:179]
	v_div_fixup_f64 v[174:175], v[172:173], v[168:169], v[170:171]
	v_fmac_f64_e32 v[168:169], v[170:171], v[174:175]
	v_div_scale_f64 v[170:171], s[10:11], v[168:169], v[168:169], 1.0
	v_rcp_f64_e32 v[172:173], v[170:171]
	s_nop 0
	v_fma_f64 v[176:177], -v[170:171], v[172:173], 1.0
	v_fmac_f64_e32 v[172:173], v[172:173], v[176:177]
	v_fma_f64 v[176:177], -v[170:171], v[172:173], 1.0
	v_fmac_f64_e32 v[172:173], v[172:173], v[176:177]
	v_div_scale_f64 v[176:177], vcc, 1.0, v[168:169], 1.0
	v_mul_f64 v[178:179], v[176:177], v[172:173]
	v_fma_f64 v[170:171], -v[170:171], v[178:179], v[176:177]
	s_nop 1
	v_div_fmas_f64 v[170:171], v[170:171], v[172:173], v[178:179]
	v_div_fixup_f64 v[172:173], v[170:171], v[168:169], 1.0
	v_mul_f64 v[174:175], v[174:175], -v[172:173]
.LBB79_241:
	s_or_b64 exec, exec, s[2:3]
	ds_write2_b64 v225, v[172:173], v[174:175] offset1:1
.LBB79_242:
	s_or_b64 exec, exec, s[4:5]
	s_waitcnt lgkmcnt(0)
	s_barrier
	ds_read2_b64 v[168:171], v225 offset1:1
	v_cmp_lt_u32_e32 vcc, 26, v224
	s_and_saveexec_b64 s[2:3], vcc
	s_cbranch_execz .LBB79_244
; %bb.243:
	ds_read2_b64 v[174:177], v226 offset0:54 offset1:55
	s_waitcnt lgkmcnt(1)
	v_mul_f64 v[172:173], v[168:169], v[50:51]
	v_fmac_f64_e32 v[172:173], v[170:171], v[48:49]
	v_mul_f64 v[50:51], v[170:171], v[50:51]
	v_fma_f64 v[48:49], v[168:169], v[48:49], -v[50:51]
	s_waitcnt lgkmcnt(0)
	v_mul_f64 v[50:51], v[176:177], v[172:173]
	v_fma_f64 v[50:51], v[174:175], v[48:49], -v[50:51]
	v_mul_f64 v[174:175], v[174:175], v[172:173]
	v_fmac_f64_e32 v[174:175], v[176:177], v[48:49]
	v_add_f64 v[46:47], v[46:47], -v[174:175]
	ds_read2_b64 v[174:177], v226 offset0:56 offset1:57
	v_add_f64 v[44:45], v[44:45], -v[50:51]
	s_waitcnt lgkmcnt(0)
	v_mul_f64 v[50:51], v[176:177], v[172:173]
	v_fma_f64 v[50:51], v[174:175], v[48:49], -v[50:51]
	v_mul_f64 v[174:175], v[174:175], v[172:173]
	v_fmac_f64_e32 v[174:175], v[176:177], v[48:49]
	s_waitcnt vmcnt(62)
	v_add_f64 v[42:43], v[42:43], -v[174:175]
	ds_read2_b64 v[174:177], v226 offset0:58 offset1:59
	v_add_f64 v[40:41], v[40:41], -v[50:51]
	s_waitcnt lgkmcnt(0)
	v_mul_f64 v[50:51], v[176:177], v[172:173]
	v_fma_f64 v[50:51], v[174:175], v[48:49], -v[50:51]
	v_mul_f64 v[174:175], v[174:175], v[172:173]
	v_fmac_f64_e32 v[174:175], v[176:177], v[48:49]
	s_waitcnt vmcnt(61)
	;; [unrolled: 9-line block ×10, first 2 shown]
	v_add_f64 v[6:7], v[6:7], -v[174:175]
	ds_read2_b64 v[174:177], v226 offset0:76 offset1:77
	v_add_f64 v[4:5], v[4:5], -v[50:51]
	s_waitcnt lgkmcnt(0)
	v_mul_f64 v[50:51], v[176:177], v[172:173]
	v_fma_f64 v[50:51], v[174:175], v[48:49], -v[50:51]
	v_mul_f64 v[174:175], v[174:175], v[172:173]
	v_fmac_f64_e32 v[174:175], v[176:177], v[48:49]
	v_add_f64 v[2:3], v[2:3], -v[174:175]
	ds_read2_b64 v[174:177], v226 offset0:78 offset1:79
	v_add_f64 v[0:1], v[0:1], -v[50:51]
	s_waitcnt lgkmcnt(0)
	v_mul_f64 v[50:51], v[176:177], v[172:173]
	v_fma_f64 v[50:51], v[174:175], v[48:49], -v[50:51]
	v_mul_f64 v[174:175], v[174:175], v[172:173]
	v_fmac_f64_e32 v[174:175], v[176:177], v[48:49]
	s_waitcnt vmcnt(33)
	v_add_f64 v[156:157], v[156:157], -v[50:51]
	v_add_f64 v[158:159], v[158:159], -v[174:175]
	v_mov_b64_e32 v[50:51], v[172:173]
.LBB79_244:
	s_or_b64 exec, exec, s[2:3]
	v_cmp_eq_u32_e32 vcc, 27, v224
	s_waitcnt lgkmcnt(0)
	s_barrier
	s_and_saveexec_b64 s[4:5], vcc
	s_cbranch_execz .LBB79_251
; %bb.245:
	ds_write2_b64 v225, v[44:45], v[46:47] offset1:1
	s_waitcnt vmcnt(62)
	ds_write2_b64 v226, v[40:41], v[42:43] offset0:56 offset1:57
	s_waitcnt vmcnt(61)
	ds_write2_b64 v226, v[36:37], v[38:39] offset0:58 offset1:59
	;; [unrolled: 2-line block ×10, first 2 shown]
	ds_write2_b64 v226, v[0:1], v[2:3] offset0:76 offset1:77
	s_waitcnt vmcnt(33)
	ds_write2_b64 v226, v[156:157], v[158:159] offset0:78 offset1:79
	ds_read2_b64 v[172:175], v225 offset1:1
	s_waitcnt lgkmcnt(0)
	v_cmp_neq_f64_e32 vcc, 0, v[172:173]
	v_cmp_neq_f64_e64 s[2:3], 0, v[174:175]
	s_or_b64 s[2:3], vcc, s[2:3]
	s_and_b64 exec, exec, s[2:3]
	s_cbranch_execz .LBB79_251
; %bb.246:
	v_cmp_ngt_f64_e64 s[2:3], |v[172:173]|, |v[174:175]|
                                        ; implicit-def: $vgpr176_vgpr177
	s_and_saveexec_b64 s[10:11], s[2:3]
	s_xor_b64 s[2:3], exec, s[10:11]
                                        ; implicit-def: $vgpr178_vgpr179
	s_cbranch_execz .LBB79_248
; %bb.247:
	v_div_scale_f64 v[176:177], s[10:11], v[174:175], v[174:175], v[172:173]
	v_rcp_f64_e32 v[178:179], v[176:177]
	v_div_scale_f64 v[180:181], vcc, v[172:173], v[174:175], v[172:173]
	v_fma_f64 v[182:183], -v[176:177], v[178:179], 1.0
	v_fmac_f64_e32 v[178:179], v[178:179], v[182:183]
	v_fma_f64 v[182:183], -v[176:177], v[178:179], 1.0
	v_fmac_f64_e32 v[178:179], v[178:179], v[182:183]
	v_mul_f64 v[182:183], v[180:181], v[178:179]
	v_fma_f64 v[176:177], -v[176:177], v[182:183], v[180:181]
	v_div_fmas_f64 v[176:177], v[176:177], v[178:179], v[182:183]
	v_div_fixup_f64 v[176:177], v[176:177], v[174:175], v[172:173]
	v_fmac_f64_e32 v[174:175], v[172:173], v[176:177]
	v_div_scale_f64 v[172:173], s[10:11], v[174:175], v[174:175], 1.0
	v_rcp_f64_e32 v[178:179], v[172:173]
	s_nop 0
	v_fma_f64 v[180:181], -v[172:173], v[178:179], 1.0
	v_fmac_f64_e32 v[178:179], v[178:179], v[180:181]
	v_fma_f64 v[180:181], -v[172:173], v[178:179], 1.0
	v_fmac_f64_e32 v[178:179], v[178:179], v[180:181]
	v_div_scale_f64 v[180:181], vcc, 1.0, v[174:175], 1.0
	v_mul_f64 v[182:183], v[180:181], v[178:179]
	v_fma_f64 v[172:173], -v[172:173], v[182:183], v[180:181]
	s_nop 1
	v_div_fmas_f64 v[172:173], v[172:173], v[178:179], v[182:183]
	v_div_fixup_f64 v[178:179], v[172:173], v[174:175], 1.0
	v_mul_f64 v[176:177], v[176:177], v[178:179]
	v_xor_b32_e32 v179, 0x80000000, v179
                                        ; implicit-def: $vgpr172_vgpr173
.LBB79_248:
	s_andn2_saveexec_b64 s[2:3], s[2:3]
	s_cbranch_execz .LBB79_250
; %bb.249:
	v_div_scale_f64 v[176:177], s[10:11], v[172:173], v[172:173], v[174:175]
	v_rcp_f64_e32 v[178:179], v[176:177]
	v_div_scale_f64 v[180:181], vcc, v[174:175], v[172:173], v[174:175]
	v_fma_f64 v[182:183], -v[176:177], v[178:179], 1.0
	v_fmac_f64_e32 v[178:179], v[178:179], v[182:183]
	v_fma_f64 v[182:183], -v[176:177], v[178:179], 1.0
	v_fmac_f64_e32 v[178:179], v[178:179], v[182:183]
	v_mul_f64 v[182:183], v[180:181], v[178:179]
	v_fma_f64 v[176:177], -v[176:177], v[182:183], v[180:181]
	v_div_fmas_f64 v[176:177], v[176:177], v[178:179], v[182:183]
	v_div_fixup_f64 v[178:179], v[176:177], v[172:173], v[174:175]
	v_fmac_f64_e32 v[172:173], v[174:175], v[178:179]
	v_div_scale_f64 v[174:175], s[10:11], v[172:173], v[172:173], 1.0
	v_rcp_f64_e32 v[176:177], v[174:175]
	s_nop 0
	v_fma_f64 v[180:181], -v[174:175], v[176:177], 1.0
	v_fmac_f64_e32 v[176:177], v[176:177], v[180:181]
	v_fma_f64 v[180:181], -v[174:175], v[176:177], 1.0
	v_fmac_f64_e32 v[176:177], v[176:177], v[180:181]
	v_div_scale_f64 v[180:181], vcc, 1.0, v[172:173], 1.0
	v_mul_f64 v[182:183], v[180:181], v[176:177]
	v_fma_f64 v[174:175], -v[174:175], v[182:183], v[180:181]
	s_nop 1
	v_div_fmas_f64 v[174:175], v[174:175], v[176:177], v[182:183]
	v_div_fixup_f64 v[176:177], v[174:175], v[172:173], 1.0
	v_mul_f64 v[178:179], v[178:179], -v[176:177]
.LBB79_250:
	s_or_b64 exec, exec, s[2:3]
	ds_write2_b64 v225, v[176:177], v[178:179] offset1:1
.LBB79_251:
	s_or_b64 exec, exec, s[4:5]
	s_waitcnt lgkmcnt(0)
	s_barrier
	ds_read2_b64 v[172:175], v225 offset1:1
	v_cmp_lt_u32_e32 vcc, 27, v224
	s_and_saveexec_b64 s[2:3], vcc
	s_cbranch_execz .LBB79_253
; %bb.252:
	ds_read2_b64 v[178:181], v226 offset0:56 offset1:57
	s_waitcnt lgkmcnt(1)
	v_mul_f64 v[176:177], v[172:173], v[46:47]
	v_fmac_f64_e32 v[176:177], v[174:175], v[44:45]
	v_mul_f64 v[46:47], v[174:175], v[46:47]
	v_fma_f64 v[44:45], v[172:173], v[44:45], -v[46:47]
	s_waitcnt lgkmcnt(0)
	v_mul_f64 v[46:47], v[180:181], v[176:177]
	v_fma_f64 v[46:47], v[178:179], v[44:45], -v[46:47]
	v_mul_f64 v[178:179], v[178:179], v[176:177]
	v_fmac_f64_e32 v[178:179], v[180:181], v[44:45]
	s_waitcnt vmcnt(62)
	v_add_f64 v[42:43], v[42:43], -v[178:179]
	ds_read2_b64 v[178:181], v226 offset0:58 offset1:59
	v_add_f64 v[40:41], v[40:41], -v[46:47]
	s_waitcnt lgkmcnt(0)
	v_mul_f64 v[46:47], v[180:181], v[176:177]
	v_fma_f64 v[46:47], v[178:179], v[44:45], -v[46:47]
	v_mul_f64 v[178:179], v[178:179], v[176:177]
	v_fmac_f64_e32 v[178:179], v[180:181], v[44:45]
	s_waitcnt vmcnt(61)
	v_add_f64 v[38:39], v[38:39], -v[178:179]
	ds_read2_b64 v[178:181], v226 offset0:60 offset1:61
	v_add_f64 v[36:37], v[36:37], -v[46:47]
	s_waitcnt lgkmcnt(0)
	v_mul_f64 v[46:47], v[180:181], v[176:177]
	v_fma_f64 v[46:47], v[178:179], v[44:45], -v[46:47]
	v_mul_f64 v[178:179], v[178:179], v[176:177]
	v_fmac_f64_e32 v[178:179], v[180:181], v[44:45]
	s_waitcnt vmcnt(42)
	v_add_f64 v[34:35], v[34:35], -v[178:179]
	ds_read2_b64 v[178:181], v226 offset0:62 offset1:63
	v_add_f64 v[32:33], v[32:33], -v[46:47]
	s_waitcnt lgkmcnt(0)
	v_mul_f64 v[46:47], v[180:181], v[176:177]
	v_fma_f64 v[46:47], v[178:179], v[44:45], -v[46:47]
	v_mul_f64 v[178:179], v[178:179], v[176:177]
	v_fmac_f64_e32 v[178:179], v[180:181], v[44:45]
	s_waitcnt vmcnt(40)
	v_add_f64 v[30:31], v[30:31], -v[178:179]
	ds_read2_b64 v[178:181], v226 offset0:64 offset1:65
	v_add_f64 v[28:29], v[28:29], -v[46:47]
	s_waitcnt lgkmcnt(0)
	v_mul_f64 v[46:47], v[180:181], v[176:177]
	v_fma_f64 v[46:47], v[178:179], v[44:45], -v[46:47]
	v_mul_f64 v[178:179], v[178:179], v[176:177]
	v_fmac_f64_e32 v[178:179], v[180:181], v[44:45]
	s_waitcnt vmcnt(39)
	v_add_f64 v[26:27], v[26:27], -v[178:179]
	ds_read2_b64 v[178:181], v226 offset0:66 offset1:67
	v_add_f64 v[24:25], v[24:25], -v[46:47]
	s_waitcnt lgkmcnt(0)
	v_mul_f64 v[46:47], v[180:181], v[176:177]
	v_fma_f64 v[46:47], v[178:179], v[44:45], -v[46:47]
	v_mul_f64 v[178:179], v[178:179], v[176:177]
	v_fmac_f64_e32 v[178:179], v[180:181], v[44:45]
	s_waitcnt vmcnt(38)
	v_add_f64 v[22:23], v[22:23], -v[178:179]
	ds_read2_b64 v[178:181], v226 offset0:68 offset1:69
	v_add_f64 v[20:21], v[20:21], -v[46:47]
	s_waitcnt lgkmcnt(0)
	v_mul_f64 v[46:47], v[180:181], v[176:177]
	v_fma_f64 v[46:47], v[178:179], v[44:45], -v[46:47]
	v_mul_f64 v[178:179], v[178:179], v[176:177]
	v_fmac_f64_e32 v[178:179], v[180:181], v[44:45]
	s_waitcnt vmcnt(37)
	v_add_f64 v[18:19], v[18:19], -v[178:179]
	ds_read2_b64 v[178:181], v226 offset0:70 offset1:71
	v_add_f64 v[16:17], v[16:17], -v[46:47]
	s_waitcnt lgkmcnt(0)
	v_mul_f64 v[46:47], v[180:181], v[176:177]
	v_fma_f64 v[46:47], v[178:179], v[44:45], -v[46:47]
	v_mul_f64 v[178:179], v[178:179], v[176:177]
	v_fmac_f64_e32 v[178:179], v[180:181], v[44:45]
	s_waitcnt vmcnt(36)
	v_add_f64 v[14:15], v[14:15], -v[178:179]
	ds_read2_b64 v[178:181], v226 offset0:72 offset1:73
	v_add_f64 v[12:13], v[12:13], -v[46:47]
	s_waitcnt lgkmcnt(0)
	v_mul_f64 v[46:47], v[180:181], v[176:177]
	v_fma_f64 v[46:47], v[178:179], v[44:45], -v[46:47]
	v_mul_f64 v[178:179], v[178:179], v[176:177]
	v_fmac_f64_e32 v[178:179], v[180:181], v[44:45]
	s_waitcnt vmcnt(35)
	v_add_f64 v[10:11], v[10:11], -v[178:179]
	ds_read2_b64 v[178:181], v226 offset0:74 offset1:75
	v_add_f64 v[8:9], v[8:9], -v[46:47]
	s_waitcnt lgkmcnt(0)
	v_mul_f64 v[46:47], v[180:181], v[176:177]
	v_fma_f64 v[46:47], v[178:179], v[44:45], -v[46:47]
	v_mul_f64 v[178:179], v[178:179], v[176:177]
	v_fmac_f64_e32 v[178:179], v[180:181], v[44:45]
	s_waitcnt vmcnt(34)
	v_add_f64 v[6:7], v[6:7], -v[178:179]
	ds_read2_b64 v[178:181], v226 offset0:76 offset1:77
	v_add_f64 v[4:5], v[4:5], -v[46:47]
	s_waitcnt lgkmcnt(0)
	v_mul_f64 v[46:47], v[180:181], v[176:177]
	v_fma_f64 v[46:47], v[178:179], v[44:45], -v[46:47]
	v_mul_f64 v[178:179], v[178:179], v[176:177]
	v_fmac_f64_e32 v[178:179], v[180:181], v[44:45]
	v_add_f64 v[2:3], v[2:3], -v[178:179]
	ds_read2_b64 v[178:181], v226 offset0:78 offset1:79
	v_add_f64 v[0:1], v[0:1], -v[46:47]
	s_waitcnt lgkmcnt(0)
	v_mul_f64 v[46:47], v[180:181], v[176:177]
	v_fma_f64 v[46:47], v[178:179], v[44:45], -v[46:47]
	v_mul_f64 v[178:179], v[178:179], v[176:177]
	v_fmac_f64_e32 v[178:179], v[180:181], v[44:45]
	s_waitcnt vmcnt(33)
	v_add_f64 v[156:157], v[156:157], -v[46:47]
	v_add_f64 v[158:159], v[158:159], -v[178:179]
	v_mov_b64_e32 v[46:47], v[176:177]
.LBB79_253:
	s_or_b64 exec, exec, s[2:3]
	v_cmp_eq_u32_e32 vcc, 28, v224
	s_waitcnt lgkmcnt(0)
	s_barrier
	s_and_saveexec_b64 s[4:5], vcc
	s_cbranch_execz .LBB79_260
; %bb.254:
	s_waitcnt vmcnt(62)
	ds_write2_b64 v225, v[40:41], v[42:43] offset1:1
	s_waitcnt vmcnt(61)
	ds_write2_b64 v226, v[36:37], v[38:39] offset0:58 offset1:59
	s_waitcnt vmcnt(42)
	ds_write2_b64 v226, v[32:33], v[34:35] offset0:60 offset1:61
	;; [unrolled: 2-line block ×9, first 2 shown]
	ds_write2_b64 v226, v[0:1], v[2:3] offset0:76 offset1:77
	s_waitcnt vmcnt(33)
	ds_write2_b64 v226, v[156:157], v[158:159] offset0:78 offset1:79
	ds_read2_b64 v[176:179], v225 offset1:1
	s_waitcnt lgkmcnt(0)
	v_cmp_neq_f64_e32 vcc, 0, v[176:177]
	v_cmp_neq_f64_e64 s[2:3], 0, v[178:179]
	s_or_b64 s[2:3], vcc, s[2:3]
	s_and_b64 exec, exec, s[2:3]
	s_cbranch_execz .LBB79_260
; %bb.255:
	v_cmp_ngt_f64_e64 s[2:3], |v[176:177]|, |v[178:179]|
                                        ; implicit-def: $vgpr180_vgpr181
	s_and_saveexec_b64 s[10:11], s[2:3]
	s_xor_b64 s[2:3], exec, s[10:11]
                                        ; implicit-def: $vgpr182_vgpr183
	s_cbranch_execz .LBB79_257
; %bb.256:
	v_div_scale_f64 v[180:181], s[10:11], v[178:179], v[178:179], v[176:177]
	v_rcp_f64_e32 v[182:183], v[180:181]
	v_div_scale_f64 v[184:185], vcc, v[176:177], v[178:179], v[176:177]
	v_fma_f64 v[186:187], -v[180:181], v[182:183], 1.0
	v_fmac_f64_e32 v[182:183], v[182:183], v[186:187]
	v_fma_f64 v[186:187], -v[180:181], v[182:183], 1.0
	v_fmac_f64_e32 v[182:183], v[182:183], v[186:187]
	v_mul_f64 v[186:187], v[184:185], v[182:183]
	v_fma_f64 v[180:181], -v[180:181], v[186:187], v[184:185]
	v_div_fmas_f64 v[180:181], v[180:181], v[182:183], v[186:187]
	v_div_fixup_f64 v[180:181], v[180:181], v[178:179], v[176:177]
	v_fmac_f64_e32 v[178:179], v[176:177], v[180:181]
	v_div_scale_f64 v[176:177], s[10:11], v[178:179], v[178:179], 1.0
	v_rcp_f64_e32 v[182:183], v[176:177]
	s_nop 0
	v_fma_f64 v[184:185], -v[176:177], v[182:183], 1.0
	v_fmac_f64_e32 v[182:183], v[182:183], v[184:185]
	v_fma_f64 v[184:185], -v[176:177], v[182:183], 1.0
	v_fmac_f64_e32 v[182:183], v[182:183], v[184:185]
	v_div_scale_f64 v[184:185], vcc, 1.0, v[178:179], 1.0
	v_mul_f64 v[186:187], v[184:185], v[182:183]
	v_fma_f64 v[176:177], -v[176:177], v[186:187], v[184:185]
	s_nop 1
	v_div_fmas_f64 v[176:177], v[176:177], v[182:183], v[186:187]
	v_div_fixup_f64 v[182:183], v[176:177], v[178:179], 1.0
	v_mul_f64 v[180:181], v[180:181], v[182:183]
	v_xor_b32_e32 v183, 0x80000000, v183
                                        ; implicit-def: $vgpr176_vgpr177
.LBB79_257:
	s_andn2_saveexec_b64 s[2:3], s[2:3]
	s_cbranch_execz .LBB79_259
; %bb.258:
	v_div_scale_f64 v[180:181], s[10:11], v[176:177], v[176:177], v[178:179]
	v_rcp_f64_e32 v[182:183], v[180:181]
	v_div_scale_f64 v[184:185], vcc, v[178:179], v[176:177], v[178:179]
	v_fma_f64 v[186:187], -v[180:181], v[182:183], 1.0
	v_fmac_f64_e32 v[182:183], v[182:183], v[186:187]
	v_fma_f64 v[186:187], -v[180:181], v[182:183], 1.0
	v_fmac_f64_e32 v[182:183], v[182:183], v[186:187]
	v_mul_f64 v[186:187], v[184:185], v[182:183]
	v_fma_f64 v[180:181], -v[180:181], v[186:187], v[184:185]
	v_div_fmas_f64 v[180:181], v[180:181], v[182:183], v[186:187]
	v_div_fixup_f64 v[182:183], v[180:181], v[176:177], v[178:179]
	v_fmac_f64_e32 v[176:177], v[178:179], v[182:183]
	v_div_scale_f64 v[178:179], s[10:11], v[176:177], v[176:177], 1.0
	v_rcp_f64_e32 v[180:181], v[178:179]
	s_nop 0
	v_fma_f64 v[184:185], -v[178:179], v[180:181], 1.0
	v_fmac_f64_e32 v[180:181], v[180:181], v[184:185]
	v_fma_f64 v[184:185], -v[178:179], v[180:181], 1.0
	v_fmac_f64_e32 v[180:181], v[180:181], v[184:185]
	v_div_scale_f64 v[184:185], vcc, 1.0, v[176:177], 1.0
	v_mul_f64 v[186:187], v[184:185], v[180:181]
	v_fma_f64 v[178:179], -v[178:179], v[186:187], v[184:185]
	s_nop 1
	v_div_fmas_f64 v[178:179], v[178:179], v[180:181], v[186:187]
	v_div_fixup_f64 v[180:181], v[178:179], v[176:177], 1.0
	v_mul_f64 v[182:183], v[182:183], -v[180:181]
.LBB79_259:
	s_or_b64 exec, exec, s[2:3]
	ds_write2_b64 v225, v[180:181], v[182:183] offset1:1
.LBB79_260:
	s_or_b64 exec, exec, s[4:5]
	s_waitcnt lgkmcnt(0)
	s_barrier
	ds_read2_b64 v[176:179], v225 offset1:1
	v_cmp_lt_u32_e32 vcc, 28, v224
	s_and_saveexec_b64 s[2:3], vcc
	s_cbranch_execz .LBB79_262
; %bb.261:
	ds_read2_b64 v[182:185], v226 offset0:58 offset1:59
	s_waitcnt vmcnt(62) lgkmcnt(1)
	v_mul_f64 v[180:181], v[176:177], v[42:43]
	v_fmac_f64_e32 v[180:181], v[178:179], v[40:41]
	v_mul_f64 v[42:43], v[178:179], v[42:43]
	v_fma_f64 v[40:41], v[176:177], v[40:41], -v[42:43]
	s_waitcnt lgkmcnt(0)
	v_mul_f64 v[42:43], v[184:185], v[180:181]
	v_fma_f64 v[42:43], v[182:183], v[40:41], -v[42:43]
	v_mul_f64 v[182:183], v[182:183], v[180:181]
	v_fmac_f64_e32 v[182:183], v[184:185], v[40:41]
	s_waitcnt vmcnt(61)
	v_add_f64 v[38:39], v[38:39], -v[182:183]
	ds_read2_b64 v[182:185], v226 offset0:60 offset1:61
	v_add_f64 v[36:37], v[36:37], -v[42:43]
	s_waitcnt lgkmcnt(0)
	v_mul_f64 v[42:43], v[184:185], v[180:181]
	v_fma_f64 v[42:43], v[182:183], v[40:41], -v[42:43]
	v_mul_f64 v[182:183], v[182:183], v[180:181]
	v_fmac_f64_e32 v[182:183], v[184:185], v[40:41]
	s_waitcnt vmcnt(42)
	v_add_f64 v[34:35], v[34:35], -v[182:183]
	ds_read2_b64 v[182:185], v226 offset0:62 offset1:63
	v_add_f64 v[32:33], v[32:33], -v[42:43]
	;; [unrolled: 9-line block ×9, first 2 shown]
	s_waitcnt lgkmcnt(0)
	v_mul_f64 v[42:43], v[184:185], v[180:181]
	v_fma_f64 v[42:43], v[182:183], v[40:41], -v[42:43]
	v_mul_f64 v[182:183], v[182:183], v[180:181]
	v_fmac_f64_e32 v[182:183], v[184:185], v[40:41]
	v_add_f64 v[2:3], v[2:3], -v[182:183]
	ds_read2_b64 v[182:185], v226 offset0:78 offset1:79
	v_add_f64 v[0:1], v[0:1], -v[42:43]
	s_waitcnt lgkmcnt(0)
	v_mul_f64 v[42:43], v[184:185], v[180:181]
	v_fma_f64 v[42:43], v[182:183], v[40:41], -v[42:43]
	v_mul_f64 v[182:183], v[182:183], v[180:181]
	v_fmac_f64_e32 v[182:183], v[184:185], v[40:41]
	s_waitcnt vmcnt(33)
	v_add_f64 v[156:157], v[156:157], -v[42:43]
	v_add_f64 v[158:159], v[158:159], -v[182:183]
	v_mov_b64_e32 v[42:43], v[180:181]
.LBB79_262:
	s_or_b64 exec, exec, s[2:3]
	v_cmp_eq_u32_e32 vcc, 29, v224
	s_waitcnt lgkmcnt(0)
	s_barrier
	s_and_saveexec_b64 s[4:5], vcc
	s_cbranch_execz .LBB79_269
; %bb.263:
	s_waitcnt vmcnt(61)
	ds_write2_b64 v225, v[36:37], v[38:39] offset1:1
	s_waitcnt vmcnt(42)
	ds_write2_b64 v226, v[32:33], v[34:35] offset0:60 offset1:61
	s_waitcnt vmcnt(40)
	ds_write2_b64 v226, v[28:29], v[30:31] offset0:62 offset1:63
	;; [unrolled: 2-line block ×8, first 2 shown]
	ds_write2_b64 v226, v[0:1], v[2:3] offset0:76 offset1:77
	s_waitcnt vmcnt(33)
	ds_write2_b64 v226, v[156:157], v[158:159] offset0:78 offset1:79
	ds_read2_b64 v[180:183], v225 offset1:1
	s_waitcnt lgkmcnt(0)
	v_cmp_neq_f64_e32 vcc, 0, v[180:181]
	v_cmp_neq_f64_e64 s[2:3], 0, v[182:183]
	s_or_b64 s[2:3], vcc, s[2:3]
	s_and_b64 exec, exec, s[2:3]
	s_cbranch_execz .LBB79_269
; %bb.264:
	v_cmp_ngt_f64_e64 s[2:3], |v[180:181]|, |v[182:183]|
                                        ; implicit-def: $vgpr184_vgpr185
	s_and_saveexec_b64 s[10:11], s[2:3]
	s_xor_b64 s[2:3], exec, s[10:11]
                                        ; implicit-def: $vgpr186_vgpr187
	s_cbranch_execz .LBB79_266
; %bb.265:
	v_div_scale_f64 v[184:185], s[10:11], v[182:183], v[182:183], v[180:181]
	v_rcp_f64_e32 v[186:187], v[184:185]
	v_div_scale_f64 v[188:189], vcc, v[180:181], v[182:183], v[180:181]
	v_fma_f64 v[190:191], -v[184:185], v[186:187], 1.0
	v_fmac_f64_e32 v[186:187], v[186:187], v[190:191]
	v_fma_f64 v[190:191], -v[184:185], v[186:187], 1.0
	v_fmac_f64_e32 v[186:187], v[186:187], v[190:191]
	v_mul_f64 v[190:191], v[188:189], v[186:187]
	v_fma_f64 v[184:185], -v[184:185], v[190:191], v[188:189]
	v_div_fmas_f64 v[184:185], v[184:185], v[186:187], v[190:191]
	v_div_fixup_f64 v[184:185], v[184:185], v[182:183], v[180:181]
	v_fmac_f64_e32 v[182:183], v[180:181], v[184:185]
	v_div_scale_f64 v[180:181], s[10:11], v[182:183], v[182:183], 1.0
	v_rcp_f64_e32 v[186:187], v[180:181]
	s_nop 0
	v_fma_f64 v[188:189], -v[180:181], v[186:187], 1.0
	v_fmac_f64_e32 v[186:187], v[186:187], v[188:189]
	v_fma_f64 v[188:189], -v[180:181], v[186:187], 1.0
	v_fmac_f64_e32 v[186:187], v[186:187], v[188:189]
	v_div_scale_f64 v[188:189], vcc, 1.0, v[182:183], 1.0
	v_mul_f64 v[190:191], v[188:189], v[186:187]
	v_fma_f64 v[180:181], -v[180:181], v[190:191], v[188:189]
	s_nop 1
	v_div_fmas_f64 v[180:181], v[180:181], v[186:187], v[190:191]
	v_div_fixup_f64 v[186:187], v[180:181], v[182:183], 1.0
	v_mul_f64 v[184:185], v[184:185], v[186:187]
	v_xor_b32_e32 v187, 0x80000000, v187
                                        ; implicit-def: $vgpr180_vgpr181
.LBB79_266:
	s_andn2_saveexec_b64 s[2:3], s[2:3]
	s_cbranch_execz .LBB79_268
; %bb.267:
	v_div_scale_f64 v[184:185], s[10:11], v[180:181], v[180:181], v[182:183]
	v_rcp_f64_e32 v[186:187], v[184:185]
	v_div_scale_f64 v[188:189], vcc, v[182:183], v[180:181], v[182:183]
	v_fma_f64 v[190:191], -v[184:185], v[186:187], 1.0
	v_fmac_f64_e32 v[186:187], v[186:187], v[190:191]
	v_fma_f64 v[190:191], -v[184:185], v[186:187], 1.0
	v_fmac_f64_e32 v[186:187], v[186:187], v[190:191]
	v_mul_f64 v[190:191], v[188:189], v[186:187]
	v_fma_f64 v[184:185], -v[184:185], v[190:191], v[188:189]
	v_div_fmas_f64 v[184:185], v[184:185], v[186:187], v[190:191]
	v_div_fixup_f64 v[186:187], v[184:185], v[180:181], v[182:183]
	v_fmac_f64_e32 v[180:181], v[182:183], v[186:187]
	v_div_scale_f64 v[182:183], s[10:11], v[180:181], v[180:181], 1.0
	v_rcp_f64_e32 v[184:185], v[182:183]
	s_nop 0
	v_fma_f64 v[188:189], -v[182:183], v[184:185], 1.0
	v_fmac_f64_e32 v[184:185], v[184:185], v[188:189]
	v_fma_f64 v[188:189], -v[182:183], v[184:185], 1.0
	v_fmac_f64_e32 v[184:185], v[184:185], v[188:189]
	v_div_scale_f64 v[188:189], vcc, 1.0, v[180:181], 1.0
	v_mul_f64 v[190:191], v[188:189], v[184:185]
	v_fma_f64 v[182:183], -v[182:183], v[190:191], v[188:189]
	s_nop 1
	v_div_fmas_f64 v[182:183], v[182:183], v[184:185], v[190:191]
	v_div_fixup_f64 v[184:185], v[182:183], v[180:181], 1.0
	v_mul_f64 v[186:187], v[186:187], -v[184:185]
.LBB79_268:
	s_or_b64 exec, exec, s[2:3]
	ds_write2_b64 v225, v[184:185], v[186:187] offset1:1
.LBB79_269:
	s_or_b64 exec, exec, s[4:5]
	s_waitcnt lgkmcnt(0)
	s_barrier
	ds_read2_b64 v[152:155], v225 offset1:1
	v_cmp_lt_u32_e32 vcc, 29, v224
	s_and_saveexec_b64 s[2:3], vcc
	s_cbranch_execz .LBB79_271
; %bb.270:
	ds_read2_b64 v[186:189], v226 offset0:60 offset1:61
	s_waitcnt vmcnt(61) lgkmcnt(1)
	v_mul_f64 v[184:185], v[152:153], v[38:39]
	v_fmac_f64_e32 v[184:185], v[154:155], v[36:37]
	v_mul_f64 v[38:39], v[154:155], v[38:39]
	v_fma_f64 v[36:37], v[152:153], v[36:37], -v[38:39]
	s_waitcnt lgkmcnt(0)
	v_mul_f64 v[38:39], v[188:189], v[184:185]
	v_fma_f64 v[38:39], v[186:187], v[36:37], -v[38:39]
	v_mul_f64 v[186:187], v[186:187], v[184:185]
	v_fmac_f64_e32 v[186:187], v[188:189], v[36:37]
	s_waitcnt vmcnt(42)
	v_add_f64 v[34:35], v[34:35], -v[186:187]
	ds_read2_b64 v[186:189], v226 offset0:62 offset1:63
	v_add_f64 v[32:33], v[32:33], -v[38:39]
	s_waitcnt lgkmcnt(0)
	v_mul_f64 v[38:39], v[188:189], v[184:185]
	v_fma_f64 v[38:39], v[186:187], v[36:37], -v[38:39]
	v_mul_f64 v[186:187], v[186:187], v[184:185]
	v_fmac_f64_e32 v[186:187], v[188:189], v[36:37]
	s_waitcnt vmcnt(40)
	v_add_f64 v[30:31], v[30:31], -v[186:187]
	ds_read2_b64 v[186:189], v226 offset0:64 offset1:65
	v_add_f64 v[28:29], v[28:29], -v[38:39]
	;; [unrolled: 9-line block ×8, first 2 shown]
	s_waitcnt lgkmcnt(0)
	v_mul_f64 v[38:39], v[188:189], v[184:185]
	v_fma_f64 v[38:39], v[186:187], v[36:37], -v[38:39]
	v_mul_f64 v[186:187], v[186:187], v[184:185]
	v_fmac_f64_e32 v[186:187], v[188:189], v[36:37]
	v_add_f64 v[2:3], v[2:3], -v[186:187]
	ds_read2_b64 v[186:189], v226 offset0:78 offset1:79
	v_add_f64 v[0:1], v[0:1], -v[38:39]
	s_waitcnt lgkmcnt(0)
	v_mul_f64 v[38:39], v[188:189], v[184:185]
	v_fma_f64 v[38:39], v[186:187], v[36:37], -v[38:39]
	v_mul_f64 v[186:187], v[186:187], v[184:185]
	v_fmac_f64_e32 v[186:187], v[188:189], v[36:37]
	s_waitcnt vmcnt(33)
	v_add_f64 v[156:157], v[156:157], -v[38:39]
	v_add_f64 v[158:159], v[158:159], -v[186:187]
	v_mov_b64_e32 v[38:39], v[184:185]
.LBB79_271:
	s_or_b64 exec, exec, s[2:3]
	v_cmp_eq_u32_e32 vcc, 30, v224
	s_waitcnt lgkmcnt(0)
	s_barrier
	s_and_saveexec_b64 s[4:5], vcc
	s_cbranch_execz .LBB79_278
; %bb.272:
	s_waitcnt vmcnt(42)
	ds_write2_b64 v225, v[32:33], v[34:35] offset1:1
	s_waitcnt vmcnt(40)
	ds_write2_b64 v226, v[28:29], v[30:31] offset0:62 offset1:63
	s_waitcnt vmcnt(39)
	ds_write2_b64 v226, v[24:25], v[26:27] offset0:64 offset1:65
	;; [unrolled: 2-line block ×7, first 2 shown]
	ds_write2_b64 v226, v[0:1], v[2:3] offset0:76 offset1:77
	s_waitcnt vmcnt(33)
	ds_write2_b64 v226, v[156:157], v[158:159] offset0:78 offset1:79
	ds_read2_b64 v[184:187], v225 offset1:1
	s_waitcnt lgkmcnt(0)
	v_cmp_neq_f64_e32 vcc, 0, v[184:185]
	v_cmp_neq_f64_e64 s[2:3], 0, v[186:187]
	s_or_b64 s[2:3], vcc, s[2:3]
	s_and_b64 exec, exec, s[2:3]
	s_cbranch_execz .LBB79_278
; %bb.273:
	v_cmp_ngt_f64_e64 s[2:3], |v[184:185]|, |v[186:187]|
                                        ; implicit-def: $vgpr188_vgpr189
	s_and_saveexec_b64 s[10:11], s[2:3]
	s_xor_b64 s[2:3], exec, s[10:11]
                                        ; implicit-def: $vgpr190_vgpr191
	s_cbranch_execz .LBB79_275
; %bb.274:
	v_div_scale_f64 v[188:189], s[10:11], v[186:187], v[186:187], v[184:185]
	v_rcp_f64_e32 v[190:191], v[188:189]
	v_div_scale_f64 v[192:193], vcc, v[184:185], v[186:187], v[184:185]
	v_fma_f64 v[194:195], -v[188:189], v[190:191], 1.0
	v_fmac_f64_e32 v[190:191], v[190:191], v[194:195]
	v_fma_f64 v[194:195], -v[188:189], v[190:191], 1.0
	v_fmac_f64_e32 v[190:191], v[190:191], v[194:195]
	v_mul_f64 v[194:195], v[192:193], v[190:191]
	v_fma_f64 v[188:189], -v[188:189], v[194:195], v[192:193]
	v_div_fmas_f64 v[188:189], v[188:189], v[190:191], v[194:195]
	v_div_fixup_f64 v[188:189], v[188:189], v[186:187], v[184:185]
	v_fmac_f64_e32 v[186:187], v[184:185], v[188:189]
	v_div_scale_f64 v[184:185], s[10:11], v[186:187], v[186:187], 1.0
	v_rcp_f64_e32 v[190:191], v[184:185]
	s_nop 0
	v_fma_f64 v[192:193], -v[184:185], v[190:191], 1.0
	v_fmac_f64_e32 v[190:191], v[190:191], v[192:193]
	v_fma_f64 v[192:193], -v[184:185], v[190:191], 1.0
	v_fmac_f64_e32 v[190:191], v[190:191], v[192:193]
	v_div_scale_f64 v[192:193], vcc, 1.0, v[186:187], 1.0
	v_mul_f64 v[194:195], v[192:193], v[190:191]
	v_fma_f64 v[184:185], -v[184:185], v[194:195], v[192:193]
	s_nop 1
	v_div_fmas_f64 v[184:185], v[184:185], v[190:191], v[194:195]
	v_div_fixup_f64 v[190:191], v[184:185], v[186:187], 1.0
	v_mul_f64 v[188:189], v[188:189], v[190:191]
	v_xor_b32_e32 v191, 0x80000000, v191
                                        ; implicit-def: $vgpr184_vgpr185
.LBB79_275:
	s_andn2_saveexec_b64 s[2:3], s[2:3]
	s_cbranch_execz .LBB79_277
; %bb.276:
	v_div_scale_f64 v[188:189], s[10:11], v[184:185], v[184:185], v[186:187]
	v_rcp_f64_e32 v[190:191], v[188:189]
	v_div_scale_f64 v[192:193], vcc, v[186:187], v[184:185], v[186:187]
	v_fma_f64 v[194:195], -v[188:189], v[190:191], 1.0
	v_fmac_f64_e32 v[190:191], v[190:191], v[194:195]
	v_fma_f64 v[194:195], -v[188:189], v[190:191], 1.0
	v_fmac_f64_e32 v[190:191], v[190:191], v[194:195]
	v_mul_f64 v[194:195], v[192:193], v[190:191]
	v_fma_f64 v[188:189], -v[188:189], v[194:195], v[192:193]
	v_div_fmas_f64 v[188:189], v[188:189], v[190:191], v[194:195]
	v_div_fixup_f64 v[190:191], v[188:189], v[184:185], v[186:187]
	v_fmac_f64_e32 v[184:185], v[186:187], v[190:191]
	v_div_scale_f64 v[186:187], s[10:11], v[184:185], v[184:185], 1.0
	v_rcp_f64_e32 v[188:189], v[186:187]
	s_nop 0
	v_fma_f64 v[192:193], -v[186:187], v[188:189], 1.0
	v_fmac_f64_e32 v[188:189], v[188:189], v[192:193]
	v_fma_f64 v[192:193], -v[186:187], v[188:189], 1.0
	v_fmac_f64_e32 v[188:189], v[188:189], v[192:193]
	v_div_scale_f64 v[192:193], vcc, 1.0, v[184:185], 1.0
	v_mul_f64 v[194:195], v[192:193], v[188:189]
	v_fma_f64 v[186:187], -v[186:187], v[194:195], v[192:193]
	s_nop 1
	v_div_fmas_f64 v[186:187], v[186:187], v[188:189], v[194:195]
	v_div_fixup_f64 v[188:189], v[186:187], v[184:185], 1.0
	v_mul_f64 v[190:191], v[190:191], -v[188:189]
.LBB79_277:
	s_or_b64 exec, exec, s[2:3]
	ds_write2_b64 v225, v[188:189], v[190:191] offset1:1
.LBB79_278:
	s_or_b64 exec, exec, s[4:5]
	s_waitcnt lgkmcnt(0)
	s_barrier
	ds_read2_b64 v[182:185], v225 offset1:1
	v_cmp_lt_u32_e32 vcc, 30, v224
	s_and_saveexec_b64 s[2:3], vcc
	s_cbranch_execz .LBB79_280
; %bb.279:
	ds_read2_b64 v[190:193], v226 offset0:62 offset1:63
	s_waitcnt vmcnt(42) lgkmcnt(1)
	v_mul_f64 v[188:189], v[182:183], v[34:35]
	v_fmac_f64_e32 v[188:189], v[184:185], v[32:33]
	v_mul_f64 v[34:35], v[184:185], v[34:35]
	v_fma_f64 v[32:33], v[182:183], v[32:33], -v[34:35]
	s_waitcnt lgkmcnt(0)
	v_mul_f64 v[34:35], v[192:193], v[188:189]
	v_fma_f64 v[34:35], v[190:191], v[32:33], -v[34:35]
	v_mul_f64 v[190:191], v[190:191], v[188:189]
	v_fmac_f64_e32 v[190:191], v[192:193], v[32:33]
	s_waitcnt vmcnt(40)
	v_add_f64 v[30:31], v[30:31], -v[190:191]
	ds_read2_b64 v[190:193], v226 offset0:64 offset1:65
	v_add_f64 v[28:29], v[28:29], -v[34:35]
	s_waitcnt lgkmcnt(0)
	v_mul_f64 v[34:35], v[192:193], v[188:189]
	v_fma_f64 v[34:35], v[190:191], v[32:33], -v[34:35]
	v_mul_f64 v[190:191], v[190:191], v[188:189]
	v_fmac_f64_e32 v[190:191], v[192:193], v[32:33]
	s_waitcnt vmcnt(39)
	v_add_f64 v[26:27], v[26:27], -v[190:191]
	ds_read2_b64 v[190:193], v226 offset0:66 offset1:67
	v_add_f64 v[24:25], v[24:25], -v[34:35]
	;; [unrolled: 9-line block ×7, first 2 shown]
	s_waitcnt lgkmcnt(0)
	v_mul_f64 v[34:35], v[192:193], v[188:189]
	v_fma_f64 v[34:35], v[190:191], v[32:33], -v[34:35]
	v_mul_f64 v[190:191], v[190:191], v[188:189]
	v_fmac_f64_e32 v[190:191], v[192:193], v[32:33]
	v_add_f64 v[2:3], v[2:3], -v[190:191]
	ds_read2_b64 v[190:193], v226 offset0:78 offset1:79
	v_add_f64 v[0:1], v[0:1], -v[34:35]
	s_waitcnt lgkmcnt(0)
	v_mul_f64 v[34:35], v[192:193], v[188:189]
	v_fma_f64 v[34:35], v[190:191], v[32:33], -v[34:35]
	v_mul_f64 v[190:191], v[190:191], v[188:189]
	v_fmac_f64_e32 v[190:191], v[192:193], v[32:33]
	s_waitcnt vmcnt(33)
	v_add_f64 v[156:157], v[156:157], -v[34:35]
	v_add_f64 v[158:159], v[158:159], -v[190:191]
	v_mov_b64_e32 v[34:35], v[188:189]
.LBB79_280:
	s_or_b64 exec, exec, s[2:3]
	v_cmp_eq_u32_e32 vcc, 31, v224
	s_waitcnt lgkmcnt(0)
	s_barrier
	s_and_saveexec_b64 s[4:5], vcc
	s_cbranch_execz .LBB79_287
; %bb.281:
	s_waitcnt vmcnt(40)
	ds_write2_b64 v225, v[28:29], v[30:31] offset1:1
	s_waitcnt vmcnt(39)
	ds_write2_b64 v226, v[24:25], v[26:27] offset0:64 offset1:65
	s_waitcnt vmcnt(38)
	ds_write2_b64 v226, v[20:21], v[22:23] offset0:66 offset1:67
	;; [unrolled: 2-line block ×6, first 2 shown]
	ds_write2_b64 v226, v[0:1], v[2:3] offset0:76 offset1:77
	s_waitcnt vmcnt(33)
	ds_write2_b64 v226, v[156:157], v[158:159] offset0:78 offset1:79
	ds_read2_b64 v[188:191], v225 offset1:1
	s_waitcnt lgkmcnt(0)
	v_cmp_neq_f64_e32 vcc, 0, v[188:189]
	v_cmp_neq_f64_e64 s[2:3], 0, v[190:191]
	s_or_b64 s[2:3], vcc, s[2:3]
	s_and_b64 exec, exec, s[2:3]
	s_cbranch_execz .LBB79_287
; %bb.282:
	v_cmp_ngt_f64_e64 s[2:3], |v[188:189]|, |v[190:191]|
                                        ; implicit-def: $vgpr192_vgpr193
	s_and_saveexec_b64 s[10:11], s[2:3]
	s_xor_b64 s[2:3], exec, s[10:11]
                                        ; implicit-def: $vgpr194_vgpr195
	s_cbranch_execz .LBB79_284
; %bb.283:
	v_div_scale_f64 v[192:193], s[10:11], v[190:191], v[190:191], v[188:189]
	v_rcp_f64_e32 v[194:195], v[192:193]
	v_div_scale_f64 v[196:197], vcc, v[188:189], v[190:191], v[188:189]
	v_fma_f64 v[198:199], -v[192:193], v[194:195], 1.0
	v_fmac_f64_e32 v[194:195], v[194:195], v[198:199]
	v_fma_f64 v[198:199], -v[192:193], v[194:195], 1.0
	v_fmac_f64_e32 v[194:195], v[194:195], v[198:199]
	v_mul_f64 v[198:199], v[196:197], v[194:195]
	v_fma_f64 v[192:193], -v[192:193], v[198:199], v[196:197]
	v_div_fmas_f64 v[192:193], v[192:193], v[194:195], v[198:199]
	v_div_fixup_f64 v[192:193], v[192:193], v[190:191], v[188:189]
	v_fmac_f64_e32 v[190:191], v[188:189], v[192:193]
	v_div_scale_f64 v[188:189], s[10:11], v[190:191], v[190:191], 1.0
	v_rcp_f64_e32 v[194:195], v[188:189]
	s_nop 0
	v_fma_f64 v[196:197], -v[188:189], v[194:195], 1.0
	v_fmac_f64_e32 v[194:195], v[194:195], v[196:197]
	v_fma_f64 v[196:197], -v[188:189], v[194:195], 1.0
	v_fmac_f64_e32 v[194:195], v[194:195], v[196:197]
	v_div_scale_f64 v[196:197], vcc, 1.0, v[190:191], 1.0
	v_mul_f64 v[198:199], v[196:197], v[194:195]
	v_fma_f64 v[188:189], -v[188:189], v[198:199], v[196:197]
	s_nop 1
	v_div_fmas_f64 v[188:189], v[188:189], v[194:195], v[198:199]
	v_div_fixup_f64 v[194:195], v[188:189], v[190:191], 1.0
	v_mul_f64 v[192:193], v[192:193], v[194:195]
	v_xor_b32_e32 v195, 0x80000000, v195
                                        ; implicit-def: $vgpr188_vgpr189
.LBB79_284:
	s_andn2_saveexec_b64 s[2:3], s[2:3]
	s_cbranch_execz .LBB79_286
; %bb.285:
	v_div_scale_f64 v[192:193], s[10:11], v[188:189], v[188:189], v[190:191]
	v_rcp_f64_e32 v[194:195], v[192:193]
	v_div_scale_f64 v[196:197], vcc, v[190:191], v[188:189], v[190:191]
	v_fma_f64 v[198:199], -v[192:193], v[194:195], 1.0
	v_fmac_f64_e32 v[194:195], v[194:195], v[198:199]
	v_fma_f64 v[198:199], -v[192:193], v[194:195], 1.0
	v_fmac_f64_e32 v[194:195], v[194:195], v[198:199]
	v_mul_f64 v[198:199], v[196:197], v[194:195]
	v_fma_f64 v[192:193], -v[192:193], v[198:199], v[196:197]
	v_div_fmas_f64 v[192:193], v[192:193], v[194:195], v[198:199]
	v_div_fixup_f64 v[194:195], v[192:193], v[188:189], v[190:191]
	v_fmac_f64_e32 v[188:189], v[190:191], v[194:195]
	v_div_scale_f64 v[190:191], s[10:11], v[188:189], v[188:189], 1.0
	v_rcp_f64_e32 v[192:193], v[190:191]
	s_nop 0
	v_fma_f64 v[196:197], -v[190:191], v[192:193], 1.0
	v_fmac_f64_e32 v[192:193], v[192:193], v[196:197]
	v_fma_f64 v[196:197], -v[190:191], v[192:193], 1.0
	v_fmac_f64_e32 v[192:193], v[192:193], v[196:197]
	v_div_scale_f64 v[196:197], vcc, 1.0, v[188:189], 1.0
	v_mul_f64 v[198:199], v[196:197], v[192:193]
	v_fma_f64 v[190:191], -v[190:191], v[198:199], v[196:197]
	s_nop 1
	v_div_fmas_f64 v[190:191], v[190:191], v[192:193], v[198:199]
	v_div_fixup_f64 v[192:193], v[190:191], v[188:189], 1.0
	v_mul_f64 v[194:195], v[194:195], -v[192:193]
.LBB79_286:
	s_or_b64 exec, exec, s[2:3]
	ds_write2_b64 v225, v[192:193], v[194:195] offset1:1
.LBB79_287:
	s_or_b64 exec, exec, s[4:5]
	s_waitcnt lgkmcnt(0)
	s_barrier
	ds_read2_b64 v[188:191], v225 offset1:1
	v_cmp_lt_u32_e32 vcc, 31, v224
	s_and_saveexec_b64 s[2:3], vcc
	s_cbranch_execz .LBB79_289
; %bb.288:
	ds_read2_b64 v[194:197], v226 offset0:64 offset1:65
	s_waitcnt vmcnt(40) lgkmcnt(1)
	v_mul_f64 v[192:193], v[188:189], v[30:31]
	v_fmac_f64_e32 v[192:193], v[190:191], v[28:29]
	v_mul_f64 v[30:31], v[190:191], v[30:31]
	v_fma_f64 v[28:29], v[188:189], v[28:29], -v[30:31]
	s_waitcnt lgkmcnt(0)
	v_mul_f64 v[30:31], v[196:197], v[192:193]
	v_fma_f64 v[30:31], v[194:195], v[28:29], -v[30:31]
	v_mul_f64 v[194:195], v[194:195], v[192:193]
	v_fmac_f64_e32 v[194:195], v[196:197], v[28:29]
	s_waitcnt vmcnt(39)
	v_add_f64 v[26:27], v[26:27], -v[194:195]
	ds_read2_b64 v[194:197], v226 offset0:66 offset1:67
	v_add_f64 v[24:25], v[24:25], -v[30:31]
	s_waitcnt lgkmcnt(0)
	v_mul_f64 v[30:31], v[196:197], v[192:193]
	v_fma_f64 v[30:31], v[194:195], v[28:29], -v[30:31]
	v_mul_f64 v[194:195], v[194:195], v[192:193]
	v_fmac_f64_e32 v[194:195], v[196:197], v[28:29]
	s_waitcnt vmcnt(38)
	v_add_f64 v[22:23], v[22:23], -v[194:195]
	ds_read2_b64 v[194:197], v226 offset0:68 offset1:69
	v_add_f64 v[20:21], v[20:21], -v[30:31]
	;; [unrolled: 9-line block ×6, first 2 shown]
	s_waitcnt lgkmcnt(0)
	v_mul_f64 v[30:31], v[196:197], v[192:193]
	v_fma_f64 v[30:31], v[194:195], v[28:29], -v[30:31]
	v_mul_f64 v[194:195], v[194:195], v[192:193]
	v_fmac_f64_e32 v[194:195], v[196:197], v[28:29]
	v_add_f64 v[2:3], v[2:3], -v[194:195]
	ds_read2_b64 v[194:197], v226 offset0:78 offset1:79
	v_add_f64 v[0:1], v[0:1], -v[30:31]
	s_waitcnt lgkmcnt(0)
	v_mul_f64 v[30:31], v[196:197], v[192:193]
	v_fma_f64 v[30:31], v[194:195], v[28:29], -v[30:31]
	v_mul_f64 v[194:195], v[194:195], v[192:193]
	v_fmac_f64_e32 v[194:195], v[196:197], v[28:29]
	s_waitcnt vmcnt(33)
	v_add_f64 v[156:157], v[156:157], -v[30:31]
	v_add_f64 v[158:159], v[158:159], -v[194:195]
	v_mov_b64_e32 v[30:31], v[192:193]
.LBB79_289:
	s_or_b64 exec, exec, s[2:3]
	v_cmp_eq_u32_e32 vcc, 32, v224
	s_waitcnt lgkmcnt(0)
	s_barrier
	s_and_saveexec_b64 s[4:5], vcc
	s_cbranch_execz .LBB79_296
; %bb.290:
	s_waitcnt vmcnt(39)
	ds_write2_b64 v225, v[24:25], v[26:27] offset1:1
	s_waitcnt vmcnt(38)
	ds_write2_b64 v226, v[20:21], v[22:23] offset0:66 offset1:67
	s_waitcnt vmcnt(37)
	ds_write2_b64 v226, v[16:17], v[18:19] offset0:68 offset1:69
	;; [unrolled: 2-line block ×5, first 2 shown]
	ds_write2_b64 v226, v[0:1], v[2:3] offset0:76 offset1:77
	s_waitcnt vmcnt(33)
	ds_write2_b64 v226, v[156:157], v[158:159] offset0:78 offset1:79
	ds_read2_b64 v[192:195], v225 offset1:1
	s_waitcnt lgkmcnt(0)
	v_cmp_neq_f64_e32 vcc, 0, v[192:193]
	v_cmp_neq_f64_e64 s[2:3], 0, v[194:195]
	s_or_b64 s[2:3], vcc, s[2:3]
	s_and_b64 exec, exec, s[2:3]
	s_cbranch_execz .LBB79_296
; %bb.291:
	v_cmp_ngt_f64_e64 s[2:3], |v[192:193]|, |v[194:195]|
                                        ; implicit-def: $vgpr196_vgpr197
	s_and_saveexec_b64 s[10:11], s[2:3]
	s_xor_b64 s[2:3], exec, s[10:11]
                                        ; implicit-def: $vgpr198_vgpr199
	s_cbranch_execz .LBB79_293
; %bb.292:
	v_div_scale_f64 v[196:197], s[10:11], v[194:195], v[194:195], v[192:193]
	v_rcp_f64_e32 v[198:199], v[196:197]
	v_div_scale_f64 v[200:201], vcc, v[192:193], v[194:195], v[192:193]
	v_fma_f64 v[202:203], -v[196:197], v[198:199], 1.0
	v_fmac_f64_e32 v[198:199], v[198:199], v[202:203]
	v_fma_f64 v[202:203], -v[196:197], v[198:199], 1.0
	v_fmac_f64_e32 v[198:199], v[198:199], v[202:203]
	v_mul_f64 v[202:203], v[200:201], v[198:199]
	v_fma_f64 v[196:197], -v[196:197], v[202:203], v[200:201]
	v_div_fmas_f64 v[196:197], v[196:197], v[198:199], v[202:203]
	v_div_fixup_f64 v[196:197], v[196:197], v[194:195], v[192:193]
	v_fmac_f64_e32 v[194:195], v[192:193], v[196:197]
	v_div_scale_f64 v[192:193], s[10:11], v[194:195], v[194:195], 1.0
	v_rcp_f64_e32 v[198:199], v[192:193]
	s_nop 0
	v_fma_f64 v[200:201], -v[192:193], v[198:199], 1.0
	v_fmac_f64_e32 v[198:199], v[198:199], v[200:201]
	v_fma_f64 v[200:201], -v[192:193], v[198:199], 1.0
	v_fmac_f64_e32 v[198:199], v[198:199], v[200:201]
	v_div_scale_f64 v[200:201], vcc, 1.0, v[194:195], 1.0
	v_mul_f64 v[202:203], v[200:201], v[198:199]
	v_fma_f64 v[192:193], -v[192:193], v[202:203], v[200:201]
	s_nop 1
	v_div_fmas_f64 v[192:193], v[192:193], v[198:199], v[202:203]
	v_div_fixup_f64 v[198:199], v[192:193], v[194:195], 1.0
	v_mul_f64 v[196:197], v[196:197], v[198:199]
	v_xor_b32_e32 v199, 0x80000000, v199
                                        ; implicit-def: $vgpr192_vgpr193
.LBB79_293:
	s_andn2_saveexec_b64 s[2:3], s[2:3]
	s_cbranch_execz .LBB79_295
; %bb.294:
	v_div_scale_f64 v[196:197], s[10:11], v[192:193], v[192:193], v[194:195]
	v_rcp_f64_e32 v[198:199], v[196:197]
	v_div_scale_f64 v[200:201], vcc, v[194:195], v[192:193], v[194:195]
	v_fma_f64 v[202:203], -v[196:197], v[198:199], 1.0
	v_fmac_f64_e32 v[198:199], v[198:199], v[202:203]
	v_fma_f64 v[202:203], -v[196:197], v[198:199], 1.0
	v_fmac_f64_e32 v[198:199], v[198:199], v[202:203]
	v_mul_f64 v[202:203], v[200:201], v[198:199]
	v_fma_f64 v[196:197], -v[196:197], v[202:203], v[200:201]
	v_div_fmas_f64 v[196:197], v[196:197], v[198:199], v[202:203]
	v_div_fixup_f64 v[198:199], v[196:197], v[192:193], v[194:195]
	v_fmac_f64_e32 v[192:193], v[194:195], v[198:199]
	v_div_scale_f64 v[194:195], s[10:11], v[192:193], v[192:193], 1.0
	v_rcp_f64_e32 v[196:197], v[194:195]
	s_nop 0
	v_fma_f64 v[200:201], -v[194:195], v[196:197], 1.0
	v_fmac_f64_e32 v[196:197], v[196:197], v[200:201]
	v_fma_f64 v[200:201], -v[194:195], v[196:197], 1.0
	v_fmac_f64_e32 v[196:197], v[196:197], v[200:201]
	v_div_scale_f64 v[200:201], vcc, 1.0, v[192:193], 1.0
	v_mul_f64 v[202:203], v[200:201], v[196:197]
	v_fma_f64 v[194:195], -v[194:195], v[202:203], v[200:201]
	s_nop 1
	v_div_fmas_f64 v[194:195], v[194:195], v[196:197], v[202:203]
	v_div_fixup_f64 v[196:197], v[194:195], v[192:193], 1.0
	v_mul_f64 v[198:199], v[198:199], -v[196:197]
.LBB79_295:
	s_or_b64 exec, exec, s[2:3]
	ds_write2_b64 v225, v[196:197], v[198:199] offset1:1
.LBB79_296:
	s_or_b64 exec, exec, s[4:5]
	s_waitcnt lgkmcnt(0)
	s_barrier
	ds_read2_b64 v[192:195], v225 offset1:1
	v_cmp_lt_u32_e32 vcc, 32, v224
	s_and_saveexec_b64 s[2:3], vcc
	s_cbranch_execz .LBB79_298
; %bb.297:
	ds_read2_b64 v[198:201], v226 offset0:66 offset1:67
	s_waitcnt vmcnt(39) lgkmcnt(1)
	v_mul_f64 v[196:197], v[192:193], v[26:27]
	v_fmac_f64_e32 v[196:197], v[194:195], v[24:25]
	v_mul_f64 v[26:27], v[194:195], v[26:27]
	v_fma_f64 v[24:25], v[192:193], v[24:25], -v[26:27]
	s_waitcnt lgkmcnt(0)
	v_mul_f64 v[26:27], v[200:201], v[196:197]
	v_fma_f64 v[26:27], v[198:199], v[24:25], -v[26:27]
	v_mul_f64 v[198:199], v[198:199], v[196:197]
	v_fmac_f64_e32 v[198:199], v[200:201], v[24:25]
	s_waitcnt vmcnt(38)
	v_add_f64 v[22:23], v[22:23], -v[198:199]
	ds_read2_b64 v[198:201], v226 offset0:68 offset1:69
	v_add_f64 v[20:21], v[20:21], -v[26:27]
	s_waitcnt lgkmcnt(0)
	v_mul_f64 v[26:27], v[200:201], v[196:197]
	v_fma_f64 v[26:27], v[198:199], v[24:25], -v[26:27]
	v_mul_f64 v[198:199], v[198:199], v[196:197]
	v_fmac_f64_e32 v[198:199], v[200:201], v[24:25]
	s_waitcnt vmcnt(37)
	v_add_f64 v[18:19], v[18:19], -v[198:199]
	ds_read2_b64 v[198:201], v226 offset0:70 offset1:71
	v_add_f64 v[16:17], v[16:17], -v[26:27]
	;; [unrolled: 9-line block ×5, first 2 shown]
	s_waitcnt lgkmcnt(0)
	v_mul_f64 v[26:27], v[200:201], v[196:197]
	v_fma_f64 v[26:27], v[198:199], v[24:25], -v[26:27]
	v_mul_f64 v[198:199], v[198:199], v[196:197]
	v_fmac_f64_e32 v[198:199], v[200:201], v[24:25]
	v_add_f64 v[2:3], v[2:3], -v[198:199]
	ds_read2_b64 v[198:201], v226 offset0:78 offset1:79
	v_add_f64 v[0:1], v[0:1], -v[26:27]
	s_waitcnt lgkmcnt(0)
	v_mul_f64 v[26:27], v[200:201], v[196:197]
	v_fma_f64 v[26:27], v[198:199], v[24:25], -v[26:27]
	v_mul_f64 v[198:199], v[198:199], v[196:197]
	v_fmac_f64_e32 v[198:199], v[200:201], v[24:25]
	s_waitcnt vmcnt(33)
	v_add_f64 v[156:157], v[156:157], -v[26:27]
	v_add_f64 v[158:159], v[158:159], -v[198:199]
	v_mov_b64_e32 v[26:27], v[196:197]
.LBB79_298:
	s_or_b64 exec, exec, s[2:3]
	v_cmp_eq_u32_e32 vcc, 33, v224
	s_waitcnt lgkmcnt(0)
	s_barrier
	s_and_saveexec_b64 s[4:5], vcc
	s_cbranch_execz .LBB79_305
; %bb.299:
	s_waitcnt vmcnt(38)
	ds_write2_b64 v225, v[20:21], v[22:23] offset1:1
	s_waitcnt vmcnt(37)
	ds_write2_b64 v226, v[16:17], v[18:19] offset0:68 offset1:69
	s_waitcnt vmcnt(36)
	ds_write2_b64 v226, v[12:13], v[14:15] offset0:70 offset1:71
	s_waitcnt vmcnt(35)
	ds_write2_b64 v226, v[8:9], v[10:11] offset0:72 offset1:73
	s_waitcnt vmcnt(34)
	ds_write2_b64 v226, v[4:5], v[6:7] offset0:74 offset1:75
	ds_write2_b64 v226, v[0:1], v[2:3] offset0:76 offset1:77
	s_waitcnt vmcnt(33)
	ds_write2_b64 v226, v[156:157], v[158:159] offset0:78 offset1:79
	ds_read2_b64 v[196:199], v225 offset1:1
	s_waitcnt lgkmcnt(0)
	v_cmp_neq_f64_e32 vcc, 0, v[196:197]
	v_cmp_neq_f64_e64 s[2:3], 0, v[198:199]
	s_or_b64 s[2:3], vcc, s[2:3]
	s_and_b64 exec, exec, s[2:3]
	s_cbranch_execz .LBB79_305
; %bb.300:
	v_cmp_ngt_f64_e64 s[2:3], |v[196:197]|, |v[198:199]|
                                        ; implicit-def: $vgpr200_vgpr201
	s_and_saveexec_b64 s[10:11], s[2:3]
	s_xor_b64 s[2:3], exec, s[10:11]
                                        ; implicit-def: $vgpr202_vgpr203
	s_cbranch_execz .LBB79_302
; %bb.301:
	v_div_scale_f64 v[200:201], s[10:11], v[198:199], v[198:199], v[196:197]
	v_rcp_f64_e32 v[202:203], v[200:201]
	v_div_scale_f64 v[204:205], vcc, v[196:197], v[198:199], v[196:197]
	v_fma_f64 v[206:207], -v[200:201], v[202:203], 1.0
	v_fmac_f64_e32 v[202:203], v[202:203], v[206:207]
	v_fma_f64 v[206:207], -v[200:201], v[202:203], 1.0
	v_fmac_f64_e32 v[202:203], v[202:203], v[206:207]
	v_mul_f64 v[206:207], v[204:205], v[202:203]
	v_fma_f64 v[200:201], -v[200:201], v[206:207], v[204:205]
	v_div_fmas_f64 v[200:201], v[200:201], v[202:203], v[206:207]
	v_div_fixup_f64 v[200:201], v[200:201], v[198:199], v[196:197]
	v_fmac_f64_e32 v[198:199], v[196:197], v[200:201]
	v_div_scale_f64 v[196:197], s[10:11], v[198:199], v[198:199], 1.0
	v_rcp_f64_e32 v[202:203], v[196:197]
	s_nop 0
	v_fma_f64 v[204:205], -v[196:197], v[202:203], 1.0
	v_fmac_f64_e32 v[202:203], v[202:203], v[204:205]
	v_fma_f64 v[204:205], -v[196:197], v[202:203], 1.0
	v_fmac_f64_e32 v[202:203], v[202:203], v[204:205]
	v_div_scale_f64 v[204:205], vcc, 1.0, v[198:199], 1.0
	v_mul_f64 v[206:207], v[204:205], v[202:203]
	v_fma_f64 v[196:197], -v[196:197], v[206:207], v[204:205]
	s_nop 1
	v_div_fmas_f64 v[196:197], v[196:197], v[202:203], v[206:207]
	v_div_fixup_f64 v[202:203], v[196:197], v[198:199], 1.0
	v_mul_f64 v[200:201], v[200:201], v[202:203]
	v_xor_b32_e32 v203, 0x80000000, v203
                                        ; implicit-def: $vgpr196_vgpr197
.LBB79_302:
	s_andn2_saveexec_b64 s[2:3], s[2:3]
	s_cbranch_execz .LBB79_304
; %bb.303:
	v_div_scale_f64 v[200:201], s[10:11], v[196:197], v[196:197], v[198:199]
	v_rcp_f64_e32 v[202:203], v[200:201]
	v_div_scale_f64 v[204:205], vcc, v[198:199], v[196:197], v[198:199]
	v_fma_f64 v[206:207], -v[200:201], v[202:203], 1.0
	v_fmac_f64_e32 v[202:203], v[202:203], v[206:207]
	v_fma_f64 v[206:207], -v[200:201], v[202:203], 1.0
	v_fmac_f64_e32 v[202:203], v[202:203], v[206:207]
	v_mul_f64 v[206:207], v[204:205], v[202:203]
	v_fma_f64 v[200:201], -v[200:201], v[206:207], v[204:205]
	v_div_fmas_f64 v[200:201], v[200:201], v[202:203], v[206:207]
	v_div_fixup_f64 v[202:203], v[200:201], v[196:197], v[198:199]
	v_fmac_f64_e32 v[196:197], v[198:199], v[202:203]
	v_div_scale_f64 v[198:199], s[10:11], v[196:197], v[196:197], 1.0
	v_rcp_f64_e32 v[200:201], v[198:199]
	s_nop 0
	v_fma_f64 v[204:205], -v[198:199], v[200:201], 1.0
	v_fmac_f64_e32 v[200:201], v[200:201], v[204:205]
	v_fma_f64 v[204:205], -v[198:199], v[200:201], 1.0
	v_fmac_f64_e32 v[200:201], v[200:201], v[204:205]
	v_div_scale_f64 v[204:205], vcc, 1.0, v[196:197], 1.0
	v_mul_f64 v[206:207], v[204:205], v[200:201]
	v_fma_f64 v[198:199], -v[198:199], v[206:207], v[204:205]
	s_nop 1
	v_div_fmas_f64 v[198:199], v[198:199], v[200:201], v[206:207]
	v_div_fixup_f64 v[200:201], v[198:199], v[196:197], 1.0
	v_mul_f64 v[202:203], v[202:203], -v[200:201]
.LBB79_304:
	s_or_b64 exec, exec, s[2:3]
	ds_write2_b64 v225, v[200:201], v[202:203] offset1:1
.LBB79_305:
	s_or_b64 exec, exec, s[4:5]
	s_waitcnt lgkmcnt(0)
	s_barrier
	ds_read2_b64 v[196:199], v225 offset1:1
	v_cmp_lt_u32_e32 vcc, 33, v224
	s_and_saveexec_b64 s[2:3], vcc
	s_cbranch_execz .LBB79_307
; %bb.306:
	ds_read2_b64 v[200:203], v226 offset0:68 offset1:69
	s_waitcnt vmcnt(38) lgkmcnt(1)
	v_mul_f64 v[204:205], v[196:197], v[22:23]
	v_fmac_f64_e32 v[204:205], v[198:199], v[20:21]
	v_mul_f64 v[22:23], v[198:199], v[22:23]
	v_fma_f64 v[20:21], v[196:197], v[20:21], -v[22:23]
	s_waitcnt lgkmcnt(0)
	v_mul_f64 v[22:23], v[202:203], v[204:205]
	v_fma_f64 v[22:23], v[200:201], v[20:21], -v[22:23]
	v_mul_f64 v[200:201], v[200:201], v[204:205]
	v_fmac_f64_e32 v[200:201], v[202:203], v[20:21]
	s_waitcnt vmcnt(37)
	v_add_f64 v[18:19], v[18:19], -v[200:201]
	ds_read2_b64 v[200:203], v226 offset0:70 offset1:71
	v_add_f64 v[16:17], v[16:17], -v[22:23]
	s_waitcnt lgkmcnt(0)
	v_mul_f64 v[22:23], v[202:203], v[204:205]
	v_fma_f64 v[22:23], v[200:201], v[20:21], -v[22:23]
	v_mul_f64 v[200:201], v[200:201], v[204:205]
	v_fmac_f64_e32 v[200:201], v[202:203], v[20:21]
	s_waitcnt vmcnt(36)
	v_add_f64 v[14:15], v[14:15], -v[200:201]
	ds_read2_b64 v[200:203], v226 offset0:72 offset1:73
	v_add_f64 v[12:13], v[12:13], -v[22:23]
	;; [unrolled: 9-line block ×4, first 2 shown]
	s_waitcnt lgkmcnt(0)
	v_mul_f64 v[22:23], v[202:203], v[204:205]
	v_fma_f64 v[22:23], v[200:201], v[20:21], -v[22:23]
	v_mul_f64 v[200:201], v[200:201], v[204:205]
	v_fmac_f64_e32 v[200:201], v[202:203], v[20:21]
	v_add_f64 v[2:3], v[2:3], -v[200:201]
	ds_read2_b64 v[200:203], v226 offset0:78 offset1:79
	v_add_f64 v[0:1], v[0:1], -v[22:23]
	s_waitcnt lgkmcnt(0)
	v_mul_f64 v[22:23], v[202:203], v[204:205]
	v_fma_f64 v[22:23], v[200:201], v[20:21], -v[22:23]
	v_mul_f64 v[200:201], v[200:201], v[204:205]
	v_fmac_f64_e32 v[200:201], v[202:203], v[20:21]
	s_waitcnt vmcnt(33)
	v_add_f64 v[156:157], v[156:157], -v[22:23]
	v_add_f64 v[158:159], v[158:159], -v[200:201]
	v_mov_b64_e32 v[22:23], v[204:205]
.LBB79_307:
	s_or_b64 exec, exec, s[2:3]
	v_cmp_eq_u32_e32 vcc, 34, v224
	s_waitcnt lgkmcnt(0)
	s_barrier
	s_and_saveexec_b64 s[4:5], vcc
	s_cbranch_execz .LBB79_314
; %bb.308:
	s_waitcnt vmcnt(37)
	ds_write2_b64 v225, v[16:17], v[18:19] offset1:1
	s_waitcnt vmcnt(36)
	ds_write2_b64 v226, v[12:13], v[14:15] offset0:70 offset1:71
	s_waitcnt vmcnt(35)
	ds_write2_b64 v226, v[8:9], v[10:11] offset0:72 offset1:73
	;; [unrolled: 2-line block ×3, first 2 shown]
	ds_write2_b64 v226, v[0:1], v[2:3] offset0:76 offset1:77
	s_waitcnt vmcnt(33)
	ds_write2_b64 v226, v[156:157], v[158:159] offset0:78 offset1:79
	ds_read2_b64 v[200:203], v225 offset1:1
	s_waitcnt lgkmcnt(0)
	v_cmp_neq_f64_e32 vcc, 0, v[200:201]
	v_cmp_neq_f64_e64 s[2:3], 0, v[202:203]
	s_or_b64 s[2:3], vcc, s[2:3]
	s_and_b64 exec, exec, s[2:3]
	s_cbranch_execz .LBB79_314
; %bb.309:
	v_cmp_ngt_f64_e64 s[2:3], |v[200:201]|, |v[202:203]|
                                        ; implicit-def: $vgpr204_vgpr205
	s_and_saveexec_b64 s[10:11], s[2:3]
	s_xor_b64 s[2:3], exec, s[10:11]
                                        ; implicit-def: $vgpr206_vgpr207
	s_cbranch_execz .LBB79_311
; %bb.310:
	v_div_scale_f64 v[204:205], s[10:11], v[202:203], v[202:203], v[200:201]
	v_rcp_f64_e32 v[206:207], v[204:205]
	v_div_scale_f64 v[208:209], vcc, v[200:201], v[202:203], v[200:201]
	v_fma_f64 v[210:211], -v[204:205], v[206:207], 1.0
	v_fmac_f64_e32 v[206:207], v[206:207], v[210:211]
	v_fma_f64 v[210:211], -v[204:205], v[206:207], 1.0
	v_fmac_f64_e32 v[206:207], v[206:207], v[210:211]
	v_mul_f64 v[210:211], v[208:209], v[206:207]
	v_fma_f64 v[204:205], -v[204:205], v[210:211], v[208:209]
	v_div_fmas_f64 v[204:205], v[204:205], v[206:207], v[210:211]
	v_div_fixup_f64 v[204:205], v[204:205], v[202:203], v[200:201]
	v_fmac_f64_e32 v[202:203], v[200:201], v[204:205]
	v_div_scale_f64 v[200:201], s[10:11], v[202:203], v[202:203], 1.0
	v_rcp_f64_e32 v[206:207], v[200:201]
	s_nop 0
	v_fma_f64 v[208:209], -v[200:201], v[206:207], 1.0
	v_fmac_f64_e32 v[206:207], v[206:207], v[208:209]
	v_fma_f64 v[208:209], -v[200:201], v[206:207], 1.0
	v_fmac_f64_e32 v[206:207], v[206:207], v[208:209]
	v_div_scale_f64 v[208:209], vcc, 1.0, v[202:203], 1.0
	v_mul_f64 v[210:211], v[208:209], v[206:207]
	v_fma_f64 v[200:201], -v[200:201], v[210:211], v[208:209]
	s_nop 1
	v_div_fmas_f64 v[200:201], v[200:201], v[206:207], v[210:211]
	v_div_fixup_f64 v[206:207], v[200:201], v[202:203], 1.0
	v_mul_f64 v[204:205], v[204:205], v[206:207]
	v_xor_b32_e32 v207, 0x80000000, v207
                                        ; implicit-def: $vgpr200_vgpr201
.LBB79_311:
	s_andn2_saveexec_b64 s[2:3], s[2:3]
	s_cbranch_execz .LBB79_313
; %bb.312:
	v_div_scale_f64 v[204:205], s[10:11], v[200:201], v[200:201], v[202:203]
	v_rcp_f64_e32 v[206:207], v[204:205]
	v_div_scale_f64 v[208:209], vcc, v[202:203], v[200:201], v[202:203]
	v_fma_f64 v[210:211], -v[204:205], v[206:207], 1.0
	v_fmac_f64_e32 v[206:207], v[206:207], v[210:211]
	v_fma_f64 v[210:211], -v[204:205], v[206:207], 1.0
	v_fmac_f64_e32 v[206:207], v[206:207], v[210:211]
	v_mul_f64 v[210:211], v[208:209], v[206:207]
	v_fma_f64 v[204:205], -v[204:205], v[210:211], v[208:209]
	v_div_fmas_f64 v[204:205], v[204:205], v[206:207], v[210:211]
	v_div_fixup_f64 v[206:207], v[204:205], v[200:201], v[202:203]
	v_fmac_f64_e32 v[200:201], v[202:203], v[206:207]
	v_div_scale_f64 v[202:203], s[10:11], v[200:201], v[200:201], 1.0
	v_rcp_f64_e32 v[204:205], v[202:203]
	s_nop 0
	v_fma_f64 v[208:209], -v[202:203], v[204:205], 1.0
	v_fmac_f64_e32 v[204:205], v[204:205], v[208:209]
	v_fma_f64 v[208:209], -v[202:203], v[204:205], 1.0
	v_fmac_f64_e32 v[204:205], v[204:205], v[208:209]
	v_div_scale_f64 v[208:209], vcc, 1.0, v[200:201], 1.0
	v_mul_f64 v[210:211], v[208:209], v[204:205]
	v_fma_f64 v[202:203], -v[202:203], v[210:211], v[208:209]
	s_nop 1
	v_div_fmas_f64 v[202:203], v[202:203], v[204:205], v[210:211]
	v_div_fixup_f64 v[204:205], v[202:203], v[200:201], 1.0
	v_mul_f64 v[206:207], v[206:207], -v[204:205]
.LBB79_313:
	s_or_b64 exec, exec, s[2:3]
	ds_write2_b64 v225, v[204:205], v[206:207] offset1:1
.LBB79_314:
	s_or_b64 exec, exec, s[4:5]
	s_waitcnt lgkmcnt(0)
	s_barrier
	ds_read2_b64 v[200:203], v225 offset1:1
	v_cmp_lt_u32_e32 vcc, 34, v224
	s_and_saveexec_b64 s[2:3], vcc
	s_cbranch_execz .LBB79_316
; %bb.315:
	ds_read2_b64 v[204:207], v226 offset0:70 offset1:71
	s_waitcnt vmcnt(37) lgkmcnt(1)
	v_mul_f64 v[208:209], v[200:201], v[18:19]
	v_fmac_f64_e32 v[208:209], v[202:203], v[16:17]
	v_mul_f64 v[18:19], v[202:203], v[18:19]
	v_fma_f64 v[16:17], v[200:201], v[16:17], -v[18:19]
	s_waitcnt lgkmcnt(0)
	v_mul_f64 v[18:19], v[206:207], v[208:209]
	v_fma_f64 v[18:19], v[204:205], v[16:17], -v[18:19]
	v_mul_f64 v[204:205], v[204:205], v[208:209]
	v_fmac_f64_e32 v[204:205], v[206:207], v[16:17]
	s_waitcnt vmcnt(36)
	v_add_f64 v[14:15], v[14:15], -v[204:205]
	ds_read2_b64 v[204:207], v226 offset0:72 offset1:73
	v_add_f64 v[12:13], v[12:13], -v[18:19]
	s_waitcnt lgkmcnt(0)
	v_mul_f64 v[18:19], v[206:207], v[208:209]
	v_fma_f64 v[18:19], v[204:205], v[16:17], -v[18:19]
	v_mul_f64 v[204:205], v[204:205], v[208:209]
	v_fmac_f64_e32 v[204:205], v[206:207], v[16:17]
	s_waitcnt vmcnt(35)
	v_add_f64 v[10:11], v[10:11], -v[204:205]
	ds_read2_b64 v[204:207], v226 offset0:74 offset1:75
	v_add_f64 v[8:9], v[8:9], -v[18:19]
	s_waitcnt lgkmcnt(0)
	v_mul_f64 v[18:19], v[206:207], v[208:209]
	v_fma_f64 v[18:19], v[204:205], v[16:17], -v[18:19]
	v_mul_f64 v[204:205], v[204:205], v[208:209]
	v_fmac_f64_e32 v[204:205], v[206:207], v[16:17]
	s_waitcnt vmcnt(34)
	v_add_f64 v[6:7], v[6:7], -v[204:205]
	ds_read2_b64 v[204:207], v226 offset0:76 offset1:77
	v_add_f64 v[4:5], v[4:5], -v[18:19]
	s_waitcnt lgkmcnt(0)
	v_mul_f64 v[18:19], v[206:207], v[208:209]
	v_fma_f64 v[18:19], v[204:205], v[16:17], -v[18:19]
	v_mul_f64 v[204:205], v[204:205], v[208:209]
	v_fmac_f64_e32 v[204:205], v[206:207], v[16:17]
	v_add_f64 v[2:3], v[2:3], -v[204:205]
	ds_read2_b64 v[204:207], v226 offset0:78 offset1:79
	v_add_f64 v[0:1], v[0:1], -v[18:19]
	s_waitcnt lgkmcnt(0)
	v_mul_f64 v[18:19], v[206:207], v[208:209]
	v_fma_f64 v[18:19], v[204:205], v[16:17], -v[18:19]
	v_mul_f64 v[204:205], v[204:205], v[208:209]
	v_fmac_f64_e32 v[204:205], v[206:207], v[16:17]
	s_waitcnt vmcnt(33)
	v_add_f64 v[156:157], v[156:157], -v[18:19]
	v_add_f64 v[158:159], v[158:159], -v[204:205]
	v_mov_b64_e32 v[18:19], v[208:209]
.LBB79_316:
	s_or_b64 exec, exec, s[2:3]
	v_cmp_eq_u32_e32 vcc, 35, v224
	s_waitcnt lgkmcnt(0)
	s_barrier
	s_and_saveexec_b64 s[4:5], vcc
	s_cbranch_execz .LBB79_323
; %bb.317:
	s_waitcnt vmcnt(36)
	ds_write2_b64 v225, v[12:13], v[14:15] offset1:1
	s_waitcnt vmcnt(35)
	ds_write2_b64 v226, v[8:9], v[10:11] offset0:72 offset1:73
	s_waitcnt vmcnt(34)
	ds_write2_b64 v226, v[4:5], v[6:7] offset0:74 offset1:75
	ds_write2_b64 v226, v[0:1], v[2:3] offset0:76 offset1:77
	s_waitcnt vmcnt(33)
	ds_write2_b64 v226, v[156:157], v[158:159] offset0:78 offset1:79
	ds_read2_b64 v[204:207], v225 offset1:1
	s_waitcnt lgkmcnt(0)
	v_cmp_neq_f64_e32 vcc, 0, v[204:205]
	v_cmp_neq_f64_e64 s[2:3], 0, v[206:207]
	s_or_b64 s[2:3], vcc, s[2:3]
	s_and_b64 exec, exec, s[2:3]
	s_cbranch_execz .LBB79_323
; %bb.318:
	v_cmp_ngt_f64_e64 s[2:3], |v[204:205]|, |v[206:207]|
                                        ; implicit-def: $vgpr208_vgpr209
	s_and_saveexec_b64 s[10:11], s[2:3]
	s_xor_b64 s[2:3], exec, s[10:11]
                                        ; implicit-def: $vgpr210_vgpr211
	s_cbranch_execz .LBB79_320
; %bb.319:
	v_div_scale_f64 v[208:209], s[10:11], v[206:207], v[206:207], v[204:205]
	v_rcp_f64_e32 v[210:211], v[208:209]
	v_div_scale_f64 v[212:213], vcc, v[204:205], v[206:207], v[204:205]
	v_fma_f64 v[214:215], -v[208:209], v[210:211], 1.0
	v_fmac_f64_e32 v[210:211], v[210:211], v[214:215]
	v_fma_f64 v[214:215], -v[208:209], v[210:211], 1.0
	v_fmac_f64_e32 v[210:211], v[210:211], v[214:215]
	v_mul_f64 v[214:215], v[212:213], v[210:211]
	v_fma_f64 v[208:209], -v[208:209], v[214:215], v[212:213]
	v_div_fmas_f64 v[208:209], v[208:209], v[210:211], v[214:215]
	v_div_fixup_f64 v[208:209], v[208:209], v[206:207], v[204:205]
	v_fmac_f64_e32 v[206:207], v[204:205], v[208:209]
	v_div_scale_f64 v[204:205], s[10:11], v[206:207], v[206:207], 1.0
	v_rcp_f64_e32 v[210:211], v[204:205]
	s_nop 0
	v_fma_f64 v[212:213], -v[204:205], v[210:211], 1.0
	v_fmac_f64_e32 v[210:211], v[210:211], v[212:213]
	v_fma_f64 v[212:213], -v[204:205], v[210:211], 1.0
	v_fmac_f64_e32 v[210:211], v[210:211], v[212:213]
	v_div_scale_f64 v[212:213], vcc, 1.0, v[206:207], 1.0
	v_mul_f64 v[214:215], v[212:213], v[210:211]
	v_fma_f64 v[204:205], -v[204:205], v[214:215], v[212:213]
	s_nop 1
	v_div_fmas_f64 v[204:205], v[204:205], v[210:211], v[214:215]
	v_div_fixup_f64 v[210:211], v[204:205], v[206:207], 1.0
	v_mul_f64 v[208:209], v[208:209], v[210:211]
	v_xor_b32_e32 v211, 0x80000000, v211
                                        ; implicit-def: $vgpr204_vgpr205
.LBB79_320:
	s_andn2_saveexec_b64 s[2:3], s[2:3]
	s_cbranch_execz .LBB79_322
; %bb.321:
	v_div_scale_f64 v[208:209], s[10:11], v[204:205], v[204:205], v[206:207]
	v_rcp_f64_e32 v[210:211], v[208:209]
	v_div_scale_f64 v[212:213], vcc, v[206:207], v[204:205], v[206:207]
	v_fma_f64 v[214:215], -v[208:209], v[210:211], 1.0
	v_fmac_f64_e32 v[210:211], v[210:211], v[214:215]
	v_fma_f64 v[214:215], -v[208:209], v[210:211], 1.0
	v_fmac_f64_e32 v[210:211], v[210:211], v[214:215]
	v_mul_f64 v[214:215], v[212:213], v[210:211]
	v_fma_f64 v[208:209], -v[208:209], v[214:215], v[212:213]
	v_div_fmas_f64 v[208:209], v[208:209], v[210:211], v[214:215]
	v_div_fixup_f64 v[210:211], v[208:209], v[204:205], v[206:207]
	v_fmac_f64_e32 v[204:205], v[206:207], v[210:211]
	v_div_scale_f64 v[206:207], s[10:11], v[204:205], v[204:205], 1.0
	v_rcp_f64_e32 v[208:209], v[206:207]
	s_nop 0
	v_fma_f64 v[212:213], -v[206:207], v[208:209], 1.0
	v_fmac_f64_e32 v[208:209], v[208:209], v[212:213]
	v_fma_f64 v[212:213], -v[206:207], v[208:209], 1.0
	v_fmac_f64_e32 v[208:209], v[208:209], v[212:213]
	v_div_scale_f64 v[212:213], vcc, 1.0, v[204:205], 1.0
	v_mul_f64 v[214:215], v[212:213], v[208:209]
	v_fma_f64 v[206:207], -v[206:207], v[214:215], v[212:213]
	s_nop 1
	v_div_fmas_f64 v[206:207], v[206:207], v[208:209], v[214:215]
	v_div_fixup_f64 v[208:209], v[206:207], v[204:205], 1.0
	v_mul_f64 v[210:211], v[210:211], -v[208:209]
.LBB79_322:
	s_or_b64 exec, exec, s[2:3]
	ds_write2_b64 v225, v[208:209], v[210:211] offset1:1
.LBB79_323:
	s_or_b64 exec, exec, s[4:5]
	s_waitcnt lgkmcnt(0)
	s_barrier
	ds_read2_b64 v[204:207], v225 offset1:1
	v_cmp_lt_u32_e32 vcc, 35, v224
	s_and_saveexec_b64 s[2:3], vcc
	s_cbranch_execz .LBB79_325
; %bb.324:
	ds_read2_b64 v[208:211], v226 offset0:72 offset1:73
	s_waitcnt vmcnt(36) lgkmcnt(1)
	v_mul_f64 v[212:213], v[204:205], v[14:15]
	v_fmac_f64_e32 v[212:213], v[206:207], v[12:13]
	v_mul_f64 v[14:15], v[206:207], v[14:15]
	v_fma_f64 v[12:13], v[204:205], v[12:13], -v[14:15]
	s_waitcnt lgkmcnt(0)
	v_mul_f64 v[14:15], v[210:211], v[212:213]
	v_fma_f64 v[14:15], v[208:209], v[12:13], -v[14:15]
	v_mul_f64 v[208:209], v[208:209], v[212:213]
	v_fmac_f64_e32 v[208:209], v[210:211], v[12:13]
	s_waitcnt vmcnt(35)
	v_add_f64 v[10:11], v[10:11], -v[208:209]
	ds_read2_b64 v[208:211], v226 offset0:74 offset1:75
	v_add_f64 v[8:9], v[8:9], -v[14:15]
	s_waitcnt lgkmcnt(0)
	v_mul_f64 v[14:15], v[210:211], v[212:213]
	v_fma_f64 v[14:15], v[208:209], v[12:13], -v[14:15]
	v_mul_f64 v[208:209], v[208:209], v[212:213]
	v_fmac_f64_e32 v[208:209], v[210:211], v[12:13]
	s_waitcnt vmcnt(34)
	v_add_f64 v[6:7], v[6:7], -v[208:209]
	ds_read2_b64 v[208:211], v226 offset0:76 offset1:77
	v_add_f64 v[4:5], v[4:5], -v[14:15]
	s_waitcnt lgkmcnt(0)
	v_mul_f64 v[14:15], v[210:211], v[212:213]
	v_fma_f64 v[14:15], v[208:209], v[12:13], -v[14:15]
	v_mul_f64 v[208:209], v[208:209], v[212:213]
	v_fmac_f64_e32 v[208:209], v[210:211], v[12:13]
	v_add_f64 v[2:3], v[2:3], -v[208:209]
	ds_read2_b64 v[208:211], v226 offset0:78 offset1:79
	v_add_f64 v[0:1], v[0:1], -v[14:15]
	s_waitcnt lgkmcnt(0)
	v_mul_f64 v[14:15], v[210:211], v[212:213]
	v_fma_f64 v[14:15], v[208:209], v[12:13], -v[14:15]
	v_mul_f64 v[208:209], v[208:209], v[212:213]
	v_fmac_f64_e32 v[208:209], v[210:211], v[12:13]
	s_waitcnt vmcnt(33)
	v_add_f64 v[156:157], v[156:157], -v[14:15]
	v_add_f64 v[158:159], v[158:159], -v[208:209]
	v_mov_b64_e32 v[14:15], v[212:213]
.LBB79_325:
	s_or_b64 exec, exec, s[2:3]
	v_cmp_eq_u32_e32 vcc, 36, v224
	s_waitcnt lgkmcnt(0)
	s_barrier
	s_and_saveexec_b64 s[4:5], vcc
	s_cbranch_execz .LBB79_332
; %bb.326:
	s_waitcnt vmcnt(35)
	ds_write2_b64 v225, v[8:9], v[10:11] offset1:1
	s_waitcnt vmcnt(34)
	ds_write2_b64 v226, v[4:5], v[6:7] offset0:74 offset1:75
	ds_write2_b64 v226, v[0:1], v[2:3] offset0:76 offset1:77
	s_waitcnt vmcnt(33)
	ds_write2_b64 v226, v[156:157], v[158:159] offset0:78 offset1:79
	ds_read2_b64 v[208:211], v225 offset1:1
	s_waitcnt lgkmcnt(0)
	v_cmp_neq_f64_e32 vcc, 0, v[208:209]
	v_cmp_neq_f64_e64 s[2:3], 0, v[210:211]
	s_or_b64 s[2:3], vcc, s[2:3]
	s_and_b64 exec, exec, s[2:3]
	s_cbranch_execz .LBB79_332
; %bb.327:
	v_cmp_ngt_f64_e64 s[2:3], |v[208:209]|, |v[210:211]|
                                        ; implicit-def: $vgpr212_vgpr213
	s_and_saveexec_b64 s[10:11], s[2:3]
	s_xor_b64 s[2:3], exec, s[10:11]
                                        ; implicit-def: $vgpr214_vgpr215
	s_cbranch_execz .LBB79_329
; %bb.328:
	v_div_scale_f64 v[212:213], s[10:11], v[210:211], v[210:211], v[208:209]
	v_rcp_f64_e32 v[214:215], v[212:213]
	v_div_scale_f64 v[216:217], vcc, v[208:209], v[210:211], v[208:209]
	v_fma_f64 v[218:219], -v[212:213], v[214:215], 1.0
	v_fmac_f64_e32 v[214:215], v[214:215], v[218:219]
	v_fma_f64 v[218:219], -v[212:213], v[214:215], 1.0
	v_fmac_f64_e32 v[214:215], v[214:215], v[218:219]
	v_mul_f64 v[218:219], v[216:217], v[214:215]
	v_fma_f64 v[212:213], -v[212:213], v[218:219], v[216:217]
	v_div_fmas_f64 v[212:213], v[212:213], v[214:215], v[218:219]
	v_div_fixup_f64 v[212:213], v[212:213], v[210:211], v[208:209]
	v_fmac_f64_e32 v[210:211], v[208:209], v[212:213]
	v_div_scale_f64 v[208:209], s[10:11], v[210:211], v[210:211], 1.0
	v_rcp_f64_e32 v[214:215], v[208:209]
	s_nop 0
	v_fma_f64 v[216:217], -v[208:209], v[214:215], 1.0
	v_fmac_f64_e32 v[214:215], v[214:215], v[216:217]
	v_fma_f64 v[216:217], -v[208:209], v[214:215], 1.0
	v_fmac_f64_e32 v[214:215], v[214:215], v[216:217]
	v_div_scale_f64 v[216:217], vcc, 1.0, v[210:211], 1.0
	v_mul_f64 v[218:219], v[216:217], v[214:215]
	v_fma_f64 v[208:209], -v[208:209], v[218:219], v[216:217]
	s_nop 1
	v_div_fmas_f64 v[208:209], v[208:209], v[214:215], v[218:219]
	v_div_fixup_f64 v[214:215], v[208:209], v[210:211], 1.0
	v_mul_f64 v[212:213], v[212:213], v[214:215]
	v_xor_b32_e32 v215, 0x80000000, v215
                                        ; implicit-def: $vgpr208_vgpr209
.LBB79_329:
	s_andn2_saveexec_b64 s[2:3], s[2:3]
	s_cbranch_execz .LBB79_331
; %bb.330:
	v_div_scale_f64 v[212:213], s[10:11], v[208:209], v[208:209], v[210:211]
	v_rcp_f64_e32 v[214:215], v[212:213]
	v_div_scale_f64 v[216:217], vcc, v[210:211], v[208:209], v[210:211]
	v_fma_f64 v[218:219], -v[212:213], v[214:215], 1.0
	v_fmac_f64_e32 v[214:215], v[214:215], v[218:219]
	v_fma_f64 v[218:219], -v[212:213], v[214:215], 1.0
	v_fmac_f64_e32 v[214:215], v[214:215], v[218:219]
	v_mul_f64 v[218:219], v[216:217], v[214:215]
	v_fma_f64 v[212:213], -v[212:213], v[218:219], v[216:217]
	v_div_fmas_f64 v[212:213], v[212:213], v[214:215], v[218:219]
	v_div_fixup_f64 v[214:215], v[212:213], v[208:209], v[210:211]
	v_fmac_f64_e32 v[208:209], v[210:211], v[214:215]
	v_div_scale_f64 v[210:211], s[10:11], v[208:209], v[208:209], 1.0
	v_rcp_f64_e32 v[212:213], v[210:211]
	s_nop 0
	v_fma_f64 v[216:217], -v[210:211], v[212:213], 1.0
	v_fmac_f64_e32 v[212:213], v[212:213], v[216:217]
	v_fma_f64 v[216:217], -v[210:211], v[212:213], 1.0
	v_fmac_f64_e32 v[212:213], v[212:213], v[216:217]
	v_div_scale_f64 v[216:217], vcc, 1.0, v[208:209], 1.0
	v_mul_f64 v[218:219], v[216:217], v[212:213]
	v_fma_f64 v[210:211], -v[210:211], v[218:219], v[216:217]
	s_nop 1
	v_div_fmas_f64 v[210:211], v[210:211], v[212:213], v[218:219]
	v_div_fixup_f64 v[212:213], v[210:211], v[208:209], 1.0
	v_mul_f64 v[214:215], v[214:215], -v[212:213]
.LBB79_331:
	s_or_b64 exec, exec, s[2:3]
	ds_write2_b64 v225, v[212:213], v[214:215] offset1:1
.LBB79_332:
	s_or_b64 exec, exec, s[4:5]
	s_waitcnt lgkmcnt(0)
	s_barrier
	ds_read2_b64 v[208:211], v225 offset1:1
	v_cmp_lt_u32_e32 vcc, 36, v224
	s_and_saveexec_b64 s[2:3], vcc
	s_cbranch_execz .LBB79_334
; %bb.333:
	ds_read2_b64 v[212:215], v226 offset0:74 offset1:75
	s_waitcnt vmcnt(35) lgkmcnt(1)
	v_mul_f64 v[216:217], v[208:209], v[10:11]
	v_fmac_f64_e32 v[216:217], v[210:211], v[8:9]
	v_mul_f64 v[10:11], v[210:211], v[10:11]
	v_fma_f64 v[8:9], v[208:209], v[8:9], -v[10:11]
	s_waitcnt lgkmcnt(0)
	v_mul_f64 v[10:11], v[214:215], v[216:217]
	v_fma_f64 v[10:11], v[212:213], v[8:9], -v[10:11]
	v_mul_f64 v[212:213], v[212:213], v[216:217]
	v_fmac_f64_e32 v[212:213], v[214:215], v[8:9]
	s_waitcnt vmcnt(34)
	v_add_f64 v[6:7], v[6:7], -v[212:213]
	ds_read2_b64 v[212:215], v226 offset0:76 offset1:77
	v_add_f64 v[4:5], v[4:5], -v[10:11]
	s_waitcnt lgkmcnt(0)
	v_mul_f64 v[10:11], v[214:215], v[216:217]
	v_fma_f64 v[10:11], v[212:213], v[8:9], -v[10:11]
	v_mul_f64 v[212:213], v[212:213], v[216:217]
	v_fmac_f64_e32 v[212:213], v[214:215], v[8:9]
	v_add_f64 v[2:3], v[2:3], -v[212:213]
	ds_read2_b64 v[212:215], v226 offset0:78 offset1:79
	v_add_f64 v[0:1], v[0:1], -v[10:11]
	s_waitcnt lgkmcnt(0)
	v_mul_f64 v[10:11], v[214:215], v[216:217]
	v_fma_f64 v[10:11], v[212:213], v[8:9], -v[10:11]
	v_mul_f64 v[212:213], v[212:213], v[216:217]
	v_fmac_f64_e32 v[212:213], v[214:215], v[8:9]
	s_waitcnt vmcnt(33)
	v_add_f64 v[156:157], v[156:157], -v[10:11]
	v_add_f64 v[158:159], v[158:159], -v[212:213]
	v_mov_b64_e32 v[10:11], v[216:217]
.LBB79_334:
	s_or_b64 exec, exec, s[2:3]
	v_cmp_eq_u32_e32 vcc, 37, v224
	s_waitcnt lgkmcnt(0)
	s_barrier
	s_and_saveexec_b64 s[4:5], vcc
	s_cbranch_execz .LBB79_341
; %bb.335:
	s_waitcnt vmcnt(34)
	ds_write2_b64 v225, v[4:5], v[6:7] offset1:1
	ds_write2_b64 v226, v[0:1], v[2:3] offset0:76 offset1:77
	s_waitcnt vmcnt(33)
	ds_write2_b64 v226, v[156:157], v[158:159] offset0:78 offset1:79
	ds_read2_b64 v[212:215], v225 offset1:1
	s_waitcnt lgkmcnt(0)
	v_cmp_neq_f64_e32 vcc, 0, v[212:213]
	v_cmp_neq_f64_e64 s[2:3], 0, v[214:215]
	s_or_b64 s[2:3], vcc, s[2:3]
	s_and_b64 exec, exec, s[2:3]
	s_cbranch_execz .LBB79_341
; %bb.336:
	v_cmp_ngt_f64_e64 s[2:3], |v[212:213]|, |v[214:215]|
                                        ; implicit-def: $vgpr216_vgpr217
	s_and_saveexec_b64 s[10:11], s[2:3]
	s_xor_b64 s[2:3], exec, s[10:11]
                                        ; implicit-def: $vgpr218_vgpr219
	s_cbranch_execz .LBB79_338
; %bb.337:
	v_div_scale_f64 v[216:217], s[10:11], v[214:215], v[214:215], v[212:213]
	v_rcp_f64_e32 v[218:219], v[216:217]
	v_div_scale_f64 v[220:221], vcc, v[212:213], v[214:215], v[212:213]
	v_fma_f64 v[222:223], -v[216:217], v[218:219], 1.0
	v_fmac_f64_e32 v[218:219], v[218:219], v[222:223]
	v_fma_f64 v[222:223], -v[216:217], v[218:219], 1.0
	v_fmac_f64_e32 v[218:219], v[218:219], v[222:223]
	v_mul_f64 v[222:223], v[220:221], v[218:219]
	v_fma_f64 v[216:217], -v[216:217], v[222:223], v[220:221]
	v_div_fmas_f64 v[216:217], v[216:217], v[218:219], v[222:223]
	v_div_fixup_f64 v[216:217], v[216:217], v[214:215], v[212:213]
	v_fmac_f64_e32 v[214:215], v[212:213], v[216:217]
	v_div_scale_f64 v[212:213], s[10:11], v[214:215], v[214:215], 1.0
	v_rcp_f64_e32 v[218:219], v[212:213]
	s_nop 0
	v_fma_f64 v[220:221], -v[212:213], v[218:219], 1.0
	v_fmac_f64_e32 v[218:219], v[218:219], v[220:221]
	v_fma_f64 v[220:221], -v[212:213], v[218:219], 1.0
	v_fmac_f64_e32 v[218:219], v[218:219], v[220:221]
	v_div_scale_f64 v[220:221], vcc, 1.0, v[214:215], 1.0
	v_mul_f64 v[222:223], v[220:221], v[218:219]
	v_fma_f64 v[212:213], -v[212:213], v[222:223], v[220:221]
	s_nop 1
	v_div_fmas_f64 v[212:213], v[212:213], v[218:219], v[222:223]
	v_div_fixup_f64 v[218:219], v[212:213], v[214:215], 1.0
	v_mul_f64 v[216:217], v[216:217], v[218:219]
	v_xor_b32_e32 v219, 0x80000000, v219
                                        ; implicit-def: $vgpr212_vgpr213
.LBB79_338:
	s_andn2_saveexec_b64 s[2:3], s[2:3]
	s_cbranch_execz .LBB79_340
; %bb.339:
	v_div_scale_f64 v[216:217], s[10:11], v[212:213], v[212:213], v[214:215]
	v_rcp_f64_e32 v[218:219], v[216:217]
	v_div_scale_f64 v[220:221], vcc, v[214:215], v[212:213], v[214:215]
	v_fma_f64 v[222:223], -v[216:217], v[218:219], 1.0
	v_fmac_f64_e32 v[218:219], v[218:219], v[222:223]
	v_fma_f64 v[222:223], -v[216:217], v[218:219], 1.0
	v_fmac_f64_e32 v[218:219], v[218:219], v[222:223]
	v_mul_f64 v[222:223], v[220:221], v[218:219]
	v_fma_f64 v[216:217], -v[216:217], v[222:223], v[220:221]
	v_div_fmas_f64 v[216:217], v[216:217], v[218:219], v[222:223]
	v_div_fixup_f64 v[218:219], v[216:217], v[212:213], v[214:215]
	v_fmac_f64_e32 v[212:213], v[214:215], v[218:219]
	v_div_scale_f64 v[214:215], s[10:11], v[212:213], v[212:213], 1.0
	v_rcp_f64_e32 v[216:217], v[214:215]
	s_nop 0
	v_fma_f64 v[220:221], -v[214:215], v[216:217], 1.0
	v_fmac_f64_e32 v[216:217], v[216:217], v[220:221]
	v_fma_f64 v[220:221], -v[214:215], v[216:217], 1.0
	v_fmac_f64_e32 v[216:217], v[216:217], v[220:221]
	v_div_scale_f64 v[220:221], vcc, 1.0, v[212:213], 1.0
	v_mul_f64 v[222:223], v[220:221], v[216:217]
	v_fma_f64 v[214:215], -v[214:215], v[222:223], v[220:221]
	s_nop 1
	v_div_fmas_f64 v[214:215], v[214:215], v[216:217], v[222:223]
	v_div_fixup_f64 v[216:217], v[214:215], v[212:213], 1.0
	v_mul_f64 v[218:219], v[218:219], -v[216:217]
.LBB79_340:
	s_or_b64 exec, exec, s[2:3]
	ds_write2_b64 v225, v[216:217], v[218:219] offset1:1
.LBB79_341:
	s_or_b64 exec, exec, s[4:5]
	s_waitcnt lgkmcnt(0)
	s_barrier
	ds_read2_b64 v[212:215], v225 offset1:1
	v_cmp_lt_u32_e32 vcc, 37, v224
	s_and_saveexec_b64 s[2:3], vcc
	s_cbranch_execz .LBB79_343
; %bb.342:
	ds_read2_b64 v[216:219], v226 offset0:76 offset1:77
	s_waitcnt vmcnt(34) lgkmcnt(1)
	v_mul_f64 v[220:221], v[212:213], v[6:7]
	v_fmac_f64_e32 v[220:221], v[214:215], v[4:5]
	v_mul_f64 v[6:7], v[214:215], v[6:7]
	v_fma_f64 v[4:5], v[212:213], v[4:5], -v[6:7]
	s_waitcnt lgkmcnt(0)
	v_mul_f64 v[6:7], v[218:219], v[220:221]
	v_fma_f64 v[6:7], v[216:217], v[4:5], -v[6:7]
	v_mul_f64 v[216:217], v[216:217], v[220:221]
	v_fmac_f64_e32 v[216:217], v[218:219], v[4:5]
	v_add_f64 v[2:3], v[2:3], -v[216:217]
	ds_read2_b64 v[216:219], v226 offset0:78 offset1:79
	v_add_f64 v[0:1], v[0:1], -v[6:7]
	s_waitcnt lgkmcnt(0)
	v_mul_f64 v[6:7], v[218:219], v[220:221]
	v_fma_f64 v[6:7], v[216:217], v[4:5], -v[6:7]
	v_mul_f64 v[216:217], v[216:217], v[220:221]
	v_fmac_f64_e32 v[216:217], v[218:219], v[4:5]
	s_waitcnt vmcnt(33)
	v_add_f64 v[156:157], v[156:157], -v[6:7]
	v_add_f64 v[158:159], v[158:159], -v[216:217]
	v_mov_b64_e32 v[6:7], v[220:221]
.LBB79_343:
	s_or_b64 exec, exec, s[2:3]
	v_cmp_eq_u32_e32 vcc, 38, v224
	s_waitcnt lgkmcnt(0)
	s_barrier
	s_and_saveexec_b64 s[4:5], vcc
	s_cbranch_execz .LBB79_350
; %bb.344:
	s_waitcnt vmcnt(60)
	ds_write2_b64 v225, v[0:1], v[2:3] offset1:1
	s_waitcnt vmcnt(33)
	ds_write2_b64 v226, v[156:157], v[158:159] offset0:78 offset1:79
	ds_read2_b64 v[216:219], v225 offset1:1
	s_waitcnt lgkmcnt(0)
	v_cmp_neq_f64_e32 vcc, 0, v[216:217]
	v_cmp_neq_f64_e64 s[2:3], 0, v[218:219]
	s_or_b64 s[2:3], vcc, s[2:3]
	s_and_b64 exec, exec, s[2:3]
	s_cbranch_execz .LBB79_350
; %bb.345:
	v_cmp_ngt_f64_e64 s[2:3], |v[216:217]|, |v[218:219]|
                                        ; implicit-def: $vgpr220_vgpr221
	s_and_saveexec_b64 s[10:11], s[2:3]
	s_xor_b64 s[2:3], exec, s[10:11]
                                        ; implicit-def: $vgpr222_vgpr223
	s_cbranch_execz .LBB79_347
; %bb.346:
	v_div_scale_f64 v[220:221], s[10:11], v[218:219], v[218:219], v[216:217]
	v_rcp_f64_e32 v[222:223], v[220:221]
	v_mov_b64_e32 v[162:163], v[230:231]
	v_mov_b64_e32 v[160:161], v[228:229]
	v_div_scale_f64 v[228:229], vcc, v[216:217], v[218:219], v[216:217]
	v_fma_f64 v[230:231], -v[220:221], v[222:223], 1.0
	v_fmac_f64_e32 v[222:223], v[222:223], v[230:231]
	v_fma_f64 v[230:231], -v[220:221], v[222:223], 1.0
	v_fmac_f64_e32 v[222:223], v[222:223], v[230:231]
	v_mul_f64 v[230:231], v[228:229], v[222:223]
	v_fma_f64 v[220:221], -v[220:221], v[230:231], v[228:229]
	v_div_fmas_f64 v[220:221], v[220:221], v[222:223], v[230:231]
	v_div_fixup_f64 v[220:221], v[220:221], v[218:219], v[216:217]
	v_fmac_f64_e32 v[218:219], v[216:217], v[220:221]
	v_div_scale_f64 v[216:217], s[10:11], v[218:219], v[218:219], 1.0
	v_rcp_f64_e32 v[222:223], v[216:217]
	s_nop 0
	v_fma_f64 v[228:229], -v[216:217], v[222:223], 1.0
	v_fmac_f64_e32 v[222:223], v[222:223], v[228:229]
	v_fma_f64 v[228:229], -v[216:217], v[222:223], 1.0
	v_fmac_f64_e32 v[222:223], v[222:223], v[228:229]
	v_div_scale_f64 v[228:229], vcc, 1.0, v[218:219], 1.0
	v_mul_f64 v[230:231], v[228:229], v[222:223]
	v_fma_f64 v[216:217], -v[216:217], v[230:231], v[228:229]
	v_mov_b64_e32 v[228:229], v[160:161]
	s_nop 0
	v_div_fmas_f64 v[216:217], v[216:217], v[222:223], v[230:231]
	v_div_fixup_f64 v[222:223], v[216:217], v[218:219], 1.0
	v_mov_b64_e32 v[230:231], v[162:163]
	v_mul_f64 v[220:221], v[220:221], v[222:223]
	v_xor_b32_e32 v223, 0x80000000, v223
                                        ; implicit-def: $vgpr216_vgpr217
.LBB79_347:
	s_andn2_saveexec_b64 s[2:3], s[2:3]
	s_cbranch_execz .LBB79_349
; %bb.348:
	v_div_scale_f64 v[220:221], s[10:11], v[216:217], v[216:217], v[218:219]
	v_rcp_f64_e32 v[222:223], v[220:221]
	v_mov_b64_e32 v[162:163], v[230:231]
	v_mov_b64_e32 v[160:161], v[228:229]
	v_div_scale_f64 v[228:229], vcc, v[218:219], v[216:217], v[218:219]
	v_fma_f64 v[230:231], -v[220:221], v[222:223], 1.0
	v_fmac_f64_e32 v[222:223], v[222:223], v[230:231]
	v_fma_f64 v[230:231], -v[220:221], v[222:223], 1.0
	v_fmac_f64_e32 v[222:223], v[222:223], v[230:231]
	v_mul_f64 v[230:231], v[228:229], v[222:223]
	v_fma_f64 v[220:221], -v[220:221], v[230:231], v[228:229]
	v_div_fmas_f64 v[220:221], v[220:221], v[222:223], v[230:231]
	v_div_fixup_f64 v[222:223], v[220:221], v[216:217], v[218:219]
	v_fmac_f64_e32 v[216:217], v[218:219], v[222:223]
	v_div_scale_f64 v[218:219], s[10:11], v[216:217], v[216:217], 1.0
	v_rcp_f64_e32 v[220:221], v[218:219]
	s_nop 0
	v_fma_f64 v[228:229], -v[218:219], v[220:221], 1.0
	v_fmac_f64_e32 v[220:221], v[220:221], v[228:229]
	v_fma_f64 v[228:229], -v[218:219], v[220:221], 1.0
	v_fmac_f64_e32 v[220:221], v[220:221], v[228:229]
	v_div_scale_f64 v[228:229], vcc, 1.0, v[216:217], 1.0
	v_mul_f64 v[230:231], v[228:229], v[220:221]
	v_fma_f64 v[218:219], -v[218:219], v[230:231], v[228:229]
	v_mov_b64_e32 v[228:229], v[160:161]
	s_nop 0
	v_div_fmas_f64 v[218:219], v[218:219], v[220:221], v[230:231]
	v_div_fixup_f64 v[220:221], v[218:219], v[216:217], 1.0
	v_mov_b64_e32 v[230:231], v[162:163]
	v_mul_f64 v[222:223], v[222:223], -v[220:221]
.LBB79_349:
	s_or_b64 exec, exec, s[2:3]
	ds_write2_b64 v225, v[220:221], v[222:223] offset1:1
.LBB79_350:
	s_or_b64 exec, exec, s[4:5]
	s_waitcnt lgkmcnt(0)
	s_barrier
	ds_read2_b64 v[216:219], v225 offset1:1
	v_cmp_lt_u32_e32 vcc, 38, v224
	s_and_saveexec_b64 s[2:3], vcc
	s_cbranch_execz .LBB79_352
; %bb.351:
	ds_read2_b64 v[220:223], v226 offset0:78 offset1:79
	s_waitcnt vmcnt(60) lgkmcnt(1)
	v_mul_f64 v[226:227], v[216:217], v[2:3]
	v_mul_f64 v[2:3], v[218:219], v[2:3]
	v_fmac_f64_e32 v[226:227], v[218:219], v[0:1]
	v_fma_f64 v[0:1], v[216:217], v[0:1], -v[2:3]
	s_waitcnt lgkmcnt(0)
	v_mul_f64 v[2:3], v[222:223], v[226:227]
	v_fma_f64 v[2:3], v[220:221], v[0:1], -v[2:3]
	v_mul_f64 v[220:221], v[220:221], v[226:227]
	v_fmac_f64_e32 v[220:221], v[222:223], v[0:1]
	s_waitcnt vmcnt(33)
	v_add_f64 v[156:157], v[156:157], -v[2:3]
	v_add_f64 v[158:159], v[158:159], -v[220:221]
	v_mov_b64_e32 v[2:3], v[226:227]
.LBB79_352:
	s_or_b64 exec, exec, s[2:3]
	v_cmp_eq_u32_e32 vcc, 39, v224
	s_waitcnt lgkmcnt(0)
	s_barrier
	s_and_saveexec_b64 s[4:5], vcc
	s_cbranch_execz .LBB79_359
; %bb.353:
	s_waitcnt vmcnt(33)
	v_cmp_neq_f64_e32 vcc, 0, v[156:157]
	v_cmp_neq_f64_e64 s[2:3], 0, v[158:159]
	s_or_b64 s[2:3], vcc, s[2:3]
	ds_write2_b64 v225, v[156:157], v[158:159] offset1:1
	s_and_b64 exec, exec, s[2:3]
	s_cbranch_execz .LBB79_359
; %bb.354:
	v_cmp_ngt_f64_e64 s[2:3], |v[156:157]|, |v[158:159]|
                                        ; implicit-def: $vgpr220_vgpr221
	s_and_saveexec_b64 s[10:11], s[2:3]
	s_xor_b64 s[2:3], exec, s[10:11]
                                        ; implicit-def: $vgpr222_vgpr223
	s_cbranch_execz .LBB79_356
; %bb.355:
	v_div_scale_f64 v[220:221], s[10:11], v[158:159], v[158:159], v[156:157]
	v_rcp_f64_e32 v[222:223], v[220:221]
	v_mov_b64_e32 v[162:163], v[228:229]
	v_div_scale_f64 v[226:227], vcc, v[156:157], v[158:159], v[156:157]
	v_fma_f64 v[228:229], -v[220:221], v[222:223], 1.0
	v_fmac_f64_e32 v[222:223], v[222:223], v[228:229]
	v_fma_f64 v[228:229], -v[220:221], v[222:223], 1.0
	v_fmac_f64_e32 v[222:223], v[222:223], v[228:229]
	v_mul_f64 v[228:229], v[226:227], v[222:223]
	v_fma_f64 v[220:221], -v[220:221], v[228:229], v[226:227]
	v_div_fmas_f64 v[220:221], v[220:221], v[222:223], v[228:229]
	v_div_fixup_f64 v[220:221], v[220:221], v[158:159], v[156:157]
	v_fma_f64 v[222:223], v[156:157], v[220:221], v[158:159]
	v_div_scale_f64 v[226:227], s[10:11], v[222:223], v[222:223], 1.0
	v_rcp_f64_e32 v[228:229], v[226:227]
	v_mov_b64_e32 v[180:181], v[178:179]
	v_mov_b64_e32 v[178:179], v[176:177]
	;; [unrolled: 1-line block ×9, first 2 shown]
	v_fma_f64 v[230:231], -v[226:227], v[228:229], 1.0
	v_fmac_f64_e32 v[228:229], v[228:229], v[230:231]
	v_fma_f64 v[230:231], -v[226:227], v[228:229], 1.0
	v_fmac_f64_e32 v[228:229], v[228:229], v[230:231]
	v_div_scale_f64 v[230:231], vcc, 1.0, v[222:223], 1.0
	v_mov_b64_e32 v[160:161], v[254:255]
	v_mov_b64_e32 v[254:255], v[252:253]
	;; [unrolled: 1-line block ×12, first 2 shown]
	v_mul_f64 v[232:233], v[230:231], v[228:229]
	v_fma_f64 v[226:227], -v[226:227], v[232:233], v[230:231]
	v_mov_b64_e32 v[230:231], v[164:165]
	v_mov_b64_e32 v[164:165], v[166:167]
	;; [unrolled: 1-line block ×6, first 2 shown]
	v_div_fmas_f64 v[226:227], v[226:227], v[228:229], v[232:233]
	v_mov_b64_e32 v[174:175], v[176:177]
	v_mov_b64_e32 v[176:177], v[178:179]
	v_div_fixup_f64 v[222:223], v[226:227], v[222:223], 1.0
	v_mov_b64_e32 v[178:179], v[180:181]
	v_mov_b64_e32 v[228:229], v[162:163]
	;; [unrolled: 1-line block ×14, first 2 shown]
	v_mul_f64 v[220:221], v[220:221], v[222:223]
	v_xor_b32_e32 v223, 0x80000000, v223
.LBB79_356:
	s_andn2_saveexec_b64 s[2:3], s[2:3]
	s_cbranch_execz .LBB79_358
; %bb.357:
	v_div_scale_f64 v[220:221], s[10:11], v[156:157], v[156:157], v[158:159]
	v_rcp_f64_e32 v[222:223], v[220:221]
	v_mov_b64_e32 v[162:163], v[228:229]
	v_div_scale_f64 v[226:227], vcc, v[158:159], v[156:157], v[158:159]
	v_fma_f64 v[228:229], -v[220:221], v[222:223], 1.0
	v_fmac_f64_e32 v[222:223], v[222:223], v[228:229]
	v_fma_f64 v[228:229], -v[220:221], v[222:223], 1.0
	v_fmac_f64_e32 v[222:223], v[222:223], v[228:229]
	v_mul_f64 v[228:229], v[226:227], v[222:223]
	v_fma_f64 v[220:221], -v[220:221], v[228:229], v[226:227]
	v_div_fmas_f64 v[220:221], v[220:221], v[222:223], v[228:229]
	v_div_fixup_f64 v[222:223], v[220:221], v[156:157], v[158:159]
	v_fma_f64 v[220:221], v[158:159], v[222:223], v[156:157]
	v_div_scale_f64 v[226:227], s[10:11], v[220:221], v[220:221], 1.0
	v_rcp_f64_e32 v[228:229], v[226:227]
	v_mov_b64_e32 v[180:181], v[178:179]
	v_mov_b64_e32 v[178:179], v[176:177]
	;; [unrolled: 1-line block ×9, first 2 shown]
	v_fma_f64 v[230:231], -v[226:227], v[228:229], 1.0
	v_fmac_f64_e32 v[228:229], v[228:229], v[230:231]
	v_fma_f64 v[230:231], -v[226:227], v[228:229], 1.0
	v_fmac_f64_e32 v[228:229], v[228:229], v[230:231]
	v_div_scale_f64 v[230:231], vcc, 1.0, v[220:221], 1.0
	v_mov_b64_e32 v[160:161], v[254:255]
	v_mov_b64_e32 v[254:255], v[252:253]
	;; [unrolled: 1-line block ×12, first 2 shown]
	v_mul_f64 v[232:233], v[230:231], v[228:229]
	v_fma_f64 v[226:227], -v[226:227], v[232:233], v[230:231]
	v_mov_b64_e32 v[230:231], v[164:165]
	v_mov_b64_e32 v[164:165], v[166:167]
	;; [unrolled: 1-line block ×6, first 2 shown]
	v_div_fmas_f64 v[226:227], v[226:227], v[228:229], v[232:233]
	v_mov_b64_e32 v[174:175], v[176:177]
	v_mov_b64_e32 v[176:177], v[178:179]
	v_div_fixup_f64 v[220:221], v[226:227], v[220:221], 1.0
	v_mov_b64_e32 v[178:179], v[180:181]
	v_mov_b64_e32 v[228:229], v[162:163]
	;; [unrolled: 1-line block ×14, first 2 shown]
	v_mul_f64 v[222:223], v[222:223], -v[220:221]
.LBB79_358:
	s_or_b64 exec, exec, s[2:3]
	ds_write2_b64 v225, v[220:221], v[222:223] offset1:1
.LBB79_359:
	s_or_b64 exec, exec, s[4:5]
	s_waitcnt lgkmcnt(0)
	s_barrier
	ds_read2_b64 v[220:223], v225 offset1:1
	s_waitcnt lgkmcnt(0)
	s_barrier
	s_and_saveexec_b64 s[2:3], s[0:1]
	s_cbranch_execz .LBB79_362
; %bb.360:
	scratch_load_dwordx4 v[160:163], off, off offset:232 ; 16-byte Folded Reload
	s_waitcnt vmcnt(0)
	v_cmp_eq_f64_e32 vcc, 0, v[160:161]
	v_cmp_eq_f64_e64 s[0:1], 0, v[162:163]
	scratch_load_dwordx4 v[160:163], off, off offset:248 ; 16-byte Folded Reload
	s_and_b64 s[4:5], vcc, s[0:1]
	v_cndmask_b32_e64 v225, 0, 1, s[4:5]
	s_waitcnt vmcnt(0)
	v_cmp_neq_f64_e32 vcc, 0, v[160:161]
	v_cmp_neq_f64_e64 s[0:1], 0, v[162:163]
	scratch_load_dwordx4 v[160:163], off, off offset:264 ; 16-byte Folded Reload
	s_or_b64 s[0:1], vcc, s[0:1]
	s_or_b64 vcc, s[0:1], s[4:5]
	v_cndmask_b32_e32 v225, 2, v225, vcc
	s_waitcnt vmcnt(0)
	v_cmp_eq_f64_e32 vcc, 0, v[160:161]
	v_cmp_eq_f64_e64 s[0:1], 0, v[162:163]
	scratch_load_dwordx4 v[160:163], off, off offset:280 ; 16-byte Folded Reload
	s_and_b64 s[0:1], vcc, s[0:1]
	v_cmp_eq_u32_e32 vcc, 0, v225
	s_and_b64 s[0:1], s[0:1], vcc
	v_cndmask_b32_e64 v225, v225, 3, s[0:1]
	s_waitcnt vmcnt(0)
	v_cmp_eq_f64_e32 vcc, 0, v[160:161]
	v_cmp_eq_f64_e64 s[0:1], 0, v[162:163]
	scratch_load_dwordx4 v[160:163], off, off offset:296 ; 16-byte Folded Reload
	s_and_b64 s[0:1], vcc, s[0:1]
	v_cmp_eq_u32_e32 vcc, 0, v225
	s_and_b64 s[0:1], s[0:1], vcc
	v_cndmask_b32_e64 v225, v225, 4, s[0:1]
	s_waitcnt vmcnt(0)
	v_cmp_eq_f64_e32 vcc, 0, v[160:161]
	v_cmp_eq_f64_e64 s[0:1], 0, v[162:163]
	scratch_load_dwordx4 v[160:163], off, off offset:312 ; 16-byte Folded Reload
	s_and_b64 s[0:1], vcc, s[0:1]
	v_cmp_eq_u32_e32 vcc, 0, v225
	s_and_b64 s[0:1], s[0:1], vcc
	v_cndmask_b32_e64 v225, v225, 5, s[0:1]
	s_waitcnt vmcnt(0)
	v_cmp_eq_f64_e32 vcc, 0, v[160:161]
	v_cmp_eq_f64_e64 s[0:1], 0, v[162:163]
	scratch_load_dwordx4 v[160:163], off, off offset:328 ; 16-byte Folded Reload
	s_and_b64 s[0:1], vcc, s[0:1]
	v_cmp_eq_u32_e32 vcc, 0, v225
	s_and_b64 s[0:1], s[0:1], vcc
	v_cndmask_b32_e64 v225, v225, 6, s[0:1]
	s_waitcnt vmcnt(0)
	v_cmp_eq_f64_e32 vcc, 0, v[160:161]
	v_cmp_eq_f64_e64 s[0:1], 0, v[162:163]
	scratch_load_dwordx4 v[160:163], off, off offset:344 ; 16-byte Folded Reload
	s_and_b64 s[0:1], vcc, s[0:1]
	v_cmp_eq_u32_e32 vcc, 0, v225
	s_and_b64 s[0:1], s[0:1], vcc
	v_cndmask_b32_e64 v225, v225, 7, s[0:1]
	s_waitcnt vmcnt(0)
	v_cmp_eq_f64_e32 vcc, 0, v[160:161]
	v_cmp_eq_f64_e64 s[0:1], 0, v[162:163]
	scratch_load_dwordx4 v[160:163], off, off offset:360 ; 16-byte Folded Reload
	s_and_b64 s[0:1], vcc, s[0:1]
	v_cmp_eq_u32_e32 vcc, 0, v225
	s_and_b64 s[0:1], s[0:1], vcc
	v_cndmask_b32_e64 v225, v225, 8, s[0:1]
	s_waitcnt vmcnt(0)
	v_cmp_eq_f64_e32 vcc, 0, v[160:161]
	v_cmp_eq_f64_e64 s[0:1], 0, v[162:163]
	scratch_load_dwordx4 v[160:163], off, off offset:376 ; 16-byte Folded Reload
	s_and_b64 s[0:1], vcc, s[0:1]
	v_cmp_eq_u32_e32 vcc, 0, v225
	s_and_b64 s[0:1], s[0:1], vcc
	v_cndmask_b32_e64 v225, v225, 9, s[0:1]
	s_waitcnt vmcnt(0)
	v_cmp_eq_f64_e32 vcc, 0, v[160:161]
	v_cmp_eq_f64_e64 s[0:1], 0, v[162:163]
	scratch_load_dwordx4 v[160:163], off, off offset:392 ; 16-byte Folded Reload
	s_and_b64 s[0:1], vcc, s[0:1]
	v_cmp_eq_u32_e32 vcc, 0, v225
	s_and_b64 s[0:1], s[0:1], vcc
	v_cndmask_b32_e64 v225, v225, 10, s[0:1]
	s_waitcnt vmcnt(0)
	v_cmp_eq_f64_e32 vcc, 0, v[160:161]
	v_cmp_eq_f64_e64 s[0:1], 0, v[162:163]
	scratch_load_dwordx4 v[160:163], off, off offset:408 ; 16-byte Folded Reload
	s_and_b64 s[0:1], vcc, s[0:1]
	v_cmp_eq_u32_e32 vcc, 0, v225
	s_and_b64 s[0:1], s[0:1], vcc
	v_cndmask_b32_e64 v225, v225, 11, s[0:1]
	s_waitcnt vmcnt(0)
	v_cmp_eq_f64_e32 vcc, 0, v[160:161]
	v_cmp_eq_f64_e64 s[0:1], 0, v[162:163]
	scratch_load_dwordx4 v[160:163], off, off offset:424 ; 16-byte Folded Reload
	s_and_b64 s[0:1], vcc, s[0:1]
	v_cmp_eq_u32_e32 vcc, 0, v225
	s_and_b64 s[0:1], s[0:1], vcc
	v_cndmask_b32_e64 v225, v225, 12, s[0:1]
	s_waitcnt vmcnt(0)
	v_cmp_eq_f64_e32 vcc, 0, v[160:161]
	v_cmp_eq_f64_e64 s[0:1], 0, v[162:163]
	scratch_load_dwordx4 v[160:163], off, off offset:440 ; 16-byte Folded Reload
	s_and_b64 s[0:1], vcc, s[0:1]
	v_cmp_eq_u32_e32 vcc, 0, v225
	s_and_b64 s[0:1], s[0:1], vcc
	v_cndmask_b32_e64 v225, v225, 13, s[0:1]
	s_waitcnt vmcnt(0)
	v_cmp_eq_f64_e32 vcc, 0, v[160:161]
	v_cmp_eq_f64_e64 s[0:1], 0, v[162:163]
	scratch_load_dwordx4 v[160:163], off, off offset:456 ; 16-byte Folded Reload
	s_and_b64 s[0:1], vcc, s[0:1]
	v_cmp_eq_u32_e32 vcc, 0, v225
	s_and_b64 s[0:1], s[0:1], vcc
	v_cndmask_b32_e64 v225, v225, 14, s[0:1]
	s_waitcnt vmcnt(0)
	v_cmp_eq_f64_e32 vcc, 0, v[160:161]
	v_cmp_eq_f64_e64 s[0:1], 0, v[162:163]
	scratch_load_dwordx4 v[160:163], off, off offset:472 ; 16-byte Folded Reload
	s_and_b64 s[0:1], vcc, s[0:1]
	v_cmp_eq_u32_e32 vcc, 0, v225
	s_and_b64 s[0:1], s[0:1], vcc
	v_cndmask_b32_e64 v225, v225, 15, s[0:1]
	s_waitcnt vmcnt(0)
	v_cmp_eq_f64_e32 vcc, 0, v[160:161]
	v_cmp_eq_f64_e64 s[0:1], 0, v[162:163]
	scratch_load_dwordx4 v[160:163], off, off offset:488 ; 16-byte Folded Reload
	s_and_b64 s[0:1], vcc, s[0:1]
	v_cmp_eq_u32_e32 vcc, 0, v225
	s_and_b64 s[0:1], s[0:1], vcc
	v_cndmask_b32_e64 v225, v225, 16, s[0:1]
	s_waitcnt vmcnt(0)
	v_cmp_eq_f64_e32 vcc, 0, v[160:161]
	v_cmp_eq_f64_e64 s[0:1], 0, v[162:163]
	scratch_load_dwordx4 v[160:163], off, off offset:504 ; 16-byte Folded Reload
	s_and_b64 s[0:1], vcc, s[0:1]
	v_cmp_eq_u32_e32 vcc, 0, v225
	s_and_b64 s[0:1], s[0:1], vcc
	v_cndmask_b32_e64 v225, v225, 17, s[0:1]
	s_waitcnt vmcnt(0)
	v_cmp_eq_f64_e32 vcc, 0, v[160:161]
	v_cmp_eq_f64_e64 s[0:1], 0, v[162:163]
	scratch_load_dwordx4 v[160:163], off, off offset:520 ; 16-byte Folded Reload
	s_and_b64 s[0:1], vcc, s[0:1]
	v_cmp_eq_u32_e32 vcc, 0, v225
	s_and_b64 s[0:1], s[0:1], vcc
	v_cndmask_b32_e64 v225, v225, 18, s[0:1]
	s_waitcnt vmcnt(0)
	v_cmp_eq_f64_e32 vcc, 0, v[160:161]
	v_cmp_eq_f64_e64 s[0:1], 0, v[162:163]
	scratch_load_dwordx4 v[160:163], off, off offset:536 ; 16-byte Folded Reload
	s_and_b64 s[0:1], vcc, s[0:1]
	v_cmp_eq_u32_e32 vcc, 0, v225
	s_and_b64 s[0:1], s[0:1], vcc
	v_cndmask_b32_e64 v225, v225, 19, s[0:1]
	s_waitcnt vmcnt(0)
	v_cmp_eq_f64_e32 vcc, 0, v[160:161]
	v_cmp_eq_f64_e64 s[0:1], 0, v[162:163]
	scratch_load_dwordx4 v[160:163], off, off offset:552 ; 16-byte Folded Reload
	s_and_b64 s[0:1], vcc, s[0:1]
	v_cmp_eq_u32_e32 vcc, 0, v225
	s_and_b64 s[0:1], s[0:1], vcc
	v_cndmask_b32_e64 v225, v225, 20, s[0:1]
	s_waitcnt vmcnt(0)
	v_cmp_eq_f64_e32 vcc, 0, v[160:161]
	v_cmp_eq_f64_e64 s[0:1], 0, v[162:163]
	scratch_load_dwordx4 v[160:163], off, off offset:568 ; 16-byte Folded Reload
	s_and_b64 s[0:1], vcc, s[0:1]
	v_cmp_eq_u32_e32 vcc, 0, v225
	s_and_b64 s[0:1], s[0:1], vcc
	v_cndmask_b32_e64 v225, v225, 21, s[0:1]
	s_waitcnt vmcnt(0)
	v_cmp_eq_f64_e32 vcc, 0, v[160:161]
	v_cmp_eq_f64_e64 s[0:1], 0, v[162:163]
	scratch_load_dwordx4 v[160:163], off, off offset:584 ; 16-byte Folded Reload
	s_and_b64 s[0:1], vcc, s[0:1]
	v_cmp_eq_u32_e32 vcc, 0, v225
	s_and_b64 s[0:1], s[0:1], vcc
	v_cndmask_b32_e64 v225, v225, 22, s[0:1]
	s_waitcnt vmcnt(0)
	v_cmp_eq_f64_e32 vcc, 0, v[160:161]
	v_cmp_eq_f64_e64 s[0:1], 0, v[162:163]
	scratch_load_dwordx4 v[160:163], off, off offset:600 ; 16-byte Folded Reload
	s_and_b64 s[0:1], vcc, s[0:1]
	v_cmp_eq_u32_e32 vcc, 0, v225
	s_and_b64 s[0:1], s[0:1], vcc
	v_cndmask_b32_e64 v225, v225, 23, s[0:1]
	s_waitcnt vmcnt(0)
	v_cmp_eq_f64_e32 vcc, 0, v[160:161]
	v_cmp_eq_f64_e64 s[0:1], 0, v[162:163]
	scratch_load_dwordx4 v[160:163], off, off offset:616 ; 16-byte Folded Reload
	s_and_b64 s[0:1], vcc, s[0:1]
	v_cmp_eq_u32_e32 vcc, 0, v225
	s_and_b64 s[0:1], s[0:1], vcc
	v_cndmask_b32_e64 v225, v225, 24, s[0:1]
	s_waitcnt vmcnt(0)
	v_cmp_eq_f64_e32 vcc, 0, v[160:161]
	v_cmp_eq_f64_e64 s[0:1], 0, v[162:163]
	s_and_b64 s[0:1], vcc, s[0:1]
	v_cmp_eq_u32_e32 vcc, 0, v225
	s_and_b64 s[0:1], s[0:1], vcc
	v_cndmask_b32_e64 v160, v225, 25, s[0:1]
	v_cmp_eq_f64_e32 vcc, 0, v[164:165]
	v_cmp_eq_f64_e64 s[0:1], 0, v[166:167]
	s_and_b64 s[0:1], vcc, s[0:1]
	v_cmp_eq_u32_e32 vcc, 0, v160
	s_and_b64 s[0:1], s[0:1], vcc
	v_cndmask_b32_e64 v162, v160, 26, s[0:1]
	v_mov_b32_e32 v160, s6
	v_mov_b32_e32 v161, s7
	v_lshl_add_u64 v[160:161], v[254:255], 2, v[160:161]
	global_load_dword v163, v[160:161], off
	v_cmp_eq_f64_e32 vcc, 0, v[168:169]
	v_cmp_eq_f64_e64 s[0:1], 0, v[170:171]
	s_and_b64 s[0:1], vcc, s[0:1]
	v_cmp_eq_u32_e32 vcc, 0, v162
	s_and_b64 s[0:1], s[0:1], vcc
	v_cndmask_b32_e64 v162, v162, 27, s[0:1]
	v_cmp_eq_f64_e32 vcc, 0, v[172:173]
	v_cmp_eq_f64_e64 s[0:1], 0, v[174:175]
	s_and_b64 s[0:1], vcc, s[0:1]
	v_cmp_eq_u32_e32 vcc, 0, v162
	s_and_b64 s[0:1], s[0:1], vcc
	v_cndmask_b32_e64 v162, v162, 28, s[0:1]
	;; [unrolled: 6-line block ×14, first 2 shown]
	s_waitcnt vmcnt(0)
	v_cmp_eq_u32_e32 vcc, 0, v163
	v_cmp_ne_u32_e64 s[0:1], 0, v162
	s_and_b64 s[0:1], vcc, s[0:1]
	s_and_b64 exec, exec, s[0:1]
	s_cbranch_execz .LBB79_362
; %bb.361:
	v_add_u32_e32 v162, s9, v162
	global_store_dword v[160:161], v162, off
.LBB79_362:
	s_or_b64 exec, exec, s[2:3]
	scratch_load_dwordx4 v[152:155], off, off ; 16-byte Folded Reload
	s_waitcnt vmcnt(34)
	v_mul_f64 v[160:161], v[222:223], v[158:159]
	v_mul_f64 v[162:163], v[220:221], v[158:159]
	v_fma_f64 v[160:161], v[220:221], v[156:157], -v[160:161]
	v_fmac_f64_e32 v[162:163], v[222:223], v[156:157]
	v_cmp_lt_u32_e32 vcc, 39, v224
	s_waitcnt vmcnt(0)
	global_store_dwordx4 v[234:235], v[152:155], off
	scratch_load_dwordx2 v[152:153], off, off offset:224 ; 8-byte Folded Reload
	v_cndmask_b32_e32 v159, v159, v163, vcc
	v_cndmask_b32_e32 v158, v158, v162, vcc
	;; [unrolled: 1-line block ×4, first 2 shown]
	s_waitcnt vmcnt(0)
	global_store_dwordx4 v[152:153], v[148:151], off
	global_store_dwordx4 v[232:233], v[144:147], off
	;; [unrolled: 1-line block ×13, first 2 shown]
	scratch_load_dwordx2 v[100:101], off, off offset:16 ; 8-byte Folded Reload
	s_waitcnt vmcnt(0)
	global_store_dwordx4 v[100:101], v[96:99], off
	scratch_load_dwordx2 v[96:97], off, off offset:24 ; 8-byte Folded Reload
	s_waitcnt vmcnt(0)
	global_store_dwordx4 v[96:97], v[92:95], off
	;; [unrolled: 3-line block ×26, first 2 shown]
.LBB79_363:
	s_endpgm
	.section	.rodata,"a",@progbits
	.p2align	6, 0x0
	.amdhsa_kernel _ZN9rocsolver6v33100L23getf2_npvt_small_kernelILi40E19rocblas_complex_numIdEiiPS3_EEvT1_T3_lS5_lPT2_S5_S5_
		.amdhsa_group_segment_fixed_size 0
		.amdhsa_private_segment_fixed_size 636
		.amdhsa_kernarg_size 312
		.amdhsa_user_sgpr_count 2
		.amdhsa_user_sgpr_dispatch_ptr 0
		.amdhsa_user_sgpr_queue_ptr 0
		.amdhsa_user_sgpr_kernarg_segment_ptr 1
		.amdhsa_user_sgpr_dispatch_id 0
		.amdhsa_user_sgpr_kernarg_preload_length 0
		.amdhsa_user_sgpr_kernarg_preload_offset 0
		.amdhsa_user_sgpr_private_segment_size 0
		.amdhsa_uses_dynamic_stack 0
		.amdhsa_enable_private_segment 1
		.amdhsa_system_sgpr_workgroup_id_x 1
		.amdhsa_system_sgpr_workgroup_id_y 1
		.amdhsa_system_sgpr_workgroup_id_z 0
		.amdhsa_system_sgpr_workgroup_info 0
		.amdhsa_system_vgpr_workitem_id 1
		.amdhsa_next_free_vgpr 256
		.amdhsa_next_free_sgpr 16
		.amdhsa_accum_offset 256
		.amdhsa_reserve_vcc 1
		.amdhsa_float_round_mode_32 0
		.amdhsa_float_round_mode_16_64 0
		.amdhsa_float_denorm_mode_32 3
		.amdhsa_float_denorm_mode_16_64 3
		.amdhsa_dx10_clamp 1
		.amdhsa_ieee_mode 1
		.amdhsa_fp16_overflow 0
		.amdhsa_tg_split 0
		.amdhsa_exception_fp_ieee_invalid_op 0
		.amdhsa_exception_fp_denorm_src 0
		.amdhsa_exception_fp_ieee_div_zero 0
		.amdhsa_exception_fp_ieee_overflow 0
		.amdhsa_exception_fp_ieee_underflow 0
		.amdhsa_exception_fp_ieee_inexact 0
		.amdhsa_exception_int_div_zero 0
	.end_amdhsa_kernel
	.section	.text._ZN9rocsolver6v33100L23getf2_npvt_small_kernelILi40E19rocblas_complex_numIdEiiPS3_EEvT1_T3_lS5_lPT2_S5_S5_,"axG",@progbits,_ZN9rocsolver6v33100L23getf2_npvt_small_kernelILi40E19rocblas_complex_numIdEiiPS3_EEvT1_T3_lS5_lPT2_S5_S5_,comdat
.Lfunc_end79:
	.size	_ZN9rocsolver6v33100L23getf2_npvt_small_kernelILi40E19rocblas_complex_numIdEiiPS3_EEvT1_T3_lS5_lPT2_S5_S5_, .Lfunc_end79-_ZN9rocsolver6v33100L23getf2_npvt_small_kernelILi40E19rocblas_complex_numIdEiiPS3_EEvT1_T3_lS5_lPT2_S5_S5_
                                        ; -- End function
	.set _ZN9rocsolver6v33100L23getf2_npvt_small_kernelILi40E19rocblas_complex_numIdEiiPS3_EEvT1_T3_lS5_lPT2_S5_S5_.num_vgpr, 256
	.set _ZN9rocsolver6v33100L23getf2_npvt_small_kernelILi40E19rocblas_complex_numIdEiiPS3_EEvT1_T3_lS5_lPT2_S5_S5_.num_agpr, 0
	.set _ZN9rocsolver6v33100L23getf2_npvt_small_kernelILi40E19rocblas_complex_numIdEiiPS3_EEvT1_T3_lS5_lPT2_S5_S5_.numbered_sgpr, 16
	.set _ZN9rocsolver6v33100L23getf2_npvt_small_kernelILi40E19rocblas_complex_numIdEiiPS3_EEvT1_T3_lS5_lPT2_S5_S5_.num_named_barrier, 0
	.set _ZN9rocsolver6v33100L23getf2_npvt_small_kernelILi40E19rocblas_complex_numIdEiiPS3_EEvT1_T3_lS5_lPT2_S5_S5_.private_seg_size, 636
	.set _ZN9rocsolver6v33100L23getf2_npvt_small_kernelILi40E19rocblas_complex_numIdEiiPS3_EEvT1_T3_lS5_lPT2_S5_S5_.uses_vcc, 1
	.set _ZN9rocsolver6v33100L23getf2_npvt_small_kernelILi40E19rocblas_complex_numIdEiiPS3_EEvT1_T3_lS5_lPT2_S5_S5_.uses_flat_scratch, 0
	.set _ZN9rocsolver6v33100L23getf2_npvt_small_kernelILi40E19rocblas_complex_numIdEiiPS3_EEvT1_T3_lS5_lPT2_S5_S5_.has_dyn_sized_stack, 0
	.set _ZN9rocsolver6v33100L23getf2_npvt_small_kernelILi40E19rocblas_complex_numIdEiiPS3_EEvT1_T3_lS5_lPT2_S5_S5_.has_recursion, 0
	.set _ZN9rocsolver6v33100L23getf2_npvt_small_kernelILi40E19rocblas_complex_numIdEiiPS3_EEvT1_T3_lS5_lPT2_S5_S5_.has_indirect_call, 0
	.section	.AMDGPU.csdata,"",@progbits
; Kernel info:
; codeLenInByte = 78620
; TotalNumSgprs: 22
; NumVgprs: 256
; NumAgprs: 0
; TotalNumVgprs: 256
; ScratchSize: 636
; MemoryBound: 1
; FloatMode: 240
; IeeeMode: 1
; LDSByteSize: 0 bytes/workgroup (compile time only)
; SGPRBlocks: 2
; VGPRBlocks: 31
; NumSGPRsForWavesPerEU: 22
; NumVGPRsForWavesPerEU: 256
; AccumOffset: 256
; Occupancy: 2
; WaveLimiterHint : 0
; COMPUTE_PGM_RSRC2:SCRATCH_EN: 1
; COMPUTE_PGM_RSRC2:USER_SGPR: 2
; COMPUTE_PGM_RSRC2:TRAP_HANDLER: 0
; COMPUTE_PGM_RSRC2:TGID_X_EN: 1
; COMPUTE_PGM_RSRC2:TGID_Y_EN: 1
; COMPUTE_PGM_RSRC2:TGID_Z_EN: 0
; COMPUTE_PGM_RSRC2:TIDIG_COMP_CNT: 1
; COMPUTE_PGM_RSRC3_GFX90A:ACCUM_OFFSET: 63
; COMPUTE_PGM_RSRC3_GFX90A:TG_SPLIT: 0
	.section	.text._ZN9rocsolver6v33100L18getf2_small_kernelILi41E19rocblas_complex_numIdEiiPS3_EEvT1_T3_lS5_lPS5_llPT2_S5_S5_S7_l,"axG",@progbits,_ZN9rocsolver6v33100L18getf2_small_kernelILi41E19rocblas_complex_numIdEiiPS3_EEvT1_T3_lS5_lPS5_llPT2_S5_S5_S7_l,comdat
	.globl	_ZN9rocsolver6v33100L18getf2_small_kernelILi41E19rocblas_complex_numIdEiiPS3_EEvT1_T3_lS5_lPS5_llPT2_S5_S5_S7_l ; -- Begin function _ZN9rocsolver6v33100L18getf2_small_kernelILi41E19rocblas_complex_numIdEiiPS3_EEvT1_T3_lS5_lPS5_llPT2_S5_S5_S7_l
	.p2align	8
	.type	_ZN9rocsolver6v33100L18getf2_small_kernelILi41E19rocblas_complex_numIdEiiPS3_EEvT1_T3_lS5_lPS5_llPT2_S5_S5_S7_l,@function
_ZN9rocsolver6v33100L18getf2_small_kernelILi41E19rocblas_complex_numIdEiiPS3_EEvT1_T3_lS5_lPS5_llPT2_S5_S5_S7_l: ; @_ZN9rocsolver6v33100L18getf2_small_kernelILi41E19rocblas_complex_numIdEiiPS3_EEvT1_T3_lS5_lPS5_llPT2_S5_S5_S7_l
; %bb.0:
	s_load_dword s2, s[0:1], 0x6c
	s_load_dwordx2 s[12:13], s[0:1], 0x48
	v_bfe_u32 v164, v0, 10, 10
	s_waitcnt lgkmcnt(0)
	s_lshr_b32 s2, s2, 16
	s_mul_i32 s3, s3, s2
	v_add_u32_e32 v170, s3, v164
	v_cmp_gt_i32_e32 vcc, s12, v170
	s_and_saveexec_b64 s[2:3], vcc
	s_cbranch_execz .LBB80_862
; %bb.1:
	s_load_dwordx4 s[4:7], s[0:1], 0x50
	v_ashrrev_i32_e32 v171, 31, v170
	v_mov_b64_e32 v[172:173], 0
	s_waitcnt lgkmcnt(0)
	s_cmp_eq_u64 s[4:5], 0
	s_cselect_b64 s[14:15], -1, 0
	s_and_b64 vcc, exec, s[14:15]
	s_cbranch_vccnz .LBB80_3
; %bb.2:
	v_mul_lo_u32 v1, s7, v170
	v_mul_lo_u32 v4, s6, v171
	v_mad_u64_u32 v[2:3], s[2:3], s6, v170, 0
	v_add3_u32 v3, v3, v4, v1
	v_lshl_add_u64 v[172:173], v[2:3], 2, s[4:5]
.LBB80_3:
	s_load_dwordx4 s[16:19], s[0:1], 0x8
	s_load_dwordx8 s[4:11], s[0:1], 0x20
	s_load_dword s2, s[0:1], 0x18
	s_load_dword s20, s[0:1], 0x0
	v_and_b32_e32 v179, 0x3ff, v0
	s_waitcnt lgkmcnt(0)
	v_mov_b32_e32 v2, s16
	v_mul_lo_u32 v1, s5, v170
	v_mul_lo_u32 v6, s4, v171
	v_mad_u64_u32 v[4:5], s[4:5], s4, v170, 0
	v_mov_b32_e32 v3, s17
	v_add3_u32 v5, v5, v6, v1
	v_lshl_add_u64 v[2:3], v[4:5], 4, v[2:3]
	s_add_i32 s12, s2, s2
	v_lshl_add_u64 v[168:169], s[18:19], 4, v[2:3]
	v_add_u32_e32 v2, s12, v179
	v_add_u32_e32 v4, s2, v2
	v_add_u32_e32 v6, s2, v4
	v_lshlrev_b32_e32 v174, 4, v179
	v_mov_b32_e32 v175, 0
	v_add_u32_e32 v8, s2, v6
	v_lshl_add_u64 v[0:1], v[168:169], 0, v[174:175]
	s_ashr_i32 s3, s2, 31
	v_ashrrev_i32_e32 v9, 31, v8
	v_add_u32_e32 v12, s2, v8
	v_lshl_add_u64 v[10:11], s[2:3], 4, v[0:1]
	global_load_dwordx4 v[108:111], v[0:1], off
	global_load_dwordx4 v[100:103], v[10:11], off
	v_lshl_add_u64 v[0:1], v[8:9], 4, v[168:169]
	v_ashrrev_i32_e32 v13, 31, v12
	v_add_u32_e32 v8, s2, v12
	v_lshl_add_u64 v[10:11], v[12:13], 4, v[168:169]
	v_add_u32_e32 v12, s2, v8
	v_add_u32_e32 v14, s2, v12
	;; [unrolled: 1-line block ×15, first 2 shown]
	v_ashrrev_i32_e32 v41, 31, v40
	v_lshl_add_u64 v[42:43], v[40:41], 4, v[168:169]
	v_add_u32_e32 v40, s2, v40
	v_ashrrev_i32_e32 v41, 31, v40
	v_lshl_add_u64 v[44:45], v[40:41], 4, v[168:169]
	v_add_u32_e32 v40, s2, v40
	;; [unrolled: 3-line block ×17, first 2 shown]
	v_ashrrev_i32_e32 v41, 31, v40
	v_ashrrev_i32_e32 v3, 31, v2
	;; [unrolled: 1-line block ×19, first 2 shown]
	v_lshl_add_u64 v[196:197], v[40:41], 4, v[168:169]
	v_add_u32_e32 v40, s2, v40
	v_lshl_add_u64 v[2:3], v[2:3], 4, v[168:169]
	v_lshl_add_u64 v[4:5], v[4:5], 4, v[168:169]
	v_lshl_add_u64 v[6:7], v[6:7], 4, v[168:169]
	v_lshl_add_u64 v[8:9], v[8:9], 4, v[168:169]
	v_lshl_add_u64 v[12:13], v[12:13], 4, v[168:169]
	v_lshl_add_u64 v[14:15], v[14:15], 4, v[168:169]
	v_lshl_add_u64 v[16:17], v[16:17], 4, v[168:169]
	v_lshl_add_u64 v[18:19], v[18:19], 4, v[168:169]
	v_lshl_add_u64 v[20:21], v[20:21], 4, v[168:169]
	v_lshl_add_u64 v[22:23], v[22:23], 4, v[168:169]
	v_lshl_add_u64 v[24:25], v[24:25], 4, v[168:169]
	v_lshl_add_u64 v[26:27], v[26:27], 4, v[168:169]
	v_lshl_add_u64 v[28:29], v[28:29], 4, v[168:169]
	v_lshl_add_u64 v[30:31], v[30:31], 4, v[168:169]
	v_lshl_add_u64 v[32:33], v[32:33], 4, v[168:169]
	v_lshl_add_u64 v[34:35], v[34:35], 4, v[168:169]
	v_lshl_add_u64 v[36:37], v[36:37], 4, v[168:169]
	v_lshl_add_u64 v[38:39], v[38:39], 4, v[168:169]
	v_ashrrev_i32_e32 v41, 31, v40
	v_lshl_add_u64 v[198:199], v[40:41], 4, v[168:169]
	global_load_dwordx4 v[156:159], v[2:3], off
	global_load_dwordx4 v[152:155], v[4:5], off
	;; [unrolled: 1-line block ×8, first 2 shown]
                                        ; kill: killed $vgpr12_vgpr13
                                        ; kill: killed $vgpr14_vgpr15
                                        ; kill: killed $vgpr2_vgpr3
                                        ; kill: killed $vgpr4_vgpr5
                                        ; kill: killed $vgpr6_vgpr7
                                        ; kill: killed $vgpr0_vgpr1
                                        ; kill: killed $vgpr10_vgpr11
                                        ; kill: killed $vgpr8_vgpr9
	global_load_dwordx4 v[124:127], v[16:17], off
	global_load_dwordx4 v[120:123], v[18:19], off
	;; [unrolled: 1-line block ×4, first 2 shown]
                                        ; kill: killed $vgpr16_vgpr17
                                        ; kill: killed $vgpr18_vgpr19
                                        ; kill: killed $vgpr20_vgpr21
                                        ; kill: killed $vgpr22_vgpr23
	global_load_dwordx4 v[104:107], v[24:25], off
	global_load_dwordx4 v[96:99], v[26:27], off
                                        ; kill: killed $vgpr24_vgpr25
                                        ; kill: killed $vgpr26_vgpr27
	global_load_dwordx4 v[92:95], v[28:29], off
	global_load_dwordx4 v[88:91], v[30:31], off
	;; [unrolled: 1-line block ×11, first 2 shown]
	s_nop 0
	global_load_dwordx4 v[48:51], v[160:161], off
	global_load_dwordx4 v[44:47], v[162:163], off
	;; [unrolled: 1-line block ×14, first 2 shown]
	s_load_dwordx2 s[4:5], s[0:1], 0x40
	s_max_i32 s0, s20, 41
	v_mul_lo_u32 v177, s0, v164
	v_lshl_add_u32 v176, v177, 4, 0
	v_add_u32_e32 v164, v176, v174
	s_waitcnt vmcnt(40)
	ds_write2_b64 v164, v[108:109], v[110:111] offset1:1
	s_waitcnt lgkmcnt(0)
	s_barrier
	ds_read2_b64 v[164:167], v176 offset1:1
	s_cmp_lt_i32 s20, 2
	v_lshlrev_b32_e32 v180, 4, v177
	s_cbranch_scc1 .LBB80_6
; %bb.4:
	v_add3_u32 v174, v180, 0, 16
	s_mov_b32 s16, 1
	v_mov_b32_e32 v175, 0
.LBB80_5:                               ; =>This Inner Loop Header: Depth=1
	ds_read2_b64 v[182:185], v174 offset1:1
	s_waitcnt lgkmcnt(1)
	v_xor_b32_e32 v177, 0x80000000, v165
	v_xor_b32_e32 v178, 0x80000000, v167
	v_cmp_gt_f64_e32 vcc, 0, v[166:167]
	v_cmp_gt_f64_e64 s[0:1], 0, v[164:165]
	v_mov_b32_e32 v186, v164
	v_mov_b32_e32 v188, v166
	v_cndmask_b32_e64 v187, v165, v177, s[0:1]
	v_cndmask_b32_e32 v189, v167, v178, vcc
	s_waitcnt lgkmcnt(0)
	v_xor_b32_e32 v177, 0x80000000, v183
	v_xor_b32_e32 v178, 0x80000000, v185
	v_cmp_gt_f64_e32 vcc, 0, v[184:185]
	v_cmp_gt_f64_e64 s[0:1], 0, v[182:183]
	v_add_f64 v[186:187], v[186:187], v[188:189]
	v_mov_b32_e32 v188, v182
	v_mov_b32_e32 v190, v184
	v_cndmask_b32_e64 v189, v183, v177, s[0:1]
	v_cndmask_b32_e32 v191, v185, v178, vcc
	v_add_f64 v[188:189], v[188:189], v[190:191]
	v_mov_b32_e32 v181, s16
	s_add_i32 s16, s16, 1
	v_cmp_lt_f64_e32 vcc, v[186:187], v[188:189]
	v_add_u32_e32 v174, 16, v174
	s_cmp_eq_u32 s20, s16
	v_cndmask_b32_e32 v165, v165, v183, vcc
	v_cndmask_b32_e32 v164, v164, v182, vcc
	;; [unrolled: 1-line block ×5, first 2 shown]
	s_cbranch_scc0 .LBB80_5
.LBB80_6:
	s_waitcnt lgkmcnt(0)
	v_cmp_neq_f64_e32 vcc, 0, v[164:165]
	v_cmp_neq_f64_e64 s[0:1], 0, v[166:167]
	s_or_b64 s[16:17], vcc, s[0:1]
	v_mov_b32_e32 v178, 1
	v_mov_b32_e32 v181, 1
	s_and_saveexec_b64 s[0:1], s[16:17]
	s_cbranch_execz .LBB80_12
; %bb.7:
	v_cmp_ngt_f64_e64 s[16:17], |v[164:165]|, |v[166:167]|
	s_and_saveexec_b64 s[18:19], s[16:17]
	s_xor_b64 s[16:17], exec, s[18:19]
	s_cbranch_execz .LBB80_9
; %bb.8:
	v_div_scale_f64 v[182:183], s[18:19], v[166:167], v[166:167], v[164:165]
	v_rcp_f64_e32 v[184:185], v[182:183]
	v_div_scale_f64 v[186:187], vcc, v[164:165], v[166:167], v[164:165]
	v_fma_f64 v[188:189], -v[182:183], v[184:185], 1.0
	v_fmac_f64_e32 v[184:185], v[184:185], v[188:189]
	v_fma_f64 v[188:189], -v[182:183], v[184:185], 1.0
	v_fmac_f64_e32 v[184:185], v[184:185], v[188:189]
	v_mul_f64 v[188:189], v[186:187], v[184:185]
	v_fma_f64 v[182:183], -v[182:183], v[188:189], v[186:187]
	v_div_fmas_f64 v[182:183], v[182:183], v[184:185], v[188:189]
	v_div_fixup_f64 v[182:183], v[182:183], v[166:167], v[164:165]
	v_fmac_f64_e32 v[166:167], v[164:165], v[182:183]
	v_div_scale_f64 v[164:165], s[18:19], v[166:167], v[166:167], 1.0
	v_rcp_f64_e32 v[184:185], v[164:165]
	s_nop 0
	v_fma_f64 v[186:187], -v[164:165], v[184:185], 1.0
	v_fmac_f64_e32 v[184:185], v[184:185], v[186:187]
	v_fma_f64 v[186:187], -v[164:165], v[184:185], 1.0
	v_fmac_f64_e32 v[184:185], v[184:185], v[186:187]
	v_div_scale_f64 v[186:187], vcc, 1.0, v[166:167], 1.0
	v_mul_f64 v[188:189], v[186:187], v[184:185]
	v_fma_f64 v[164:165], -v[164:165], v[188:189], v[186:187]
	s_nop 1
	v_div_fmas_f64 v[164:165], v[164:165], v[184:185], v[188:189]
	v_div_fixup_f64 v[166:167], v[164:165], v[166:167], 1.0
	v_mul_f64 v[164:165], v[182:183], v[166:167]
	v_xor_b32_e32 v167, 0x80000000, v167
.LBB80_9:
	s_andn2_saveexec_b64 s[16:17], s[16:17]
	s_cbranch_execz .LBB80_11
; %bb.10:
	v_div_scale_f64 v[182:183], s[18:19], v[164:165], v[164:165], v[166:167]
	v_rcp_f64_e32 v[184:185], v[182:183]
	v_div_scale_f64 v[186:187], vcc, v[166:167], v[164:165], v[166:167]
	v_fma_f64 v[188:189], -v[182:183], v[184:185], 1.0
	v_fmac_f64_e32 v[184:185], v[184:185], v[188:189]
	v_fma_f64 v[188:189], -v[182:183], v[184:185], 1.0
	v_fmac_f64_e32 v[184:185], v[184:185], v[188:189]
	v_mul_f64 v[188:189], v[186:187], v[184:185]
	v_fma_f64 v[182:183], -v[182:183], v[188:189], v[186:187]
	v_div_fmas_f64 v[182:183], v[182:183], v[184:185], v[188:189]
	v_div_fixup_f64 v[182:183], v[182:183], v[164:165], v[166:167]
	v_fmac_f64_e32 v[164:165], v[166:167], v[182:183]
	v_div_scale_f64 v[166:167], s[18:19], v[164:165], v[164:165], 1.0
	v_rcp_f64_e32 v[184:185], v[166:167]
	s_nop 0
	v_fma_f64 v[186:187], -v[166:167], v[184:185], 1.0
	v_fmac_f64_e32 v[184:185], v[184:185], v[186:187]
	v_fma_f64 v[186:187], -v[166:167], v[184:185], 1.0
	v_fmac_f64_e32 v[184:185], v[184:185], v[186:187]
	v_div_scale_f64 v[186:187], vcc, 1.0, v[164:165], 1.0
	v_mul_f64 v[188:189], v[186:187], v[184:185]
	v_fma_f64 v[166:167], -v[166:167], v[188:189], v[186:187]
	s_nop 1
	v_div_fmas_f64 v[166:167], v[166:167], v[184:185], v[188:189]
	v_div_fixup_f64 v[164:165], v[166:167], v[164:165], 1.0
	v_mul_f64 v[166:167], v[182:183], -v[164:165]
.LBB80_11:
	s_or_b64 exec, exec, s[16:17]
	v_mov_b32_e32 v181, 0
	v_mov_b32_e32 v178, 2
.LBB80_12:
	s_or_b64 exec, exec, s[0:1]
	v_cmp_ne_u32_e32 vcc, v179, v175
	s_and_saveexec_b64 s[0:1], vcc
	s_xor_b64 s[0:1], exec, s[0:1]
	s_cbranch_execz .LBB80_18
; %bb.13:
	v_cmp_eq_u32_e32 vcc, 0, v179
	s_and_saveexec_b64 s[16:17], vcc
	s_cbranch_execz .LBB80_17
; %bb.14:
	v_cmp_ne_u32_e32 vcc, 0, v175
	s_xor_b64 s[18:19], s[14:15], -1
	s_and_b64 s[22:23], s[18:19], vcc
	s_and_saveexec_b64 s[18:19], s[22:23]
	s_cbranch_execz .LBB80_16
; %bb.15:
	v_ashrrev_i32_e32 v183, 31, v175
	v_mov_b32_e32 v182, v175
	v_lshl_add_u64 v[182:183], v[182:183], 2, v[172:173]
	global_load_dword v174, v[182:183], off
	global_load_dword v177, v[172:173], off
	s_waitcnt vmcnt(1)
	global_store_dword v[172:173], v174, off
	s_waitcnt vmcnt(1)
	global_store_dword v[182:183], v177, off
.LBB80_16:
	s_or_b64 exec, exec, s[18:19]
	v_mov_b32_e32 v179, v175
.LBB80_17:
	s_or_b64 exec, exec, s[16:17]
.LBB80_18:
	s_or_saveexec_b64 s[0:1], s[0:1]
	v_mov_b32_e32 v177, v179
	s_xor_b64 exec, exec, s[0:1]
	s_cbranch_execz .LBB80_20
; %bb.19:
	v_mov_b32_e32 v177, 0
	s_waitcnt vmcnt(39)
	ds_write2_b64 v176, v[100:101], v[102:103] offset0:2 offset1:3
	s_waitcnt vmcnt(38)
	ds_write2_b64 v176, v[156:157], v[158:159] offset0:4 offset1:5
	;; [unrolled: 2-line block ×40, first 2 shown]
.LBB80_20:
	s_or_b64 exec, exec, s[0:1]
	v_cmp_lt_i32_e32 vcc, 0, v177
	s_waitcnt lgkmcnt(0)
	s_barrier
	s_and_saveexec_b64 s[0:1], vcc
	s_cbranch_execz .LBB80_22
; %bb.21:
	ds_read2_b64 v[182:185], v176 offset0:2 offset1:3
	v_mul_f64 v[174:175], v[166:167], v[110:111]
	v_mul_f64 v[110:111], v[164:165], v[110:111]
	v_fma_f64 v[174:175], v[164:165], v[108:109], -v[174:175]
	v_fmac_f64_e32 v[110:111], v[166:167], v[108:109]
	ds_read2_b64 v[164:167], v176 offset0:4 offset1:5
	s_waitcnt lgkmcnt(1)
	v_mul_f64 v[108:109], v[184:185], v[110:111]
	v_fma_f64 v[108:109], v[182:183], v[174:175], -v[108:109]
	v_mul_f64 v[182:183], v[182:183], v[110:111]
	v_fmac_f64_e32 v[182:183], v[184:185], v[174:175]
	s_waitcnt vmcnt(39)
	v_add_f64 v[100:101], v[100:101], -v[108:109]
	s_waitcnt lgkmcnt(0)
	v_mul_f64 v[108:109], v[166:167], v[110:111]
	v_add_f64 v[102:103], v[102:103], -v[182:183]
	v_fma_f64 v[108:109], v[164:165], v[174:175], -v[108:109]
	v_mul_f64 v[164:165], v[164:165], v[110:111]
	ds_read2_b64 v[182:185], v176 offset0:6 offset1:7
	v_fmac_f64_e32 v[164:165], v[166:167], v[174:175]
	s_waitcnt vmcnt(38)
	v_add_f64 v[158:159], v[158:159], -v[164:165]
	ds_read2_b64 v[164:167], v176 offset0:8 offset1:9
	v_add_f64 v[156:157], v[156:157], -v[108:109]
	s_waitcnt lgkmcnt(1)
	v_mul_f64 v[108:109], v[184:185], v[110:111]
	v_fma_f64 v[108:109], v[182:183], v[174:175], -v[108:109]
	v_mul_f64 v[182:183], v[182:183], v[110:111]
	v_fmac_f64_e32 v[182:183], v[184:185], v[174:175]
	s_waitcnt vmcnt(37)
	v_add_f64 v[152:153], v[152:153], -v[108:109]
	s_waitcnt lgkmcnt(0)
	v_mul_f64 v[108:109], v[166:167], v[110:111]
	v_add_f64 v[154:155], v[154:155], -v[182:183]
	v_fma_f64 v[108:109], v[164:165], v[174:175], -v[108:109]
	v_mul_f64 v[164:165], v[164:165], v[110:111]
	ds_read2_b64 v[182:185], v176 offset0:10 offset1:11
	v_fmac_f64_e32 v[164:165], v[166:167], v[174:175]
	s_waitcnt vmcnt(36)
	v_add_f64 v[150:151], v[150:151], -v[164:165]
	ds_read2_b64 v[164:167], v176 offset0:12 offset1:13
	v_add_f64 v[148:149], v[148:149], -v[108:109]
	;; [unrolled: 18-line block ×19, first 2 shown]
	s_waitcnt lgkmcnt(1)
	v_mul_f64 v[108:109], v[184:185], v[110:111]
	v_fma_f64 v[108:109], v[182:183], v[174:175], -v[108:109]
	s_waitcnt vmcnt(1)
	v_add_f64 v[0:1], v[0:1], -v[108:109]
	s_waitcnt lgkmcnt(0)
	v_mul_f64 v[108:109], v[166:167], v[110:111]
	v_mul_f64 v[182:183], v[182:183], v[110:111]
	v_fma_f64 v[108:109], v[164:165], v[174:175], -v[108:109]
	v_mul_f64 v[164:165], v[164:165], v[110:111]
	v_fmac_f64_e32 v[182:183], v[184:185], v[174:175]
	v_fmac_f64_e32 v[164:165], v[166:167], v[174:175]
	v_add_f64 v[2:3], v[2:3], -v[182:183]
	s_waitcnt vmcnt(0)
	v_add_f64 v[160:161], v[160:161], -v[108:109]
	v_add_f64 v[162:163], v[162:163], -v[164:165]
	v_mov_b64_e32 v[108:109], v[174:175]
.LBB80_22:
	s_or_b64 exec, exec, s[0:1]
	v_lshl_add_u32 v164, v177, 4, v176
	s_barrier
	s_waitcnt vmcnt(39)
	ds_write2_b64 v164, v[100:101], v[102:103] offset1:1
	s_waitcnt lgkmcnt(0)
	s_barrier
	ds_read2_b64 v[164:167], v176 offset0:2 offset1:3
	s_cmp_lt_i32 s20, 3
	v_mov_b32_e32 v174, 1
	s_cbranch_scc1 .LBB80_25
; %bb.23:
	v_add3_u32 v175, v180, 0, 32
	s_mov_b32 s16, 2
	v_mov_b32_e32 v174, 1
.LBB80_24:                              ; =>This Inner Loop Header: Depth=1
	ds_read2_b64 v[182:185], v175 offset1:1
	s_waitcnt lgkmcnt(1)
	v_xor_b32_e32 v187, 0x80000000, v165
	v_xor_b32_e32 v189, 0x80000000, v167
	v_cmp_gt_f64_e32 vcc, 0, v[166:167]
	v_cmp_gt_f64_e64 s[0:1], 0, v[164:165]
	v_mov_b32_e32 v186, v164
	v_mov_b32_e32 v188, v166
	v_cndmask_b32_e64 v187, v165, v187, s[0:1]
	v_cndmask_b32_e32 v189, v167, v189, vcc
	v_add_f64 v[186:187], v[186:187], v[188:189]
	s_waitcnt lgkmcnt(0)
	v_xor_b32_e32 v189, 0x80000000, v183
	v_xor_b32_e32 v191, 0x80000000, v185
	v_cmp_gt_f64_e32 vcc, 0, v[184:185]
	v_cmp_gt_f64_e64 s[0:1], 0, v[182:183]
	v_mov_b32_e32 v188, v182
	v_mov_b32_e32 v190, v184
	v_cndmask_b32_e64 v189, v183, v189, s[0:1]
	v_cndmask_b32_e32 v191, v185, v191, vcc
	v_add_f64 v[188:189], v[188:189], v[190:191]
	v_mov_b32_e32 v192, s16
	s_add_i32 s16, s16, 1
	v_cmp_lt_f64_e32 vcc, v[186:187], v[188:189]
	v_add_u32_e32 v175, 16, v175
	s_cmp_lg_u32 s20, s16
	v_cndmask_b32_e32 v165, v165, v183, vcc
	v_cndmask_b32_e32 v164, v164, v182, vcc
	;; [unrolled: 1-line block ×5, first 2 shown]
	s_cbranch_scc1 .LBB80_24
.LBB80_25:
	s_waitcnt lgkmcnt(0)
	v_cmp_neq_f64_e32 vcc, 0, v[164:165]
	v_cmp_neq_f64_e64 s[0:1], 0, v[166:167]
	s_or_b64 s[16:17], vcc, s[0:1]
	s_and_saveexec_b64 s[0:1], s[16:17]
	s_cbranch_execz .LBB80_31
; %bb.26:
	v_cmp_ngt_f64_e64 s[16:17], |v[164:165]|, |v[166:167]|
	s_and_saveexec_b64 s[18:19], s[16:17]
	s_xor_b64 s[16:17], exec, s[18:19]
	s_cbranch_execz .LBB80_28
; %bb.27:
	v_div_scale_f64 v[182:183], s[18:19], v[166:167], v[166:167], v[164:165]
	v_rcp_f64_e32 v[184:185], v[182:183]
	v_div_scale_f64 v[186:187], vcc, v[164:165], v[166:167], v[164:165]
	v_fma_f64 v[188:189], -v[182:183], v[184:185], 1.0
	v_fmac_f64_e32 v[184:185], v[184:185], v[188:189]
	v_fma_f64 v[188:189], -v[182:183], v[184:185], 1.0
	v_fmac_f64_e32 v[184:185], v[184:185], v[188:189]
	v_mul_f64 v[188:189], v[186:187], v[184:185]
	v_fma_f64 v[182:183], -v[182:183], v[188:189], v[186:187]
	v_div_fmas_f64 v[182:183], v[182:183], v[184:185], v[188:189]
	v_div_fixup_f64 v[182:183], v[182:183], v[166:167], v[164:165]
	v_fmac_f64_e32 v[166:167], v[164:165], v[182:183]
	v_div_scale_f64 v[164:165], s[18:19], v[166:167], v[166:167], 1.0
	v_rcp_f64_e32 v[184:185], v[164:165]
	s_nop 0
	v_fma_f64 v[186:187], -v[164:165], v[184:185], 1.0
	v_fmac_f64_e32 v[184:185], v[184:185], v[186:187]
	v_fma_f64 v[186:187], -v[164:165], v[184:185], 1.0
	v_fmac_f64_e32 v[184:185], v[184:185], v[186:187]
	v_div_scale_f64 v[186:187], vcc, 1.0, v[166:167], 1.0
	v_mul_f64 v[188:189], v[186:187], v[184:185]
	v_fma_f64 v[164:165], -v[164:165], v[188:189], v[186:187]
	s_nop 1
	v_div_fmas_f64 v[164:165], v[164:165], v[184:185], v[188:189]
	v_div_fixup_f64 v[166:167], v[164:165], v[166:167], 1.0
	v_mul_f64 v[164:165], v[182:183], v[166:167]
	v_xor_b32_e32 v167, 0x80000000, v167
.LBB80_28:
	s_andn2_saveexec_b64 s[16:17], s[16:17]
	s_cbranch_execz .LBB80_30
; %bb.29:
	v_div_scale_f64 v[182:183], s[18:19], v[164:165], v[164:165], v[166:167]
	v_rcp_f64_e32 v[184:185], v[182:183]
	v_div_scale_f64 v[186:187], vcc, v[166:167], v[164:165], v[166:167]
	v_fma_f64 v[188:189], -v[182:183], v[184:185], 1.0
	v_fmac_f64_e32 v[184:185], v[184:185], v[188:189]
	v_fma_f64 v[188:189], -v[182:183], v[184:185], 1.0
	v_fmac_f64_e32 v[184:185], v[184:185], v[188:189]
	v_mul_f64 v[188:189], v[186:187], v[184:185]
	v_fma_f64 v[182:183], -v[182:183], v[188:189], v[186:187]
	v_div_fmas_f64 v[182:183], v[182:183], v[184:185], v[188:189]
	v_div_fixup_f64 v[182:183], v[182:183], v[164:165], v[166:167]
	v_fmac_f64_e32 v[164:165], v[166:167], v[182:183]
	v_div_scale_f64 v[166:167], s[18:19], v[164:165], v[164:165], 1.0
	v_rcp_f64_e32 v[184:185], v[166:167]
	s_nop 0
	v_fma_f64 v[186:187], -v[166:167], v[184:185], 1.0
	v_fmac_f64_e32 v[184:185], v[184:185], v[186:187]
	v_fma_f64 v[186:187], -v[166:167], v[184:185], 1.0
	v_fmac_f64_e32 v[184:185], v[184:185], v[186:187]
	v_div_scale_f64 v[186:187], vcc, 1.0, v[164:165], 1.0
	v_mul_f64 v[188:189], v[186:187], v[184:185]
	v_fma_f64 v[166:167], -v[166:167], v[188:189], v[186:187]
	s_nop 1
	v_div_fmas_f64 v[166:167], v[166:167], v[184:185], v[188:189]
	v_div_fixup_f64 v[164:165], v[166:167], v[164:165], 1.0
	v_mul_f64 v[166:167], v[182:183], -v[164:165]
.LBB80_30:
	s_or_b64 exec, exec, s[16:17]
	v_mov_b32_e32 v178, v181
.LBB80_31:
	s_or_b64 exec, exec, s[0:1]
	v_cmp_ne_u32_e32 vcc, v177, v174
	s_and_saveexec_b64 s[0:1], vcc
	s_xor_b64 s[0:1], exec, s[0:1]
	s_cbranch_execz .LBB80_37
; %bb.32:
	v_cmp_eq_u32_e32 vcc, 1, v177
	s_and_saveexec_b64 s[16:17], vcc
	s_cbranch_execz .LBB80_36
; %bb.33:
	v_cmp_ne_u32_e32 vcc, 1, v174
	s_xor_b64 s[18:19], s[14:15], -1
	s_and_b64 s[22:23], s[18:19], vcc
	s_and_saveexec_b64 s[18:19], s[22:23]
	s_cbranch_execz .LBB80_35
; %bb.34:
	v_ashrrev_i32_e32 v175, 31, v174
	v_lshl_add_u64 v[182:183], v[174:175], 2, v[172:173]
	global_load_dword v175, v[182:183], off
	global_load_dword v177, v[172:173], off offset:4
	s_waitcnt vmcnt(1)
	global_store_dword v[172:173], v175, off offset:4
	s_waitcnt vmcnt(1)
	global_store_dword v[182:183], v177, off
.LBB80_35:
	s_or_b64 exec, exec, s[18:19]
	v_mov_b32_e32 v177, v174
	v_mov_b32_e32 v179, v174
.LBB80_36:
	s_or_b64 exec, exec, s[16:17]
.LBB80_37:
	s_andn2_saveexec_b64 s[0:1], s[0:1]
	s_cbranch_execz .LBB80_39
; %bb.38:
	v_mov_b32_e32 v177, 1
	s_waitcnt vmcnt(38)
	ds_write2_b64 v176, v[156:157], v[158:159] offset0:4 offset1:5
	s_waitcnt vmcnt(37)
	ds_write2_b64 v176, v[152:153], v[154:155] offset0:6 offset1:7
	;; [unrolled: 2-line block ×39, first 2 shown]
.LBB80_39:
	s_or_b64 exec, exec, s[0:1]
	v_cmp_lt_i32_e32 vcc, 1, v177
	s_waitcnt lgkmcnt(0)
	s_barrier
	s_and_saveexec_b64 s[0:1], vcc
	s_cbranch_execz .LBB80_41
; %bb.40:
	ds_read2_b64 v[182:185], v176 offset0:4 offset1:5
	v_mul_f64 v[174:175], v[166:167], v[102:103]
	v_mul_f64 v[102:103], v[164:165], v[102:103]
	v_fmac_f64_e32 v[102:103], v[166:167], v[100:101]
	v_fma_f64 v[174:175], v[164:165], v[100:101], -v[174:175]
	ds_read2_b64 v[164:167], v176 offset0:6 offset1:7
	s_waitcnt lgkmcnt(1)
	v_mul_f64 v[100:101], v[184:185], v[102:103]
	v_fma_f64 v[100:101], v[182:183], v[174:175], -v[100:101]
	v_mul_f64 v[182:183], v[182:183], v[102:103]
	v_fmac_f64_e32 v[182:183], v[184:185], v[174:175]
	s_waitcnt vmcnt(38)
	v_add_f64 v[158:159], v[158:159], -v[182:183]
	ds_read2_b64 v[182:185], v176 offset0:8 offset1:9
	v_add_f64 v[156:157], v[156:157], -v[100:101]
	s_waitcnt lgkmcnt(1)
	v_mul_f64 v[100:101], v[166:167], v[102:103]
	v_fma_f64 v[100:101], v[164:165], v[174:175], -v[100:101]
	v_mul_f64 v[164:165], v[164:165], v[102:103]
	v_fmac_f64_e32 v[164:165], v[166:167], v[174:175]
	s_waitcnt vmcnt(37)
	v_add_f64 v[152:153], v[152:153], -v[100:101]
	v_add_f64 v[154:155], v[154:155], -v[164:165]
	ds_read2_b64 v[164:167], v176 offset0:10 offset1:11
	s_waitcnt lgkmcnt(1)
	v_mul_f64 v[100:101], v[184:185], v[102:103]
	v_fma_f64 v[100:101], v[182:183], v[174:175], -v[100:101]
	v_mul_f64 v[182:183], v[182:183], v[102:103]
	v_fmac_f64_e32 v[182:183], v[184:185], v[174:175]
	s_waitcnt vmcnt(36)
	v_add_f64 v[150:151], v[150:151], -v[182:183]
	ds_read2_b64 v[182:185], v176 offset0:12 offset1:13
	v_add_f64 v[148:149], v[148:149], -v[100:101]
	s_waitcnt lgkmcnt(1)
	v_mul_f64 v[100:101], v[166:167], v[102:103]
	v_fma_f64 v[100:101], v[164:165], v[174:175], -v[100:101]
	v_mul_f64 v[164:165], v[164:165], v[102:103]
	v_fmac_f64_e32 v[164:165], v[166:167], v[174:175]
	s_waitcnt vmcnt(35)
	v_add_f64 v[144:145], v[144:145], -v[100:101]
	v_add_f64 v[146:147], v[146:147], -v[164:165]
	;; [unrolled: 18-line block ×19, first 2 shown]
	s_waitcnt lgkmcnt(0)
	v_mul_f64 v[100:101], v[184:185], v[102:103]
	v_mul_f64 v[164:165], v[182:183], v[102:103]
	v_fma_f64 v[100:101], v[182:183], v[174:175], -v[100:101]
	v_fmac_f64_e32 v[164:165], v[184:185], v[174:175]
	s_waitcnt vmcnt(0)
	v_add_f64 v[160:161], v[160:161], -v[100:101]
	v_add_f64 v[162:163], v[162:163], -v[164:165]
	v_mov_b64_e32 v[100:101], v[174:175]
.LBB80_41:
	s_or_b64 exec, exec, s[0:1]
	v_lshl_add_u32 v164, v177, 4, v176
	s_barrier
	s_waitcnt vmcnt(38)
	ds_write2_b64 v164, v[156:157], v[158:159] offset1:1
	s_waitcnt lgkmcnt(0)
	s_barrier
	ds_read2_b64 v[164:167], v176 offset0:4 offset1:5
	s_cmp_lt_i32 s20, 4
	v_mov_b32_e32 v174, 2
	s_cbranch_scc1 .LBB80_44
; %bb.42:
	v_add3_u32 v175, v180, 0, 48
	s_mov_b32 s16, 3
	v_mov_b32_e32 v174, 2
.LBB80_43:                              ; =>This Inner Loop Header: Depth=1
	ds_read2_b64 v[182:185], v175 offset1:1
	s_waitcnt lgkmcnt(1)
	v_xor_b32_e32 v181, 0x80000000, v165
	v_xor_b32_e32 v189, 0x80000000, v167
	v_cmp_gt_f64_e32 vcc, 0, v[166:167]
	v_cmp_gt_f64_e64 s[0:1], 0, v[164:165]
	v_mov_b32_e32 v186, v164
	v_mov_b32_e32 v188, v166
	v_cndmask_b32_e64 v187, v165, v181, s[0:1]
	v_cndmask_b32_e32 v189, v167, v189, vcc
	s_waitcnt lgkmcnt(0)
	v_xor_b32_e32 v181, 0x80000000, v183
	v_xor_b32_e32 v191, 0x80000000, v185
	v_cmp_gt_f64_e32 vcc, 0, v[184:185]
	v_cmp_gt_f64_e64 s[0:1], 0, v[182:183]
	v_add_f64 v[186:187], v[186:187], v[188:189]
	v_mov_b32_e32 v188, v182
	v_mov_b32_e32 v190, v184
	v_cndmask_b32_e64 v189, v183, v181, s[0:1]
	v_cndmask_b32_e32 v191, v185, v191, vcc
	v_add_f64 v[188:189], v[188:189], v[190:191]
	v_mov_b32_e32 v192, s16
	s_add_i32 s16, s16, 1
	v_cmp_lt_f64_e32 vcc, v[186:187], v[188:189]
	v_add_u32_e32 v175, 16, v175
	s_cmp_lg_u32 s20, s16
	v_cndmask_b32_e32 v165, v165, v183, vcc
	v_cndmask_b32_e32 v164, v164, v182, vcc
	;; [unrolled: 1-line block ×5, first 2 shown]
	s_cbranch_scc1 .LBB80_43
.LBB80_44:
	s_waitcnt lgkmcnt(0)
	v_cmp_eq_f64_e32 vcc, 0, v[164:165]
	v_cmp_eq_f64_e64 s[0:1], 0, v[166:167]
	s_and_b64 s[0:1], vcc, s[0:1]
	s_and_saveexec_b64 s[16:17], s[0:1]
	s_xor_b64 s[0:1], exec, s[16:17]
; %bb.45:
	v_cmp_ne_u32_e32 vcc, 0, v178
	s_nop 1
	v_cndmask_b32_e32 v178, 3, v178, vcc
; %bb.46:
	s_andn2_saveexec_b64 s[0:1], s[0:1]
	s_cbranch_execz .LBB80_52
; %bb.47:
	v_cmp_ngt_f64_e64 s[16:17], |v[164:165]|, |v[166:167]|
	s_and_saveexec_b64 s[18:19], s[16:17]
	s_xor_b64 s[16:17], exec, s[18:19]
	s_cbranch_execz .LBB80_49
; %bb.48:
	v_div_scale_f64 v[182:183], s[18:19], v[166:167], v[166:167], v[164:165]
	v_rcp_f64_e32 v[184:185], v[182:183]
	v_div_scale_f64 v[186:187], vcc, v[164:165], v[166:167], v[164:165]
	v_fma_f64 v[188:189], -v[182:183], v[184:185], 1.0
	v_fmac_f64_e32 v[184:185], v[184:185], v[188:189]
	v_fma_f64 v[188:189], -v[182:183], v[184:185], 1.0
	v_fmac_f64_e32 v[184:185], v[184:185], v[188:189]
	v_mul_f64 v[188:189], v[186:187], v[184:185]
	v_fma_f64 v[182:183], -v[182:183], v[188:189], v[186:187]
	v_div_fmas_f64 v[182:183], v[182:183], v[184:185], v[188:189]
	v_div_fixup_f64 v[182:183], v[182:183], v[166:167], v[164:165]
	v_fmac_f64_e32 v[166:167], v[164:165], v[182:183]
	v_div_scale_f64 v[164:165], s[18:19], v[166:167], v[166:167], 1.0
	v_rcp_f64_e32 v[184:185], v[164:165]
	s_nop 0
	v_fma_f64 v[186:187], -v[164:165], v[184:185], 1.0
	v_fmac_f64_e32 v[184:185], v[184:185], v[186:187]
	v_fma_f64 v[186:187], -v[164:165], v[184:185], 1.0
	v_fmac_f64_e32 v[184:185], v[184:185], v[186:187]
	v_div_scale_f64 v[186:187], vcc, 1.0, v[166:167], 1.0
	v_mul_f64 v[188:189], v[186:187], v[184:185]
	v_fma_f64 v[164:165], -v[164:165], v[188:189], v[186:187]
	s_nop 1
	v_div_fmas_f64 v[164:165], v[164:165], v[184:185], v[188:189]
	v_div_fixup_f64 v[166:167], v[164:165], v[166:167], 1.0
	v_mul_f64 v[164:165], v[182:183], v[166:167]
	v_xor_b32_e32 v167, 0x80000000, v167
.LBB80_49:
	s_andn2_saveexec_b64 s[16:17], s[16:17]
	s_cbranch_execz .LBB80_51
; %bb.50:
	v_div_scale_f64 v[182:183], s[18:19], v[164:165], v[164:165], v[166:167]
	v_rcp_f64_e32 v[184:185], v[182:183]
	v_div_scale_f64 v[186:187], vcc, v[166:167], v[164:165], v[166:167]
	v_fma_f64 v[188:189], -v[182:183], v[184:185], 1.0
	v_fmac_f64_e32 v[184:185], v[184:185], v[188:189]
	v_fma_f64 v[188:189], -v[182:183], v[184:185], 1.0
	v_fmac_f64_e32 v[184:185], v[184:185], v[188:189]
	v_mul_f64 v[188:189], v[186:187], v[184:185]
	v_fma_f64 v[182:183], -v[182:183], v[188:189], v[186:187]
	v_div_fmas_f64 v[182:183], v[182:183], v[184:185], v[188:189]
	v_div_fixup_f64 v[182:183], v[182:183], v[164:165], v[166:167]
	v_fmac_f64_e32 v[164:165], v[166:167], v[182:183]
	v_div_scale_f64 v[166:167], s[18:19], v[164:165], v[164:165], 1.0
	v_rcp_f64_e32 v[184:185], v[166:167]
	s_nop 0
	v_fma_f64 v[186:187], -v[166:167], v[184:185], 1.0
	v_fmac_f64_e32 v[184:185], v[184:185], v[186:187]
	v_fma_f64 v[186:187], -v[166:167], v[184:185], 1.0
	v_fmac_f64_e32 v[184:185], v[184:185], v[186:187]
	v_div_scale_f64 v[186:187], vcc, 1.0, v[164:165], 1.0
	v_mul_f64 v[188:189], v[186:187], v[184:185]
	v_fma_f64 v[166:167], -v[166:167], v[188:189], v[186:187]
	s_nop 1
	v_div_fmas_f64 v[166:167], v[166:167], v[184:185], v[188:189]
	v_div_fixup_f64 v[164:165], v[166:167], v[164:165], 1.0
	v_mul_f64 v[166:167], v[182:183], -v[164:165]
.LBB80_51:
	s_or_b64 exec, exec, s[16:17]
.LBB80_52:
	s_or_b64 exec, exec, s[0:1]
	v_cmp_ne_u32_e32 vcc, v177, v174
	s_and_saveexec_b64 s[0:1], vcc
	s_xor_b64 s[0:1], exec, s[0:1]
	s_cbranch_execz .LBB80_58
; %bb.53:
	v_cmp_eq_u32_e32 vcc, 2, v177
	s_and_saveexec_b64 s[16:17], vcc
	s_cbranch_execz .LBB80_57
; %bb.54:
	v_cmp_ne_u32_e32 vcc, 2, v174
	s_xor_b64 s[18:19], s[14:15], -1
	s_and_b64 s[22:23], s[18:19], vcc
	s_and_saveexec_b64 s[18:19], s[22:23]
	s_cbranch_execz .LBB80_56
; %bb.55:
	v_ashrrev_i32_e32 v175, 31, v174
	v_lshl_add_u64 v[182:183], v[174:175], 2, v[172:173]
	global_load_dword v175, v[182:183], off
	global_load_dword v177, v[172:173], off offset:8
	s_waitcnt vmcnt(1)
	global_store_dword v[172:173], v175, off offset:8
	s_waitcnt vmcnt(1)
	global_store_dword v[182:183], v177, off
.LBB80_56:
	s_or_b64 exec, exec, s[18:19]
	v_mov_b32_e32 v177, v174
	v_mov_b32_e32 v179, v174
.LBB80_57:
	s_or_b64 exec, exec, s[16:17]
.LBB80_58:
	s_andn2_saveexec_b64 s[0:1], s[0:1]
	s_cbranch_execz .LBB80_60
; %bb.59:
	v_mov_b32_e32 v177, 2
	s_waitcnt vmcnt(37)
	ds_write2_b64 v176, v[152:153], v[154:155] offset0:6 offset1:7
	s_waitcnt vmcnt(36)
	ds_write2_b64 v176, v[148:149], v[150:151] offset0:8 offset1:9
	;; [unrolled: 2-line block ×38, first 2 shown]
.LBB80_60:
	s_or_b64 exec, exec, s[0:1]
	v_cmp_lt_i32_e32 vcc, 2, v177
	s_waitcnt lgkmcnt(0)
	s_barrier
	s_and_saveexec_b64 s[0:1], vcc
	s_cbranch_execz .LBB80_62
; %bb.61:
	ds_read2_b64 v[182:185], v176 offset0:6 offset1:7
	v_mul_f64 v[174:175], v[166:167], v[158:159]
	v_mul_f64 v[158:159], v[164:165], v[158:159]
	v_fma_f64 v[174:175], v[164:165], v[156:157], -v[174:175]
	v_fmac_f64_e32 v[158:159], v[166:167], v[156:157]
	ds_read2_b64 v[164:167], v176 offset0:8 offset1:9
	s_waitcnt lgkmcnt(1)
	v_mul_f64 v[156:157], v[184:185], v[158:159]
	v_fma_f64 v[156:157], v[182:183], v[174:175], -v[156:157]
	v_mul_f64 v[182:183], v[182:183], v[158:159]
	v_fmac_f64_e32 v[182:183], v[184:185], v[174:175]
	s_waitcnt vmcnt(37)
	v_add_f64 v[152:153], v[152:153], -v[156:157]
	s_waitcnt lgkmcnt(0)
	v_mul_f64 v[156:157], v[166:167], v[158:159]
	v_add_f64 v[154:155], v[154:155], -v[182:183]
	v_fma_f64 v[156:157], v[164:165], v[174:175], -v[156:157]
	v_mul_f64 v[164:165], v[164:165], v[158:159]
	ds_read2_b64 v[182:185], v176 offset0:10 offset1:11
	v_fmac_f64_e32 v[164:165], v[166:167], v[174:175]
	s_waitcnt vmcnt(36)
	v_add_f64 v[150:151], v[150:151], -v[164:165]
	ds_read2_b64 v[164:167], v176 offset0:12 offset1:13
	v_add_f64 v[148:149], v[148:149], -v[156:157]
	s_waitcnt lgkmcnt(1)
	v_mul_f64 v[156:157], v[184:185], v[158:159]
	v_fma_f64 v[156:157], v[182:183], v[174:175], -v[156:157]
	v_mul_f64 v[182:183], v[182:183], v[158:159]
	v_fmac_f64_e32 v[182:183], v[184:185], v[174:175]
	s_waitcnt vmcnt(35)
	v_add_f64 v[144:145], v[144:145], -v[156:157]
	s_waitcnt lgkmcnt(0)
	v_mul_f64 v[156:157], v[166:167], v[158:159]
	v_add_f64 v[146:147], v[146:147], -v[182:183]
	v_fma_f64 v[156:157], v[164:165], v[174:175], -v[156:157]
	v_mul_f64 v[164:165], v[164:165], v[158:159]
	ds_read2_b64 v[182:185], v176 offset0:14 offset1:15
	v_fmac_f64_e32 v[164:165], v[166:167], v[174:175]
	s_waitcnt vmcnt(34)
	v_add_f64 v[142:143], v[142:143], -v[164:165]
	ds_read2_b64 v[164:167], v176 offset0:16 offset1:17
	v_add_f64 v[140:141], v[140:141], -v[156:157]
	;; [unrolled: 18-line block ×18, first 2 shown]
	s_waitcnt lgkmcnt(1)
	v_mul_f64 v[156:157], v[184:185], v[158:159]
	v_fma_f64 v[156:157], v[182:183], v[174:175], -v[156:157]
	s_waitcnt vmcnt(1)
	v_add_f64 v[0:1], v[0:1], -v[156:157]
	s_waitcnt lgkmcnt(0)
	v_mul_f64 v[156:157], v[166:167], v[158:159]
	v_mul_f64 v[182:183], v[182:183], v[158:159]
	v_fma_f64 v[156:157], v[164:165], v[174:175], -v[156:157]
	v_mul_f64 v[164:165], v[164:165], v[158:159]
	v_fmac_f64_e32 v[182:183], v[184:185], v[174:175]
	v_fmac_f64_e32 v[164:165], v[166:167], v[174:175]
	v_add_f64 v[2:3], v[2:3], -v[182:183]
	s_waitcnt vmcnt(0)
	v_add_f64 v[160:161], v[160:161], -v[156:157]
	v_add_f64 v[162:163], v[162:163], -v[164:165]
	v_mov_b64_e32 v[156:157], v[174:175]
.LBB80_62:
	s_or_b64 exec, exec, s[0:1]
	v_lshl_add_u32 v164, v177, 4, v176
	s_barrier
	s_waitcnt vmcnt(37)
	ds_write2_b64 v164, v[152:153], v[154:155] offset1:1
	s_waitcnt lgkmcnt(0)
	s_barrier
	ds_read2_b64 v[164:167], v176 offset0:6 offset1:7
	s_mov_b32 s16, 4
	s_cmp_lt_i32 s20, 5
	v_mov_b32_e32 v174, 3
	s_cbranch_scc1 .LBB80_65
; %bb.63:
	v_add3_u32 v175, v180, 0, 64
	v_mov_b32_e32 v174, 3
.LBB80_64:                              ; =>This Inner Loop Header: Depth=1
	ds_read2_b64 v[180:183], v175 offset1:1
	s_waitcnt lgkmcnt(1)
	v_xor_b32_e32 v185, 0x80000000, v165
	v_xor_b32_e32 v187, 0x80000000, v167
	v_cmp_gt_f64_e32 vcc, 0, v[166:167]
	v_cmp_gt_f64_e64 s[0:1], 0, v[164:165]
	v_mov_b32_e32 v184, v164
	v_mov_b32_e32 v186, v166
	v_cndmask_b32_e64 v185, v165, v185, s[0:1]
	v_cndmask_b32_e32 v187, v167, v187, vcc
	v_add_f64 v[184:185], v[184:185], v[186:187]
	s_waitcnt lgkmcnt(0)
	v_xor_b32_e32 v187, 0x80000000, v181
	v_xor_b32_e32 v189, 0x80000000, v183
	v_cmp_gt_f64_e32 vcc, 0, v[182:183]
	v_cmp_gt_f64_e64 s[0:1], 0, v[180:181]
	v_mov_b32_e32 v186, v180
	v_mov_b32_e32 v188, v182
	v_cndmask_b32_e64 v187, v181, v187, s[0:1]
	v_cndmask_b32_e32 v189, v183, v189, vcc
	v_add_f64 v[186:187], v[186:187], v[188:189]
	v_mov_b32_e32 v190, s16
	s_add_i32 s16, s16, 1
	v_cmp_lt_f64_e32 vcc, v[184:185], v[186:187]
	v_add_u32_e32 v175, 16, v175
	s_cmp_lg_u32 s20, s16
	v_cndmask_b32_e32 v165, v165, v181, vcc
	v_cndmask_b32_e32 v164, v164, v180, vcc
	;; [unrolled: 1-line block ×5, first 2 shown]
	s_cbranch_scc1 .LBB80_64
.LBB80_65:
	s_waitcnt lgkmcnt(0)
	v_cmp_eq_f64_e32 vcc, 0, v[164:165]
	v_cmp_eq_f64_e64 s[0:1], 0, v[166:167]
	s_and_b64 s[0:1], vcc, s[0:1]
	s_and_saveexec_b64 s[16:17], s[0:1]
	s_xor_b64 s[0:1], exec, s[16:17]
; %bb.66:
	v_cmp_ne_u32_e32 vcc, 0, v178
	s_nop 1
	v_cndmask_b32_e32 v178, 4, v178, vcc
; %bb.67:
	s_andn2_saveexec_b64 s[0:1], s[0:1]
	s_cbranch_execz .LBB80_73
; %bb.68:
	v_cmp_ngt_f64_e64 s[16:17], |v[164:165]|, |v[166:167]|
	s_and_saveexec_b64 s[18:19], s[16:17]
	s_xor_b64 s[16:17], exec, s[18:19]
	s_cbranch_execz .LBB80_70
; %bb.69:
	v_div_scale_f64 v[180:181], s[18:19], v[166:167], v[166:167], v[164:165]
	v_rcp_f64_e32 v[182:183], v[180:181]
	v_div_scale_f64 v[184:185], vcc, v[164:165], v[166:167], v[164:165]
	v_fma_f64 v[186:187], -v[180:181], v[182:183], 1.0
	v_fmac_f64_e32 v[182:183], v[182:183], v[186:187]
	v_fma_f64 v[186:187], -v[180:181], v[182:183], 1.0
	v_fmac_f64_e32 v[182:183], v[182:183], v[186:187]
	v_mul_f64 v[186:187], v[184:185], v[182:183]
	v_fma_f64 v[180:181], -v[180:181], v[186:187], v[184:185]
	v_div_fmas_f64 v[180:181], v[180:181], v[182:183], v[186:187]
	v_div_fixup_f64 v[180:181], v[180:181], v[166:167], v[164:165]
	v_fmac_f64_e32 v[166:167], v[164:165], v[180:181]
	v_div_scale_f64 v[164:165], s[18:19], v[166:167], v[166:167], 1.0
	v_rcp_f64_e32 v[182:183], v[164:165]
	s_nop 0
	v_fma_f64 v[184:185], -v[164:165], v[182:183], 1.0
	v_fmac_f64_e32 v[182:183], v[182:183], v[184:185]
	v_fma_f64 v[184:185], -v[164:165], v[182:183], 1.0
	v_fmac_f64_e32 v[182:183], v[182:183], v[184:185]
	v_div_scale_f64 v[184:185], vcc, 1.0, v[166:167], 1.0
	v_mul_f64 v[186:187], v[184:185], v[182:183]
	v_fma_f64 v[164:165], -v[164:165], v[186:187], v[184:185]
	s_nop 1
	v_div_fmas_f64 v[164:165], v[164:165], v[182:183], v[186:187]
	v_div_fixup_f64 v[166:167], v[164:165], v[166:167], 1.0
	v_mul_f64 v[164:165], v[180:181], v[166:167]
	v_xor_b32_e32 v167, 0x80000000, v167
.LBB80_70:
	s_andn2_saveexec_b64 s[16:17], s[16:17]
	s_cbranch_execz .LBB80_72
; %bb.71:
	v_div_scale_f64 v[180:181], s[18:19], v[164:165], v[164:165], v[166:167]
	v_rcp_f64_e32 v[182:183], v[180:181]
	v_div_scale_f64 v[184:185], vcc, v[166:167], v[164:165], v[166:167]
	v_fma_f64 v[186:187], -v[180:181], v[182:183], 1.0
	v_fmac_f64_e32 v[182:183], v[182:183], v[186:187]
	v_fma_f64 v[186:187], -v[180:181], v[182:183], 1.0
	v_fmac_f64_e32 v[182:183], v[182:183], v[186:187]
	v_mul_f64 v[186:187], v[184:185], v[182:183]
	v_fma_f64 v[180:181], -v[180:181], v[186:187], v[184:185]
	v_div_fmas_f64 v[180:181], v[180:181], v[182:183], v[186:187]
	v_div_fixup_f64 v[180:181], v[180:181], v[164:165], v[166:167]
	v_fmac_f64_e32 v[164:165], v[166:167], v[180:181]
	v_div_scale_f64 v[166:167], s[18:19], v[164:165], v[164:165], 1.0
	v_rcp_f64_e32 v[182:183], v[166:167]
	s_nop 0
	v_fma_f64 v[184:185], -v[166:167], v[182:183], 1.0
	v_fmac_f64_e32 v[182:183], v[182:183], v[184:185]
	v_fma_f64 v[184:185], -v[166:167], v[182:183], 1.0
	v_fmac_f64_e32 v[182:183], v[182:183], v[184:185]
	v_div_scale_f64 v[184:185], vcc, 1.0, v[164:165], 1.0
	v_mul_f64 v[186:187], v[184:185], v[182:183]
	v_fma_f64 v[166:167], -v[166:167], v[186:187], v[184:185]
	s_nop 1
	v_div_fmas_f64 v[166:167], v[166:167], v[182:183], v[186:187]
	v_div_fixup_f64 v[164:165], v[166:167], v[164:165], 1.0
	v_mul_f64 v[166:167], v[180:181], -v[164:165]
.LBB80_72:
	s_or_b64 exec, exec, s[16:17]
.LBB80_73:
	s_or_b64 exec, exec, s[0:1]
	v_cmp_ne_u32_e32 vcc, v177, v174
	s_and_saveexec_b64 s[0:1], vcc
	s_xor_b64 s[0:1], exec, s[0:1]
	s_cbranch_execz .LBB80_79
; %bb.74:
	v_cmp_eq_u32_e32 vcc, 3, v177
	s_and_saveexec_b64 s[16:17], vcc
	s_cbranch_execz .LBB80_78
; %bb.75:
	v_cmp_ne_u32_e32 vcc, 3, v174
	s_xor_b64 s[18:19], s[14:15], -1
	s_and_b64 s[22:23], s[18:19], vcc
	s_and_saveexec_b64 s[18:19], s[22:23]
	s_cbranch_execz .LBB80_77
; %bb.76:
	v_ashrrev_i32_e32 v175, 31, v174
	v_lshl_add_u64 v[180:181], v[174:175], 2, v[172:173]
	global_load_dword v175, v[180:181], off
	global_load_dword v177, v[172:173], off offset:12
	s_waitcnt vmcnt(1)
	global_store_dword v[172:173], v175, off offset:12
	s_waitcnt vmcnt(1)
	global_store_dword v[180:181], v177, off
.LBB80_77:
	s_or_b64 exec, exec, s[18:19]
	v_mov_b32_e32 v177, v174
	v_mov_b32_e32 v179, v174
.LBB80_78:
	s_or_b64 exec, exec, s[16:17]
.LBB80_79:
	s_andn2_saveexec_b64 s[0:1], s[0:1]
	s_cbranch_execz .LBB80_81
; %bb.80:
	v_mov_b32_e32 v177, 3
	s_waitcnt vmcnt(36)
	ds_write2_b64 v176, v[148:149], v[150:151] offset0:8 offset1:9
	s_waitcnt vmcnt(35)
	ds_write2_b64 v176, v[144:145], v[146:147] offset0:10 offset1:11
	;; [unrolled: 2-line block ×37, first 2 shown]
.LBB80_81:
	s_or_b64 exec, exec, s[0:1]
	v_cmp_lt_i32_e32 vcc, 3, v177
	s_waitcnt lgkmcnt(0)
	s_barrier
	s_and_saveexec_b64 s[0:1], vcc
	s_cbranch_execz .LBB80_83
; %bb.82:
	ds_read2_b64 v[180:183], v176 offset0:8 offset1:9
	v_mul_f64 v[174:175], v[166:167], v[154:155]
	v_mul_f64 v[154:155], v[164:165], v[154:155]
	v_fmac_f64_e32 v[154:155], v[166:167], v[152:153]
	v_fma_f64 v[174:175], v[164:165], v[152:153], -v[174:175]
	ds_read2_b64 v[164:167], v176 offset0:10 offset1:11
	s_waitcnt lgkmcnt(1)
	v_mul_f64 v[152:153], v[182:183], v[154:155]
	v_fma_f64 v[152:153], v[180:181], v[174:175], -v[152:153]
	v_mul_f64 v[180:181], v[180:181], v[154:155]
	v_fmac_f64_e32 v[180:181], v[182:183], v[174:175]
	s_waitcnt vmcnt(36)
	v_add_f64 v[150:151], v[150:151], -v[180:181]
	ds_read2_b64 v[180:183], v176 offset0:12 offset1:13
	v_add_f64 v[148:149], v[148:149], -v[152:153]
	s_waitcnt lgkmcnt(1)
	v_mul_f64 v[152:153], v[166:167], v[154:155]
	v_fma_f64 v[152:153], v[164:165], v[174:175], -v[152:153]
	v_mul_f64 v[164:165], v[164:165], v[154:155]
	v_fmac_f64_e32 v[164:165], v[166:167], v[174:175]
	s_waitcnt vmcnt(35)
	v_add_f64 v[144:145], v[144:145], -v[152:153]
	v_add_f64 v[146:147], v[146:147], -v[164:165]
	ds_read2_b64 v[164:167], v176 offset0:14 offset1:15
	s_waitcnt lgkmcnt(1)
	v_mul_f64 v[152:153], v[182:183], v[154:155]
	v_fma_f64 v[152:153], v[180:181], v[174:175], -v[152:153]
	v_mul_f64 v[180:181], v[180:181], v[154:155]
	v_fmac_f64_e32 v[180:181], v[182:183], v[174:175]
	s_waitcnt vmcnt(34)
	v_add_f64 v[142:143], v[142:143], -v[180:181]
	ds_read2_b64 v[180:183], v176 offset0:16 offset1:17
	v_add_f64 v[140:141], v[140:141], -v[152:153]
	s_waitcnt lgkmcnt(1)
	v_mul_f64 v[152:153], v[166:167], v[154:155]
	v_fma_f64 v[152:153], v[164:165], v[174:175], -v[152:153]
	v_mul_f64 v[164:165], v[164:165], v[154:155]
	v_fmac_f64_e32 v[164:165], v[166:167], v[174:175]
	s_waitcnt vmcnt(33)
	v_add_f64 v[136:137], v[136:137], -v[152:153]
	v_add_f64 v[138:139], v[138:139], -v[164:165]
	ds_read2_b64 v[164:167], v176 offset0:18 offset1:19
	s_waitcnt lgkmcnt(1)
	v_mul_f64 v[152:153], v[182:183], v[154:155]
	v_fma_f64 v[152:153], v[180:181], v[174:175], -v[152:153]
	v_mul_f64 v[180:181], v[180:181], v[154:155]
	v_fmac_f64_e32 v[180:181], v[182:183], v[174:175]
	s_waitcnt vmcnt(32)
	v_add_f64 v[134:135], v[134:135], -v[180:181]
	ds_read2_b64 v[180:183], v176 offset0:20 offset1:21
	v_add_f64 v[132:133], v[132:133], -v[152:153]
	s_waitcnt lgkmcnt(1)
	v_mul_f64 v[152:153], v[166:167], v[154:155]
	v_fma_f64 v[152:153], v[164:165], v[174:175], -v[152:153]
	v_mul_f64 v[164:165], v[164:165], v[154:155]
	v_fmac_f64_e32 v[164:165], v[166:167], v[174:175]
	s_waitcnt vmcnt(31)
	v_add_f64 v[128:129], v[128:129], -v[152:153]
	v_add_f64 v[130:131], v[130:131], -v[164:165]
	ds_read2_b64 v[164:167], v176 offset0:22 offset1:23
	s_waitcnt lgkmcnt(1)
	v_mul_f64 v[152:153], v[182:183], v[154:155]
	v_fma_f64 v[152:153], v[180:181], v[174:175], -v[152:153]
	v_mul_f64 v[180:181], v[180:181], v[154:155]
	v_fmac_f64_e32 v[180:181], v[182:183], v[174:175]
	s_waitcnt vmcnt(30)
	v_add_f64 v[126:127], v[126:127], -v[180:181]
	ds_read2_b64 v[180:183], v176 offset0:24 offset1:25
	v_add_f64 v[124:125], v[124:125], -v[152:153]
	s_waitcnt lgkmcnt(1)
	v_mul_f64 v[152:153], v[166:167], v[154:155]
	v_fma_f64 v[152:153], v[164:165], v[174:175], -v[152:153]
	v_mul_f64 v[164:165], v[164:165], v[154:155]
	v_fmac_f64_e32 v[164:165], v[166:167], v[174:175]
	s_waitcnt vmcnt(29)
	v_add_f64 v[120:121], v[120:121], -v[152:153]
	v_add_f64 v[122:123], v[122:123], -v[164:165]
	ds_read2_b64 v[164:167], v176 offset0:26 offset1:27
	s_waitcnt lgkmcnt(1)
	v_mul_f64 v[152:153], v[182:183], v[154:155]
	v_fma_f64 v[152:153], v[180:181], v[174:175], -v[152:153]
	v_mul_f64 v[180:181], v[180:181], v[154:155]
	v_fmac_f64_e32 v[180:181], v[182:183], v[174:175]
	s_waitcnt vmcnt(28)
	v_add_f64 v[118:119], v[118:119], -v[180:181]
	ds_read2_b64 v[180:183], v176 offset0:28 offset1:29
	v_add_f64 v[116:117], v[116:117], -v[152:153]
	s_waitcnt lgkmcnt(1)
	v_mul_f64 v[152:153], v[166:167], v[154:155]
	v_fma_f64 v[152:153], v[164:165], v[174:175], -v[152:153]
	v_mul_f64 v[164:165], v[164:165], v[154:155]
	v_fmac_f64_e32 v[164:165], v[166:167], v[174:175]
	s_waitcnt vmcnt(27)
	v_add_f64 v[112:113], v[112:113], -v[152:153]
	v_add_f64 v[114:115], v[114:115], -v[164:165]
	ds_read2_b64 v[164:167], v176 offset0:30 offset1:31
	s_waitcnt lgkmcnt(1)
	v_mul_f64 v[152:153], v[182:183], v[154:155]
	v_fma_f64 v[152:153], v[180:181], v[174:175], -v[152:153]
	v_mul_f64 v[180:181], v[180:181], v[154:155]
	v_fmac_f64_e32 v[180:181], v[182:183], v[174:175]
	s_waitcnt vmcnt(26)
	v_add_f64 v[106:107], v[106:107], -v[180:181]
	ds_read2_b64 v[180:183], v176 offset0:32 offset1:33
	v_add_f64 v[104:105], v[104:105], -v[152:153]
	s_waitcnt lgkmcnt(1)
	v_mul_f64 v[152:153], v[166:167], v[154:155]
	v_fma_f64 v[152:153], v[164:165], v[174:175], -v[152:153]
	v_mul_f64 v[164:165], v[164:165], v[154:155]
	v_fmac_f64_e32 v[164:165], v[166:167], v[174:175]
	s_waitcnt vmcnt(25)
	v_add_f64 v[96:97], v[96:97], -v[152:153]
	v_add_f64 v[98:99], v[98:99], -v[164:165]
	ds_read2_b64 v[164:167], v176 offset0:34 offset1:35
	s_waitcnt lgkmcnt(1)
	v_mul_f64 v[152:153], v[182:183], v[154:155]
	v_fma_f64 v[152:153], v[180:181], v[174:175], -v[152:153]
	v_mul_f64 v[180:181], v[180:181], v[154:155]
	v_fmac_f64_e32 v[180:181], v[182:183], v[174:175]
	s_waitcnt vmcnt(24)
	v_add_f64 v[94:95], v[94:95], -v[180:181]
	ds_read2_b64 v[180:183], v176 offset0:36 offset1:37
	v_add_f64 v[92:93], v[92:93], -v[152:153]
	s_waitcnt lgkmcnt(1)
	v_mul_f64 v[152:153], v[166:167], v[154:155]
	v_fma_f64 v[152:153], v[164:165], v[174:175], -v[152:153]
	v_mul_f64 v[164:165], v[164:165], v[154:155]
	v_fmac_f64_e32 v[164:165], v[166:167], v[174:175]
	s_waitcnt vmcnt(23)
	v_add_f64 v[88:89], v[88:89], -v[152:153]
	v_add_f64 v[90:91], v[90:91], -v[164:165]
	ds_read2_b64 v[164:167], v176 offset0:38 offset1:39
	s_waitcnt lgkmcnt(1)
	v_mul_f64 v[152:153], v[182:183], v[154:155]
	v_fma_f64 v[152:153], v[180:181], v[174:175], -v[152:153]
	v_mul_f64 v[180:181], v[180:181], v[154:155]
	v_fmac_f64_e32 v[180:181], v[182:183], v[174:175]
	s_waitcnt vmcnt(22)
	v_add_f64 v[86:87], v[86:87], -v[180:181]
	ds_read2_b64 v[180:183], v176 offset0:40 offset1:41
	v_add_f64 v[84:85], v[84:85], -v[152:153]
	s_waitcnt lgkmcnt(1)
	v_mul_f64 v[152:153], v[166:167], v[154:155]
	v_fma_f64 v[152:153], v[164:165], v[174:175], -v[152:153]
	v_mul_f64 v[164:165], v[164:165], v[154:155]
	v_fmac_f64_e32 v[164:165], v[166:167], v[174:175]
	s_waitcnt vmcnt(21)
	v_add_f64 v[80:81], v[80:81], -v[152:153]
	v_add_f64 v[82:83], v[82:83], -v[164:165]
	ds_read2_b64 v[164:167], v176 offset0:42 offset1:43
	s_waitcnt lgkmcnt(1)
	v_mul_f64 v[152:153], v[182:183], v[154:155]
	v_fma_f64 v[152:153], v[180:181], v[174:175], -v[152:153]
	v_mul_f64 v[180:181], v[180:181], v[154:155]
	v_fmac_f64_e32 v[180:181], v[182:183], v[174:175]
	s_waitcnt vmcnt(20)
	v_add_f64 v[78:79], v[78:79], -v[180:181]
	ds_read2_b64 v[180:183], v176 offset0:44 offset1:45
	v_add_f64 v[76:77], v[76:77], -v[152:153]
	s_waitcnt lgkmcnt(1)
	v_mul_f64 v[152:153], v[166:167], v[154:155]
	v_fma_f64 v[152:153], v[164:165], v[174:175], -v[152:153]
	v_mul_f64 v[164:165], v[164:165], v[154:155]
	v_fmac_f64_e32 v[164:165], v[166:167], v[174:175]
	s_waitcnt vmcnt(19)
	v_add_f64 v[72:73], v[72:73], -v[152:153]
	v_add_f64 v[74:75], v[74:75], -v[164:165]
	ds_read2_b64 v[164:167], v176 offset0:46 offset1:47
	s_waitcnt lgkmcnt(1)
	v_mul_f64 v[152:153], v[182:183], v[154:155]
	v_fma_f64 v[152:153], v[180:181], v[174:175], -v[152:153]
	v_mul_f64 v[180:181], v[180:181], v[154:155]
	v_fmac_f64_e32 v[180:181], v[182:183], v[174:175]
	s_waitcnt vmcnt(18)
	v_add_f64 v[70:71], v[70:71], -v[180:181]
	ds_read2_b64 v[180:183], v176 offset0:48 offset1:49
	v_add_f64 v[68:69], v[68:69], -v[152:153]
	s_waitcnt lgkmcnt(1)
	v_mul_f64 v[152:153], v[166:167], v[154:155]
	v_fma_f64 v[152:153], v[164:165], v[174:175], -v[152:153]
	v_mul_f64 v[164:165], v[164:165], v[154:155]
	v_fmac_f64_e32 v[164:165], v[166:167], v[174:175]
	s_waitcnt vmcnt(17)
	v_add_f64 v[64:65], v[64:65], -v[152:153]
	v_add_f64 v[66:67], v[66:67], -v[164:165]
	ds_read2_b64 v[164:167], v176 offset0:50 offset1:51
	s_waitcnt lgkmcnt(1)
	v_mul_f64 v[152:153], v[182:183], v[154:155]
	v_fma_f64 v[152:153], v[180:181], v[174:175], -v[152:153]
	v_mul_f64 v[180:181], v[180:181], v[154:155]
	v_fmac_f64_e32 v[180:181], v[182:183], v[174:175]
	s_waitcnt vmcnt(16)
	v_add_f64 v[62:63], v[62:63], -v[180:181]
	ds_read2_b64 v[180:183], v176 offset0:52 offset1:53
	v_add_f64 v[60:61], v[60:61], -v[152:153]
	s_waitcnt lgkmcnt(1)
	v_mul_f64 v[152:153], v[166:167], v[154:155]
	v_fma_f64 v[152:153], v[164:165], v[174:175], -v[152:153]
	v_mul_f64 v[164:165], v[164:165], v[154:155]
	v_fmac_f64_e32 v[164:165], v[166:167], v[174:175]
	s_waitcnt vmcnt(15)
	v_add_f64 v[56:57], v[56:57], -v[152:153]
	v_add_f64 v[58:59], v[58:59], -v[164:165]
	ds_read2_b64 v[164:167], v176 offset0:54 offset1:55
	s_waitcnt lgkmcnt(1)
	v_mul_f64 v[152:153], v[182:183], v[154:155]
	v_fma_f64 v[152:153], v[180:181], v[174:175], -v[152:153]
	v_mul_f64 v[180:181], v[180:181], v[154:155]
	v_fmac_f64_e32 v[180:181], v[182:183], v[174:175]
	s_waitcnt vmcnt(14)
	v_add_f64 v[54:55], v[54:55], -v[180:181]
	ds_read2_b64 v[180:183], v176 offset0:56 offset1:57
	v_add_f64 v[52:53], v[52:53], -v[152:153]
	s_waitcnt lgkmcnt(1)
	v_mul_f64 v[152:153], v[166:167], v[154:155]
	v_fma_f64 v[152:153], v[164:165], v[174:175], -v[152:153]
	v_mul_f64 v[164:165], v[164:165], v[154:155]
	v_fmac_f64_e32 v[164:165], v[166:167], v[174:175]
	s_waitcnt vmcnt(13)
	v_add_f64 v[48:49], v[48:49], -v[152:153]
	v_add_f64 v[50:51], v[50:51], -v[164:165]
	ds_read2_b64 v[164:167], v176 offset0:58 offset1:59
	s_waitcnt lgkmcnt(1)
	v_mul_f64 v[152:153], v[182:183], v[154:155]
	v_fma_f64 v[152:153], v[180:181], v[174:175], -v[152:153]
	v_mul_f64 v[180:181], v[180:181], v[154:155]
	v_fmac_f64_e32 v[180:181], v[182:183], v[174:175]
	s_waitcnt vmcnt(12)
	v_add_f64 v[46:47], v[46:47], -v[180:181]
	ds_read2_b64 v[180:183], v176 offset0:60 offset1:61
	v_add_f64 v[44:45], v[44:45], -v[152:153]
	s_waitcnt lgkmcnt(1)
	v_mul_f64 v[152:153], v[166:167], v[154:155]
	v_fma_f64 v[152:153], v[164:165], v[174:175], -v[152:153]
	v_mul_f64 v[164:165], v[164:165], v[154:155]
	v_fmac_f64_e32 v[164:165], v[166:167], v[174:175]
	s_waitcnt vmcnt(11)
	v_add_f64 v[40:41], v[40:41], -v[152:153]
	v_add_f64 v[42:43], v[42:43], -v[164:165]
	ds_read2_b64 v[164:167], v176 offset0:62 offset1:63
	s_waitcnt lgkmcnt(1)
	v_mul_f64 v[152:153], v[182:183], v[154:155]
	v_fma_f64 v[152:153], v[180:181], v[174:175], -v[152:153]
	v_mul_f64 v[180:181], v[180:181], v[154:155]
	v_fmac_f64_e32 v[180:181], v[182:183], v[174:175]
	s_waitcnt vmcnt(10)
	v_add_f64 v[38:39], v[38:39], -v[180:181]
	ds_read2_b64 v[180:183], v176 offset0:64 offset1:65
	v_add_f64 v[36:37], v[36:37], -v[152:153]
	s_waitcnt lgkmcnt(1)
	v_mul_f64 v[152:153], v[166:167], v[154:155]
	v_fma_f64 v[152:153], v[164:165], v[174:175], -v[152:153]
	v_mul_f64 v[164:165], v[164:165], v[154:155]
	v_fmac_f64_e32 v[164:165], v[166:167], v[174:175]
	s_waitcnt vmcnt(9)
	v_add_f64 v[32:33], v[32:33], -v[152:153]
	v_add_f64 v[34:35], v[34:35], -v[164:165]
	ds_read2_b64 v[164:167], v176 offset0:66 offset1:67
	s_waitcnt lgkmcnt(1)
	v_mul_f64 v[152:153], v[182:183], v[154:155]
	v_fma_f64 v[152:153], v[180:181], v[174:175], -v[152:153]
	v_mul_f64 v[180:181], v[180:181], v[154:155]
	v_fmac_f64_e32 v[180:181], v[182:183], v[174:175]
	s_waitcnt vmcnt(8)
	v_add_f64 v[30:31], v[30:31], -v[180:181]
	ds_read2_b64 v[180:183], v176 offset0:68 offset1:69
	v_add_f64 v[28:29], v[28:29], -v[152:153]
	s_waitcnt lgkmcnt(1)
	v_mul_f64 v[152:153], v[166:167], v[154:155]
	v_fma_f64 v[152:153], v[164:165], v[174:175], -v[152:153]
	v_mul_f64 v[164:165], v[164:165], v[154:155]
	v_fmac_f64_e32 v[164:165], v[166:167], v[174:175]
	s_waitcnt vmcnt(7)
	v_add_f64 v[24:25], v[24:25], -v[152:153]
	v_add_f64 v[26:27], v[26:27], -v[164:165]
	ds_read2_b64 v[164:167], v176 offset0:70 offset1:71
	s_waitcnt lgkmcnt(1)
	v_mul_f64 v[152:153], v[182:183], v[154:155]
	v_fma_f64 v[152:153], v[180:181], v[174:175], -v[152:153]
	v_mul_f64 v[180:181], v[180:181], v[154:155]
	v_fmac_f64_e32 v[180:181], v[182:183], v[174:175]
	s_waitcnt vmcnt(6)
	v_add_f64 v[22:23], v[22:23], -v[180:181]
	ds_read2_b64 v[180:183], v176 offset0:72 offset1:73
	v_add_f64 v[20:21], v[20:21], -v[152:153]
	s_waitcnt lgkmcnt(1)
	v_mul_f64 v[152:153], v[166:167], v[154:155]
	v_fma_f64 v[152:153], v[164:165], v[174:175], -v[152:153]
	v_mul_f64 v[164:165], v[164:165], v[154:155]
	v_fmac_f64_e32 v[164:165], v[166:167], v[174:175]
	s_waitcnt vmcnt(5)
	v_add_f64 v[16:17], v[16:17], -v[152:153]
	v_add_f64 v[18:19], v[18:19], -v[164:165]
	ds_read2_b64 v[164:167], v176 offset0:74 offset1:75
	s_waitcnt lgkmcnt(1)
	v_mul_f64 v[152:153], v[182:183], v[154:155]
	v_fma_f64 v[152:153], v[180:181], v[174:175], -v[152:153]
	v_mul_f64 v[180:181], v[180:181], v[154:155]
	v_fmac_f64_e32 v[180:181], v[182:183], v[174:175]
	s_waitcnt vmcnt(4)
	v_add_f64 v[14:15], v[14:15], -v[180:181]
	ds_read2_b64 v[180:183], v176 offset0:76 offset1:77
	v_add_f64 v[12:13], v[12:13], -v[152:153]
	s_waitcnt lgkmcnt(1)
	v_mul_f64 v[152:153], v[166:167], v[154:155]
	v_fma_f64 v[152:153], v[164:165], v[174:175], -v[152:153]
	v_mul_f64 v[164:165], v[164:165], v[154:155]
	v_fmac_f64_e32 v[164:165], v[166:167], v[174:175]
	s_waitcnt vmcnt(3)
	v_add_f64 v[8:9], v[8:9], -v[152:153]
	v_add_f64 v[10:11], v[10:11], -v[164:165]
	ds_read2_b64 v[164:167], v176 offset0:78 offset1:79
	s_waitcnt lgkmcnt(1)
	v_mul_f64 v[152:153], v[182:183], v[154:155]
	v_fma_f64 v[152:153], v[180:181], v[174:175], -v[152:153]
	v_mul_f64 v[180:181], v[180:181], v[154:155]
	v_fmac_f64_e32 v[180:181], v[182:183], v[174:175]
	s_waitcnt vmcnt(2)
	v_add_f64 v[6:7], v[6:7], -v[180:181]
	ds_read2_b64 v[180:183], v176 offset0:80 offset1:81
	v_add_f64 v[4:5], v[4:5], -v[152:153]
	s_waitcnt lgkmcnt(1)
	v_mul_f64 v[152:153], v[166:167], v[154:155]
	v_fma_f64 v[152:153], v[164:165], v[174:175], -v[152:153]
	v_mul_f64 v[164:165], v[164:165], v[154:155]
	v_fmac_f64_e32 v[164:165], v[166:167], v[174:175]
	s_waitcnt vmcnt(1)
	v_add_f64 v[0:1], v[0:1], -v[152:153]
	v_add_f64 v[2:3], v[2:3], -v[164:165]
	s_waitcnt lgkmcnt(0)
	v_mul_f64 v[152:153], v[182:183], v[154:155]
	v_mul_f64 v[164:165], v[180:181], v[154:155]
	v_fma_f64 v[152:153], v[180:181], v[174:175], -v[152:153]
	v_fmac_f64_e32 v[164:165], v[182:183], v[174:175]
	s_waitcnt vmcnt(0)
	v_add_f64 v[160:161], v[160:161], -v[152:153]
	v_add_f64 v[162:163], v[162:163], -v[164:165]
	v_mov_b64_e32 v[152:153], v[174:175]
.LBB80_83:
	s_or_b64 exec, exec, s[0:1]
	v_lshl_add_u32 v164, v177, 4, v176
	s_barrier
	s_waitcnt vmcnt(36)
	ds_write2_b64 v164, v[148:149], v[150:151] offset1:1
	s_waitcnt lgkmcnt(0)
	s_barrier
	ds_read2_b64 v[164:167], v176 offset0:8 offset1:9
	s_cmp_lt_i32 s20, 6
	v_mov_b32_e32 v174, 4
	s_cbranch_scc1 .LBB80_86
; %bb.84:
	v_mov_b32_e32 v174, 4
	v_add_u32_e32 v175, 0x50, v176
	s_mov_b32 s16, 5
.LBB80_85:                              ; =>This Inner Loop Header: Depth=1
	ds_read2_b64 v[180:183], v175 offset1:1
	s_waitcnt lgkmcnt(1)
	v_xor_b32_e32 v185, 0x80000000, v165
	v_xor_b32_e32 v187, 0x80000000, v167
	v_cmp_gt_f64_e32 vcc, 0, v[166:167]
	v_cmp_gt_f64_e64 s[0:1], 0, v[164:165]
	v_mov_b32_e32 v184, v164
	v_mov_b32_e32 v186, v166
	v_cndmask_b32_e64 v185, v165, v185, s[0:1]
	v_cndmask_b32_e32 v187, v167, v187, vcc
	v_add_f64 v[184:185], v[184:185], v[186:187]
	s_waitcnt lgkmcnt(0)
	v_xor_b32_e32 v187, 0x80000000, v181
	v_xor_b32_e32 v189, 0x80000000, v183
	v_cmp_gt_f64_e32 vcc, 0, v[182:183]
	v_cmp_gt_f64_e64 s[0:1], 0, v[180:181]
	v_mov_b32_e32 v186, v180
	v_mov_b32_e32 v188, v182
	v_cndmask_b32_e64 v187, v181, v187, s[0:1]
	v_cndmask_b32_e32 v189, v183, v189, vcc
	v_add_f64 v[186:187], v[186:187], v[188:189]
	v_mov_b32_e32 v190, s16
	s_add_i32 s16, s16, 1
	v_cmp_lt_f64_e32 vcc, v[184:185], v[186:187]
	v_add_u32_e32 v175, 16, v175
	s_cmp_lg_u32 s20, s16
	v_cndmask_b32_e32 v165, v165, v181, vcc
	v_cndmask_b32_e32 v164, v164, v180, vcc
	v_cndmask_b32_e32 v167, v167, v183, vcc
	v_cndmask_b32_e32 v166, v166, v182, vcc
	v_cndmask_b32_e32 v174, v174, v190, vcc
	s_cbranch_scc1 .LBB80_85
.LBB80_86:
	s_waitcnt lgkmcnt(0)
	v_cmp_eq_f64_e32 vcc, 0, v[164:165]
	v_cmp_eq_f64_e64 s[0:1], 0, v[166:167]
	s_and_b64 s[0:1], vcc, s[0:1]
	s_and_saveexec_b64 s[16:17], s[0:1]
	s_xor_b64 s[0:1], exec, s[16:17]
; %bb.87:
	v_cmp_ne_u32_e32 vcc, 0, v178
	s_nop 1
	v_cndmask_b32_e32 v178, 5, v178, vcc
; %bb.88:
	s_andn2_saveexec_b64 s[0:1], s[0:1]
	s_cbranch_execz .LBB80_94
; %bb.89:
	v_cmp_ngt_f64_e64 s[16:17], |v[164:165]|, |v[166:167]|
	s_and_saveexec_b64 s[18:19], s[16:17]
	s_xor_b64 s[16:17], exec, s[18:19]
	s_cbranch_execz .LBB80_91
; %bb.90:
	v_div_scale_f64 v[180:181], s[18:19], v[166:167], v[166:167], v[164:165]
	v_rcp_f64_e32 v[182:183], v[180:181]
	v_div_scale_f64 v[184:185], vcc, v[164:165], v[166:167], v[164:165]
	v_fma_f64 v[186:187], -v[180:181], v[182:183], 1.0
	v_fmac_f64_e32 v[182:183], v[182:183], v[186:187]
	v_fma_f64 v[186:187], -v[180:181], v[182:183], 1.0
	v_fmac_f64_e32 v[182:183], v[182:183], v[186:187]
	v_mul_f64 v[186:187], v[184:185], v[182:183]
	v_fma_f64 v[180:181], -v[180:181], v[186:187], v[184:185]
	v_div_fmas_f64 v[180:181], v[180:181], v[182:183], v[186:187]
	v_div_fixup_f64 v[180:181], v[180:181], v[166:167], v[164:165]
	v_fmac_f64_e32 v[166:167], v[164:165], v[180:181]
	v_div_scale_f64 v[164:165], s[18:19], v[166:167], v[166:167], 1.0
	v_rcp_f64_e32 v[182:183], v[164:165]
	s_nop 0
	v_fma_f64 v[184:185], -v[164:165], v[182:183], 1.0
	v_fmac_f64_e32 v[182:183], v[182:183], v[184:185]
	v_fma_f64 v[184:185], -v[164:165], v[182:183], 1.0
	v_fmac_f64_e32 v[182:183], v[182:183], v[184:185]
	v_div_scale_f64 v[184:185], vcc, 1.0, v[166:167], 1.0
	v_mul_f64 v[186:187], v[184:185], v[182:183]
	v_fma_f64 v[164:165], -v[164:165], v[186:187], v[184:185]
	s_nop 1
	v_div_fmas_f64 v[164:165], v[164:165], v[182:183], v[186:187]
	v_div_fixup_f64 v[166:167], v[164:165], v[166:167], 1.0
	v_mul_f64 v[164:165], v[180:181], v[166:167]
	v_xor_b32_e32 v167, 0x80000000, v167
.LBB80_91:
	s_andn2_saveexec_b64 s[16:17], s[16:17]
	s_cbranch_execz .LBB80_93
; %bb.92:
	v_div_scale_f64 v[180:181], s[18:19], v[164:165], v[164:165], v[166:167]
	v_rcp_f64_e32 v[182:183], v[180:181]
	v_div_scale_f64 v[184:185], vcc, v[166:167], v[164:165], v[166:167]
	v_fma_f64 v[186:187], -v[180:181], v[182:183], 1.0
	v_fmac_f64_e32 v[182:183], v[182:183], v[186:187]
	v_fma_f64 v[186:187], -v[180:181], v[182:183], 1.0
	v_fmac_f64_e32 v[182:183], v[182:183], v[186:187]
	v_mul_f64 v[186:187], v[184:185], v[182:183]
	v_fma_f64 v[180:181], -v[180:181], v[186:187], v[184:185]
	v_div_fmas_f64 v[180:181], v[180:181], v[182:183], v[186:187]
	v_div_fixup_f64 v[180:181], v[180:181], v[164:165], v[166:167]
	v_fmac_f64_e32 v[164:165], v[166:167], v[180:181]
	v_div_scale_f64 v[166:167], s[18:19], v[164:165], v[164:165], 1.0
	v_rcp_f64_e32 v[182:183], v[166:167]
	s_nop 0
	v_fma_f64 v[184:185], -v[166:167], v[182:183], 1.0
	v_fmac_f64_e32 v[182:183], v[182:183], v[184:185]
	v_fma_f64 v[184:185], -v[166:167], v[182:183], 1.0
	v_fmac_f64_e32 v[182:183], v[182:183], v[184:185]
	v_div_scale_f64 v[184:185], vcc, 1.0, v[164:165], 1.0
	v_mul_f64 v[186:187], v[184:185], v[182:183]
	v_fma_f64 v[166:167], -v[166:167], v[186:187], v[184:185]
	s_nop 1
	v_div_fmas_f64 v[166:167], v[166:167], v[182:183], v[186:187]
	v_div_fixup_f64 v[164:165], v[166:167], v[164:165], 1.0
	v_mul_f64 v[166:167], v[180:181], -v[164:165]
.LBB80_93:
	s_or_b64 exec, exec, s[16:17]
.LBB80_94:
	s_or_b64 exec, exec, s[0:1]
	v_cmp_ne_u32_e32 vcc, v177, v174
	s_and_saveexec_b64 s[0:1], vcc
	s_xor_b64 s[0:1], exec, s[0:1]
	s_cbranch_execz .LBB80_100
; %bb.95:
	v_cmp_eq_u32_e32 vcc, 4, v177
	s_and_saveexec_b64 s[16:17], vcc
	s_cbranch_execz .LBB80_99
; %bb.96:
	v_cmp_ne_u32_e32 vcc, 4, v174
	s_xor_b64 s[18:19], s[14:15], -1
	s_and_b64 s[22:23], s[18:19], vcc
	s_and_saveexec_b64 s[18:19], s[22:23]
	s_cbranch_execz .LBB80_98
; %bb.97:
	v_ashrrev_i32_e32 v175, 31, v174
	v_lshl_add_u64 v[180:181], v[174:175], 2, v[172:173]
	global_load_dword v175, v[180:181], off
	global_load_dword v177, v[172:173], off offset:16
	s_waitcnt vmcnt(1)
	global_store_dword v[172:173], v175, off offset:16
	s_waitcnt vmcnt(1)
	global_store_dword v[180:181], v177, off
.LBB80_98:
	s_or_b64 exec, exec, s[18:19]
	v_mov_b32_e32 v177, v174
	v_mov_b32_e32 v179, v174
.LBB80_99:
	s_or_b64 exec, exec, s[16:17]
.LBB80_100:
	s_andn2_saveexec_b64 s[0:1], s[0:1]
	s_cbranch_execz .LBB80_102
; %bb.101:
	v_mov_b32_e32 v177, 4
	s_waitcnt vmcnt(35)
	ds_write2_b64 v176, v[144:145], v[146:147] offset0:10 offset1:11
	s_waitcnt vmcnt(34)
	ds_write2_b64 v176, v[140:141], v[142:143] offset0:12 offset1:13
	s_waitcnt vmcnt(33)
	ds_write2_b64 v176, v[136:137], v[138:139] offset0:14 offset1:15
	s_waitcnt vmcnt(32)
	ds_write2_b64 v176, v[132:133], v[134:135] offset0:16 offset1:17
	s_waitcnt vmcnt(31)
	ds_write2_b64 v176, v[128:129], v[130:131] offset0:18 offset1:19
	s_waitcnt vmcnt(30)
	ds_write2_b64 v176, v[124:125], v[126:127] offset0:20 offset1:21
	s_waitcnt vmcnt(29)
	ds_write2_b64 v176, v[120:121], v[122:123] offset0:22 offset1:23
	s_waitcnt vmcnt(28)
	ds_write2_b64 v176, v[116:117], v[118:119] offset0:24 offset1:25
	s_waitcnt vmcnt(27)
	ds_write2_b64 v176, v[112:113], v[114:115] offset0:26 offset1:27
	s_waitcnt vmcnt(26)
	ds_write2_b64 v176, v[104:105], v[106:107] offset0:28 offset1:29
	s_waitcnt vmcnt(25)
	ds_write2_b64 v176, v[96:97], v[98:99] offset0:30 offset1:31
	s_waitcnt vmcnt(24)
	ds_write2_b64 v176, v[92:93], v[94:95] offset0:32 offset1:33
	s_waitcnt vmcnt(23)
	ds_write2_b64 v176, v[88:89], v[90:91] offset0:34 offset1:35
	s_waitcnt vmcnt(22)
	ds_write2_b64 v176, v[84:85], v[86:87] offset0:36 offset1:37
	s_waitcnt vmcnt(21)
	ds_write2_b64 v176, v[80:81], v[82:83] offset0:38 offset1:39
	s_waitcnt vmcnt(20)
	ds_write2_b64 v176, v[76:77], v[78:79] offset0:40 offset1:41
	s_waitcnt vmcnt(19)
	ds_write2_b64 v176, v[72:73], v[74:75] offset0:42 offset1:43
	s_waitcnt vmcnt(18)
	ds_write2_b64 v176, v[68:69], v[70:71] offset0:44 offset1:45
	s_waitcnt vmcnt(17)
	ds_write2_b64 v176, v[64:65], v[66:67] offset0:46 offset1:47
	s_waitcnt vmcnt(16)
	ds_write2_b64 v176, v[60:61], v[62:63] offset0:48 offset1:49
	s_waitcnt vmcnt(15)
	ds_write2_b64 v176, v[56:57], v[58:59] offset0:50 offset1:51
	s_waitcnt vmcnt(14)
	ds_write2_b64 v176, v[52:53], v[54:55] offset0:52 offset1:53
	s_waitcnt vmcnt(13)
	ds_write2_b64 v176, v[48:49], v[50:51] offset0:54 offset1:55
	s_waitcnt vmcnt(12)
	ds_write2_b64 v176, v[44:45], v[46:47] offset0:56 offset1:57
	s_waitcnt vmcnt(11)
	ds_write2_b64 v176, v[40:41], v[42:43] offset0:58 offset1:59
	s_waitcnt vmcnt(10)
	ds_write2_b64 v176, v[36:37], v[38:39] offset0:60 offset1:61
	s_waitcnt vmcnt(9)
	ds_write2_b64 v176, v[32:33], v[34:35] offset0:62 offset1:63
	s_waitcnt vmcnt(8)
	ds_write2_b64 v176, v[28:29], v[30:31] offset0:64 offset1:65
	s_waitcnt vmcnt(7)
	ds_write2_b64 v176, v[24:25], v[26:27] offset0:66 offset1:67
	s_waitcnt vmcnt(6)
	ds_write2_b64 v176, v[20:21], v[22:23] offset0:68 offset1:69
	s_waitcnt vmcnt(5)
	ds_write2_b64 v176, v[16:17], v[18:19] offset0:70 offset1:71
	s_waitcnt vmcnt(4)
	ds_write2_b64 v176, v[12:13], v[14:15] offset0:72 offset1:73
	s_waitcnt vmcnt(3)
	ds_write2_b64 v176, v[8:9], v[10:11] offset0:74 offset1:75
	s_waitcnt vmcnt(2)
	ds_write2_b64 v176, v[4:5], v[6:7] offset0:76 offset1:77
	s_waitcnt vmcnt(1)
	ds_write2_b64 v176, v[0:1], v[2:3] offset0:78 offset1:79
	s_waitcnt vmcnt(0)
	ds_write2_b64 v176, v[160:161], v[162:163] offset0:80 offset1:81
.LBB80_102:
	s_or_b64 exec, exec, s[0:1]
	v_cmp_lt_i32_e32 vcc, 4, v177
	s_waitcnt lgkmcnt(0)
	s_barrier
	s_and_saveexec_b64 s[0:1], vcc
	s_cbranch_execz .LBB80_104
; %bb.103:
	ds_read2_b64 v[180:183], v176 offset0:10 offset1:11
	v_mul_f64 v[174:175], v[166:167], v[150:151]
	v_mul_f64 v[150:151], v[164:165], v[150:151]
	v_fma_f64 v[174:175], v[164:165], v[148:149], -v[174:175]
	v_fmac_f64_e32 v[150:151], v[166:167], v[148:149]
	ds_read2_b64 v[164:167], v176 offset0:12 offset1:13
	s_waitcnt lgkmcnt(1)
	v_mul_f64 v[148:149], v[182:183], v[150:151]
	v_fma_f64 v[148:149], v[180:181], v[174:175], -v[148:149]
	v_mul_f64 v[180:181], v[180:181], v[150:151]
	v_fmac_f64_e32 v[180:181], v[182:183], v[174:175]
	s_waitcnt vmcnt(35)
	v_add_f64 v[144:145], v[144:145], -v[148:149]
	s_waitcnt lgkmcnt(0)
	v_mul_f64 v[148:149], v[166:167], v[150:151]
	v_add_f64 v[146:147], v[146:147], -v[180:181]
	v_fma_f64 v[148:149], v[164:165], v[174:175], -v[148:149]
	v_mul_f64 v[164:165], v[164:165], v[150:151]
	ds_read2_b64 v[180:183], v176 offset0:14 offset1:15
	v_fmac_f64_e32 v[164:165], v[166:167], v[174:175]
	s_waitcnt vmcnt(34)
	v_add_f64 v[142:143], v[142:143], -v[164:165]
	ds_read2_b64 v[164:167], v176 offset0:16 offset1:17
	v_add_f64 v[140:141], v[140:141], -v[148:149]
	s_waitcnt lgkmcnt(1)
	v_mul_f64 v[148:149], v[182:183], v[150:151]
	v_fma_f64 v[148:149], v[180:181], v[174:175], -v[148:149]
	v_mul_f64 v[180:181], v[180:181], v[150:151]
	v_fmac_f64_e32 v[180:181], v[182:183], v[174:175]
	s_waitcnt vmcnt(33)
	v_add_f64 v[136:137], v[136:137], -v[148:149]
	s_waitcnt lgkmcnt(0)
	v_mul_f64 v[148:149], v[166:167], v[150:151]
	v_add_f64 v[138:139], v[138:139], -v[180:181]
	v_fma_f64 v[148:149], v[164:165], v[174:175], -v[148:149]
	v_mul_f64 v[164:165], v[164:165], v[150:151]
	ds_read2_b64 v[180:183], v176 offset0:18 offset1:19
	v_fmac_f64_e32 v[164:165], v[166:167], v[174:175]
	s_waitcnt vmcnt(32)
	v_add_f64 v[134:135], v[134:135], -v[164:165]
	ds_read2_b64 v[164:167], v176 offset0:20 offset1:21
	v_add_f64 v[132:133], v[132:133], -v[148:149]
	;; [unrolled: 18-line block ×17, first 2 shown]
	s_waitcnt lgkmcnt(1)
	v_mul_f64 v[148:149], v[182:183], v[150:151]
	v_fma_f64 v[148:149], v[180:181], v[174:175], -v[148:149]
	s_waitcnt vmcnt(1)
	v_add_f64 v[0:1], v[0:1], -v[148:149]
	s_waitcnt lgkmcnt(0)
	v_mul_f64 v[148:149], v[166:167], v[150:151]
	v_mul_f64 v[180:181], v[180:181], v[150:151]
	v_fma_f64 v[148:149], v[164:165], v[174:175], -v[148:149]
	v_mul_f64 v[164:165], v[164:165], v[150:151]
	v_fmac_f64_e32 v[180:181], v[182:183], v[174:175]
	v_fmac_f64_e32 v[164:165], v[166:167], v[174:175]
	v_add_f64 v[2:3], v[2:3], -v[180:181]
	s_waitcnt vmcnt(0)
	v_add_f64 v[160:161], v[160:161], -v[148:149]
	v_add_f64 v[162:163], v[162:163], -v[164:165]
	v_mov_b64_e32 v[148:149], v[174:175]
.LBB80_104:
	s_or_b64 exec, exec, s[0:1]
	v_lshl_add_u32 v164, v177, 4, v176
	s_barrier
	s_waitcnt vmcnt(35)
	ds_write2_b64 v164, v[144:145], v[146:147] offset1:1
	s_waitcnt lgkmcnt(0)
	s_barrier
	ds_read2_b64 v[164:167], v176 offset0:10 offset1:11
	s_cmp_lt_i32 s20, 7
	v_mov_b32_e32 v174, 5
	s_cbranch_scc1 .LBB80_107
; %bb.105:
	v_add_u32_e32 v175, 0x60, v176
	s_mov_b32 s16, 6
	v_mov_b32_e32 v174, 5
.LBB80_106:                             ; =>This Inner Loop Header: Depth=1
	ds_read2_b64 v[180:183], v175 offset1:1
	s_waitcnt lgkmcnt(1)
	v_xor_b32_e32 v185, 0x80000000, v165
	v_xor_b32_e32 v187, 0x80000000, v167
	v_cmp_gt_f64_e32 vcc, 0, v[166:167]
	v_cmp_gt_f64_e64 s[0:1], 0, v[164:165]
	v_mov_b32_e32 v184, v164
	v_mov_b32_e32 v186, v166
	v_cndmask_b32_e64 v185, v165, v185, s[0:1]
	v_cndmask_b32_e32 v187, v167, v187, vcc
	v_add_f64 v[184:185], v[184:185], v[186:187]
	s_waitcnt lgkmcnt(0)
	v_xor_b32_e32 v187, 0x80000000, v181
	v_xor_b32_e32 v189, 0x80000000, v183
	v_cmp_gt_f64_e32 vcc, 0, v[182:183]
	v_cmp_gt_f64_e64 s[0:1], 0, v[180:181]
	v_mov_b32_e32 v186, v180
	v_mov_b32_e32 v188, v182
	v_cndmask_b32_e64 v187, v181, v187, s[0:1]
	v_cndmask_b32_e32 v189, v183, v189, vcc
	v_add_f64 v[186:187], v[186:187], v[188:189]
	v_mov_b32_e32 v190, s16
	s_add_i32 s16, s16, 1
	v_cmp_lt_f64_e32 vcc, v[184:185], v[186:187]
	v_add_u32_e32 v175, 16, v175
	s_cmp_lg_u32 s20, s16
	v_cndmask_b32_e32 v165, v165, v181, vcc
	v_cndmask_b32_e32 v164, v164, v180, vcc
	;; [unrolled: 1-line block ×5, first 2 shown]
	s_cbranch_scc1 .LBB80_106
.LBB80_107:
	s_waitcnt lgkmcnt(0)
	v_cmp_eq_f64_e32 vcc, 0, v[164:165]
	v_cmp_eq_f64_e64 s[0:1], 0, v[166:167]
	s_and_b64 s[0:1], vcc, s[0:1]
	s_and_saveexec_b64 s[16:17], s[0:1]
	s_xor_b64 s[0:1], exec, s[16:17]
; %bb.108:
	v_cmp_ne_u32_e32 vcc, 0, v178
	s_nop 1
	v_cndmask_b32_e32 v178, 6, v178, vcc
; %bb.109:
	s_andn2_saveexec_b64 s[0:1], s[0:1]
	s_cbranch_execz .LBB80_115
; %bb.110:
	v_cmp_ngt_f64_e64 s[16:17], |v[164:165]|, |v[166:167]|
	s_and_saveexec_b64 s[18:19], s[16:17]
	s_xor_b64 s[16:17], exec, s[18:19]
	s_cbranch_execz .LBB80_112
; %bb.111:
	v_div_scale_f64 v[180:181], s[18:19], v[166:167], v[166:167], v[164:165]
	v_rcp_f64_e32 v[182:183], v[180:181]
	v_div_scale_f64 v[184:185], vcc, v[164:165], v[166:167], v[164:165]
	v_fma_f64 v[186:187], -v[180:181], v[182:183], 1.0
	v_fmac_f64_e32 v[182:183], v[182:183], v[186:187]
	v_fma_f64 v[186:187], -v[180:181], v[182:183], 1.0
	v_fmac_f64_e32 v[182:183], v[182:183], v[186:187]
	v_mul_f64 v[186:187], v[184:185], v[182:183]
	v_fma_f64 v[180:181], -v[180:181], v[186:187], v[184:185]
	v_div_fmas_f64 v[180:181], v[180:181], v[182:183], v[186:187]
	v_div_fixup_f64 v[180:181], v[180:181], v[166:167], v[164:165]
	v_fmac_f64_e32 v[166:167], v[164:165], v[180:181]
	v_div_scale_f64 v[164:165], s[18:19], v[166:167], v[166:167], 1.0
	v_rcp_f64_e32 v[182:183], v[164:165]
	s_nop 0
	v_fma_f64 v[184:185], -v[164:165], v[182:183], 1.0
	v_fmac_f64_e32 v[182:183], v[182:183], v[184:185]
	v_fma_f64 v[184:185], -v[164:165], v[182:183], 1.0
	v_fmac_f64_e32 v[182:183], v[182:183], v[184:185]
	v_div_scale_f64 v[184:185], vcc, 1.0, v[166:167], 1.0
	v_mul_f64 v[186:187], v[184:185], v[182:183]
	v_fma_f64 v[164:165], -v[164:165], v[186:187], v[184:185]
	s_nop 1
	v_div_fmas_f64 v[164:165], v[164:165], v[182:183], v[186:187]
	v_div_fixup_f64 v[166:167], v[164:165], v[166:167], 1.0
	v_mul_f64 v[164:165], v[180:181], v[166:167]
	v_xor_b32_e32 v167, 0x80000000, v167
.LBB80_112:
	s_andn2_saveexec_b64 s[16:17], s[16:17]
	s_cbranch_execz .LBB80_114
; %bb.113:
	v_div_scale_f64 v[180:181], s[18:19], v[164:165], v[164:165], v[166:167]
	v_rcp_f64_e32 v[182:183], v[180:181]
	v_div_scale_f64 v[184:185], vcc, v[166:167], v[164:165], v[166:167]
	v_fma_f64 v[186:187], -v[180:181], v[182:183], 1.0
	v_fmac_f64_e32 v[182:183], v[182:183], v[186:187]
	v_fma_f64 v[186:187], -v[180:181], v[182:183], 1.0
	v_fmac_f64_e32 v[182:183], v[182:183], v[186:187]
	v_mul_f64 v[186:187], v[184:185], v[182:183]
	v_fma_f64 v[180:181], -v[180:181], v[186:187], v[184:185]
	v_div_fmas_f64 v[180:181], v[180:181], v[182:183], v[186:187]
	v_div_fixup_f64 v[180:181], v[180:181], v[164:165], v[166:167]
	v_fmac_f64_e32 v[164:165], v[166:167], v[180:181]
	v_div_scale_f64 v[166:167], s[18:19], v[164:165], v[164:165], 1.0
	v_rcp_f64_e32 v[182:183], v[166:167]
	s_nop 0
	v_fma_f64 v[184:185], -v[166:167], v[182:183], 1.0
	v_fmac_f64_e32 v[182:183], v[182:183], v[184:185]
	v_fma_f64 v[184:185], -v[166:167], v[182:183], 1.0
	v_fmac_f64_e32 v[182:183], v[182:183], v[184:185]
	v_div_scale_f64 v[184:185], vcc, 1.0, v[164:165], 1.0
	v_mul_f64 v[186:187], v[184:185], v[182:183]
	v_fma_f64 v[166:167], -v[166:167], v[186:187], v[184:185]
	s_nop 1
	v_div_fmas_f64 v[166:167], v[166:167], v[182:183], v[186:187]
	v_div_fixup_f64 v[164:165], v[166:167], v[164:165], 1.0
	v_mul_f64 v[166:167], v[180:181], -v[164:165]
.LBB80_114:
	s_or_b64 exec, exec, s[16:17]
.LBB80_115:
	s_or_b64 exec, exec, s[0:1]
	v_cmp_ne_u32_e32 vcc, v177, v174
	s_and_saveexec_b64 s[0:1], vcc
	s_xor_b64 s[0:1], exec, s[0:1]
	s_cbranch_execz .LBB80_121
; %bb.116:
	v_cmp_eq_u32_e32 vcc, 5, v177
	s_and_saveexec_b64 s[16:17], vcc
	s_cbranch_execz .LBB80_120
; %bb.117:
	v_cmp_ne_u32_e32 vcc, 5, v174
	s_xor_b64 s[18:19], s[14:15], -1
	s_and_b64 s[22:23], s[18:19], vcc
	s_and_saveexec_b64 s[18:19], s[22:23]
	s_cbranch_execz .LBB80_119
; %bb.118:
	v_ashrrev_i32_e32 v175, 31, v174
	v_lshl_add_u64 v[180:181], v[174:175], 2, v[172:173]
	global_load_dword v175, v[180:181], off
	global_load_dword v177, v[172:173], off offset:20
	s_waitcnt vmcnt(1)
	global_store_dword v[172:173], v175, off offset:20
	s_waitcnt vmcnt(1)
	global_store_dword v[180:181], v177, off
.LBB80_119:
	s_or_b64 exec, exec, s[18:19]
	v_mov_b32_e32 v177, v174
	v_mov_b32_e32 v179, v174
.LBB80_120:
	s_or_b64 exec, exec, s[16:17]
.LBB80_121:
	s_andn2_saveexec_b64 s[0:1], s[0:1]
	s_cbranch_execz .LBB80_123
; %bb.122:
	v_mov_b32_e32 v177, 5
	s_waitcnt vmcnt(34)
	ds_write2_b64 v176, v[140:141], v[142:143] offset0:12 offset1:13
	s_waitcnt vmcnt(33)
	ds_write2_b64 v176, v[136:137], v[138:139] offset0:14 offset1:15
	;; [unrolled: 2-line block ×35, first 2 shown]
.LBB80_123:
	s_or_b64 exec, exec, s[0:1]
	v_cmp_lt_i32_e32 vcc, 5, v177
	s_waitcnt lgkmcnt(0)
	s_barrier
	s_and_saveexec_b64 s[0:1], vcc
	s_cbranch_execz .LBB80_125
; %bb.124:
	ds_read2_b64 v[180:183], v176 offset0:12 offset1:13
	v_mul_f64 v[174:175], v[166:167], v[146:147]
	v_mul_f64 v[146:147], v[164:165], v[146:147]
	v_fmac_f64_e32 v[146:147], v[166:167], v[144:145]
	v_fma_f64 v[174:175], v[164:165], v[144:145], -v[174:175]
	ds_read2_b64 v[164:167], v176 offset0:14 offset1:15
	s_waitcnt lgkmcnt(1)
	v_mul_f64 v[144:145], v[182:183], v[146:147]
	v_fma_f64 v[144:145], v[180:181], v[174:175], -v[144:145]
	v_mul_f64 v[180:181], v[180:181], v[146:147]
	v_fmac_f64_e32 v[180:181], v[182:183], v[174:175]
	s_waitcnt vmcnt(34)
	v_add_f64 v[142:143], v[142:143], -v[180:181]
	ds_read2_b64 v[180:183], v176 offset0:16 offset1:17
	v_add_f64 v[140:141], v[140:141], -v[144:145]
	s_waitcnt lgkmcnt(1)
	v_mul_f64 v[144:145], v[166:167], v[146:147]
	v_fma_f64 v[144:145], v[164:165], v[174:175], -v[144:145]
	v_mul_f64 v[164:165], v[164:165], v[146:147]
	v_fmac_f64_e32 v[164:165], v[166:167], v[174:175]
	s_waitcnt vmcnt(33)
	v_add_f64 v[136:137], v[136:137], -v[144:145]
	v_add_f64 v[138:139], v[138:139], -v[164:165]
	ds_read2_b64 v[164:167], v176 offset0:18 offset1:19
	s_waitcnt lgkmcnt(1)
	v_mul_f64 v[144:145], v[182:183], v[146:147]
	v_fma_f64 v[144:145], v[180:181], v[174:175], -v[144:145]
	v_mul_f64 v[180:181], v[180:181], v[146:147]
	v_fmac_f64_e32 v[180:181], v[182:183], v[174:175]
	s_waitcnt vmcnt(32)
	v_add_f64 v[134:135], v[134:135], -v[180:181]
	ds_read2_b64 v[180:183], v176 offset0:20 offset1:21
	v_add_f64 v[132:133], v[132:133], -v[144:145]
	s_waitcnt lgkmcnt(1)
	v_mul_f64 v[144:145], v[166:167], v[146:147]
	v_fma_f64 v[144:145], v[164:165], v[174:175], -v[144:145]
	v_mul_f64 v[164:165], v[164:165], v[146:147]
	v_fmac_f64_e32 v[164:165], v[166:167], v[174:175]
	s_waitcnt vmcnt(31)
	v_add_f64 v[128:129], v[128:129], -v[144:145]
	v_add_f64 v[130:131], v[130:131], -v[164:165]
	;; [unrolled: 18-line block ×17, first 2 shown]
	s_waitcnt lgkmcnt(0)
	v_mul_f64 v[144:145], v[182:183], v[146:147]
	v_mul_f64 v[164:165], v[180:181], v[146:147]
	v_fma_f64 v[144:145], v[180:181], v[174:175], -v[144:145]
	v_fmac_f64_e32 v[164:165], v[182:183], v[174:175]
	s_waitcnt vmcnt(0)
	v_add_f64 v[160:161], v[160:161], -v[144:145]
	v_add_f64 v[162:163], v[162:163], -v[164:165]
	v_mov_b64_e32 v[144:145], v[174:175]
.LBB80_125:
	s_or_b64 exec, exec, s[0:1]
	v_lshl_add_u32 v164, v177, 4, v176
	s_barrier
	s_waitcnt vmcnt(34)
	ds_write2_b64 v164, v[140:141], v[142:143] offset1:1
	s_waitcnt lgkmcnt(0)
	s_barrier
	ds_read2_b64 v[164:167], v176 offset0:12 offset1:13
	s_cmp_lt_i32 s20, 8
	v_mov_b32_e32 v174, 6
	s_cbranch_scc1 .LBB80_128
; %bb.126:
	v_add_u32_e32 v175, 0x70, v176
	s_mov_b32 s16, 7
	v_mov_b32_e32 v174, 6
.LBB80_127:                             ; =>This Inner Loop Header: Depth=1
	ds_read2_b64 v[180:183], v175 offset1:1
	s_waitcnt lgkmcnt(1)
	v_xor_b32_e32 v185, 0x80000000, v165
	v_xor_b32_e32 v187, 0x80000000, v167
	v_cmp_gt_f64_e32 vcc, 0, v[166:167]
	v_cmp_gt_f64_e64 s[0:1], 0, v[164:165]
	v_mov_b32_e32 v184, v164
	v_mov_b32_e32 v186, v166
	v_cndmask_b32_e64 v185, v165, v185, s[0:1]
	v_cndmask_b32_e32 v187, v167, v187, vcc
	v_add_f64 v[184:185], v[184:185], v[186:187]
	s_waitcnt lgkmcnt(0)
	v_xor_b32_e32 v187, 0x80000000, v181
	v_xor_b32_e32 v189, 0x80000000, v183
	v_cmp_gt_f64_e32 vcc, 0, v[182:183]
	v_cmp_gt_f64_e64 s[0:1], 0, v[180:181]
	v_mov_b32_e32 v186, v180
	v_mov_b32_e32 v188, v182
	v_cndmask_b32_e64 v187, v181, v187, s[0:1]
	v_cndmask_b32_e32 v189, v183, v189, vcc
	v_add_f64 v[186:187], v[186:187], v[188:189]
	v_mov_b32_e32 v190, s16
	s_add_i32 s16, s16, 1
	v_cmp_lt_f64_e32 vcc, v[184:185], v[186:187]
	v_add_u32_e32 v175, 16, v175
	s_cmp_lg_u32 s20, s16
	v_cndmask_b32_e32 v165, v165, v181, vcc
	v_cndmask_b32_e32 v164, v164, v180, vcc
	;; [unrolled: 1-line block ×5, first 2 shown]
	s_cbranch_scc1 .LBB80_127
.LBB80_128:
	s_waitcnt lgkmcnt(0)
	v_cmp_eq_f64_e32 vcc, 0, v[164:165]
	v_cmp_eq_f64_e64 s[0:1], 0, v[166:167]
	s_and_b64 s[0:1], vcc, s[0:1]
	s_and_saveexec_b64 s[16:17], s[0:1]
	s_xor_b64 s[0:1], exec, s[16:17]
; %bb.129:
	v_cmp_ne_u32_e32 vcc, 0, v178
	s_nop 1
	v_cndmask_b32_e32 v178, 7, v178, vcc
; %bb.130:
	s_andn2_saveexec_b64 s[0:1], s[0:1]
	s_cbranch_execz .LBB80_136
; %bb.131:
	v_cmp_ngt_f64_e64 s[16:17], |v[164:165]|, |v[166:167]|
	s_and_saveexec_b64 s[18:19], s[16:17]
	s_xor_b64 s[16:17], exec, s[18:19]
	s_cbranch_execz .LBB80_133
; %bb.132:
	v_div_scale_f64 v[180:181], s[18:19], v[166:167], v[166:167], v[164:165]
	v_rcp_f64_e32 v[182:183], v[180:181]
	v_div_scale_f64 v[184:185], vcc, v[164:165], v[166:167], v[164:165]
	v_fma_f64 v[186:187], -v[180:181], v[182:183], 1.0
	v_fmac_f64_e32 v[182:183], v[182:183], v[186:187]
	v_fma_f64 v[186:187], -v[180:181], v[182:183], 1.0
	v_fmac_f64_e32 v[182:183], v[182:183], v[186:187]
	v_mul_f64 v[186:187], v[184:185], v[182:183]
	v_fma_f64 v[180:181], -v[180:181], v[186:187], v[184:185]
	v_div_fmas_f64 v[180:181], v[180:181], v[182:183], v[186:187]
	v_div_fixup_f64 v[180:181], v[180:181], v[166:167], v[164:165]
	v_fmac_f64_e32 v[166:167], v[164:165], v[180:181]
	v_div_scale_f64 v[164:165], s[18:19], v[166:167], v[166:167], 1.0
	v_rcp_f64_e32 v[182:183], v[164:165]
	s_nop 0
	v_fma_f64 v[184:185], -v[164:165], v[182:183], 1.0
	v_fmac_f64_e32 v[182:183], v[182:183], v[184:185]
	v_fma_f64 v[184:185], -v[164:165], v[182:183], 1.0
	v_fmac_f64_e32 v[182:183], v[182:183], v[184:185]
	v_div_scale_f64 v[184:185], vcc, 1.0, v[166:167], 1.0
	v_mul_f64 v[186:187], v[184:185], v[182:183]
	v_fma_f64 v[164:165], -v[164:165], v[186:187], v[184:185]
	s_nop 1
	v_div_fmas_f64 v[164:165], v[164:165], v[182:183], v[186:187]
	v_div_fixup_f64 v[166:167], v[164:165], v[166:167], 1.0
	v_mul_f64 v[164:165], v[180:181], v[166:167]
	v_xor_b32_e32 v167, 0x80000000, v167
.LBB80_133:
	s_andn2_saveexec_b64 s[16:17], s[16:17]
	s_cbranch_execz .LBB80_135
; %bb.134:
	v_div_scale_f64 v[180:181], s[18:19], v[164:165], v[164:165], v[166:167]
	v_rcp_f64_e32 v[182:183], v[180:181]
	v_div_scale_f64 v[184:185], vcc, v[166:167], v[164:165], v[166:167]
	v_fma_f64 v[186:187], -v[180:181], v[182:183], 1.0
	v_fmac_f64_e32 v[182:183], v[182:183], v[186:187]
	v_fma_f64 v[186:187], -v[180:181], v[182:183], 1.0
	v_fmac_f64_e32 v[182:183], v[182:183], v[186:187]
	v_mul_f64 v[186:187], v[184:185], v[182:183]
	v_fma_f64 v[180:181], -v[180:181], v[186:187], v[184:185]
	v_div_fmas_f64 v[180:181], v[180:181], v[182:183], v[186:187]
	v_div_fixup_f64 v[180:181], v[180:181], v[164:165], v[166:167]
	v_fmac_f64_e32 v[164:165], v[166:167], v[180:181]
	v_div_scale_f64 v[166:167], s[18:19], v[164:165], v[164:165], 1.0
	v_rcp_f64_e32 v[182:183], v[166:167]
	s_nop 0
	v_fma_f64 v[184:185], -v[166:167], v[182:183], 1.0
	v_fmac_f64_e32 v[182:183], v[182:183], v[184:185]
	v_fma_f64 v[184:185], -v[166:167], v[182:183], 1.0
	v_fmac_f64_e32 v[182:183], v[182:183], v[184:185]
	v_div_scale_f64 v[184:185], vcc, 1.0, v[164:165], 1.0
	v_mul_f64 v[186:187], v[184:185], v[182:183]
	v_fma_f64 v[166:167], -v[166:167], v[186:187], v[184:185]
	s_nop 1
	v_div_fmas_f64 v[166:167], v[166:167], v[182:183], v[186:187]
	v_div_fixup_f64 v[164:165], v[166:167], v[164:165], 1.0
	v_mul_f64 v[166:167], v[180:181], -v[164:165]
.LBB80_135:
	s_or_b64 exec, exec, s[16:17]
.LBB80_136:
	s_or_b64 exec, exec, s[0:1]
	v_cmp_ne_u32_e32 vcc, v177, v174
	s_and_saveexec_b64 s[0:1], vcc
	s_xor_b64 s[0:1], exec, s[0:1]
	s_cbranch_execz .LBB80_142
; %bb.137:
	v_cmp_eq_u32_e32 vcc, 6, v177
	s_and_saveexec_b64 s[16:17], vcc
	s_cbranch_execz .LBB80_141
; %bb.138:
	v_cmp_ne_u32_e32 vcc, 6, v174
	s_xor_b64 s[18:19], s[14:15], -1
	s_and_b64 s[22:23], s[18:19], vcc
	s_and_saveexec_b64 s[18:19], s[22:23]
	s_cbranch_execz .LBB80_140
; %bb.139:
	v_ashrrev_i32_e32 v175, 31, v174
	v_lshl_add_u64 v[180:181], v[174:175], 2, v[172:173]
	global_load_dword v175, v[180:181], off
	global_load_dword v177, v[172:173], off offset:24
	s_waitcnt vmcnt(1)
	global_store_dword v[172:173], v175, off offset:24
	s_waitcnt vmcnt(1)
	global_store_dword v[180:181], v177, off
.LBB80_140:
	s_or_b64 exec, exec, s[18:19]
	v_mov_b32_e32 v177, v174
	v_mov_b32_e32 v179, v174
.LBB80_141:
	s_or_b64 exec, exec, s[16:17]
.LBB80_142:
	s_andn2_saveexec_b64 s[0:1], s[0:1]
	s_cbranch_execz .LBB80_144
; %bb.143:
	v_mov_b32_e32 v177, 6
	s_waitcnt vmcnt(33)
	ds_write2_b64 v176, v[136:137], v[138:139] offset0:14 offset1:15
	s_waitcnt vmcnt(32)
	ds_write2_b64 v176, v[132:133], v[134:135] offset0:16 offset1:17
	;; [unrolled: 2-line block ×34, first 2 shown]
.LBB80_144:
	s_or_b64 exec, exec, s[0:1]
	v_cmp_lt_i32_e32 vcc, 6, v177
	s_waitcnt lgkmcnt(0)
	s_barrier
	s_and_saveexec_b64 s[0:1], vcc
	s_cbranch_execz .LBB80_146
; %bb.145:
	ds_read2_b64 v[180:183], v176 offset0:14 offset1:15
	v_mul_f64 v[174:175], v[166:167], v[142:143]
	v_mul_f64 v[142:143], v[164:165], v[142:143]
	v_fma_f64 v[174:175], v[164:165], v[140:141], -v[174:175]
	v_fmac_f64_e32 v[142:143], v[166:167], v[140:141]
	ds_read2_b64 v[164:167], v176 offset0:16 offset1:17
	s_waitcnt lgkmcnt(1)
	v_mul_f64 v[140:141], v[182:183], v[142:143]
	v_fma_f64 v[140:141], v[180:181], v[174:175], -v[140:141]
	v_mul_f64 v[180:181], v[180:181], v[142:143]
	v_fmac_f64_e32 v[180:181], v[182:183], v[174:175]
	s_waitcnt vmcnt(33)
	v_add_f64 v[136:137], v[136:137], -v[140:141]
	s_waitcnt lgkmcnt(0)
	v_mul_f64 v[140:141], v[166:167], v[142:143]
	v_add_f64 v[138:139], v[138:139], -v[180:181]
	v_fma_f64 v[140:141], v[164:165], v[174:175], -v[140:141]
	v_mul_f64 v[164:165], v[164:165], v[142:143]
	ds_read2_b64 v[180:183], v176 offset0:18 offset1:19
	v_fmac_f64_e32 v[164:165], v[166:167], v[174:175]
	s_waitcnt vmcnt(32)
	v_add_f64 v[134:135], v[134:135], -v[164:165]
	ds_read2_b64 v[164:167], v176 offset0:20 offset1:21
	v_add_f64 v[132:133], v[132:133], -v[140:141]
	s_waitcnt lgkmcnt(1)
	v_mul_f64 v[140:141], v[182:183], v[142:143]
	v_fma_f64 v[140:141], v[180:181], v[174:175], -v[140:141]
	v_mul_f64 v[180:181], v[180:181], v[142:143]
	v_fmac_f64_e32 v[180:181], v[182:183], v[174:175]
	s_waitcnt vmcnt(31)
	v_add_f64 v[128:129], v[128:129], -v[140:141]
	s_waitcnt lgkmcnt(0)
	v_mul_f64 v[140:141], v[166:167], v[142:143]
	v_add_f64 v[130:131], v[130:131], -v[180:181]
	v_fma_f64 v[140:141], v[164:165], v[174:175], -v[140:141]
	v_mul_f64 v[164:165], v[164:165], v[142:143]
	ds_read2_b64 v[180:183], v176 offset0:22 offset1:23
	v_fmac_f64_e32 v[164:165], v[166:167], v[174:175]
	s_waitcnt vmcnt(30)
	v_add_f64 v[126:127], v[126:127], -v[164:165]
	ds_read2_b64 v[164:167], v176 offset0:24 offset1:25
	v_add_f64 v[124:125], v[124:125], -v[140:141]
	;; [unrolled: 18-line block ×16, first 2 shown]
	s_waitcnt lgkmcnt(1)
	v_mul_f64 v[140:141], v[182:183], v[142:143]
	v_fma_f64 v[140:141], v[180:181], v[174:175], -v[140:141]
	s_waitcnt vmcnt(1)
	v_add_f64 v[0:1], v[0:1], -v[140:141]
	s_waitcnt lgkmcnt(0)
	v_mul_f64 v[140:141], v[166:167], v[142:143]
	v_mul_f64 v[180:181], v[180:181], v[142:143]
	v_fma_f64 v[140:141], v[164:165], v[174:175], -v[140:141]
	v_mul_f64 v[164:165], v[164:165], v[142:143]
	v_fmac_f64_e32 v[180:181], v[182:183], v[174:175]
	v_fmac_f64_e32 v[164:165], v[166:167], v[174:175]
	v_add_f64 v[2:3], v[2:3], -v[180:181]
	s_waitcnt vmcnt(0)
	v_add_f64 v[160:161], v[160:161], -v[140:141]
	v_add_f64 v[162:163], v[162:163], -v[164:165]
	v_mov_b64_e32 v[140:141], v[174:175]
.LBB80_146:
	s_or_b64 exec, exec, s[0:1]
	v_lshl_add_u32 v164, v177, 4, v176
	s_barrier
	s_waitcnt vmcnt(33)
	ds_write2_b64 v164, v[136:137], v[138:139] offset1:1
	s_waitcnt lgkmcnt(0)
	s_barrier
	ds_read2_b64 v[164:167], v176 offset0:14 offset1:15
	s_cmp_lt_i32 s20, 9
	v_mov_b32_e32 v174, 7
	s_cbranch_scc1 .LBB80_149
; %bb.147:
	v_add_u32_e32 v175, 0x80, v176
	s_mov_b32 s16, 8
	v_mov_b32_e32 v174, 7
.LBB80_148:                             ; =>This Inner Loop Header: Depth=1
	ds_read2_b64 v[180:183], v175 offset1:1
	s_waitcnt lgkmcnt(1)
	v_xor_b32_e32 v185, 0x80000000, v165
	v_xor_b32_e32 v187, 0x80000000, v167
	v_cmp_gt_f64_e32 vcc, 0, v[166:167]
	v_cmp_gt_f64_e64 s[0:1], 0, v[164:165]
	v_mov_b32_e32 v184, v164
	v_mov_b32_e32 v186, v166
	v_cndmask_b32_e64 v185, v165, v185, s[0:1]
	v_cndmask_b32_e32 v187, v167, v187, vcc
	v_add_f64 v[184:185], v[184:185], v[186:187]
	s_waitcnt lgkmcnt(0)
	v_xor_b32_e32 v187, 0x80000000, v181
	v_xor_b32_e32 v189, 0x80000000, v183
	v_cmp_gt_f64_e32 vcc, 0, v[182:183]
	v_cmp_gt_f64_e64 s[0:1], 0, v[180:181]
	v_mov_b32_e32 v186, v180
	v_mov_b32_e32 v188, v182
	v_cndmask_b32_e64 v187, v181, v187, s[0:1]
	v_cndmask_b32_e32 v189, v183, v189, vcc
	v_add_f64 v[186:187], v[186:187], v[188:189]
	v_mov_b32_e32 v190, s16
	s_add_i32 s16, s16, 1
	v_cmp_lt_f64_e32 vcc, v[184:185], v[186:187]
	v_add_u32_e32 v175, 16, v175
	s_cmp_lg_u32 s20, s16
	v_cndmask_b32_e32 v165, v165, v181, vcc
	v_cndmask_b32_e32 v164, v164, v180, vcc
	;; [unrolled: 1-line block ×5, first 2 shown]
	s_cbranch_scc1 .LBB80_148
.LBB80_149:
	s_waitcnt lgkmcnt(0)
	v_cmp_eq_f64_e32 vcc, 0, v[164:165]
	v_cmp_eq_f64_e64 s[0:1], 0, v[166:167]
	s_and_b64 s[0:1], vcc, s[0:1]
	s_and_saveexec_b64 s[16:17], s[0:1]
	s_xor_b64 s[0:1], exec, s[16:17]
; %bb.150:
	v_cmp_ne_u32_e32 vcc, 0, v178
	s_nop 1
	v_cndmask_b32_e32 v178, 8, v178, vcc
; %bb.151:
	s_andn2_saveexec_b64 s[0:1], s[0:1]
	s_cbranch_execz .LBB80_157
; %bb.152:
	v_cmp_ngt_f64_e64 s[16:17], |v[164:165]|, |v[166:167]|
	s_and_saveexec_b64 s[18:19], s[16:17]
	s_xor_b64 s[16:17], exec, s[18:19]
	s_cbranch_execz .LBB80_154
; %bb.153:
	v_div_scale_f64 v[180:181], s[18:19], v[166:167], v[166:167], v[164:165]
	v_rcp_f64_e32 v[182:183], v[180:181]
	v_div_scale_f64 v[184:185], vcc, v[164:165], v[166:167], v[164:165]
	v_fma_f64 v[186:187], -v[180:181], v[182:183], 1.0
	v_fmac_f64_e32 v[182:183], v[182:183], v[186:187]
	v_fma_f64 v[186:187], -v[180:181], v[182:183], 1.0
	v_fmac_f64_e32 v[182:183], v[182:183], v[186:187]
	v_mul_f64 v[186:187], v[184:185], v[182:183]
	v_fma_f64 v[180:181], -v[180:181], v[186:187], v[184:185]
	v_div_fmas_f64 v[180:181], v[180:181], v[182:183], v[186:187]
	v_div_fixup_f64 v[180:181], v[180:181], v[166:167], v[164:165]
	v_fmac_f64_e32 v[166:167], v[164:165], v[180:181]
	v_div_scale_f64 v[164:165], s[18:19], v[166:167], v[166:167], 1.0
	v_rcp_f64_e32 v[182:183], v[164:165]
	s_nop 0
	v_fma_f64 v[184:185], -v[164:165], v[182:183], 1.0
	v_fmac_f64_e32 v[182:183], v[182:183], v[184:185]
	v_fma_f64 v[184:185], -v[164:165], v[182:183], 1.0
	v_fmac_f64_e32 v[182:183], v[182:183], v[184:185]
	v_div_scale_f64 v[184:185], vcc, 1.0, v[166:167], 1.0
	v_mul_f64 v[186:187], v[184:185], v[182:183]
	v_fma_f64 v[164:165], -v[164:165], v[186:187], v[184:185]
	s_nop 1
	v_div_fmas_f64 v[164:165], v[164:165], v[182:183], v[186:187]
	v_div_fixup_f64 v[166:167], v[164:165], v[166:167], 1.0
	v_mul_f64 v[164:165], v[180:181], v[166:167]
	v_xor_b32_e32 v167, 0x80000000, v167
.LBB80_154:
	s_andn2_saveexec_b64 s[16:17], s[16:17]
	s_cbranch_execz .LBB80_156
; %bb.155:
	v_div_scale_f64 v[180:181], s[18:19], v[164:165], v[164:165], v[166:167]
	v_rcp_f64_e32 v[182:183], v[180:181]
	v_div_scale_f64 v[184:185], vcc, v[166:167], v[164:165], v[166:167]
	v_fma_f64 v[186:187], -v[180:181], v[182:183], 1.0
	v_fmac_f64_e32 v[182:183], v[182:183], v[186:187]
	v_fma_f64 v[186:187], -v[180:181], v[182:183], 1.0
	v_fmac_f64_e32 v[182:183], v[182:183], v[186:187]
	v_mul_f64 v[186:187], v[184:185], v[182:183]
	v_fma_f64 v[180:181], -v[180:181], v[186:187], v[184:185]
	v_div_fmas_f64 v[180:181], v[180:181], v[182:183], v[186:187]
	v_div_fixup_f64 v[180:181], v[180:181], v[164:165], v[166:167]
	v_fmac_f64_e32 v[164:165], v[166:167], v[180:181]
	v_div_scale_f64 v[166:167], s[18:19], v[164:165], v[164:165], 1.0
	v_rcp_f64_e32 v[182:183], v[166:167]
	s_nop 0
	v_fma_f64 v[184:185], -v[166:167], v[182:183], 1.0
	v_fmac_f64_e32 v[182:183], v[182:183], v[184:185]
	v_fma_f64 v[184:185], -v[166:167], v[182:183], 1.0
	v_fmac_f64_e32 v[182:183], v[182:183], v[184:185]
	v_div_scale_f64 v[184:185], vcc, 1.0, v[164:165], 1.0
	v_mul_f64 v[186:187], v[184:185], v[182:183]
	v_fma_f64 v[166:167], -v[166:167], v[186:187], v[184:185]
	s_nop 1
	v_div_fmas_f64 v[166:167], v[166:167], v[182:183], v[186:187]
	v_div_fixup_f64 v[164:165], v[166:167], v[164:165], 1.0
	v_mul_f64 v[166:167], v[180:181], -v[164:165]
.LBB80_156:
	s_or_b64 exec, exec, s[16:17]
.LBB80_157:
	s_or_b64 exec, exec, s[0:1]
	v_cmp_ne_u32_e32 vcc, v177, v174
	s_and_saveexec_b64 s[0:1], vcc
	s_xor_b64 s[0:1], exec, s[0:1]
	s_cbranch_execz .LBB80_163
; %bb.158:
	v_cmp_eq_u32_e32 vcc, 7, v177
	s_and_saveexec_b64 s[16:17], vcc
	s_cbranch_execz .LBB80_162
; %bb.159:
	v_cmp_ne_u32_e32 vcc, 7, v174
	s_xor_b64 s[18:19], s[14:15], -1
	s_and_b64 s[22:23], s[18:19], vcc
	s_and_saveexec_b64 s[18:19], s[22:23]
	s_cbranch_execz .LBB80_161
; %bb.160:
	v_ashrrev_i32_e32 v175, 31, v174
	v_lshl_add_u64 v[180:181], v[174:175], 2, v[172:173]
	global_load_dword v175, v[180:181], off
	global_load_dword v177, v[172:173], off offset:28
	s_waitcnt vmcnt(1)
	global_store_dword v[172:173], v175, off offset:28
	s_waitcnt vmcnt(1)
	global_store_dword v[180:181], v177, off
.LBB80_161:
	s_or_b64 exec, exec, s[18:19]
	v_mov_b32_e32 v177, v174
	v_mov_b32_e32 v179, v174
.LBB80_162:
	s_or_b64 exec, exec, s[16:17]
.LBB80_163:
	s_andn2_saveexec_b64 s[0:1], s[0:1]
	s_cbranch_execz .LBB80_165
; %bb.164:
	v_mov_b32_e32 v177, 7
	s_waitcnt vmcnt(32)
	ds_write2_b64 v176, v[132:133], v[134:135] offset0:16 offset1:17
	s_waitcnt vmcnt(31)
	ds_write2_b64 v176, v[128:129], v[130:131] offset0:18 offset1:19
	;; [unrolled: 2-line block ×33, first 2 shown]
.LBB80_165:
	s_or_b64 exec, exec, s[0:1]
	v_cmp_lt_i32_e32 vcc, 7, v177
	s_waitcnt lgkmcnt(0)
	s_barrier
	s_and_saveexec_b64 s[0:1], vcc
	s_cbranch_execz .LBB80_167
; %bb.166:
	ds_read2_b64 v[180:183], v176 offset0:16 offset1:17
	v_mul_f64 v[174:175], v[166:167], v[138:139]
	v_mul_f64 v[138:139], v[164:165], v[138:139]
	v_fmac_f64_e32 v[138:139], v[166:167], v[136:137]
	v_fma_f64 v[174:175], v[164:165], v[136:137], -v[174:175]
	ds_read2_b64 v[164:167], v176 offset0:18 offset1:19
	s_waitcnt lgkmcnt(1)
	v_mul_f64 v[136:137], v[182:183], v[138:139]
	v_fma_f64 v[136:137], v[180:181], v[174:175], -v[136:137]
	v_mul_f64 v[180:181], v[180:181], v[138:139]
	v_fmac_f64_e32 v[180:181], v[182:183], v[174:175]
	s_waitcnt vmcnt(32)
	v_add_f64 v[134:135], v[134:135], -v[180:181]
	ds_read2_b64 v[180:183], v176 offset0:20 offset1:21
	v_add_f64 v[132:133], v[132:133], -v[136:137]
	s_waitcnt lgkmcnt(1)
	v_mul_f64 v[136:137], v[166:167], v[138:139]
	v_fma_f64 v[136:137], v[164:165], v[174:175], -v[136:137]
	v_mul_f64 v[164:165], v[164:165], v[138:139]
	v_fmac_f64_e32 v[164:165], v[166:167], v[174:175]
	s_waitcnt vmcnt(31)
	v_add_f64 v[128:129], v[128:129], -v[136:137]
	v_add_f64 v[130:131], v[130:131], -v[164:165]
	ds_read2_b64 v[164:167], v176 offset0:22 offset1:23
	s_waitcnt lgkmcnt(1)
	v_mul_f64 v[136:137], v[182:183], v[138:139]
	v_fma_f64 v[136:137], v[180:181], v[174:175], -v[136:137]
	v_mul_f64 v[180:181], v[180:181], v[138:139]
	v_fmac_f64_e32 v[180:181], v[182:183], v[174:175]
	s_waitcnt vmcnt(30)
	v_add_f64 v[126:127], v[126:127], -v[180:181]
	ds_read2_b64 v[180:183], v176 offset0:24 offset1:25
	v_add_f64 v[124:125], v[124:125], -v[136:137]
	s_waitcnt lgkmcnt(1)
	v_mul_f64 v[136:137], v[166:167], v[138:139]
	v_fma_f64 v[136:137], v[164:165], v[174:175], -v[136:137]
	v_mul_f64 v[164:165], v[164:165], v[138:139]
	v_fmac_f64_e32 v[164:165], v[166:167], v[174:175]
	s_waitcnt vmcnt(29)
	v_add_f64 v[120:121], v[120:121], -v[136:137]
	v_add_f64 v[122:123], v[122:123], -v[164:165]
	;; [unrolled: 18-line block ×16, first 2 shown]
	s_waitcnt lgkmcnt(0)
	v_mul_f64 v[136:137], v[182:183], v[138:139]
	v_mul_f64 v[164:165], v[180:181], v[138:139]
	v_fma_f64 v[136:137], v[180:181], v[174:175], -v[136:137]
	v_fmac_f64_e32 v[164:165], v[182:183], v[174:175]
	s_waitcnt vmcnt(0)
	v_add_f64 v[160:161], v[160:161], -v[136:137]
	v_add_f64 v[162:163], v[162:163], -v[164:165]
	v_mov_b64_e32 v[136:137], v[174:175]
.LBB80_167:
	s_or_b64 exec, exec, s[0:1]
	v_lshl_add_u32 v164, v177, 4, v176
	s_barrier
	s_waitcnt vmcnt(32)
	ds_write2_b64 v164, v[132:133], v[134:135] offset1:1
	s_waitcnt lgkmcnt(0)
	s_barrier
	ds_read2_b64 v[164:167], v176 offset0:16 offset1:17
	s_cmp_lt_i32 s20, 10
	v_mov_b32_e32 v174, 8
	s_cbranch_scc1 .LBB80_170
; %bb.168:
	v_add_u32_e32 v175, 0x90, v176
	s_mov_b32 s16, 9
	v_mov_b32_e32 v174, 8
.LBB80_169:                             ; =>This Inner Loop Header: Depth=1
	ds_read2_b64 v[180:183], v175 offset1:1
	s_waitcnt lgkmcnt(1)
	v_xor_b32_e32 v185, 0x80000000, v165
	v_xor_b32_e32 v187, 0x80000000, v167
	v_cmp_gt_f64_e32 vcc, 0, v[166:167]
	v_cmp_gt_f64_e64 s[0:1], 0, v[164:165]
	v_mov_b32_e32 v184, v164
	v_mov_b32_e32 v186, v166
	v_cndmask_b32_e64 v185, v165, v185, s[0:1]
	v_cndmask_b32_e32 v187, v167, v187, vcc
	v_add_f64 v[184:185], v[184:185], v[186:187]
	s_waitcnt lgkmcnt(0)
	v_xor_b32_e32 v187, 0x80000000, v181
	v_xor_b32_e32 v189, 0x80000000, v183
	v_cmp_gt_f64_e32 vcc, 0, v[182:183]
	v_cmp_gt_f64_e64 s[0:1], 0, v[180:181]
	v_mov_b32_e32 v186, v180
	v_mov_b32_e32 v188, v182
	v_cndmask_b32_e64 v187, v181, v187, s[0:1]
	v_cndmask_b32_e32 v189, v183, v189, vcc
	v_add_f64 v[186:187], v[186:187], v[188:189]
	v_mov_b32_e32 v190, s16
	s_add_i32 s16, s16, 1
	v_cmp_lt_f64_e32 vcc, v[184:185], v[186:187]
	v_add_u32_e32 v175, 16, v175
	s_cmp_lg_u32 s20, s16
	v_cndmask_b32_e32 v165, v165, v181, vcc
	v_cndmask_b32_e32 v164, v164, v180, vcc
	v_cndmask_b32_e32 v167, v167, v183, vcc
	v_cndmask_b32_e32 v166, v166, v182, vcc
	v_cndmask_b32_e32 v174, v174, v190, vcc
	s_cbranch_scc1 .LBB80_169
.LBB80_170:
	s_waitcnt lgkmcnt(0)
	v_cmp_eq_f64_e32 vcc, 0, v[164:165]
	v_cmp_eq_f64_e64 s[0:1], 0, v[166:167]
	s_and_b64 s[0:1], vcc, s[0:1]
	s_and_saveexec_b64 s[16:17], s[0:1]
	s_xor_b64 s[0:1], exec, s[16:17]
; %bb.171:
	v_cmp_ne_u32_e32 vcc, 0, v178
	s_nop 1
	v_cndmask_b32_e32 v178, 9, v178, vcc
; %bb.172:
	s_andn2_saveexec_b64 s[0:1], s[0:1]
	s_cbranch_execz .LBB80_178
; %bb.173:
	v_cmp_ngt_f64_e64 s[16:17], |v[164:165]|, |v[166:167]|
	s_and_saveexec_b64 s[18:19], s[16:17]
	s_xor_b64 s[16:17], exec, s[18:19]
	s_cbranch_execz .LBB80_175
; %bb.174:
	v_div_scale_f64 v[180:181], s[18:19], v[166:167], v[166:167], v[164:165]
	v_rcp_f64_e32 v[182:183], v[180:181]
	v_div_scale_f64 v[184:185], vcc, v[164:165], v[166:167], v[164:165]
	v_fma_f64 v[186:187], -v[180:181], v[182:183], 1.0
	v_fmac_f64_e32 v[182:183], v[182:183], v[186:187]
	v_fma_f64 v[186:187], -v[180:181], v[182:183], 1.0
	v_fmac_f64_e32 v[182:183], v[182:183], v[186:187]
	v_mul_f64 v[186:187], v[184:185], v[182:183]
	v_fma_f64 v[180:181], -v[180:181], v[186:187], v[184:185]
	v_div_fmas_f64 v[180:181], v[180:181], v[182:183], v[186:187]
	v_div_fixup_f64 v[180:181], v[180:181], v[166:167], v[164:165]
	v_fmac_f64_e32 v[166:167], v[164:165], v[180:181]
	v_div_scale_f64 v[164:165], s[18:19], v[166:167], v[166:167], 1.0
	v_rcp_f64_e32 v[182:183], v[164:165]
	s_nop 0
	v_fma_f64 v[184:185], -v[164:165], v[182:183], 1.0
	v_fmac_f64_e32 v[182:183], v[182:183], v[184:185]
	v_fma_f64 v[184:185], -v[164:165], v[182:183], 1.0
	v_fmac_f64_e32 v[182:183], v[182:183], v[184:185]
	v_div_scale_f64 v[184:185], vcc, 1.0, v[166:167], 1.0
	v_mul_f64 v[186:187], v[184:185], v[182:183]
	v_fma_f64 v[164:165], -v[164:165], v[186:187], v[184:185]
	s_nop 1
	v_div_fmas_f64 v[164:165], v[164:165], v[182:183], v[186:187]
	v_div_fixup_f64 v[166:167], v[164:165], v[166:167], 1.0
	v_mul_f64 v[164:165], v[180:181], v[166:167]
	v_xor_b32_e32 v167, 0x80000000, v167
.LBB80_175:
	s_andn2_saveexec_b64 s[16:17], s[16:17]
	s_cbranch_execz .LBB80_177
; %bb.176:
	v_div_scale_f64 v[180:181], s[18:19], v[164:165], v[164:165], v[166:167]
	v_rcp_f64_e32 v[182:183], v[180:181]
	v_div_scale_f64 v[184:185], vcc, v[166:167], v[164:165], v[166:167]
	v_fma_f64 v[186:187], -v[180:181], v[182:183], 1.0
	v_fmac_f64_e32 v[182:183], v[182:183], v[186:187]
	v_fma_f64 v[186:187], -v[180:181], v[182:183], 1.0
	v_fmac_f64_e32 v[182:183], v[182:183], v[186:187]
	v_mul_f64 v[186:187], v[184:185], v[182:183]
	v_fma_f64 v[180:181], -v[180:181], v[186:187], v[184:185]
	v_div_fmas_f64 v[180:181], v[180:181], v[182:183], v[186:187]
	v_div_fixup_f64 v[180:181], v[180:181], v[164:165], v[166:167]
	v_fmac_f64_e32 v[164:165], v[166:167], v[180:181]
	v_div_scale_f64 v[166:167], s[18:19], v[164:165], v[164:165], 1.0
	v_rcp_f64_e32 v[182:183], v[166:167]
	s_nop 0
	v_fma_f64 v[184:185], -v[166:167], v[182:183], 1.0
	v_fmac_f64_e32 v[182:183], v[182:183], v[184:185]
	v_fma_f64 v[184:185], -v[166:167], v[182:183], 1.0
	v_fmac_f64_e32 v[182:183], v[182:183], v[184:185]
	v_div_scale_f64 v[184:185], vcc, 1.0, v[164:165], 1.0
	v_mul_f64 v[186:187], v[184:185], v[182:183]
	v_fma_f64 v[166:167], -v[166:167], v[186:187], v[184:185]
	s_nop 1
	v_div_fmas_f64 v[166:167], v[166:167], v[182:183], v[186:187]
	v_div_fixup_f64 v[164:165], v[166:167], v[164:165], 1.0
	v_mul_f64 v[166:167], v[180:181], -v[164:165]
.LBB80_177:
	s_or_b64 exec, exec, s[16:17]
.LBB80_178:
	s_or_b64 exec, exec, s[0:1]
	v_cmp_ne_u32_e32 vcc, v177, v174
	s_and_saveexec_b64 s[0:1], vcc
	s_xor_b64 s[0:1], exec, s[0:1]
	s_cbranch_execz .LBB80_184
; %bb.179:
	v_cmp_eq_u32_e32 vcc, 8, v177
	s_and_saveexec_b64 s[16:17], vcc
	s_cbranch_execz .LBB80_183
; %bb.180:
	v_cmp_ne_u32_e32 vcc, 8, v174
	s_xor_b64 s[18:19], s[14:15], -1
	s_and_b64 s[22:23], s[18:19], vcc
	s_and_saveexec_b64 s[18:19], s[22:23]
	s_cbranch_execz .LBB80_182
; %bb.181:
	v_ashrrev_i32_e32 v175, 31, v174
	v_lshl_add_u64 v[180:181], v[174:175], 2, v[172:173]
	global_load_dword v175, v[180:181], off
	global_load_dword v177, v[172:173], off offset:32
	s_waitcnt vmcnt(1)
	global_store_dword v[172:173], v175, off offset:32
	s_waitcnt vmcnt(1)
	global_store_dword v[180:181], v177, off
.LBB80_182:
	s_or_b64 exec, exec, s[18:19]
	v_mov_b32_e32 v177, v174
	v_mov_b32_e32 v179, v174
.LBB80_183:
	s_or_b64 exec, exec, s[16:17]
.LBB80_184:
	s_andn2_saveexec_b64 s[0:1], s[0:1]
	s_cbranch_execz .LBB80_186
; %bb.185:
	v_mov_b32_e32 v177, 8
	s_waitcnt vmcnt(31)
	ds_write2_b64 v176, v[128:129], v[130:131] offset0:18 offset1:19
	s_waitcnt vmcnt(30)
	ds_write2_b64 v176, v[124:125], v[126:127] offset0:20 offset1:21
	;; [unrolled: 2-line block ×32, first 2 shown]
.LBB80_186:
	s_or_b64 exec, exec, s[0:1]
	v_cmp_lt_i32_e32 vcc, 8, v177
	s_waitcnt lgkmcnt(0)
	s_barrier
	s_and_saveexec_b64 s[0:1], vcc
	s_cbranch_execz .LBB80_188
; %bb.187:
	ds_read2_b64 v[180:183], v176 offset0:18 offset1:19
	v_mul_f64 v[174:175], v[166:167], v[134:135]
	v_mul_f64 v[134:135], v[164:165], v[134:135]
	v_fma_f64 v[174:175], v[164:165], v[132:133], -v[174:175]
	v_fmac_f64_e32 v[134:135], v[166:167], v[132:133]
	ds_read2_b64 v[164:167], v176 offset0:20 offset1:21
	s_waitcnt lgkmcnt(1)
	v_mul_f64 v[132:133], v[182:183], v[134:135]
	v_fma_f64 v[132:133], v[180:181], v[174:175], -v[132:133]
	v_mul_f64 v[180:181], v[180:181], v[134:135]
	v_fmac_f64_e32 v[180:181], v[182:183], v[174:175]
	s_waitcnt vmcnt(31)
	v_add_f64 v[128:129], v[128:129], -v[132:133]
	s_waitcnt lgkmcnt(0)
	v_mul_f64 v[132:133], v[166:167], v[134:135]
	v_add_f64 v[130:131], v[130:131], -v[180:181]
	v_fma_f64 v[132:133], v[164:165], v[174:175], -v[132:133]
	v_mul_f64 v[164:165], v[164:165], v[134:135]
	ds_read2_b64 v[180:183], v176 offset0:22 offset1:23
	v_fmac_f64_e32 v[164:165], v[166:167], v[174:175]
	s_waitcnt vmcnt(30)
	v_add_f64 v[126:127], v[126:127], -v[164:165]
	ds_read2_b64 v[164:167], v176 offset0:24 offset1:25
	v_add_f64 v[124:125], v[124:125], -v[132:133]
	s_waitcnt lgkmcnt(1)
	v_mul_f64 v[132:133], v[182:183], v[134:135]
	v_fma_f64 v[132:133], v[180:181], v[174:175], -v[132:133]
	v_mul_f64 v[180:181], v[180:181], v[134:135]
	v_fmac_f64_e32 v[180:181], v[182:183], v[174:175]
	s_waitcnt vmcnt(29)
	v_add_f64 v[120:121], v[120:121], -v[132:133]
	s_waitcnt lgkmcnt(0)
	v_mul_f64 v[132:133], v[166:167], v[134:135]
	v_add_f64 v[122:123], v[122:123], -v[180:181]
	v_fma_f64 v[132:133], v[164:165], v[174:175], -v[132:133]
	v_mul_f64 v[164:165], v[164:165], v[134:135]
	ds_read2_b64 v[180:183], v176 offset0:26 offset1:27
	v_fmac_f64_e32 v[164:165], v[166:167], v[174:175]
	s_waitcnt vmcnt(28)
	v_add_f64 v[118:119], v[118:119], -v[164:165]
	ds_read2_b64 v[164:167], v176 offset0:28 offset1:29
	v_add_f64 v[116:117], v[116:117], -v[132:133]
	;; [unrolled: 18-line block ×15, first 2 shown]
	s_waitcnt lgkmcnt(1)
	v_mul_f64 v[132:133], v[182:183], v[134:135]
	v_fma_f64 v[132:133], v[180:181], v[174:175], -v[132:133]
	s_waitcnt vmcnt(1)
	v_add_f64 v[0:1], v[0:1], -v[132:133]
	s_waitcnt lgkmcnt(0)
	v_mul_f64 v[132:133], v[166:167], v[134:135]
	v_mul_f64 v[180:181], v[180:181], v[134:135]
	v_fma_f64 v[132:133], v[164:165], v[174:175], -v[132:133]
	v_mul_f64 v[164:165], v[164:165], v[134:135]
	v_fmac_f64_e32 v[180:181], v[182:183], v[174:175]
	v_fmac_f64_e32 v[164:165], v[166:167], v[174:175]
	v_add_f64 v[2:3], v[2:3], -v[180:181]
	s_waitcnt vmcnt(0)
	v_add_f64 v[160:161], v[160:161], -v[132:133]
	v_add_f64 v[162:163], v[162:163], -v[164:165]
	v_mov_b64_e32 v[132:133], v[174:175]
.LBB80_188:
	s_or_b64 exec, exec, s[0:1]
	v_lshl_add_u32 v164, v177, 4, v176
	s_barrier
	s_waitcnt vmcnt(31)
	ds_write2_b64 v164, v[128:129], v[130:131] offset1:1
	s_waitcnt lgkmcnt(0)
	s_barrier
	ds_read2_b64 v[164:167], v176 offset0:18 offset1:19
	s_cmp_lt_i32 s20, 11
	v_mov_b32_e32 v174, 9
	s_cbranch_scc1 .LBB80_191
; %bb.189:
	v_add_u32_e32 v175, 0xa0, v176
	s_mov_b32 s16, 10
	v_mov_b32_e32 v174, 9
.LBB80_190:                             ; =>This Inner Loop Header: Depth=1
	ds_read2_b64 v[180:183], v175 offset1:1
	s_waitcnt lgkmcnt(1)
	v_xor_b32_e32 v185, 0x80000000, v165
	v_xor_b32_e32 v187, 0x80000000, v167
	v_cmp_gt_f64_e32 vcc, 0, v[166:167]
	v_cmp_gt_f64_e64 s[0:1], 0, v[164:165]
	v_mov_b32_e32 v184, v164
	v_mov_b32_e32 v186, v166
	v_cndmask_b32_e64 v185, v165, v185, s[0:1]
	v_cndmask_b32_e32 v187, v167, v187, vcc
	v_add_f64 v[184:185], v[184:185], v[186:187]
	s_waitcnt lgkmcnt(0)
	v_xor_b32_e32 v187, 0x80000000, v181
	v_xor_b32_e32 v189, 0x80000000, v183
	v_cmp_gt_f64_e32 vcc, 0, v[182:183]
	v_cmp_gt_f64_e64 s[0:1], 0, v[180:181]
	v_mov_b32_e32 v186, v180
	v_mov_b32_e32 v188, v182
	v_cndmask_b32_e64 v187, v181, v187, s[0:1]
	v_cndmask_b32_e32 v189, v183, v189, vcc
	v_add_f64 v[186:187], v[186:187], v[188:189]
	v_mov_b32_e32 v190, s16
	s_add_i32 s16, s16, 1
	v_cmp_lt_f64_e32 vcc, v[184:185], v[186:187]
	v_add_u32_e32 v175, 16, v175
	s_cmp_lg_u32 s20, s16
	v_cndmask_b32_e32 v165, v165, v181, vcc
	v_cndmask_b32_e32 v164, v164, v180, vcc
	;; [unrolled: 1-line block ×5, first 2 shown]
	s_cbranch_scc1 .LBB80_190
.LBB80_191:
	s_waitcnt lgkmcnt(0)
	v_cmp_eq_f64_e32 vcc, 0, v[164:165]
	v_cmp_eq_f64_e64 s[0:1], 0, v[166:167]
	s_and_b64 s[0:1], vcc, s[0:1]
	s_and_saveexec_b64 s[16:17], s[0:1]
	s_xor_b64 s[0:1], exec, s[16:17]
; %bb.192:
	v_cmp_ne_u32_e32 vcc, 0, v178
	s_nop 1
	v_cndmask_b32_e32 v178, 10, v178, vcc
; %bb.193:
	s_andn2_saveexec_b64 s[0:1], s[0:1]
	s_cbranch_execz .LBB80_199
; %bb.194:
	v_cmp_ngt_f64_e64 s[16:17], |v[164:165]|, |v[166:167]|
	s_and_saveexec_b64 s[18:19], s[16:17]
	s_xor_b64 s[16:17], exec, s[18:19]
	s_cbranch_execz .LBB80_196
; %bb.195:
	v_div_scale_f64 v[180:181], s[18:19], v[166:167], v[166:167], v[164:165]
	v_rcp_f64_e32 v[182:183], v[180:181]
	v_div_scale_f64 v[184:185], vcc, v[164:165], v[166:167], v[164:165]
	v_fma_f64 v[186:187], -v[180:181], v[182:183], 1.0
	v_fmac_f64_e32 v[182:183], v[182:183], v[186:187]
	v_fma_f64 v[186:187], -v[180:181], v[182:183], 1.0
	v_fmac_f64_e32 v[182:183], v[182:183], v[186:187]
	v_mul_f64 v[186:187], v[184:185], v[182:183]
	v_fma_f64 v[180:181], -v[180:181], v[186:187], v[184:185]
	v_div_fmas_f64 v[180:181], v[180:181], v[182:183], v[186:187]
	v_div_fixup_f64 v[180:181], v[180:181], v[166:167], v[164:165]
	v_fmac_f64_e32 v[166:167], v[164:165], v[180:181]
	v_div_scale_f64 v[164:165], s[18:19], v[166:167], v[166:167], 1.0
	v_rcp_f64_e32 v[182:183], v[164:165]
	s_nop 0
	v_fma_f64 v[184:185], -v[164:165], v[182:183], 1.0
	v_fmac_f64_e32 v[182:183], v[182:183], v[184:185]
	v_fma_f64 v[184:185], -v[164:165], v[182:183], 1.0
	v_fmac_f64_e32 v[182:183], v[182:183], v[184:185]
	v_div_scale_f64 v[184:185], vcc, 1.0, v[166:167], 1.0
	v_mul_f64 v[186:187], v[184:185], v[182:183]
	v_fma_f64 v[164:165], -v[164:165], v[186:187], v[184:185]
	s_nop 1
	v_div_fmas_f64 v[164:165], v[164:165], v[182:183], v[186:187]
	v_div_fixup_f64 v[166:167], v[164:165], v[166:167], 1.0
	v_mul_f64 v[164:165], v[180:181], v[166:167]
	v_xor_b32_e32 v167, 0x80000000, v167
.LBB80_196:
	s_andn2_saveexec_b64 s[16:17], s[16:17]
	s_cbranch_execz .LBB80_198
; %bb.197:
	v_div_scale_f64 v[180:181], s[18:19], v[164:165], v[164:165], v[166:167]
	v_rcp_f64_e32 v[182:183], v[180:181]
	v_div_scale_f64 v[184:185], vcc, v[166:167], v[164:165], v[166:167]
	v_fma_f64 v[186:187], -v[180:181], v[182:183], 1.0
	v_fmac_f64_e32 v[182:183], v[182:183], v[186:187]
	v_fma_f64 v[186:187], -v[180:181], v[182:183], 1.0
	v_fmac_f64_e32 v[182:183], v[182:183], v[186:187]
	v_mul_f64 v[186:187], v[184:185], v[182:183]
	v_fma_f64 v[180:181], -v[180:181], v[186:187], v[184:185]
	v_div_fmas_f64 v[180:181], v[180:181], v[182:183], v[186:187]
	v_div_fixup_f64 v[180:181], v[180:181], v[164:165], v[166:167]
	v_fmac_f64_e32 v[164:165], v[166:167], v[180:181]
	v_div_scale_f64 v[166:167], s[18:19], v[164:165], v[164:165], 1.0
	v_rcp_f64_e32 v[182:183], v[166:167]
	s_nop 0
	v_fma_f64 v[184:185], -v[166:167], v[182:183], 1.0
	v_fmac_f64_e32 v[182:183], v[182:183], v[184:185]
	v_fma_f64 v[184:185], -v[166:167], v[182:183], 1.0
	v_fmac_f64_e32 v[182:183], v[182:183], v[184:185]
	v_div_scale_f64 v[184:185], vcc, 1.0, v[164:165], 1.0
	v_mul_f64 v[186:187], v[184:185], v[182:183]
	v_fma_f64 v[166:167], -v[166:167], v[186:187], v[184:185]
	s_nop 1
	v_div_fmas_f64 v[166:167], v[166:167], v[182:183], v[186:187]
	v_div_fixup_f64 v[164:165], v[166:167], v[164:165], 1.0
	v_mul_f64 v[166:167], v[180:181], -v[164:165]
.LBB80_198:
	s_or_b64 exec, exec, s[16:17]
.LBB80_199:
	s_or_b64 exec, exec, s[0:1]
	v_cmp_ne_u32_e32 vcc, v177, v174
	s_and_saveexec_b64 s[0:1], vcc
	s_xor_b64 s[0:1], exec, s[0:1]
	s_cbranch_execz .LBB80_205
; %bb.200:
	v_cmp_eq_u32_e32 vcc, 9, v177
	s_and_saveexec_b64 s[16:17], vcc
	s_cbranch_execz .LBB80_204
; %bb.201:
	v_cmp_ne_u32_e32 vcc, 9, v174
	s_xor_b64 s[18:19], s[14:15], -1
	s_and_b64 s[22:23], s[18:19], vcc
	s_and_saveexec_b64 s[18:19], s[22:23]
	s_cbranch_execz .LBB80_203
; %bb.202:
	v_ashrrev_i32_e32 v175, 31, v174
	v_lshl_add_u64 v[180:181], v[174:175], 2, v[172:173]
	global_load_dword v175, v[180:181], off
	global_load_dword v177, v[172:173], off offset:36
	s_waitcnt vmcnt(1)
	global_store_dword v[172:173], v175, off offset:36
	s_waitcnt vmcnt(1)
	global_store_dword v[180:181], v177, off
.LBB80_203:
	s_or_b64 exec, exec, s[18:19]
	v_mov_b32_e32 v177, v174
	v_mov_b32_e32 v179, v174
.LBB80_204:
	s_or_b64 exec, exec, s[16:17]
.LBB80_205:
	s_andn2_saveexec_b64 s[0:1], s[0:1]
	s_cbranch_execz .LBB80_207
; %bb.206:
	v_mov_b32_e32 v177, 9
	s_waitcnt vmcnt(30)
	ds_write2_b64 v176, v[124:125], v[126:127] offset0:20 offset1:21
	s_waitcnt vmcnt(29)
	ds_write2_b64 v176, v[120:121], v[122:123] offset0:22 offset1:23
	;; [unrolled: 2-line block ×31, first 2 shown]
.LBB80_207:
	s_or_b64 exec, exec, s[0:1]
	v_cmp_lt_i32_e32 vcc, 9, v177
	s_waitcnt lgkmcnt(0)
	s_barrier
	s_and_saveexec_b64 s[0:1], vcc
	s_cbranch_execz .LBB80_209
; %bb.208:
	ds_read2_b64 v[180:183], v176 offset0:20 offset1:21
	v_mul_f64 v[174:175], v[166:167], v[130:131]
	v_mul_f64 v[130:131], v[164:165], v[130:131]
	v_fmac_f64_e32 v[130:131], v[166:167], v[128:129]
	v_fma_f64 v[174:175], v[164:165], v[128:129], -v[174:175]
	ds_read2_b64 v[164:167], v176 offset0:22 offset1:23
	s_waitcnt lgkmcnt(1)
	v_mul_f64 v[128:129], v[182:183], v[130:131]
	v_fma_f64 v[128:129], v[180:181], v[174:175], -v[128:129]
	v_mul_f64 v[180:181], v[180:181], v[130:131]
	v_fmac_f64_e32 v[180:181], v[182:183], v[174:175]
	s_waitcnt vmcnt(30)
	v_add_f64 v[126:127], v[126:127], -v[180:181]
	ds_read2_b64 v[180:183], v176 offset0:24 offset1:25
	v_add_f64 v[124:125], v[124:125], -v[128:129]
	s_waitcnt lgkmcnt(1)
	v_mul_f64 v[128:129], v[166:167], v[130:131]
	v_fma_f64 v[128:129], v[164:165], v[174:175], -v[128:129]
	v_mul_f64 v[164:165], v[164:165], v[130:131]
	v_fmac_f64_e32 v[164:165], v[166:167], v[174:175]
	s_waitcnt vmcnt(29)
	v_add_f64 v[120:121], v[120:121], -v[128:129]
	v_add_f64 v[122:123], v[122:123], -v[164:165]
	ds_read2_b64 v[164:167], v176 offset0:26 offset1:27
	s_waitcnt lgkmcnt(1)
	v_mul_f64 v[128:129], v[182:183], v[130:131]
	v_fma_f64 v[128:129], v[180:181], v[174:175], -v[128:129]
	v_mul_f64 v[180:181], v[180:181], v[130:131]
	v_fmac_f64_e32 v[180:181], v[182:183], v[174:175]
	s_waitcnt vmcnt(28)
	v_add_f64 v[118:119], v[118:119], -v[180:181]
	ds_read2_b64 v[180:183], v176 offset0:28 offset1:29
	v_add_f64 v[116:117], v[116:117], -v[128:129]
	s_waitcnt lgkmcnt(1)
	v_mul_f64 v[128:129], v[166:167], v[130:131]
	v_fma_f64 v[128:129], v[164:165], v[174:175], -v[128:129]
	v_mul_f64 v[164:165], v[164:165], v[130:131]
	v_fmac_f64_e32 v[164:165], v[166:167], v[174:175]
	s_waitcnt vmcnt(27)
	v_add_f64 v[112:113], v[112:113], -v[128:129]
	v_add_f64 v[114:115], v[114:115], -v[164:165]
	;; [unrolled: 18-line block ×15, first 2 shown]
	s_waitcnt lgkmcnt(0)
	v_mul_f64 v[128:129], v[182:183], v[130:131]
	v_mul_f64 v[164:165], v[180:181], v[130:131]
	v_fma_f64 v[128:129], v[180:181], v[174:175], -v[128:129]
	v_fmac_f64_e32 v[164:165], v[182:183], v[174:175]
	s_waitcnt vmcnt(0)
	v_add_f64 v[160:161], v[160:161], -v[128:129]
	v_add_f64 v[162:163], v[162:163], -v[164:165]
	v_mov_b64_e32 v[128:129], v[174:175]
.LBB80_209:
	s_or_b64 exec, exec, s[0:1]
	v_lshl_add_u32 v164, v177, 4, v176
	s_barrier
	s_waitcnt vmcnt(30)
	ds_write2_b64 v164, v[124:125], v[126:127] offset1:1
	s_waitcnt lgkmcnt(0)
	s_barrier
	ds_read2_b64 v[164:167], v176 offset0:20 offset1:21
	s_cmp_lt_i32 s20, 12
	v_mov_b32_e32 v174, 10
	s_cbranch_scc1 .LBB80_212
; %bb.210:
	v_add_u32_e32 v175, 0xb0, v176
	s_mov_b32 s16, 11
	v_mov_b32_e32 v174, 10
.LBB80_211:                             ; =>This Inner Loop Header: Depth=1
	ds_read2_b64 v[180:183], v175 offset1:1
	s_waitcnt lgkmcnt(1)
	v_xor_b32_e32 v185, 0x80000000, v165
	v_xor_b32_e32 v187, 0x80000000, v167
	v_cmp_gt_f64_e32 vcc, 0, v[166:167]
	v_cmp_gt_f64_e64 s[0:1], 0, v[164:165]
	v_mov_b32_e32 v184, v164
	v_mov_b32_e32 v186, v166
	v_cndmask_b32_e64 v185, v165, v185, s[0:1]
	v_cndmask_b32_e32 v187, v167, v187, vcc
	v_add_f64 v[184:185], v[184:185], v[186:187]
	s_waitcnt lgkmcnt(0)
	v_xor_b32_e32 v187, 0x80000000, v181
	v_xor_b32_e32 v189, 0x80000000, v183
	v_cmp_gt_f64_e32 vcc, 0, v[182:183]
	v_cmp_gt_f64_e64 s[0:1], 0, v[180:181]
	v_mov_b32_e32 v186, v180
	v_mov_b32_e32 v188, v182
	v_cndmask_b32_e64 v187, v181, v187, s[0:1]
	v_cndmask_b32_e32 v189, v183, v189, vcc
	v_add_f64 v[186:187], v[186:187], v[188:189]
	v_mov_b32_e32 v190, s16
	s_add_i32 s16, s16, 1
	v_cmp_lt_f64_e32 vcc, v[184:185], v[186:187]
	v_add_u32_e32 v175, 16, v175
	s_cmp_lg_u32 s20, s16
	v_cndmask_b32_e32 v165, v165, v181, vcc
	v_cndmask_b32_e32 v164, v164, v180, vcc
	;; [unrolled: 1-line block ×5, first 2 shown]
	s_cbranch_scc1 .LBB80_211
.LBB80_212:
	s_waitcnt lgkmcnt(0)
	v_cmp_eq_f64_e32 vcc, 0, v[164:165]
	v_cmp_eq_f64_e64 s[0:1], 0, v[166:167]
	s_and_b64 s[0:1], vcc, s[0:1]
	s_and_saveexec_b64 s[16:17], s[0:1]
	s_xor_b64 s[0:1], exec, s[16:17]
; %bb.213:
	v_cmp_ne_u32_e32 vcc, 0, v178
	s_nop 1
	v_cndmask_b32_e32 v178, 11, v178, vcc
; %bb.214:
	s_andn2_saveexec_b64 s[0:1], s[0:1]
	s_cbranch_execz .LBB80_220
; %bb.215:
	v_cmp_ngt_f64_e64 s[16:17], |v[164:165]|, |v[166:167]|
	s_and_saveexec_b64 s[18:19], s[16:17]
	s_xor_b64 s[16:17], exec, s[18:19]
	s_cbranch_execz .LBB80_217
; %bb.216:
	v_div_scale_f64 v[180:181], s[18:19], v[166:167], v[166:167], v[164:165]
	v_rcp_f64_e32 v[182:183], v[180:181]
	v_div_scale_f64 v[184:185], vcc, v[164:165], v[166:167], v[164:165]
	v_fma_f64 v[186:187], -v[180:181], v[182:183], 1.0
	v_fmac_f64_e32 v[182:183], v[182:183], v[186:187]
	v_fma_f64 v[186:187], -v[180:181], v[182:183], 1.0
	v_fmac_f64_e32 v[182:183], v[182:183], v[186:187]
	v_mul_f64 v[186:187], v[184:185], v[182:183]
	v_fma_f64 v[180:181], -v[180:181], v[186:187], v[184:185]
	v_div_fmas_f64 v[180:181], v[180:181], v[182:183], v[186:187]
	v_div_fixup_f64 v[180:181], v[180:181], v[166:167], v[164:165]
	v_fmac_f64_e32 v[166:167], v[164:165], v[180:181]
	v_div_scale_f64 v[164:165], s[18:19], v[166:167], v[166:167], 1.0
	v_rcp_f64_e32 v[182:183], v[164:165]
	s_nop 0
	v_fma_f64 v[184:185], -v[164:165], v[182:183], 1.0
	v_fmac_f64_e32 v[182:183], v[182:183], v[184:185]
	v_fma_f64 v[184:185], -v[164:165], v[182:183], 1.0
	v_fmac_f64_e32 v[182:183], v[182:183], v[184:185]
	v_div_scale_f64 v[184:185], vcc, 1.0, v[166:167], 1.0
	v_mul_f64 v[186:187], v[184:185], v[182:183]
	v_fma_f64 v[164:165], -v[164:165], v[186:187], v[184:185]
	s_nop 1
	v_div_fmas_f64 v[164:165], v[164:165], v[182:183], v[186:187]
	v_div_fixup_f64 v[166:167], v[164:165], v[166:167], 1.0
	v_mul_f64 v[164:165], v[180:181], v[166:167]
	v_xor_b32_e32 v167, 0x80000000, v167
.LBB80_217:
	s_andn2_saveexec_b64 s[16:17], s[16:17]
	s_cbranch_execz .LBB80_219
; %bb.218:
	v_div_scale_f64 v[180:181], s[18:19], v[164:165], v[164:165], v[166:167]
	v_rcp_f64_e32 v[182:183], v[180:181]
	v_div_scale_f64 v[184:185], vcc, v[166:167], v[164:165], v[166:167]
	v_fma_f64 v[186:187], -v[180:181], v[182:183], 1.0
	v_fmac_f64_e32 v[182:183], v[182:183], v[186:187]
	v_fma_f64 v[186:187], -v[180:181], v[182:183], 1.0
	v_fmac_f64_e32 v[182:183], v[182:183], v[186:187]
	v_mul_f64 v[186:187], v[184:185], v[182:183]
	v_fma_f64 v[180:181], -v[180:181], v[186:187], v[184:185]
	v_div_fmas_f64 v[180:181], v[180:181], v[182:183], v[186:187]
	v_div_fixup_f64 v[180:181], v[180:181], v[164:165], v[166:167]
	v_fmac_f64_e32 v[164:165], v[166:167], v[180:181]
	v_div_scale_f64 v[166:167], s[18:19], v[164:165], v[164:165], 1.0
	v_rcp_f64_e32 v[182:183], v[166:167]
	s_nop 0
	v_fma_f64 v[184:185], -v[166:167], v[182:183], 1.0
	v_fmac_f64_e32 v[182:183], v[182:183], v[184:185]
	v_fma_f64 v[184:185], -v[166:167], v[182:183], 1.0
	v_fmac_f64_e32 v[182:183], v[182:183], v[184:185]
	v_div_scale_f64 v[184:185], vcc, 1.0, v[164:165], 1.0
	v_mul_f64 v[186:187], v[184:185], v[182:183]
	v_fma_f64 v[166:167], -v[166:167], v[186:187], v[184:185]
	s_nop 1
	v_div_fmas_f64 v[166:167], v[166:167], v[182:183], v[186:187]
	v_div_fixup_f64 v[164:165], v[166:167], v[164:165], 1.0
	v_mul_f64 v[166:167], v[180:181], -v[164:165]
.LBB80_219:
	s_or_b64 exec, exec, s[16:17]
.LBB80_220:
	s_or_b64 exec, exec, s[0:1]
	v_cmp_ne_u32_e32 vcc, v177, v174
	s_and_saveexec_b64 s[0:1], vcc
	s_xor_b64 s[0:1], exec, s[0:1]
	s_cbranch_execz .LBB80_226
; %bb.221:
	v_cmp_eq_u32_e32 vcc, 10, v177
	s_and_saveexec_b64 s[16:17], vcc
	s_cbranch_execz .LBB80_225
; %bb.222:
	v_cmp_ne_u32_e32 vcc, 10, v174
	s_xor_b64 s[18:19], s[14:15], -1
	s_and_b64 s[22:23], s[18:19], vcc
	s_and_saveexec_b64 s[18:19], s[22:23]
	s_cbranch_execz .LBB80_224
; %bb.223:
	v_ashrrev_i32_e32 v175, 31, v174
	v_lshl_add_u64 v[180:181], v[174:175], 2, v[172:173]
	global_load_dword v175, v[180:181], off
	global_load_dword v177, v[172:173], off offset:40
	s_waitcnt vmcnt(1)
	global_store_dword v[172:173], v175, off offset:40
	s_waitcnt vmcnt(1)
	global_store_dword v[180:181], v177, off
.LBB80_224:
	s_or_b64 exec, exec, s[18:19]
	v_mov_b32_e32 v177, v174
	v_mov_b32_e32 v179, v174
.LBB80_225:
	s_or_b64 exec, exec, s[16:17]
.LBB80_226:
	s_andn2_saveexec_b64 s[0:1], s[0:1]
	s_cbranch_execz .LBB80_228
; %bb.227:
	v_mov_b32_e32 v177, 10
	s_waitcnt vmcnt(29)
	ds_write2_b64 v176, v[120:121], v[122:123] offset0:22 offset1:23
	s_waitcnt vmcnt(28)
	ds_write2_b64 v176, v[116:117], v[118:119] offset0:24 offset1:25
	;; [unrolled: 2-line block ×30, first 2 shown]
.LBB80_228:
	s_or_b64 exec, exec, s[0:1]
	v_cmp_lt_i32_e32 vcc, 10, v177
	s_waitcnt lgkmcnt(0)
	s_barrier
	s_and_saveexec_b64 s[0:1], vcc
	s_cbranch_execz .LBB80_230
; %bb.229:
	ds_read2_b64 v[180:183], v176 offset0:22 offset1:23
	v_mul_f64 v[174:175], v[166:167], v[126:127]
	v_mul_f64 v[126:127], v[164:165], v[126:127]
	v_fma_f64 v[174:175], v[164:165], v[124:125], -v[174:175]
	v_fmac_f64_e32 v[126:127], v[166:167], v[124:125]
	ds_read2_b64 v[164:167], v176 offset0:24 offset1:25
	s_waitcnt lgkmcnt(1)
	v_mul_f64 v[124:125], v[182:183], v[126:127]
	v_fma_f64 v[124:125], v[180:181], v[174:175], -v[124:125]
	v_mul_f64 v[180:181], v[180:181], v[126:127]
	v_fmac_f64_e32 v[180:181], v[182:183], v[174:175]
	s_waitcnt vmcnt(29)
	v_add_f64 v[120:121], v[120:121], -v[124:125]
	s_waitcnt lgkmcnt(0)
	v_mul_f64 v[124:125], v[166:167], v[126:127]
	v_add_f64 v[122:123], v[122:123], -v[180:181]
	v_fma_f64 v[124:125], v[164:165], v[174:175], -v[124:125]
	v_mul_f64 v[164:165], v[164:165], v[126:127]
	ds_read2_b64 v[180:183], v176 offset0:26 offset1:27
	v_fmac_f64_e32 v[164:165], v[166:167], v[174:175]
	s_waitcnt vmcnt(28)
	v_add_f64 v[118:119], v[118:119], -v[164:165]
	ds_read2_b64 v[164:167], v176 offset0:28 offset1:29
	v_add_f64 v[116:117], v[116:117], -v[124:125]
	s_waitcnt lgkmcnt(1)
	v_mul_f64 v[124:125], v[182:183], v[126:127]
	v_fma_f64 v[124:125], v[180:181], v[174:175], -v[124:125]
	v_mul_f64 v[180:181], v[180:181], v[126:127]
	v_fmac_f64_e32 v[180:181], v[182:183], v[174:175]
	s_waitcnt vmcnt(27)
	v_add_f64 v[112:113], v[112:113], -v[124:125]
	s_waitcnt lgkmcnt(0)
	v_mul_f64 v[124:125], v[166:167], v[126:127]
	v_add_f64 v[114:115], v[114:115], -v[180:181]
	v_fma_f64 v[124:125], v[164:165], v[174:175], -v[124:125]
	v_mul_f64 v[164:165], v[164:165], v[126:127]
	ds_read2_b64 v[180:183], v176 offset0:30 offset1:31
	v_fmac_f64_e32 v[164:165], v[166:167], v[174:175]
	s_waitcnt vmcnt(26)
	v_add_f64 v[106:107], v[106:107], -v[164:165]
	ds_read2_b64 v[164:167], v176 offset0:32 offset1:33
	v_add_f64 v[104:105], v[104:105], -v[124:125]
	;; [unrolled: 18-line block ×14, first 2 shown]
	s_waitcnt lgkmcnt(1)
	v_mul_f64 v[124:125], v[182:183], v[126:127]
	v_fma_f64 v[124:125], v[180:181], v[174:175], -v[124:125]
	s_waitcnt vmcnt(1)
	v_add_f64 v[0:1], v[0:1], -v[124:125]
	s_waitcnt lgkmcnt(0)
	v_mul_f64 v[124:125], v[166:167], v[126:127]
	v_mul_f64 v[180:181], v[180:181], v[126:127]
	v_fma_f64 v[124:125], v[164:165], v[174:175], -v[124:125]
	v_mul_f64 v[164:165], v[164:165], v[126:127]
	v_fmac_f64_e32 v[180:181], v[182:183], v[174:175]
	v_fmac_f64_e32 v[164:165], v[166:167], v[174:175]
	v_add_f64 v[2:3], v[2:3], -v[180:181]
	s_waitcnt vmcnt(0)
	v_add_f64 v[160:161], v[160:161], -v[124:125]
	v_add_f64 v[162:163], v[162:163], -v[164:165]
	v_mov_b64_e32 v[124:125], v[174:175]
.LBB80_230:
	s_or_b64 exec, exec, s[0:1]
	v_lshl_add_u32 v164, v177, 4, v176
	s_barrier
	s_waitcnt vmcnt(29)
	ds_write2_b64 v164, v[120:121], v[122:123] offset1:1
	s_waitcnt lgkmcnt(0)
	s_barrier
	ds_read2_b64 v[164:167], v176 offset0:22 offset1:23
	s_cmp_lt_i32 s20, 13
	v_mov_b32_e32 v174, 11
	s_cbranch_scc1 .LBB80_233
; %bb.231:
	v_add_u32_e32 v175, 0xc0, v176
	s_mov_b32 s16, 12
	v_mov_b32_e32 v174, 11
.LBB80_232:                             ; =>This Inner Loop Header: Depth=1
	ds_read2_b64 v[180:183], v175 offset1:1
	s_waitcnt lgkmcnt(1)
	v_xor_b32_e32 v185, 0x80000000, v165
	v_xor_b32_e32 v187, 0x80000000, v167
	v_cmp_gt_f64_e32 vcc, 0, v[166:167]
	v_cmp_gt_f64_e64 s[0:1], 0, v[164:165]
	v_mov_b32_e32 v184, v164
	v_mov_b32_e32 v186, v166
	v_cndmask_b32_e64 v185, v165, v185, s[0:1]
	v_cndmask_b32_e32 v187, v167, v187, vcc
	v_add_f64 v[184:185], v[184:185], v[186:187]
	s_waitcnt lgkmcnt(0)
	v_xor_b32_e32 v187, 0x80000000, v181
	v_xor_b32_e32 v189, 0x80000000, v183
	v_cmp_gt_f64_e32 vcc, 0, v[182:183]
	v_cmp_gt_f64_e64 s[0:1], 0, v[180:181]
	v_mov_b32_e32 v186, v180
	v_mov_b32_e32 v188, v182
	v_cndmask_b32_e64 v187, v181, v187, s[0:1]
	v_cndmask_b32_e32 v189, v183, v189, vcc
	v_add_f64 v[186:187], v[186:187], v[188:189]
	v_mov_b32_e32 v190, s16
	s_add_i32 s16, s16, 1
	v_cmp_lt_f64_e32 vcc, v[184:185], v[186:187]
	v_add_u32_e32 v175, 16, v175
	s_cmp_lg_u32 s20, s16
	v_cndmask_b32_e32 v165, v165, v181, vcc
	v_cndmask_b32_e32 v164, v164, v180, vcc
	;; [unrolled: 1-line block ×5, first 2 shown]
	s_cbranch_scc1 .LBB80_232
.LBB80_233:
	s_waitcnt lgkmcnt(0)
	v_cmp_eq_f64_e32 vcc, 0, v[164:165]
	v_cmp_eq_f64_e64 s[0:1], 0, v[166:167]
	s_and_b64 s[0:1], vcc, s[0:1]
	s_and_saveexec_b64 s[16:17], s[0:1]
	s_xor_b64 s[0:1], exec, s[16:17]
; %bb.234:
	v_cmp_ne_u32_e32 vcc, 0, v178
	s_nop 1
	v_cndmask_b32_e32 v178, 12, v178, vcc
; %bb.235:
	s_andn2_saveexec_b64 s[0:1], s[0:1]
	s_cbranch_execz .LBB80_241
; %bb.236:
	v_cmp_ngt_f64_e64 s[16:17], |v[164:165]|, |v[166:167]|
	s_and_saveexec_b64 s[18:19], s[16:17]
	s_xor_b64 s[16:17], exec, s[18:19]
	s_cbranch_execz .LBB80_238
; %bb.237:
	v_div_scale_f64 v[180:181], s[18:19], v[166:167], v[166:167], v[164:165]
	v_rcp_f64_e32 v[182:183], v[180:181]
	v_div_scale_f64 v[184:185], vcc, v[164:165], v[166:167], v[164:165]
	v_fma_f64 v[186:187], -v[180:181], v[182:183], 1.0
	v_fmac_f64_e32 v[182:183], v[182:183], v[186:187]
	v_fma_f64 v[186:187], -v[180:181], v[182:183], 1.0
	v_fmac_f64_e32 v[182:183], v[182:183], v[186:187]
	v_mul_f64 v[186:187], v[184:185], v[182:183]
	v_fma_f64 v[180:181], -v[180:181], v[186:187], v[184:185]
	v_div_fmas_f64 v[180:181], v[180:181], v[182:183], v[186:187]
	v_div_fixup_f64 v[180:181], v[180:181], v[166:167], v[164:165]
	v_fmac_f64_e32 v[166:167], v[164:165], v[180:181]
	v_div_scale_f64 v[164:165], s[18:19], v[166:167], v[166:167], 1.0
	v_rcp_f64_e32 v[182:183], v[164:165]
	s_nop 0
	v_fma_f64 v[184:185], -v[164:165], v[182:183], 1.0
	v_fmac_f64_e32 v[182:183], v[182:183], v[184:185]
	v_fma_f64 v[184:185], -v[164:165], v[182:183], 1.0
	v_fmac_f64_e32 v[182:183], v[182:183], v[184:185]
	v_div_scale_f64 v[184:185], vcc, 1.0, v[166:167], 1.0
	v_mul_f64 v[186:187], v[184:185], v[182:183]
	v_fma_f64 v[164:165], -v[164:165], v[186:187], v[184:185]
	s_nop 1
	v_div_fmas_f64 v[164:165], v[164:165], v[182:183], v[186:187]
	v_div_fixup_f64 v[166:167], v[164:165], v[166:167], 1.0
	v_mul_f64 v[164:165], v[180:181], v[166:167]
	v_xor_b32_e32 v167, 0x80000000, v167
.LBB80_238:
	s_andn2_saveexec_b64 s[16:17], s[16:17]
	s_cbranch_execz .LBB80_240
; %bb.239:
	v_div_scale_f64 v[180:181], s[18:19], v[164:165], v[164:165], v[166:167]
	v_rcp_f64_e32 v[182:183], v[180:181]
	v_div_scale_f64 v[184:185], vcc, v[166:167], v[164:165], v[166:167]
	v_fma_f64 v[186:187], -v[180:181], v[182:183], 1.0
	v_fmac_f64_e32 v[182:183], v[182:183], v[186:187]
	v_fma_f64 v[186:187], -v[180:181], v[182:183], 1.0
	v_fmac_f64_e32 v[182:183], v[182:183], v[186:187]
	v_mul_f64 v[186:187], v[184:185], v[182:183]
	v_fma_f64 v[180:181], -v[180:181], v[186:187], v[184:185]
	v_div_fmas_f64 v[180:181], v[180:181], v[182:183], v[186:187]
	v_div_fixup_f64 v[180:181], v[180:181], v[164:165], v[166:167]
	v_fmac_f64_e32 v[164:165], v[166:167], v[180:181]
	v_div_scale_f64 v[166:167], s[18:19], v[164:165], v[164:165], 1.0
	v_rcp_f64_e32 v[182:183], v[166:167]
	s_nop 0
	v_fma_f64 v[184:185], -v[166:167], v[182:183], 1.0
	v_fmac_f64_e32 v[182:183], v[182:183], v[184:185]
	v_fma_f64 v[184:185], -v[166:167], v[182:183], 1.0
	v_fmac_f64_e32 v[182:183], v[182:183], v[184:185]
	v_div_scale_f64 v[184:185], vcc, 1.0, v[164:165], 1.0
	v_mul_f64 v[186:187], v[184:185], v[182:183]
	v_fma_f64 v[166:167], -v[166:167], v[186:187], v[184:185]
	s_nop 1
	v_div_fmas_f64 v[166:167], v[166:167], v[182:183], v[186:187]
	v_div_fixup_f64 v[164:165], v[166:167], v[164:165], 1.0
	v_mul_f64 v[166:167], v[180:181], -v[164:165]
.LBB80_240:
	s_or_b64 exec, exec, s[16:17]
.LBB80_241:
	s_or_b64 exec, exec, s[0:1]
	v_cmp_ne_u32_e32 vcc, v177, v174
	s_and_saveexec_b64 s[0:1], vcc
	s_xor_b64 s[0:1], exec, s[0:1]
	s_cbranch_execz .LBB80_247
; %bb.242:
	v_cmp_eq_u32_e32 vcc, 11, v177
	s_and_saveexec_b64 s[16:17], vcc
	s_cbranch_execz .LBB80_246
; %bb.243:
	v_cmp_ne_u32_e32 vcc, 11, v174
	s_xor_b64 s[18:19], s[14:15], -1
	s_and_b64 s[22:23], s[18:19], vcc
	s_and_saveexec_b64 s[18:19], s[22:23]
	s_cbranch_execz .LBB80_245
; %bb.244:
	v_ashrrev_i32_e32 v175, 31, v174
	v_lshl_add_u64 v[180:181], v[174:175], 2, v[172:173]
	global_load_dword v175, v[180:181], off
	global_load_dword v177, v[172:173], off offset:44
	s_waitcnt vmcnt(1)
	global_store_dword v[172:173], v175, off offset:44
	s_waitcnt vmcnt(1)
	global_store_dword v[180:181], v177, off
.LBB80_245:
	s_or_b64 exec, exec, s[18:19]
	v_mov_b32_e32 v177, v174
	v_mov_b32_e32 v179, v174
.LBB80_246:
	s_or_b64 exec, exec, s[16:17]
.LBB80_247:
	s_andn2_saveexec_b64 s[0:1], s[0:1]
	s_cbranch_execz .LBB80_249
; %bb.248:
	v_mov_b32_e32 v177, 11
	s_waitcnt vmcnt(28)
	ds_write2_b64 v176, v[116:117], v[118:119] offset0:24 offset1:25
	s_waitcnt vmcnt(27)
	ds_write2_b64 v176, v[112:113], v[114:115] offset0:26 offset1:27
	;; [unrolled: 2-line block ×29, first 2 shown]
.LBB80_249:
	s_or_b64 exec, exec, s[0:1]
	v_cmp_lt_i32_e32 vcc, 11, v177
	s_waitcnt lgkmcnt(0)
	s_barrier
	s_and_saveexec_b64 s[0:1], vcc
	s_cbranch_execz .LBB80_251
; %bb.250:
	ds_read2_b64 v[180:183], v176 offset0:24 offset1:25
	v_mul_f64 v[174:175], v[166:167], v[122:123]
	v_mul_f64 v[122:123], v[164:165], v[122:123]
	v_fmac_f64_e32 v[122:123], v[166:167], v[120:121]
	v_fma_f64 v[174:175], v[164:165], v[120:121], -v[174:175]
	ds_read2_b64 v[164:167], v176 offset0:26 offset1:27
	s_waitcnt lgkmcnt(1)
	v_mul_f64 v[120:121], v[182:183], v[122:123]
	v_fma_f64 v[120:121], v[180:181], v[174:175], -v[120:121]
	v_mul_f64 v[180:181], v[180:181], v[122:123]
	v_fmac_f64_e32 v[180:181], v[182:183], v[174:175]
	s_waitcnt vmcnt(28)
	v_add_f64 v[118:119], v[118:119], -v[180:181]
	ds_read2_b64 v[180:183], v176 offset0:28 offset1:29
	v_add_f64 v[116:117], v[116:117], -v[120:121]
	s_waitcnt lgkmcnt(1)
	v_mul_f64 v[120:121], v[166:167], v[122:123]
	v_fma_f64 v[120:121], v[164:165], v[174:175], -v[120:121]
	v_mul_f64 v[164:165], v[164:165], v[122:123]
	v_fmac_f64_e32 v[164:165], v[166:167], v[174:175]
	s_waitcnt vmcnt(27)
	v_add_f64 v[112:113], v[112:113], -v[120:121]
	v_add_f64 v[114:115], v[114:115], -v[164:165]
	ds_read2_b64 v[164:167], v176 offset0:30 offset1:31
	s_waitcnt lgkmcnt(1)
	v_mul_f64 v[120:121], v[182:183], v[122:123]
	v_fma_f64 v[120:121], v[180:181], v[174:175], -v[120:121]
	v_mul_f64 v[180:181], v[180:181], v[122:123]
	v_fmac_f64_e32 v[180:181], v[182:183], v[174:175]
	s_waitcnt vmcnt(26)
	v_add_f64 v[106:107], v[106:107], -v[180:181]
	ds_read2_b64 v[180:183], v176 offset0:32 offset1:33
	v_add_f64 v[104:105], v[104:105], -v[120:121]
	s_waitcnt lgkmcnt(1)
	v_mul_f64 v[120:121], v[166:167], v[122:123]
	v_fma_f64 v[120:121], v[164:165], v[174:175], -v[120:121]
	v_mul_f64 v[164:165], v[164:165], v[122:123]
	v_fmac_f64_e32 v[164:165], v[166:167], v[174:175]
	s_waitcnt vmcnt(25)
	v_add_f64 v[96:97], v[96:97], -v[120:121]
	v_add_f64 v[98:99], v[98:99], -v[164:165]
	;; [unrolled: 18-line block ×14, first 2 shown]
	s_waitcnt lgkmcnt(0)
	v_mul_f64 v[120:121], v[182:183], v[122:123]
	v_mul_f64 v[164:165], v[180:181], v[122:123]
	v_fma_f64 v[120:121], v[180:181], v[174:175], -v[120:121]
	v_fmac_f64_e32 v[164:165], v[182:183], v[174:175]
	s_waitcnt vmcnt(0)
	v_add_f64 v[160:161], v[160:161], -v[120:121]
	v_add_f64 v[162:163], v[162:163], -v[164:165]
	v_mov_b64_e32 v[120:121], v[174:175]
.LBB80_251:
	s_or_b64 exec, exec, s[0:1]
	v_lshl_add_u32 v164, v177, 4, v176
	s_barrier
	s_waitcnt vmcnt(28)
	ds_write2_b64 v164, v[116:117], v[118:119] offset1:1
	s_waitcnt lgkmcnt(0)
	s_barrier
	ds_read2_b64 v[164:167], v176 offset0:24 offset1:25
	s_cmp_lt_i32 s20, 14
	v_mov_b32_e32 v174, 12
	s_cbranch_scc1 .LBB80_254
; %bb.252:
	v_add_u32_e32 v175, 0xd0, v176
	s_mov_b32 s16, 13
	v_mov_b32_e32 v174, 12
.LBB80_253:                             ; =>This Inner Loop Header: Depth=1
	ds_read2_b64 v[180:183], v175 offset1:1
	s_waitcnt lgkmcnt(1)
	v_xor_b32_e32 v185, 0x80000000, v165
	v_xor_b32_e32 v187, 0x80000000, v167
	v_cmp_gt_f64_e32 vcc, 0, v[166:167]
	v_cmp_gt_f64_e64 s[0:1], 0, v[164:165]
	v_mov_b32_e32 v184, v164
	v_mov_b32_e32 v186, v166
	v_cndmask_b32_e64 v185, v165, v185, s[0:1]
	v_cndmask_b32_e32 v187, v167, v187, vcc
	v_add_f64 v[184:185], v[184:185], v[186:187]
	s_waitcnt lgkmcnt(0)
	v_xor_b32_e32 v187, 0x80000000, v181
	v_xor_b32_e32 v189, 0x80000000, v183
	v_cmp_gt_f64_e32 vcc, 0, v[182:183]
	v_cmp_gt_f64_e64 s[0:1], 0, v[180:181]
	v_mov_b32_e32 v186, v180
	v_mov_b32_e32 v188, v182
	v_cndmask_b32_e64 v187, v181, v187, s[0:1]
	v_cndmask_b32_e32 v189, v183, v189, vcc
	v_add_f64 v[186:187], v[186:187], v[188:189]
	v_mov_b32_e32 v190, s16
	s_add_i32 s16, s16, 1
	v_cmp_lt_f64_e32 vcc, v[184:185], v[186:187]
	v_add_u32_e32 v175, 16, v175
	s_cmp_lg_u32 s20, s16
	v_cndmask_b32_e32 v165, v165, v181, vcc
	v_cndmask_b32_e32 v164, v164, v180, vcc
	;; [unrolled: 1-line block ×5, first 2 shown]
	s_cbranch_scc1 .LBB80_253
.LBB80_254:
	s_waitcnt lgkmcnt(0)
	v_cmp_eq_f64_e32 vcc, 0, v[164:165]
	v_cmp_eq_f64_e64 s[0:1], 0, v[166:167]
	s_and_b64 s[0:1], vcc, s[0:1]
	s_and_saveexec_b64 s[16:17], s[0:1]
	s_xor_b64 s[0:1], exec, s[16:17]
; %bb.255:
	v_cmp_ne_u32_e32 vcc, 0, v178
	s_nop 1
	v_cndmask_b32_e32 v178, 13, v178, vcc
; %bb.256:
	s_andn2_saveexec_b64 s[0:1], s[0:1]
	s_cbranch_execz .LBB80_262
; %bb.257:
	v_cmp_ngt_f64_e64 s[16:17], |v[164:165]|, |v[166:167]|
	s_and_saveexec_b64 s[18:19], s[16:17]
	s_xor_b64 s[16:17], exec, s[18:19]
	s_cbranch_execz .LBB80_259
; %bb.258:
	v_div_scale_f64 v[180:181], s[18:19], v[166:167], v[166:167], v[164:165]
	v_rcp_f64_e32 v[182:183], v[180:181]
	v_div_scale_f64 v[184:185], vcc, v[164:165], v[166:167], v[164:165]
	v_fma_f64 v[186:187], -v[180:181], v[182:183], 1.0
	v_fmac_f64_e32 v[182:183], v[182:183], v[186:187]
	v_fma_f64 v[186:187], -v[180:181], v[182:183], 1.0
	v_fmac_f64_e32 v[182:183], v[182:183], v[186:187]
	v_mul_f64 v[186:187], v[184:185], v[182:183]
	v_fma_f64 v[180:181], -v[180:181], v[186:187], v[184:185]
	v_div_fmas_f64 v[180:181], v[180:181], v[182:183], v[186:187]
	v_div_fixup_f64 v[180:181], v[180:181], v[166:167], v[164:165]
	v_fmac_f64_e32 v[166:167], v[164:165], v[180:181]
	v_div_scale_f64 v[164:165], s[18:19], v[166:167], v[166:167], 1.0
	v_rcp_f64_e32 v[182:183], v[164:165]
	s_nop 0
	v_fma_f64 v[184:185], -v[164:165], v[182:183], 1.0
	v_fmac_f64_e32 v[182:183], v[182:183], v[184:185]
	v_fma_f64 v[184:185], -v[164:165], v[182:183], 1.0
	v_fmac_f64_e32 v[182:183], v[182:183], v[184:185]
	v_div_scale_f64 v[184:185], vcc, 1.0, v[166:167], 1.0
	v_mul_f64 v[186:187], v[184:185], v[182:183]
	v_fma_f64 v[164:165], -v[164:165], v[186:187], v[184:185]
	s_nop 1
	v_div_fmas_f64 v[164:165], v[164:165], v[182:183], v[186:187]
	v_div_fixup_f64 v[166:167], v[164:165], v[166:167], 1.0
	v_mul_f64 v[164:165], v[180:181], v[166:167]
	v_xor_b32_e32 v167, 0x80000000, v167
.LBB80_259:
	s_andn2_saveexec_b64 s[16:17], s[16:17]
	s_cbranch_execz .LBB80_261
; %bb.260:
	v_div_scale_f64 v[180:181], s[18:19], v[164:165], v[164:165], v[166:167]
	v_rcp_f64_e32 v[182:183], v[180:181]
	v_div_scale_f64 v[184:185], vcc, v[166:167], v[164:165], v[166:167]
	v_fma_f64 v[186:187], -v[180:181], v[182:183], 1.0
	v_fmac_f64_e32 v[182:183], v[182:183], v[186:187]
	v_fma_f64 v[186:187], -v[180:181], v[182:183], 1.0
	v_fmac_f64_e32 v[182:183], v[182:183], v[186:187]
	v_mul_f64 v[186:187], v[184:185], v[182:183]
	v_fma_f64 v[180:181], -v[180:181], v[186:187], v[184:185]
	v_div_fmas_f64 v[180:181], v[180:181], v[182:183], v[186:187]
	v_div_fixup_f64 v[180:181], v[180:181], v[164:165], v[166:167]
	v_fmac_f64_e32 v[164:165], v[166:167], v[180:181]
	v_div_scale_f64 v[166:167], s[18:19], v[164:165], v[164:165], 1.0
	v_rcp_f64_e32 v[182:183], v[166:167]
	s_nop 0
	v_fma_f64 v[184:185], -v[166:167], v[182:183], 1.0
	v_fmac_f64_e32 v[182:183], v[182:183], v[184:185]
	v_fma_f64 v[184:185], -v[166:167], v[182:183], 1.0
	v_fmac_f64_e32 v[182:183], v[182:183], v[184:185]
	v_div_scale_f64 v[184:185], vcc, 1.0, v[164:165], 1.0
	v_mul_f64 v[186:187], v[184:185], v[182:183]
	v_fma_f64 v[166:167], -v[166:167], v[186:187], v[184:185]
	s_nop 1
	v_div_fmas_f64 v[166:167], v[166:167], v[182:183], v[186:187]
	v_div_fixup_f64 v[164:165], v[166:167], v[164:165], 1.0
	v_mul_f64 v[166:167], v[180:181], -v[164:165]
.LBB80_261:
	s_or_b64 exec, exec, s[16:17]
.LBB80_262:
	s_or_b64 exec, exec, s[0:1]
	v_cmp_ne_u32_e32 vcc, v177, v174
	s_and_saveexec_b64 s[0:1], vcc
	s_xor_b64 s[0:1], exec, s[0:1]
	s_cbranch_execz .LBB80_268
; %bb.263:
	v_cmp_eq_u32_e32 vcc, 12, v177
	s_and_saveexec_b64 s[16:17], vcc
	s_cbranch_execz .LBB80_267
; %bb.264:
	v_cmp_ne_u32_e32 vcc, 12, v174
	s_xor_b64 s[18:19], s[14:15], -1
	s_and_b64 s[22:23], s[18:19], vcc
	s_and_saveexec_b64 s[18:19], s[22:23]
	s_cbranch_execz .LBB80_266
; %bb.265:
	v_ashrrev_i32_e32 v175, 31, v174
	v_lshl_add_u64 v[180:181], v[174:175], 2, v[172:173]
	global_load_dword v175, v[180:181], off
	global_load_dword v177, v[172:173], off offset:48
	s_waitcnt vmcnt(1)
	global_store_dword v[172:173], v175, off offset:48
	s_waitcnt vmcnt(1)
	global_store_dword v[180:181], v177, off
.LBB80_266:
	s_or_b64 exec, exec, s[18:19]
	v_mov_b32_e32 v177, v174
	v_mov_b32_e32 v179, v174
.LBB80_267:
	s_or_b64 exec, exec, s[16:17]
.LBB80_268:
	s_andn2_saveexec_b64 s[0:1], s[0:1]
	s_cbranch_execz .LBB80_270
; %bb.269:
	v_mov_b32_e32 v177, 12
	s_waitcnt vmcnt(27)
	ds_write2_b64 v176, v[112:113], v[114:115] offset0:26 offset1:27
	s_waitcnt vmcnt(26)
	ds_write2_b64 v176, v[104:105], v[106:107] offset0:28 offset1:29
	;; [unrolled: 2-line block ×28, first 2 shown]
.LBB80_270:
	s_or_b64 exec, exec, s[0:1]
	v_cmp_lt_i32_e32 vcc, 12, v177
	s_waitcnt lgkmcnt(0)
	s_barrier
	s_and_saveexec_b64 s[0:1], vcc
	s_cbranch_execz .LBB80_272
; %bb.271:
	ds_read2_b64 v[180:183], v176 offset0:26 offset1:27
	v_mul_f64 v[174:175], v[166:167], v[118:119]
	v_mul_f64 v[118:119], v[164:165], v[118:119]
	v_fma_f64 v[174:175], v[164:165], v[116:117], -v[174:175]
	v_fmac_f64_e32 v[118:119], v[166:167], v[116:117]
	ds_read2_b64 v[164:167], v176 offset0:28 offset1:29
	s_waitcnt lgkmcnt(1)
	v_mul_f64 v[116:117], v[182:183], v[118:119]
	v_fma_f64 v[116:117], v[180:181], v[174:175], -v[116:117]
	v_mul_f64 v[180:181], v[180:181], v[118:119]
	v_fmac_f64_e32 v[180:181], v[182:183], v[174:175]
	s_waitcnt vmcnt(27)
	v_add_f64 v[112:113], v[112:113], -v[116:117]
	s_waitcnt lgkmcnt(0)
	v_mul_f64 v[116:117], v[166:167], v[118:119]
	v_add_f64 v[114:115], v[114:115], -v[180:181]
	v_fma_f64 v[116:117], v[164:165], v[174:175], -v[116:117]
	v_mul_f64 v[164:165], v[164:165], v[118:119]
	ds_read2_b64 v[180:183], v176 offset0:30 offset1:31
	v_fmac_f64_e32 v[164:165], v[166:167], v[174:175]
	s_waitcnt vmcnt(26)
	v_add_f64 v[106:107], v[106:107], -v[164:165]
	ds_read2_b64 v[164:167], v176 offset0:32 offset1:33
	v_add_f64 v[104:105], v[104:105], -v[116:117]
	s_waitcnt lgkmcnt(1)
	v_mul_f64 v[116:117], v[182:183], v[118:119]
	v_fma_f64 v[116:117], v[180:181], v[174:175], -v[116:117]
	v_mul_f64 v[180:181], v[180:181], v[118:119]
	v_fmac_f64_e32 v[180:181], v[182:183], v[174:175]
	s_waitcnt vmcnt(25)
	v_add_f64 v[96:97], v[96:97], -v[116:117]
	s_waitcnt lgkmcnt(0)
	v_mul_f64 v[116:117], v[166:167], v[118:119]
	v_add_f64 v[98:99], v[98:99], -v[180:181]
	v_fma_f64 v[116:117], v[164:165], v[174:175], -v[116:117]
	v_mul_f64 v[164:165], v[164:165], v[118:119]
	ds_read2_b64 v[180:183], v176 offset0:34 offset1:35
	v_fmac_f64_e32 v[164:165], v[166:167], v[174:175]
	s_waitcnt vmcnt(24)
	v_add_f64 v[94:95], v[94:95], -v[164:165]
	ds_read2_b64 v[164:167], v176 offset0:36 offset1:37
	v_add_f64 v[92:93], v[92:93], -v[116:117]
	;; [unrolled: 18-line block ×13, first 2 shown]
	s_waitcnt lgkmcnt(1)
	v_mul_f64 v[116:117], v[182:183], v[118:119]
	v_fma_f64 v[116:117], v[180:181], v[174:175], -v[116:117]
	s_waitcnt vmcnt(1)
	v_add_f64 v[0:1], v[0:1], -v[116:117]
	s_waitcnt lgkmcnt(0)
	v_mul_f64 v[116:117], v[166:167], v[118:119]
	v_mul_f64 v[180:181], v[180:181], v[118:119]
	v_fma_f64 v[116:117], v[164:165], v[174:175], -v[116:117]
	v_mul_f64 v[164:165], v[164:165], v[118:119]
	v_fmac_f64_e32 v[180:181], v[182:183], v[174:175]
	v_fmac_f64_e32 v[164:165], v[166:167], v[174:175]
	v_add_f64 v[2:3], v[2:3], -v[180:181]
	s_waitcnt vmcnt(0)
	v_add_f64 v[160:161], v[160:161], -v[116:117]
	v_add_f64 v[162:163], v[162:163], -v[164:165]
	v_mov_b64_e32 v[116:117], v[174:175]
.LBB80_272:
	s_or_b64 exec, exec, s[0:1]
	v_lshl_add_u32 v164, v177, 4, v176
	s_barrier
	s_waitcnt vmcnt(27)
	ds_write2_b64 v164, v[112:113], v[114:115] offset1:1
	s_waitcnt lgkmcnt(0)
	s_barrier
	ds_read2_b64 v[164:167], v176 offset0:26 offset1:27
	s_cmp_lt_i32 s20, 15
	v_mov_b32_e32 v174, 13
	s_cbranch_scc1 .LBB80_275
; %bb.273:
	v_add_u32_e32 v175, 0xe0, v176
	s_mov_b32 s16, 14
	v_mov_b32_e32 v174, 13
.LBB80_274:                             ; =>This Inner Loop Header: Depth=1
	ds_read2_b64 v[180:183], v175 offset1:1
	s_waitcnt lgkmcnt(1)
	v_xor_b32_e32 v185, 0x80000000, v165
	v_xor_b32_e32 v187, 0x80000000, v167
	v_cmp_gt_f64_e32 vcc, 0, v[166:167]
	v_cmp_gt_f64_e64 s[0:1], 0, v[164:165]
	v_mov_b32_e32 v184, v164
	v_mov_b32_e32 v186, v166
	v_cndmask_b32_e64 v185, v165, v185, s[0:1]
	v_cndmask_b32_e32 v187, v167, v187, vcc
	v_add_f64 v[184:185], v[184:185], v[186:187]
	s_waitcnt lgkmcnt(0)
	v_xor_b32_e32 v187, 0x80000000, v181
	v_xor_b32_e32 v189, 0x80000000, v183
	v_cmp_gt_f64_e32 vcc, 0, v[182:183]
	v_cmp_gt_f64_e64 s[0:1], 0, v[180:181]
	v_mov_b32_e32 v186, v180
	v_mov_b32_e32 v188, v182
	v_cndmask_b32_e64 v187, v181, v187, s[0:1]
	v_cndmask_b32_e32 v189, v183, v189, vcc
	v_add_f64 v[186:187], v[186:187], v[188:189]
	v_mov_b32_e32 v190, s16
	s_add_i32 s16, s16, 1
	v_cmp_lt_f64_e32 vcc, v[184:185], v[186:187]
	v_add_u32_e32 v175, 16, v175
	s_cmp_lg_u32 s20, s16
	v_cndmask_b32_e32 v165, v165, v181, vcc
	v_cndmask_b32_e32 v164, v164, v180, vcc
	;; [unrolled: 1-line block ×5, first 2 shown]
	s_cbranch_scc1 .LBB80_274
.LBB80_275:
	s_waitcnt lgkmcnt(0)
	v_cmp_eq_f64_e32 vcc, 0, v[164:165]
	v_cmp_eq_f64_e64 s[0:1], 0, v[166:167]
	s_and_b64 s[0:1], vcc, s[0:1]
	s_and_saveexec_b64 s[16:17], s[0:1]
	s_xor_b64 s[0:1], exec, s[16:17]
; %bb.276:
	v_cmp_ne_u32_e32 vcc, 0, v178
	s_nop 1
	v_cndmask_b32_e32 v178, 14, v178, vcc
; %bb.277:
	s_andn2_saveexec_b64 s[0:1], s[0:1]
	s_cbranch_execz .LBB80_283
; %bb.278:
	v_cmp_ngt_f64_e64 s[16:17], |v[164:165]|, |v[166:167]|
	s_and_saveexec_b64 s[18:19], s[16:17]
	s_xor_b64 s[16:17], exec, s[18:19]
	s_cbranch_execz .LBB80_280
; %bb.279:
	v_div_scale_f64 v[180:181], s[18:19], v[166:167], v[166:167], v[164:165]
	v_rcp_f64_e32 v[182:183], v[180:181]
	v_div_scale_f64 v[184:185], vcc, v[164:165], v[166:167], v[164:165]
	v_fma_f64 v[186:187], -v[180:181], v[182:183], 1.0
	v_fmac_f64_e32 v[182:183], v[182:183], v[186:187]
	v_fma_f64 v[186:187], -v[180:181], v[182:183], 1.0
	v_fmac_f64_e32 v[182:183], v[182:183], v[186:187]
	v_mul_f64 v[186:187], v[184:185], v[182:183]
	v_fma_f64 v[180:181], -v[180:181], v[186:187], v[184:185]
	v_div_fmas_f64 v[180:181], v[180:181], v[182:183], v[186:187]
	v_div_fixup_f64 v[180:181], v[180:181], v[166:167], v[164:165]
	v_fmac_f64_e32 v[166:167], v[164:165], v[180:181]
	v_div_scale_f64 v[164:165], s[18:19], v[166:167], v[166:167], 1.0
	v_rcp_f64_e32 v[182:183], v[164:165]
	s_nop 0
	v_fma_f64 v[184:185], -v[164:165], v[182:183], 1.0
	v_fmac_f64_e32 v[182:183], v[182:183], v[184:185]
	v_fma_f64 v[184:185], -v[164:165], v[182:183], 1.0
	v_fmac_f64_e32 v[182:183], v[182:183], v[184:185]
	v_div_scale_f64 v[184:185], vcc, 1.0, v[166:167], 1.0
	v_mul_f64 v[186:187], v[184:185], v[182:183]
	v_fma_f64 v[164:165], -v[164:165], v[186:187], v[184:185]
	s_nop 1
	v_div_fmas_f64 v[164:165], v[164:165], v[182:183], v[186:187]
	v_div_fixup_f64 v[166:167], v[164:165], v[166:167], 1.0
	v_mul_f64 v[164:165], v[180:181], v[166:167]
	v_xor_b32_e32 v167, 0x80000000, v167
.LBB80_280:
	s_andn2_saveexec_b64 s[16:17], s[16:17]
	s_cbranch_execz .LBB80_282
; %bb.281:
	v_div_scale_f64 v[180:181], s[18:19], v[164:165], v[164:165], v[166:167]
	v_rcp_f64_e32 v[182:183], v[180:181]
	v_div_scale_f64 v[184:185], vcc, v[166:167], v[164:165], v[166:167]
	v_fma_f64 v[186:187], -v[180:181], v[182:183], 1.0
	v_fmac_f64_e32 v[182:183], v[182:183], v[186:187]
	v_fma_f64 v[186:187], -v[180:181], v[182:183], 1.0
	v_fmac_f64_e32 v[182:183], v[182:183], v[186:187]
	v_mul_f64 v[186:187], v[184:185], v[182:183]
	v_fma_f64 v[180:181], -v[180:181], v[186:187], v[184:185]
	v_div_fmas_f64 v[180:181], v[180:181], v[182:183], v[186:187]
	v_div_fixup_f64 v[180:181], v[180:181], v[164:165], v[166:167]
	v_fmac_f64_e32 v[164:165], v[166:167], v[180:181]
	v_div_scale_f64 v[166:167], s[18:19], v[164:165], v[164:165], 1.0
	v_rcp_f64_e32 v[182:183], v[166:167]
	s_nop 0
	v_fma_f64 v[184:185], -v[166:167], v[182:183], 1.0
	v_fmac_f64_e32 v[182:183], v[182:183], v[184:185]
	v_fma_f64 v[184:185], -v[166:167], v[182:183], 1.0
	v_fmac_f64_e32 v[182:183], v[182:183], v[184:185]
	v_div_scale_f64 v[184:185], vcc, 1.0, v[164:165], 1.0
	v_mul_f64 v[186:187], v[184:185], v[182:183]
	v_fma_f64 v[166:167], -v[166:167], v[186:187], v[184:185]
	s_nop 1
	v_div_fmas_f64 v[166:167], v[166:167], v[182:183], v[186:187]
	v_div_fixup_f64 v[164:165], v[166:167], v[164:165], 1.0
	v_mul_f64 v[166:167], v[180:181], -v[164:165]
.LBB80_282:
	s_or_b64 exec, exec, s[16:17]
.LBB80_283:
	s_or_b64 exec, exec, s[0:1]
	v_cmp_ne_u32_e32 vcc, v177, v174
	s_and_saveexec_b64 s[0:1], vcc
	s_xor_b64 s[0:1], exec, s[0:1]
	s_cbranch_execz .LBB80_289
; %bb.284:
	v_cmp_eq_u32_e32 vcc, 13, v177
	s_and_saveexec_b64 s[16:17], vcc
	s_cbranch_execz .LBB80_288
; %bb.285:
	v_cmp_ne_u32_e32 vcc, 13, v174
	s_xor_b64 s[18:19], s[14:15], -1
	s_and_b64 s[22:23], s[18:19], vcc
	s_and_saveexec_b64 s[18:19], s[22:23]
	s_cbranch_execz .LBB80_287
; %bb.286:
	v_ashrrev_i32_e32 v175, 31, v174
	v_lshl_add_u64 v[180:181], v[174:175], 2, v[172:173]
	global_load_dword v175, v[180:181], off
	global_load_dword v177, v[172:173], off offset:52
	s_waitcnt vmcnt(1)
	global_store_dword v[172:173], v175, off offset:52
	s_waitcnt vmcnt(1)
	global_store_dword v[180:181], v177, off
.LBB80_287:
	s_or_b64 exec, exec, s[18:19]
	v_mov_b32_e32 v177, v174
	v_mov_b32_e32 v179, v174
.LBB80_288:
	s_or_b64 exec, exec, s[16:17]
.LBB80_289:
	s_andn2_saveexec_b64 s[0:1], s[0:1]
	s_cbranch_execz .LBB80_291
; %bb.290:
	v_mov_b32_e32 v177, 13
	s_waitcnt vmcnt(26)
	ds_write2_b64 v176, v[104:105], v[106:107] offset0:28 offset1:29
	s_waitcnt vmcnt(25)
	ds_write2_b64 v176, v[96:97], v[98:99] offset0:30 offset1:31
	;; [unrolled: 2-line block ×27, first 2 shown]
.LBB80_291:
	s_or_b64 exec, exec, s[0:1]
	v_cmp_lt_i32_e32 vcc, 13, v177
	s_waitcnt lgkmcnt(0)
	s_barrier
	s_and_saveexec_b64 s[0:1], vcc
	s_cbranch_execz .LBB80_293
; %bb.292:
	ds_read2_b64 v[180:183], v176 offset0:28 offset1:29
	v_mul_f64 v[174:175], v[166:167], v[114:115]
	v_mul_f64 v[114:115], v[164:165], v[114:115]
	v_fmac_f64_e32 v[114:115], v[166:167], v[112:113]
	v_fma_f64 v[174:175], v[164:165], v[112:113], -v[174:175]
	ds_read2_b64 v[164:167], v176 offset0:30 offset1:31
	s_waitcnt lgkmcnt(1)
	v_mul_f64 v[112:113], v[182:183], v[114:115]
	v_fma_f64 v[112:113], v[180:181], v[174:175], -v[112:113]
	v_mul_f64 v[180:181], v[180:181], v[114:115]
	v_fmac_f64_e32 v[180:181], v[182:183], v[174:175]
	s_waitcnt vmcnt(26)
	v_add_f64 v[106:107], v[106:107], -v[180:181]
	ds_read2_b64 v[180:183], v176 offset0:32 offset1:33
	v_add_f64 v[104:105], v[104:105], -v[112:113]
	s_waitcnt lgkmcnt(1)
	v_mul_f64 v[112:113], v[166:167], v[114:115]
	v_fma_f64 v[112:113], v[164:165], v[174:175], -v[112:113]
	v_mul_f64 v[164:165], v[164:165], v[114:115]
	v_fmac_f64_e32 v[164:165], v[166:167], v[174:175]
	s_waitcnt vmcnt(25)
	v_add_f64 v[96:97], v[96:97], -v[112:113]
	v_add_f64 v[98:99], v[98:99], -v[164:165]
	ds_read2_b64 v[164:167], v176 offset0:34 offset1:35
	s_waitcnt lgkmcnt(1)
	v_mul_f64 v[112:113], v[182:183], v[114:115]
	v_fma_f64 v[112:113], v[180:181], v[174:175], -v[112:113]
	v_mul_f64 v[180:181], v[180:181], v[114:115]
	v_fmac_f64_e32 v[180:181], v[182:183], v[174:175]
	s_waitcnt vmcnt(24)
	v_add_f64 v[94:95], v[94:95], -v[180:181]
	ds_read2_b64 v[180:183], v176 offset0:36 offset1:37
	v_add_f64 v[92:93], v[92:93], -v[112:113]
	s_waitcnt lgkmcnt(1)
	v_mul_f64 v[112:113], v[166:167], v[114:115]
	v_fma_f64 v[112:113], v[164:165], v[174:175], -v[112:113]
	v_mul_f64 v[164:165], v[164:165], v[114:115]
	v_fmac_f64_e32 v[164:165], v[166:167], v[174:175]
	s_waitcnt vmcnt(23)
	v_add_f64 v[88:89], v[88:89], -v[112:113]
	v_add_f64 v[90:91], v[90:91], -v[164:165]
	;; [unrolled: 18-line block ×13, first 2 shown]
	s_waitcnt lgkmcnt(0)
	v_mul_f64 v[112:113], v[182:183], v[114:115]
	v_mul_f64 v[164:165], v[180:181], v[114:115]
	v_fma_f64 v[112:113], v[180:181], v[174:175], -v[112:113]
	v_fmac_f64_e32 v[164:165], v[182:183], v[174:175]
	s_waitcnt vmcnt(0)
	v_add_f64 v[160:161], v[160:161], -v[112:113]
	v_add_f64 v[162:163], v[162:163], -v[164:165]
	v_mov_b64_e32 v[112:113], v[174:175]
.LBB80_293:
	s_or_b64 exec, exec, s[0:1]
	v_lshl_add_u32 v164, v177, 4, v176
	s_barrier
	s_waitcnt vmcnt(26)
	ds_write2_b64 v164, v[104:105], v[106:107] offset1:1
	s_waitcnt lgkmcnt(0)
	s_barrier
	ds_read2_b64 v[164:167], v176 offset0:28 offset1:29
	s_cmp_lt_i32 s20, 16
	v_mov_b32_e32 v174, 14
	s_cbranch_scc1 .LBB80_296
; %bb.294:
	v_add_u32_e32 v175, 0xf0, v176
	s_mov_b32 s16, 15
	v_mov_b32_e32 v174, 14
.LBB80_295:                             ; =>This Inner Loop Header: Depth=1
	ds_read2_b64 v[180:183], v175 offset1:1
	s_waitcnt lgkmcnt(1)
	v_xor_b32_e32 v185, 0x80000000, v165
	v_xor_b32_e32 v187, 0x80000000, v167
	v_cmp_gt_f64_e32 vcc, 0, v[166:167]
	v_cmp_gt_f64_e64 s[0:1], 0, v[164:165]
	v_mov_b32_e32 v184, v164
	v_mov_b32_e32 v186, v166
	v_cndmask_b32_e64 v185, v165, v185, s[0:1]
	v_cndmask_b32_e32 v187, v167, v187, vcc
	v_add_f64 v[184:185], v[184:185], v[186:187]
	s_waitcnt lgkmcnt(0)
	v_xor_b32_e32 v187, 0x80000000, v181
	v_xor_b32_e32 v189, 0x80000000, v183
	v_cmp_gt_f64_e32 vcc, 0, v[182:183]
	v_cmp_gt_f64_e64 s[0:1], 0, v[180:181]
	v_mov_b32_e32 v186, v180
	v_mov_b32_e32 v188, v182
	v_cndmask_b32_e64 v187, v181, v187, s[0:1]
	v_cndmask_b32_e32 v189, v183, v189, vcc
	v_add_f64 v[186:187], v[186:187], v[188:189]
	v_mov_b32_e32 v190, s16
	s_add_i32 s16, s16, 1
	v_cmp_lt_f64_e32 vcc, v[184:185], v[186:187]
	v_add_u32_e32 v175, 16, v175
	s_cmp_lg_u32 s20, s16
	v_cndmask_b32_e32 v165, v165, v181, vcc
	v_cndmask_b32_e32 v164, v164, v180, vcc
	;; [unrolled: 1-line block ×5, first 2 shown]
	s_cbranch_scc1 .LBB80_295
.LBB80_296:
	s_waitcnt lgkmcnt(0)
	v_cmp_eq_f64_e32 vcc, 0, v[164:165]
	v_cmp_eq_f64_e64 s[0:1], 0, v[166:167]
	s_and_b64 s[0:1], vcc, s[0:1]
	s_and_saveexec_b64 s[16:17], s[0:1]
	s_xor_b64 s[0:1], exec, s[16:17]
; %bb.297:
	v_cmp_ne_u32_e32 vcc, 0, v178
	s_nop 1
	v_cndmask_b32_e32 v178, 15, v178, vcc
; %bb.298:
	s_andn2_saveexec_b64 s[0:1], s[0:1]
	s_cbranch_execz .LBB80_304
; %bb.299:
	v_cmp_ngt_f64_e64 s[16:17], |v[164:165]|, |v[166:167]|
	s_and_saveexec_b64 s[18:19], s[16:17]
	s_xor_b64 s[16:17], exec, s[18:19]
	s_cbranch_execz .LBB80_301
; %bb.300:
	v_div_scale_f64 v[180:181], s[18:19], v[166:167], v[166:167], v[164:165]
	v_rcp_f64_e32 v[182:183], v[180:181]
	v_div_scale_f64 v[184:185], vcc, v[164:165], v[166:167], v[164:165]
	v_fma_f64 v[186:187], -v[180:181], v[182:183], 1.0
	v_fmac_f64_e32 v[182:183], v[182:183], v[186:187]
	v_fma_f64 v[186:187], -v[180:181], v[182:183], 1.0
	v_fmac_f64_e32 v[182:183], v[182:183], v[186:187]
	v_mul_f64 v[186:187], v[184:185], v[182:183]
	v_fma_f64 v[180:181], -v[180:181], v[186:187], v[184:185]
	v_div_fmas_f64 v[180:181], v[180:181], v[182:183], v[186:187]
	v_div_fixup_f64 v[180:181], v[180:181], v[166:167], v[164:165]
	v_fmac_f64_e32 v[166:167], v[164:165], v[180:181]
	v_div_scale_f64 v[164:165], s[18:19], v[166:167], v[166:167], 1.0
	v_rcp_f64_e32 v[182:183], v[164:165]
	s_nop 0
	v_fma_f64 v[184:185], -v[164:165], v[182:183], 1.0
	v_fmac_f64_e32 v[182:183], v[182:183], v[184:185]
	v_fma_f64 v[184:185], -v[164:165], v[182:183], 1.0
	v_fmac_f64_e32 v[182:183], v[182:183], v[184:185]
	v_div_scale_f64 v[184:185], vcc, 1.0, v[166:167], 1.0
	v_mul_f64 v[186:187], v[184:185], v[182:183]
	v_fma_f64 v[164:165], -v[164:165], v[186:187], v[184:185]
	s_nop 1
	v_div_fmas_f64 v[164:165], v[164:165], v[182:183], v[186:187]
	v_div_fixup_f64 v[166:167], v[164:165], v[166:167], 1.0
	v_mul_f64 v[164:165], v[180:181], v[166:167]
	v_xor_b32_e32 v167, 0x80000000, v167
.LBB80_301:
	s_andn2_saveexec_b64 s[16:17], s[16:17]
	s_cbranch_execz .LBB80_303
; %bb.302:
	v_div_scale_f64 v[180:181], s[18:19], v[164:165], v[164:165], v[166:167]
	v_rcp_f64_e32 v[182:183], v[180:181]
	v_div_scale_f64 v[184:185], vcc, v[166:167], v[164:165], v[166:167]
	v_fma_f64 v[186:187], -v[180:181], v[182:183], 1.0
	v_fmac_f64_e32 v[182:183], v[182:183], v[186:187]
	v_fma_f64 v[186:187], -v[180:181], v[182:183], 1.0
	v_fmac_f64_e32 v[182:183], v[182:183], v[186:187]
	v_mul_f64 v[186:187], v[184:185], v[182:183]
	v_fma_f64 v[180:181], -v[180:181], v[186:187], v[184:185]
	v_div_fmas_f64 v[180:181], v[180:181], v[182:183], v[186:187]
	v_div_fixup_f64 v[180:181], v[180:181], v[164:165], v[166:167]
	v_fmac_f64_e32 v[164:165], v[166:167], v[180:181]
	v_div_scale_f64 v[166:167], s[18:19], v[164:165], v[164:165], 1.0
	v_rcp_f64_e32 v[182:183], v[166:167]
	s_nop 0
	v_fma_f64 v[184:185], -v[166:167], v[182:183], 1.0
	v_fmac_f64_e32 v[182:183], v[182:183], v[184:185]
	v_fma_f64 v[184:185], -v[166:167], v[182:183], 1.0
	v_fmac_f64_e32 v[182:183], v[182:183], v[184:185]
	v_div_scale_f64 v[184:185], vcc, 1.0, v[164:165], 1.0
	v_mul_f64 v[186:187], v[184:185], v[182:183]
	v_fma_f64 v[166:167], -v[166:167], v[186:187], v[184:185]
	s_nop 1
	v_div_fmas_f64 v[166:167], v[166:167], v[182:183], v[186:187]
	v_div_fixup_f64 v[164:165], v[166:167], v[164:165], 1.0
	v_mul_f64 v[166:167], v[180:181], -v[164:165]
.LBB80_303:
	s_or_b64 exec, exec, s[16:17]
.LBB80_304:
	s_or_b64 exec, exec, s[0:1]
	v_cmp_ne_u32_e32 vcc, v177, v174
	s_and_saveexec_b64 s[0:1], vcc
	s_xor_b64 s[0:1], exec, s[0:1]
	s_cbranch_execz .LBB80_310
; %bb.305:
	v_cmp_eq_u32_e32 vcc, 14, v177
	s_and_saveexec_b64 s[16:17], vcc
	s_cbranch_execz .LBB80_309
; %bb.306:
	v_cmp_ne_u32_e32 vcc, 14, v174
	s_xor_b64 s[18:19], s[14:15], -1
	s_and_b64 s[22:23], s[18:19], vcc
	s_and_saveexec_b64 s[18:19], s[22:23]
	s_cbranch_execz .LBB80_308
; %bb.307:
	v_ashrrev_i32_e32 v175, 31, v174
	v_lshl_add_u64 v[180:181], v[174:175], 2, v[172:173]
	global_load_dword v175, v[180:181], off
	global_load_dword v177, v[172:173], off offset:56
	s_waitcnt vmcnt(1)
	global_store_dword v[172:173], v175, off offset:56
	s_waitcnt vmcnt(1)
	global_store_dword v[180:181], v177, off
.LBB80_308:
	s_or_b64 exec, exec, s[18:19]
	v_mov_b32_e32 v177, v174
	v_mov_b32_e32 v179, v174
.LBB80_309:
	s_or_b64 exec, exec, s[16:17]
.LBB80_310:
	s_andn2_saveexec_b64 s[0:1], s[0:1]
	s_cbranch_execz .LBB80_312
; %bb.311:
	v_mov_b32_e32 v177, 14
	s_waitcnt vmcnt(25)
	ds_write2_b64 v176, v[96:97], v[98:99] offset0:30 offset1:31
	s_waitcnt vmcnt(24)
	ds_write2_b64 v176, v[92:93], v[94:95] offset0:32 offset1:33
	;; [unrolled: 2-line block ×26, first 2 shown]
.LBB80_312:
	s_or_b64 exec, exec, s[0:1]
	v_cmp_lt_i32_e32 vcc, 14, v177
	s_waitcnt lgkmcnt(0)
	s_barrier
	s_and_saveexec_b64 s[0:1], vcc
	s_cbranch_execz .LBB80_314
; %bb.313:
	ds_read2_b64 v[180:183], v176 offset0:30 offset1:31
	v_mul_f64 v[174:175], v[166:167], v[106:107]
	v_mul_f64 v[106:107], v[164:165], v[106:107]
	v_fma_f64 v[174:175], v[164:165], v[104:105], -v[174:175]
	v_fmac_f64_e32 v[106:107], v[166:167], v[104:105]
	ds_read2_b64 v[164:167], v176 offset0:32 offset1:33
	s_waitcnt lgkmcnt(1)
	v_mul_f64 v[104:105], v[182:183], v[106:107]
	v_fma_f64 v[104:105], v[180:181], v[174:175], -v[104:105]
	v_mul_f64 v[180:181], v[180:181], v[106:107]
	v_fmac_f64_e32 v[180:181], v[182:183], v[174:175]
	s_waitcnt vmcnt(25)
	v_add_f64 v[96:97], v[96:97], -v[104:105]
	s_waitcnt lgkmcnt(0)
	v_mul_f64 v[104:105], v[166:167], v[106:107]
	v_add_f64 v[98:99], v[98:99], -v[180:181]
	v_fma_f64 v[104:105], v[164:165], v[174:175], -v[104:105]
	v_mul_f64 v[164:165], v[164:165], v[106:107]
	ds_read2_b64 v[180:183], v176 offset0:34 offset1:35
	v_fmac_f64_e32 v[164:165], v[166:167], v[174:175]
	s_waitcnt vmcnt(24)
	v_add_f64 v[94:95], v[94:95], -v[164:165]
	ds_read2_b64 v[164:167], v176 offset0:36 offset1:37
	v_add_f64 v[92:93], v[92:93], -v[104:105]
	s_waitcnt lgkmcnt(1)
	v_mul_f64 v[104:105], v[182:183], v[106:107]
	v_fma_f64 v[104:105], v[180:181], v[174:175], -v[104:105]
	v_mul_f64 v[180:181], v[180:181], v[106:107]
	v_fmac_f64_e32 v[180:181], v[182:183], v[174:175]
	s_waitcnt vmcnt(23)
	v_add_f64 v[88:89], v[88:89], -v[104:105]
	s_waitcnt lgkmcnt(0)
	v_mul_f64 v[104:105], v[166:167], v[106:107]
	v_add_f64 v[90:91], v[90:91], -v[180:181]
	v_fma_f64 v[104:105], v[164:165], v[174:175], -v[104:105]
	v_mul_f64 v[164:165], v[164:165], v[106:107]
	ds_read2_b64 v[180:183], v176 offset0:38 offset1:39
	v_fmac_f64_e32 v[164:165], v[166:167], v[174:175]
	s_waitcnt vmcnt(22)
	v_add_f64 v[86:87], v[86:87], -v[164:165]
	ds_read2_b64 v[164:167], v176 offset0:40 offset1:41
	v_add_f64 v[84:85], v[84:85], -v[104:105]
	;; [unrolled: 18-line block ×12, first 2 shown]
	s_waitcnt lgkmcnt(1)
	v_mul_f64 v[104:105], v[182:183], v[106:107]
	v_fma_f64 v[104:105], v[180:181], v[174:175], -v[104:105]
	s_waitcnt vmcnt(1)
	v_add_f64 v[0:1], v[0:1], -v[104:105]
	s_waitcnt lgkmcnt(0)
	v_mul_f64 v[104:105], v[166:167], v[106:107]
	v_mul_f64 v[180:181], v[180:181], v[106:107]
	v_fma_f64 v[104:105], v[164:165], v[174:175], -v[104:105]
	v_mul_f64 v[164:165], v[164:165], v[106:107]
	v_fmac_f64_e32 v[180:181], v[182:183], v[174:175]
	v_fmac_f64_e32 v[164:165], v[166:167], v[174:175]
	v_add_f64 v[2:3], v[2:3], -v[180:181]
	s_waitcnt vmcnt(0)
	v_add_f64 v[160:161], v[160:161], -v[104:105]
	v_add_f64 v[162:163], v[162:163], -v[164:165]
	v_mov_b64_e32 v[104:105], v[174:175]
.LBB80_314:
	s_or_b64 exec, exec, s[0:1]
	v_lshl_add_u32 v164, v177, 4, v176
	s_barrier
	s_waitcnt vmcnt(25)
	ds_write2_b64 v164, v[96:97], v[98:99] offset1:1
	s_waitcnt lgkmcnt(0)
	s_barrier
	ds_read2_b64 v[164:167], v176 offset0:30 offset1:31
	s_cmp_lt_i32 s20, 17
	v_mov_b32_e32 v174, 15
	s_cbranch_scc1 .LBB80_317
; %bb.315:
	v_add_u32_e32 v175, 0x100, v176
	s_mov_b32 s16, 16
	v_mov_b32_e32 v174, 15
.LBB80_316:                             ; =>This Inner Loop Header: Depth=1
	ds_read2_b64 v[180:183], v175 offset1:1
	s_waitcnt lgkmcnt(1)
	v_xor_b32_e32 v185, 0x80000000, v165
	v_xor_b32_e32 v187, 0x80000000, v167
	v_cmp_gt_f64_e32 vcc, 0, v[166:167]
	v_cmp_gt_f64_e64 s[0:1], 0, v[164:165]
	v_mov_b32_e32 v184, v164
	v_mov_b32_e32 v186, v166
	v_cndmask_b32_e64 v185, v165, v185, s[0:1]
	v_cndmask_b32_e32 v187, v167, v187, vcc
	v_add_f64 v[184:185], v[184:185], v[186:187]
	s_waitcnt lgkmcnt(0)
	v_xor_b32_e32 v187, 0x80000000, v181
	v_xor_b32_e32 v189, 0x80000000, v183
	v_cmp_gt_f64_e32 vcc, 0, v[182:183]
	v_cmp_gt_f64_e64 s[0:1], 0, v[180:181]
	v_mov_b32_e32 v186, v180
	v_mov_b32_e32 v188, v182
	v_cndmask_b32_e64 v187, v181, v187, s[0:1]
	v_cndmask_b32_e32 v189, v183, v189, vcc
	v_add_f64 v[186:187], v[186:187], v[188:189]
	v_mov_b32_e32 v190, s16
	s_add_i32 s16, s16, 1
	v_cmp_lt_f64_e32 vcc, v[184:185], v[186:187]
	v_add_u32_e32 v175, 16, v175
	s_cmp_lg_u32 s20, s16
	v_cndmask_b32_e32 v165, v165, v181, vcc
	v_cndmask_b32_e32 v164, v164, v180, vcc
	;; [unrolled: 1-line block ×5, first 2 shown]
	s_cbranch_scc1 .LBB80_316
.LBB80_317:
	s_waitcnt lgkmcnt(0)
	v_cmp_eq_f64_e32 vcc, 0, v[164:165]
	v_cmp_eq_f64_e64 s[0:1], 0, v[166:167]
	s_and_b64 s[0:1], vcc, s[0:1]
	s_and_saveexec_b64 s[16:17], s[0:1]
	s_xor_b64 s[0:1], exec, s[16:17]
; %bb.318:
	v_cmp_ne_u32_e32 vcc, 0, v178
	s_nop 1
	v_cndmask_b32_e32 v178, 16, v178, vcc
; %bb.319:
	s_andn2_saveexec_b64 s[0:1], s[0:1]
	s_cbranch_execz .LBB80_325
; %bb.320:
	v_cmp_ngt_f64_e64 s[16:17], |v[164:165]|, |v[166:167]|
	s_and_saveexec_b64 s[18:19], s[16:17]
	s_xor_b64 s[16:17], exec, s[18:19]
	s_cbranch_execz .LBB80_322
; %bb.321:
	v_div_scale_f64 v[180:181], s[18:19], v[166:167], v[166:167], v[164:165]
	v_rcp_f64_e32 v[182:183], v[180:181]
	v_div_scale_f64 v[184:185], vcc, v[164:165], v[166:167], v[164:165]
	v_fma_f64 v[186:187], -v[180:181], v[182:183], 1.0
	v_fmac_f64_e32 v[182:183], v[182:183], v[186:187]
	v_fma_f64 v[186:187], -v[180:181], v[182:183], 1.0
	v_fmac_f64_e32 v[182:183], v[182:183], v[186:187]
	v_mul_f64 v[186:187], v[184:185], v[182:183]
	v_fma_f64 v[180:181], -v[180:181], v[186:187], v[184:185]
	v_div_fmas_f64 v[180:181], v[180:181], v[182:183], v[186:187]
	v_div_fixup_f64 v[180:181], v[180:181], v[166:167], v[164:165]
	v_fmac_f64_e32 v[166:167], v[164:165], v[180:181]
	v_div_scale_f64 v[164:165], s[18:19], v[166:167], v[166:167], 1.0
	v_rcp_f64_e32 v[182:183], v[164:165]
	s_nop 0
	v_fma_f64 v[184:185], -v[164:165], v[182:183], 1.0
	v_fmac_f64_e32 v[182:183], v[182:183], v[184:185]
	v_fma_f64 v[184:185], -v[164:165], v[182:183], 1.0
	v_fmac_f64_e32 v[182:183], v[182:183], v[184:185]
	v_div_scale_f64 v[184:185], vcc, 1.0, v[166:167], 1.0
	v_mul_f64 v[186:187], v[184:185], v[182:183]
	v_fma_f64 v[164:165], -v[164:165], v[186:187], v[184:185]
	s_nop 1
	v_div_fmas_f64 v[164:165], v[164:165], v[182:183], v[186:187]
	v_div_fixup_f64 v[166:167], v[164:165], v[166:167], 1.0
	v_mul_f64 v[164:165], v[180:181], v[166:167]
	v_xor_b32_e32 v167, 0x80000000, v167
.LBB80_322:
	s_andn2_saveexec_b64 s[16:17], s[16:17]
	s_cbranch_execz .LBB80_324
; %bb.323:
	v_div_scale_f64 v[180:181], s[18:19], v[164:165], v[164:165], v[166:167]
	v_rcp_f64_e32 v[182:183], v[180:181]
	v_div_scale_f64 v[184:185], vcc, v[166:167], v[164:165], v[166:167]
	v_fma_f64 v[186:187], -v[180:181], v[182:183], 1.0
	v_fmac_f64_e32 v[182:183], v[182:183], v[186:187]
	v_fma_f64 v[186:187], -v[180:181], v[182:183], 1.0
	v_fmac_f64_e32 v[182:183], v[182:183], v[186:187]
	v_mul_f64 v[186:187], v[184:185], v[182:183]
	v_fma_f64 v[180:181], -v[180:181], v[186:187], v[184:185]
	v_div_fmas_f64 v[180:181], v[180:181], v[182:183], v[186:187]
	v_div_fixup_f64 v[180:181], v[180:181], v[164:165], v[166:167]
	v_fmac_f64_e32 v[164:165], v[166:167], v[180:181]
	v_div_scale_f64 v[166:167], s[18:19], v[164:165], v[164:165], 1.0
	v_rcp_f64_e32 v[182:183], v[166:167]
	s_nop 0
	v_fma_f64 v[184:185], -v[166:167], v[182:183], 1.0
	v_fmac_f64_e32 v[182:183], v[182:183], v[184:185]
	v_fma_f64 v[184:185], -v[166:167], v[182:183], 1.0
	v_fmac_f64_e32 v[182:183], v[182:183], v[184:185]
	v_div_scale_f64 v[184:185], vcc, 1.0, v[164:165], 1.0
	v_mul_f64 v[186:187], v[184:185], v[182:183]
	v_fma_f64 v[166:167], -v[166:167], v[186:187], v[184:185]
	s_nop 1
	v_div_fmas_f64 v[166:167], v[166:167], v[182:183], v[186:187]
	v_div_fixup_f64 v[164:165], v[166:167], v[164:165], 1.0
	v_mul_f64 v[166:167], v[180:181], -v[164:165]
.LBB80_324:
	s_or_b64 exec, exec, s[16:17]
.LBB80_325:
	s_or_b64 exec, exec, s[0:1]
	v_cmp_ne_u32_e32 vcc, v177, v174
	s_and_saveexec_b64 s[0:1], vcc
	s_xor_b64 s[0:1], exec, s[0:1]
	s_cbranch_execz .LBB80_331
; %bb.326:
	v_cmp_eq_u32_e32 vcc, 15, v177
	s_and_saveexec_b64 s[16:17], vcc
	s_cbranch_execz .LBB80_330
; %bb.327:
	v_cmp_ne_u32_e32 vcc, 15, v174
	s_xor_b64 s[18:19], s[14:15], -1
	s_and_b64 s[22:23], s[18:19], vcc
	s_and_saveexec_b64 s[18:19], s[22:23]
	s_cbranch_execz .LBB80_329
; %bb.328:
	v_ashrrev_i32_e32 v175, 31, v174
	v_lshl_add_u64 v[180:181], v[174:175], 2, v[172:173]
	global_load_dword v175, v[180:181], off
	global_load_dword v177, v[172:173], off offset:60
	s_waitcnt vmcnt(1)
	global_store_dword v[172:173], v175, off offset:60
	s_waitcnt vmcnt(1)
	global_store_dword v[180:181], v177, off
.LBB80_329:
	s_or_b64 exec, exec, s[18:19]
	v_mov_b32_e32 v177, v174
	v_mov_b32_e32 v179, v174
.LBB80_330:
	s_or_b64 exec, exec, s[16:17]
.LBB80_331:
	s_andn2_saveexec_b64 s[0:1], s[0:1]
	s_cbranch_execz .LBB80_333
; %bb.332:
	v_mov_b32_e32 v177, 15
	s_waitcnt vmcnt(24)
	ds_write2_b64 v176, v[92:93], v[94:95] offset0:32 offset1:33
	s_waitcnt vmcnt(23)
	ds_write2_b64 v176, v[88:89], v[90:91] offset0:34 offset1:35
	;; [unrolled: 2-line block ×25, first 2 shown]
.LBB80_333:
	s_or_b64 exec, exec, s[0:1]
	v_cmp_lt_i32_e32 vcc, 15, v177
	s_waitcnt lgkmcnt(0)
	s_barrier
	s_and_saveexec_b64 s[0:1], vcc
	s_cbranch_execz .LBB80_335
; %bb.334:
	ds_read2_b64 v[180:183], v176 offset0:32 offset1:33
	v_mul_f64 v[174:175], v[166:167], v[98:99]
	v_mul_f64 v[98:99], v[164:165], v[98:99]
	v_fmac_f64_e32 v[98:99], v[166:167], v[96:97]
	v_fma_f64 v[174:175], v[164:165], v[96:97], -v[174:175]
	ds_read2_b64 v[164:167], v176 offset0:34 offset1:35
	s_waitcnt lgkmcnt(1)
	v_mul_f64 v[96:97], v[182:183], v[98:99]
	v_fma_f64 v[96:97], v[180:181], v[174:175], -v[96:97]
	v_mul_f64 v[180:181], v[180:181], v[98:99]
	v_fmac_f64_e32 v[180:181], v[182:183], v[174:175]
	s_waitcnt vmcnt(24)
	v_add_f64 v[94:95], v[94:95], -v[180:181]
	ds_read2_b64 v[180:183], v176 offset0:36 offset1:37
	v_add_f64 v[92:93], v[92:93], -v[96:97]
	s_waitcnt lgkmcnt(1)
	v_mul_f64 v[96:97], v[166:167], v[98:99]
	v_fma_f64 v[96:97], v[164:165], v[174:175], -v[96:97]
	v_mul_f64 v[164:165], v[164:165], v[98:99]
	v_fmac_f64_e32 v[164:165], v[166:167], v[174:175]
	s_waitcnt vmcnt(23)
	v_add_f64 v[88:89], v[88:89], -v[96:97]
	v_add_f64 v[90:91], v[90:91], -v[164:165]
	ds_read2_b64 v[164:167], v176 offset0:38 offset1:39
	s_waitcnt lgkmcnt(1)
	v_mul_f64 v[96:97], v[182:183], v[98:99]
	v_fma_f64 v[96:97], v[180:181], v[174:175], -v[96:97]
	v_mul_f64 v[180:181], v[180:181], v[98:99]
	v_fmac_f64_e32 v[180:181], v[182:183], v[174:175]
	s_waitcnt vmcnt(22)
	v_add_f64 v[86:87], v[86:87], -v[180:181]
	ds_read2_b64 v[180:183], v176 offset0:40 offset1:41
	v_add_f64 v[84:85], v[84:85], -v[96:97]
	s_waitcnt lgkmcnt(1)
	v_mul_f64 v[96:97], v[166:167], v[98:99]
	v_fma_f64 v[96:97], v[164:165], v[174:175], -v[96:97]
	v_mul_f64 v[164:165], v[164:165], v[98:99]
	v_fmac_f64_e32 v[164:165], v[166:167], v[174:175]
	s_waitcnt vmcnt(21)
	v_add_f64 v[80:81], v[80:81], -v[96:97]
	v_add_f64 v[82:83], v[82:83], -v[164:165]
	;; [unrolled: 18-line block ×12, first 2 shown]
	s_waitcnt lgkmcnt(0)
	v_mul_f64 v[96:97], v[182:183], v[98:99]
	v_mul_f64 v[164:165], v[180:181], v[98:99]
	v_fma_f64 v[96:97], v[180:181], v[174:175], -v[96:97]
	v_fmac_f64_e32 v[164:165], v[182:183], v[174:175]
	s_waitcnt vmcnt(0)
	v_add_f64 v[160:161], v[160:161], -v[96:97]
	v_add_f64 v[162:163], v[162:163], -v[164:165]
	v_mov_b64_e32 v[96:97], v[174:175]
.LBB80_335:
	s_or_b64 exec, exec, s[0:1]
	v_lshl_add_u32 v164, v177, 4, v176
	s_barrier
	s_waitcnt vmcnt(24)
	ds_write2_b64 v164, v[92:93], v[94:95] offset1:1
	s_waitcnt lgkmcnt(0)
	s_barrier
	ds_read2_b64 v[164:167], v176 offset0:32 offset1:33
	s_cmp_lt_i32 s20, 18
	v_mov_b32_e32 v174, 16
	s_cbranch_scc1 .LBB80_338
; %bb.336:
	v_add_u32_e32 v175, 0x110, v176
	s_mov_b32 s16, 17
	v_mov_b32_e32 v174, 16
.LBB80_337:                             ; =>This Inner Loop Header: Depth=1
	ds_read2_b64 v[180:183], v175 offset1:1
	s_waitcnt lgkmcnt(1)
	v_xor_b32_e32 v185, 0x80000000, v165
	v_xor_b32_e32 v187, 0x80000000, v167
	v_cmp_gt_f64_e32 vcc, 0, v[166:167]
	v_cmp_gt_f64_e64 s[0:1], 0, v[164:165]
	v_mov_b32_e32 v184, v164
	v_mov_b32_e32 v186, v166
	v_cndmask_b32_e64 v185, v165, v185, s[0:1]
	v_cndmask_b32_e32 v187, v167, v187, vcc
	v_add_f64 v[184:185], v[184:185], v[186:187]
	s_waitcnt lgkmcnt(0)
	v_xor_b32_e32 v187, 0x80000000, v181
	v_xor_b32_e32 v189, 0x80000000, v183
	v_cmp_gt_f64_e32 vcc, 0, v[182:183]
	v_cmp_gt_f64_e64 s[0:1], 0, v[180:181]
	v_mov_b32_e32 v186, v180
	v_mov_b32_e32 v188, v182
	v_cndmask_b32_e64 v187, v181, v187, s[0:1]
	v_cndmask_b32_e32 v189, v183, v189, vcc
	v_add_f64 v[186:187], v[186:187], v[188:189]
	v_mov_b32_e32 v190, s16
	s_add_i32 s16, s16, 1
	v_cmp_lt_f64_e32 vcc, v[184:185], v[186:187]
	v_add_u32_e32 v175, 16, v175
	s_cmp_lg_u32 s20, s16
	v_cndmask_b32_e32 v165, v165, v181, vcc
	v_cndmask_b32_e32 v164, v164, v180, vcc
	;; [unrolled: 1-line block ×5, first 2 shown]
	s_cbranch_scc1 .LBB80_337
.LBB80_338:
	s_waitcnt lgkmcnt(0)
	v_cmp_eq_f64_e32 vcc, 0, v[164:165]
	v_cmp_eq_f64_e64 s[0:1], 0, v[166:167]
	s_and_b64 s[0:1], vcc, s[0:1]
	s_and_saveexec_b64 s[16:17], s[0:1]
	s_xor_b64 s[0:1], exec, s[16:17]
; %bb.339:
	v_cmp_ne_u32_e32 vcc, 0, v178
	s_nop 1
	v_cndmask_b32_e32 v178, 17, v178, vcc
; %bb.340:
	s_andn2_saveexec_b64 s[0:1], s[0:1]
	s_cbranch_execz .LBB80_346
; %bb.341:
	v_cmp_ngt_f64_e64 s[16:17], |v[164:165]|, |v[166:167]|
	s_and_saveexec_b64 s[18:19], s[16:17]
	s_xor_b64 s[16:17], exec, s[18:19]
	s_cbranch_execz .LBB80_343
; %bb.342:
	v_div_scale_f64 v[180:181], s[18:19], v[166:167], v[166:167], v[164:165]
	v_rcp_f64_e32 v[182:183], v[180:181]
	v_div_scale_f64 v[184:185], vcc, v[164:165], v[166:167], v[164:165]
	v_fma_f64 v[186:187], -v[180:181], v[182:183], 1.0
	v_fmac_f64_e32 v[182:183], v[182:183], v[186:187]
	v_fma_f64 v[186:187], -v[180:181], v[182:183], 1.0
	v_fmac_f64_e32 v[182:183], v[182:183], v[186:187]
	v_mul_f64 v[186:187], v[184:185], v[182:183]
	v_fma_f64 v[180:181], -v[180:181], v[186:187], v[184:185]
	v_div_fmas_f64 v[180:181], v[180:181], v[182:183], v[186:187]
	v_div_fixup_f64 v[180:181], v[180:181], v[166:167], v[164:165]
	v_fmac_f64_e32 v[166:167], v[164:165], v[180:181]
	v_div_scale_f64 v[164:165], s[18:19], v[166:167], v[166:167], 1.0
	v_rcp_f64_e32 v[182:183], v[164:165]
	s_nop 0
	v_fma_f64 v[184:185], -v[164:165], v[182:183], 1.0
	v_fmac_f64_e32 v[182:183], v[182:183], v[184:185]
	v_fma_f64 v[184:185], -v[164:165], v[182:183], 1.0
	v_fmac_f64_e32 v[182:183], v[182:183], v[184:185]
	v_div_scale_f64 v[184:185], vcc, 1.0, v[166:167], 1.0
	v_mul_f64 v[186:187], v[184:185], v[182:183]
	v_fma_f64 v[164:165], -v[164:165], v[186:187], v[184:185]
	s_nop 1
	v_div_fmas_f64 v[164:165], v[164:165], v[182:183], v[186:187]
	v_div_fixup_f64 v[166:167], v[164:165], v[166:167], 1.0
	v_mul_f64 v[164:165], v[180:181], v[166:167]
	v_xor_b32_e32 v167, 0x80000000, v167
.LBB80_343:
	s_andn2_saveexec_b64 s[16:17], s[16:17]
	s_cbranch_execz .LBB80_345
; %bb.344:
	v_div_scale_f64 v[180:181], s[18:19], v[164:165], v[164:165], v[166:167]
	v_rcp_f64_e32 v[182:183], v[180:181]
	v_div_scale_f64 v[184:185], vcc, v[166:167], v[164:165], v[166:167]
	v_fma_f64 v[186:187], -v[180:181], v[182:183], 1.0
	v_fmac_f64_e32 v[182:183], v[182:183], v[186:187]
	v_fma_f64 v[186:187], -v[180:181], v[182:183], 1.0
	v_fmac_f64_e32 v[182:183], v[182:183], v[186:187]
	v_mul_f64 v[186:187], v[184:185], v[182:183]
	v_fma_f64 v[180:181], -v[180:181], v[186:187], v[184:185]
	v_div_fmas_f64 v[180:181], v[180:181], v[182:183], v[186:187]
	v_div_fixup_f64 v[180:181], v[180:181], v[164:165], v[166:167]
	v_fmac_f64_e32 v[164:165], v[166:167], v[180:181]
	v_div_scale_f64 v[166:167], s[18:19], v[164:165], v[164:165], 1.0
	v_rcp_f64_e32 v[182:183], v[166:167]
	s_nop 0
	v_fma_f64 v[184:185], -v[166:167], v[182:183], 1.0
	v_fmac_f64_e32 v[182:183], v[182:183], v[184:185]
	v_fma_f64 v[184:185], -v[166:167], v[182:183], 1.0
	v_fmac_f64_e32 v[182:183], v[182:183], v[184:185]
	v_div_scale_f64 v[184:185], vcc, 1.0, v[164:165], 1.0
	v_mul_f64 v[186:187], v[184:185], v[182:183]
	v_fma_f64 v[166:167], -v[166:167], v[186:187], v[184:185]
	s_nop 1
	v_div_fmas_f64 v[166:167], v[166:167], v[182:183], v[186:187]
	v_div_fixup_f64 v[164:165], v[166:167], v[164:165], 1.0
	v_mul_f64 v[166:167], v[180:181], -v[164:165]
.LBB80_345:
	s_or_b64 exec, exec, s[16:17]
.LBB80_346:
	s_or_b64 exec, exec, s[0:1]
	v_cmp_ne_u32_e32 vcc, v177, v174
	s_and_saveexec_b64 s[0:1], vcc
	s_xor_b64 s[0:1], exec, s[0:1]
	s_cbranch_execz .LBB80_352
; %bb.347:
	v_cmp_eq_u32_e32 vcc, 16, v177
	s_and_saveexec_b64 s[16:17], vcc
	s_cbranch_execz .LBB80_351
; %bb.348:
	v_cmp_ne_u32_e32 vcc, 16, v174
	s_xor_b64 s[18:19], s[14:15], -1
	s_and_b64 s[22:23], s[18:19], vcc
	s_and_saveexec_b64 s[18:19], s[22:23]
	s_cbranch_execz .LBB80_350
; %bb.349:
	v_ashrrev_i32_e32 v175, 31, v174
	v_lshl_add_u64 v[180:181], v[174:175], 2, v[172:173]
	global_load_dword v175, v[180:181], off
	global_load_dword v177, v[172:173], off offset:64
	s_waitcnt vmcnt(1)
	global_store_dword v[172:173], v175, off offset:64
	s_waitcnt vmcnt(1)
	global_store_dword v[180:181], v177, off
.LBB80_350:
	s_or_b64 exec, exec, s[18:19]
	v_mov_b32_e32 v177, v174
	v_mov_b32_e32 v179, v174
.LBB80_351:
	s_or_b64 exec, exec, s[16:17]
.LBB80_352:
	s_andn2_saveexec_b64 s[0:1], s[0:1]
	s_cbranch_execz .LBB80_354
; %bb.353:
	v_mov_b32_e32 v177, 16
	s_waitcnt vmcnt(23)
	ds_write2_b64 v176, v[88:89], v[90:91] offset0:34 offset1:35
	s_waitcnt vmcnt(22)
	ds_write2_b64 v176, v[84:85], v[86:87] offset0:36 offset1:37
	;; [unrolled: 2-line block ×24, first 2 shown]
.LBB80_354:
	s_or_b64 exec, exec, s[0:1]
	v_cmp_lt_i32_e32 vcc, 16, v177
	s_waitcnt lgkmcnt(0)
	s_barrier
	s_and_saveexec_b64 s[0:1], vcc
	s_cbranch_execz .LBB80_356
; %bb.355:
	ds_read2_b64 v[180:183], v176 offset0:34 offset1:35
	v_mul_f64 v[174:175], v[166:167], v[94:95]
	v_mul_f64 v[94:95], v[164:165], v[94:95]
	v_fma_f64 v[174:175], v[164:165], v[92:93], -v[174:175]
	v_fmac_f64_e32 v[94:95], v[166:167], v[92:93]
	ds_read2_b64 v[164:167], v176 offset0:36 offset1:37
	s_waitcnt lgkmcnt(1)
	v_mul_f64 v[92:93], v[182:183], v[94:95]
	v_fma_f64 v[92:93], v[180:181], v[174:175], -v[92:93]
	v_mul_f64 v[180:181], v[180:181], v[94:95]
	v_fmac_f64_e32 v[180:181], v[182:183], v[174:175]
	s_waitcnt vmcnt(23)
	v_add_f64 v[88:89], v[88:89], -v[92:93]
	s_waitcnt lgkmcnt(0)
	v_mul_f64 v[92:93], v[166:167], v[94:95]
	v_add_f64 v[90:91], v[90:91], -v[180:181]
	v_fma_f64 v[92:93], v[164:165], v[174:175], -v[92:93]
	v_mul_f64 v[164:165], v[164:165], v[94:95]
	ds_read2_b64 v[180:183], v176 offset0:38 offset1:39
	v_fmac_f64_e32 v[164:165], v[166:167], v[174:175]
	s_waitcnt vmcnt(22)
	v_add_f64 v[86:87], v[86:87], -v[164:165]
	ds_read2_b64 v[164:167], v176 offset0:40 offset1:41
	v_add_f64 v[84:85], v[84:85], -v[92:93]
	s_waitcnt lgkmcnt(1)
	v_mul_f64 v[92:93], v[182:183], v[94:95]
	v_fma_f64 v[92:93], v[180:181], v[174:175], -v[92:93]
	v_mul_f64 v[180:181], v[180:181], v[94:95]
	v_fmac_f64_e32 v[180:181], v[182:183], v[174:175]
	s_waitcnt vmcnt(21)
	v_add_f64 v[80:81], v[80:81], -v[92:93]
	s_waitcnt lgkmcnt(0)
	v_mul_f64 v[92:93], v[166:167], v[94:95]
	v_add_f64 v[82:83], v[82:83], -v[180:181]
	v_fma_f64 v[92:93], v[164:165], v[174:175], -v[92:93]
	v_mul_f64 v[164:165], v[164:165], v[94:95]
	ds_read2_b64 v[180:183], v176 offset0:42 offset1:43
	v_fmac_f64_e32 v[164:165], v[166:167], v[174:175]
	s_waitcnt vmcnt(20)
	v_add_f64 v[78:79], v[78:79], -v[164:165]
	ds_read2_b64 v[164:167], v176 offset0:44 offset1:45
	v_add_f64 v[76:77], v[76:77], -v[92:93]
	;; [unrolled: 18-line block ×11, first 2 shown]
	s_waitcnt lgkmcnt(1)
	v_mul_f64 v[92:93], v[182:183], v[94:95]
	v_fma_f64 v[92:93], v[180:181], v[174:175], -v[92:93]
	s_waitcnt vmcnt(1)
	v_add_f64 v[0:1], v[0:1], -v[92:93]
	s_waitcnt lgkmcnt(0)
	v_mul_f64 v[92:93], v[166:167], v[94:95]
	v_mul_f64 v[180:181], v[180:181], v[94:95]
	v_fma_f64 v[92:93], v[164:165], v[174:175], -v[92:93]
	v_mul_f64 v[164:165], v[164:165], v[94:95]
	v_fmac_f64_e32 v[180:181], v[182:183], v[174:175]
	v_fmac_f64_e32 v[164:165], v[166:167], v[174:175]
	v_add_f64 v[2:3], v[2:3], -v[180:181]
	s_waitcnt vmcnt(0)
	v_add_f64 v[160:161], v[160:161], -v[92:93]
	v_add_f64 v[162:163], v[162:163], -v[164:165]
	v_mov_b64_e32 v[92:93], v[174:175]
.LBB80_356:
	s_or_b64 exec, exec, s[0:1]
	v_lshl_add_u32 v164, v177, 4, v176
	s_barrier
	s_waitcnt vmcnt(23)
	ds_write2_b64 v164, v[88:89], v[90:91] offset1:1
	s_waitcnt lgkmcnt(0)
	s_barrier
	ds_read2_b64 v[164:167], v176 offset0:34 offset1:35
	s_cmp_lt_i32 s20, 19
	v_mov_b32_e32 v174, 17
	s_cbranch_scc1 .LBB80_359
; %bb.357:
	v_add_u32_e32 v175, 0x120, v176
	s_mov_b32 s16, 18
	v_mov_b32_e32 v174, 17
.LBB80_358:                             ; =>This Inner Loop Header: Depth=1
	ds_read2_b64 v[180:183], v175 offset1:1
	s_waitcnt lgkmcnt(1)
	v_xor_b32_e32 v185, 0x80000000, v165
	v_xor_b32_e32 v187, 0x80000000, v167
	v_cmp_gt_f64_e32 vcc, 0, v[166:167]
	v_cmp_gt_f64_e64 s[0:1], 0, v[164:165]
	v_mov_b32_e32 v184, v164
	v_mov_b32_e32 v186, v166
	v_cndmask_b32_e64 v185, v165, v185, s[0:1]
	v_cndmask_b32_e32 v187, v167, v187, vcc
	v_add_f64 v[184:185], v[184:185], v[186:187]
	s_waitcnt lgkmcnt(0)
	v_xor_b32_e32 v187, 0x80000000, v181
	v_xor_b32_e32 v189, 0x80000000, v183
	v_cmp_gt_f64_e32 vcc, 0, v[182:183]
	v_cmp_gt_f64_e64 s[0:1], 0, v[180:181]
	v_mov_b32_e32 v186, v180
	v_mov_b32_e32 v188, v182
	v_cndmask_b32_e64 v187, v181, v187, s[0:1]
	v_cndmask_b32_e32 v189, v183, v189, vcc
	v_add_f64 v[186:187], v[186:187], v[188:189]
	v_mov_b32_e32 v190, s16
	s_add_i32 s16, s16, 1
	v_cmp_lt_f64_e32 vcc, v[184:185], v[186:187]
	v_add_u32_e32 v175, 16, v175
	s_cmp_lg_u32 s20, s16
	v_cndmask_b32_e32 v165, v165, v181, vcc
	v_cndmask_b32_e32 v164, v164, v180, vcc
	;; [unrolled: 1-line block ×5, first 2 shown]
	s_cbranch_scc1 .LBB80_358
.LBB80_359:
	s_waitcnt lgkmcnt(0)
	v_cmp_eq_f64_e32 vcc, 0, v[164:165]
	v_cmp_eq_f64_e64 s[0:1], 0, v[166:167]
	s_and_b64 s[0:1], vcc, s[0:1]
	s_and_saveexec_b64 s[16:17], s[0:1]
	s_xor_b64 s[0:1], exec, s[16:17]
; %bb.360:
	v_cmp_ne_u32_e32 vcc, 0, v178
	s_nop 1
	v_cndmask_b32_e32 v178, 18, v178, vcc
; %bb.361:
	s_andn2_saveexec_b64 s[0:1], s[0:1]
	s_cbranch_execz .LBB80_367
; %bb.362:
	v_cmp_ngt_f64_e64 s[16:17], |v[164:165]|, |v[166:167]|
	s_and_saveexec_b64 s[18:19], s[16:17]
	s_xor_b64 s[16:17], exec, s[18:19]
	s_cbranch_execz .LBB80_364
; %bb.363:
	v_div_scale_f64 v[180:181], s[18:19], v[166:167], v[166:167], v[164:165]
	v_rcp_f64_e32 v[182:183], v[180:181]
	v_div_scale_f64 v[184:185], vcc, v[164:165], v[166:167], v[164:165]
	v_fma_f64 v[186:187], -v[180:181], v[182:183], 1.0
	v_fmac_f64_e32 v[182:183], v[182:183], v[186:187]
	v_fma_f64 v[186:187], -v[180:181], v[182:183], 1.0
	v_fmac_f64_e32 v[182:183], v[182:183], v[186:187]
	v_mul_f64 v[186:187], v[184:185], v[182:183]
	v_fma_f64 v[180:181], -v[180:181], v[186:187], v[184:185]
	v_div_fmas_f64 v[180:181], v[180:181], v[182:183], v[186:187]
	v_div_fixup_f64 v[180:181], v[180:181], v[166:167], v[164:165]
	v_fmac_f64_e32 v[166:167], v[164:165], v[180:181]
	v_div_scale_f64 v[164:165], s[18:19], v[166:167], v[166:167], 1.0
	v_rcp_f64_e32 v[182:183], v[164:165]
	s_nop 0
	v_fma_f64 v[184:185], -v[164:165], v[182:183], 1.0
	v_fmac_f64_e32 v[182:183], v[182:183], v[184:185]
	v_fma_f64 v[184:185], -v[164:165], v[182:183], 1.0
	v_fmac_f64_e32 v[182:183], v[182:183], v[184:185]
	v_div_scale_f64 v[184:185], vcc, 1.0, v[166:167], 1.0
	v_mul_f64 v[186:187], v[184:185], v[182:183]
	v_fma_f64 v[164:165], -v[164:165], v[186:187], v[184:185]
	s_nop 1
	v_div_fmas_f64 v[164:165], v[164:165], v[182:183], v[186:187]
	v_div_fixup_f64 v[166:167], v[164:165], v[166:167], 1.0
	v_mul_f64 v[164:165], v[180:181], v[166:167]
	v_xor_b32_e32 v167, 0x80000000, v167
.LBB80_364:
	s_andn2_saveexec_b64 s[16:17], s[16:17]
	s_cbranch_execz .LBB80_366
; %bb.365:
	v_div_scale_f64 v[180:181], s[18:19], v[164:165], v[164:165], v[166:167]
	v_rcp_f64_e32 v[182:183], v[180:181]
	v_div_scale_f64 v[184:185], vcc, v[166:167], v[164:165], v[166:167]
	v_fma_f64 v[186:187], -v[180:181], v[182:183], 1.0
	v_fmac_f64_e32 v[182:183], v[182:183], v[186:187]
	v_fma_f64 v[186:187], -v[180:181], v[182:183], 1.0
	v_fmac_f64_e32 v[182:183], v[182:183], v[186:187]
	v_mul_f64 v[186:187], v[184:185], v[182:183]
	v_fma_f64 v[180:181], -v[180:181], v[186:187], v[184:185]
	v_div_fmas_f64 v[180:181], v[180:181], v[182:183], v[186:187]
	v_div_fixup_f64 v[180:181], v[180:181], v[164:165], v[166:167]
	v_fmac_f64_e32 v[164:165], v[166:167], v[180:181]
	v_div_scale_f64 v[166:167], s[18:19], v[164:165], v[164:165], 1.0
	v_rcp_f64_e32 v[182:183], v[166:167]
	s_nop 0
	v_fma_f64 v[184:185], -v[166:167], v[182:183], 1.0
	v_fmac_f64_e32 v[182:183], v[182:183], v[184:185]
	v_fma_f64 v[184:185], -v[166:167], v[182:183], 1.0
	v_fmac_f64_e32 v[182:183], v[182:183], v[184:185]
	v_div_scale_f64 v[184:185], vcc, 1.0, v[164:165], 1.0
	v_mul_f64 v[186:187], v[184:185], v[182:183]
	v_fma_f64 v[166:167], -v[166:167], v[186:187], v[184:185]
	s_nop 1
	v_div_fmas_f64 v[166:167], v[166:167], v[182:183], v[186:187]
	v_div_fixup_f64 v[164:165], v[166:167], v[164:165], 1.0
	v_mul_f64 v[166:167], v[180:181], -v[164:165]
.LBB80_366:
	s_or_b64 exec, exec, s[16:17]
.LBB80_367:
	s_or_b64 exec, exec, s[0:1]
	v_cmp_ne_u32_e32 vcc, v177, v174
	s_and_saveexec_b64 s[0:1], vcc
	s_xor_b64 s[0:1], exec, s[0:1]
	s_cbranch_execz .LBB80_373
; %bb.368:
	v_cmp_eq_u32_e32 vcc, 17, v177
	s_and_saveexec_b64 s[16:17], vcc
	s_cbranch_execz .LBB80_372
; %bb.369:
	v_cmp_ne_u32_e32 vcc, 17, v174
	s_xor_b64 s[18:19], s[14:15], -1
	s_and_b64 s[22:23], s[18:19], vcc
	s_and_saveexec_b64 s[18:19], s[22:23]
	s_cbranch_execz .LBB80_371
; %bb.370:
	v_ashrrev_i32_e32 v175, 31, v174
	v_lshl_add_u64 v[180:181], v[174:175], 2, v[172:173]
	global_load_dword v175, v[180:181], off
	global_load_dword v177, v[172:173], off offset:68
	s_waitcnt vmcnt(1)
	global_store_dword v[172:173], v175, off offset:68
	s_waitcnt vmcnt(1)
	global_store_dword v[180:181], v177, off
.LBB80_371:
	s_or_b64 exec, exec, s[18:19]
	v_mov_b32_e32 v177, v174
	v_mov_b32_e32 v179, v174
.LBB80_372:
	s_or_b64 exec, exec, s[16:17]
.LBB80_373:
	s_andn2_saveexec_b64 s[0:1], s[0:1]
	s_cbranch_execz .LBB80_375
; %bb.374:
	v_mov_b32_e32 v177, 17
	s_waitcnt vmcnt(22)
	ds_write2_b64 v176, v[84:85], v[86:87] offset0:36 offset1:37
	s_waitcnt vmcnt(21)
	ds_write2_b64 v176, v[80:81], v[82:83] offset0:38 offset1:39
	;; [unrolled: 2-line block ×23, first 2 shown]
.LBB80_375:
	s_or_b64 exec, exec, s[0:1]
	v_cmp_lt_i32_e32 vcc, 17, v177
	s_waitcnt lgkmcnt(0)
	s_barrier
	s_and_saveexec_b64 s[0:1], vcc
	s_cbranch_execz .LBB80_377
; %bb.376:
	ds_read2_b64 v[180:183], v176 offset0:36 offset1:37
	v_mul_f64 v[174:175], v[166:167], v[90:91]
	v_mul_f64 v[90:91], v[164:165], v[90:91]
	v_fmac_f64_e32 v[90:91], v[166:167], v[88:89]
	v_fma_f64 v[174:175], v[164:165], v[88:89], -v[174:175]
	ds_read2_b64 v[164:167], v176 offset0:38 offset1:39
	s_waitcnt lgkmcnt(1)
	v_mul_f64 v[88:89], v[182:183], v[90:91]
	v_fma_f64 v[88:89], v[180:181], v[174:175], -v[88:89]
	v_mul_f64 v[180:181], v[180:181], v[90:91]
	v_fmac_f64_e32 v[180:181], v[182:183], v[174:175]
	s_waitcnt vmcnt(22)
	v_add_f64 v[86:87], v[86:87], -v[180:181]
	ds_read2_b64 v[180:183], v176 offset0:40 offset1:41
	v_add_f64 v[84:85], v[84:85], -v[88:89]
	s_waitcnt lgkmcnt(1)
	v_mul_f64 v[88:89], v[166:167], v[90:91]
	v_fma_f64 v[88:89], v[164:165], v[174:175], -v[88:89]
	v_mul_f64 v[164:165], v[164:165], v[90:91]
	v_fmac_f64_e32 v[164:165], v[166:167], v[174:175]
	s_waitcnt vmcnt(21)
	v_add_f64 v[80:81], v[80:81], -v[88:89]
	v_add_f64 v[82:83], v[82:83], -v[164:165]
	ds_read2_b64 v[164:167], v176 offset0:42 offset1:43
	s_waitcnt lgkmcnt(1)
	v_mul_f64 v[88:89], v[182:183], v[90:91]
	v_fma_f64 v[88:89], v[180:181], v[174:175], -v[88:89]
	v_mul_f64 v[180:181], v[180:181], v[90:91]
	v_fmac_f64_e32 v[180:181], v[182:183], v[174:175]
	s_waitcnt vmcnt(20)
	v_add_f64 v[78:79], v[78:79], -v[180:181]
	ds_read2_b64 v[180:183], v176 offset0:44 offset1:45
	v_add_f64 v[76:77], v[76:77], -v[88:89]
	s_waitcnt lgkmcnt(1)
	v_mul_f64 v[88:89], v[166:167], v[90:91]
	v_fma_f64 v[88:89], v[164:165], v[174:175], -v[88:89]
	v_mul_f64 v[164:165], v[164:165], v[90:91]
	v_fmac_f64_e32 v[164:165], v[166:167], v[174:175]
	s_waitcnt vmcnt(19)
	v_add_f64 v[72:73], v[72:73], -v[88:89]
	v_add_f64 v[74:75], v[74:75], -v[164:165]
	;; [unrolled: 18-line block ×11, first 2 shown]
	s_waitcnt lgkmcnt(0)
	v_mul_f64 v[88:89], v[182:183], v[90:91]
	v_mul_f64 v[164:165], v[180:181], v[90:91]
	v_fma_f64 v[88:89], v[180:181], v[174:175], -v[88:89]
	v_fmac_f64_e32 v[164:165], v[182:183], v[174:175]
	s_waitcnt vmcnt(0)
	v_add_f64 v[160:161], v[160:161], -v[88:89]
	v_add_f64 v[162:163], v[162:163], -v[164:165]
	v_mov_b64_e32 v[88:89], v[174:175]
.LBB80_377:
	s_or_b64 exec, exec, s[0:1]
	v_lshl_add_u32 v164, v177, 4, v176
	s_barrier
	s_waitcnt vmcnt(22)
	ds_write2_b64 v164, v[84:85], v[86:87] offset1:1
	s_waitcnt lgkmcnt(0)
	s_barrier
	ds_read2_b64 v[164:167], v176 offset0:36 offset1:37
	s_cmp_lt_i32 s20, 20
	v_mov_b32_e32 v174, 18
	s_cbranch_scc1 .LBB80_380
; %bb.378:
	v_add_u32_e32 v175, 0x130, v176
	s_mov_b32 s16, 19
	v_mov_b32_e32 v174, 18
.LBB80_379:                             ; =>This Inner Loop Header: Depth=1
	ds_read2_b64 v[180:183], v175 offset1:1
	s_waitcnt lgkmcnt(1)
	v_xor_b32_e32 v185, 0x80000000, v165
	v_xor_b32_e32 v187, 0x80000000, v167
	v_cmp_gt_f64_e32 vcc, 0, v[166:167]
	v_cmp_gt_f64_e64 s[0:1], 0, v[164:165]
	v_mov_b32_e32 v184, v164
	v_mov_b32_e32 v186, v166
	v_cndmask_b32_e64 v185, v165, v185, s[0:1]
	v_cndmask_b32_e32 v187, v167, v187, vcc
	v_add_f64 v[184:185], v[184:185], v[186:187]
	s_waitcnt lgkmcnt(0)
	v_xor_b32_e32 v187, 0x80000000, v181
	v_xor_b32_e32 v189, 0x80000000, v183
	v_cmp_gt_f64_e32 vcc, 0, v[182:183]
	v_cmp_gt_f64_e64 s[0:1], 0, v[180:181]
	v_mov_b32_e32 v186, v180
	v_mov_b32_e32 v188, v182
	v_cndmask_b32_e64 v187, v181, v187, s[0:1]
	v_cndmask_b32_e32 v189, v183, v189, vcc
	v_add_f64 v[186:187], v[186:187], v[188:189]
	v_mov_b32_e32 v190, s16
	s_add_i32 s16, s16, 1
	v_cmp_lt_f64_e32 vcc, v[184:185], v[186:187]
	v_add_u32_e32 v175, 16, v175
	s_cmp_lg_u32 s20, s16
	v_cndmask_b32_e32 v165, v165, v181, vcc
	v_cndmask_b32_e32 v164, v164, v180, vcc
	;; [unrolled: 1-line block ×5, first 2 shown]
	s_cbranch_scc1 .LBB80_379
.LBB80_380:
	s_waitcnt lgkmcnt(0)
	v_cmp_eq_f64_e32 vcc, 0, v[164:165]
	v_cmp_eq_f64_e64 s[0:1], 0, v[166:167]
	s_and_b64 s[0:1], vcc, s[0:1]
	s_and_saveexec_b64 s[16:17], s[0:1]
	s_xor_b64 s[0:1], exec, s[16:17]
; %bb.381:
	v_cmp_ne_u32_e32 vcc, 0, v178
	s_nop 1
	v_cndmask_b32_e32 v178, 19, v178, vcc
; %bb.382:
	s_andn2_saveexec_b64 s[0:1], s[0:1]
	s_cbranch_execz .LBB80_388
; %bb.383:
	v_cmp_ngt_f64_e64 s[16:17], |v[164:165]|, |v[166:167]|
	s_and_saveexec_b64 s[18:19], s[16:17]
	s_xor_b64 s[16:17], exec, s[18:19]
	s_cbranch_execz .LBB80_385
; %bb.384:
	v_div_scale_f64 v[180:181], s[18:19], v[166:167], v[166:167], v[164:165]
	v_rcp_f64_e32 v[182:183], v[180:181]
	v_div_scale_f64 v[184:185], vcc, v[164:165], v[166:167], v[164:165]
	v_fma_f64 v[186:187], -v[180:181], v[182:183], 1.0
	v_fmac_f64_e32 v[182:183], v[182:183], v[186:187]
	v_fma_f64 v[186:187], -v[180:181], v[182:183], 1.0
	v_fmac_f64_e32 v[182:183], v[182:183], v[186:187]
	v_mul_f64 v[186:187], v[184:185], v[182:183]
	v_fma_f64 v[180:181], -v[180:181], v[186:187], v[184:185]
	v_div_fmas_f64 v[180:181], v[180:181], v[182:183], v[186:187]
	v_div_fixup_f64 v[180:181], v[180:181], v[166:167], v[164:165]
	v_fmac_f64_e32 v[166:167], v[164:165], v[180:181]
	v_div_scale_f64 v[164:165], s[18:19], v[166:167], v[166:167], 1.0
	v_rcp_f64_e32 v[182:183], v[164:165]
	s_nop 0
	v_fma_f64 v[184:185], -v[164:165], v[182:183], 1.0
	v_fmac_f64_e32 v[182:183], v[182:183], v[184:185]
	v_fma_f64 v[184:185], -v[164:165], v[182:183], 1.0
	v_fmac_f64_e32 v[182:183], v[182:183], v[184:185]
	v_div_scale_f64 v[184:185], vcc, 1.0, v[166:167], 1.0
	v_mul_f64 v[186:187], v[184:185], v[182:183]
	v_fma_f64 v[164:165], -v[164:165], v[186:187], v[184:185]
	s_nop 1
	v_div_fmas_f64 v[164:165], v[164:165], v[182:183], v[186:187]
	v_div_fixup_f64 v[166:167], v[164:165], v[166:167], 1.0
	v_mul_f64 v[164:165], v[180:181], v[166:167]
	v_xor_b32_e32 v167, 0x80000000, v167
.LBB80_385:
	s_andn2_saveexec_b64 s[16:17], s[16:17]
	s_cbranch_execz .LBB80_387
; %bb.386:
	v_div_scale_f64 v[180:181], s[18:19], v[164:165], v[164:165], v[166:167]
	v_rcp_f64_e32 v[182:183], v[180:181]
	v_div_scale_f64 v[184:185], vcc, v[166:167], v[164:165], v[166:167]
	v_fma_f64 v[186:187], -v[180:181], v[182:183], 1.0
	v_fmac_f64_e32 v[182:183], v[182:183], v[186:187]
	v_fma_f64 v[186:187], -v[180:181], v[182:183], 1.0
	v_fmac_f64_e32 v[182:183], v[182:183], v[186:187]
	v_mul_f64 v[186:187], v[184:185], v[182:183]
	v_fma_f64 v[180:181], -v[180:181], v[186:187], v[184:185]
	v_div_fmas_f64 v[180:181], v[180:181], v[182:183], v[186:187]
	v_div_fixup_f64 v[180:181], v[180:181], v[164:165], v[166:167]
	v_fmac_f64_e32 v[164:165], v[166:167], v[180:181]
	v_div_scale_f64 v[166:167], s[18:19], v[164:165], v[164:165], 1.0
	v_rcp_f64_e32 v[182:183], v[166:167]
	s_nop 0
	v_fma_f64 v[184:185], -v[166:167], v[182:183], 1.0
	v_fmac_f64_e32 v[182:183], v[182:183], v[184:185]
	v_fma_f64 v[184:185], -v[166:167], v[182:183], 1.0
	v_fmac_f64_e32 v[182:183], v[182:183], v[184:185]
	v_div_scale_f64 v[184:185], vcc, 1.0, v[164:165], 1.0
	v_mul_f64 v[186:187], v[184:185], v[182:183]
	v_fma_f64 v[166:167], -v[166:167], v[186:187], v[184:185]
	s_nop 1
	v_div_fmas_f64 v[166:167], v[166:167], v[182:183], v[186:187]
	v_div_fixup_f64 v[164:165], v[166:167], v[164:165], 1.0
	v_mul_f64 v[166:167], v[180:181], -v[164:165]
.LBB80_387:
	s_or_b64 exec, exec, s[16:17]
.LBB80_388:
	s_or_b64 exec, exec, s[0:1]
	v_cmp_ne_u32_e32 vcc, v177, v174
	s_and_saveexec_b64 s[0:1], vcc
	s_xor_b64 s[0:1], exec, s[0:1]
	s_cbranch_execz .LBB80_394
; %bb.389:
	v_cmp_eq_u32_e32 vcc, 18, v177
	s_and_saveexec_b64 s[16:17], vcc
	s_cbranch_execz .LBB80_393
; %bb.390:
	v_cmp_ne_u32_e32 vcc, 18, v174
	s_xor_b64 s[18:19], s[14:15], -1
	s_and_b64 s[22:23], s[18:19], vcc
	s_and_saveexec_b64 s[18:19], s[22:23]
	s_cbranch_execz .LBB80_392
; %bb.391:
	v_ashrrev_i32_e32 v175, 31, v174
	v_lshl_add_u64 v[180:181], v[174:175], 2, v[172:173]
	global_load_dword v175, v[180:181], off
	global_load_dword v177, v[172:173], off offset:72
	s_waitcnt vmcnt(1)
	global_store_dword v[172:173], v175, off offset:72
	s_waitcnt vmcnt(1)
	global_store_dword v[180:181], v177, off
.LBB80_392:
	s_or_b64 exec, exec, s[18:19]
	v_mov_b32_e32 v177, v174
	v_mov_b32_e32 v179, v174
.LBB80_393:
	s_or_b64 exec, exec, s[16:17]
.LBB80_394:
	s_andn2_saveexec_b64 s[0:1], s[0:1]
	s_cbranch_execz .LBB80_396
; %bb.395:
	v_mov_b32_e32 v177, 18
	s_waitcnt vmcnt(21)
	ds_write2_b64 v176, v[80:81], v[82:83] offset0:38 offset1:39
	s_waitcnt vmcnt(20)
	ds_write2_b64 v176, v[76:77], v[78:79] offset0:40 offset1:41
	;; [unrolled: 2-line block ×22, first 2 shown]
.LBB80_396:
	s_or_b64 exec, exec, s[0:1]
	v_cmp_lt_i32_e32 vcc, 18, v177
	s_waitcnt lgkmcnt(0)
	s_barrier
	s_and_saveexec_b64 s[0:1], vcc
	s_cbranch_execz .LBB80_398
; %bb.397:
	ds_read2_b64 v[180:183], v176 offset0:38 offset1:39
	v_mul_f64 v[174:175], v[166:167], v[86:87]
	v_mul_f64 v[86:87], v[164:165], v[86:87]
	v_fma_f64 v[174:175], v[164:165], v[84:85], -v[174:175]
	v_fmac_f64_e32 v[86:87], v[166:167], v[84:85]
	ds_read2_b64 v[164:167], v176 offset0:40 offset1:41
	s_waitcnt lgkmcnt(1)
	v_mul_f64 v[84:85], v[182:183], v[86:87]
	v_fma_f64 v[84:85], v[180:181], v[174:175], -v[84:85]
	v_mul_f64 v[180:181], v[180:181], v[86:87]
	v_fmac_f64_e32 v[180:181], v[182:183], v[174:175]
	s_waitcnt vmcnt(21)
	v_add_f64 v[80:81], v[80:81], -v[84:85]
	s_waitcnt lgkmcnt(0)
	v_mul_f64 v[84:85], v[166:167], v[86:87]
	v_add_f64 v[82:83], v[82:83], -v[180:181]
	v_fma_f64 v[84:85], v[164:165], v[174:175], -v[84:85]
	v_mul_f64 v[164:165], v[164:165], v[86:87]
	ds_read2_b64 v[180:183], v176 offset0:42 offset1:43
	v_fmac_f64_e32 v[164:165], v[166:167], v[174:175]
	s_waitcnt vmcnt(20)
	v_add_f64 v[78:79], v[78:79], -v[164:165]
	ds_read2_b64 v[164:167], v176 offset0:44 offset1:45
	v_add_f64 v[76:77], v[76:77], -v[84:85]
	s_waitcnt lgkmcnt(1)
	v_mul_f64 v[84:85], v[182:183], v[86:87]
	v_fma_f64 v[84:85], v[180:181], v[174:175], -v[84:85]
	v_mul_f64 v[180:181], v[180:181], v[86:87]
	v_fmac_f64_e32 v[180:181], v[182:183], v[174:175]
	s_waitcnt vmcnt(19)
	v_add_f64 v[72:73], v[72:73], -v[84:85]
	s_waitcnt lgkmcnt(0)
	v_mul_f64 v[84:85], v[166:167], v[86:87]
	v_add_f64 v[74:75], v[74:75], -v[180:181]
	v_fma_f64 v[84:85], v[164:165], v[174:175], -v[84:85]
	v_mul_f64 v[164:165], v[164:165], v[86:87]
	ds_read2_b64 v[180:183], v176 offset0:46 offset1:47
	v_fmac_f64_e32 v[164:165], v[166:167], v[174:175]
	s_waitcnt vmcnt(18)
	v_add_f64 v[70:71], v[70:71], -v[164:165]
	ds_read2_b64 v[164:167], v176 offset0:48 offset1:49
	v_add_f64 v[68:69], v[68:69], -v[84:85]
	;; [unrolled: 18-line block ×10, first 2 shown]
	s_waitcnt lgkmcnt(1)
	v_mul_f64 v[84:85], v[182:183], v[86:87]
	v_fma_f64 v[84:85], v[180:181], v[174:175], -v[84:85]
	s_waitcnt vmcnt(1)
	v_add_f64 v[0:1], v[0:1], -v[84:85]
	s_waitcnt lgkmcnt(0)
	v_mul_f64 v[84:85], v[166:167], v[86:87]
	v_mul_f64 v[180:181], v[180:181], v[86:87]
	v_fma_f64 v[84:85], v[164:165], v[174:175], -v[84:85]
	v_mul_f64 v[164:165], v[164:165], v[86:87]
	v_fmac_f64_e32 v[180:181], v[182:183], v[174:175]
	v_fmac_f64_e32 v[164:165], v[166:167], v[174:175]
	v_add_f64 v[2:3], v[2:3], -v[180:181]
	s_waitcnt vmcnt(0)
	v_add_f64 v[160:161], v[160:161], -v[84:85]
	v_add_f64 v[162:163], v[162:163], -v[164:165]
	v_mov_b64_e32 v[84:85], v[174:175]
.LBB80_398:
	s_or_b64 exec, exec, s[0:1]
	v_lshl_add_u32 v164, v177, 4, v176
	s_barrier
	s_waitcnt vmcnt(21)
	ds_write2_b64 v164, v[80:81], v[82:83] offset1:1
	s_waitcnt lgkmcnt(0)
	s_barrier
	ds_read2_b64 v[164:167], v176 offset0:38 offset1:39
	s_cmp_lt_i32 s20, 21
	v_mov_b32_e32 v174, 19
	s_cbranch_scc1 .LBB80_401
; %bb.399:
	v_add_u32_e32 v175, 0x140, v176
	s_mov_b32 s16, 20
	v_mov_b32_e32 v174, 19
.LBB80_400:                             ; =>This Inner Loop Header: Depth=1
	ds_read2_b64 v[180:183], v175 offset1:1
	s_waitcnt lgkmcnt(1)
	v_xor_b32_e32 v185, 0x80000000, v165
	v_xor_b32_e32 v187, 0x80000000, v167
	v_cmp_gt_f64_e32 vcc, 0, v[166:167]
	v_cmp_gt_f64_e64 s[0:1], 0, v[164:165]
	v_mov_b32_e32 v184, v164
	v_mov_b32_e32 v186, v166
	v_cndmask_b32_e64 v185, v165, v185, s[0:1]
	v_cndmask_b32_e32 v187, v167, v187, vcc
	v_add_f64 v[184:185], v[184:185], v[186:187]
	s_waitcnt lgkmcnt(0)
	v_xor_b32_e32 v187, 0x80000000, v181
	v_xor_b32_e32 v189, 0x80000000, v183
	v_cmp_gt_f64_e32 vcc, 0, v[182:183]
	v_cmp_gt_f64_e64 s[0:1], 0, v[180:181]
	v_mov_b32_e32 v186, v180
	v_mov_b32_e32 v188, v182
	v_cndmask_b32_e64 v187, v181, v187, s[0:1]
	v_cndmask_b32_e32 v189, v183, v189, vcc
	v_add_f64 v[186:187], v[186:187], v[188:189]
	v_mov_b32_e32 v190, s16
	s_add_i32 s16, s16, 1
	v_cmp_lt_f64_e32 vcc, v[184:185], v[186:187]
	v_add_u32_e32 v175, 16, v175
	s_cmp_lg_u32 s20, s16
	v_cndmask_b32_e32 v165, v165, v181, vcc
	v_cndmask_b32_e32 v164, v164, v180, vcc
	;; [unrolled: 1-line block ×5, first 2 shown]
	s_cbranch_scc1 .LBB80_400
.LBB80_401:
	s_waitcnt lgkmcnt(0)
	v_cmp_eq_f64_e32 vcc, 0, v[164:165]
	v_cmp_eq_f64_e64 s[0:1], 0, v[166:167]
	s_and_b64 s[0:1], vcc, s[0:1]
	s_and_saveexec_b64 s[16:17], s[0:1]
	s_xor_b64 s[0:1], exec, s[16:17]
; %bb.402:
	v_cmp_ne_u32_e32 vcc, 0, v178
	s_nop 1
	v_cndmask_b32_e32 v178, 20, v178, vcc
; %bb.403:
	s_andn2_saveexec_b64 s[0:1], s[0:1]
	s_cbranch_execz .LBB80_409
; %bb.404:
	v_cmp_ngt_f64_e64 s[16:17], |v[164:165]|, |v[166:167]|
	s_and_saveexec_b64 s[18:19], s[16:17]
	s_xor_b64 s[16:17], exec, s[18:19]
	s_cbranch_execz .LBB80_406
; %bb.405:
	v_div_scale_f64 v[180:181], s[18:19], v[166:167], v[166:167], v[164:165]
	v_rcp_f64_e32 v[182:183], v[180:181]
	v_div_scale_f64 v[184:185], vcc, v[164:165], v[166:167], v[164:165]
	v_fma_f64 v[186:187], -v[180:181], v[182:183], 1.0
	v_fmac_f64_e32 v[182:183], v[182:183], v[186:187]
	v_fma_f64 v[186:187], -v[180:181], v[182:183], 1.0
	v_fmac_f64_e32 v[182:183], v[182:183], v[186:187]
	v_mul_f64 v[186:187], v[184:185], v[182:183]
	v_fma_f64 v[180:181], -v[180:181], v[186:187], v[184:185]
	v_div_fmas_f64 v[180:181], v[180:181], v[182:183], v[186:187]
	v_div_fixup_f64 v[180:181], v[180:181], v[166:167], v[164:165]
	v_fmac_f64_e32 v[166:167], v[164:165], v[180:181]
	v_div_scale_f64 v[164:165], s[18:19], v[166:167], v[166:167], 1.0
	v_rcp_f64_e32 v[182:183], v[164:165]
	s_nop 0
	v_fma_f64 v[184:185], -v[164:165], v[182:183], 1.0
	v_fmac_f64_e32 v[182:183], v[182:183], v[184:185]
	v_fma_f64 v[184:185], -v[164:165], v[182:183], 1.0
	v_fmac_f64_e32 v[182:183], v[182:183], v[184:185]
	v_div_scale_f64 v[184:185], vcc, 1.0, v[166:167], 1.0
	v_mul_f64 v[186:187], v[184:185], v[182:183]
	v_fma_f64 v[164:165], -v[164:165], v[186:187], v[184:185]
	s_nop 1
	v_div_fmas_f64 v[164:165], v[164:165], v[182:183], v[186:187]
	v_div_fixup_f64 v[166:167], v[164:165], v[166:167], 1.0
	v_mul_f64 v[164:165], v[180:181], v[166:167]
	v_xor_b32_e32 v167, 0x80000000, v167
.LBB80_406:
	s_andn2_saveexec_b64 s[16:17], s[16:17]
	s_cbranch_execz .LBB80_408
; %bb.407:
	v_div_scale_f64 v[180:181], s[18:19], v[164:165], v[164:165], v[166:167]
	v_rcp_f64_e32 v[182:183], v[180:181]
	v_div_scale_f64 v[184:185], vcc, v[166:167], v[164:165], v[166:167]
	v_fma_f64 v[186:187], -v[180:181], v[182:183], 1.0
	v_fmac_f64_e32 v[182:183], v[182:183], v[186:187]
	v_fma_f64 v[186:187], -v[180:181], v[182:183], 1.0
	v_fmac_f64_e32 v[182:183], v[182:183], v[186:187]
	v_mul_f64 v[186:187], v[184:185], v[182:183]
	v_fma_f64 v[180:181], -v[180:181], v[186:187], v[184:185]
	v_div_fmas_f64 v[180:181], v[180:181], v[182:183], v[186:187]
	v_div_fixup_f64 v[180:181], v[180:181], v[164:165], v[166:167]
	v_fmac_f64_e32 v[164:165], v[166:167], v[180:181]
	v_div_scale_f64 v[166:167], s[18:19], v[164:165], v[164:165], 1.0
	v_rcp_f64_e32 v[182:183], v[166:167]
	s_nop 0
	v_fma_f64 v[184:185], -v[166:167], v[182:183], 1.0
	v_fmac_f64_e32 v[182:183], v[182:183], v[184:185]
	v_fma_f64 v[184:185], -v[166:167], v[182:183], 1.0
	v_fmac_f64_e32 v[182:183], v[182:183], v[184:185]
	v_div_scale_f64 v[184:185], vcc, 1.0, v[164:165], 1.0
	v_mul_f64 v[186:187], v[184:185], v[182:183]
	v_fma_f64 v[166:167], -v[166:167], v[186:187], v[184:185]
	s_nop 1
	v_div_fmas_f64 v[166:167], v[166:167], v[182:183], v[186:187]
	v_div_fixup_f64 v[164:165], v[166:167], v[164:165], 1.0
	v_mul_f64 v[166:167], v[180:181], -v[164:165]
.LBB80_408:
	s_or_b64 exec, exec, s[16:17]
.LBB80_409:
	s_or_b64 exec, exec, s[0:1]
	v_cmp_ne_u32_e32 vcc, v177, v174
	s_and_saveexec_b64 s[0:1], vcc
	s_xor_b64 s[0:1], exec, s[0:1]
	s_cbranch_execz .LBB80_415
; %bb.410:
	v_cmp_eq_u32_e32 vcc, 19, v177
	s_and_saveexec_b64 s[16:17], vcc
	s_cbranch_execz .LBB80_414
; %bb.411:
	v_cmp_ne_u32_e32 vcc, 19, v174
	s_xor_b64 s[18:19], s[14:15], -1
	s_and_b64 s[22:23], s[18:19], vcc
	s_and_saveexec_b64 s[18:19], s[22:23]
	s_cbranch_execz .LBB80_413
; %bb.412:
	v_ashrrev_i32_e32 v175, 31, v174
	v_lshl_add_u64 v[180:181], v[174:175], 2, v[172:173]
	global_load_dword v175, v[180:181], off
	global_load_dword v177, v[172:173], off offset:76
	s_waitcnt vmcnt(1)
	global_store_dword v[172:173], v175, off offset:76
	s_waitcnt vmcnt(1)
	global_store_dword v[180:181], v177, off
.LBB80_413:
	s_or_b64 exec, exec, s[18:19]
	v_mov_b32_e32 v177, v174
	v_mov_b32_e32 v179, v174
.LBB80_414:
	s_or_b64 exec, exec, s[16:17]
.LBB80_415:
	s_andn2_saveexec_b64 s[0:1], s[0:1]
	s_cbranch_execz .LBB80_417
; %bb.416:
	v_mov_b32_e32 v177, 19
	s_waitcnt vmcnt(20)
	ds_write2_b64 v176, v[76:77], v[78:79] offset0:40 offset1:41
	s_waitcnt vmcnt(19)
	ds_write2_b64 v176, v[72:73], v[74:75] offset0:42 offset1:43
	;; [unrolled: 2-line block ×21, first 2 shown]
.LBB80_417:
	s_or_b64 exec, exec, s[0:1]
	v_cmp_lt_i32_e32 vcc, 19, v177
	s_waitcnt lgkmcnt(0)
	s_barrier
	s_and_saveexec_b64 s[0:1], vcc
	s_cbranch_execz .LBB80_419
; %bb.418:
	ds_read2_b64 v[180:183], v176 offset0:40 offset1:41
	v_mul_f64 v[174:175], v[166:167], v[82:83]
	v_mul_f64 v[82:83], v[164:165], v[82:83]
	v_fmac_f64_e32 v[82:83], v[166:167], v[80:81]
	v_fma_f64 v[174:175], v[164:165], v[80:81], -v[174:175]
	ds_read2_b64 v[164:167], v176 offset0:42 offset1:43
	s_waitcnt lgkmcnt(1)
	v_mul_f64 v[80:81], v[182:183], v[82:83]
	v_fma_f64 v[80:81], v[180:181], v[174:175], -v[80:81]
	v_mul_f64 v[180:181], v[180:181], v[82:83]
	v_fmac_f64_e32 v[180:181], v[182:183], v[174:175]
	s_waitcnt vmcnt(20)
	v_add_f64 v[78:79], v[78:79], -v[180:181]
	ds_read2_b64 v[180:183], v176 offset0:44 offset1:45
	v_add_f64 v[76:77], v[76:77], -v[80:81]
	s_waitcnt lgkmcnt(1)
	v_mul_f64 v[80:81], v[166:167], v[82:83]
	v_fma_f64 v[80:81], v[164:165], v[174:175], -v[80:81]
	v_mul_f64 v[164:165], v[164:165], v[82:83]
	v_fmac_f64_e32 v[164:165], v[166:167], v[174:175]
	s_waitcnt vmcnt(19)
	v_add_f64 v[72:73], v[72:73], -v[80:81]
	v_add_f64 v[74:75], v[74:75], -v[164:165]
	ds_read2_b64 v[164:167], v176 offset0:46 offset1:47
	s_waitcnt lgkmcnt(1)
	v_mul_f64 v[80:81], v[182:183], v[82:83]
	v_fma_f64 v[80:81], v[180:181], v[174:175], -v[80:81]
	v_mul_f64 v[180:181], v[180:181], v[82:83]
	v_fmac_f64_e32 v[180:181], v[182:183], v[174:175]
	s_waitcnt vmcnt(18)
	v_add_f64 v[70:71], v[70:71], -v[180:181]
	ds_read2_b64 v[180:183], v176 offset0:48 offset1:49
	v_add_f64 v[68:69], v[68:69], -v[80:81]
	s_waitcnt lgkmcnt(1)
	v_mul_f64 v[80:81], v[166:167], v[82:83]
	v_fma_f64 v[80:81], v[164:165], v[174:175], -v[80:81]
	v_mul_f64 v[164:165], v[164:165], v[82:83]
	v_fmac_f64_e32 v[164:165], v[166:167], v[174:175]
	s_waitcnt vmcnt(17)
	v_add_f64 v[64:65], v[64:65], -v[80:81]
	v_add_f64 v[66:67], v[66:67], -v[164:165]
	;; [unrolled: 18-line block ×10, first 2 shown]
	s_waitcnt lgkmcnt(0)
	v_mul_f64 v[80:81], v[182:183], v[82:83]
	v_mul_f64 v[164:165], v[180:181], v[82:83]
	v_fma_f64 v[80:81], v[180:181], v[174:175], -v[80:81]
	v_fmac_f64_e32 v[164:165], v[182:183], v[174:175]
	s_waitcnt vmcnt(0)
	v_add_f64 v[160:161], v[160:161], -v[80:81]
	v_add_f64 v[162:163], v[162:163], -v[164:165]
	v_mov_b64_e32 v[80:81], v[174:175]
.LBB80_419:
	s_or_b64 exec, exec, s[0:1]
	v_lshl_add_u32 v164, v177, 4, v176
	s_barrier
	s_waitcnt vmcnt(20)
	ds_write2_b64 v164, v[76:77], v[78:79] offset1:1
	s_waitcnt lgkmcnt(0)
	s_barrier
	ds_read2_b64 v[164:167], v176 offset0:40 offset1:41
	s_cmp_lt_i32 s20, 22
	v_mov_b32_e32 v174, 20
	s_cbranch_scc1 .LBB80_422
; %bb.420:
	v_add_u32_e32 v175, 0x150, v176
	s_mov_b32 s16, 21
	v_mov_b32_e32 v174, 20
.LBB80_421:                             ; =>This Inner Loop Header: Depth=1
	ds_read2_b64 v[180:183], v175 offset1:1
	s_waitcnt lgkmcnt(1)
	v_xor_b32_e32 v185, 0x80000000, v165
	v_xor_b32_e32 v187, 0x80000000, v167
	v_cmp_gt_f64_e32 vcc, 0, v[166:167]
	v_cmp_gt_f64_e64 s[0:1], 0, v[164:165]
	v_mov_b32_e32 v184, v164
	v_mov_b32_e32 v186, v166
	v_cndmask_b32_e64 v185, v165, v185, s[0:1]
	v_cndmask_b32_e32 v187, v167, v187, vcc
	v_add_f64 v[184:185], v[184:185], v[186:187]
	s_waitcnt lgkmcnt(0)
	v_xor_b32_e32 v187, 0x80000000, v181
	v_xor_b32_e32 v189, 0x80000000, v183
	v_cmp_gt_f64_e32 vcc, 0, v[182:183]
	v_cmp_gt_f64_e64 s[0:1], 0, v[180:181]
	v_mov_b32_e32 v186, v180
	v_mov_b32_e32 v188, v182
	v_cndmask_b32_e64 v187, v181, v187, s[0:1]
	v_cndmask_b32_e32 v189, v183, v189, vcc
	v_add_f64 v[186:187], v[186:187], v[188:189]
	v_mov_b32_e32 v190, s16
	s_add_i32 s16, s16, 1
	v_cmp_lt_f64_e32 vcc, v[184:185], v[186:187]
	v_add_u32_e32 v175, 16, v175
	s_cmp_lg_u32 s20, s16
	v_cndmask_b32_e32 v165, v165, v181, vcc
	v_cndmask_b32_e32 v164, v164, v180, vcc
	;; [unrolled: 1-line block ×5, first 2 shown]
	s_cbranch_scc1 .LBB80_421
.LBB80_422:
	s_waitcnt lgkmcnt(0)
	v_cmp_eq_f64_e32 vcc, 0, v[164:165]
	v_cmp_eq_f64_e64 s[0:1], 0, v[166:167]
	s_and_b64 s[0:1], vcc, s[0:1]
	s_and_saveexec_b64 s[16:17], s[0:1]
	s_xor_b64 s[0:1], exec, s[16:17]
; %bb.423:
	v_cmp_ne_u32_e32 vcc, 0, v178
	s_nop 1
	v_cndmask_b32_e32 v178, 21, v178, vcc
; %bb.424:
	s_andn2_saveexec_b64 s[0:1], s[0:1]
	s_cbranch_execz .LBB80_430
; %bb.425:
	v_cmp_ngt_f64_e64 s[16:17], |v[164:165]|, |v[166:167]|
	s_and_saveexec_b64 s[18:19], s[16:17]
	s_xor_b64 s[16:17], exec, s[18:19]
	s_cbranch_execz .LBB80_427
; %bb.426:
	v_div_scale_f64 v[180:181], s[18:19], v[166:167], v[166:167], v[164:165]
	v_rcp_f64_e32 v[182:183], v[180:181]
	v_div_scale_f64 v[184:185], vcc, v[164:165], v[166:167], v[164:165]
	v_fma_f64 v[186:187], -v[180:181], v[182:183], 1.0
	v_fmac_f64_e32 v[182:183], v[182:183], v[186:187]
	v_fma_f64 v[186:187], -v[180:181], v[182:183], 1.0
	v_fmac_f64_e32 v[182:183], v[182:183], v[186:187]
	v_mul_f64 v[186:187], v[184:185], v[182:183]
	v_fma_f64 v[180:181], -v[180:181], v[186:187], v[184:185]
	v_div_fmas_f64 v[180:181], v[180:181], v[182:183], v[186:187]
	v_div_fixup_f64 v[180:181], v[180:181], v[166:167], v[164:165]
	v_fmac_f64_e32 v[166:167], v[164:165], v[180:181]
	v_div_scale_f64 v[164:165], s[18:19], v[166:167], v[166:167], 1.0
	v_rcp_f64_e32 v[182:183], v[164:165]
	s_nop 0
	v_fma_f64 v[184:185], -v[164:165], v[182:183], 1.0
	v_fmac_f64_e32 v[182:183], v[182:183], v[184:185]
	v_fma_f64 v[184:185], -v[164:165], v[182:183], 1.0
	v_fmac_f64_e32 v[182:183], v[182:183], v[184:185]
	v_div_scale_f64 v[184:185], vcc, 1.0, v[166:167], 1.0
	v_mul_f64 v[186:187], v[184:185], v[182:183]
	v_fma_f64 v[164:165], -v[164:165], v[186:187], v[184:185]
	s_nop 1
	v_div_fmas_f64 v[164:165], v[164:165], v[182:183], v[186:187]
	v_div_fixup_f64 v[166:167], v[164:165], v[166:167], 1.0
	v_mul_f64 v[164:165], v[180:181], v[166:167]
	v_xor_b32_e32 v167, 0x80000000, v167
.LBB80_427:
	s_andn2_saveexec_b64 s[16:17], s[16:17]
	s_cbranch_execz .LBB80_429
; %bb.428:
	v_div_scale_f64 v[180:181], s[18:19], v[164:165], v[164:165], v[166:167]
	v_rcp_f64_e32 v[182:183], v[180:181]
	v_div_scale_f64 v[184:185], vcc, v[166:167], v[164:165], v[166:167]
	v_fma_f64 v[186:187], -v[180:181], v[182:183], 1.0
	v_fmac_f64_e32 v[182:183], v[182:183], v[186:187]
	v_fma_f64 v[186:187], -v[180:181], v[182:183], 1.0
	v_fmac_f64_e32 v[182:183], v[182:183], v[186:187]
	v_mul_f64 v[186:187], v[184:185], v[182:183]
	v_fma_f64 v[180:181], -v[180:181], v[186:187], v[184:185]
	v_div_fmas_f64 v[180:181], v[180:181], v[182:183], v[186:187]
	v_div_fixup_f64 v[180:181], v[180:181], v[164:165], v[166:167]
	v_fmac_f64_e32 v[164:165], v[166:167], v[180:181]
	v_div_scale_f64 v[166:167], s[18:19], v[164:165], v[164:165], 1.0
	v_rcp_f64_e32 v[182:183], v[166:167]
	s_nop 0
	v_fma_f64 v[184:185], -v[166:167], v[182:183], 1.0
	v_fmac_f64_e32 v[182:183], v[182:183], v[184:185]
	v_fma_f64 v[184:185], -v[166:167], v[182:183], 1.0
	v_fmac_f64_e32 v[182:183], v[182:183], v[184:185]
	v_div_scale_f64 v[184:185], vcc, 1.0, v[164:165], 1.0
	v_mul_f64 v[186:187], v[184:185], v[182:183]
	v_fma_f64 v[166:167], -v[166:167], v[186:187], v[184:185]
	s_nop 1
	v_div_fmas_f64 v[166:167], v[166:167], v[182:183], v[186:187]
	v_div_fixup_f64 v[164:165], v[166:167], v[164:165], 1.0
	v_mul_f64 v[166:167], v[180:181], -v[164:165]
.LBB80_429:
	s_or_b64 exec, exec, s[16:17]
.LBB80_430:
	s_or_b64 exec, exec, s[0:1]
	v_cmp_ne_u32_e32 vcc, v177, v174
	s_and_saveexec_b64 s[0:1], vcc
	s_xor_b64 s[0:1], exec, s[0:1]
	s_cbranch_execz .LBB80_436
; %bb.431:
	v_cmp_eq_u32_e32 vcc, 20, v177
	s_and_saveexec_b64 s[16:17], vcc
	s_cbranch_execz .LBB80_435
; %bb.432:
	v_cmp_ne_u32_e32 vcc, 20, v174
	s_xor_b64 s[18:19], s[14:15], -1
	s_and_b64 s[22:23], s[18:19], vcc
	s_and_saveexec_b64 s[18:19], s[22:23]
	s_cbranch_execz .LBB80_434
; %bb.433:
	v_ashrrev_i32_e32 v175, 31, v174
	v_lshl_add_u64 v[180:181], v[174:175], 2, v[172:173]
	global_load_dword v175, v[180:181], off
	global_load_dword v177, v[172:173], off offset:80
	s_waitcnt vmcnt(1)
	global_store_dword v[172:173], v175, off offset:80
	s_waitcnt vmcnt(1)
	global_store_dword v[180:181], v177, off
.LBB80_434:
	s_or_b64 exec, exec, s[18:19]
	v_mov_b32_e32 v177, v174
	v_mov_b32_e32 v179, v174
.LBB80_435:
	s_or_b64 exec, exec, s[16:17]
.LBB80_436:
	s_andn2_saveexec_b64 s[0:1], s[0:1]
	s_cbranch_execz .LBB80_438
; %bb.437:
	v_mov_b32_e32 v177, 20
	s_waitcnt vmcnt(19)
	ds_write2_b64 v176, v[72:73], v[74:75] offset0:42 offset1:43
	s_waitcnt vmcnt(18)
	ds_write2_b64 v176, v[68:69], v[70:71] offset0:44 offset1:45
	;; [unrolled: 2-line block ×20, first 2 shown]
.LBB80_438:
	s_or_b64 exec, exec, s[0:1]
	v_cmp_lt_i32_e32 vcc, 20, v177
	s_waitcnt lgkmcnt(0)
	s_barrier
	s_and_saveexec_b64 s[0:1], vcc
	s_cbranch_execz .LBB80_440
; %bb.439:
	ds_read2_b64 v[180:183], v176 offset0:42 offset1:43
	v_mul_f64 v[174:175], v[166:167], v[78:79]
	v_mul_f64 v[78:79], v[164:165], v[78:79]
	v_fma_f64 v[174:175], v[164:165], v[76:77], -v[174:175]
	v_fmac_f64_e32 v[78:79], v[166:167], v[76:77]
	ds_read2_b64 v[164:167], v176 offset0:44 offset1:45
	s_waitcnt lgkmcnt(1)
	v_mul_f64 v[76:77], v[182:183], v[78:79]
	v_fma_f64 v[76:77], v[180:181], v[174:175], -v[76:77]
	v_mul_f64 v[180:181], v[180:181], v[78:79]
	v_fmac_f64_e32 v[180:181], v[182:183], v[174:175]
	s_waitcnt vmcnt(19)
	v_add_f64 v[72:73], v[72:73], -v[76:77]
	s_waitcnt lgkmcnt(0)
	v_mul_f64 v[76:77], v[166:167], v[78:79]
	v_add_f64 v[74:75], v[74:75], -v[180:181]
	v_fma_f64 v[76:77], v[164:165], v[174:175], -v[76:77]
	v_mul_f64 v[164:165], v[164:165], v[78:79]
	ds_read2_b64 v[180:183], v176 offset0:46 offset1:47
	v_fmac_f64_e32 v[164:165], v[166:167], v[174:175]
	s_waitcnt vmcnt(18)
	v_add_f64 v[70:71], v[70:71], -v[164:165]
	ds_read2_b64 v[164:167], v176 offset0:48 offset1:49
	v_add_f64 v[68:69], v[68:69], -v[76:77]
	s_waitcnt lgkmcnt(1)
	v_mul_f64 v[76:77], v[182:183], v[78:79]
	v_fma_f64 v[76:77], v[180:181], v[174:175], -v[76:77]
	v_mul_f64 v[180:181], v[180:181], v[78:79]
	v_fmac_f64_e32 v[180:181], v[182:183], v[174:175]
	s_waitcnt vmcnt(17)
	v_add_f64 v[64:65], v[64:65], -v[76:77]
	s_waitcnt lgkmcnt(0)
	v_mul_f64 v[76:77], v[166:167], v[78:79]
	v_add_f64 v[66:67], v[66:67], -v[180:181]
	v_fma_f64 v[76:77], v[164:165], v[174:175], -v[76:77]
	v_mul_f64 v[164:165], v[164:165], v[78:79]
	ds_read2_b64 v[180:183], v176 offset0:50 offset1:51
	v_fmac_f64_e32 v[164:165], v[166:167], v[174:175]
	s_waitcnt vmcnt(16)
	v_add_f64 v[62:63], v[62:63], -v[164:165]
	ds_read2_b64 v[164:167], v176 offset0:52 offset1:53
	v_add_f64 v[60:61], v[60:61], -v[76:77]
	;; [unrolled: 18-line block ×9, first 2 shown]
	s_waitcnt lgkmcnt(1)
	v_mul_f64 v[76:77], v[182:183], v[78:79]
	v_fma_f64 v[76:77], v[180:181], v[174:175], -v[76:77]
	s_waitcnt vmcnt(1)
	v_add_f64 v[0:1], v[0:1], -v[76:77]
	s_waitcnt lgkmcnt(0)
	v_mul_f64 v[76:77], v[166:167], v[78:79]
	v_mul_f64 v[180:181], v[180:181], v[78:79]
	v_fma_f64 v[76:77], v[164:165], v[174:175], -v[76:77]
	v_mul_f64 v[164:165], v[164:165], v[78:79]
	v_fmac_f64_e32 v[180:181], v[182:183], v[174:175]
	v_fmac_f64_e32 v[164:165], v[166:167], v[174:175]
	v_add_f64 v[2:3], v[2:3], -v[180:181]
	s_waitcnt vmcnt(0)
	v_add_f64 v[160:161], v[160:161], -v[76:77]
	v_add_f64 v[162:163], v[162:163], -v[164:165]
	v_mov_b64_e32 v[76:77], v[174:175]
.LBB80_440:
	s_or_b64 exec, exec, s[0:1]
	v_lshl_add_u32 v164, v177, 4, v176
	s_barrier
	s_waitcnt vmcnt(19)
	ds_write2_b64 v164, v[72:73], v[74:75] offset1:1
	s_waitcnt lgkmcnt(0)
	s_barrier
	ds_read2_b64 v[164:167], v176 offset0:42 offset1:43
	s_cmp_lt_i32 s20, 23
	v_mov_b32_e32 v174, 21
	s_cbranch_scc1 .LBB80_443
; %bb.441:
	v_add_u32_e32 v175, 0x160, v176
	s_mov_b32 s16, 22
	v_mov_b32_e32 v174, 21
.LBB80_442:                             ; =>This Inner Loop Header: Depth=1
	ds_read2_b64 v[180:183], v175 offset1:1
	s_waitcnt lgkmcnt(1)
	v_xor_b32_e32 v185, 0x80000000, v165
	v_xor_b32_e32 v187, 0x80000000, v167
	v_cmp_gt_f64_e32 vcc, 0, v[166:167]
	v_cmp_gt_f64_e64 s[0:1], 0, v[164:165]
	v_mov_b32_e32 v184, v164
	v_mov_b32_e32 v186, v166
	v_cndmask_b32_e64 v185, v165, v185, s[0:1]
	v_cndmask_b32_e32 v187, v167, v187, vcc
	v_add_f64 v[184:185], v[184:185], v[186:187]
	s_waitcnt lgkmcnt(0)
	v_xor_b32_e32 v187, 0x80000000, v181
	v_xor_b32_e32 v189, 0x80000000, v183
	v_cmp_gt_f64_e32 vcc, 0, v[182:183]
	v_cmp_gt_f64_e64 s[0:1], 0, v[180:181]
	v_mov_b32_e32 v186, v180
	v_mov_b32_e32 v188, v182
	v_cndmask_b32_e64 v187, v181, v187, s[0:1]
	v_cndmask_b32_e32 v189, v183, v189, vcc
	v_add_f64 v[186:187], v[186:187], v[188:189]
	v_mov_b32_e32 v190, s16
	s_add_i32 s16, s16, 1
	v_cmp_lt_f64_e32 vcc, v[184:185], v[186:187]
	v_add_u32_e32 v175, 16, v175
	s_cmp_lg_u32 s20, s16
	v_cndmask_b32_e32 v165, v165, v181, vcc
	v_cndmask_b32_e32 v164, v164, v180, vcc
	;; [unrolled: 1-line block ×5, first 2 shown]
	s_cbranch_scc1 .LBB80_442
.LBB80_443:
	s_waitcnt lgkmcnt(0)
	v_cmp_eq_f64_e32 vcc, 0, v[164:165]
	v_cmp_eq_f64_e64 s[0:1], 0, v[166:167]
	s_and_b64 s[0:1], vcc, s[0:1]
	s_and_saveexec_b64 s[16:17], s[0:1]
	s_xor_b64 s[0:1], exec, s[16:17]
; %bb.444:
	v_cmp_ne_u32_e32 vcc, 0, v178
	s_nop 1
	v_cndmask_b32_e32 v178, 22, v178, vcc
; %bb.445:
	s_andn2_saveexec_b64 s[0:1], s[0:1]
	s_cbranch_execz .LBB80_451
; %bb.446:
	v_cmp_ngt_f64_e64 s[16:17], |v[164:165]|, |v[166:167]|
	s_and_saveexec_b64 s[18:19], s[16:17]
	s_xor_b64 s[16:17], exec, s[18:19]
	s_cbranch_execz .LBB80_448
; %bb.447:
	v_div_scale_f64 v[180:181], s[18:19], v[166:167], v[166:167], v[164:165]
	v_rcp_f64_e32 v[182:183], v[180:181]
	v_div_scale_f64 v[184:185], vcc, v[164:165], v[166:167], v[164:165]
	v_fma_f64 v[186:187], -v[180:181], v[182:183], 1.0
	v_fmac_f64_e32 v[182:183], v[182:183], v[186:187]
	v_fma_f64 v[186:187], -v[180:181], v[182:183], 1.0
	v_fmac_f64_e32 v[182:183], v[182:183], v[186:187]
	v_mul_f64 v[186:187], v[184:185], v[182:183]
	v_fma_f64 v[180:181], -v[180:181], v[186:187], v[184:185]
	v_div_fmas_f64 v[180:181], v[180:181], v[182:183], v[186:187]
	v_div_fixup_f64 v[180:181], v[180:181], v[166:167], v[164:165]
	v_fmac_f64_e32 v[166:167], v[164:165], v[180:181]
	v_div_scale_f64 v[164:165], s[18:19], v[166:167], v[166:167], 1.0
	v_rcp_f64_e32 v[182:183], v[164:165]
	s_nop 0
	v_fma_f64 v[184:185], -v[164:165], v[182:183], 1.0
	v_fmac_f64_e32 v[182:183], v[182:183], v[184:185]
	v_fma_f64 v[184:185], -v[164:165], v[182:183], 1.0
	v_fmac_f64_e32 v[182:183], v[182:183], v[184:185]
	v_div_scale_f64 v[184:185], vcc, 1.0, v[166:167], 1.0
	v_mul_f64 v[186:187], v[184:185], v[182:183]
	v_fma_f64 v[164:165], -v[164:165], v[186:187], v[184:185]
	s_nop 1
	v_div_fmas_f64 v[164:165], v[164:165], v[182:183], v[186:187]
	v_div_fixup_f64 v[166:167], v[164:165], v[166:167], 1.0
	v_mul_f64 v[164:165], v[180:181], v[166:167]
	v_xor_b32_e32 v167, 0x80000000, v167
.LBB80_448:
	s_andn2_saveexec_b64 s[16:17], s[16:17]
	s_cbranch_execz .LBB80_450
; %bb.449:
	v_div_scale_f64 v[180:181], s[18:19], v[164:165], v[164:165], v[166:167]
	v_rcp_f64_e32 v[182:183], v[180:181]
	v_div_scale_f64 v[184:185], vcc, v[166:167], v[164:165], v[166:167]
	v_fma_f64 v[186:187], -v[180:181], v[182:183], 1.0
	v_fmac_f64_e32 v[182:183], v[182:183], v[186:187]
	v_fma_f64 v[186:187], -v[180:181], v[182:183], 1.0
	v_fmac_f64_e32 v[182:183], v[182:183], v[186:187]
	v_mul_f64 v[186:187], v[184:185], v[182:183]
	v_fma_f64 v[180:181], -v[180:181], v[186:187], v[184:185]
	v_div_fmas_f64 v[180:181], v[180:181], v[182:183], v[186:187]
	v_div_fixup_f64 v[180:181], v[180:181], v[164:165], v[166:167]
	v_fmac_f64_e32 v[164:165], v[166:167], v[180:181]
	v_div_scale_f64 v[166:167], s[18:19], v[164:165], v[164:165], 1.0
	v_rcp_f64_e32 v[182:183], v[166:167]
	s_nop 0
	v_fma_f64 v[184:185], -v[166:167], v[182:183], 1.0
	v_fmac_f64_e32 v[182:183], v[182:183], v[184:185]
	v_fma_f64 v[184:185], -v[166:167], v[182:183], 1.0
	v_fmac_f64_e32 v[182:183], v[182:183], v[184:185]
	v_div_scale_f64 v[184:185], vcc, 1.0, v[164:165], 1.0
	v_mul_f64 v[186:187], v[184:185], v[182:183]
	v_fma_f64 v[166:167], -v[166:167], v[186:187], v[184:185]
	s_nop 1
	v_div_fmas_f64 v[166:167], v[166:167], v[182:183], v[186:187]
	v_div_fixup_f64 v[164:165], v[166:167], v[164:165], 1.0
	v_mul_f64 v[166:167], v[180:181], -v[164:165]
.LBB80_450:
	s_or_b64 exec, exec, s[16:17]
.LBB80_451:
	s_or_b64 exec, exec, s[0:1]
	v_cmp_ne_u32_e32 vcc, v177, v174
	s_and_saveexec_b64 s[0:1], vcc
	s_xor_b64 s[0:1], exec, s[0:1]
	s_cbranch_execz .LBB80_457
; %bb.452:
	v_cmp_eq_u32_e32 vcc, 21, v177
	s_and_saveexec_b64 s[16:17], vcc
	s_cbranch_execz .LBB80_456
; %bb.453:
	v_cmp_ne_u32_e32 vcc, 21, v174
	s_xor_b64 s[18:19], s[14:15], -1
	s_and_b64 s[22:23], s[18:19], vcc
	s_and_saveexec_b64 s[18:19], s[22:23]
	s_cbranch_execz .LBB80_455
; %bb.454:
	v_ashrrev_i32_e32 v175, 31, v174
	v_lshl_add_u64 v[180:181], v[174:175], 2, v[172:173]
	global_load_dword v175, v[180:181], off
	global_load_dword v177, v[172:173], off offset:84
	s_waitcnt vmcnt(1)
	global_store_dword v[172:173], v175, off offset:84
	s_waitcnt vmcnt(1)
	global_store_dword v[180:181], v177, off
.LBB80_455:
	s_or_b64 exec, exec, s[18:19]
	v_mov_b32_e32 v177, v174
	v_mov_b32_e32 v179, v174
.LBB80_456:
	s_or_b64 exec, exec, s[16:17]
.LBB80_457:
	s_andn2_saveexec_b64 s[0:1], s[0:1]
	s_cbranch_execz .LBB80_459
; %bb.458:
	v_mov_b32_e32 v177, 21
	s_waitcnt vmcnt(18)
	ds_write2_b64 v176, v[68:69], v[70:71] offset0:44 offset1:45
	s_waitcnt vmcnt(17)
	ds_write2_b64 v176, v[64:65], v[66:67] offset0:46 offset1:47
	;; [unrolled: 2-line block ×19, first 2 shown]
.LBB80_459:
	s_or_b64 exec, exec, s[0:1]
	v_cmp_lt_i32_e32 vcc, 21, v177
	s_waitcnt lgkmcnt(0)
	s_barrier
	s_and_saveexec_b64 s[0:1], vcc
	s_cbranch_execz .LBB80_461
; %bb.460:
	ds_read2_b64 v[180:183], v176 offset0:44 offset1:45
	v_mul_f64 v[174:175], v[166:167], v[74:75]
	v_mul_f64 v[74:75], v[164:165], v[74:75]
	v_fmac_f64_e32 v[74:75], v[166:167], v[72:73]
	v_fma_f64 v[174:175], v[164:165], v[72:73], -v[174:175]
	ds_read2_b64 v[164:167], v176 offset0:46 offset1:47
	s_waitcnt lgkmcnt(1)
	v_mul_f64 v[72:73], v[182:183], v[74:75]
	v_fma_f64 v[72:73], v[180:181], v[174:175], -v[72:73]
	v_mul_f64 v[180:181], v[180:181], v[74:75]
	v_fmac_f64_e32 v[180:181], v[182:183], v[174:175]
	s_waitcnt vmcnt(18)
	v_add_f64 v[70:71], v[70:71], -v[180:181]
	ds_read2_b64 v[180:183], v176 offset0:48 offset1:49
	v_add_f64 v[68:69], v[68:69], -v[72:73]
	s_waitcnt lgkmcnt(1)
	v_mul_f64 v[72:73], v[166:167], v[74:75]
	v_fma_f64 v[72:73], v[164:165], v[174:175], -v[72:73]
	v_mul_f64 v[164:165], v[164:165], v[74:75]
	v_fmac_f64_e32 v[164:165], v[166:167], v[174:175]
	s_waitcnt vmcnt(17)
	v_add_f64 v[64:65], v[64:65], -v[72:73]
	v_add_f64 v[66:67], v[66:67], -v[164:165]
	ds_read2_b64 v[164:167], v176 offset0:50 offset1:51
	s_waitcnt lgkmcnt(1)
	v_mul_f64 v[72:73], v[182:183], v[74:75]
	v_fma_f64 v[72:73], v[180:181], v[174:175], -v[72:73]
	v_mul_f64 v[180:181], v[180:181], v[74:75]
	v_fmac_f64_e32 v[180:181], v[182:183], v[174:175]
	s_waitcnt vmcnt(16)
	v_add_f64 v[62:63], v[62:63], -v[180:181]
	ds_read2_b64 v[180:183], v176 offset0:52 offset1:53
	v_add_f64 v[60:61], v[60:61], -v[72:73]
	s_waitcnt lgkmcnt(1)
	v_mul_f64 v[72:73], v[166:167], v[74:75]
	v_fma_f64 v[72:73], v[164:165], v[174:175], -v[72:73]
	v_mul_f64 v[164:165], v[164:165], v[74:75]
	v_fmac_f64_e32 v[164:165], v[166:167], v[174:175]
	s_waitcnt vmcnt(15)
	v_add_f64 v[56:57], v[56:57], -v[72:73]
	v_add_f64 v[58:59], v[58:59], -v[164:165]
	;; [unrolled: 18-line block ×9, first 2 shown]
	s_waitcnt lgkmcnt(0)
	v_mul_f64 v[72:73], v[182:183], v[74:75]
	v_mul_f64 v[164:165], v[180:181], v[74:75]
	v_fma_f64 v[72:73], v[180:181], v[174:175], -v[72:73]
	v_fmac_f64_e32 v[164:165], v[182:183], v[174:175]
	s_waitcnt vmcnt(0)
	v_add_f64 v[160:161], v[160:161], -v[72:73]
	v_add_f64 v[162:163], v[162:163], -v[164:165]
	v_mov_b64_e32 v[72:73], v[174:175]
.LBB80_461:
	s_or_b64 exec, exec, s[0:1]
	v_lshl_add_u32 v164, v177, 4, v176
	s_barrier
	s_waitcnt vmcnt(18)
	ds_write2_b64 v164, v[68:69], v[70:71] offset1:1
	s_waitcnt lgkmcnt(0)
	s_barrier
	ds_read2_b64 v[164:167], v176 offset0:44 offset1:45
	s_cmp_lt_i32 s20, 24
	v_mov_b32_e32 v174, 22
	s_cbranch_scc1 .LBB80_464
; %bb.462:
	v_add_u32_e32 v175, 0x170, v176
	s_mov_b32 s16, 23
	v_mov_b32_e32 v174, 22
.LBB80_463:                             ; =>This Inner Loop Header: Depth=1
	ds_read2_b64 v[180:183], v175 offset1:1
	s_waitcnt lgkmcnt(1)
	v_xor_b32_e32 v185, 0x80000000, v165
	v_xor_b32_e32 v187, 0x80000000, v167
	v_cmp_gt_f64_e32 vcc, 0, v[166:167]
	v_cmp_gt_f64_e64 s[0:1], 0, v[164:165]
	v_mov_b32_e32 v184, v164
	v_mov_b32_e32 v186, v166
	v_cndmask_b32_e64 v185, v165, v185, s[0:1]
	v_cndmask_b32_e32 v187, v167, v187, vcc
	v_add_f64 v[184:185], v[184:185], v[186:187]
	s_waitcnt lgkmcnt(0)
	v_xor_b32_e32 v187, 0x80000000, v181
	v_xor_b32_e32 v189, 0x80000000, v183
	v_cmp_gt_f64_e32 vcc, 0, v[182:183]
	v_cmp_gt_f64_e64 s[0:1], 0, v[180:181]
	v_mov_b32_e32 v186, v180
	v_mov_b32_e32 v188, v182
	v_cndmask_b32_e64 v187, v181, v187, s[0:1]
	v_cndmask_b32_e32 v189, v183, v189, vcc
	v_add_f64 v[186:187], v[186:187], v[188:189]
	v_mov_b32_e32 v190, s16
	s_add_i32 s16, s16, 1
	v_cmp_lt_f64_e32 vcc, v[184:185], v[186:187]
	v_add_u32_e32 v175, 16, v175
	s_cmp_lg_u32 s20, s16
	v_cndmask_b32_e32 v165, v165, v181, vcc
	v_cndmask_b32_e32 v164, v164, v180, vcc
	;; [unrolled: 1-line block ×5, first 2 shown]
	s_cbranch_scc1 .LBB80_463
.LBB80_464:
	s_waitcnt lgkmcnt(0)
	v_cmp_eq_f64_e32 vcc, 0, v[164:165]
	v_cmp_eq_f64_e64 s[0:1], 0, v[166:167]
	s_and_b64 s[0:1], vcc, s[0:1]
	s_and_saveexec_b64 s[16:17], s[0:1]
	s_xor_b64 s[0:1], exec, s[16:17]
; %bb.465:
	v_cmp_ne_u32_e32 vcc, 0, v178
	s_nop 1
	v_cndmask_b32_e32 v178, 23, v178, vcc
; %bb.466:
	s_andn2_saveexec_b64 s[0:1], s[0:1]
	s_cbranch_execz .LBB80_472
; %bb.467:
	v_cmp_ngt_f64_e64 s[16:17], |v[164:165]|, |v[166:167]|
	s_and_saveexec_b64 s[18:19], s[16:17]
	s_xor_b64 s[16:17], exec, s[18:19]
	s_cbranch_execz .LBB80_469
; %bb.468:
	v_div_scale_f64 v[180:181], s[18:19], v[166:167], v[166:167], v[164:165]
	v_rcp_f64_e32 v[182:183], v[180:181]
	v_div_scale_f64 v[184:185], vcc, v[164:165], v[166:167], v[164:165]
	v_fma_f64 v[186:187], -v[180:181], v[182:183], 1.0
	v_fmac_f64_e32 v[182:183], v[182:183], v[186:187]
	v_fma_f64 v[186:187], -v[180:181], v[182:183], 1.0
	v_fmac_f64_e32 v[182:183], v[182:183], v[186:187]
	v_mul_f64 v[186:187], v[184:185], v[182:183]
	v_fma_f64 v[180:181], -v[180:181], v[186:187], v[184:185]
	v_div_fmas_f64 v[180:181], v[180:181], v[182:183], v[186:187]
	v_div_fixup_f64 v[180:181], v[180:181], v[166:167], v[164:165]
	v_fmac_f64_e32 v[166:167], v[164:165], v[180:181]
	v_div_scale_f64 v[164:165], s[18:19], v[166:167], v[166:167], 1.0
	v_rcp_f64_e32 v[182:183], v[164:165]
	s_nop 0
	v_fma_f64 v[184:185], -v[164:165], v[182:183], 1.0
	v_fmac_f64_e32 v[182:183], v[182:183], v[184:185]
	v_fma_f64 v[184:185], -v[164:165], v[182:183], 1.0
	v_fmac_f64_e32 v[182:183], v[182:183], v[184:185]
	v_div_scale_f64 v[184:185], vcc, 1.0, v[166:167], 1.0
	v_mul_f64 v[186:187], v[184:185], v[182:183]
	v_fma_f64 v[164:165], -v[164:165], v[186:187], v[184:185]
	s_nop 1
	v_div_fmas_f64 v[164:165], v[164:165], v[182:183], v[186:187]
	v_div_fixup_f64 v[166:167], v[164:165], v[166:167], 1.0
	v_mul_f64 v[164:165], v[180:181], v[166:167]
	v_xor_b32_e32 v167, 0x80000000, v167
.LBB80_469:
	s_andn2_saveexec_b64 s[16:17], s[16:17]
	s_cbranch_execz .LBB80_471
; %bb.470:
	v_div_scale_f64 v[180:181], s[18:19], v[164:165], v[164:165], v[166:167]
	v_rcp_f64_e32 v[182:183], v[180:181]
	v_div_scale_f64 v[184:185], vcc, v[166:167], v[164:165], v[166:167]
	v_fma_f64 v[186:187], -v[180:181], v[182:183], 1.0
	v_fmac_f64_e32 v[182:183], v[182:183], v[186:187]
	v_fma_f64 v[186:187], -v[180:181], v[182:183], 1.0
	v_fmac_f64_e32 v[182:183], v[182:183], v[186:187]
	v_mul_f64 v[186:187], v[184:185], v[182:183]
	v_fma_f64 v[180:181], -v[180:181], v[186:187], v[184:185]
	v_div_fmas_f64 v[180:181], v[180:181], v[182:183], v[186:187]
	v_div_fixup_f64 v[180:181], v[180:181], v[164:165], v[166:167]
	v_fmac_f64_e32 v[164:165], v[166:167], v[180:181]
	v_div_scale_f64 v[166:167], s[18:19], v[164:165], v[164:165], 1.0
	v_rcp_f64_e32 v[182:183], v[166:167]
	s_nop 0
	v_fma_f64 v[184:185], -v[166:167], v[182:183], 1.0
	v_fmac_f64_e32 v[182:183], v[182:183], v[184:185]
	v_fma_f64 v[184:185], -v[166:167], v[182:183], 1.0
	v_fmac_f64_e32 v[182:183], v[182:183], v[184:185]
	v_div_scale_f64 v[184:185], vcc, 1.0, v[164:165], 1.0
	v_mul_f64 v[186:187], v[184:185], v[182:183]
	v_fma_f64 v[166:167], -v[166:167], v[186:187], v[184:185]
	s_nop 1
	v_div_fmas_f64 v[166:167], v[166:167], v[182:183], v[186:187]
	v_div_fixup_f64 v[164:165], v[166:167], v[164:165], 1.0
	v_mul_f64 v[166:167], v[180:181], -v[164:165]
.LBB80_471:
	s_or_b64 exec, exec, s[16:17]
.LBB80_472:
	s_or_b64 exec, exec, s[0:1]
	v_cmp_ne_u32_e32 vcc, v177, v174
	s_and_saveexec_b64 s[0:1], vcc
	s_xor_b64 s[0:1], exec, s[0:1]
	s_cbranch_execz .LBB80_478
; %bb.473:
	v_cmp_eq_u32_e32 vcc, 22, v177
	s_and_saveexec_b64 s[16:17], vcc
	s_cbranch_execz .LBB80_477
; %bb.474:
	v_cmp_ne_u32_e32 vcc, 22, v174
	s_xor_b64 s[18:19], s[14:15], -1
	s_and_b64 s[22:23], s[18:19], vcc
	s_and_saveexec_b64 s[18:19], s[22:23]
	s_cbranch_execz .LBB80_476
; %bb.475:
	v_ashrrev_i32_e32 v175, 31, v174
	v_lshl_add_u64 v[180:181], v[174:175], 2, v[172:173]
	global_load_dword v175, v[180:181], off
	global_load_dword v177, v[172:173], off offset:88
	s_waitcnt vmcnt(1)
	global_store_dword v[172:173], v175, off offset:88
	s_waitcnt vmcnt(1)
	global_store_dword v[180:181], v177, off
.LBB80_476:
	s_or_b64 exec, exec, s[18:19]
	v_mov_b32_e32 v177, v174
	v_mov_b32_e32 v179, v174
.LBB80_477:
	s_or_b64 exec, exec, s[16:17]
.LBB80_478:
	s_andn2_saveexec_b64 s[0:1], s[0:1]
	s_cbranch_execz .LBB80_480
; %bb.479:
	v_mov_b32_e32 v177, 22
	s_waitcnt vmcnt(17)
	ds_write2_b64 v176, v[64:65], v[66:67] offset0:46 offset1:47
	s_waitcnt vmcnt(16)
	ds_write2_b64 v176, v[60:61], v[62:63] offset0:48 offset1:49
	;; [unrolled: 2-line block ×18, first 2 shown]
.LBB80_480:
	s_or_b64 exec, exec, s[0:1]
	v_cmp_lt_i32_e32 vcc, 22, v177
	s_waitcnt lgkmcnt(0)
	s_barrier
	s_and_saveexec_b64 s[0:1], vcc
	s_cbranch_execz .LBB80_482
; %bb.481:
	ds_read2_b64 v[180:183], v176 offset0:46 offset1:47
	v_mul_f64 v[174:175], v[166:167], v[70:71]
	v_mul_f64 v[70:71], v[164:165], v[70:71]
	v_fma_f64 v[174:175], v[164:165], v[68:69], -v[174:175]
	v_fmac_f64_e32 v[70:71], v[166:167], v[68:69]
	ds_read2_b64 v[164:167], v176 offset0:48 offset1:49
	s_waitcnt lgkmcnt(1)
	v_mul_f64 v[68:69], v[182:183], v[70:71]
	v_fma_f64 v[68:69], v[180:181], v[174:175], -v[68:69]
	v_mul_f64 v[180:181], v[180:181], v[70:71]
	v_fmac_f64_e32 v[180:181], v[182:183], v[174:175]
	s_waitcnt vmcnt(17)
	v_add_f64 v[64:65], v[64:65], -v[68:69]
	s_waitcnt lgkmcnt(0)
	v_mul_f64 v[68:69], v[166:167], v[70:71]
	v_add_f64 v[66:67], v[66:67], -v[180:181]
	v_fma_f64 v[68:69], v[164:165], v[174:175], -v[68:69]
	v_mul_f64 v[164:165], v[164:165], v[70:71]
	ds_read2_b64 v[180:183], v176 offset0:50 offset1:51
	v_fmac_f64_e32 v[164:165], v[166:167], v[174:175]
	s_waitcnt vmcnt(16)
	v_add_f64 v[62:63], v[62:63], -v[164:165]
	ds_read2_b64 v[164:167], v176 offset0:52 offset1:53
	v_add_f64 v[60:61], v[60:61], -v[68:69]
	s_waitcnt lgkmcnt(1)
	v_mul_f64 v[68:69], v[182:183], v[70:71]
	v_fma_f64 v[68:69], v[180:181], v[174:175], -v[68:69]
	v_mul_f64 v[180:181], v[180:181], v[70:71]
	v_fmac_f64_e32 v[180:181], v[182:183], v[174:175]
	s_waitcnt vmcnt(15)
	v_add_f64 v[56:57], v[56:57], -v[68:69]
	s_waitcnt lgkmcnt(0)
	v_mul_f64 v[68:69], v[166:167], v[70:71]
	v_add_f64 v[58:59], v[58:59], -v[180:181]
	v_fma_f64 v[68:69], v[164:165], v[174:175], -v[68:69]
	v_mul_f64 v[164:165], v[164:165], v[70:71]
	ds_read2_b64 v[180:183], v176 offset0:54 offset1:55
	v_fmac_f64_e32 v[164:165], v[166:167], v[174:175]
	s_waitcnt vmcnt(14)
	v_add_f64 v[54:55], v[54:55], -v[164:165]
	ds_read2_b64 v[164:167], v176 offset0:56 offset1:57
	v_add_f64 v[52:53], v[52:53], -v[68:69]
	;; [unrolled: 18-line block ×8, first 2 shown]
	s_waitcnt lgkmcnt(1)
	v_mul_f64 v[68:69], v[182:183], v[70:71]
	v_fma_f64 v[68:69], v[180:181], v[174:175], -v[68:69]
	s_waitcnt vmcnt(1)
	v_add_f64 v[0:1], v[0:1], -v[68:69]
	s_waitcnt lgkmcnt(0)
	v_mul_f64 v[68:69], v[166:167], v[70:71]
	v_mul_f64 v[180:181], v[180:181], v[70:71]
	v_fma_f64 v[68:69], v[164:165], v[174:175], -v[68:69]
	v_mul_f64 v[164:165], v[164:165], v[70:71]
	v_fmac_f64_e32 v[180:181], v[182:183], v[174:175]
	v_fmac_f64_e32 v[164:165], v[166:167], v[174:175]
	v_add_f64 v[2:3], v[2:3], -v[180:181]
	s_waitcnt vmcnt(0)
	v_add_f64 v[160:161], v[160:161], -v[68:69]
	v_add_f64 v[162:163], v[162:163], -v[164:165]
	v_mov_b64_e32 v[68:69], v[174:175]
.LBB80_482:
	s_or_b64 exec, exec, s[0:1]
	v_lshl_add_u32 v164, v177, 4, v176
	s_barrier
	s_waitcnt vmcnt(17)
	ds_write2_b64 v164, v[64:65], v[66:67] offset1:1
	s_waitcnt lgkmcnt(0)
	s_barrier
	ds_read2_b64 v[164:167], v176 offset0:46 offset1:47
	s_cmp_lt_i32 s20, 25
	v_mov_b32_e32 v174, 23
	s_cbranch_scc1 .LBB80_485
; %bb.483:
	v_add_u32_e32 v175, 0x180, v176
	s_mov_b32 s16, 24
	v_mov_b32_e32 v174, 23
.LBB80_484:                             ; =>This Inner Loop Header: Depth=1
	ds_read2_b64 v[180:183], v175 offset1:1
	s_waitcnt lgkmcnt(1)
	v_xor_b32_e32 v185, 0x80000000, v165
	v_xor_b32_e32 v187, 0x80000000, v167
	v_cmp_gt_f64_e32 vcc, 0, v[166:167]
	v_cmp_gt_f64_e64 s[0:1], 0, v[164:165]
	v_mov_b32_e32 v184, v164
	v_mov_b32_e32 v186, v166
	v_cndmask_b32_e64 v185, v165, v185, s[0:1]
	v_cndmask_b32_e32 v187, v167, v187, vcc
	v_add_f64 v[184:185], v[184:185], v[186:187]
	s_waitcnt lgkmcnt(0)
	v_xor_b32_e32 v187, 0x80000000, v181
	v_xor_b32_e32 v189, 0x80000000, v183
	v_cmp_gt_f64_e32 vcc, 0, v[182:183]
	v_cmp_gt_f64_e64 s[0:1], 0, v[180:181]
	v_mov_b32_e32 v186, v180
	v_mov_b32_e32 v188, v182
	v_cndmask_b32_e64 v187, v181, v187, s[0:1]
	v_cndmask_b32_e32 v189, v183, v189, vcc
	v_add_f64 v[186:187], v[186:187], v[188:189]
	v_mov_b32_e32 v190, s16
	s_add_i32 s16, s16, 1
	v_cmp_lt_f64_e32 vcc, v[184:185], v[186:187]
	v_add_u32_e32 v175, 16, v175
	s_cmp_lg_u32 s20, s16
	v_cndmask_b32_e32 v165, v165, v181, vcc
	v_cndmask_b32_e32 v164, v164, v180, vcc
	v_cndmask_b32_e32 v167, v167, v183, vcc
	v_cndmask_b32_e32 v166, v166, v182, vcc
	v_cndmask_b32_e32 v174, v174, v190, vcc
	s_cbranch_scc1 .LBB80_484
.LBB80_485:
	s_waitcnt lgkmcnt(0)
	v_cmp_eq_f64_e32 vcc, 0, v[164:165]
	v_cmp_eq_f64_e64 s[0:1], 0, v[166:167]
	s_and_b64 s[0:1], vcc, s[0:1]
	s_and_saveexec_b64 s[16:17], s[0:1]
	s_xor_b64 s[0:1], exec, s[16:17]
; %bb.486:
	v_cmp_ne_u32_e32 vcc, 0, v178
	s_nop 1
	v_cndmask_b32_e32 v178, 24, v178, vcc
; %bb.487:
	s_andn2_saveexec_b64 s[0:1], s[0:1]
	s_cbranch_execz .LBB80_493
; %bb.488:
	v_cmp_ngt_f64_e64 s[16:17], |v[164:165]|, |v[166:167]|
	s_and_saveexec_b64 s[18:19], s[16:17]
	s_xor_b64 s[16:17], exec, s[18:19]
	s_cbranch_execz .LBB80_490
; %bb.489:
	v_div_scale_f64 v[180:181], s[18:19], v[166:167], v[166:167], v[164:165]
	v_rcp_f64_e32 v[182:183], v[180:181]
	v_div_scale_f64 v[184:185], vcc, v[164:165], v[166:167], v[164:165]
	v_fma_f64 v[186:187], -v[180:181], v[182:183], 1.0
	v_fmac_f64_e32 v[182:183], v[182:183], v[186:187]
	v_fma_f64 v[186:187], -v[180:181], v[182:183], 1.0
	v_fmac_f64_e32 v[182:183], v[182:183], v[186:187]
	v_mul_f64 v[186:187], v[184:185], v[182:183]
	v_fma_f64 v[180:181], -v[180:181], v[186:187], v[184:185]
	v_div_fmas_f64 v[180:181], v[180:181], v[182:183], v[186:187]
	v_div_fixup_f64 v[180:181], v[180:181], v[166:167], v[164:165]
	v_fmac_f64_e32 v[166:167], v[164:165], v[180:181]
	v_div_scale_f64 v[164:165], s[18:19], v[166:167], v[166:167], 1.0
	v_rcp_f64_e32 v[182:183], v[164:165]
	s_nop 0
	v_fma_f64 v[184:185], -v[164:165], v[182:183], 1.0
	v_fmac_f64_e32 v[182:183], v[182:183], v[184:185]
	v_fma_f64 v[184:185], -v[164:165], v[182:183], 1.0
	v_fmac_f64_e32 v[182:183], v[182:183], v[184:185]
	v_div_scale_f64 v[184:185], vcc, 1.0, v[166:167], 1.0
	v_mul_f64 v[186:187], v[184:185], v[182:183]
	v_fma_f64 v[164:165], -v[164:165], v[186:187], v[184:185]
	s_nop 1
	v_div_fmas_f64 v[164:165], v[164:165], v[182:183], v[186:187]
	v_div_fixup_f64 v[166:167], v[164:165], v[166:167], 1.0
	v_mul_f64 v[164:165], v[180:181], v[166:167]
	v_xor_b32_e32 v167, 0x80000000, v167
.LBB80_490:
	s_andn2_saveexec_b64 s[16:17], s[16:17]
	s_cbranch_execz .LBB80_492
; %bb.491:
	v_div_scale_f64 v[180:181], s[18:19], v[164:165], v[164:165], v[166:167]
	v_rcp_f64_e32 v[182:183], v[180:181]
	v_div_scale_f64 v[184:185], vcc, v[166:167], v[164:165], v[166:167]
	v_fma_f64 v[186:187], -v[180:181], v[182:183], 1.0
	v_fmac_f64_e32 v[182:183], v[182:183], v[186:187]
	v_fma_f64 v[186:187], -v[180:181], v[182:183], 1.0
	v_fmac_f64_e32 v[182:183], v[182:183], v[186:187]
	v_mul_f64 v[186:187], v[184:185], v[182:183]
	v_fma_f64 v[180:181], -v[180:181], v[186:187], v[184:185]
	v_div_fmas_f64 v[180:181], v[180:181], v[182:183], v[186:187]
	v_div_fixup_f64 v[180:181], v[180:181], v[164:165], v[166:167]
	v_fmac_f64_e32 v[164:165], v[166:167], v[180:181]
	v_div_scale_f64 v[166:167], s[18:19], v[164:165], v[164:165], 1.0
	v_rcp_f64_e32 v[182:183], v[166:167]
	s_nop 0
	v_fma_f64 v[184:185], -v[166:167], v[182:183], 1.0
	v_fmac_f64_e32 v[182:183], v[182:183], v[184:185]
	v_fma_f64 v[184:185], -v[166:167], v[182:183], 1.0
	v_fmac_f64_e32 v[182:183], v[182:183], v[184:185]
	v_div_scale_f64 v[184:185], vcc, 1.0, v[164:165], 1.0
	v_mul_f64 v[186:187], v[184:185], v[182:183]
	v_fma_f64 v[166:167], -v[166:167], v[186:187], v[184:185]
	s_nop 1
	v_div_fmas_f64 v[166:167], v[166:167], v[182:183], v[186:187]
	v_div_fixup_f64 v[164:165], v[166:167], v[164:165], 1.0
	v_mul_f64 v[166:167], v[180:181], -v[164:165]
.LBB80_492:
	s_or_b64 exec, exec, s[16:17]
.LBB80_493:
	s_or_b64 exec, exec, s[0:1]
	v_cmp_ne_u32_e32 vcc, v177, v174
	s_and_saveexec_b64 s[0:1], vcc
	s_xor_b64 s[0:1], exec, s[0:1]
	s_cbranch_execz .LBB80_499
; %bb.494:
	v_cmp_eq_u32_e32 vcc, 23, v177
	s_and_saveexec_b64 s[16:17], vcc
	s_cbranch_execz .LBB80_498
; %bb.495:
	v_cmp_ne_u32_e32 vcc, 23, v174
	s_xor_b64 s[18:19], s[14:15], -1
	s_and_b64 s[22:23], s[18:19], vcc
	s_and_saveexec_b64 s[18:19], s[22:23]
	s_cbranch_execz .LBB80_497
; %bb.496:
	v_ashrrev_i32_e32 v175, 31, v174
	v_lshl_add_u64 v[180:181], v[174:175], 2, v[172:173]
	global_load_dword v175, v[180:181], off
	global_load_dword v177, v[172:173], off offset:92
	s_waitcnt vmcnt(1)
	global_store_dword v[172:173], v175, off offset:92
	s_waitcnt vmcnt(1)
	global_store_dword v[180:181], v177, off
.LBB80_497:
	s_or_b64 exec, exec, s[18:19]
	v_mov_b32_e32 v177, v174
	v_mov_b32_e32 v179, v174
.LBB80_498:
	s_or_b64 exec, exec, s[16:17]
.LBB80_499:
	s_andn2_saveexec_b64 s[0:1], s[0:1]
	s_cbranch_execz .LBB80_501
; %bb.500:
	v_mov_b32_e32 v177, 23
	s_waitcnt vmcnt(16)
	ds_write2_b64 v176, v[60:61], v[62:63] offset0:48 offset1:49
	s_waitcnt vmcnt(15)
	ds_write2_b64 v176, v[56:57], v[58:59] offset0:50 offset1:51
	;; [unrolled: 2-line block ×17, first 2 shown]
.LBB80_501:
	s_or_b64 exec, exec, s[0:1]
	v_cmp_lt_i32_e32 vcc, 23, v177
	s_waitcnt lgkmcnt(0)
	s_barrier
	s_and_saveexec_b64 s[0:1], vcc
	s_cbranch_execz .LBB80_503
; %bb.502:
	ds_read2_b64 v[180:183], v176 offset0:48 offset1:49
	v_mul_f64 v[174:175], v[166:167], v[66:67]
	v_mul_f64 v[66:67], v[164:165], v[66:67]
	v_fmac_f64_e32 v[66:67], v[166:167], v[64:65]
	v_fma_f64 v[174:175], v[164:165], v[64:65], -v[174:175]
	ds_read2_b64 v[164:167], v176 offset0:50 offset1:51
	s_waitcnt lgkmcnt(1)
	v_mul_f64 v[64:65], v[182:183], v[66:67]
	v_fma_f64 v[64:65], v[180:181], v[174:175], -v[64:65]
	v_mul_f64 v[180:181], v[180:181], v[66:67]
	v_fmac_f64_e32 v[180:181], v[182:183], v[174:175]
	s_waitcnt vmcnt(16)
	v_add_f64 v[62:63], v[62:63], -v[180:181]
	ds_read2_b64 v[180:183], v176 offset0:52 offset1:53
	v_add_f64 v[60:61], v[60:61], -v[64:65]
	s_waitcnt lgkmcnt(1)
	v_mul_f64 v[64:65], v[166:167], v[66:67]
	v_fma_f64 v[64:65], v[164:165], v[174:175], -v[64:65]
	v_mul_f64 v[164:165], v[164:165], v[66:67]
	v_fmac_f64_e32 v[164:165], v[166:167], v[174:175]
	s_waitcnt vmcnt(15)
	v_add_f64 v[56:57], v[56:57], -v[64:65]
	v_add_f64 v[58:59], v[58:59], -v[164:165]
	ds_read2_b64 v[164:167], v176 offset0:54 offset1:55
	s_waitcnt lgkmcnt(1)
	v_mul_f64 v[64:65], v[182:183], v[66:67]
	v_fma_f64 v[64:65], v[180:181], v[174:175], -v[64:65]
	v_mul_f64 v[180:181], v[180:181], v[66:67]
	v_fmac_f64_e32 v[180:181], v[182:183], v[174:175]
	s_waitcnt vmcnt(14)
	v_add_f64 v[54:55], v[54:55], -v[180:181]
	ds_read2_b64 v[180:183], v176 offset0:56 offset1:57
	v_add_f64 v[52:53], v[52:53], -v[64:65]
	s_waitcnt lgkmcnt(1)
	v_mul_f64 v[64:65], v[166:167], v[66:67]
	v_fma_f64 v[64:65], v[164:165], v[174:175], -v[64:65]
	v_mul_f64 v[164:165], v[164:165], v[66:67]
	v_fmac_f64_e32 v[164:165], v[166:167], v[174:175]
	s_waitcnt vmcnt(13)
	v_add_f64 v[48:49], v[48:49], -v[64:65]
	v_add_f64 v[50:51], v[50:51], -v[164:165]
	;; [unrolled: 18-line block ×8, first 2 shown]
	s_waitcnt lgkmcnt(0)
	v_mul_f64 v[64:65], v[182:183], v[66:67]
	v_mul_f64 v[164:165], v[180:181], v[66:67]
	v_fma_f64 v[64:65], v[180:181], v[174:175], -v[64:65]
	v_fmac_f64_e32 v[164:165], v[182:183], v[174:175]
	s_waitcnt vmcnt(0)
	v_add_f64 v[160:161], v[160:161], -v[64:65]
	v_add_f64 v[162:163], v[162:163], -v[164:165]
	v_mov_b64_e32 v[64:65], v[174:175]
.LBB80_503:
	s_or_b64 exec, exec, s[0:1]
	v_lshl_add_u32 v164, v177, 4, v176
	s_barrier
	s_waitcnt vmcnt(16)
	ds_write2_b64 v164, v[60:61], v[62:63] offset1:1
	s_waitcnt lgkmcnt(0)
	s_barrier
	ds_read2_b64 v[164:167], v176 offset0:48 offset1:49
	s_cmp_lt_i32 s20, 26
	v_mov_b32_e32 v174, 24
	s_cbranch_scc1 .LBB80_506
; %bb.504:
	v_add_u32_e32 v175, 0x190, v176
	s_mov_b32 s16, 25
	v_mov_b32_e32 v174, 24
.LBB80_505:                             ; =>This Inner Loop Header: Depth=1
	ds_read2_b64 v[180:183], v175 offset1:1
	s_waitcnt lgkmcnt(1)
	v_xor_b32_e32 v185, 0x80000000, v165
	v_xor_b32_e32 v187, 0x80000000, v167
	v_cmp_gt_f64_e32 vcc, 0, v[166:167]
	v_cmp_gt_f64_e64 s[0:1], 0, v[164:165]
	v_mov_b32_e32 v184, v164
	v_mov_b32_e32 v186, v166
	v_cndmask_b32_e64 v185, v165, v185, s[0:1]
	v_cndmask_b32_e32 v187, v167, v187, vcc
	v_add_f64 v[184:185], v[184:185], v[186:187]
	s_waitcnt lgkmcnt(0)
	v_xor_b32_e32 v187, 0x80000000, v181
	v_xor_b32_e32 v189, 0x80000000, v183
	v_cmp_gt_f64_e32 vcc, 0, v[182:183]
	v_cmp_gt_f64_e64 s[0:1], 0, v[180:181]
	v_mov_b32_e32 v186, v180
	v_mov_b32_e32 v188, v182
	v_cndmask_b32_e64 v187, v181, v187, s[0:1]
	v_cndmask_b32_e32 v189, v183, v189, vcc
	v_add_f64 v[186:187], v[186:187], v[188:189]
	v_mov_b32_e32 v190, s16
	s_add_i32 s16, s16, 1
	v_cmp_lt_f64_e32 vcc, v[184:185], v[186:187]
	v_add_u32_e32 v175, 16, v175
	s_cmp_lg_u32 s20, s16
	v_cndmask_b32_e32 v165, v165, v181, vcc
	v_cndmask_b32_e32 v164, v164, v180, vcc
	;; [unrolled: 1-line block ×5, first 2 shown]
	s_cbranch_scc1 .LBB80_505
.LBB80_506:
	s_waitcnt lgkmcnt(0)
	v_cmp_eq_f64_e32 vcc, 0, v[164:165]
	v_cmp_eq_f64_e64 s[0:1], 0, v[166:167]
	s_and_b64 s[0:1], vcc, s[0:1]
	s_and_saveexec_b64 s[16:17], s[0:1]
	s_xor_b64 s[0:1], exec, s[16:17]
; %bb.507:
	v_cmp_ne_u32_e32 vcc, 0, v178
	s_nop 1
	v_cndmask_b32_e32 v178, 25, v178, vcc
; %bb.508:
	s_andn2_saveexec_b64 s[0:1], s[0:1]
	s_cbranch_execz .LBB80_514
; %bb.509:
	v_cmp_ngt_f64_e64 s[16:17], |v[164:165]|, |v[166:167]|
	s_and_saveexec_b64 s[18:19], s[16:17]
	s_xor_b64 s[16:17], exec, s[18:19]
	s_cbranch_execz .LBB80_511
; %bb.510:
	v_div_scale_f64 v[180:181], s[18:19], v[166:167], v[166:167], v[164:165]
	v_rcp_f64_e32 v[182:183], v[180:181]
	v_div_scale_f64 v[184:185], vcc, v[164:165], v[166:167], v[164:165]
	v_fma_f64 v[186:187], -v[180:181], v[182:183], 1.0
	v_fmac_f64_e32 v[182:183], v[182:183], v[186:187]
	v_fma_f64 v[186:187], -v[180:181], v[182:183], 1.0
	v_fmac_f64_e32 v[182:183], v[182:183], v[186:187]
	v_mul_f64 v[186:187], v[184:185], v[182:183]
	v_fma_f64 v[180:181], -v[180:181], v[186:187], v[184:185]
	v_div_fmas_f64 v[180:181], v[180:181], v[182:183], v[186:187]
	v_div_fixup_f64 v[180:181], v[180:181], v[166:167], v[164:165]
	v_fmac_f64_e32 v[166:167], v[164:165], v[180:181]
	v_div_scale_f64 v[164:165], s[18:19], v[166:167], v[166:167], 1.0
	v_rcp_f64_e32 v[182:183], v[164:165]
	s_nop 0
	v_fma_f64 v[184:185], -v[164:165], v[182:183], 1.0
	v_fmac_f64_e32 v[182:183], v[182:183], v[184:185]
	v_fma_f64 v[184:185], -v[164:165], v[182:183], 1.0
	v_fmac_f64_e32 v[182:183], v[182:183], v[184:185]
	v_div_scale_f64 v[184:185], vcc, 1.0, v[166:167], 1.0
	v_mul_f64 v[186:187], v[184:185], v[182:183]
	v_fma_f64 v[164:165], -v[164:165], v[186:187], v[184:185]
	s_nop 1
	v_div_fmas_f64 v[164:165], v[164:165], v[182:183], v[186:187]
	v_div_fixup_f64 v[166:167], v[164:165], v[166:167], 1.0
	v_mul_f64 v[164:165], v[180:181], v[166:167]
	v_xor_b32_e32 v167, 0x80000000, v167
.LBB80_511:
	s_andn2_saveexec_b64 s[16:17], s[16:17]
	s_cbranch_execz .LBB80_513
; %bb.512:
	v_div_scale_f64 v[180:181], s[18:19], v[164:165], v[164:165], v[166:167]
	v_rcp_f64_e32 v[182:183], v[180:181]
	v_div_scale_f64 v[184:185], vcc, v[166:167], v[164:165], v[166:167]
	v_fma_f64 v[186:187], -v[180:181], v[182:183], 1.0
	v_fmac_f64_e32 v[182:183], v[182:183], v[186:187]
	v_fma_f64 v[186:187], -v[180:181], v[182:183], 1.0
	v_fmac_f64_e32 v[182:183], v[182:183], v[186:187]
	v_mul_f64 v[186:187], v[184:185], v[182:183]
	v_fma_f64 v[180:181], -v[180:181], v[186:187], v[184:185]
	v_div_fmas_f64 v[180:181], v[180:181], v[182:183], v[186:187]
	v_div_fixup_f64 v[180:181], v[180:181], v[164:165], v[166:167]
	v_fmac_f64_e32 v[164:165], v[166:167], v[180:181]
	v_div_scale_f64 v[166:167], s[18:19], v[164:165], v[164:165], 1.0
	v_rcp_f64_e32 v[182:183], v[166:167]
	s_nop 0
	v_fma_f64 v[184:185], -v[166:167], v[182:183], 1.0
	v_fmac_f64_e32 v[182:183], v[182:183], v[184:185]
	v_fma_f64 v[184:185], -v[166:167], v[182:183], 1.0
	v_fmac_f64_e32 v[182:183], v[182:183], v[184:185]
	v_div_scale_f64 v[184:185], vcc, 1.0, v[164:165], 1.0
	v_mul_f64 v[186:187], v[184:185], v[182:183]
	v_fma_f64 v[166:167], -v[166:167], v[186:187], v[184:185]
	s_nop 1
	v_div_fmas_f64 v[166:167], v[166:167], v[182:183], v[186:187]
	v_div_fixup_f64 v[164:165], v[166:167], v[164:165], 1.0
	v_mul_f64 v[166:167], v[180:181], -v[164:165]
.LBB80_513:
	s_or_b64 exec, exec, s[16:17]
.LBB80_514:
	s_or_b64 exec, exec, s[0:1]
	v_cmp_ne_u32_e32 vcc, v177, v174
	s_and_saveexec_b64 s[0:1], vcc
	s_xor_b64 s[0:1], exec, s[0:1]
	s_cbranch_execz .LBB80_520
; %bb.515:
	v_cmp_eq_u32_e32 vcc, 24, v177
	s_and_saveexec_b64 s[16:17], vcc
	s_cbranch_execz .LBB80_519
; %bb.516:
	v_cmp_ne_u32_e32 vcc, 24, v174
	s_xor_b64 s[18:19], s[14:15], -1
	s_and_b64 s[22:23], s[18:19], vcc
	s_and_saveexec_b64 s[18:19], s[22:23]
	s_cbranch_execz .LBB80_518
; %bb.517:
	v_ashrrev_i32_e32 v175, 31, v174
	v_lshl_add_u64 v[180:181], v[174:175], 2, v[172:173]
	global_load_dword v175, v[180:181], off
	global_load_dword v177, v[172:173], off offset:96
	s_waitcnt vmcnt(1)
	global_store_dword v[172:173], v175, off offset:96
	s_waitcnt vmcnt(1)
	global_store_dword v[180:181], v177, off
.LBB80_518:
	s_or_b64 exec, exec, s[18:19]
	v_mov_b32_e32 v177, v174
	v_mov_b32_e32 v179, v174
.LBB80_519:
	s_or_b64 exec, exec, s[16:17]
.LBB80_520:
	s_andn2_saveexec_b64 s[0:1], s[0:1]
	s_cbranch_execz .LBB80_522
; %bb.521:
	v_mov_b32_e32 v177, 24
	s_waitcnt vmcnt(15)
	ds_write2_b64 v176, v[56:57], v[58:59] offset0:50 offset1:51
	s_waitcnt vmcnt(14)
	ds_write2_b64 v176, v[52:53], v[54:55] offset0:52 offset1:53
	;; [unrolled: 2-line block ×16, first 2 shown]
.LBB80_522:
	s_or_b64 exec, exec, s[0:1]
	v_cmp_lt_i32_e32 vcc, 24, v177
	s_waitcnt lgkmcnt(0)
	s_barrier
	s_and_saveexec_b64 s[0:1], vcc
	s_cbranch_execz .LBB80_524
; %bb.523:
	ds_read2_b64 v[180:183], v176 offset0:50 offset1:51
	v_mul_f64 v[174:175], v[164:165], v[62:63]
	v_mul_f64 v[62:63], v[166:167], v[62:63]
	v_fmac_f64_e32 v[174:175], v[166:167], v[60:61]
	v_fma_f64 v[60:61], v[164:165], v[60:61], -v[62:63]
	ds_read2_b64 v[164:167], v176 offset0:52 offset1:53
	s_waitcnt lgkmcnt(1)
	v_mul_f64 v[62:63], v[182:183], v[174:175]
	v_fma_f64 v[62:63], v[180:181], v[60:61], -v[62:63]
	v_mul_f64 v[180:181], v[180:181], v[174:175]
	v_fmac_f64_e32 v[180:181], v[182:183], v[60:61]
	s_waitcnt vmcnt(15)
	v_add_f64 v[56:57], v[56:57], -v[62:63]
	s_waitcnt lgkmcnt(0)
	v_mul_f64 v[62:63], v[166:167], v[174:175]
	v_add_f64 v[58:59], v[58:59], -v[180:181]
	v_fma_f64 v[62:63], v[164:165], v[60:61], -v[62:63]
	v_mul_f64 v[164:165], v[164:165], v[174:175]
	ds_read2_b64 v[180:183], v176 offset0:54 offset1:55
	v_fmac_f64_e32 v[164:165], v[166:167], v[60:61]
	s_waitcnt vmcnt(14)
	v_add_f64 v[54:55], v[54:55], -v[164:165]
	ds_read2_b64 v[164:167], v176 offset0:56 offset1:57
	v_add_f64 v[52:53], v[52:53], -v[62:63]
	s_waitcnt lgkmcnt(1)
	v_mul_f64 v[62:63], v[182:183], v[174:175]
	v_fma_f64 v[62:63], v[180:181], v[60:61], -v[62:63]
	v_mul_f64 v[180:181], v[180:181], v[174:175]
	v_fmac_f64_e32 v[180:181], v[182:183], v[60:61]
	s_waitcnt vmcnt(13)
	v_add_f64 v[48:49], v[48:49], -v[62:63]
	s_waitcnt lgkmcnt(0)
	v_mul_f64 v[62:63], v[166:167], v[174:175]
	v_add_f64 v[50:51], v[50:51], -v[180:181]
	v_fma_f64 v[62:63], v[164:165], v[60:61], -v[62:63]
	v_mul_f64 v[164:165], v[164:165], v[174:175]
	ds_read2_b64 v[180:183], v176 offset0:58 offset1:59
	v_fmac_f64_e32 v[164:165], v[166:167], v[60:61]
	s_waitcnt vmcnt(12)
	v_add_f64 v[46:47], v[46:47], -v[164:165]
	ds_read2_b64 v[164:167], v176 offset0:60 offset1:61
	v_add_f64 v[44:45], v[44:45], -v[62:63]
	;; [unrolled: 18-line block ×7, first 2 shown]
	s_waitcnt lgkmcnt(1)
	v_mul_f64 v[62:63], v[182:183], v[174:175]
	v_fma_f64 v[62:63], v[180:181], v[60:61], -v[62:63]
	s_waitcnt vmcnt(1)
	v_add_f64 v[0:1], v[0:1], -v[62:63]
	s_waitcnt lgkmcnt(0)
	v_mul_f64 v[62:63], v[166:167], v[174:175]
	v_mul_f64 v[180:181], v[180:181], v[174:175]
	v_fma_f64 v[62:63], v[164:165], v[60:61], -v[62:63]
	v_mul_f64 v[164:165], v[164:165], v[174:175]
	v_fmac_f64_e32 v[180:181], v[182:183], v[60:61]
	v_fmac_f64_e32 v[164:165], v[166:167], v[60:61]
	v_add_f64 v[2:3], v[2:3], -v[180:181]
	s_waitcnt vmcnt(0)
	v_add_f64 v[160:161], v[160:161], -v[62:63]
	v_add_f64 v[162:163], v[162:163], -v[164:165]
	v_mov_b64_e32 v[62:63], v[174:175]
.LBB80_524:
	s_or_b64 exec, exec, s[0:1]
	v_lshl_add_u32 v164, v177, 4, v176
	s_barrier
	s_waitcnt vmcnt(15)
	ds_write2_b64 v164, v[56:57], v[58:59] offset1:1
	s_waitcnt lgkmcnt(0)
	s_barrier
	ds_read2_b64 v[164:167], v176 offset0:50 offset1:51
	s_cmp_lt_i32 s20, 27
	v_mov_b32_e32 v174, 25
	s_cbranch_scc1 .LBB80_527
; %bb.525:
	v_add_u32_e32 v175, 0x1a0, v176
	s_mov_b32 s16, 26
	v_mov_b32_e32 v174, 25
.LBB80_526:                             ; =>This Inner Loop Header: Depth=1
	ds_read2_b64 v[180:183], v175 offset1:1
	s_waitcnt lgkmcnt(1)
	v_xor_b32_e32 v185, 0x80000000, v165
	v_xor_b32_e32 v187, 0x80000000, v167
	v_cmp_gt_f64_e32 vcc, 0, v[166:167]
	v_cmp_gt_f64_e64 s[0:1], 0, v[164:165]
	v_mov_b32_e32 v184, v164
	v_mov_b32_e32 v186, v166
	v_cndmask_b32_e64 v185, v165, v185, s[0:1]
	v_cndmask_b32_e32 v187, v167, v187, vcc
	v_add_f64 v[184:185], v[184:185], v[186:187]
	s_waitcnt lgkmcnt(0)
	v_xor_b32_e32 v187, 0x80000000, v181
	v_xor_b32_e32 v189, 0x80000000, v183
	v_cmp_gt_f64_e32 vcc, 0, v[182:183]
	v_cmp_gt_f64_e64 s[0:1], 0, v[180:181]
	v_mov_b32_e32 v186, v180
	v_mov_b32_e32 v188, v182
	v_cndmask_b32_e64 v187, v181, v187, s[0:1]
	v_cndmask_b32_e32 v189, v183, v189, vcc
	v_add_f64 v[186:187], v[186:187], v[188:189]
	v_mov_b32_e32 v190, s16
	s_add_i32 s16, s16, 1
	v_cmp_lt_f64_e32 vcc, v[184:185], v[186:187]
	v_add_u32_e32 v175, 16, v175
	s_cmp_lg_u32 s20, s16
	v_cndmask_b32_e32 v165, v165, v181, vcc
	v_cndmask_b32_e32 v164, v164, v180, vcc
	;; [unrolled: 1-line block ×5, first 2 shown]
	s_cbranch_scc1 .LBB80_526
.LBB80_527:
	s_waitcnt lgkmcnt(0)
	v_cmp_eq_f64_e32 vcc, 0, v[164:165]
	v_cmp_eq_f64_e64 s[0:1], 0, v[166:167]
	s_and_b64 s[0:1], vcc, s[0:1]
	s_and_saveexec_b64 s[16:17], s[0:1]
	s_xor_b64 s[0:1], exec, s[16:17]
; %bb.528:
	v_cmp_ne_u32_e32 vcc, 0, v178
	s_nop 1
	v_cndmask_b32_e32 v178, 26, v178, vcc
; %bb.529:
	s_andn2_saveexec_b64 s[0:1], s[0:1]
	s_cbranch_execz .LBB80_535
; %bb.530:
	v_cmp_ngt_f64_e64 s[16:17], |v[164:165]|, |v[166:167]|
	s_and_saveexec_b64 s[18:19], s[16:17]
	s_xor_b64 s[16:17], exec, s[18:19]
	s_cbranch_execz .LBB80_532
; %bb.531:
	v_div_scale_f64 v[180:181], s[18:19], v[166:167], v[166:167], v[164:165]
	v_rcp_f64_e32 v[182:183], v[180:181]
	v_div_scale_f64 v[184:185], vcc, v[164:165], v[166:167], v[164:165]
	v_fma_f64 v[186:187], -v[180:181], v[182:183], 1.0
	v_fmac_f64_e32 v[182:183], v[182:183], v[186:187]
	v_fma_f64 v[186:187], -v[180:181], v[182:183], 1.0
	v_fmac_f64_e32 v[182:183], v[182:183], v[186:187]
	v_mul_f64 v[186:187], v[184:185], v[182:183]
	v_fma_f64 v[180:181], -v[180:181], v[186:187], v[184:185]
	v_div_fmas_f64 v[180:181], v[180:181], v[182:183], v[186:187]
	v_div_fixup_f64 v[180:181], v[180:181], v[166:167], v[164:165]
	v_fmac_f64_e32 v[166:167], v[164:165], v[180:181]
	v_div_scale_f64 v[164:165], s[18:19], v[166:167], v[166:167], 1.0
	v_rcp_f64_e32 v[182:183], v[164:165]
	s_nop 0
	v_fma_f64 v[184:185], -v[164:165], v[182:183], 1.0
	v_fmac_f64_e32 v[182:183], v[182:183], v[184:185]
	v_fma_f64 v[184:185], -v[164:165], v[182:183], 1.0
	v_fmac_f64_e32 v[182:183], v[182:183], v[184:185]
	v_div_scale_f64 v[184:185], vcc, 1.0, v[166:167], 1.0
	v_mul_f64 v[186:187], v[184:185], v[182:183]
	v_fma_f64 v[164:165], -v[164:165], v[186:187], v[184:185]
	s_nop 1
	v_div_fmas_f64 v[164:165], v[164:165], v[182:183], v[186:187]
	v_div_fixup_f64 v[166:167], v[164:165], v[166:167], 1.0
	v_mul_f64 v[164:165], v[180:181], v[166:167]
	v_xor_b32_e32 v167, 0x80000000, v167
.LBB80_532:
	s_andn2_saveexec_b64 s[16:17], s[16:17]
	s_cbranch_execz .LBB80_534
; %bb.533:
	v_div_scale_f64 v[180:181], s[18:19], v[164:165], v[164:165], v[166:167]
	v_rcp_f64_e32 v[182:183], v[180:181]
	v_div_scale_f64 v[184:185], vcc, v[166:167], v[164:165], v[166:167]
	v_fma_f64 v[186:187], -v[180:181], v[182:183], 1.0
	v_fmac_f64_e32 v[182:183], v[182:183], v[186:187]
	v_fma_f64 v[186:187], -v[180:181], v[182:183], 1.0
	v_fmac_f64_e32 v[182:183], v[182:183], v[186:187]
	v_mul_f64 v[186:187], v[184:185], v[182:183]
	v_fma_f64 v[180:181], -v[180:181], v[186:187], v[184:185]
	v_div_fmas_f64 v[180:181], v[180:181], v[182:183], v[186:187]
	v_div_fixup_f64 v[180:181], v[180:181], v[164:165], v[166:167]
	v_fmac_f64_e32 v[164:165], v[166:167], v[180:181]
	v_div_scale_f64 v[166:167], s[18:19], v[164:165], v[164:165], 1.0
	v_rcp_f64_e32 v[182:183], v[166:167]
	s_nop 0
	v_fma_f64 v[184:185], -v[166:167], v[182:183], 1.0
	v_fmac_f64_e32 v[182:183], v[182:183], v[184:185]
	v_fma_f64 v[184:185], -v[166:167], v[182:183], 1.0
	v_fmac_f64_e32 v[182:183], v[182:183], v[184:185]
	v_div_scale_f64 v[184:185], vcc, 1.0, v[164:165], 1.0
	v_mul_f64 v[186:187], v[184:185], v[182:183]
	v_fma_f64 v[166:167], -v[166:167], v[186:187], v[184:185]
	s_nop 1
	v_div_fmas_f64 v[166:167], v[166:167], v[182:183], v[186:187]
	v_div_fixup_f64 v[164:165], v[166:167], v[164:165], 1.0
	v_mul_f64 v[166:167], v[180:181], -v[164:165]
.LBB80_534:
	s_or_b64 exec, exec, s[16:17]
.LBB80_535:
	s_or_b64 exec, exec, s[0:1]
	v_cmp_ne_u32_e32 vcc, v177, v174
	s_and_saveexec_b64 s[0:1], vcc
	s_xor_b64 s[0:1], exec, s[0:1]
	s_cbranch_execz .LBB80_541
; %bb.536:
	v_cmp_eq_u32_e32 vcc, 25, v177
	s_and_saveexec_b64 s[16:17], vcc
	s_cbranch_execz .LBB80_540
; %bb.537:
	v_cmp_ne_u32_e32 vcc, 25, v174
	s_xor_b64 s[18:19], s[14:15], -1
	s_and_b64 s[22:23], s[18:19], vcc
	s_and_saveexec_b64 s[18:19], s[22:23]
	s_cbranch_execz .LBB80_539
; %bb.538:
	v_ashrrev_i32_e32 v175, 31, v174
	v_lshl_add_u64 v[180:181], v[174:175], 2, v[172:173]
	global_load_dword v175, v[180:181], off
	global_load_dword v177, v[172:173], off offset:100
	s_waitcnt vmcnt(1)
	global_store_dword v[172:173], v175, off offset:100
	s_waitcnt vmcnt(1)
	global_store_dword v[180:181], v177, off
.LBB80_539:
	s_or_b64 exec, exec, s[18:19]
	v_mov_b32_e32 v177, v174
	v_mov_b32_e32 v179, v174
.LBB80_540:
	s_or_b64 exec, exec, s[16:17]
.LBB80_541:
	s_andn2_saveexec_b64 s[0:1], s[0:1]
	s_cbranch_execz .LBB80_543
; %bb.542:
	v_mov_b32_e32 v177, 25
	s_waitcnt vmcnt(14)
	ds_write2_b64 v176, v[52:53], v[54:55] offset0:52 offset1:53
	s_waitcnt vmcnt(13)
	ds_write2_b64 v176, v[48:49], v[50:51] offset0:54 offset1:55
	;; [unrolled: 2-line block ×15, first 2 shown]
.LBB80_543:
	s_or_b64 exec, exec, s[0:1]
	v_cmp_lt_i32_e32 vcc, 25, v177
	s_waitcnt lgkmcnt(0)
	s_barrier
	s_and_saveexec_b64 s[0:1], vcc
	s_cbranch_execz .LBB80_545
; %bb.544:
	ds_read2_b64 v[180:183], v176 offset0:52 offset1:53
	v_mul_f64 v[174:175], v[164:165], v[58:59]
	v_fmac_f64_e32 v[174:175], v[166:167], v[56:57]
	v_mul_f64 v[58:59], v[166:167], v[58:59]
	v_fma_f64 v[56:57], v[164:165], v[56:57], -v[58:59]
	ds_read2_b64 v[164:167], v176 offset0:54 offset1:55
	s_waitcnt lgkmcnt(1)
	v_mul_f64 v[58:59], v[182:183], v[174:175]
	v_fma_f64 v[58:59], v[180:181], v[56:57], -v[58:59]
	v_mul_f64 v[180:181], v[180:181], v[174:175]
	v_fmac_f64_e32 v[180:181], v[182:183], v[56:57]
	s_waitcnt vmcnt(14)
	v_add_f64 v[54:55], v[54:55], -v[180:181]
	ds_read2_b64 v[180:183], v176 offset0:56 offset1:57
	v_add_f64 v[52:53], v[52:53], -v[58:59]
	s_waitcnt lgkmcnt(1)
	v_mul_f64 v[58:59], v[166:167], v[174:175]
	v_fma_f64 v[58:59], v[164:165], v[56:57], -v[58:59]
	v_mul_f64 v[164:165], v[164:165], v[174:175]
	v_fmac_f64_e32 v[164:165], v[166:167], v[56:57]
	s_waitcnt vmcnt(13)
	v_add_f64 v[48:49], v[48:49], -v[58:59]
	v_add_f64 v[50:51], v[50:51], -v[164:165]
	ds_read2_b64 v[164:167], v176 offset0:58 offset1:59
	s_waitcnt lgkmcnt(1)
	v_mul_f64 v[58:59], v[182:183], v[174:175]
	v_fma_f64 v[58:59], v[180:181], v[56:57], -v[58:59]
	v_mul_f64 v[180:181], v[180:181], v[174:175]
	v_fmac_f64_e32 v[180:181], v[182:183], v[56:57]
	s_waitcnt vmcnt(12)
	v_add_f64 v[46:47], v[46:47], -v[180:181]
	ds_read2_b64 v[180:183], v176 offset0:60 offset1:61
	v_add_f64 v[44:45], v[44:45], -v[58:59]
	s_waitcnt lgkmcnt(1)
	v_mul_f64 v[58:59], v[166:167], v[174:175]
	v_fma_f64 v[58:59], v[164:165], v[56:57], -v[58:59]
	v_mul_f64 v[164:165], v[164:165], v[174:175]
	v_fmac_f64_e32 v[164:165], v[166:167], v[56:57]
	s_waitcnt vmcnt(11)
	v_add_f64 v[40:41], v[40:41], -v[58:59]
	v_add_f64 v[42:43], v[42:43], -v[164:165]
	;; [unrolled: 18-line block ×7, first 2 shown]
	s_waitcnt lgkmcnt(0)
	v_mul_f64 v[58:59], v[182:183], v[174:175]
	v_mul_f64 v[164:165], v[180:181], v[174:175]
	v_fma_f64 v[58:59], v[180:181], v[56:57], -v[58:59]
	v_fmac_f64_e32 v[164:165], v[182:183], v[56:57]
	s_waitcnt vmcnt(0)
	v_add_f64 v[160:161], v[160:161], -v[58:59]
	v_add_f64 v[162:163], v[162:163], -v[164:165]
	v_mov_b64_e32 v[58:59], v[174:175]
.LBB80_545:
	s_or_b64 exec, exec, s[0:1]
	v_lshl_add_u32 v164, v177, 4, v176
	s_barrier
	s_waitcnt vmcnt(14)
	ds_write2_b64 v164, v[52:53], v[54:55] offset1:1
	s_waitcnt lgkmcnt(0)
	s_barrier
	ds_read2_b64 v[164:167], v176 offset0:52 offset1:53
	s_cmp_lt_i32 s20, 28
	v_mov_b32_e32 v174, 26
	s_cbranch_scc1 .LBB80_548
; %bb.546:
	v_add_u32_e32 v175, 0x1b0, v176
	s_mov_b32 s16, 27
	v_mov_b32_e32 v174, 26
.LBB80_547:                             ; =>This Inner Loop Header: Depth=1
	ds_read2_b64 v[180:183], v175 offset1:1
	s_waitcnt lgkmcnt(1)
	v_xor_b32_e32 v185, 0x80000000, v165
	v_xor_b32_e32 v187, 0x80000000, v167
	v_cmp_gt_f64_e32 vcc, 0, v[166:167]
	v_cmp_gt_f64_e64 s[0:1], 0, v[164:165]
	v_mov_b32_e32 v184, v164
	v_mov_b32_e32 v186, v166
	v_cndmask_b32_e64 v185, v165, v185, s[0:1]
	v_cndmask_b32_e32 v187, v167, v187, vcc
	v_add_f64 v[184:185], v[184:185], v[186:187]
	s_waitcnt lgkmcnt(0)
	v_xor_b32_e32 v187, 0x80000000, v181
	v_xor_b32_e32 v189, 0x80000000, v183
	v_cmp_gt_f64_e32 vcc, 0, v[182:183]
	v_cmp_gt_f64_e64 s[0:1], 0, v[180:181]
	v_mov_b32_e32 v186, v180
	v_mov_b32_e32 v188, v182
	v_cndmask_b32_e64 v187, v181, v187, s[0:1]
	v_cndmask_b32_e32 v189, v183, v189, vcc
	v_add_f64 v[186:187], v[186:187], v[188:189]
	v_mov_b32_e32 v190, s16
	s_add_i32 s16, s16, 1
	v_cmp_lt_f64_e32 vcc, v[184:185], v[186:187]
	v_add_u32_e32 v175, 16, v175
	s_cmp_lg_u32 s20, s16
	v_cndmask_b32_e32 v165, v165, v181, vcc
	v_cndmask_b32_e32 v164, v164, v180, vcc
	v_cndmask_b32_e32 v167, v167, v183, vcc
	v_cndmask_b32_e32 v166, v166, v182, vcc
	v_cndmask_b32_e32 v174, v174, v190, vcc
	s_cbranch_scc1 .LBB80_547
.LBB80_548:
	s_waitcnt lgkmcnt(0)
	v_cmp_eq_f64_e32 vcc, 0, v[164:165]
	v_cmp_eq_f64_e64 s[0:1], 0, v[166:167]
	s_and_b64 s[0:1], vcc, s[0:1]
	s_and_saveexec_b64 s[16:17], s[0:1]
	s_xor_b64 s[0:1], exec, s[16:17]
; %bb.549:
	v_cmp_ne_u32_e32 vcc, 0, v178
	s_nop 1
	v_cndmask_b32_e32 v178, 27, v178, vcc
; %bb.550:
	s_andn2_saveexec_b64 s[0:1], s[0:1]
	s_cbranch_execz .LBB80_556
; %bb.551:
	v_cmp_ngt_f64_e64 s[16:17], |v[164:165]|, |v[166:167]|
	s_and_saveexec_b64 s[18:19], s[16:17]
	s_xor_b64 s[16:17], exec, s[18:19]
	s_cbranch_execz .LBB80_553
; %bb.552:
	v_div_scale_f64 v[180:181], s[18:19], v[166:167], v[166:167], v[164:165]
	v_rcp_f64_e32 v[182:183], v[180:181]
	v_div_scale_f64 v[184:185], vcc, v[164:165], v[166:167], v[164:165]
	v_fma_f64 v[186:187], -v[180:181], v[182:183], 1.0
	v_fmac_f64_e32 v[182:183], v[182:183], v[186:187]
	v_fma_f64 v[186:187], -v[180:181], v[182:183], 1.0
	v_fmac_f64_e32 v[182:183], v[182:183], v[186:187]
	v_mul_f64 v[186:187], v[184:185], v[182:183]
	v_fma_f64 v[180:181], -v[180:181], v[186:187], v[184:185]
	v_div_fmas_f64 v[180:181], v[180:181], v[182:183], v[186:187]
	v_div_fixup_f64 v[180:181], v[180:181], v[166:167], v[164:165]
	v_fmac_f64_e32 v[166:167], v[164:165], v[180:181]
	v_div_scale_f64 v[164:165], s[18:19], v[166:167], v[166:167], 1.0
	v_rcp_f64_e32 v[182:183], v[164:165]
	s_nop 0
	v_fma_f64 v[184:185], -v[164:165], v[182:183], 1.0
	v_fmac_f64_e32 v[182:183], v[182:183], v[184:185]
	v_fma_f64 v[184:185], -v[164:165], v[182:183], 1.0
	v_fmac_f64_e32 v[182:183], v[182:183], v[184:185]
	v_div_scale_f64 v[184:185], vcc, 1.0, v[166:167], 1.0
	v_mul_f64 v[186:187], v[184:185], v[182:183]
	v_fma_f64 v[164:165], -v[164:165], v[186:187], v[184:185]
	s_nop 1
	v_div_fmas_f64 v[164:165], v[164:165], v[182:183], v[186:187]
	v_div_fixup_f64 v[166:167], v[164:165], v[166:167], 1.0
	v_mul_f64 v[164:165], v[180:181], v[166:167]
	v_xor_b32_e32 v167, 0x80000000, v167
.LBB80_553:
	s_andn2_saveexec_b64 s[16:17], s[16:17]
	s_cbranch_execz .LBB80_555
; %bb.554:
	v_div_scale_f64 v[180:181], s[18:19], v[164:165], v[164:165], v[166:167]
	v_rcp_f64_e32 v[182:183], v[180:181]
	v_div_scale_f64 v[184:185], vcc, v[166:167], v[164:165], v[166:167]
	v_fma_f64 v[186:187], -v[180:181], v[182:183], 1.0
	v_fmac_f64_e32 v[182:183], v[182:183], v[186:187]
	v_fma_f64 v[186:187], -v[180:181], v[182:183], 1.0
	v_fmac_f64_e32 v[182:183], v[182:183], v[186:187]
	v_mul_f64 v[186:187], v[184:185], v[182:183]
	v_fma_f64 v[180:181], -v[180:181], v[186:187], v[184:185]
	v_div_fmas_f64 v[180:181], v[180:181], v[182:183], v[186:187]
	v_div_fixup_f64 v[180:181], v[180:181], v[164:165], v[166:167]
	v_fmac_f64_e32 v[164:165], v[166:167], v[180:181]
	v_div_scale_f64 v[166:167], s[18:19], v[164:165], v[164:165], 1.0
	v_rcp_f64_e32 v[182:183], v[166:167]
	s_nop 0
	v_fma_f64 v[184:185], -v[166:167], v[182:183], 1.0
	v_fmac_f64_e32 v[182:183], v[182:183], v[184:185]
	v_fma_f64 v[184:185], -v[166:167], v[182:183], 1.0
	v_fmac_f64_e32 v[182:183], v[182:183], v[184:185]
	v_div_scale_f64 v[184:185], vcc, 1.0, v[164:165], 1.0
	v_mul_f64 v[186:187], v[184:185], v[182:183]
	v_fma_f64 v[166:167], -v[166:167], v[186:187], v[184:185]
	s_nop 1
	v_div_fmas_f64 v[166:167], v[166:167], v[182:183], v[186:187]
	v_div_fixup_f64 v[164:165], v[166:167], v[164:165], 1.0
	v_mul_f64 v[166:167], v[180:181], -v[164:165]
.LBB80_555:
	s_or_b64 exec, exec, s[16:17]
.LBB80_556:
	s_or_b64 exec, exec, s[0:1]
	v_cmp_ne_u32_e32 vcc, v177, v174
	s_and_saveexec_b64 s[0:1], vcc
	s_xor_b64 s[0:1], exec, s[0:1]
	s_cbranch_execz .LBB80_562
; %bb.557:
	v_cmp_eq_u32_e32 vcc, 26, v177
	s_and_saveexec_b64 s[16:17], vcc
	s_cbranch_execz .LBB80_561
; %bb.558:
	v_cmp_ne_u32_e32 vcc, 26, v174
	s_xor_b64 s[18:19], s[14:15], -1
	s_and_b64 s[22:23], s[18:19], vcc
	s_and_saveexec_b64 s[18:19], s[22:23]
	s_cbranch_execz .LBB80_560
; %bb.559:
	v_ashrrev_i32_e32 v175, 31, v174
	v_lshl_add_u64 v[180:181], v[174:175], 2, v[172:173]
	global_load_dword v175, v[180:181], off
	global_load_dword v177, v[172:173], off offset:104
	s_waitcnt vmcnt(1)
	global_store_dword v[172:173], v175, off offset:104
	s_waitcnt vmcnt(1)
	global_store_dword v[180:181], v177, off
.LBB80_560:
	s_or_b64 exec, exec, s[18:19]
	v_mov_b32_e32 v177, v174
	v_mov_b32_e32 v179, v174
.LBB80_561:
	s_or_b64 exec, exec, s[16:17]
.LBB80_562:
	s_andn2_saveexec_b64 s[0:1], s[0:1]
	s_cbranch_execz .LBB80_564
; %bb.563:
	v_mov_b32_e32 v177, 26
	s_waitcnt vmcnt(13)
	ds_write2_b64 v176, v[48:49], v[50:51] offset0:54 offset1:55
	s_waitcnt vmcnt(12)
	ds_write2_b64 v176, v[44:45], v[46:47] offset0:56 offset1:57
	;; [unrolled: 2-line block ×14, first 2 shown]
.LBB80_564:
	s_or_b64 exec, exec, s[0:1]
	v_cmp_lt_i32_e32 vcc, 26, v177
	s_waitcnt lgkmcnt(0)
	s_barrier
	s_and_saveexec_b64 s[0:1], vcc
	s_cbranch_execz .LBB80_566
; %bb.565:
	ds_read2_b64 v[180:183], v176 offset0:54 offset1:55
	v_mul_f64 v[174:175], v[164:165], v[54:55]
	v_mul_f64 v[54:55], v[166:167], v[54:55]
	v_fmac_f64_e32 v[174:175], v[166:167], v[52:53]
	v_fma_f64 v[52:53], v[164:165], v[52:53], -v[54:55]
	ds_read2_b64 v[164:167], v176 offset0:56 offset1:57
	s_waitcnt lgkmcnt(1)
	v_mul_f64 v[54:55], v[182:183], v[174:175]
	v_fma_f64 v[54:55], v[180:181], v[52:53], -v[54:55]
	v_mul_f64 v[180:181], v[180:181], v[174:175]
	v_fmac_f64_e32 v[180:181], v[182:183], v[52:53]
	s_waitcnt vmcnt(13)
	v_add_f64 v[48:49], v[48:49], -v[54:55]
	s_waitcnt lgkmcnt(0)
	v_mul_f64 v[54:55], v[166:167], v[174:175]
	v_add_f64 v[50:51], v[50:51], -v[180:181]
	v_fma_f64 v[54:55], v[164:165], v[52:53], -v[54:55]
	v_mul_f64 v[164:165], v[164:165], v[174:175]
	ds_read2_b64 v[180:183], v176 offset0:58 offset1:59
	v_fmac_f64_e32 v[164:165], v[166:167], v[52:53]
	s_waitcnt vmcnt(12)
	v_add_f64 v[46:47], v[46:47], -v[164:165]
	ds_read2_b64 v[164:167], v176 offset0:60 offset1:61
	v_add_f64 v[44:45], v[44:45], -v[54:55]
	s_waitcnt lgkmcnt(1)
	v_mul_f64 v[54:55], v[182:183], v[174:175]
	v_fma_f64 v[54:55], v[180:181], v[52:53], -v[54:55]
	v_mul_f64 v[180:181], v[180:181], v[174:175]
	v_fmac_f64_e32 v[180:181], v[182:183], v[52:53]
	s_waitcnt vmcnt(11)
	v_add_f64 v[40:41], v[40:41], -v[54:55]
	s_waitcnt lgkmcnt(0)
	v_mul_f64 v[54:55], v[166:167], v[174:175]
	v_add_f64 v[42:43], v[42:43], -v[180:181]
	v_fma_f64 v[54:55], v[164:165], v[52:53], -v[54:55]
	v_mul_f64 v[164:165], v[164:165], v[174:175]
	ds_read2_b64 v[180:183], v176 offset0:62 offset1:63
	v_fmac_f64_e32 v[164:165], v[166:167], v[52:53]
	s_waitcnt vmcnt(10)
	v_add_f64 v[38:39], v[38:39], -v[164:165]
	ds_read2_b64 v[164:167], v176 offset0:64 offset1:65
	v_add_f64 v[36:37], v[36:37], -v[54:55]
	;; [unrolled: 18-line block ×6, first 2 shown]
	s_waitcnt lgkmcnt(1)
	v_mul_f64 v[54:55], v[182:183], v[174:175]
	v_fma_f64 v[54:55], v[180:181], v[52:53], -v[54:55]
	s_waitcnt vmcnt(1)
	v_add_f64 v[0:1], v[0:1], -v[54:55]
	s_waitcnt lgkmcnt(0)
	v_mul_f64 v[54:55], v[166:167], v[174:175]
	v_mul_f64 v[180:181], v[180:181], v[174:175]
	v_fma_f64 v[54:55], v[164:165], v[52:53], -v[54:55]
	v_mul_f64 v[164:165], v[164:165], v[174:175]
	v_fmac_f64_e32 v[180:181], v[182:183], v[52:53]
	v_fmac_f64_e32 v[164:165], v[166:167], v[52:53]
	v_add_f64 v[2:3], v[2:3], -v[180:181]
	s_waitcnt vmcnt(0)
	v_add_f64 v[160:161], v[160:161], -v[54:55]
	v_add_f64 v[162:163], v[162:163], -v[164:165]
	v_mov_b64_e32 v[54:55], v[174:175]
.LBB80_566:
	s_or_b64 exec, exec, s[0:1]
	v_lshl_add_u32 v164, v177, 4, v176
	s_barrier
	s_waitcnt vmcnt(13)
	ds_write2_b64 v164, v[48:49], v[50:51] offset1:1
	s_waitcnt lgkmcnt(0)
	s_barrier
	ds_read2_b64 v[164:167], v176 offset0:54 offset1:55
	s_cmp_lt_i32 s20, 29
	v_mov_b32_e32 v174, 27
	s_cbranch_scc1 .LBB80_569
; %bb.567:
	v_add_u32_e32 v175, 0x1c0, v176
	s_mov_b32 s16, 28
	v_mov_b32_e32 v174, 27
.LBB80_568:                             ; =>This Inner Loop Header: Depth=1
	ds_read2_b64 v[180:183], v175 offset1:1
	s_waitcnt lgkmcnt(1)
	v_xor_b32_e32 v185, 0x80000000, v165
	v_xor_b32_e32 v187, 0x80000000, v167
	v_cmp_gt_f64_e32 vcc, 0, v[166:167]
	v_cmp_gt_f64_e64 s[0:1], 0, v[164:165]
	v_mov_b32_e32 v184, v164
	v_mov_b32_e32 v186, v166
	v_cndmask_b32_e64 v185, v165, v185, s[0:1]
	v_cndmask_b32_e32 v187, v167, v187, vcc
	v_add_f64 v[184:185], v[184:185], v[186:187]
	s_waitcnt lgkmcnt(0)
	v_xor_b32_e32 v187, 0x80000000, v181
	v_xor_b32_e32 v189, 0x80000000, v183
	v_cmp_gt_f64_e32 vcc, 0, v[182:183]
	v_cmp_gt_f64_e64 s[0:1], 0, v[180:181]
	v_mov_b32_e32 v186, v180
	v_mov_b32_e32 v188, v182
	v_cndmask_b32_e64 v187, v181, v187, s[0:1]
	v_cndmask_b32_e32 v189, v183, v189, vcc
	v_add_f64 v[186:187], v[186:187], v[188:189]
	v_mov_b32_e32 v190, s16
	s_add_i32 s16, s16, 1
	v_cmp_lt_f64_e32 vcc, v[184:185], v[186:187]
	v_add_u32_e32 v175, 16, v175
	s_cmp_lg_u32 s20, s16
	v_cndmask_b32_e32 v165, v165, v181, vcc
	v_cndmask_b32_e32 v164, v164, v180, vcc
	;; [unrolled: 1-line block ×5, first 2 shown]
	s_cbranch_scc1 .LBB80_568
.LBB80_569:
	s_waitcnt lgkmcnt(0)
	v_cmp_eq_f64_e32 vcc, 0, v[164:165]
	v_cmp_eq_f64_e64 s[0:1], 0, v[166:167]
	s_and_b64 s[0:1], vcc, s[0:1]
	s_and_saveexec_b64 s[16:17], s[0:1]
	s_xor_b64 s[0:1], exec, s[16:17]
; %bb.570:
	v_cmp_ne_u32_e32 vcc, 0, v178
	s_nop 1
	v_cndmask_b32_e32 v178, 28, v178, vcc
; %bb.571:
	s_andn2_saveexec_b64 s[0:1], s[0:1]
	s_cbranch_execz .LBB80_577
; %bb.572:
	v_cmp_ngt_f64_e64 s[16:17], |v[164:165]|, |v[166:167]|
	s_and_saveexec_b64 s[18:19], s[16:17]
	s_xor_b64 s[16:17], exec, s[18:19]
	s_cbranch_execz .LBB80_574
; %bb.573:
	v_div_scale_f64 v[180:181], s[18:19], v[166:167], v[166:167], v[164:165]
	v_rcp_f64_e32 v[182:183], v[180:181]
	v_div_scale_f64 v[184:185], vcc, v[164:165], v[166:167], v[164:165]
	v_fma_f64 v[186:187], -v[180:181], v[182:183], 1.0
	v_fmac_f64_e32 v[182:183], v[182:183], v[186:187]
	v_fma_f64 v[186:187], -v[180:181], v[182:183], 1.0
	v_fmac_f64_e32 v[182:183], v[182:183], v[186:187]
	v_mul_f64 v[186:187], v[184:185], v[182:183]
	v_fma_f64 v[180:181], -v[180:181], v[186:187], v[184:185]
	v_div_fmas_f64 v[180:181], v[180:181], v[182:183], v[186:187]
	v_div_fixup_f64 v[180:181], v[180:181], v[166:167], v[164:165]
	v_fmac_f64_e32 v[166:167], v[164:165], v[180:181]
	v_div_scale_f64 v[164:165], s[18:19], v[166:167], v[166:167], 1.0
	v_rcp_f64_e32 v[182:183], v[164:165]
	s_nop 0
	v_fma_f64 v[184:185], -v[164:165], v[182:183], 1.0
	v_fmac_f64_e32 v[182:183], v[182:183], v[184:185]
	v_fma_f64 v[184:185], -v[164:165], v[182:183], 1.0
	v_fmac_f64_e32 v[182:183], v[182:183], v[184:185]
	v_div_scale_f64 v[184:185], vcc, 1.0, v[166:167], 1.0
	v_mul_f64 v[186:187], v[184:185], v[182:183]
	v_fma_f64 v[164:165], -v[164:165], v[186:187], v[184:185]
	s_nop 1
	v_div_fmas_f64 v[164:165], v[164:165], v[182:183], v[186:187]
	v_div_fixup_f64 v[166:167], v[164:165], v[166:167], 1.0
	v_mul_f64 v[164:165], v[180:181], v[166:167]
	v_xor_b32_e32 v167, 0x80000000, v167
.LBB80_574:
	s_andn2_saveexec_b64 s[16:17], s[16:17]
	s_cbranch_execz .LBB80_576
; %bb.575:
	v_div_scale_f64 v[180:181], s[18:19], v[164:165], v[164:165], v[166:167]
	v_rcp_f64_e32 v[182:183], v[180:181]
	v_div_scale_f64 v[184:185], vcc, v[166:167], v[164:165], v[166:167]
	v_fma_f64 v[186:187], -v[180:181], v[182:183], 1.0
	v_fmac_f64_e32 v[182:183], v[182:183], v[186:187]
	v_fma_f64 v[186:187], -v[180:181], v[182:183], 1.0
	v_fmac_f64_e32 v[182:183], v[182:183], v[186:187]
	v_mul_f64 v[186:187], v[184:185], v[182:183]
	v_fma_f64 v[180:181], -v[180:181], v[186:187], v[184:185]
	v_div_fmas_f64 v[180:181], v[180:181], v[182:183], v[186:187]
	v_div_fixup_f64 v[180:181], v[180:181], v[164:165], v[166:167]
	v_fmac_f64_e32 v[164:165], v[166:167], v[180:181]
	v_div_scale_f64 v[166:167], s[18:19], v[164:165], v[164:165], 1.0
	v_rcp_f64_e32 v[182:183], v[166:167]
	s_nop 0
	v_fma_f64 v[184:185], -v[166:167], v[182:183], 1.0
	v_fmac_f64_e32 v[182:183], v[182:183], v[184:185]
	v_fma_f64 v[184:185], -v[166:167], v[182:183], 1.0
	v_fmac_f64_e32 v[182:183], v[182:183], v[184:185]
	v_div_scale_f64 v[184:185], vcc, 1.0, v[164:165], 1.0
	v_mul_f64 v[186:187], v[184:185], v[182:183]
	v_fma_f64 v[166:167], -v[166:167], v[186:187], v[184:185]
	s_nop 1
	v_div_fmas_f64 v[166:167], v[166:167], v[182:183], v[186:187]
	v_div_fixup_f64 v[164:165], v[166:167], v[164:165], 1.0
	v_mul_f64 v[166:167], v[180:181], -v[164:165]
.LBB80_576:
	s_or_b64 exec, exec, s[16:17]
.LBB80_577:
	s_or_b64 exec, exec, s[0:1]
	v_cmp_ne_u32_e32 vcc, v177, v174
	s_and_saveexec_b64 s[0:1], vcc
	s_xor_b64 s[0:1], exec, s[0:1]
	s_cbranch_execz .LBB80_583
; %bb.578:
	v_cmp_eq_u32_e32 vcc, 27, v177
	s_and_saveexec_b64 s[16:17], vcc
	s_cbranch_execz .LBB80_582
; %bb.579:
	v_cmp_ne_u32_e32 vcc, 27, v174
	s_xor_b64 s[18:19], s[14:15], -1
	s_and_b64 s[22:23], s[18:19], vcc
	s_and_saveexec_b64 s[18:19], s[22:23]
	s_cbranch_execz .LBB80_581
; %bb.580:
	v_ashrrev_i32_e32 v175, 31, v174
	v_lshl_add_u64 v[180:181], v[174:175], 2, v[172:173]
	global_load_dword v175, v[180:181], off
	global_load_dword v177, v[172:173], off offset:108
	s_waitcnt vmcnt(1)
	global_store_dword v[172:173], v175, off offset:108
	s_waitcnt vmcnt(1)
	global_store_dword v[180:181], v177, off
.LBB80_581:
	s_or_b64 exec, exec, s[18:19]
	v_mov_b32_e32 v177, v174
	v_mov_b32_e32 v179, v174
.LBB80_582:
	s_or_b64 exec, exec, s[16:17]
.LBB80_583:
	s_andn2_saveexec_b64 s[0:1], s[0:1]
	s_cbranch_execz .LBB80_585
; %bb.584:
	v_mov_b32_e32 v177, 27
	s_waitcnt vmcnt(12)
	ds_write2_b64 v176, v[44:45], v[46:47] offset0:56 offset1:57
	s_waitcnt vmcnt(11)
	ds_write2_b64 v176, v[40:41], v[42:43] offset0:58 offset1:59
	;; [unrolled: 2-line block ×13, first 2 shown]
.LBB80_585:
	s_or_b64 exec, exec, s[0:1]
	v_cmp_lt_i32_e32 vcc, 27, v177
	s_waitcnt lgkmcnt(0)
	s_barrier
	s_and_saveexec_b64 s[0:1], vcc
	s_cbranch_execz .LBB80_587
; %bb.586:
	ds_read2_b64 v[180:183], v176 offset0:56 offset1:57
	v_mul_f64 v[174:175], v[164:165], v[50:51]
	v_fmac_f64_e32 v[174:175], v[166:167], v[48:49]
	v_mul_f64 v[50:51], v[166:167], v[50:51]
	v_fma_f64 v[48:49], v[164:165], v[48:49], -v[50:51]
	ds_read2_b64 v[164:167], v176 offset0:58 offset1:59
	s_waitcnt lgkmcnt(1)
	v_mul_f64 v[50:51], v[182:183], v[174:175]
	v_fma_f64 v[50:51], v[180:181], v[48:49], -v[50:51]
	v_mul_f64 v[180:181], v[180:181], v[174:175]
	v_fmac_f64_e32 v[180:181], v[182:183], v[48:49]
	s_waitcnt vmcnt(12)
	v_add_f64 v[46:47], v[46:47], -v[180:181]
	ds_read2_b64 v[180:183], v176 offset0:60 offset1:61
	v_add_f64 v[44:45], v[44:45], -v[50:51]
	s_waitcnt lgkmcnt(1)
	v_mul_f64 v[50:51], v[166:167], v[174:175]
	v_fma_f64 v[50:51], v[164:165], v[48:49], -v[50:51]
	v_mul_f64 v[164:165], v[164:165], v[174:175]
	v_fmac_f64_e32 v[164:165], v[166:167], v[48:49]
	s_waitcnt vmcnt(11)
	v_add_f64 v[40:41], v[40:41], -v[50:51]
	v_add_f64 v[42:43], v[42:43], -v[164:165]
	ds_read2_b64 v[164:167], v176 offset0:62 offset1:63
	s_waitcnt lgkmcnt(1)
	v_mul_f64 v[50:51], v[182:183], v[174:175]
	v_fma_f64 v[50:51], v[180:181], v[48:49], -v[50:51]
	v_mul_f64 v[180:181], v[180:181], v[174:175]
	v_fmac_f64_e32 v[180:181], v[182:183], v[48:49]
	s_waitcnt vmcnt(10)
	v_add_f64 v[38:39], v[38:39], -v[180:181]
	ds_read2_b64 v[180:183], v176 offset0:64 offset1:65
	v_add_f64 v[36:37], v[36:37], -v[50:51]
	s_waitcnt lgkmcnt(1)
	v_mul_f64 v[50:51], v[166:167], v[174:175]
	v_fma_f64 v[50:51], v[164:165], v[48:49], -v[50:51]
	v_mul_f64 v[164:165], v[164:165], v[174:175]
	v_fmac_f64_e32 v[164:165], v[166:167], v[48:49]
	s_waitcnt vmcnt(9)
	v_add_f64 v[32:33], v[32:33], -v[50:51]
	v_add_f64 v[34:35], v[34:35], -v[164:165]
	;; [unrolled: 18-line block ×6, first 2 shown]
	s_waitcnt lgkmcnt(0)
	v_mul_f64 v[50:51], v[182:183], v[174:175]
	v_mul_f64 v[164:165], v[180:181], v[174:175]
	v_fma_f64 v[50:51], v[180:181], v[48:49], -v[50:51]
	v_fmac_f64_e32 v[164:165], v[182:183], v[48:49]
	s_waitcnt vmcnt(0)
	v_add_f64 v[160:161], v[160:161], -v[50:51]
	v_add_f64 v[162:163], v[162:163], -v[164:165]
	v_mov_b64_e32 v[50:51], v[174:175]
.LBB80_587:
	s_or_b64 exec, exec, s[0:1]
	v_lshl_add_u32 v164, v177, 4, v176
	s_barrier
	s_waitcnt vmcnt(12)
	ds_write2_b64 v164, v[44:45], v[46:47] offset1:1
	s_waitcnt lgkmcnt(0)
	s_barrier
	ds_read2_b64 v[164:167], v176 offset0:56 offset1:57
	s_cmp_lt_i32 s20, 30
	v_mov_b32_e32 v174, 28
	s_cbranch_scc1 .LBB80_590
; %bb.588:
	v_add_u32_e32 v175, 0x1d0, v176
	s_mov_b32 s16, 29
	v_mov_b32_e32 v174, 28
.LBB80_589:                             ; =>This Inner Loop Header: Depth=1
	ds_read2_b64 v[180:183], v175 offset1:1
	s_waitcnt lgkmcnt(1)
	v_xor_b32_e32 v185, 0x80000000, v165
	v_xor_b32_e32 v187, 0x80000000, v167
	v_cmp_gt_f64_e32 vcc, 0, v[166:167]
	v_cmp_gt_f64_e64 s[0:1], 0, v[164:165]
	v_mov_b32_e32 v184, v164
	v_mov_b32_e32 v186, v166
	v_cndmask_b32_e64 v185, v165, v185, s[0:1]
	v_cndmask_b32_e32 v187, v167, v187, vcc
	v_add_f64 v[184:185], v[184:185], v[186:187]
	s_waitcnt lgkmcnt(0)
	v_xor_b32_e32 v187, 0x80000000, v181
	v_xor_b32_e32 v189, 0x80000000, v183
	v_cmp_gt_f64_e32 vcc, 0, v[182:183]
	v_cmp_gt_f64_e64 s[0:1], 0, v[180:181]
	v_mov_b32_e32 v186, v180
	v_mov_b32_e32 v188, v182
	v_cndmask_b32_e64 v187, v181, v187, s[0:1]
	v_cndmask_b32_e32 v189, v183, v189, vcc
	v_add_f64 v[186:187], v[186:187], v[188:189]
	v_mov_b32_e32 v190, s16
	s_add_i32 s16, s16, 1
	v_cmp_lt_f64_e32 vcc, v[184:185], v[186:187]
	v_add_u32_e32 v175, 16, v175
	s_cmp_lg_u32 s20, s16
	v_cndmask_b32_e32 v165, v165, v181, vcc
	v_cndmask_b32_e32 v164, v164, v180, vcc
	;; [unrolled: 1-line block ×5, first 2 shown]
	s_cbranch_scc1 .LBB80_589
.LBB80_590:
	s_waitcnt lgkmcnt(0)
	v_cmp_eq_f64_e32 vcc, 0, v[164:165]
	v_cmp_eq_f64_e64 s[0:1], 0, v[166:167]
	s_and_b64 s[0:1], vcc, s[0:1]
	s_and_saveexec_b64 s[16:17], s[0:1]
	s_xor_b64 s[0:1], exec, s[16:17]
; %bb.591:
	v_cmp_ne_u32_e32 vcc, 0, v178
	s_nop 1
	v_cndmask_b32_e32 v178, 29, v178, vcc
; %bb.592:
	s_andn2_saveexec_b64 s[0:1], s[0:1]
	s_cbranch_execz .LBB80_598
; %bb.593:
	v_cmp_ngt_f64_e64 s[16:17], |v[164:165]|, |v[166:167]|
	s_and_saveexec_b64 s[18:19], s[16:17]
	s_xor_b64 s[16:17], exec, s[18:19]
	s_cbranch_execz .LBB80_595
; %bb.594:
	v_div_scale_f64 v[180:181], s[18:19], v[166:167], v[166:167], v[164:165]
	v_rcp_f64_e32 v[182:183], v[180:181]
	v_div_scale_f64 v[184:185], vcc, v[164:165], v[166:167], v[164:165]
	v_fma_f64 v[186:187], -v[180:181], v[182:183], 1.0
	v_fmac_f64_e32 v[182:183], v[182:183], v[186:187]
	v_fma_f64 v[186:187], -v[180:181], v[182:183], 1.0
	v_fmac_f64_e32 v[182:183], v[182:183], v[186:187]
	v_mul_f64 v[186:187], v[184:185], v[182:183]
	v_fma_f64 v[180:181], -v[180:181], v[186:187], v[184:185]
	v_div_fmas_f64 v[180:181], v[180:181], v[182:183], v[186:187]
	v_div_fixup_f64 v[180:181], v[180:181], v[166:167], v[164:165]
	v_fmac_f64_e32 v[166:167], v[164:165], v[180:181]
	v_div_scale_f64 v[164:165], s[18:19], v[166:167], v[166:167], 1.0
	v_rcp_f64_e32 v[182:183], v[164:165]
	s_nop 0
	v_fma_f64 v[184:185], -v[164:165], v[182:183], 1.0
	v_fmac_f64_e32 v[182:183], v[182:183], v[184:185]
	v_fma_f64 v[184:185], -v[164:165], v[182:183], 1.0
	v_fmac_f64_e32 v[182:183], v[182:183], v[184:185]
	v_div_scale_f64 v[184:185], vcc, 1.0, v[166:167], 1.0
	v_mul_f64 v[186:187], v[184:185], v[182:183]
	v_fma_f64 v[164:165], -v[164:165], v[186:187], v[184:185]
	s_nop 1
	v_div_fmas_f64 v[164:165], v[164:165], v[182:183], v[186:187]
	v_div_fixup_f64 v[166:167], v[164:165], v[166:167], 1.0
	v_mul_f64 v[164:165], v[180:181], v[166:167]
	v_xor_b32_e32 v167, 0x80000000, v167
.LBB80_595:
	s_andn2_saveexec_b64 s[16:17], s[16:17]
	s_cbranch_execz .LBB80_597
; %bb.596:
	v_div_scale_f64 v[180:181], s[18:19], v[164:165], v[164:165], v[166:167]
	v_rcp_f64_e32 v[182:183], v[180:181]
	v_div_scale_f64 v[184:185], vcc, v[166:167], v[164:165], v[166:167]
	v_fma_f64 v[186:187], -v[180:181], v[182:183], 1.0
	v_fmac_f64_e32 v[182:183], v[182:183], v[186:187]
	v_fma_f64 v[186:187], -v[180:181], v[182:183], 1.0
	v_fmac_f64_e32 v[182:183], v[182:183], v[186:187]
	v_mul_f64 v[186:187], v[184:185], v[182:183]
	v_fma_f64 v[180:181], -v[180:181], v[186:187], v[184:185]
	v_div_fmas_f64 v[180:181], v[180:181], v[182:183], v[186:187]
	v_div_fixup_f64 v[180:181], v[180:181], v[164:165], v[166:167]
	v_fmac_f64_e32 v[164:165], v[166:167], v[180:181]
	v_div_scale_f64 v[166:167], s[18:19], v[164:165], v[164:165], 1.0
	v_rcp_f64_e32 v[182:183], v[166:167]
	s_nop 0
	v_fma_f64 v[184:185], -v[166:167], v[182:183], 1.0
	v_fmac_f64_e32 v[182:183], v[182:183], v[184:185]
	v_fma_f64 v[184:185], -v[166:167], v[182:183], 1.0
	v_fmac_f64_e32 v[182:183], v[182:183], v[184:185]
	v_div_scale_f64 v[184:185], vcc, 1.0, v[164:165], 1.0
	v_mul_f64 v[186:187], v[184:185], v[182:183]
	v_fma_f64 v[166:167], -v[166:167], v[186:187], v[184:185]
	s_nop 1
	v_div_fmas_f64 v[166:167], v[166:167], v[182:183], v[186:187]
	v_div_fixup_f64 v[164:165], v[166:167], v[164:165], 1.0
	v_mul_f64 v[166:167], v[180:181], -v[164:165]
.LBB80_597:
	s_or_b64 exec, exec, s[16:17]
.LBB80_598:
	s_or_b64 exec, exec, s[0:1]
	v_cmp_ne_u32_e32 vcc, v177, v174
	s_and_saveexec_b64 s[0:1], vcc
	s_xor_b64 s[0:1], exec, s[0:1]
	s_cbranch_execz .LBB80_604
; %bb.599:
	v_cmp_eq_u32_e32 vcc, 28, v177
	s_and_saveexec_b64 s[16:17], vcc
	s_cbranch_execz .LBB80_603
; %bb.600:
	v_cmp_ne_u32_e32 vcc, 28, v174
	s_xor_b64 s[18:19], s[14:15], -1
	s_and_b64 s[22:23], s[18:19], vcc
	s_and_saveexec_b64 s[18:19], s[22:23]
	s_cbranch_execz .LBB80_602
; %bb.601:
	v_ashrrev_i32_e32 v175, 31, v174
	v_lshl_add_u64 v[180:181], v[174:175], 2, v[172:173]
	global_load_dword v175, v[180:181], off
	global_load_dword v177, v[172:173], off offset:112
	s_waitcnt vmcnt(1)
	global_store_dword v[172:173], v175, off offset:112
	s_waitcnt vmcnt(1)
	global_store_dword v[180:181], v177, off
.LBB80_602:
	s_or_b64 exec, exec, s[18:19]
	v_mov_b32_e32 v177, v174
	v_mov_b32_e32 v179, v174
.LBB80_603:
	s_or_b64 exec, exec, s[16:17]
.LBB80_604:
	s_andn2_saveexec_b64 s[0:1], s[0:1]
	s_cbranch_execz .LBB80_606
; %bb.605:
	v_mov_b32_e32 v177, 28
	s_waitcnt vmcnt(11)
	ds_write2_b64 v176, v[40:41], v[42:43] offset0:58 offset1:59
	s_waitcnt vmcnt(10)
	ds_write2_b64 v176, v[36:37], v[38:39] offset0:60 offset1:61
	;; [unrolled: 2-line block ×12, first 2 shown]
.LBB80_606:
	s_or_b64 exec, exec, s[0:1]
	v_cmp_lt_i32_e32 vcc, 28, v177
	s_waitcnt lgkmcnt(0)
	s_barrier
	s_and_saveexec_b64 s[0:1], vcc
	s_cbranch_execz .LBB80_608
; %bb.607:
	ds_read2_b64 v[180:183], v176 offset0:58 offset1:59
	v_mul_f64 v[174:175], v[164:165], v[46:47]
	v_mul_f64 v[46:47], v[166:167], v[46:47]
	v_fmac_f64_e32 v[174:175], v[166:167], v[44:45]
	v_fma_f64 v[44:45], v[164:165], v[44:45], -v[46:47]
	ds_read2_b64 v[164:167], v176 offset0:60 offset1:61
	s_waitcnt lgkmcnt(1)
	v_mul_f64 v[46:47], v[182:183], v[174:175]
	v_fma_f64 v[46:47], v[180:181], v[44:45], -v[46:47]
	v_mul_f64 v[180:181], v[180:181], v[174:175]
	v_fmac_f64_e32 v[180:181], v[182:183], v[44:45]
	s_waitcnt vmcnt(11)
	v_add_f64 v[40:41], v[40:41], -v[46:47]
	s_waitcnt lgkmcnt(0)
	v_mul_f64 v[46:47], v[166:167], v[174:175]
	v_add_f64 v[42:43], v[42:43], -v[180:181]
	v_fma_f64 v[46:47], v[164:165], v[44:45], -v[46:47]
	v_mul_f64 v[164:165], v[164:165], v[174:175]
	ds_read2_b64 v[180:183], v176 offset0:62 offset1:63
	v_fmac_f64_e32 v[164:165], v[166:167], v[44:45]
	s_waitcnt vmcnt(10)
	v_add_f64 v[38:39], v[38:39], -v[164:165]
	ds_read2_b64 v[164:167], v176 offset0:64 offset1:65
	v_add_f64 v[36:37], v[36:37], -v[46:47]
	s_waitcnt lgkmcnt(1)
	v_mul_f64 v[46:47], v[182:183], v[174:175]
	v_fma_f64 v[46:47], v[180:181], v[44:45], -v[46:47]
	v_mul_f64 v[180:181], v[180:181], v[174:175]
	v_fmac_f64_e32 v[180:181], v[182:183], v[44:45]
	s_waitcnt vmcnt(9)
	v_add_f64 v[32:33], v[32:33], -v[46:47]
	s_waitcnt lgkmcnt(0)
	v_mul_f64 v[46:47], v[166:167], v[174:175]
	v_add_f64 v[34:35], v[34:35], -v[180:181]
	v_fma_f64 v[46:47], v[164:165], v[44:45], -v[46:47]
	v_mul_f64 v[164:165], v[164:165], v[174:175]
	ds_read2_b64 v[180:183], v176 offset0:66 offset1:67
	v_fmac_f64_e32 v[164:165], v[166:167], v[44:45]
	s_waitcnt vmcnt(8)
	v_add_f64 v[30:31], v[30:31], -v[164:165]
	ds_read2_b64 v[164:167], v176 offset0:68 offset1:69
	v_add_f64 v[28:29], v[28:29], -v[46:47]
	s_waitcnt lgkmcnt(1)
	v_mul_f64 v[46:47], v[182:183], v[174:175]
	v_fma_f64 v[46:47], v[180:181], v[44:45], -v[46:47]
	v_mul_f64 v[180:181], v[180:181], v[174:175]
	v_fmac_f64_e32 v[180:181], v[182:183], v[44:45]
	s_waitcnt vmcnt(7)
	v_add_f64 v[24:25], v[24:25], -v[46:47]
	s_waitcnt lgkmcnt(0)
	v_mul_f64 v[46:47], v[166:167], v[174:175]
	v_add_f64 v[26:27], v[26:27], -v[180:181]
	v_fma_f64 v[46:47], v[164:165], v[44:45], -v[46:47]
	v_mul_f64 v[164:165], v[164:165], v[174:175]
	ds_read2_b64 v[180:183], v176 offset0:70 offset1:71
	v_fmac_f64_e32 v[164:165], v[166:167], v[44:45]
	s_waitcnt vmcnt(6)
	v_add_f64 v[22:23], v[22:23], -v[164:165]
	ds_read2_b64 v[164:167], v176 offset0:72 offset1:73
	v_add_f64 v[20:21], v[20:21], -v[46:47]
	s_waitcnt lgkmcnt(1)
	v_mul_f64 v[46:47], v[182:183], v[174:175]
	v_fma_f64 v[46:47], v[180:181], v[44:45], -v[46:47]
	v_mul_f64 v[180:181], v[180:181], v[174:175]
	v_fmac_f64_e32 v[180:181], v[182:183], v[44:45]
	s_waitcnt vmcnt(5)
	v_add_f64 v[16:17], v[16:17], -v[46:47]
	s_waitcnt lgkmcnt(0)
	v_mul_f64 v[46:47], v[166:167], v[174:175]
	v_add_f64 v[18:19], v[18:19], -v[180:181]
	v_fma_f64 v[46:47], v[164:165], v[44:45], -v[46:47]
	v_mul_f64 v[164:165], v[164:165], v[174:175]
	ds_read2_b64 v[180:183], v176 offset0:74 offset1:75
	v_fmac_f64_e32 v[164:165], v[166:167], v[44:45]
	s_waitcnt vmcnt(4)
	v_add_f64 v[14:15], v[14:15], -v[164:165]
	ds_read2_b64 v[164:167], v176 offset0:76 offset1:77
	v_add_f64 v[12:13], v[12:13], -v[46:47]
	s_waitcnt lgkmcnt(1)
	v_mul_f64 v[46:47], v[182:183], v[174:175]
	v_fma_f64 v[46:47], v[180:181], v[44:45], -v[46:47]
	v_mul_f64 v[180:181], v[180:181], v[174:175]
	v_fmac_f64_e32 v[180:181], v[182:183], v[44:45]
	s_waitcnt vmcnt(3)
	v_add_f64 v[8:9], v[8:9], -v[46:47]
	s_waitcnt lgkmcnt(0)
	v_mul_f64 v[46:47], v[166:167], v[174:175]
	v_add_f64 v[10:11], v[10:11], -v[180:181]
	v_fma_f64 v[46:47], v[164:165], v[44:45], -v[46:47]
	v_mul_f64 v[164:165], v[164:165], v[174:175]
	ds_read2_b64 v[180:183], v176 offset0:78 offset1:79
	v_fmac_f64_e32 v[164:165], v[166:167], v[44:45]
	s_waitcnt vmcnt(2)
	v_add_f64 v[6:7], v[6:7], -v[164:165]
	ds_read2_b64 v[164:167], v176 offset0:80 offset1:81
	v_add_f64 v[4:5], v[4:5], -v[46:47]
	s_waitcnt lgkmcnt(1)
	v_mul_f64 v[46:47], v[182:183], v[174:175]
	v_fma_f64 v[46:47], v[180:181], v[44:45], -v[46:47]
	s_waitcnt vmcnt(1)
	v_add_f64 v[0:1], v[0:1], -v[46:47]
	s_waitcnt lgkmcnt(0)
	v_mul_f64 v[46:47], v[166:167], v[174:175]
	v_mul_f64 v[180:181], v[180:181], v[174:175]
	v_fma_f64 v[46:47], v[164:165], v[44:45], -v[46:47]
	v_mul_f64 v[164:165], v[164:165], v[174:175]
	v_fmac_f64_e32 v[180:181], v[182:183], v[44:45]
	v_fmac_f64_e32 v[164:165], v[166:167], v[44:45]
	v_add_f64 v[2:3], v[2:3], -v[180:181]
	s_waitcnt vmcnt(0)
	v_add_f64 v[160:161], v[160:161], -v[46:47]
	v_add_f64 v[162:163], v[162:163], -v[164:165]
	v_mov_b64_e32 v[46:47], v[174:175]
.LBB80_608:
	s_or_b64 exec, exec, s[0:1]
	v_lshl_add_u32 v164, v177, 4, v176
	s_barrier
	s_waitcnt vmcnt(11)
	ds_write2_b64 v164, v[40:41], v[42:43] offset1:1
	s_waitcnt lgkmcnt(0)
	s_barrier
	ds_read2_b64 v[164:167], v176 offset0:58 offset1:59
	s_cmp_lt_i32 s20, 31
	v_mov_b32_e32 v174, 29
	s_cbranch_scc1 .LBB80_611
; %bb.609:
	v_add_u32_e32 v175, 0x1e0, v176
	s_mov_b32 s16, 30
	v_mov_b32_e32 v174, 29
.LBB80_610:                             ; =>This Inner Loop Header: Depth=1
	ds_read2_b64 v[180:183], v175 offset1:1
	s_waitcnt lgkmcnt(1)
	v_xor_b32_e32 v185, 0x80000000, v165
	v_xor_b32_e32 v187, 0x80000000, v167
	v_cmp_gt_f64_e32 vcc, 0, v[166:167]
	v_cmp_gt_f64_e64 s[0:1], 0, v[164:165]
	v_mov_b32_e32 v184, v164
	v_mov_b32_e32 v186, v166
	v_cndmask_b32_e64 v185, v165, v185, s[0:1]
	v_cndmask_b32_e32 v187, v167, v187, vcc
	v_add_f64 v[184:185], v[184:185], v[186:187]
	s_waitcnt lgkmcnt(0)
	v_xor_b32_e32 v187, 0x80000000, v181
	v_xor_b32_e32 v189, 0x80000000, v183
	v_cmp_gt_f64_e32 vcc, 0, v[182:183]
	v_cmp_gt_f64_e64 s[0:1], 0, v[180:181]
	v_mov_b32_e32 v186, v180
	v_mov_b32_e32 v188, v182
	v_cndmask_b32_e64 v187, v181, v187, s[0:1]
	v_cndmask_b32_e32 v189, v183, v189, vcc
	v_add_f64 v[186:187], v[186:187], v[188:189]
	v_mov_b32_e32 v190, s16
	s_add_i32 s16, s16, 1
	v_cmp_lt_f64_e32 vcc, v[184:185], v[186:187]
	v_add_u32_e32 v175, 16, v175
	s_cmp_lg_u32 s20, s16
	v_cndmask_b32_e32 v165, v165, v181, vcc
	v_cndmask_b32_e32 v164, v164, v180, vcc
	v_cndmask_b32_e32 v167, v167, v183, vcc
	v_cndmask_b32_e32 v166, v166, v182, vcc
	v_cndmask_b32_e32 v174, v174, v190, vcc
	s_cbranch_scc1 .LBB80_610
.LBB80_611:
	s_waitcnt lgkmcnt(0)
	v_cmp_eq_f64_e32 vcc, 0, v[164:165]
	v_cmp_eq_f64_e64 s[0:1], 0, v[166:167]
	s_and_b64 s[0:1], vcc, s[0:1]
	s_and_saveexec_b64 s[16:17], s[0:1]
	s_xor_b64 s[0:1], exec, s[16:17]
; %bb.612:
	v_cmp_ne_u32_e32 vcc, 0, v178
	s_nop 1
	v_cndmask_b32_e32 v178, 30, v178, vcc
; %bb.613:
	s_andn2_saveexec_b64 s[0:1], s[0:1]
	s_cbranch_execz .LBB80_619
; %bb.614:
	v_cmp_ngt_f64_e64 s[16:17], |v[164:165]|, |v[166:167]|
	s_and_saveexec_b64 s[18:19], s[16:17]
	s_xor_b64 s[16:17], exec, s[18:19]
	s_cbranch_execz .LBB80_616
; %bb.615:
	v_div_scale_f64 v[180:181], s[18:19], v[166:167], v[166:167], v[164:165]
	v_rcp_f64_e32 v[182:183], v[180:181]
	v_div_scale_f64 v[184:185], vcc, v[164:165], v[166:167], v[164:165]
	v_fma_f64 v[186:187], -v[180:181], v[182:183], 1.0
	v_fmac_f64_e32 v[182:183], v[182:183], v[186:187]
	v_fma_f64 v[186:187], -v[180:181], v[182:183], 1.0
	v_fmac_f64_e32 v[182:183], v[182:183], v[186:187]
	v_mul_f64 v[186:187], v[184:185], v[182:183]
	v_fma_f64 v[180:181], -v[180:181], v[186:187], v[184:185]
	v_div_fmas_f64 v[180:181], v[180:181], v[182:183], v[186:187]
	v_div_fixup_f64 v[180:181], v[180:181], v[166:167], v[164:165]
	v_fmac_f64_e32 v[166:167], v[164:165], v[180:181]
	v_div_scale_f64 v[164:165], s[18:19], v[166:167], v[166:167], 1.0
	v_rcp_f64_e32 v[182:183], v[164:165]
	s_nop 0
	v_fma_f64 v[184:185], -v[164:165], v[182:183], 1.0
	v_fmac_f64_e32 v[182:183], v[182:183], v[184:185]
	v_fma_f64 v[184:185], -v[164:165], v[182:183], 1.0
	v_fmac_f64_e32 v[182:183], v[182:183], v[184:185]
	v_div_scale_f64 v[184:185], vcc, 1.0, v[166:167], 1.0
	v_mul_f64 v[186:187], v[184:185], v[182:183]
	v_fma_f64 v[164:165], -v[164:165], v[186:187], v[184:185]
	s_nop 1
	v_div_fmas_f64 v[164:165], v[164:165], v[182:183], v[186:187]
	v_div_fixup_f64 v[166:167], v[164:165], v[166:167], 1.0
	v_mul_f64 v[164:165], v[180:181], v[166:167]
	v_xor_b32_e32 v167, 0x80000000, v167
.LBB80_616:
	s_andn2_saveexec_b64 s[16:17], s[16:17]
	s_cbranch_execz .LBB80_618
; %bb.617:
	v_div_scale_f64 v[180:181], s[18:19], v[164:165], v[164:165], v[166:167]
	v_rcp_f64_e32 v[182:183], v[180:181]
	v_div_scale_f64 v[184:185], vcc, v[166:167], v[164:165], v[166:167]
	v_fma_f64 v[186:187], -v[180:181], v[182:183], 1.0
	v_fmac_f64_e32 v[182:183], v[182:183], v[186:187]
	v_fma_f64 v[186:187], -v[180:181], v[182:183], 1.0
	v_fmac_f64_e32 v[182:183], v[182:183], v[186:187]
	v_mul_f64 v[186:187], v[184:185], v[182:183]
	v_fma_f64 v[180:181], -v[180:181], v[186:187], v[184:185]
	v_div_fmas_f64 v[180:181], v[180:181], v[182:183], v[186:187]
	v_div_fixup_f64 v[180:181], v[180:181], v[164:165], v[166:167]
	v_fmac_f64_e32 v[164:165], v[166:167], v[180:181]
	v_div_scale_f64 v[166:167], s[18:19], v[164:165], v[164:165], 1.0
	v_rcp_f64_e32 v[182:183], v[166:167]
	s_nop 0
	v_fma_f64 v[184:185], -v[166:167], v[182:183], 1.0
	v_fmac_f64_e32 v[182:183], v[182:183], v[184:185]
	v_fma_f64 v[184:185], -v[166:167], v[182:183], 1.0
	v_fmac_f64_e32 v[182:183], v[182:183], v[184:185]
	v_div_scale_f64 v[184:185], vcc, 1.0, v[164:165], 1.0
	v_mul_f64 v[186:187], v[184:185], v[182:183]
	v_fma_f64 v[166:167], -v[166:167], v[186:187], v[184:185]
	s_nop 1
	v_div_fmas_f64 v[166:167], v[166:167], v[182:183], v[186:187]
	v_div_fixup_f64 v[164:165], v[166:167], v[164:165], 1.0
	v_mul_f64 v[166:167], v[180:181], -v[164:165]
.LBB80_618:
	s_or_b64 exec, exec, s[16:17]
.LBB80_619:
	s_or_b64 exec, exec, s[0:1]
	v_cmp_ne_u32_e32 vcc, v177, v174
	s_and_saveexec_b64 s[0:1], vcc
	s_xor_b64 s[0:1], exec, s[0:1]
	s_cbranch_execz .LBB80_625
; %bb.620:
	v_cmp_eq_u32_e32 vcc, 29, v177
	s_and_saveexec_b64 s[16:17], vcc
	s_cbranch_execz .LBB80_624
; %bb.621:
	v_cmp_ne_u32_e32 vcc, 29, v174
	s_xor_b64 s[18:19], s[14:15], -1
	s_and_b64 s[22:23], s[18:19], vcc
	s_and_saveexec_b64 s[18:19], s[22:23]
	s_cbranch_execz .LBB80_623
; %bb.622:
	v_ashrrev_i32_e32 v175, 31, v174
	v_lshl_add_u64 v[180:181], v[174:175], 2, v[172:173]
	global_load_dword v175, v[180:181], off
	global_load_dword v177, v[172:173], off offset:116
	s_waitcnt vmcnt(1)
	global_store_dword v[172:173], v175, off offset:116
	s_waitcnt vmcnt(1)
	global_store_dword v[180:181], v177, off
.LBB80_623:
	s_or_b64 exec, exec, s[18:19]
	v_mov_b32_e32 v177, v174
	v_mov_b32_e32 v179, v174
.LBB80_624:
	s_or_b64 exec, exec, s[16:17]
.LBB80_625:
	s_andn2_saveexec_b64 s[0:1], s[0:1]
	s_cbranch_execz .LBB80_627
; %bb.626:
	v_mov_b32_e32 v177, 29
	s_waitcnt vmcnt(10)
	ds_write2_b64 v176, v[36:37], v[38:39] offset0:60 offset1:61
	s_waitcnt vmcnt(9)
	ds_write2_b64 v176, v[32:33], v[34:35] offset0:62 offset1:63
	;; [unrolled: 2-line block ×11, first 2 shown]
.LBB80_627:
	s_or_b64 exec, exec, s[0:1]
	v_cmp_lt_i32_e32 vcc, 29, v177
	s_waitcnt lgkmcnt(0)
	s_barrier
	s_and_saveexec_b64 s[0:1], vcc
	s_cbranch_execz .LBB80_629
; %bb.628:
	ds_read2_b64 v[180:183], v176 offset0:60 offset1:61
	v_mul_f64 v[174:175], v[164:165], v[42:43]
	v_fmac_f64_e32 v[174:175], v[166:167], v[40:41]
	v_mul_f64 v[42:43], v[166:167], v[42:43]
	v_fma_f64 v[40:41], v[164:165], v[40:41], -v[42:43]
	ds_read2_b64 v[164:167], v176 offset0:62 offset1:63
	s_waitcnt lgkmcnt(1)
	v_mul_f64 v[42:43], v[182:183], v[174:175]
	v_fma_f64 v[42:43], v[180:181], v[40:41], -v[42:43]
	v_mul_f64 v[180:181], v[180:181], v[174:175]
	v_fmac_f64_e32 v[180:181], v[182:183], v[40:41]
	s_waitcnt vmcnt(10)
	v_add_f64 v[38:39], v[38:39], -v[180:181]
	ds_read2_b64 v[180:183], v176 offset0:64 offset1:65
	v_add_f64 v[36:37], v[36:37], -v[42:43]
	s_waitcnt lgkmcnt(1)
	v_mul_f64 v[42:43], v[166:167], v[174:175]
	v_fma_f64 v[42:43], v[164:165], v[40:41], -v[42:43]
	v_mul_f64 v[164:165], v[164:165], v[174:175]
	v_fmac_f64_e32 v[164:165], v[166:167], v[40:41]
	s_waitcnt vmcnt(9)
	v_add_f64 v[32:33], v[32:33], -v[42:43]
	v_add_f64 v[34:35], v[34:35], -v[164:165]
	ds_read2_b64 v[164:167], v176 offset0:66 offset1:67
	s_waitcnt lgkmcnt(1)
	v_mul_f64 v[42:43], v[182:183], v[174:175]
	v_fma_f64 v[42:43], v[180:181], v[40:41], -v[42:43]
	v_mul_f64 v[180:181], v[180:181], v[174:175]
	v_fmac_f64_e32 v[180:181], v[182:183], v[40:41]
	s_waitcnt vmcnt(8)
	v_add_f64 v[30:31], v[30:31], -v[180:181]
	ds_read2_b64 v[180:183], v176 offset0:68 offset1:69
	v_add_f64 v[28:29], v[28:29], -v[42:43]
	s_waitcnt lgkmcnt(1)
	v_mul_f64 v[42:43], v[166:167], v[174:175]
	v_fma_f64 v[42:43], v[164:165], v[40:41], -v[42:43]
	v_mul_f64 v[164:165], v[164:165], v[174:175]
	v_fmac_f64_e32 v[164:165], v[166:167], v[40:41]
	s_waitcnt vmcnt(7)
	v_add_f64 v[24:25], v[24:25], -v[42:43]
	v_add_f64 v[26:27], v[26:27], -v[164:165]
	;; [unrolled: 18-line block ×5, first 2 shown]
	s_waitcnt lgkmcnt(0)
	v_mul_f64 v[42:43], v[182:183], v[174:175]
	v_mul_f64 v[164:165], v[180:181], v[174:175]
	v_fma_f64 v[42:43], v[180:181], v[40:41], -v[42:43]
	v_fmac_f64_e32 v[164:165], v[182:183], v[40:41]
	s_waitcnt vmcnt(0)
	v_add_f64 v[160:161], v[160:161], -v[42:43]
	v_add_f64 v[162:163], v[162:163], -v[164:165]
	v_mov_b64_e32 v[42:43], v[174:175]
.LBB80_629:
	s_or_b64 exec, exec, s[0:1]
	v_lshl_add_u32 v164, v177, 4, v176
	s_barrier
	s_waitcnt vmcnt(10)
	ds_write2_b64 v164, v[36:37], v[38:39] offset1:1
	s_waitcnt lgkmcnt(0)
	s_barrier
	ds_read2_b64 v[164:167], v176 offset0:60 offset1:61
	s_cmp_lt_i32 s20, 32
	v_mov_b32_e32 v174, 30
	s_cbranch_scc1 .LBB80_632
; %bb.630:
	v_add_u32_e32 v175, 0x1f0, v176
	s_mov_b32 s16, 31
	v_mov_b32_e32 v174, 30
.LBB80_631:                             ; =>This Inner Loop Header: Depth=1
	ds_read2_b64 v[180:183], v175 offset1:1
	s_waitcnt lgkmcnt(1)
	v_xor_b32_e32 v185, 0x80000000, v165
	v_xor_b32_e32 v187, 0x80000000, v167
	v_cmp_gt_f64_e32 vcc, 0, v[166:167]
	v_cmp_gt_f64_e64 s[0:1], 0, v[164:165]
	v_mov_b32_e32 v184, v164
	v_mov_b32_e32 v186, v166
	v_cndmask_b32_e64 v185, v165, v185, s[0:1]
	v_cndmask_b32_e32 v187, v167, v187, vcc
	v_add_f64 v[184:185], v[184:185], v[186:187]
	s_waitcnt lgkmcnt(0)
	v_xor_b32_e32 v187, 0x80000000, v181
	v_xor_b32_e32 v189, 0x80000000, v183
	v_cmp_gt_f64_e32 vcc, 0, v[182:183]
	v_cmp_gt_f64_e64 s[0:1], 0, v[180:181]
	v_mov_b32_e32 v186, v180
	v_mov_b32_e32 v188, v182
	v_cndmask_b32_e64 v187, v181, v187, s[0:1]
	v_cndmask_b32_e32 v189, v183, v189, vcc
	v_add_f64 v[186:187], v[186:187], v[188:189]
	v_mov_b32_e32 v190, s16
	s_add_i32 s16, s16, 1
	v_cmp_lt_f64_e32 vcc, v[184:185], v[186:187]
	v_add_u32_e32 v175, 16, v175
	s_cmp_lg_u32 s20, s16
	v_cndmask_b32_e32 v165, v165, v181, vcc
	v_cndmask_b32_e32 v164, v164, v180, vcc
	;; [unrolled: 1-line block ×5, first 2 shown]
	s_cbranch_scc1 .LBB80_631
.LBB80_632:
	s_waitcnt lgkmcnt(0)
	v_cmp_eq_f64_e32 vcc, 0, v[164:165]
	v_cmp_eq_f64_e64 s[0:1], 0, v[166:167]
	s_and_b64 s[0:1], vcc, s[0:1]
	s_and_saveexec_b64 s[16:17], s[0:1]
	s_xor_b64 s[0:1], exec, s[16:17]
; %bb.633:
	v_cmp_ne_u32_e32 vcc, 0, v178
	s_nop 1
	v_cndmask_b32_e32 v178, 31, v178, vcc
; %bb.634:
	s_andn2_saveexec_b64 s[0:1], s[0:1]
	s_cbranch_execz .LBB80_640
; %bb.635:
	v_cmp_ngt_f64_e64 s[16:17], |v[164:165]|, |v[166:167]|
	s_and_saveexec_b64 s[18:19], s[16:17]
	s_xor_b64 s[16:17], exec, s[18:19]
	s_cbranch_execz .LBB80_637
; %bb.636:
	v_div_scale_f64 v[180:181], s[18:19], v[166:167], v[166:167], v[164:165]
	v_rcp_f64_e32 v[182:183], v[180:181]
	v_div_scale_f64 v[184:185], vcc, v[164:165], v[166:167], v[164:165]
	v_fma_f64 v[186:187], -v[180:181], v[182:183], 1.0
	v_fmac_f64_e32 v[182:183], v[182:183], v[186:187]
	v_fma_f64 v[186:187], -v[180:181], v[182:183], 1.0
	v_fmac_f64_e32 v[182:183], v[182:183], v[186:187]
	v_mul_f64 v[186:187], v[184:185], v[182:183]
	v_fma_f64 v[180:181], -v[180:181], v[186:187], v[184:185]
	v_div_fmas_f64 v[180:181], v[180:181], v[182:183], v[186:187]
	v_div_fixup_f64 v[180:181], v[180:181], v[166:167], v[164:165]
	v_fmac_f64_e32 v[166:167], v[164:165], v[180:181]
	v_div_scale_f64 v[164:165], s[18:19], v[166:167], v[166:167], 1.0
	v_rcp_f64_e32 v[182:183], v[164:165]
	s_nop 0
	v_fma_f64 v[184:185], -v[164:165], v[182:183], 1.0
	v_fmac_f64_e32 v[182:183], v[182:183], v[184:185]
	v_fma_f64 v[184:185], -v[164:165], v[182:183], 1.0
	v_fmac_f64_e32 v[182:183], v[182:183], v[184:185]
	v_div_scale_f64 v[184:185], vcc, 1.0, v[166:167], 1.0
	v_mul_f64 v[186:187], v[184:185], v[182:183]
	v_fma_f64 v[164:165], -v[164:165], v[186:187], v[184:185]
	s_nop 1
	v_div_fmas_f64 v[164:165], v[164:165], v[182:183], v[186:187]
	v_div_fixup_f64 v[166:167], v[164:165], v[166:167], 1.0
	v_mul_f64 v[164:165], v[180:181], v[166:167]
	v_xor_b32_e32 v167, 0x80000000, v167
.LBB80_637:
	s_andn2_saveexec_b64 s[16:17], s[16:17]
	s_cbranch_execz .LBB80_639
; %bb.638:
	v_div_scale_f64 v[180:181], s[18:19], v[164:165], v[164:165], v[166:167]
	v_rcp_f64_e32 v[182:183], v[180:181]
	v_div_scale_f64 v[184:185], vcc, v[166:167], v[164:165], v[166:167]
	v_fma_f64 v[186:187], -v[180:181], v[182:183], 1.0
	v_fmac_f64_e32 v[182:183], v[182:183], v[186:187]
	v_fma_f64 v[186:187], -v[180:181], v[182:183], 1.0
	v_fmac_f64_e32 v[182:183], v[182:183], v[186:187]
	v_mul_f64 v[186:187], v[184:185], v[182:183]
	v_fma_f64 v[180:181], -v[180:181], v[186:187], v[184:185]
	v_div_fmas_f64 v[180:181], v[180:181], v[182:183], v[186:187]
	v_div_fixup_f64 v[180:181], v[180:181], v[164:165], v[166:167]
	v_fmac_f64_e32 v[164:165], v[166:167], v[180:181]
	v_div_scale_f64 v[166:167], s[18:19], v[164:165], v[164:165], 1.0
	v_rcp_f64_e32 v[182:183], v[166:167]
	s_nop 0
	v_fma_f64 v[184:185], -v[166:167], v[182:183], 1.0
	v_fmac_f64_e32 v[182:183], v[182:183], v[184:185]
	v_fma_f64 v[184:185], -v[166:167], v[182:183], 1.0
	v_fmac_f64_e32 v[182:183], v[182:183], v[184:185]
	v_div_scale_f64 v[184:185], vcc, 1.0, v[164:165], 1.0
	v_mul_f64 v[186:187], v[184:185], v[182:183]
	v_fma_f64 v[166:167], -v[166:167], v[186:187], v[184:185]
	s_nop 1
	v_div_fmas_f64 v[166:167], v[166:167], v[182:183], v[186:187]
	v_div_fixup_f64 v[164:165], v[166:167], v[164:165], 1.0
	v_mul_f64 v[166:167], v[180:181], -v[164:165]
.LBB80_639:
	s_or_b64 exec, exec, s[16:17]
.LBB80_640:
	s_or_b64 exec, exec, s[0:1]
	v_cmp_ne_u32_e32 vcc, v177, v174
	s_and_saveexec_b64 s[0:1], vcc
	s_xor_b64 s[0:1], exec, s[0:1]
	s_cbranch_execz .LBB80_646
; %bb.641:
	v_cmp_eq_u32_e32 vcc, 30, v177
	s_and_saveexec_b64 s[16:17], vcc
	s_cbranch_execz .LBB80_645
; %bb.642:
	v_cmp_ne_u32_e32 vcc, 30, v174
	s_xor_b64 s[18:19], s[14:15], -1
	s_and_b64 s[22:23], s[18:19], vcc
	s_and_saveexec_b64 s[18:19], s[22:23]
	s_cbranch_execz .LBB80_644
; %bb.643:
	v_ashrrev_i32_e32 v175, 31, v174
	v_lshl_add_u64 v[180:181], v[174:175], 2, v[172:173]
	global_load_dword v175, v[180:181], off
	global_load_dword v177, v[172:173], off offset:120
	s_waitcnt vmcnt(1)
	global_store_dword v[172:173], v175, off offset:120
	s_waitcnt vmcnt(1)
	global_store_dword v[180:181], v177, off
.LBB80_644:
	s_or_b64 exec, exec, s[18:19]
	v_mov_b32_e32 v177, v174
	v_mov_b32_e32 v179, v174
.LBB80_645:
	s_or_b64 exec, exec, s[16:17]
.LBB80_646:
	s_andn2_saveexec_b64 s[0:1], s[0:1]
	s_cbranch_execz .LBB80_648
; %bb.647:
	v_mov_b32_e32 v177, 30
	s_waitcnt vmcnt(9)
	ds_write2_b64 v176, v[32:33], v[34:35] offset0:62 offset1:63
	s_waitcnt vmcnt(8)
	ds_write2_b64 v176, v[28:29], v[30:31] offset0:64 offset1:65
	;; [unrolled: 2-line block ×10, first 2 shown]
.LBB80_648:
	s_or_b64 exec, exec, s[0:1]
	v_cmp_lt_i32_e32 vcc, 30, v177
	s_waitcnt lgkmcnt(0)
	s_barrier
	s_and_saveexec_b64 s[0:1], vcc
	s_cbranch_execz .LBB80_650
; %bb.649:
	ds_read2_b64 v[180:183], v176 offset0:62 offset1:63
	v_mul_f64 v[174:175], v[164:165], v[38:39]
	v_mul_f64 v[38:39], v[166:167], v[38:39]
	v_fmac_f64_e32 v[174:175], v[166:167], v[36:37]
	v_fma_f64 v[36:37], v[164:165], v[36:37], -v[38:39]
	ds_read2_b64 v[164:167], v176 offset0:64 offset1:65
	s_waitcnt lgkmcnt(1)
	v_mul_f64 v[38:39], v[182:183], v[174:175]
	v_fma_f64 v[38:39], v[180:181], v[36:37], -v[38:39]
	v_mul_f64 v[180:181], v[180:181], v[174:175]
	v_fmac_f64_e32 v[180:181], v[182:183], v[36:37]
	s_waitcnt vmcnt(9)
	v_add_f64 v[32:33], v[32:33], -v[38:39]
	s_waitcnt lgkmcnt(0)
	v_mul_f64 v[38:39], v[166:167], v[174:175]
	v_add_f64 v[34:35], v[34:35], -v[180:181]
	v_fma_f64 v[38:39], v[164:165], v[36:37], -v[38:39]
	v_mul_f64 v[164:165], v[164:165], v[174:175]
	ds_read2_b64 v[180:183], v176 offset0:66 offset1:67
	v_fmac_f64_e32 v[164:165], v[166:167], v[36:37]
	s_waitcnt vmcnt(8)
	v_add_f64 v[30:31], v[30:31], -v[164:165]
	ds_read2_b64 v[164:167], v176 offset0:68 offset1:69
	v_add_f64 v[28:29], v[28:29], -v[38:39]
	s_waitcnt lgkmcnt(1)
	v_mul_f64 v[38:39], v[182:183], v[174:175]
	v_fma_f64 v[38:39], v[180:181], v[36:37], -v[38:39]
	v_mul_f64 v[180:181], v[180:181], v[174:175]
	v_fmac_f64_e32 v[180:181], v[182:183], v[36:37]
	s_waitcnt vmcnt(7)
	v_add_f64 v[24:25], v[24:25], -v[38:39]
	s_waitcnt lgkmcnt(0)
	v_mul_f64 v[38:39], v[166:167], v[174:175]
	v_add_f64 v[26:27], v[26:27], -v[180:181]
	v_fma_f64 v[38:39], v[164:165], v[36:37], -v[38:39]
	v_mul_f64 v[164:165], v[164:165], v[174:175]
	ds_read2_b64 v[180:183], v176 offset0:70 offset1:71
	v_fmac_f64_e32 v[164:165], v[166:167], v[36:37]
	s_waitcnt vmcnt(6)
	v_add_f64 v[22:23], v[22:23], -v[164:165]
	ds_read2_b64 v[164:167], v176 offset0:72 offset1:73
	v_add_f64 v[20:21], v[20:21], -v[38:39]
	;; [unrolled: 18-line block ×4, first 2 shown]
	s_waitcnt lgkmcnt(1)
	v_mul_f64 v[38:39], v[182:183], v[174:175]
	v_fma_f64 v[38:39], v[180:181], v[36:37], -v[38:39]
	s_waitcnt vmcnt(1)
	v_add_f64 v[0:1], v[0:1], -v[38:39]
	s_waitcnt lgkmcnt(0)
	v_mul_f64 v[38:39], v[166:167], v[174:175]
	v_mul_f64 v[180:181], v[180:181], v[174:175]
	v_fma_f64 v[38:39], v[164:165], v[36:37], -v[38:39]
	v_mul_f64 v[164:165], v[164:165], v[174:175]
	v_fmac_f64_e32 v[180:181], v[182:183], v[36:37]
	v_fmac_f64_e32 v[164:165], v[166:167], v[36:37]
	v_add_f64 v[2:3], v[2:3], -v[180:181]
	s_waitcnt vmcnt(0)
	v_add_f64 v[160:161], v[160:161], -v[38:39]
	v_add_f64 v[162:163], v[162:163], -v[164:165]
	v_mov_b64_e32 v[38:39], v[174:175]
.LBB80_650:
	s_or_b64 exec, exec, s[0:1]
	v_lshl_add_u32 v164, v177, 4, v176
	s_barrier
	s_waitcnt vmcnt(9)
	ds_write2_b64 v164, v[32:33], v[34:35] offset1:1
	s_waitcnt lgkmcnt(0)
	s_barrier
	ds_read2_b64 v[164:167], v176 offset0:62 offset1:63
	s_cmp_lt_i32 s20, 33
	v_mov_b32_e32 v174, 31
	s_cbranch_scc1 .LBB80_653
; %bb.651:
	v_add_u32_e32 v175, 0x200, v176
	s_mov_b32 s16, 32
	v_mov_b32_e32 v174, 31
.LBB80_652:                             ; =>This Inner Loop Header: Depth=1
	ds_read2_b64 v[180:183], v175 offset1:1
	s_waitcnt lgkmcnt(1)
	v_xor_b32_e32 v185, 0x80000000, v165
	v_xor_b32_e32 v187, 0x80000000, v167
	v_cmp_gt_f64_e32 vcc, 0, v[166:167]
	v_cmp_gt_f64_e64 s[0:1], 0, v[164:165]
	v_mov_b32_e32 v184, v164
	v_mov_b32_e32 v186, v166
	v_cndmask_b32_e64 v185, v165, v185, s[0:1]
	v_cndmask_b32_e32 v187, v167, v187, vcc
	v_add_f64 v[184:185], v[184:185], v[186:187]
	s_waitcnt lgkmcnt(0)
	v_xor_b32_e32 v187, 0x80000000, v181
	v_xor_b32_e32 v189, 0x80000000, v183
	v_cmp_gt_f64_e32 vcc, 0, v[182:183]
	v_cmp_gt_f64_e64 s[0:1], 0, v[180:181]
	v_mov_b32_e32 v186, v180
	v_mov_b32_e32 v188, v182
	v_cndmask_b32_e64 v187, v181, v187, s[0:1]
	v_cndmask_b32_e32 v189, v183, v189, vcc
	v_add_f64 v[186:187], v[186:187], v[188:189]
	v_mov_b32_e32 v190, s16
	s_add_i32 s16, s16, 1
	v_cmp_lt_f64_e32 vcc, v[184:185], v[186:187]
	v_add_u32_e32 v175, 16, v175
	s_cmp_lg_u32 s20, s16
	v_cndmask_b32_e32 v165, v165, v181, vcc
	v_cndmask_b32_e32 v164, v164, v180, vcc
	;; [unrolled: 1-line block ×5, first 2 shown]
	s_cbranch_scc1 .LBB80_652
.LBB80_653:
	s_waitcnt lgkmcnt(0)
	v_cmp_eq_f64_e32 vcc, 0, v[164:165]
	v_cmp_eq_f64_e64 s[0:1], 0, v[166:167]
	s_and_b64 s[0:1], vcc, s[0:1]
	s_and_saveexec_b64 s[16:17], s[0:1]
	s_xor_b64 s[0:1], exec, s[16:17]
; %bb.654:
	v_cmp_ne_u32_e32 vcc, 0, v178
	s_nop 1
	v_cndmask_b32_e32 v178, 32, v178, vcc
; %bb.655:
	s_andn2_saveexec_b64 s[0:1], s[0:1]
	s_cbranch_execz .LBB80_661
; %bb.656:
	v_cmp_ngt_f64_e64 s[16:17], |v[164:165]|, |v[166:167]|
	s_and_saveexec_b64 s[18:19], s[16:17]
	s_xor_b64 s[16:17], exec, s[18:19]
	s_cbranch_execz .LBB80_658
; %bb.657:
	v_div_scale_f64 v[180:181], s[18:19], v[166:167], v[166:167], v[164:165]
	v_rcp_f64_e32 v[182:183], v[180:181]
	v_div_scale_f64 v[184:185], vcc, v[164:165], v[166:167], v[164:165]
	v_fma_f64 v[186:187], -v[180:181], v[182:183], 1.0
	v_fmac_f64_e32 v[182:183], v[182:183], v[186:187]
	v_fma_f64 v[186:187], -v[180:181], v[182:183], 1.0
	v_fmac_f64_e32 v[182:183], v[182:183], v[186:187]
	v_mul_f64 v[186:187], v[184:185], v[182:183]
	v_fma_f64 v[180:181], -v[180:181], v[186:187], v[184:185]
	v_div_fmas_f64 v[180:181], v[180:181], v[182:183], v[186:187]
	v_div_fixup_f64 v[180:181], v[180:181], v[166:167], v[164:165]
	v_fmac_f64_e32 v[166:167], v[164:165], v[180:181]
	v_div_scale_f64 v[164:165], s[18:19], v[166:167], v[166:167], 1.0
	v_rcp_f64_e32 v[182:183], v[164:165]
	s_nop 0
	v_fma_f64 v[184:185], -v[164:165], v[182:183], 1.0
	v_fmac_f64_e32 v[182:183], v[182:183], v[184:185]
	v_fma_f64 v[184:185], -v[164:165], v[182:183], 1.0
	v_fmac_f64_e32 v[182:183], v[182:183], v[184:185]
	v_div_scale_f64 v[184:185], vcc, 1.0, v[166:167], 1.0
	v_mul_f64 v[186:187], v[184:185], v[182:183]
	v_fma_f64 v[164:165], -v[164:165], v[186:187], v[184:185]
	s_nop 1
	v_div_fmas_f64 v[164:165], v[164:165], v[182:183], v[186:187]
	v_div_fixup_f64 v[166:167], v[164:165], v[166:167], 1.0
	v_mul_f64 v[164:165], v[180:181], v[166:167]
	v_xor_b32_e32 v167, 0x80000000, v167
.LBB80_658:
	s_andn2_saveexec_b64 s[16:17], s[16:17]
	s_cbranch_execz .LBB80_660
; %bb.659:
	v_div_scale_f64 v[180:181], s[18:19], v[164:165], v[164:165], v[166:167]
	v_rcp_f64_e32 v[182:183], v[180:181]
	v_div_scale_f64 v[184:185], vcc, v[166:167], v[164:165], v[166:167]
	v_fma_f64 v[186:187], -v[180:181], v[182:183], 1.0
	v_fmac_f64_e32 v[182:183], v[182:183], v[186:187]
	v_fma_f64 v[186:187], -v[180:181], v[182:183], 1.0
	v_fmac_f64_e32 v[182:183], v[182:183], v[186:187]
	v_mul_f64 v[186:187], v[184:185], v[182:183]
	v_fma_f64 v[180:181], -v[180:181], v[186:187], v[184:185]
	v_div_fmas_f64 v[180:181], v[180:181], v[182:183], v[186:187]
	v_div_fixup_f64 v[180:181], v[180:181], v[164:165], v[166:167]
	v_fmac_f64_e32 v[164:165], v[166:167], v[180:181]
	v_div_scale_f64 v[166:167], s[18:19], v[164:165], v[164:165], 1.0
	v_rcp_f64_e32 v[182:183], v[166:167]
	s_nop 0
	v_fma_f64 v[184:185], -v[166:167], v[182:183], 1.0
	v_fmac_f64_e32 v[182:183], v[182:183], v[184:185]
	v_fma_f64 v[184:185], -v[166:167], v[182:183], 1.0
	v_fmac_f64_e32 v[182:183], v[182:183], v[184:185]
	v_div_scale_f64 v[184:185], vcc, 1.0, v[164:165], 1.0
	v_mul_f64 v[186:187], v[184:185], v[182:183]
	v_fma_f64 v[166:167], -v[166:167], v[186:187], v[184:185]
	s_nop 1
	v_div_fmas_f64 v[166:167], v[166:167], v[182:183], v[186:187]
	v_div_fixup_f64 v[164:165], v[166:167], v[164:165], 1.0
	v_mul_f64 v[166:167], v[180:181], -v[164:165]
.LBB80_660:
	s_or_b64 exec, exec, s[16:17]
.LBB80_661:
	s_or_b64 exec, exec, s[0:1]
	v_cmp_ne_u32_e32 vcc, v177, v174
	s_and_saveexec_b64 s[0:1], vcc
	s_xor_b64 s[0:1], exec, s[0:1]
	s_cbranch_execz .LBB80_667
; %bb.662:
	v_cmp_eq_u32_e32 vcc, 31, v177
	s_and_saveexec_b64 s[16:17], vcc
	s_cbranch_execz .LBB80_666
; %bb.663:
	v_cmp_ne_u32_e32 vcc, 31, v174
	s_xor_b64 s[18:19], s[14:15], -1
	s_and_b64 s[22:23], s[18:19], vcc
	s_and_saveexec_b64 s[18:19], s[22:23]
	s_cbranch_execz .LBB80_665
; %bb.664:
	v_ashrrev_i32_e32 v175, 31, v174
	v_lshl_add_u64 v[180:181], v[174:175], 2, v[172:173]
	global_load_dword v175, v[180:181], off
	global_load_dword v177, v[172:173], off offset:124
	s_waitcnt vmcnt(1)
	global_store_dword v[172:173], v175, off offset:124
	s_waitcnt vmcnt(1)
	global_store_dword v[180:181], v177, off
.LBB80_665:
	s_or_b64 exec, exec, s[18:19]
	v_mov_b32_e32 v177, v174
	v_mov_b32_e32 v179, v174
.LBB80_666:
	s_or_b64 exec, exec, s[16:17]
.LBB80_667:
	s_andn2_saveexec_b64 s[0:1], s[0:1]
	s_cbranch_execz .LBB80_669
; %bb.668:
	v_mov_b32_e32 v177, 31
	s_waitcnt vmcnt(8)
	ds_write2_b64 v176, v[28:29], v[30:31] offset0:64 offset1:65
	s_waitcnt vmcnt(7)
	ds_write2_b64 v176, v[24:25], v[26:27] offset0:66 offset1:67
	;; [unrolled: 2-line block ×9, first 2 shown]
.LBB80_669:
	s_or_b64 exec, exec, s[0:1]
	v_cmp_lt_i32_e32 vcc, 31, v177
	s_waitcnt lgkmcnt(0)
	s_barrier
	s_and_saveexec_b64 s[0:1], vcc
	s_cbranch_execz .LBB80_671
; %bb.670:
	ds_read2_b64 v[180:183], v176 offset0:64 offset1:65
	v_mul_f64 v[174:175], v[164:165], v[34:35]
	v_fmac_f64_e32 v[174:175], v[166:167], v[32:33]
	v_mul_f64 v[34:35], v[166:167], v[34:35]
	v_fma_f64 v[32:33], v[164:165], v[32:33], -v[34:35]
	ds_read2_b64 v[164:167], v176 offset0:66 offset1:67
	s_waitcnt lgkmcnt(1)
	v_mul_f64 v[34:35], v[182:183], v[174:175]
	v_fma_f64 v[34:35], v[180:181], v[32:33], -v[34:35]
	v_mul_f64 v[180:181], v[180:181], v[174:175]
	v_fmac_f64_e32 v[180:181], v[182:183], v[32:33]
	s_waitcnt vmcnt(8)
	v_add_f64 v[30:31], v[30:31], -v[180:181]
	ds_read2_b64 v[180:183], v176 offset0:68 offset1:69
	v_add_f64 v[28:29], v[28:29], -v[34:35]
	s_waitcnt lgkmcnt(1)
	v_mul_f64 v[34:35], v[166:167], v[174:175]
	v_fma_f64 v[34:35], v[164:165], v[32:33], -v[34:35]
	v_mul_f64 v[164:165], v[164:165], v[174:175]
	v_fmac_f64_e32 v[164:165], v[166:167], v[32:33]
	s_waitcnt vmcnt(7)
	v_add_f64 v[24:25], v[24:25], -v[34:35]
	v_add_f64 v[26:27], v[26:27], -v[164:165]
	ds_read2_b64 v[164:167], v176 offset0:70 offset1:71
	s_waitcnt lgkmcnt(1)
	v_mul_f64 v[34:35], v[182:183], v[174:175]
	v_fma_f64 v[34:35], v[180:181], v[32:33], -v[34:35]
	v_mul_f64 v[180:181], v[180:181], v[174:175]
	v_fmac_f64_e32 v[180:181], v[182:183], v[32:33]
	s_waitcnt vmcnt(6)
	v_add_f64 v[22:23], v[22:23], -v[180:181]
	ds_read2_b64 v[180:183], v176 offset0:72 offset1:73
	v_add_f64 v[20:21], v[20:21], -v[34:35]
	s_waitcnt lgkmcnt(1)
	v_mul_f64 v[34:35], v[166:167], v[174:175]
	v_fma_f64 v[34:35], v[164:165], v[32:33], -v[34:35]
	v_mul_f64 v[164:165], v[164:165], v[174:175]
	v_fmac_f64_e32 v[164:165], v[166:167], v[32:33]
	s_waitcnt vmcnt(5)
	v_add_f64 v[16:17], v[16:17], -v[34:35]
	v_add_f64 v[18:19], v[18:19], -v[164:165]
	;; [unrolled: 18-line block ×4, first 2 shown]
	s_waitcnt lgkmcnt(0)
	v_mul_f64 v[34:35], v[182:183], v[174:175]
	v_mul_f64 v[164:165], v[180:181], v[174:175]
	v_fma_f64 v[34:35], v[180:181], v[32:33], -v[34:35]
	v_fmac_f64_e32 v[164:165], v[182:183], v[32:33]
	s_waitcnt vmcnt(0)
	v_add_f64 v[160:161], v[160:161], -v[34:35]
	v_add_f64 v[162:163], v[162:163], -v[164:165]
	v_mov_b64_e32 v[34:35], v[174:175]
.LBB80_671:
	s_or_b64 exec, exec, s[0:1]
	v_lshl_add_u32 v164, v177, 4, v176
	s_barrier
	s_waitcnt vmcnt(8)
	ds_write2_b64 v164, v[28:29], v[30:31] offset1:1
	s_waitcnt lgkmcnt(0)
	s_barrier
	ds_read2_b64 v[164:167], v176 offset0:64 offset1:65
	s_cmp_lt_i32 s20, 34
	v_mov_b32_e32 v174, 32
	s_cbranch_scc1 .LBB80_674
; %bb.672:
	v_add_u32_e32 v175, 0x210, v176
	s_mov_b32 s16, 33
	v_mov_b32_e32 v174, 32
.LBB80_673:                             ; =>This Inner Loop Header: Depth=1
	ds_read2_b64 v[180:183], v175 offset1:1
	s_waitcnt lgkmcnt(1)
	v_xor_b32_e32 v185, 0x80000000, v165
	v_xor_b32_e32 v187, 0x80000000, v167
	v_cmp_gt_f64_e32 vcc, 0, v[166:167]
	v_cmp_gt_f64_e64 s[0:1], 0, v[164:165]
	v_mov_b32_e32 v184, v164
	v_mov_b32_e32 v186, v166
	v_cndmask_b32_e64 v185, v165, v185, s[0:1]
	v_cndmask_b32_e32 v187, v167, v187, vcc
	v_add_f64 v[184:185], v[184:185], v[186:187]
	s_waitcnt lgkmcnt(0)
	v_xor_b32_e32 v187, 0x80000000, v181
	v_xor_b32_e32 v189, 0x80000000, v183
	v_cmp_gt_f64_e32 vcc, 0, v[182:183]
	v_cmp_gt_f64_e64 s[0:1], 0, v[180:181]
	v_mov_b32_e32 v186, v180
	v_mov_b32_e32 v188, v182
	v_cndmask_b32_e64 v187, v181, v187, s[0:1]
	v_cndmask_b32_e32 v189, v183, v189, vcc
	v_add_f64 v[186:187], v[186:187], v[188:189]
	v_mov_b32_e32 v190, s16
	s_add_i32 s16, s16, 1
	v_cmp_lt_f64_e32 vcc, v[184:185], v[186:187]
	v_add_u32_e32 v175, 16, v175
	s_cmp_lg_u32 s20, s16
	v_cndmask_b32_e32 v165, v165, v181, vcc
	v_cndmask_b32_e32 v164, v164, v180, vcc
	;; [unrolled: 1-line block ×5, first 2 shown]
	s_cbranch_scc1 .LBB80_673
.LBB80_674:
	s_waitcnt lgkmcnt(0)
	v_cmp_eq_f64_e32 vcc, 0, v[164:165]
	v_cmp_eq_f64_e64 s[0:1], 0, v[166:167]
	s_and_b64 s[0:1], vcc, s[0:1]
	s_and_saveexec_b64 s[16:17], s[0:1]
	s_xor_b64 s[0:1], exec, s[16:17]
; %bb.675:
	v_cmp_ne_u32_e32 vcc, 0, v178
	s_nop 1
	v_cndmask_b32_e32 v178, 33, v178, vcc
; %bb.676:
	s_andn2_saveexec_b64 s[0:1], s[0:1]
	s_cbranch_execz .LBB80_682
; %bb.677:
	v_cmp_ngt_f64_e64 s[16:17], |v[164:165]|, |v[166:167]|
	s_and_saveexec_b64 s[18:19], s[16:17]
	s_xor_b64 s[16:17], exec, s[18:19]
	s_cbranch_execz .LBB80_679
; %bb.678:
	v_div_scale_f64 v[180:181], s[18:19], v[166:167], v[166:167], v[164:165]
	v_rcp_f64_e32 v[182:183], v[180:181]
	v_div_scale_f64 v[184:185], vcc, v[164:165], v[166:167], v[164:165]
	v_fma_f64 v[186:187], -v[180:181], v[182:183], 1.0
	v_fmac_f64_e32 v[182:183], v[182:183], v[186:187]
	v_fma_f64 v[186:187], -v[180:181], v[182:183], 1.0
	v_fmac_f64_e32 v[182:183], v[182:183], v[186:187]
	v_mul_f64 v[186:187], v[184:185], v[182:183]
	v_fma_f64 v[180:181], -v[180:181], v[186:187], v[184:185]
	v_div_fmas_f64 v[180:181], v[180:181], v[182:183], v[186:187]
	v_div_fixup_f64 v[180:181], v[180:181], v[166:167], v[164:165]
	v_fmac_f64_e32 v[166:167], v[164:165], v[180:181]
	v_div_scale_f64 v[164:165], s[18:19], v[166:167], v[166:167], 1.0
	v_rcp_f64_e32 v[182:183], v[164:165]
	s_nop 0
	v_fma_f64 v[184:185], -v[164:165], v[182:183], 1.0
	v_fmac_f64_e32 v[182:183], v[182:183], v[184:185]
	v_fma_f64 v[184:185], -v[164:165], v[182:183], 1.0
	v_fmac_f64_e32 v[182:183], v[182:183], v[184:185]
	v_div_scale_f64 v[184:185], vcc, 1.0, v[166:167], 1.0
	v_mul_f64 v[186:187], v[184:185], v[182:183]
	v_fma_f64 v[164:165], -v[164:165], v[186:187], v[184:185]
	s_nop 1
	v_div_fmas_f64 v[164:165], v[164:165], v[182:183], v[186:187]
	v_div_fixup_f64 v[166:167], v[164:165], v[166:167], 1.0
	v_mul_f64 v[164:165], v[180:181], v[166:167]
	v_xor_b32_e32 v167, 0x80000000, v167
.LBB80_679:
	s_andn2_saveexec_b64 s[16:17], s[16:17]
	s_cbranch_execz .LBB80_681
; %bb.680:
	v_div_scale_f64 v[180:181], s[18:19], v[164:165], v[164:165], v[166:167]
	v_rcp_f64_e32 v[182:183], v[180:181]
	v_div_scale_f64 v[184:185], vcc, v[166:167], v[164:165], v[166:167]
	v_fma_f64 v[186:187], -v[180:181], v[182:183], 1.0
	v_fmac_f64_e32 v[182:183], v[182:183], v[186:187]
	v_fma_f64 v[186:187], -v[180:181], v[182:183], 1.0
	v_fmac_f64_e32 v[182:183], v[182:183], v[186:187]
	v_mul_f64 v[186:187], v[184:185], v[182:183]
	v_fma_f64 v[180:181], -v[180:181], v[186:187], v[184:185]
	v_div_fmas_f64 v[180:181], v[180:181], v[182:183], v[186:187]
	v_div_fixup_f64 v[180:181], v[180:181], v[164:165], v[166:167]
	v_fmac_f64_e32 v[164:165], v[166:167], v[180:181]
	v_div_scale_f64 v[166:167], s[18:19], v[164:165], v[164:165], 1.0
	v_rcp_f64_e32 v[182:183], v[166:167]
	s_nop 0
	v_fma_f64 v[184:185], -v[166:167], v[182:183], 1.0
	v_fmac_f64_e32 v[182:183], v[182:183], v[184:185]
	v_fma_f64 v[184:185], -v[166:167], v[182:183], 1.0
	v_fmac_f64_e32 v[182:183], v[182:183], v[184:185]
	v_div_scale_f64 v[184:185], vcc, 1.0, v[164:165], 1.0
	v_mul_f64 v[186:187], v[184:185], v[182:183]
	v_fma_f64 v[166:167], -v[166:167], v[186:187], v[184:185]
	s_nop 1
	v_div_fmas_f64 v[166:167], v[166:167], v[182:183], v[186:187]
	v_div_fixup_f64 v[164:165], v[166:167], v[164:165], 1.0
	v_mul_f64 v[166:167], v[180:181], -v[164:165]
.LBB80_681:
	s_or_b64 exec, exec, s[16:17]
.LBB80_682:
	s_or_b64 exec, exec, s[0:1]
	v_cmp_ne_u32_e32 vcc, v177, v174
	s_and_saveexec_b64 s[0:1], vcc
	s_xor_b64 s[0:1], exec, s[0:1]
	s_cbranch_execz .LBB80_688
; %bb.683:
	v_cmp_eq_u32_e32 vcc, 32, v177
	s_and_saveexec_b64 s[16:17], vcc
	s_cbranch_execz .LBB80_687
; %bb.684:
	v_cmp_ne_u32_e32 vcc, 32, v174
	s_xor_b64 s[18:19], s[14:15], -1
	s_and_b64 s[22:23], s[18:19], vcc
	s_and_saveexec_b64 s[18:19], s[22:23]
	s_cbranch_execz .LBB80_686
; %bb.685:
	v_ashrrev_i32_e32 v175, 31, v174
	v_lshl_add_u64 v[180:181], v[174:175], 2, v[172:173]
	global_load_dword v175, v[180:181], off
	global_load_dword v177, v[172:173], off offset:128
	s_waitcnt vmcnt(1)
	global_store_dword v[172:173], v175, off offset:128
	s_waitcnt vmcnt(1)
	global_store_dword v[180:181], v177, off
.LBB80_686:
	s_or_b64 exec, exec, s[18:19]
	v_mov_b32_e32 v177, v174
	v_mov_b32_e32 v179, v174
.LBB80_687:
	s_or_b64 exec, exec, s[16:17]
.LBB80_688:
	s_andn2_saveexec_b64 s[0:1], s[0:1]
	s_cbranch_execz .LBB80_690
; %bb.689:
	v_mov_b32_e32 v177, 32
	s_waitcnt vmcnt(7)
	ds_write2_b64 v176, v[24:25], v[26:27] offset0:66 offset1:67
	s_waitcnt vmcnt(6)
	ds_write2_b64 v176, v[20:21], v[22:23] offset0:68 offset1:69
	;; [unrolled: 2-line block ×8, first 2 shown]
.LBB80_690:
	s_or_b64 exec, exec, s[0:1]
	v_cmp_lt_i32_e32 vcc, 32, v177
	s_waitcnt lgkmcnt(0)
	s_barrier
	s_and_saveexec_b64 s[0:1], vcc
	s_cbranch_execz .LBB80_692
; %bb.691:
	ds_read2_b64 v[180:183], v176 offset0:66 offset1:67
	v_mul_f64 v[174:175], v[164:165], v[30:31]
	v_mul_f64 v[30:31], v[166:167], v[30:31]
	v_fmac_f64_e32 v[174:175], v[166:167], v[28:29]
	v_fma_f64 v[28:29], v[164:165], v[28:29], -v[30:31]
	ds_read2_b64 v[164:167], v176 offset0:68 offset1:69
	s_waitcnt lgkmcnt(1)
	v_mul_f64 v[30:31], v[182:183], v[174:175]
	v_fma_f64 v[30:31], v[180:181], v[28:29], -v[30:31]
	v_mul_f64 v[180:181], v[180:181], v[174:175]
	v_fmac_f64_e32 v[180:181], v[182:183], v[28:29]
	s_waitcnt vmcnt(7)
	v_add_f64 v[24:25], v[24:25], -v[30:31]
	s_waitcnt lgkmcnt(0)
	v_mul_f64 v[30:31], v[166:167], v[174:175]
	v_add_f64 v[26:27], v[26:27], -v[180:181]
	v_fma_f64 v[30:31], v[164:165], v[28:29], -v[30:31]
	v_mul_f64 v[164:165], v[164:165], v[174:175]
	ds_read2_b64 v[180:183], v176 offset0:70 offset1:71
	v_fmac_f64_e32 v[164:165], v[166:167], v[28:29]
	s_waitcnt vmcnt(6)
	v_add_f64 v[22:23], v[22:23], -v[164:165]
	ds_read2_b64 v[164:167], v176 offset0:72 offset1:73
	v_add_f64 v[20:21], v[20:21], -v[30:31]
	s_waitcnt lgkmcnt(1)
	v_mul_f64 v[30:31], v[182:183], v[174:175]
	v_fma_f64 v[30:31], v[180:181], v[28:29], -v[30:31]
	v_mul_f64 v[180:181], v[180:181], v[174:175]
	v_fmac_f64_e32 v[180:181], v[182:183], v[28:29]
	s_waitcnt vmcnt(5)
	v_add_f64 v[16:17], v[16:17], -v[30:31]
	s_waitcnt lgkmcnt(0)
	v_mul_f64 v[30:31], v[166:167], v[174:175]
	v_add_f64 v[18:19], v[18:19], -v[180:181]
	v_fma_f64 v[30:31], v[164:165], v[28:29], -v[30:31]
	v_mul_f64 v[164:165], v[164:165], v[174:175]
	ds_read2_b64 v[180:183], v176 offset0:74 offset1:75
	v_fmac_f64_e32 v[164:165], v[166:167], v[28:29]
	s_waitcnt vmcnt(4)
	v_add_f64 v[14:15], v[14:15], -v[164:165]
	ds_read2_b64 v[164:167], v176 offset0:76 offset1:77
	v_add_f64 v[12:13], v[12:13], -v[30:31]
	;; [unrolled: 18-line block ×3, first 2 shown]
	s_waitcnt lgkmcnt(1)
	v_mul_f64 v[30:31], v[182:183], v[174:175]
	v_fma_f64 v[30:31], v[180:181], v[28:29], -v[30:31]
	s_waitcnt vmcnt(1)
	v_add_f64 v[0:1], v[0:1], -v[30:31]
	s_waitcnt lgkmcnt(0)
	v_mul_f64 v[30:31], v[166:167], v[174:175]
	v_mul_f64 v[180:181], v[180:181], v[174:175]
	v_fma_f64 v[30:31], v[164:165], v[28:29], -v[30:31]
	v_mul_f64 v[164:165], v[164:165], v[174:175]
	v_fmac_f64_e32 v[180:181], v[182:183], v[28:29]
	v_fmac_f64_e32 v[164:165], v[166:167], v[28:29]
	v_add_f64 v[2:3], v[2:3], -v[180:181]
	s_waitcnt vmcnt(0)
	v_add_f64 v[160:161], v[160:161], -v[30:31]
	v_add_f64 v[162:163], v[162:163], -v[164:165]
	v_mov_b64_e32 v[30:31], v[174:175]
.LBB80_692:
	s_or_b64 exec, exec, s[0:1]
	v_lshl_add_u32 v164, v177, 4, v176
	s_barrier
	s_waitcnt vmcnt(7)
	ds_write2_b64 v164, v[24:25], v[26:27] offset1:1
	s_waitcnt lgkmcnt(0)
	s_barrier
	ds_read2_b64 v[164:167], v176 offset0:66 offset1:67
	s_cmp_lt_i32 s20, 35
	v_mov_b32_e32 v174, 33
	s_cbranch_scc1 .LBB80_695
; %bb.693:
	v_add_u32_e32 v175, 0x220, v176
	s_mov_b32 s16, 34
	v_mov_b32_e32 v174, 33
.LBB80_694:                             ; =>This Inner Loop Header: Depth=1
	ds_read2_b64 v[180:183], v175 offset1:1
	s_waitcnt lgkmcnt(1)
	v_xor_b32_e32 v185, 0x80000000, v165
	v_xor_b32_e32 v187, 0x80000000, v167
	v_cmp_gt_f64_e32 vcc, 0, v[166:167]
	v_cmp_gt_f64_e64 s[0:1], 0, v[164:165]
	v_mov_b32_e32 v184, v164
	v_mov_b32_e32 v186, v166
	v_cndmask_b32_e64 v185, v165, v185, s[0:1]
	v_cndmask_b32_e32 v187, v167, v187, vcc
	v_add_f64 v[184:185], v[184:185], v[186:187]
	s_waitcnt lgkmcnt(0)
	v_xor_b32_e32 v187, 0x80000000, v181
	v_xor_b32_e32 v189, 0x80000000, v183
	v_cmp_gt_f64_e32 vcc, 0, v[182:183]
	v_cmp_gt_f64_e64 s[0:1], 0, v[180:181]
	v_mov_b32_e32 v186, v180
	v_mov_b32_e32 v188, v182
	v_cndmask_b32_e64 v187, v181, v187, s[0:1]
	v_cndmask_b32_e32 v189, v183, v189, vcc
	v_add_f64 v[186:187], v[186:187], v[188:189]
	v_mov_b32_e32 v190, s16
	s_add_i32 s16, s16, 1
	v_cmp_lt_f64_e32 vcc, v[184:185], v[186:187]
	v_add_u32_e32 v175, 16, v175
	s_cmp_lg_u32 s20, s16
	v_cndmask_b32_e32 v165, v165, v181, vcc
	v_cndmask_b32_e32 v164, v164, v180, vcc
	;; [unrolled: 1-line block ×5, first 2 shown]
	s_cbranch_scc1 .LBB80_694
.LBB80_695:
	s_waitcnt lgkmcnt(0)
	v_cmp_eq_f64_e32 vcc, 0, v[164:165]
	v_cmp_eq_f64_e64 s[0:1], 0, v[166:167]
	s_and_b64 s[0:1], vcc, s[0:1]
	s_and_saveexec_b64 s[16:17], s[0:1]
	s_xor_b64 s[0:1], exec, s[16:17]
; %bb.696:
	v_cmp_ne_u32_e32 vcc, 0, v178
	s_nop 1
	v_cndmask_b32_e32 v178, 34, v178, vcc
; %bb.697:
	s_andn2_saveexec_b64 s[0:1], s[0:1]
	s_cbranch_execz .LBB80_703
; %bb.698:
	v_cmp_ngt_f64_e64 s[16:17], |v[164:165]|, |v[166:167]|
	s_and_saveexec_b64 s[18:19], s[16:17]
	s_xor_b64 s[16:17], exec, s[18:19]
	s_cbranch_execz .LBB80_700
; %bb.699:
	v_div_scale_f64 v[180:181], s[18:19], v[166:167], v[166:167], v[164:165]
	v_rcp_f64_e32 v[182:183], v[180:181]
	v_div_scale_f64 v[184:185], vcc, v[164:165], v[166:167], v[164:165]
	v_fma_f64 v[186:187], -v[180:181], v[182:183], 1.0
	v_fmac_f64_e32 v[182:183], v[182:183], v[186:187]
	v_fma_f64 v[186:187], -v[180:181], v[182:183], 1.0
	v_fmac_f64_e32 v[182:183], v[182:183], v[186:187]
	v_mul_f64 v[186:187], v[184:185], v[182:183]
	v_fma_f64 v[180:181], -v[180:181], v[186:187], v[184:185]
	v_div_fmas_f64 v[180:181], v[180:181], v[182:183], v[186:187]
	v_div_fixup_f64 v[180:181], v[180:181], v[166:167], v[164:165]
	v_fmac_f64_e32 v[166:167], v[164:165], v[180:181]
	v_div_scale_f64 v[164:165], s[18:19], v[166:167], v[166:167], 1.0
	v_rcp_f64_e32 v[182:183], v[164:165]
	s_nop 0
	v_fma_f64 v[184:185], -v[164:165], v[182:183], 1.0
	v_fmac_f64_e32 v[182:183], v[182:183], v[184:185]
	v_fma_f64 v[184:185], -v[164:165], v[182:183], 1.0
	v_fmac_f64_e32 v[182:183], v[182:183], v[184:185]
	v_div_scale_f64 v[184:185], vcc, 1.0, v[166:167], 1.0
	v_mul_f64 v[186:187], v[184:185], v[182:183]
	v_fma_f64 v[164:165], -v[164:165], v[186:187], v[184:185]
	s_nop 1
	v_div_fmas_f64 v[164:165], v[164:165], v[182:183], v[186:187]
	v_div_fixup_f64 v[166:167], v[164:165], v[166:167], 1.0
	v_mul_f64 v[164:165], v[180:181], v[166:167]
	v_xor_b32_e32 v167, 0x80000000, v167
.LBB80_700:
	s_andn2_saveexec_b64 s[16:17], s[16:17]
	s_cbranch_execz .LBB80_702
; %bb.701:
	v_div_scale_f64 v[180:181], s[18:19], v[164:165], v[164:165], v[166:167]
	v_rcp_f64_e32 v[182:183], v[180:181]
	v_div_scale_f64 v[184:185], vcc, v[166:167], v[164:165], v[166:167]
	v_fma_f64 v[186:187], -v[180:181], v[182:183], 1.0
	v_fmac_f64_e32 v[182:183], v[182:183], v[186:187]
	v_fma_f64 v[186:187], -v[180:181], v[182:183], 1.0
	v_fmac_f64_e32 v[182:183], v[182:183], v[186:187]
	v_mul_f64 v[186:187], v[184:185], v[182:183]
	v_fma_f64 v[180:181], -v[180:181], v[186:187], v[184:185]
	v_div_fmas_f64 v[180:181], v[180:181], v[182:183], v[186:187]
	v_div_fixup_f64 v[180:181], v[180:181], v[164:165], v[166:167]
	v_fmac_f64_e32 v[164:165], v[166:167], v[180:181]
	v_div_scale_f64 v[166:167], s[18:19], v[164:165], v[164:165], 1.0
	v_rcp_f64_e32 v[182:183], v[166:167]
	s_nop 0
	v_fma_f64 v[184:185], -v[166:167], v[182:183], 1.0
	v_fmac_f64_e32 v[182:183], v[182:183], v[184:185]
	v_fma_f64 v[184:185], -v[166:167], v[182:183], 1.0
	v_fmac_f64_e32 v[182:183], v[182:183], v[184:185]
	v_div_scale_f64 v[184:185], vcc, 1.0, v[164:165], 1.0
	v_mul_f64 v[186:187], v[184:185], v[182:183]
	v_fma_f64 v[166:167], -v[166:167], v[186:187], v[184:185]
	s_nop 1
	v_div_fmas_f64 v[166:167], v[166:167], v[182:183], v[186:187]
	v_div_fixup_f64 v[164:165], v[166:167], v[164:165], 1.0
	v_mul_f64 v[166:167], v[180:181], -v[164:165]
.LBB80_702:
	s_or_b64 exec, exec, s[16:17]
.LBB80_703:
	s_or_b64 exec, exec, s[0:1]
	v_cmp_ne_u32_e32 vcc, v177, v174
	s_and_saveexec_b64 s[0:1], vcc
	s_xor_b64 s[0:1], exec, s[0:1]
	s_cbranch_execz .LBB80_709
; %bb.704:
	v_cmp_eq_u32_e32 vcc, 33, v177
	s_and_saveexec_b64 s[16:17], vcc
	s_cbranch_execz .LBB80_708
; %bb.705:
	v_cmp_ne_u32_e32 vcc, 33, v174
	s_xor_b64 s[18:19], s[14:15], -1
	s_and_b64 s[22:23], s[18:19], vcc
	s_and_saveexec_b64 s[18:19], s[22:23]
	s_cbranch_execz .LBB80_707
; %bb.706:
	v_ashrrev_i32_e32 v175, 31, v174
	v_lshl_add_u64 v[180:181], v[174:175], 2, v[172:173]
	global_load_dword v175, v[180:181], off
	global_load_dword v177, v[172:173], off offset:132
	s_waitcnt vmcnt(1)
	global_store_dword v[172:173], v175, off offset:132
	s_waitcnt vmcnt(1)
	global_store_dword v[180:181], v177, off
.LBB80_707:
	s_or_b64 exec, exec, s[18:19]
	v_mov_b32_e32 v177, v174
	v_mov_b32_e32 v179, v174
.LBB80_708:
	s_or_b64 exec, exec, s[16:17]
.LBB80_709:
	s_andn2_saveexec_b64 s[0:1], s[0:1]
	s_cbranch_execz .LBB80_711
; %bb.710:
	v_mov_b32_e32 v177, 33
	s_waitcnt vmcnt(6)
	ds_write2_b64 v176, v[20:21], v[22:23] offset0:68 offset1:69
	s_waitcnt vmcnt(5)
	ds_write2_b64 v176, v[16:17], v[18:19] offset0:70 offset1:71
	;; [unrolled: 2-line block ×7, first 2 shown]
.LBB80_711:
	s_or_b64 exec, exec, s[0:1]
	v_cmp_lt_i32_e32 vcc, 33, v177
	s_waitcnt lgkmcnt(0)
	s_barrier
	s_and_saveexec_b64 s[0:1], vcc
	s_cbranch_execz .LBB80_713
; %bb.712:
	ds_read2_b64 v[180:183], v176 offset0:68 offset1:69
	v_mul_f64 v[174:175], v[164:165], v[26:27]
	v_fmac_f64_e32 v[174:175], v[166:167], v[24:25]
	v_mul_f64 v[26:27], v[166:167], v[26:27]
	v_fma_f64 v[24:25], v[164:165], v[24:25], -v[26:27]
	ds_read2_b64 v[164:167], v176 offset0:70 offset1:71
	s_waitcnt lgkmcnt(1)
	v_mul_f64 v[26:27], v[182:183], v[174:175]
	v_fma_f64 v[26:27], v[180:181], v[24:25], -v[26:27]
	v_mul_f64 v[180:181], v[180:181], v[174:175]
	v_fmac_f64_e32 v[180:181], v[182:183], v[24:25]
	s_waitcnt vmcnt(6)
	v_add_f64 v[22:23], v[22:23], -v[180:181]
	ds_read2_b64 v[180:183], v176 offset0:72 offset1:73
	v_add_f64 v[20:21], v[20:21], -v[26:27]
	s_waitcnt lgkmcnt(1)
	v_mul_f64 v[26:27], v[166:167], v[174:175]
	v_fma_f64 v[26:27], v[164:165], v[24:25], -v[26:27]
	v_mul_f64 v[164:165], v[164:165], v[174:175]
	v_fmac_f64_e32 v[164:165], v[166:167], v[24:25]
	s_waitcnt vmcnt(5)
	v_add_f64 v[16:17], v[16:17], -v[26:27]
	v_add_f64 v[18:19], v[18:19], -v[164:165]
	ds_read2_b64 v[164:167], v176 offset0:74 offset1:75
	s_waitcnt lgkmcnt(1)
	v_mul_f64 v[26:27], v[182:183], v[174:175]
	v_fma_f64 v[26:27], v[180:181], v[24:25], -v[26:27]
	v_mul_f64 v[180:181], v[180:181], v[174:175]
	v_fmac_f64_e32 v[180:181], v[182:183], v[24:25]
	s_waitcnt vmcnt(4)
	v_add_f64 v[14:15], v[14:15], -v[180:181]
	ds_read2_b64 v[180:183], v176 offset0:76 offset1:77
	v_add_f64 v[12:13], v[12:13], -v[26:27]
	s_waitcnt lgkmcnt(1)
	v_mul_f64 v[26:27], v[166:167], v[174:175]
	v_fma_f64 v[26:27], v[164:165], v[24:25], -v[26:27]
	v_mul_f64 v[164:165], v[164:165], v[174:175]
	v_fmac_f64_e32 v[164:165], v[166:167], v[24:25]
	s_waitcnt vmcnt(3)
	v_add_f64 v[8:9], v[8:9], -v[26:27]
	v_add_f64 v[10:11], v[10:11], -v[164:165]
	ds_read2_b64 v[164:167], v176 offset0:78 offset1:79
	s_waitcnt lgkmcnt(1)
	v_mul_f64 v[26:27], v[182:183], v[174:175]
	v_fma_f64 v[26:27], v[180:181], v[24:25], -v[26:27]
	v_mul_f64 v[180:181], v[180:181], v[174:175]
	v_fmac_f64_e32 v[180:181], v[182:183], v[24:25]
	s_waitcnt vmcnt(2)
	v_add_f64 v[6:7], v[6:7], -v[180:181]
	ds_read2_b64 v[180:183], v176 offset0:80 offset1:81
	v_add_f64 v[4:5], v[4:5], -v[26:27]
	s_waitcnt lgkmcnt(1)
	v_mul_f64 v[26:27], v[166:167], v[174:175]
	v_fma_f64 v[26:27], v[164:165], v[24:25], -v[26:27]
	v_mul_f64 v[164:165], v[164:165], v[174:175]
	v_fmac_f64_e32 v[164:165], v[166:167], v[24:25]
	s_waitcnt vmcnt(1)
	v_add_f64 v[0:1], v[0:1], -v[26:27]
	v_add_f64 v[2:3], v[2:3], -v[164:165]
	s_waitcnt lgkmcnt(0)
	v_mul_f64 v[26:27], v[182:183], v[174:175]
	v_mul_f64 v[164:165], v[180:181], v[174:175]
	v_fma_f64 v[26:27], v[180:181], v[24:25], -v[26:27]
	v_fmac_f64_e32 v[164:165], v[182:183], v[24:25]
	s_waitcnt vmcnt(0)
	v_add_f64 v[160:161], v[160:161], -v[26:27]
	v_add_f64 v[162:163], v[162:163], -v[164:165]
	v_mov_b64_e32 v[26:27], v[174:175]
.LBB80_713:
	s_or_b64 exec, exec, s[0:1]
	v_lshl_add_u32 v164, v177, 4, v176
	s_barrier
	s_waitcnt vmcnt(6)
	ds_write2_b64 v164, v[20:21], v[22:23] offset1:1
	s_waitcnt lgkmcnt(0)
	s_barrier
	ds_read2_b64 v[164:167], v176 offset0:68 offset1:69
	s_cmp_lt_i32 s20, 36
	v_mov_b32_e32 v174, 34
	s_cbranch_scc1 .LBB80_716
; %bb.714:
	v_add_u32_e32 v175, 0x230, v176
	s_mov_b32 s16, 35
	v_mov_b32_e32 v174, 34
.LBB80_715:                             ; =>This Inner Loop Header: Depth=1
	ds_read2_b64 v[180:183], v175 offset1:1
	s_waitcnt lgkmcnt(1)
	v_xor_b32_e32 v185, 0x80000000, v165
	v_xor_b32_e32 v187, 0x80000000, v167
	v_cmp_gt_f64_e32 vcc, 0, v[166:167]
	v_cmp_gt_f64_e64 s[0:1], 0, v[164:165]
	v_mov_b32_e32 v184, v164
	v_mov_b32_e32 v186, v166
	v_cndmask_b32_e64 v185, v165, v185, s[0:1]
	v_cndmask_b32_e32 v187, v167, v187, vcc
	v_add_f64 v[184:185], v[184:185], v[186:187]
	s_waitcnt lgkmcnt(0)
	v_xor_b32_e32 v187, 0x80000000, v181
	v_xor_b32_e32 v189, 0x80000000, v183
	v_cmp_gt_f64_e32 vcc, 0, v[182:183]
	v_cmp_gt_f64_e64 s[0:1], 0, v[180:181]
	v_mov_b32_e32 v186, v180
	v_mov_b32_e32 v188, v182
	v_cndmask_b32_e64 v187, v181, v187, s[0:1]
	v_cndmask_b32_e32 v189, v183, v189, vcc
	v_add_f64 v[186:187], v[186:187], v[188:189]
	v_mov_b32_e32 v190, s16
	s_add_i32 s16, s16, 1
	v_cmp_lt_f64_e32 vcc, v[184:185], v[186:187]
	v_add_u32_e32 v175, 16, v175
	s_cmp_lg_u32 s20, s16
	v_cndmask_b32_e32 v165, v165, v181, vcc
	v_cndmask_b32_e32 v164, v164, v180, vcc
	;; [unrolled: 1-line block ×5, first 2 shown]
	s_cbranch_scc1 .LBB80_715
.LBB80_716:
	s_waitcnt lgkmcnt(0)
	v_cmp_eq_f64_e32 vcc, 0, v[164:165]
	v_cmp_eq_f64_e64 s[0:1], 0, v[166:167]
	s_and_b64 s[0:1], vcc, s[0:1]
	s_and_saveexec_b64 s[16:17], s[0:1]
	s_xor_b64 s[0:1], exec, s[16:17]
; %bb.717:
	v_cmp_ne_u32_e32 vcc, 0, v178
	s_nop 1
	v_cndmask_b32_e32 v178, 35, v178, vcc
; %bb.718:
	s_andn2_saveexec_b64 s[0:1], s[0:1]
	s_cbranch_execz .LBB80_724
; %bb.719:
	v_cmp_ngt_f64_e64 s[16:17], |v[164:165]|, |v[166:167]|
	s_and_saveexec_b64 s[18:19], s[16:17]
	s_xor_b64 s[16:17], exec, s[18:19]
	s_cbranch_execz .LBB80_721
; %bb.720:
	v_div_scale_f64 v[180:181], s[18:19], v[166:167], v[166:167], v[164:165]
	v_rcp_f64_e32 v[182:183], v[180:181]
	v_div_scale_f64 v[184:185], vcc, v[164:165], v[166:167], v[164:165]
	v_fma_f64 v[186:187], -v[180:181], v[182:183], 1.0
	v_fmac_f64_e32 v[182:183], v[182:183], v[186:187]
	v_fma_f64 v[186:187], -v[180:181], v[182:183], 1.0
	v_fmac_f64_e32 v[182:183], v[182:183], v[186:187]
	v_mul_f64 v[186:187], v[184:185], v[182:183]
	v_fma_f64 v[180:181], -v[180:181], v[186:187], v[184:185]
	v_div_fmas_f64 v[180:181], v[180:181], v[182:183], v[186:187]
	v_div_fixup_f64 v[180:181], v[180:181], v[166:167], v[164:165]
	v_fmac_f64_e32 v[166:167], v[164:165], v[180:181]
	v_div_scale_f64 v[164:165], s[18:19], v[166:167], v[166:167], 1.0
	v_rcp_f64_e32 v[182:183], v[164:165]
	s_nop 0
	v_fma_f64 v[184:185], -v[164:165], v[182:183], 1.0
	v_fmac_f64_e32 v[182:183], v[182:183], v[184:185]
	v_fma_f64 v[184:185], -v[164:165], v[182:183], 1.0
	v_fmac_f64_e32 v[182:183], v[182:183], v[184:185]
	v_div_scale_f64 v[184:185], vcc, 1.0, v[166:167], 1.0
	v_mul_f64 v[186:187], v[184:185], v[182:183]
	v_fma_f64 v[164:165], -v[164:165], v[186:187], v[184:185]
	s_nop 1
	v_div_fmas_f64 v[164:165], v[164:165], v[182:183], v[186:187]
	v_div_fixup_f64 v[166:167], v[164:165], v[166:167], 1.0
	v_mul_f64 v[164:165], v[180:181], v[166:167]
	v_xor_b32_e32 v167, 0x80000000, v167
.LBB80_721:
	s_andn2_saveexec_b64 s[16:17], s[16:17]
	s_cbranch_execz .LBB80_723
; %bb.722:
	v_div_scale_f64 v[180:181], s[18:19], v[164:165], v[164:165], v[166:167]
	v_rcp_f64_e32 v[182:183], v[180:181]
	v_div_scale_f64 v[184:185], vcc, v[166:167], v[164:165], v[166:167]
	v_fma_f64 v[186:187], -v[180:181], v[182:183], 1.0
	v_fmac_f64_e32 v[182:183], v[182:183], v[186:187]
	v_fma_f64 v[186:187], -v[180:181], v[182:183], 1.0
	v_fmac_f64_e32 v[182:183], v[182:183], v[186:187]
	v_mul_f64 v[186:187], v[184:185], v[182:183]
	v_fma_f64 v[180:181], -v[180:181], v[186:187], v[184:185]
	v_div_fmas_f64 v[180:181], v[180:181], v[182:183], v[186:187]
	v_div_fixup_f64 v[180:181], v[180:181], v[164:165], v[166:167]
	v_fmac_f64_e32 v[164:165], v[166:167], v[180:181]
	v_div_scale_f64 v[166:167], s[18:19], v[164:165], v[164:165], 1.0
	v_rcp_f64_e32 v[182:183], v[166:167]
	s_nop 0
	v_fma_f64 v[184:185], -v[166:167], v[182:183], 1.0
	v_fmac_f64_e32 v[182:183], v[182:183], v[184:185]
	v_fma_f64 v[184:185], -v[166:167], v[182:183], 1.0
	v_fmac_f64_e32 v[182:183], v[182:183], v[184:185]
	v_div_scale_f64 v[184:185], vcc, 1.0, v[164:165], 1.0
	v_mul_f64 v[186:187], v[184:185], v[182:183]
	v_fma_f64 v[166:167], -v[166:167], v[186:187], v[184:185]
	s_nop 1
	v_div_fmas_f64 v[166:167], v[166:167], v[182:183], v[186:187]
	v_div_fixup_f64 v[164:165], v[166:167], v[164:165], 1.0
	v_mul_f64 v[166:167], v[180:181], -v[164:165]
.LBB80_723:
	s_or_b64 exec, exec, s[16:17]
.LBB80_724:
	s_or_b64 exec, exec, s[0:1]
	v_cmp_ne_u32_e32 vcc, v177, v174
	s_and_saveexec_b64 s[0:1], vcc
	s_xor_b64 s[0:1], exec, s[0:1]
	s_cbranch_execz .LBB80_730
; %bb.725:
	v_cmp_eq_u32_e32 vcc, 34, v177
	s_and_saveexec_b64 s[16:17], vcc
	s_cbranch_execz .LBB80_729
; %bb.726:
	v_cmp_ne_u32_e32 vcc, 34, v174
	s_xor_b64 s[18:19], s[14:15], -1
	s_and_b64 s[22:23], s[18:19], vcc
	s_and_saveexec_b64 s[18:19], s[22:23]
	s_cbranch_execz .LBB80_728
; %bb.727:
	v_ashrrev_i32_e32 v175, 31, v174
	v_lshl_add_u64 v[180:181], v[174:175], 2, v[172:173]
	global_load_dword v175, v[180:181], off
	global_load_dword v177, v[172:173], off offset:136
	s_waitcnt vmcnt(1)
	global_store_dword v[172:173], v175, off offset:136
	s_waitcnt vmcnt(1)
	global_store_dword v[180:181], v177, off
.LBB80_728:
	s_or_b64 exec, exec, s[18:19]
	v_mov_b32_e32 v177, v174
	v_mov_b32_e32 v179, v174
.LBB80_729:
	s_or_b64 exec, exec, s[16:17]
.LBB80_730:
	s_andn2_saveexec_b64 s[0:1], s[0:1]
	s_cbranch_execz .LBB80_732
; %bb.731:
	v_mov_b32_e32 v177, 34
	s_waitcnt vmcnt(5)
	ds_write2_b64 v176, v[16:17], v[18:19] offset0:70 offset1:71
	s_waitcnt vmcnt(4)
	ds_write2_b64 v176, v[12:13], v[14:15] offset0:72 offset1:73
	;; [unrolled: 2-line block ×6, first 2 shown]
.LBB80_732:
	s_or_b64 exec, exec, s[0:1]
	v_cmp_lt_i32_e32 vcc, 34, v177
	s_waitcnt lgkmcnt(0)
	s_barrier
	s_and_saveexec_b64 s[0:1], vcc
	s_cbranch_execz .LBB80_734
; %bb.733:
	ds_read2_b64 v[180:183], v176 offset0:70 offset1:71
	v_mul_f64 v[174:175], v[164:165], v[22:23]
	v_mul_f64 v[22:23], v[166:167], v[22:23]
	v_fmac_f64_e32 v[174:175], v[166:167], v[20:21]
	v_fma_f64 v[20:21], v[164:165], v[20:21], -v[22:23]
	ds_read2_b64 v[164:167], v176 offset0:72 offset1:73
	s_waitcnt lgkmcnt(1)
	v_mul_f64 v[22:23], v[182:183], v[174:175]
	v_fma_f64 v[22:23], v[180:181], v[20:21], -v[22:23]
	v_mul_f64 v[180:181], v[180:181], v[174:175]
	v_fmac_f64_e32 v[180:181], v[182:183], v[20:21]
	s_waitcnt vmcnt(5)
	v_add_f64 v[16:17], v[16:17], -v[22:23]
	s_waitcnt lgkmcnt(0)
	v_mul_f64 v[22:23], v[166:167], v[174:175]
	v_add_f64 v[18:19], v[18:19], -v[180:181]
	v_fma_f64 v[22:23], v[164:165], v[20:21], -v[22:23]
	v_mul_f64 v[164:165], v[164:165], v[174:175]
	ds_read2_b64 v[180:183], v176 offset0:74 offset1:75
	v_fmac_f64_e32 v[164:165], v[166:167], v[20:21]
	s_waitcnt vmcnt(4)
	v_add_f64 v[14:15], v[14:15], -v[164:165]
	ds_read2_b64 v[164:167], v176 offset0:76 offset1:77
	v_add_f64 v[12:13], v[12:13], -v[22:23]
	s_waitcnt lgkmcnt(1)
	v_mul_f64 v[22:23], v[182:183], v[174:175]
	v_fma_f64 v[22:23], v[180:181], v[20:21], -v[22:23]
	v_mul_f64 v[180:181], v[180:181], v[174:175]
	v_fmac_f64_e32 v[180:181], v[182:183], v[20:21]
	s_waitcnt vmcnt(3)
	v_add_f64 v[8:9], v[8:9], -v[22:23]
	s_waitcnt lgkmcnt(0)
	v_mul_f64 v[22:23], v[166:167], v[174:175]
	v_add_f64 v[10:11], v[10:11], -v[180:181]
	v_fma_f64 v[22:23], v[164:165], v[20:21], -v[22:23]
	v_mul_f64 v[164:165], v[164:165], v[174:175]
	ds_read2_b64 v[180:183], v176 offset0:78 offset1:79
	v_fmac_f64_e32 v[164:165], v[166:167], v[20:21]
	s_waitcnt vmcnt(2)
	v_add_f64 v[6:7], v[6:7], -v[164:165]
	ds_read2_b64 v[164:167], v176 offset0:80 offset1:81
	v_add_f64 v[4:5], v[4:5], -v[22:23]
	s_waitcnt lgkmcnt(1)
	v_mul_f64 v[22:23], v[182:183], v[174:175]
	v_fma_f64 v[22:23], v[180:181], v[20:21], -v[22:23]
	s_waitcnt vmcnt(1)
	v_add_f64 v[0:1], v[0:1], -v[22:23]
	s_waitcnt lgkmcnt(0)
	v_mul_f64 v[22:23], v[166:167], v[174:175]
	v_mul_f64 v[180:181], v[180:181], v[174:175]
	v_fma_f64 v[22:23], v[164:165], v[20:21], -v[22:23]
	v_mul_f64 v[164:165], v[164:165], v[174:175]
	v_fmac_f64_e32 v[180:181], v[182:183], v[20:21]
	v_fmac_f64_e32 v[164:165], v[166:167], v[20:21]
	v_add_f64 v[2:3], v[2:3], -v[180:181]
	s_waitcnt vmcnt(0)
	v_add_f64 v[160:161], v[160:161], -v[22:23]
	v_add_f64 v[162:163], v[162:163], -v[164:165]
	v_mov_b64_e32 v[22:23], v[174:175]
.LBB80_734:
	s_or_b64 exec, exec, s[0:1]
	v_lshl_add_u32 v164, v177, 4, v176
	s_barrier
	s_waitcnt vmcnt(5)
	ds_write2_b64 v164, v[16:17], v[18:19] offset1:1
	s_waitcnt lgkmcnt(0)
	s_barrier
	ds_read2_b64 v[164:167], v176 offset0:70 offset1:71
	s_cmp_lt_i32 s20, 37
	v_mov_b32_e32 v174, 35
	s_cbranch_scc1 .LBB80_737
; %bb.735:
	v_add_u32_e32 v175, 0x240, v176
	s_mov_b32 s16, 36
	v_mov_b32_e32 v174, 35
.LBB80_736:                             ; =>This Inner Loop Header: Depth=1
	ds_read2_b64 v[180:183], v175 offset1:1
	s_waitcnt lgkmcnt(1)
	v_xor_b32_e32 v185, 0x80000000, v165
	v_xor_b32_e32 v187, 0x80000000, v167
	v_cmp_gt_f64_e32 vcc, 0, v[166:167]
	v_cmp_gt_f64_e64 s[0:1], 0, v[164:165]
	v_mov_b32_e32 v184, v164
	v_mov_b32_e32 v186, v166
	v_cndmask_b32_e64 v185, v165, v185, s[0:1]
	v_cndmask_b32_e32 v187, v167, v187, vcc
	v_add_f64 v[184:185], v[184:185], v[186:187]
	s_waitcnt lgkmcnt(0)
	v_xor_b32_e32 v187, 0x80000000, v181
	v_xor_b32_e32 v189, 0x80000000, v183
	v_cmp_gt_f64_e32 vcc, 0, v[182:183]
	v_cmp_gt_f64_e64 s[0:1], 0, v[180:181]
	v_mov_b32_e32 v186, v180
	v_mov_b32_e32 v188, v182
	v_cndmask_b32_e64 v187, v181, v187, s[0:1]
	v_cndmask_b32_e32 v189, v183, v189, vcc
	v_add_f64 v[186:187], v[186:187], v[188:189]
	v_mov_b32_e32 v190, s16
	s_add_i32 s16, s16, 1
	v_cmp_lt_f64_e32 vcc, v[184:185], v[186:187]
	v_add_u32_e32 v175, 16, v175
	s_cmp_lg_u32 s20, s16
	v_cndmask_b32_e32 v165, v165, v181, vcc
	v_cndmask_b32_e32 v164, v164, v180, vcc
	;; [unrolled: 1-line block ×5, first 2 shown]
	s_cbranch_scc1 .LBB80_736
.LBB80_737:
	s_waitcnt lgkmcnt(0)
	v_cmp_eq_f64_e32 vcc, 0, v[164:165]
	v_cmp_eq_f64_e64 s[0:1], 0, v[166:167]
	s_and_b64 s[0:1], vcc, s[0:1]
	s_and_saveexec_b64 s[16:17], s[0:1]
	s_xor_b64 s[0:1], exec, s[16:17]
; %bb.738:
	v_cmp_ne_u32_e32 vcc, 0, v178
	s_nop 1
	v_cndmask_b32_e32 v178, 36, v178, vcc
; %bb.739:
	s_andn2_saveexec_b64 s[0:1], s[0:1]
	s_cbranch_execz .LBB80_745
; %bb.740:
	v_cmp_ngt_f64_e64 s[16:17], |v[164:165]|, |v[166:167]|
	s_and_saveexec_b64 s[18:19], s[16:17]
	s_xor_b64 s[16:17], exec, s[18:19]
	s_cbranch_execz .LBB80_742
; %bb.741:
	v_div_scale_f64 v[180:181], s[18:19], v[166:167], v[166:167], v[164:165]
	v_rcp_f64_e32 v[182:183], v[180:181]
	v_div_scale_f64 v[184:185], vcc, v[164:165], v[166:167], v[164:165]
	v_fma_f64 v[186:187], -v[180:181], v[182:183], 1.0
	v_fmac_f64_e32 v[182:183], v[182:183], v[186:187]
	v_fma_f64 v[186:187], -v[180:181], v[182:183], 1.0
	v_fmac_f64_e32 v[182:183], v[182:183], v[186:187]
	v_mul_f64 v[186:187], v[184:185], v[182:183]
	v_fma_f64 v[180:181], -v[180:181], v[186:187], v[184:185]
	v_div_fmas_f64 v[180:181], v[180:181], v[182:183], v[186:187]
	v_div_fixup_f64 v[180:181], v[180:181], v[166:167], v[164:165]
	v_fmac_f64_e32 v[166:167], v[164:165], v[180:181]
	v_div_scale_f64 v[164:165], s[18:19], v[166:167], v[166:167], 1.0
	v_rcp_f64_e32 v[182:183], v[164:165]
	s_nop 0
	v_fma_f64 v[184:185], -v[164:165], v[182:183], 1.0
	v_fmac_f64_e32 v[182:183], v[182:183], v[184:185]
	v_fma_f64 v[184:185], -v[164:165], v[182:183], 1.0
	v_fmac_f64_e32 v[182:183], v[182:183], v[184:185]
	v_div_scale_f64 v[184:185], vcc, 1.0, v[166:167], 1.0
	v_mul_f64 v[186:187], v[184:185], v[182:183]
	v_fma_f64 v[164:165], -v[164:165], v[186:187], v[184:185]
	s_nop 1
	v_div_fmas_f64 v[164:165], v[164:165], v[182:183], v[186:187]
	v_div_fixup_f64 v[166:167], v[164:165], v[166:167], 1.0
	v_mul_f64 v[164:165], v[180:181], v[166:167]
	v_xor_b32_e32 v167, 0x80000000, v167
.LBB80_742:
	s_andn2_saveexec_b64 s[16:17], s[16:17]
	s_cbranch_execz .LBB80_744
; %bb.743:
	v_div_scale_f64 v[180:181], s[18:19], v[164:165], v[164:165], v[166:167]
	v_rcp_f64_e32 v[182:183], v[180:181]
	v_div_scale_f64 v[184:185], vcc, v[166:167], v[164:165], v[166:167]
	v_fma_f64 v[186:187], -v[180:181], v[182:183], 1.0
	v_fmac_f64_e32 v[182:183], v[182:183], v[186:187]
	v_fma_f64 v[186:187], -v[180:181], v[182:183], 1.0
	v_fmac_f64_e32 v[182:183], v[182:183], v[186:187]
	v_mul_f64 v[186:187], v[184:185], v[182:183]
	v_fma_f64 v[180:181], -v[180:181], v[186:187], v[184:185]
	v_div_fmas_f64 v[180:181], v[180:181], v[182:183], v[186:187]
	v_div_fixup_f64 v[180:181], v[180:181], v[164:165], v[166:167]
	v_fmac_f64_e32 v[164:165], v[166:167], v[180:181]
	v_div_scale_f64 v[166:167], s[18:19], v[164:165], v[164:165], 1.0
	v_rcp_f64_e32 v[182:183], v[166:167]
	s_nop 0
	v_fma_f64 v[184:185], -v[166:167], v[182:183], 1.0
	v_fmac_f64_e32 v[182:183], v[182:183], v[184:185]
	v_fma_f64 v[184:185], -v[166:167], v[182:183], 1.0
	v_fmac_f64_e32 v[182:183], v[182:183], v[184:185]
	v_div_scale_f64 v[184:185], vcc, 1.0, v[164:165], 1.0
	v_mul_f64 v[186:187], v[184:185], v[182:183]
	v_fma_f64 v[166:167], -v[166:167], v[186:187], v[184:185]
	s_nop 1
	v_div_fmas_f64 v[166:167], v[166:167], v[182:183], v[186:187]
	v_div_fixup_f64 v[164:165], v[166:167], v[164:165], 1.0
	v_mul_f64 v[166:167], v[180:181], -v[164:165]
.LBB80_744:
	s_or_b64 exec, exec, s[16:17]
.LBB80_745:
	s_or_b64 exec, exec, s[0:1]
	v_cmp_ne_u32_e32 vcc, v177, v174
	s_and_saveexec_b64 s[0:1], vcc
	s_xor_b64 s[0:1], exec, s[0:1]
	s_cbranch_execz .LBB80_751
; %bb.746:
	v_cmp_eq_u32_e32 vcc, 35, v177
	s_and_saveexec_b64 s[16:17], vcc
	s_cbranch_execz .LBB80_750
; %bb.747:
	v_cmp_ne_u32_e32 vcc, 35, v174
	s_xor_b64 s[18:19], s[14:15], -1
	s_and_b64 s[22:23], s[18:19], vcc
	s_and_saveexec_b64 s[18:19], s[22:23]
	s_cbranch_execz .LBB80_749
; %bb.748:
	v_ashrrev_i32_e32 v175, 31, v174
	v_lshl_add_u64 v[180:181], v[174:175], 2, v[172:173]
	global_load_dword v175, v[180:181], off
	global_load_dword v177, v[172:173], off offset:140
	s_waitcnt vmcnt(1)
	global_store_dword v[172:173], v175, off offset:140
	s_waitcnt vmcnt(1)
	global_store_dword v[180:181], v177, off
.LBB80_749:
	s_or_b64 exec, exec, s[18:19]
	v_mov_b32_e32 v177, v174
	v_mov_b32_e32 v179, v174
.LBB80_750:
	s_or_b64 exec, exec, s[16:17]
.LBB80_751:
	s_andn2_saveexec_b64 s[0:1], s[0:1]
	s_cbranch_execz .LBB80_753
; %bb.752:
	v_mov_b32_e32 v177, 35
	s_waitcnt vmcnt(4)
	ds_write2_b64 v176, v[12:13], v[14:15] offset0:72 offset1:73
	s_waitcnt vmcnt(3)
	ds_write2_b64 v176, v[8:9], v[10:11] offset0:74 offset1:75
	;; [unrolled: 2-line block ×5, first 2 shown]
.LBB80_753:
	s_or_b64 exec, exec, s[0:1]
	v_cmp_lt_i32_e32 vcc, 35, v177
	s_waitcnt lgkmcnt(0)
	s_barrier
	s_and_saveexec_b64 s[0:1], vcc
	s_cbranch_execz .LBB80_755
; %bb.754:
	ds_read2_b64 v[180:183], v176 offset0:72 offset1:73
	v_mul_f64 v[174:175], v[164:165], v[18:19]
	v_fmac_f64_e32 v[174:175], v[166:167], v[16:17]
	v_mul_f64 v[18:19], v[166:167], v[18:19]
	v_fma_f64 v[16:17], v[164:165], v[16:17], -v[18:19]
	ds_read2_b64 v[164:167], v176 offset0:74 offset1:75
	s_waitcnt lgkmcnt(1)
	v_mul_f64 v[18:19], v[182:183], v[174:175]
	v_fma_f64 v[18:19], v[180:181], v[16:17], -v[18:19]
	v_mul_f64 v[180:181], v[180:181], v[174:175]
	v_fmac_f64_e32 v[180:181], v[182:183], v[16:17]
	s_waitcnt vmcnt(4)
	v_add_f64 v[14:15], v[14:15], -v[180:181]
	ds_read2_b64 v[180:183], v176 offset0:76 offset1:77
	v_add_f64 v[12:13], v[12:13], -v[18:19]
	s_waitcnt lgkmcnt(1)
	v_mul_f64 v[18:19], v[166:167], v[174:175]
	v_fma_f64 v[18:19], v[164:165], v[16:17], -v[18:19]
	v_mul_f64 v[164:165], v[164:165], v[174:175]
	v_fmac_f64_e32 v[164:165], v[166:167], v[16:17]
	s_waitcnt vmcnt(3)
	v_add_f64 v[8:9], v[8:9], -v[18:19]
	v_add_f64 v[10:11], v[10:11], -v[164:165]
	ds_read2_b64 v[164:167], v176 offset0:78 offset1:79
	s_waitcnt lgkmcnt(1)
	v_mul_f64 v[18:19], v[182:183], v[174:175]
	v_fma_f64 v[18:19], v[180:181], v[16:17], -v[18:19]
	v_mul_f64 v[180:181], v[180:181], v[174:175]
	v_fmac_f64_e32 v[180:181], v[182:183], v[16:17]
	s_waitcnt vmcnt(2)
	v_add_f64 v[6:7], v[6:7], -v[180:181]
	ds_read2_b64 v[180:183], v176 offset0:80 offset1:81
	v_add_f64 v[4:5], v[4:5], -v[18:19]
	s_waitcnt lgkmcnt(1)
	v_mul_f64 v[18:19], v[166:167], v[174:175]
	v_fma_f64 v[18:19], v[164:165], v[16:17], -v[18:19]
	v_mul_f64 v[164:165], v[164:165], v[174:175]
	v_fmac_f64_e32 v[164:165], v[166:167], v[16:17]
	s_waitcnt vmcnt(1)
	v_add_f64 v[0:1], v[0:1], -v[18:19]
	v_add_f64 v[2:3], v[2:3], -v[164:165]
	s_waitcnt lgkmcnt(0)
	v_mul_f64 v[18:19], v[182:183], v[174:175]
	v_mul_f64 v[164:165], v[180:181], v[174:175]
	v_fma_f64 v[18:19], v[180:181], v[16:17], -v[18:19]
	v_fmac_f64_e32 v[164:165], v[182:183], v[16:17]
	s_waitcnt vmcnt(0)
	v_add_f64 v[160:161], v[160:161], -v[18:19]
	v_add_f64 v[162:163], v[162:163], -v[164:165]
	v_mov_b64_e32 v[18:19], v[174:175]
.LBB80_755:
	s_or_b64 exec, exec, s[0:1]
	v_lshl_add_u32 v164, v177, 4, v176
	s_barrier
	s_waitcnt vmcnt(4)
	ds_write2_b64 v164, v[12:13], v[14:15] offset1:1
	s_waitcnt lgkmcnt(0)
	s_barrier
	ds_read2_b64 v[164:167], v176 offset0:72 offset1:73
	s_cmp_lt_i32 s20, 38
	v_mov_b32_e32 v174, 36
	s_cbranch_scc1 .LBB80_758
; %bb.756:
	v_add_u32_e32 v175, 0x250, v176
	s_mov_b32 s16, 37
	v_mov_b32_e32 v174, 36
.LBB80_757:                             ; =>This Inner Loop Header: Depth=1
	ds_read2_b64 v[180:183], v175 offset1:1
	s_waitcnt lgkmcnt(1)
	v_xor_b32_e32 v185, 0x80000000, v165
	v_xor_b32_e32 v187, 0x80000000, v167
	v_cmp_gt_f64_e32 vcc, 0, v[166:167]
	v_cmp_gt_f64_e64 s[0:1], 0, v[164:165]
	v_mov_b32_e32 v184, v164
	v_mov_b32_e32 v186, v166
	v_cndmask_b32_e64 v185, v165, v185, s[0:1]
	v_cndmask_b32_e32 v187, v167, v187, vcc
	v_add_f64 v[184:185], v[184:185], v[186:187]
	s_waitcnt lgkmcnt(0)
	v_xor_b32_e32 v187, 0x80000000, v181
	v_xor_b32_e32 v189, 0x80000000, v183
	v_cmp_gt_f64_e32 vcc, 0, v[182:183]
	v_cmp_gt_f64_e64 s[0:1], 0, v[180:181]
	v_mov_b32_e32 v186, v180
	v_mov_b32_e32 v188, v182
	v_cndmask_b32_e64 v187, v181, v187, s[0:1]
	v_cndmask_b32_e32 v189, v183, v189, vcc
	v_add_f64 v[186:187], v[186:187], v[188:189]
	v_mov_b32_e32 v190, s16
	s_add_i32 s16, s16, 1
	v_cmp_lt_f64_e32 vcc, v[184:185], v[186:187]
	v_add_u32_e32 v175, 16, v175
	s_cmp_lg_u32 s20, s16
	v_cndmask_b32_e32 v165, v165, v181, vcc
	v_cndmask_b32_e32 v164, v164, v180, vcc
	;; [unrolled: 1-line block ×5, first 2 shown]
	s_cbranch_scc1 .LBB80_757
.LBB80_758:
	s_waitcnt lgkmcnt(0)
	v_cmp_eq_f64_e32 vcc, 0, v[164:165]
	v_cmp_eq_f64_e64 s[0:1], 0, v[166:167]
	s_and_b64 s[0:1], vcc, s[0:1]
	s_and_saveexec_b64 s[16:17], s[0:1]
	s_xor_b64 s[0:1], exec, s[16:17]
; %bb.759:
	v_cmp_ne_u32_e32 vcc, 0, v178
	s_nop 1
	v_cndmask_b32_e32 v178, 37, v178, vcc
; %bb.760:
	s_andn2_saveexec_b64 s[0:1], s[0:1]
	s_cbranch_execz .LBB80_766
; %bb.761:
	v_cmp_ngt_f64_e64 s[16:17], |v[164:165]|, |v[166:167]|
	s_and_saveexec_b64 s[18:19], s[16:17]
	s_xor_b64 s[16:17], exec, s[18:19]
	s_cbranch_execz .LBB80_763
; %bb.762:
	v_div_scale_f64 v[180:181], s[18:19], v[166:167], v[166:167], v[164:165]
	v_rcp_f64_e32 v[182:183], v[180:181]
	v_div_scale_f64 v[184:185], vcc, v[164:165], v[166:167], v[164:165]
	v_fma_f64 v[186:187], -v[180:181], v[182:183], 1.0
	v_fmac_f64_e32 v[182:183], v[182:183], v[186:187]
	v_fma_f64 v[186:187], -v[180:181], v[182:183], 1.0
	v_fmac_f64_e32 v[182:183], v[182:183], v[186:187]
	v_mul_f64 v[186:187], v[184:185], v[182:183]
	v_fma_f64 v[180:181], -v[180:181], v[186:187], v[184:185]
	v_div_fmas_f64 v[180:181], v[180:181], v[182:183], v[186:187]
	v_div_fixup_f64 v[180:181], v[180:181], v[166:167], v[164:165]
	v_fmac_f64_e32 v[166:167], v[164:165], v[180:181]
	v_div_scale_f64 v[164:165], s[18:19], v[166:167], v[166:167], 1.0
	v_rcp_f64_e32 v[182:183], v[164:165]
	s_nop 0
	v_fma_f64 v[184:185], -v[164:165], v[182:183], 1.0
	v_fmac_f64_e32 v[182:183], v[182:183], v[184:185]
	v_fma_f64 v[184:185], -v[164:165], v[182:183], 1.0
	v_fmac_f64_e32 v[182:183], v[182:183], v[184:185]
	v_div_scale_f64 v[184:185], vcc, 1.0, v[166:167], 1.0
	v_mul_f64 v[186:187], v[184:185], v[182:183]
	v_fma_f64 v[164:165], -v[164:165], v[186:187], v[184:185]
	s_nop 1
	v_div_fmas_f64 v[164:165], v[164:165], v[182:183], v[186:187]
	v_div_fixup_f64 v[166:167], v[164:165], v[166:167], 1.0
	v_mul_f64 v[164:165], v[180:181], v[166:167]
	v_xor_b32_e32 v167, 0x80000000, v167
.LBB80_763:
	s_andn2_saveexec_b64 s[16:17], s[16:17]
	s_cbranch_execz .LBB80_765
; %bb.764:
	v_div_scale_f64 v[180:181], s[18:19], v[164:165], v[164:165], v[166:167]
	v_rcp_f64_e32 v[182:183], v[180:181]
	v_div_scale_f64 v[184:185], vcc, v[166:167], v[164:165], v[166:167]
	v_fma_f64 v[186:187], -v[180:181], v[182:183], 1.0
	v_fmac_f64_e32 v[182:183], v[182:183], v[186:187]
	v_fma_f64 v[186:187], -v[180:181], v[182:183], 1.0
	v_fmac_f64_e32 v[182:183], v[182:183], v[186:187]
	v_mul_f64 v[186:187], v[184:185], v[182:183]
	v_fma_f64 v[180:181], -v[180:181], v[186:187], v[184:185]
	v_div_fmas_f64 v[180:181], v[180:181], v[182:183], v[186:187]
	v_div_fixup_f64 v[180:181], v[180:181], v[164:165], v[166:167]
	v_fmac_f64_e32 v[164:165], v[166:167], v[180:181]
	v_div_scale_f64 v[166:167], s[18:19], v[164:165], v[164:165], 1.0
	v_rcp_f64_e32 v[182:183], v[166:167]
	s_nop 0
	v_fma_f64 v[184:185], -v[166:167], v[182:183], 1.0
	v_fmac_f64_e32 v[182:183], v[182:183], v[184:185]
	v_fma_f64 v[184:185], -v[166:167], v[182:183], 1.0
	v_fmac_f64_e32 v[182:183], v[182:183], v[184:185]
	v_div_scale_f64 v[184:185], vcc, 1.0, v[164:165], 1.0
	v_mul_f64 v[186:187], v[184:185], v[182:183]
	v_fma_f64 v[166:167], -v[166:167], v[186:187], v[184:185]
	s_nop 1
	v_div_fmas_f64 v[166:167], v[166:167], v[182:183], v[186:187]
	v_div_fixup_f64 v[164:165], v[166:167], v[164:165], 1.0
	v_mul_f64 v[166:167], v[180:181], -v[164:165]
.LBB80_765:
	s_or_b64 exec, exec, s[16:17]
.LBB80_766:
	s_or_b64 exec, exec, s[0:1]
	v_cmp_ne_u32_e32 vcc, v177, v174
	s_and_saveexec_b64 s[0:1], vcc
	s_xor_b64 s[0:1], exec, s[0:1]
	s_cbranch_execz .LBB80_772
; %bb.767:
	v_cmp_eq_u32_e32 vcc, 36, v177
	s_and_saveexec_b64 s[16:17], vcc
	s_cbranch_execz .LBB80_771
; %bb.768:
	v_cmp_ne_u32_e32 vcc, 36, v174
	s_xor_b64 s[18:19], s[14:15], -1
	s_and_b64 s[22:23], s[18:19], vcc
	s_and_saveexec_b64 s[18:19], s[22:23]
	s_cbranch_execz .LBB80_770
; %bb.769:
	v_ashrrev_i32_e32 v175, 31, v174
	v_lshl_add_u64 v[180:181], v[174:175], 2, v[172:173]
	global_load_dword v175, v[180:181], off
	global_load_dword v177, v[172:173], off offset:144
	s_waitcnt vmcnt(1)
	global_store_dword v[172:173], v175, off offset:144
	s_waitcnt vmcnt(1)
	global_store_dword v[180:181], v177, off
.LBB80_770:
	s_or_b64 exec, exec, s[18:19]
	v_mov_b32_e32 v177, v174
	v_mov_b32_e32 v179, v174
.LBB80_771:
	s_or_b64 exec, exec, s[16:17]
.LBB80_772:
	s_andn2_saveexec_b64 s[0:1], s[0:1]
	s_cbranch_execz .LBB80_774
; %bb.773:
	v_mov_b32_e32 v177, 36
	s_waitcnt vmcnt(3)
	ds_write2_b64 v176, v[8:9], v[10:11] offset0:74 offset1:75
	s_waitcnt vmcnt(2)
	ds_write2_b64 v176, v[4:5], v[6:7] offset0:76 offset1:77
	;; [unrolled: 2-line block ×4, first 2 shown]
.LBB80_774:
	s_or_b64 exec, exec, s[0:1]
	v_cmp_lt_i32_e32 vcc, 36, v177
	s_waitcnt lgkmcnt(0)
	s_barrier
	s_and_saveexec_b64 s[0:1], vcc
	s_cbranch_execz .LBB80_776
; %bb.775:
	ds_read2_b64 v[180:183], v176 offset0:74 offset1:75
	v_mul_f64 v[174:175], v[164:165], v[14:15]
	v_mul_f64 v[14:15], v[166:167], v[14:15]
	v_fmac_f64_e32 v[174:175], v[166:167], v[12:13]
	v_fma_f64 v[12:13], v[164:165], v[12:13], -v[14:15]
	ds_read2_b64 v[164:167], v176 offset0:76 offset1:77
	s_waitcnt lgkmcnt(1)
	v_mul_f64 v[14:15], v[182:183], v[174:175]
	v_fma_f64 v[14:15], v[180:181], v[12:13], -v[14:15]
	v_mul_f64 v[180:181], v[180:181], v[174:175]
	v_fmac_f64_e32 v[180:181], v[182:183], v[12:13]
	s_waitcnt vmcnt(3)
	v_add_f64 v[8:9], v[8:9], -v[14:15]
	s_waitcnt lgkmcnt(0)
	v_mul_f64 v[14:15], v[166:167], v[174:175]
	v_add_f64 v[10:11], v[10:11], -v[180:181]
	v_fma_f64 v[14:15], v[164:165], v[12:13], -v[14:15]
	v_mul_f64 v[164:165], v[164:165], v[174:175]
	ds_read2_b64 v[180:183], v176 offset0:78 offset1:79
	v_fmac_f64_e32 v[164:165], v[166:167], v[12:13]
	s_waitcnt vmcnt(2)
	v_add_f64 v[6:7], v[6:7], -v[164:165]
	ds_read2_b64 v[164:167], v176 offset0:80 offset1:81
	v_add_f64 v[4:5], v[4:5], -v[14:15]
	s_waitcnt lgkmcnt(1)
	v_mul_f64 v[14:15], v[182:183], v[174:175]
	v_fma_f64 v[14:15], v[180:181], v[12:13], -v[14:15]
	s_waitcnt vmcnt(1)
	v_add_f64 v[0:1], v[0:1], -v[14:15]
	s_waitcnt lgkmcnt(0)
	v_mul_f64 v[14:15], v[166:167], v[174:175]
	v_mul_f64 v[180:181], v[180:181], v[174:175]
	v_fma_f64 v[14:15], v[164:165], v[12:13], -v[14:15]
	v_mul_f64 v[164:165], v[164:165], v[174:175]
	v_fmac_f64_e32 v[180:181], v[182:183], v[12:13]
	v_fmac_f64_e32 v[164:165], v[166:167], v[12:13]
	v_add_f64 v[2:3], v[2:3], -v[180:181]
	s_waitcnt vmcnt(0)
	v_add_f64 v[160:161], v[160:161], -v[14:15]
	v_add_f64 v[162:163], v[162:163], -v[164:165]
	v_mov_b64_e32 v[14:15], v[174:175]
.LBB80_776:
	s_or_b64 exec, exec, s[0:1]
	v_lshl_add_u32 v164, v177, 4, v176
	s_barrier
	s_waitcnt vmcnt(3)
	ds_write2_b64 v164, v[8:9], v[10:11] offset1:1
	s_waitcnt lgkmcnt(0)
	s_barrier
	ds_read2_b64 v[164:167], v176 offset0:74 offset1:75
	s_cmp_lt_i32 s20, 39
	v_mov_b32_e32 v174, 37
	s_cbranch_scc1 .LBB80_779
; %bb.777:
	v_add_u32_e32 v175, 0x260, v176
	s_mov_b32 s16, 38
	v_mov_b32_e32 v174, 37
.LBB80_778:                             ; =>This Inner Loop Header: Depth=1
	ds_read2_b64 v[180:183], v175 offset1:1
	s_waitcnt lgkmcnt(1)
	v_xor_b32_e32 v185, 0x80000000, v165
	v_xor_b32_e32 v187, 0x80000000, v167
	v_cmp_gt_f64_e32 vcc, 0, v[166:167]
	v_cmp_gt_f64_e64 s[0:1], 0, v[164:165]
	v_mov_b32_e32 v184, v164
	v_mov_b32_e32 v186, v166
	v_cndmask_b32_e64 v185, v165, v185, s[0:1]
	v_cndmask_b32_e32 v187, v167, v187, vcc
	v_add_f64 v[184:185], v[184:185], v[186:187]
	s_waitcnt lgkmcnt(0)
	v_xor_b32_e32 v187, 0x80000000, v181
	v_xor_b32_e32 v189, 0x80000000, v183
	v_cmp_gt_f64_e32 vcc, 0, v[182:183]
	v_cmp_gt_f64_e64 s[0:1], 0, v[180:181]
	v_mov_b32_e32 v186, v180
	v_mov_b32_e32 v188, v182
	v_cndmask_b32_e64 v187, v181, v187, s[0:1]
	v_cndmask_b32_e32 v189, v183, v189, vcc
	v_add_f64 v[186:187], v[186:187], v[188:189]
	v_mov_b32_e32 v190, s16
	s_add_i32 s16, s16, 1
	v_cmp_lt_f64_e32 vcc, v[184:185], v[186:187]
	v_add_u32_e32 v175, 16, v175
	s_cmp_lg_u32 s20, s16
	v_cndmask_b32_e32 v165, v165, v181, vcc
	v_cndmask_b32_e32 v164, v164, v180, vcc
	;; [unrolled: 1-line block ×5, first 2 shown]
	s_cbranch_scc1 .LBB80_778
.LBB80_779:
	s_waitcnt lgkmcnt(0)
	v_cmp_eq_f64_e32 vcc, 0, v[164:165]
	v_cmp_eq_f64_e64 s[0:1], 0, v[166:167]
	s_and_b64 s[0:1], vcc, s[0:1]
	s_and_saveexec_b64 s[16:17], s[0:1]
	s_xor_b64 s[0:1], exec, s[16:17]
; %bb.780:
	v_cmp_ne_u32_e32 vcc, 0, v178
	s_nop 1
	v_cndmask_b32_e32 v178, 38, v178, vcc
; %bb.781:
	s_andn2_saveexec_b64 s[0:1], s[0:1]
	s_cbranch_execz .LBB80_787
; %bb.782:
	v_cmp_ngt_f64_e64 s[16:17], |v[164:165]|, |v[166:167]|
	s_and_saveexec_b64 s[18:19], s[16:17]
	s_xor_b64 s[16:17], exec, s[18:19]
	s_cbranch_execz .LBB80_784
; %bb.783:
	v_div_scale_f64 v[180:181], s[18:19], v[166:167], v[166:167], v[164:165]
	v_rcp_f64_e32 v[182:183], v[180:181]
	v_div_scale_f64 v[184:185], vcc, v[164:165], v[166:167], v[164:165]
	v_fma_f64 v[186:187], -v[180:181], v[182:183], 1.0
	v_fmac_f64_e32 v[182:183], v[182:183], v[186:187]
	v_fma_f64 v[186:187], -v[180:181], v[182:183], 1.0
	v_fmac_f64_e32 v[182:183], v[182:183], v[186:187]
	v_mul_f64 v[186:187], v[184:185], v[182:183]
	v_fma_f64 v[180:181], -v[180:181], v[186:187], v[184:185]
	v_div_fmas_f64 v[180:181], v[180:181], v[182:183], v[186:187]
	v_div_fixup_f64 v[180:181], v[180:181], v[166:167], v[164:165]
	v_fmac_f64_e32 v[166:167], v[164:165], v[180:181]
	v_div_scale_f64 v[164:165], s[18:19], v[166:167], v[166:167], 1.0
	v_rcp_f64_e32 v[182:183], v[164:165]
	s_nop 0
	v_fma_f64 v[184:185], -v[164:165], v[182:183], 1.0
	v_fmac_f64_e32 v[182:183], v[182:183], v[184:185]
	v_fma_f64 v[184:185], -v[164:165], v[182:183], 1.0
	v_fmac_f64_e32 v[182:183], v[182:183], v[184:185]
	v_div_scale_f64 v[184:185], vcc, 1.0, v[166:167], 1.0
	v_mul_f64 v[186:187], v[184:185], v[182:183]
	v_fma_f64 v[164:165], -v[164:165], v[186:187], v[184:185]
	s_nop 1
	v_div_fmas_f64 v[164:165], v[164:165], v[182:183], v[186:187]
	v_div_fixup_f64 v[166:167], v[164:165], v[166:167], 1.0
	v_mul_f64 v[164:165], v[180:181], v[166:167]
	v_xor_b32_e32 v167, 0x80000000, v167
.LBB80_784:
	s_andn2_saveexec_b64 s[16:17], s[16:17]
	s_cbranch_execz .LBB80_786
; %bb.785:
	v_div_scale_f64 v[180:181], s[18:19], v[164:165], v[164:165], v[166:167]
	v_rcp_f64_e32 v[182:183], v[180:181]
	v_div_scale_f64 v[184:185], vcc, v[166:167], v[164:165], v[166:167]
	v_fma_f64 v[186:187], -v[180:181], v[182:183], 1.0
	v_fmac_f64_e32 v[182:183], v[182:183], v[186:187]
	v_fma_f64 v[186:187], -v[180:181], v[182:183], 1.0
	v_fmac_f64_e32 v[182:183], v[182:183], v[186:187]
	v_mul_f64 v[186:187], v[184:185], v[182:183]
	v_fma_f64 v[180:181], -v[180:181], v[186:187], v[184:185]
	v_div_fmas_f64 v[180:181], v[180:181], v[182:183], v[186:187]
	v_div_fixup_f64 v[180:181], v[180:181], v[164:165], v[166:167]
	v_fmac_f64_e32 v[164:165], v[166:167], v[180:181]
	v_div_scale_f64 v[166:167], s[18:19], v[164:165], v[164:165], 1.0
	v_rcp_f64_e32 v[182:183], v[166:167]
	s_nop 0
	v_fma_f64 v[184:185], -v[166:167], v[182:183], 1.0
	v_fmac_f64_e32 v[182:183], v[182:183], v[184:185]
	v_fma_f64 v[184:185], -v[166:167], v[182:183], 1.0
	v_fmac_f64_e32 v[182:183], v[182:183], v[184:185]
	v_div_scale_f64 v[184:185], vcc, 1.0, v[164:165], 1.0
	v_mul_f64 v[186:187], v[184:185], v[182:183]
	v_fma_f64 v[166:167], -v[166:167], v[186:187], v[184:185]
	s_nop 1
	v_div_fmas_f64 v[166:167], v[166:167], v[182:183], v[186:187]
	v_div_fixup_f64 v[164:165], v[166:167], v[164:165], 1.0
	v_mul_f64 v[166:167], v[180:181], -v[164:165]
.LBB80_786:
	s_or_b64 exec, exec, s[16:17]
.LBB80_787:
	s_or_b64 exec, exec, s[0:1]
	v_cmp_ne_u32_e32 vcc, v177, v174
	s_and_saveexec_b64 s[0:1], vcc
	s_xor_b64 s[0:1], exec, s[0:1]
	s_cbranch_execz .LBB80_793
; %bb.788:
	v_cmp_eq_u32_e32 vcc, 37, v177
	s_and_saveexec_b64 s[16:17], vcc
	s_cbranch_execz .LBB80_792
; %bb.789:
	v_cmp_ne_u32_e32 vcc, 37, v174
	s_xor_b64 s[18:19], s[14:15], -1
	s_and_b64 s[22:23], s[18:19], vcc
	s_and_saveexec_b64 s[18:19], s[22:23]
	s_cbranch_execz .LBB80_791
; %bb.790:
	v_ashrrev_i32_e32 v175, 31, v174
	v_lshl_add_u64 v[180:181], v[174:175], 2, v[172:173]
	global_load_dword v175, v[180:181], off
	global_load_dword v177, v[172:173], off offset:148
	s_waitcnt vmcnt(1)
	global_store_dword v[172:173], v175, off offset:148
	s_waitcnt vmcnt(1)
	global_store_dword v[180:181], v177, off
.LBB80_791:
	s_or_b64 exec, exec, s[18:19]
	v_mov_b32_e32 v177, v174
	v_mov_b32_e32 v179, v174
.LBB80_792:
	s_or_b64 exec, exec, s[16:17]
.LBB80_793:
	s_andn2_saveexec_b64 s[0:1], s[0:1]
	s_cbranch_execz .LBB80_795
; %bb.794:
	v_mov_b32_e32 v177, 37
	s_waitcnt vmcnt(2)
	ds_write2_b64 v176, v[4:5], v[6:7] offset0:76 offset1:77
	s_waitcnt vmcnt(1)
	ds_write2_b64 v176, v[0:1], v[2:3] offset0:78 offset1:79
	;; [unrolled: 2-line block ×3, first 2 shown]
.LBB80_795:
	s_or_b64 exec, exec, s[0:1]
	v_cmp_lt_i32_e32 vcc, 37, v177
	s_waitcnt lgkmcnt(0)
	s_barrier
	s_and_saveexec_b64 s[0:1], vcc
	s_cbranch_execz .LBB80_797
; %bb.796:
	ds_read2_b64 v[180:183], v176 offset0:76 offset1:77
	v_mul_f64 v[174:175], v[164:165], v[10:11]
	v_fmac_f64_e32 v[174:175], v[166:167], v[8:9]
	v_mul_f64 v[10:11], v[166:167], v[10:11]
	v_fma_f64 v[8:9], v[164:165], v[8:9], -v[10:11]
	ds_read2_b64 v[164:167], v176 offset0:78 offset1:79
	s_waitcnt lgkmcnt(1)
	v_mul_f64 v[10:11], v[182:183], v[174:175]
	v_fma_f64 v[10:11], v[180:181], v[8:9], -v[10:11]
	v_mul_f64 v[180:181], v[180:181], v[174:175]
	v_fmac_f64_e32 v[180:181], v[182:183], v[8:9]
	s_waitcnt vmcnt(2)
	v_add_f64 v[6:7], v[6:7], -v[180:181]
	ds_read2_b64 v[180:183], v176 offset0:80 offset1:81
	v_add_f64 v[4:5], v[4:5], -v[10:11]
	s_waitcnt lgkmcnt(1)
	v_mul_f64 v[10:11], v[166:167], v[174:175]
	v_fma_f64 v[10:11], v[164:165], v[8:9], -v[10:11]
	v_mul_f64 v[164:165], v[164:165], v[174:175]
	v_fmac_f64_e32 v[164:165], v[166:167], v[8:9]
	s_waitcnt vmcnt(1)
	v_add_f64 v[0:1], v[0:1], -v[10:11]
	v_add_f64 v[2:3], v[2:3], -v[164:165]
	s_waitcnt lgkmcnt(0)
	v_mul_f64 v[10:11], v[182:183], v[174:175]
	v_mul_f64 v[164:165], v[180:181], v[174:175]
	v_fma_f64 v[10:11], v[180:181], v[8:9], -v[10:11]
	v_fmac_f64_e32 v[164:165], v[182:183], v[8:9]
	s_waitcnt vmcnt(0)
	v_add_f64 v[160:161], v[160:161], -v[10:11]
	v_add_f64 v[162:163], v[162:163], -v[164:165]
	v_mov_b64_e32 v[10:11], v[174:175]
.LBB80_797:
	s_or_b64 exec, exec, s[0:1]
	v_lshl_add_u32 v164, v177, 4, v176
	s_barrier
	s_waitcnt vmcnt(2)
	ds_write2_b64 v164, v[4:5], v[6:7] offset1:1
	s_waitcnt lgkmcnt(0)
	s_barrier
	ds_read2_b64 v[164:167], v176 offset0:76 offset1:77
	s_cmp_lt_i32 s20, 40
	v_mov_b32_e32 v174, 38
	s_cbranch_scc1 .LBB80_800
; %bb.798:
	v_add_u32_e32 v175, 0x270, v176
	s_mov_b32 s16, 39
	v_mov_b32_e32 v174, 38
.LBB80_799:                             ; =>This Inner Loop Header: Depth=1
	ds_read2_b64 v[180:183], v175 offset1:1
	s_waitcnt lgkmcnt(1)
	v_xor_b32_e32 v185, 0x80000000, v165
	v_xor_b32_e32 v187, 0x80000000, v167
	v_cmp_gt_f64_e32 vcc, 0, v[166:167]
	v_cmp_gt_f64_e64 s[0:1], 0, v[164:165]
	v_mov_b32_e32 v184, v164
	v_mov_b32_e32 v186, v166
	v_cndmask_b32_e64 v185, v165, v185, s[0:1]
	v_cndmask_b32_e32 v187, v167, v187, vcc
	v_add_f64 v[184:185], v[184:185], v[186:187]
	s_waitcnt lgkmcnt(0)
	v_xor_b32_e32 v187, 0x80000000, v181
	v_xor_b32_e32 v189, 0x80000000, v183
	v_cmp_gt_f64_e32 vcc, 0, v[182:183]
	v_cmp_gt_f64_e64 s[0:1], 0, v[180:181]
	v_mov_b32_e32 v186, v180
	v_mov_b32_e32 v188, v182
	v_cndmask_b32_e64 v187, v181, v187, s[0:1]
	v_cndmask_b32_e32 v189, v183, v189, vcc
	v_add_f64 v[186:187], v[186:187], v[188:189]
	v_mov_b32_e32 v190, s16
	s_add_i32 s16, s16, 1
	v_cmp_lt_f64_e32 vcc, v[184:185], v[186:187]
	v_add_u32_e32 v175, 16, v175
	s_cmp_lg_u32 s20, s16
	v_cndmask_b32_e32 v165, v165, v181, vcc
	v_cndmask_b32_e32 v164, v164, v180, vcc
	;; [unrolled: 1-line block ×5, first 2 shown]
	s_cbranch_scc1 .LBB80_799
.LBB80_800:
	s_waitcnt lgkmcnt(0)
	v_cmp_eq_f64_e32 vcc, 0, v[164:165]
	v_cmp_eq_f64_e64 s[0:1], 0, v[166:167]
	s_and_b64 s[0:1], vcc, s[0:1]
	s_and_saveexec_b64 s[16:17], s[0:1]
	s_xor_b64 s[0:1], exec, s[16:17]
; %bb.801:
	v_cmp_ne_u32_e32 vcc, 0, v178
	s_nop 1
	v_cndmask_b32_e32 v178, 39, v178, vcc
; %bb.802:
	s_andn2_saveexec_b64 s[0:1], s[0:1]
	s_cbranch_execz .LBB80_808
; %bb.803:
	v_cmp_ngt_f64_e64 s[16:17], |v[164:165]|, |v[166:167]|
	s_and_saveexec_b64 s[18:19], s[16:17]
	s_xor_b64 s[16:17], exec, s[18:19]
	s_cbranch_execz .LBB80_805
; %bb.804:
	v_div_scale_f64 v[180:181], s[18:19], v[166:167], v[166:167], v[164:165]
	v_rcp_f64_e32 v[182:183], v[180:181]
	v_div_scale_f64 v[184:185], vcc, v[164:165], v[166:167], v[164:165]
	v_fma_f64 v[186:187], -v[180:181], v[182:183], 1.0
	v_fmac_f64_e32 v[182:183], v[182:183], v[186:187]
	v_fma_f64 v[186:187], -v[180:181], v[182:183], 1.0
	v_fmac_f64_e32 v[182:183], v[182:183], v[186:187]
	v_mul_f64 v[186:187], v[184:185], v[182:183]
	v_fma_f64 v[180:181], -v[180:181], v[186:187], v[184:185]
	v_div_fmas_f64 v[180:181], v[180:181], v[182:183], v[186:187]
	v_div_fixup_f64 v[180:181], v[180:181], v[166:167], v[164:165]
	v_fmac_f64_e32 v[166:167], v[164:165], v[180:181]
	v_div_scale_f64 v[164:165], s[18:19], v[166:167], v[166:167], 1.0
	v_rcp_f64_e32 v[182:183], v[164:165]
	s_nop 0
	v_fma_f64 v[184:185], -v[164:165], v[182:183], 1.0
	v_fmac_f64_e32 v[182:183], v[182:183], v[184:185]
	v_fma_f64 v[184:185], -v[164:165], v[182:183], 1.0
	v_fmac_f64_e32 v[182:183], v[182:183], v[184:185]
	v_div_scale_f64 v[184:185], vcc, 1.0, v[166:167], 1.0
	v_mul_f64 v[186:187], v[184:185], v[182:183]
	v_fma_f64 v[164:165], -v[164:165], v[186:187], v[184:185]
	s_nop 1
	v_div_fmas_f64 v[164:165], v[164:165], v[182:183], v[186:187]
	v_div_fixup_f64 v[166:167], v[164:165], v[166:167], 1.0
	v_mul_f64 v[164:165], v[180:181], v[166:167]
	v_xor_b32_e32 v167, 0x80000000, v167
.LBB80_805:
	s_andn2_saveexec_b64 s[16:17], s[16:17]
	s_cbranch_execz .LBB80_807
; %bb.806:
	v_div_scale_f64 v[180:181], s[18:19], v[164:165], v[164:165], v[166:167]
	v_rcp_f64_e32 v[182:183], v[180:181]
	v_div_scale_f64 v[184:185], vcc, v[166:167], v[164:165], v[166:167]
	v_fma_f64 v[186:187], -v[180:181], v[182:183], 1.0
	v_fmac_f64_e32 v[182:183], v[182:183], v[186:187]
	v_fma_f64 v[186:187], -v[180:181], v[182:183], 1.0
	v_fmac_f64_e32 v[182:183], v[182:183], v[186:187]
	v_mul_f64 v[186:187], v[184:185], v[182:183]
	v_fma_f64 v[180:181], -v[180:181], v[186:187], v[184:185]
	v_div_fmas_f64 v[180:181], v[180:181], v[182:183], v[186:187]
	v_div_fixup_f64 v[180:181], v[180:181], v[164:165], v[166:167]
	v_fmac_f64_e32 v[164:165], v[166:167], v[180:181]
	v_div_scale_f64 v[166:167], s[18:19], v[164:165], v[164:165], 1.0
	v_rcp_f64_e32 v[182:183], v[166:167]
	s_nop 0
	v_fma_f64 v[184:185], -v[166:167], v[182:183], 1.0
	v_fmac_f64_e32 v[182:183], v[182:183], v[184:185]
	v_fma_f64 v[184:185], -v[166:167], v[182:183], 1.0
	v_fmac_f64_e32 v[182:183], v[182:183], v[184:185]
	v_div_scale_f64 v[184:185], vcc, 1.0, v[164:165], 1.0
	v_mul_f64 v[186:187], v[184:185], v[182:183]
	v_fma_f64 v[166:167], -v[166:167], v[186:187], v[184:185]
	s_nop 1
	v_div_fmas_f64 v[166:167], v[166:167], v[182:183], v[186:187]
	v_div_fixup_f64 v[164:165], v[166:167], v[164:165], 1.0
	v_mul_f64 v[166:167], v[180:181], -v[164:165]
.LBB80_807:
	s_or_b64 exec, exec, s[16:17]
.LBB80_808:
	s_or_b64 exec, exec, s[0:1]
	v_cmp_ne_u32_e32 vcc, v177, v174
	s_and_saveexec_b64 s[0:1], vcc
	s_xor_b64 s[0:1], exec, s[0:1]
	s_cbranch_execz .LBB80_814
; %bb.809:
	v_cmp_eq_u32_e32 vcc, 38, v177
	s_and_saveexec_b64 s[16:17], vcc
	s_cbranch_execz .LBB80_813
; %bb.810:
	v_cmp_ne_u32_e32 vcc, 38, v174
	s_xor_b64 s[18:19], s[14:15], -1
	s_and_b64 s[22:23], s[18:19], vcc
	s_and_saveexec_b64 s[18:19], s[22:23]
	s_cbranch_execz .LBB80_812
; %bb.811:
	v_ashrrev_i32_e32 v175, 31, v174
	v_lshl_add_u64 v[180:181], v[174:175], 2, v[172:173]
	global_load_dword v175, v[180:181], off
	global_load_dword v177, v[172:173], off offset:152
	s_waitcnt vmcnt(1)
	global_store_dword v[172:173], v175, off offset:152
	s_waitcnt vmcnt(1)
	global_store_dword v[180:181], v177, off
.LBB80_812:
	s_or_b64 exec, exec, s[18:19]
	v_mov_b32_e32 v177, v174
	v_mov_b32_e32 v179, v174
.LBB80_813:
	s_or_b64 exec, exec, s[16:17]
.LBB80_814:
	s_andn2_saveexec_b64 s[0:1], s[0:1]
	s_cbranch_execz .LBB80_816
; %bb.815:
	v_mov_b32_e32 v177, 38
	s_waitcnt vmcnt(1)
	ds_write2_b64 v176, v[0:1], v[2:3] offset0:78 offset1:79
	s_waitcnt vmcnt(0)
	ds_write2_b64 v176, v[160:161], v[162:163] offset0:80 offset1:81
.LBB80_816:
	s_or_b64 exec, exec, s[0:1]
	v_cmp_lt_i32_e32 vcc, 38, v177
	s_waitcnt lgkmcnt(0)
	s_barrier
	s_and_saveexec_b64 s[0:1], vcc
	s_cbranch_execz .LBB80_818
; %bb.817:
	ds_read2_b64 v[180:183], v176 offset0:78 offset1:79
	v_mul_f64 v[174:175], v[164:165], v[6:7]
	v_mul_f64 v[6:7], v[166:167], v[6:7]
	v_fmac_f64_e32 v[174:175], v[166:167], v[4:5]
	v_fma_f64 v[4:5], v[164:165], v[4:5], -v[6:7]
	ds_read2_b64 v[164:167], v176 offset0:80 offset1:81
	s_waitcnt lgkmcnt(1)
	v_mul_f64 v[6:7], v[182:183], v[174:175]
	v_fma_f64 v[6:7], v[180:181], v[4:5], -v[6:7]
	s_waitcnt vmcnt(1)
	v_add_f64 v[0:1], v[0:1], -v[6:7]
	v_mul_f64 v[180:181], v[180:181], v[174:175]
	s_waitcnt lgkmcnt(0)
	v_mul_f64 v[6:7], v[166:167], v[174:175]
	v_fma_f64 v[6:7], v[164:165], v[4:5], -v[6:7]
	v_mul_f64 v[164:165], v[164:165], v[174:175]
	v_fmac_f64_e32 v[180:181], v[182:183], v[4:5]
	v_fmac_f64_e32 v[164:165], v[166:167], v[4:5]
	v_add_f64 v[2:3], v[2:3], -v[180:181]
	s_waitcnt vmcnt(0)
	v_add_f64 v[160:161], v[160:161], -v[6:7]
	v_add_f64 v[162:163], v[162:163], -v[164:165]
	v_mov_b64_e32 v[6:7], v[174:175]
.LBB80_818:
	s_or_b64 exec, exec, s[0:1]
	v_lshl_add_u32 v164, v177, 4, v176
	s_barrier
	s_waitcnt vmcnt(1)
	ds_write2_b64 v164, v[0:1], v[2:3] offset1:1
	s_waitcnt lgkmcnt(0)
	s_barrier
	ds_read2_b64 v[164:167], v176 offset0:78 offset1:79
	s_cmp_lt_i32 s20, 41
	v_mov_b32_e32 v174, 39
	s_cbranch_scc1 .LBB80_821
; %bb.819:
	v_add_u32_e32 v175, 0x280, v176
	s_mov_b32 s16, 40
	v_mov_b32_e32 v174, 39
.LBB80_820:                             ; =>This Inner Loop Header: Depth=1
	ds_read2_b64 v[180:183], v175 offset1:1
	s_waitcnt lgkmcnt(1)
	v_xor_b32_e32 v185, 0x80000000, v165
	v_xor_b32_e32 v187, 0x80000000, v167
	v_cmp_gt_f64_e32 vcc, 0, v[166:167]
	v_cmp_gt_f64_e64 s[0:1], 0, v[164:165]
	v_mov_b32_e32 v184, v164
	v_mov_b32_e32 v186, v166
	v_cndmask_b32_e64 v185, v165, v185, s[0:1]
	v_cndmask_b32_e32 v187, v167, v187, vcc
	v_add_f64 v[184:185], v[184:185], v[186:187]
	s_waitcnt lgkmcnt(0)
	v_xor_b32_e32 v187, 0x80000000, v181
	v_xor_b32_e32 v189, 0x80000000, v183
	v_cmp_gt_f64_e32 vcc, 0, v[182:183]
	v_cmp_gt_f64_e64 s[0:1], 0, v[180:181]
	v_mov_b32_e32 v186, v180
	v_mov_b32_e32 v188, v182
	v_cndmask_b32_e64 v187, v181, v187, s[0:1]
	v_cndmask_b32_e32 v189, v183, v189, vcc
	v_add_f64 v[186:187], v[186:187], v[188:189]
	v_mov_b32_e32 v190, s16
	s_add_i32 s16, s16, 1
	v_cmp_lt_f64_e32 vcc, v[184:185], v[186:187]
	v_add_u32_e32 v175, 16, v175
	s_cmp_lg_u32 s20, s16
	v_cndmask_b32_e32 v165, v165, v181, vcc
	v_cndmask_b32_e32 v164, v164, v180, vcc
	;; [unrolled: 1-line block ×5, first 2 shown]
	s_cbranch_scc1 .LBB80_820
.LBB80_821:
	s_waitcnt lgkmcnt(0)
	v_cmp_eq_f64_e32 vcc, 0, v[164:165]
	v_cmp_eq_f64_e64 s[0:1], 0, v[166:167]
	s_and_b64 s[0:1], vcc, s[0:1]
	s_and_saveexec_b64 s[16:17], s[0:1]
	s_xor_b64 s[0:1], exec, s[16:17]
; %bb.822:
	v_cmp_ne_u32_e32 vcc, 0, v178
	s_nop 1
	v_cndmask_b32_e32 v178, 40, v178, vcc
; %bb.823:
	s_andn2_saveexec_b64 s[0:1], s[0:1]
	s_cbranch_execz .LBB80_829
; %bb.824:
	v_cmp_ngt_f64_e64 s[16:17], |v[164:165]|, |v[166:167]|
	s_and_saveexec_b64 s[18:19], s[16:17]
	s_xor_b64 s[16:17], exec, s[18:19]
	s_cbranch_execz .LBB80_826
; %bb.825:
	v_div_scale_f64 v[180:181], s[18:19], v[166:167], v[166:167], v[164:165]
	v_rcp_f64_e32 v[182:183], v[180:181]
	v_div_scale_f64 v[184:185], vcc, v[164:165], v[166:167], v[164:165]
	v_fma_f64 v[186:187], -v[180:181], v[182:183], 1.0
	v_fmac_f64_e32 v[182:183], v[182:183], v[186:187]
	v_fma_f64 v[186:187], -v[180:181], v[182:183], 1.0
	v_fmac_f64_e32 v[182:183], v[182:183], v[186:187]
	v_mul_f64 v[186:187], v[184:185], v[182:183]
	v_fma_f64 v[180:181], -v[180:181], v[186:187], v[184:185]
	v_div_fmas_f64 v[180:181], v[180:181], v[182:183], v[186:187]
	v_div_fixup_f64 v[180:181], v[180:181], v[166:167], v[164:165]
	v_fmac_f64_e32 v[166:167], v[164:165], v[180:181]
	v_div_scale_f64 v[164:165], s[18:19], v[166:167], v[166:167], 1.0
	v_rcp_f64_e32 v[182:183], v[164:165]
	s_nop 0
	v_fma_f64 v[184:185], -v[164:165], v[182:183], 1.0
	v_fmac_f64_e32 v[182:183], v[182:183], v[184:185]
	v_fma_f64 v[184:185], -v[164:165], v[182:183], 1.0
	v_fmac_f64_e32 v[182:183], v[182:183], v[184:185]
	v_div_scale_f64 v[184:185], vcc, 1.0, v[166:167], 1.0
	v_mul_f64 v[186:187], v[184:185], v[182:183]
	v_fma_f64 v[164:165], -v[164:165], v[186:187], v[184:185]
	s_nop 1
	v_div_fmas_f64 v[164:165], v[164:165], v[182:183], v[186:187]
	v_div_fixup_f64 v[166:167], v[164:165], v[166:167], 1.0
	v_mul_f64 v[164:165], v[180:181], v[166:167]
	v_xor_b32_e32 v167, 0x80000000, v167
.LBB80_826:
	s_andn2_saveexec_b64 s[16:17], s[16:17]
	s_cbranch_execz .LBB80_828
; %bb.827:
	v_div_scale_f64 v[180:181], s[18:19], v[164:165], v[164:165], v[166:167]
	v_rcp_f64_e32 v[182:183], v[180:181]
	v_div_scale_f64 v[184:185], vcc, v[166:167], v[164:165], v[166:167]
	v_fma_f64 v[186:187], -v[180:181], v[182:183], 1.0
	v_fmac_f64_e32 v[182:183], v[182:183], v[186:187]
	v_fma_f64 v[186:187], -v[180:181], v[182:183], 1.0
	v_fmac_f64_e32 v[182:183], v[182:183], v[186:187]
	v_mul_f64 v[186:187], v[184:185], v[182:183]
	v_fma_f64 v[180:181], -v[180:181], v[186:187], v[184:185]
	v_div_fmas_f64 v[180:181], v[180:181], v[182:183], v[186:187]
	v_div_fixup_f64 v[180:181], v[180:181], v[164:165], v[166:167]
	v_fmac_f64_e32 v[164:165], v[166:167], v[180:181]
	v_div_scale_f64 v[166:167], s[18:19], v[164:165], v[164:165], 1.0
	v_rcp_f64_e32 v[182:183], v[166:167]
	s_nop 0
	v_fma_f64 v[184:185], -v[166:167], v[182:183], 1.0
	v_fmac_f64_e32 v[182:183], v[182:183], v[184:185]
	v_fma_f64 v[184:185], -v[166:167], v[182:183], 1.0
	v_fmac_f64_e32 v[182:183], v[182:183], v[184:185]
	v_div_scale_f64 v[184:185], vcc, 1.0, v[164:165], 1.0
	v_mul_f64 v[186:187], v[184:185], v[182:183]
	v_fma_f64 v[166:167], -v[166:167], v[186:187], v[184:185]
	s_nop 1
	v_div_fmas_f64 v[166:167], v[166:167], v[182:183], v[186:187]
	v_div_fixup_f64 v[164:165], v[166:167], v[164:165], 1.0
	v_mul_f64 v[166:167], v[180:181], -v[164:165]
.LBB80_828:
	s_or_b64 exec, exec, s[16:17]
.LBB80_829:
	s_or_b64 exec, exec, s[0:1]
	v_cmp_ne_u32_e32 vcc, v177, v174
	s_and_saveexec_b64 s[0:1], vcc
	s_xor_b64 s[0:1], exec, s[0:1]
	s_cbranch_execz .LBB80_835
; %bb.830:
	v_cmp_eq_u32_e32 vcc, 39, v177
	s_and_saveexec_b64 s[16:17], vcc
	s_cbranch_execz .LBB80_834
; %bb.831:
	v_cmp_ne_u32_e32 vcc, 39, v174
	s_xor_b64 s[18:19], s[14:15], -1
	s_and_b64 s[22:23], s[18:19], vcc
	s_and_saveexec_b64 s[18:19], s[22:23]
	s_cbranch_execz .LBB80_833
; %bb.832:
	v_ashrrev_i32_e32 v175, 31, v174
	v_lshl_add_u64 v[180:181], v[174:175], 2, v[172:173]
	global_load_dword v175, v[180:181], off
	global_load_dword v177, v[172:173], off offset:156
	s_waitcnt vmcnt(1)
	global_store_dword v[172:173], v175, off offset:156
	s_waitcnt vmcnt(1)
	global_store_dword v[180:181], v177, off
.LBB80_833:
	s_or_b64 exec, exec, s[18:19]
	v_mov_b32_e32 v177, v174
	v_mov_b32_e32 v179, v174
.LBB80_834:
	s_or_b64 exec, exec, s[16:17]
.LBB80_835:
	s_andn2_saveexec_b64 s[0:1], s[0:1]
	s_cbranch_execz .LBB80_837
; %bb.836:
	v_mov_b32_e32 v177, 39
	s_waitcnt vmcnt(0)
	ds_write2_b64 v176, v[160:161], v[162:163] offset0:80 offset1:81
.LBB80_837:
	s_or_b64 exec, exec, s[0:1]
	v_cmp_lt_i32_e32 vcc, 39, v177
	s_waitcnt lgkmcnt(0)
	s_barrier
	s_and_saveexec_b64 s[0:1], vcc
	s_cbranch_execz .LBB80_839
; %bb.838:
	ds_read2_b64 v[180:183], v176 offset0:80 offset1:81
	v_mul_f64 v[174:175], v[164:165], v[2:3]
	v_mul_f64 v[2:3], v[166:167], v[2:3]
	v_fmac_f64_e32 v[174:175], v[166:167], v[0:1]
	v_fma_f64 v[0:1], v[164:165], v[0:1], -v[2:3]
	s_waitcnt lgkmcnt(0)
	v_mul_f64 v[2:3], v[182:183], v[174:175]
	v_mul_f64 v[164:165], v[180:181], v[174:175]
	v_fma_f64 v[2:3], v[180:181], v[0:1], -v[2:3]
	v_fmac_f64_e32 v[164:165], v[182:183], v[0:1]
	s_waitcnt vmcnt(0)
	v_add_f64 v[160:161], v[160:161], -v[2:3]
	v_add_f64 v[162:163], v[162:163], -v[164:165]
	v_mov_b64_e32 v[2:3], v[174:175]
.LBB80_839:
	s_or_b64 exec, exec, s[0:1]
	v_lshl_add_u32 v164, v177, 4, v176
	s_barrier
	s_waitcnt vmcnt(0)
	ds_write2_b64 v164, v[160:161], v[162:163] offset1:1
	s_waitcnt lgkmcnt(0)
	s_barrier
	ds_read2_b64 v[164:167], v176 offset0:80 offset1:81
	s_cmp_lt_i32 s20, 42
	v_mov_b32_e32 v174, 40
	s_cbranch_scc1 .LBB80_842
; %bb.840:
	v_add_u32_e32 v175, 0x290, v176
	s_mov_b32 s16, 41
	v_mov_b32_e32 v174, 40
.LBB80_841:                             ; =>This Inner Loop Header: Depth=1
	ds_read2_b64 v[180:183], v175 offset1:1
	s_waitcnt lgkmcnt(1)
	v_xor_b32_e32 v176, 0x80000000, v165
	v_xor_b32_e32 v187, 0x80000000, v167
	v_cmp_gt_f64_e32 vcc, 0, v[166:167]
	v_cmp_gt_f64_e64 s[0:1], 0, v[164:165]
	v_mov_b32_e32 v184, v164
	v_mov_b32_e32 v186, v166
	v_cndmask_b32_e64 v185, v165, v176, s[0:1]
	v_cndmask_b32_e32 v187, v167, v187, vcc
	s_waitcnt lgkmcnt(0)
	v_xor_b32_e32 v176, 0x80000000, v181
	v_xor_b32_e32 v189, 0x80000000, v183
	v_cmp_gt_f64_e32 vcc, 0, v[182:183]
	v_cmp_gt_f64_e64 s[0:1], 0, v[180:181]
	v_add_f64 v[184:185], v[184:185], v[186:187]
	v_mov_b32_e32 v186, v180
	v_mov_b32_e32 v188, v182
	v_cndmask_b32_e64 v187, v181, v176, s[0:1]
	v_cndmask_b32_e32 v189, v183, v189, vcc
	v_add_f64 v[186:187], v[186:187], v[188:189]
	v_mov_b32_e32 v190, s16
	s_add_i32 s16, s16, 1
	v_cmp_lt_f64_e32 vcc, v[184:185], v[186:187]
	v_add_u32_e32 v175, 16, v175
	s_cmp_lg_u32 s20, s16
	v_cndmask_b32_e32 v165, v165, v181, vcc
	v_cndmask_b32_e32 v164, v164, v180, vcc
	;; [unrolled: 1-line block ×5, first 2 shown]
	s_cbranch_scc1 .LBB80_841
.LBB80_842:
	s_waitcnt lgkmcnt(0)
	v_cmp_eq_f64_e32 vcc, 0, v[164:165]
	v_cmp_eq_f64_e64 s[0:1], 0, v[166:167]
	s_and_b64 s[0:1], vcc, s[0:1]
	s_and_saveexec_b64 s[16:17], s[0:1]
	s_xor_b64 s[0:1], exec, s[16:17]
; %bb.843:
	v_cmp_ne_u32_e32 vcc, 0, v178
	s_nop 1
	v_cndmask_b32_e32 v178, 41, v178, vcc
; %bb.844:
	s_andn2_saveexec_b64 s[0:1], s[0:1]
	s_cbranch_execz .LBB80_850
; %bb.845:
	v_cmp_ngt_f64_e64 s[16:17], |v[164:165]|, |v[166:167]|
	s_and_saveexec_b64 s[18:19], s[16:17]
	s_xor_b64 s[16:17], exec, s[18:19]
	s_cbranch_execz .LBB80_847
; %bb.846:
	v_div_scale_f64 v[180:181], s[18:19], v[166:167], v[166:167], v[164:165]
	v_rcp_f64_e32 v[182:183], v[180:181]
	v_div_scale_f64 v[184:185], vcc, v[164:165], v[166:167], v[164:165]
	v_fma_f64 v[186:187], -v[180:181], v[182:183], 1.0
	v_fmac_f64_e32 v[182:183], v[182:183], v[186:187]
	v_fma_f64 v[186:187], -v[180:181], v[182:183], 1.0
	v_fmac_f64_e32 v[182:183], v[182:183], v[186:187]
	v_mul_f64 v[186:187], v[184:185], v[182:183]
	v_fma_f64 v[180:181], -v[180:181], v[186:187], v[184:185]
	v_div_fmas_f64 v[180:181], v[180:181], v[182:183], v[186:187]
	v_div_fixup_f64 v[180:181], v[180:181], v[166:167], v[164:165]
	v_fmac_f64_e32 v[166:167], v[164:165], v[180:181]
	v_div_scale_f64 v[164:165], s[18:19], v[166:167], v[166:167], 1.0
	v_rcp_f64_e32 v[182:183], v[164:165]
	s_nop 0
	v_fma_f64 v[184:185], -v[164:165], v[182:183], 1.0
	v_fmac_f64_e32 v[182:183], v[182:183], v[184:185]
	v_fma_f64 v[184:185], -v[164:165], v[182:183], 1.0
	v_fmac_f64_e32 v[182:183], v[182:183], v[184:185]
	v_div_scale_f64 v[184:185], vcc, 1.0, v[166:167], 1.0
	v_mul_f64 v[186:187], v[184:185], v[182:183]
	v_fma_f64 v[164:165], -v[164:165], v[186:187], v[184:185]
	s_nop 1
	v_div_fmas_f64 v[164:165], v[164:165], v[182:183], v[186:187]
	v_div_fixup_f64 v[166:167], v[164:165], v[166:167], 1.0
	v_mul_f64 v[164:165], v[180:181], v[166:167]
	v_xor_b32_e32 v167, 0x80000000, v167
.LBB80_847:
	s_andn2_saveexec_b64 s[16:17], s[16:17]
	s_cbranch_execz .LBB80_849
; %bb.848:
	v_div_scale_f64 v[180:181], s[18:19], v[164:165], v[164:165], v[166:167]
	v_rcp_f64_e32 v[182:183], v[180:181]
	v_div_scale_f64 v[184:185], vcc, v[166:167], v[164:165], v[166:167]
	v_fma_f64 v[186:187], -v[180:181], v[182:183], 1.0
	v_fmac_f64_e32 v[182:183], v[182:183], v[186:187]
	v_fma_f64 v[186:187], -v[180:181], v[182:183], 1.0
	v_fmac_f64_e32 v[182:183], v[182:183], v[186:187]
	v_mul_f64 v[186:187], v[184:185], v[182:183]
	v_fma_f64 v[180:181], -v[180:181], v[186:187], v[184:185]
	v_div_fmas_f64 v[180:181], v[180:181], v[182:183], v[186:187]
	v_div_fixup_f64 v[180:181], v[180:181], v[164:165], v[166:167]
	v_fmac_f64_e32 v[164:165], v[166:167], v[180:181]
	v_div_scale_f64 v[166:167], s[18:19], v[164:165], v[164:165], 1.0
	v_rcp_f64_e32 v[182:183], v[166:167]
	s_nop 0
	v_fma_f64 v[184:185], -v[166:167], v[182:183], 1.0
	v_fmac_f64_e32 v[182:183], v[182:183], v[184:185]
	v_fma_f64 v[184:185], -v[166:167], v[182:183], 1.0
	v_fmac_f64_e32 v[182:183], v[182:183], v[184:185]
	v_div_scale_f64 v[184:185], vcc, 1.0, v[164:165], 1.0
	v_mul_f64 v[186:187], v[184:185], v[182:183]
	v_fma_f64 v[166:167], -v[166:167], v[186:187], v[184:185]
	s_nop 1
	v_div_fmas_f64 v[166:167], v[166:167], v[182:183], v[186:187]
	v_div_fixup_f64 v[164:165], v[166:167], v[164:165], 1.0
	v_mul_f64 v[166:167], v[180:181], -v[164:165]
.LBB80_849:
	s_or_b64 exec, exec, s[16:17]
.LBB80_850:
	s_or_b64 exec, exec, s[0:1]
	v_cmp_ne_u32_e32 vcc, v177, v174
	v_mov_b32_e32 v176, 40
	s_and_saveexec_b64 s[0:1], vcc
	s_cbranch_execz .LBB80_856
; %bb.851:
	v_cmp_eq_u32_e32 vcc, 40, v177
	s_and_saveexec_b64 s[16:17], vcc
	s_cbranch_execz .LBB80_855
; %bb.852:
	v_cmp_ne_u32_e32 vcc, 40, v174
	s_xor_b64 s[14:15], s[14:15], -1
	s_and_b64 s[18:19], s[14:15], vcc
	s_and_saveexec_b64 s[14:15], s[18:19]
	s_cbranch_execz .LBB80_854
; %bb.853:
	v_ashrrev_i32_e32 v175, 31, v174
	v_lshl_add_u64 v[176:177], v[174:175], 2, v[172:173]
	global_load_dword v175, v[176:177], off
	global_load_dword v179, v[172:173], off offset:160
	s_waitcnt vmcnt(1)
	global_store_dword v[172:173], v175, off offset:160
	s_waitcnt vmcnt(1)
	global_store_dword v[176:177], v179, off
.LBB80_854:
	s_or_b64 exec, exec, s[14:15]
	v_mov_b32_e32 v177, v174
	v_mov_b32_e32 v179, v174
.LBB80_855:
	s_or_b64 exec, exec, s[16:17]
	v_mov_b32_e32 v176, v177
.LBB80_856:
	s_or_b64 exec, exec, s[0:1]
	v_cmp_gt_i32_e32 vcc, 41, v176
	v_ashrrev_i32_e32 v177, 31, v176
	s_barrier
	s_barrier
	s_and_saveexec_b64 s[0:1], vcc
	s_cbranch_execz .LBB80_858
; %bb.857:
	v_mov_b32_e32 v172, s6
	v_mov_b32_e32 v173, s7
	v_mul_lo_u32 v180, s11, v170
	v_mul_lo_u32 v181, s10, v171
	v_mad_u64_u32 v[174:175], s[6:7], s10, v170, 0
	v_add3_u32 v175, v175, v181, v180
	v_lshl_add_u64 v[172:173], v[174:175], 2, v[172:173]
	v_lshl_add_u64 v[172:173], s[8:9], 2, v[172:173]
	;; [unrolled: 1-line block ×3, first 2 shown]
	v_add3_u32 v174, v179, s13, 1
	global_store_dword v[172:173], v174, off
.LBB80_858:
	s_or_b64 exec, exec, s[0:1]
	v_cmp_eq_u32_e32 vcc, 0, v176
	s_and_saveexec_b64 s[6:7], vcc
	s_cbranch_execz .LBB80_861
; %bb.859:
	v_mov_b32_e32 v172, s4
	v_mov_b32_e32 v173, s5
	v_lshl_add_u64 v[170:171], v[170:171], 2, v[172:173]
	global_load_dword v172, v[170:171], off
	v_cmp_ne_u32_e64 s[0:1], 0, v178
	s_waitcnt vmcnt(0)
	v_cmp_eq_u32_e32 vcc, 0, v172
	s_and_b64 s[0:1], vcc, s[0:1]
	s_and_b64 exec, exec, s[0:1]
	s_cbranch_execz .LBB80_861
; %bb.860:
	v_add_u32_e32 v172, s13, v178
	global_store_dword v[170:171], v172, off
.LBB80_861:
	s_or_b64 exec, exec, s[6:7]
	v_mul_f64 v[170:171], v[166:167], v[162:163]
	v_fma_f64 v[170:171], v[164:165], v[160:161], -v[170:171]
	v_mul_f64 v[164:165], v[164:165], v[162:163]
	v_fmac_f64_e32 v[164:165], v[166:167], v[160:161]
	v_cmp_lt_i32_e32 vcc, 40, v176
	s_nop 1
	v_cndmask_b32_e32 v163, v163, v165, vcc
	v_cndmask_b32_e32 v162, v162, v164, vcc
	v_lshl_add_u64 v[164:165], v[176:177], 4, v[168:169]
	global_store_dwordx4 v[164:165], v[108:111], off
	v_cndmask_b32_e32 v161, v161, v171, vcc
	v_cndmask_b32_e32 v160, v160, v170, vcc
	v_lshl_add_u64 v[108:109], s[2:3], 4, v[164:165]
	global_store_dwordx4 v[108:109], v[100:103], off
	s_nop 1
	v_add_u32_e32 v100, s12, v176
	v_ashrrev_i32_e32 v101, 31, v100
	v_lshl_add_u64 v[102:103], v[100:101], 4, v[168:169]
	v_add_u32_e32 v100, s2, v100
	v_ashrrev_i32_e32 v101, 31, v100
	global_store_dwordx4 v[102:103], v[156:159], off
	v_lshl_add_u64 v[102:103], v[100:101], 4, v[168:169]
	v_add_u32_e32 v100, s2, v100
	v_ashrrev_i32_e32 v101, 31, v100
	global_store_dwordx4 v[102:103], v[152:155], off
	;; [unrolled: 4-line block ×13, first 2 shown]
	v_lshl_add_u64 v[102:103], v[100:101], 4, v[168:169]
	global_store_dwordx4 v[102:103], v[96:99], off
	s_nop 1
	v_add_u32_e32 v96, s2, v100
	v_ashrrev_i32_e32 v97, 31, v96
	v_lshl_add_u64 v[98:99], v[96:97], 4, v[168:169]
	global_store_dwordx4 v[98:99], v[92:95], off
	s_nop 1
	v_add_u32_e32 v92, s2, v96
	v_ashrrev_i32_e32 v93, 31, v92
	;; [unrolled: 5-line block ×25, first 2 shown]
	v_lshl_add_u64 v[0:1], v[0:1], 4, v[168:169]
	global_store_dwordx4 v[0:1], v[160:163], off
.LBB80_862:
	s_endpgm
	.section	.rodata,"a",@progbits
	.p2align	6, 0x0
	.amdhsa_kernel _ZN9rocsolver6v33100L18getf2_small_kernelILi41E19rocblas_complex_numIdEiiPS3_EEvT1_T3_lS5_lPS5_llPT2_S5_S5_S7_l
		.amdhsa_group_segment_fixed_size 0
		.amdhsa_private_segment_fixed_size 0
		.amdhsa_kernarg_size 352
		.amdhsa_user_sgpr_count 2
		.amdhsa_user_sgpr_dispatch_ptr 0
		.amdhsa_user_sgpr_queue_ptr 0
		.amdhsa_user_sgpr_kernarg_segment_ptr 1
		.amdhsa_user_sgpr_dispatch_id 0
		.amdhsa_user_sgpr_kernarg_preload_length 0
		.amdhsa_user_sgpr_kernarg_preload_offset 0
		.amdhsa_user_sgpr_private_segment_size 0
		.amdhsa_uses_dynamic_stack 0
		.amdhsa_enable_private_segment 0
		.amdhsa_system_sgpr_workgroup_id_x 1
		.amdhsa_system_sgpr_workgroup_id_y 1
		.amdhsa_system_sgpr_workgroup_id_z 0
		.amdhsa_system_sgpr_workgroup_info 0
		.amdhsa_system_vgpr_workitem_id 1
		.amdhsa_next_free_vgpr 200
		.amdhsa_next_free_sgpr 24
		.amdhsa_accum_offset 200
		.amdhsa_reserve_vcc 1
		.amdhsa_float_round_mode_32 0
		.amdhsa_float_round_mode_16_64 0
		.amdhsa_float_denorm_mode_32 3
		.amdhsa_float_denorm_mode_16_64 3
		.amdhsa_dx10_clamp 1
		.amdhsa_ieee_mode 1
		.amdhsa_fp16_overflow 0
		.amdhsa_tg_split 0
		.amdhsa_exception_fp_ieee_invalid_op 0
		.amdhsa_exception_fp_denorm_src 0
		.amdhsa_exception_fp_ieee_div_zero 0
		.amdhsa_exception_fp_ieee_overflow 0
		.amdhsa_exception_fp_ieee_underflow 0
		.amdhsa_exception_fp_ieee_inexact 0
		.amdhsa_exception_int_div_zero 0
	.end_amdhsa_kernel
	.section	.text._ZN9rocsolver6v33100L18getf2_small_kernelILi41E19rocblas_complex_numIdEiiPS3_EEvT1_T3_lS5_lPS5_llPT2_S5_S5_S7_l,"axG",@progbits,_ZN9rocsolver6v33100L18getf2_small_kernelILi41E19rocblas_complex_numIdEiiPS3_EEvT1_T3_lS5_lPS5_llPT2_S5_S5_S7_l,comdat
.Lfunc_end80:
	.size	_ZN9rocsolver6v33100L18getf2_small_kernelILi41E19rocblas_complex_numIdEiiPS3_EEvT1_T3_lS5_lPS5_llPT2_S5_S5_S7_l, .Lfunc_end80-_ZN9rocsolver6v33100L18getf2_small_kernelILi41E19rocblas_complex_numIdEiiPS3_EEvT1_T3_lS5_lPS5_llPT2_S5_S5_S7_l
                                        ; -- End function
	.set _ZN9rocsolver6v33100L18getf2_small_kernelILi41E19rocblas_complex_numIdEiiPS3_EEvT1_T3_lS5_lPS5_llPT2_S5_S5_S7_l.num_vgpr, 200
	.set _ZN9rocsolver6v33100L18getf2_small_kernelILi41E19rocblas_complex_numIdEiiPS3_EEvT1_T3_lS5_lPS5_llPT2_S5_S5_S7_l.num_agpr, 0
	.set _ZN9rocsolver6v33100L18getf2_small_kernelILi41E19rocblas_complex_numIdEiiPS3_EEvT1_T3_lS5_lPS5_llPT2_S5_S5_S7_l.numbered_sgpr, 24
	.set _ZN9rocsolver6v33100L18getf2_small_kernelILi41E19rocblas_complex_numIdEiiPS3_EEvT1_T3_lS5_lPS5_llPT2_S5_S5_S7_l.num_named_barrier, 0
	.set _ZN9rocsolver6v33100L18getf2_small_kernelILi41E19rocblas_complex_numIdEiiPS3_EEvT1_T3_lS5_lPS5_llPT2_S5_S5_S7_l.private_seg_size, 0
	.set _ZN9rocsolver6v33100L18getf2_small_kernelILi41E19rocblas_complex_numIdEiiPS3_EEvT1_T3_lS5_lPS5_llPT2_S5_S5_S7_l.uses_vcc, 1
	.set _ZN9rocsolver6v33100L18getf2_small_kernelILi41E19rocblas_complex_numIdEiiPS3_EEvT1_T3_lS5_lPS5_llPT2_S5_S5_S7_l.uses_flat_scratch, 0
	.set _ZN9rocsolver6v33100L18getf2_small_kernelILi41E19rocblas_complex_numIdEiiPS3_EEvT1_T3_lS5_lPS5_llPT2_S5_S5_S7_l.has_dyn_sized_stack, 0
	.set _ZN9rocsolver6v33100L18getf2_small_kernelILi41E19rocblas_complex_numIdEiiPS3_EEvT1_T3_lS5_lPS5_llPT2_S5_S5_S7_l.has_recursion, 0
	.set _ZN9rocsolver6v33100L18getf2_small_kernelILi41E19rocblas_complex_numIdEiiPS3_EEvT1_T3_lS5_lPS5_llPT2_S5_S5_S7_l.has_indirect_call, 0
	.section	.AMDGPU.csdata,"",@progbits
; Kernel info:
; codeLenInByte = 96940
; TotalNumSgprs: 30
; NumVgprs: 200
; NumAgprs: 0
; TotalNumVgprs: 200
; ScratchSize: 0
; MemoryBound: 0
; FloatMode: 240
; IeeeMode: 1
; LDSByteSize: 0 bytes/workgroup (compile time only)
; SGPRBlocks: 3
; VGPRBlocks: 24
; NumSGPRsForWavesPerEU: 30
; NumVGPRsForWavesPerEU: 200
; AccumOffset: 200
; Occupancy: 2
; WaveLimiterHint : 0
; COMPUTE_PGM_RSRC2:SCRATCH_EN: 0
; COMPUTE_PGM_RSRC2:USER_SGPR: 2
; COMPUTE_PGM_RSRC2:TRAP_HANDLER: 0
; COMPUTE_PGM_RSRC2:TGID_X_EN: 1
; COMPUTE_PGM_RSRC2:TGID_Y_EN: 1
; COMPUTE_PGM_RSRC2:TGID_Z_EN: 0
; COMPUTE_PGM_RSRC2:TIDIG_COMP_CNT: 1
; COMPUTE_PGM_RSRC3_GFX90A:ACCUM_OFFSET: 49
; COMPUTE_PGM_RSRC3_GFX90A:TG_SPLIT: 0
	.section	.text._ZN9rocsolver6v33100L23getf2_npvt_small_kernelILi41E19rocblas_complex_numIdEiiPS3_EEvT1_T3_lS5_lPT2_S5_S5_,"axG",@progbits,_ZN9rocsolver6v33100L23getf2_npvt_small_kernelILi41E19rocblas_complex_numIdEiiPS3_EEvT1_T3_lS5_lPT2_S5_S5_,comdat
	.globl	_ZN9rocsolver6v33100L23getf2_npvt_small_kernelILi41E19rocblas_complex_numIdEiiPS3_EEvT1_T3_lS5_lPT2_S5_S5_ ; -- Begin function _ZN9rocsolver6v33100L23getf2_npvt_small_kernelILi41E19rocblas_complex_numIdEiiPS3_EEvT1_T3_lS5_lPT2_S5_S5_
	.p2align	8
	.type	_ZN9rocsolver6v33100L23getf2_npvt_small_kernelILi41E19rocblas_complex_numIdEiiPS3_EEvT1_T3_lS5_lPT2_S5_S5_,@function
_ZN9rocsolver6v33100L23getf2_npvt_small_kernelILi41E19rocblas_complex_numIdEiiPS3_EEvT1_T3_lS5_lPT2_S5_S5_: ; @_ZN9rocsolver6v33100L23getf2_npvt_small_kernelILi41E19rocblas_complex_numIdEiiPS3_EEvT1_T3_lS5_lPT2_S5_S5_
; %bb.0:
	s_load_dword s2, s[0:1], 0x44
	s_load_dwordx2 s[8:9], s[0:1], 0x30
	v_bfe_u32 v164, v0, 10, 10
	s_waitcnt lgkmcnt(0)
	s_lshr_b32 s10, s2, 16
	s_mul_i32 s3, s3, s10
	v_add_u32_e32 v2, s3, v164
	v_cmp_gt_i32_e32 vcc, s8, v2
	s_and_saveexec_b64 s[2:3], vcc
	s_cbranch_execz .LBB81_372
; %bb.1:
	s_load_dwordx4 s[12:15], s[0:1], 0x8
	s_load_dword s2, s[0:1], 0x18
	s_load_dwordx4 s[4:7], s[0:1], 0x20
	v_ashrrev_i32_e32 v3, 31, v2
	scratch_store_dwordx2 off, v[2:3], off offset:664 ; 8-byte Folded Spill
	v_and_b32_e32 v236, 0x3ff, v0
	s_waitcnt lgkmcnt(0)
	v_mov_b32_e32 v0, s12
	v_mul_lo_u32 v4, s5, v2
	v_mul_lo_u32 v5, s4, v3
	v_mad_u64_u32 v[2:3], s[0:1], s4, v2, 0
	v_mov_b32_e32 v1, s13
	v_add3_u32 v3, v3, v5, v4
	v_lshl_add_u64 v[0:1], v[2:3], 4, v[0:1]
	v_lshl_add_u64 v[0:1], s[14:15], 4, v[0:1]
	v_lshlrev_b32_e32 v2, 4, v236
	v_mov_b32_e32 v3, 0
	v_lshl_add_u64 v[246:247], v[0:1], 0, v[2:3]
	global_load_dwordx4 v[44:47], v[246:247], off
	s_add_i32 s0, s2, s2
	v_add_u32_e32 v2, s0, v236
	v_ashrrev_i32_e32 v3, 31, v2
	v_lshl_add_u64 v[244:245], v[2:3], 4, v[0:1]
	v_add_u32_e32 v2, s2, v2
	v_ashrrev_i32_e32 v3, 31, v2
	v_lshl_add_u64 v[250:251], v[2:3], 4, v[0:1]
	v_add_u32_e32 v2, s2, v2
	v_ashrrev_i32_e32 v3, 31, v2
	v_lshl_add_u64 v[248:249], v[2:3], 4, v[0:1]
	v_add_u32_e32 v2, s2, v2
	v_ashrrev_i32_e32 v3, 31, v2
	v_lshl_add_u64 v[254:255], v[2:3], 4, v[0:1]
	v_add_u32_e32 v2, s2, v2
	v_ashrrev_i32_e32 v3, 31, v2
	v_lshl_add_u64 v[252:253], v[2:3], 4, v[0:1]
	v_add_u32_e32 v2, s2, v2
	v_ashrrev_i32_e32 v3, 31, v2
	v_lshl_add_u64 v[240:241], v[2:3], 4, v[0:1]
	v_add_u32_e32 v2, s2, v2
	v_ashrrev_i32_e32 v3, 31, v2
	v_lshl_add_u64 v[242:243], v[2:3], 4, v[0:1]
	v_add_u32_e32 v2, s2, v2
	v_ashrrev_i32_e32 v3, 31, v2
	v_lshl_add_u64 v[4:5], v[2:3], 4, v[0:1]
	v_add_u32_e32 v2, s2, v2
	v_ashrrev_i32_e32 v3, 31, v2
	v_lshl_add_u64 v[6:7], v[2:3], 4, v[0:1]
	v_add_u32_e32 v2, s2, v2
	v_ashrrev_i32_e32 v3, 31, v2
	v_lshl_add_u64 v[8:9], v[2:3], 4, v[0:1]
	v_add_u32_e32 v2, s2, v2
	v_ashrrev_i32_e32 v3, 31, v2
	v_lshl_add_u64 v[10:11], v[2:3], 4, v[0:1]
	v_add_u32_e32 v2, s2, v2
	v_ashrrev_i32_e32 v3, 31, v2
	v_lshl_add_u64 v[12:13], v[2:3], 4, v[0:1]
	v_add_u32_e32 v2, s2, v2
	v_ashrrev_i32_e32 v3, 31, v2
	v_lshl_add_u64 v[14:15], v[2:3], 4, v[0:1]
	v_add_u32_e32 v2, s2, v2
	v_ashrrev_i32_e32 v3, 31, v2
	v_lshl_add_u64 v[16:17], v[2:3], 4, v[0:1]
	v_add_u32_e32 v2, s2, v2
	v_ashrrev_i32_e32 v3, 31, v2
	v_lshl_add_u64 v[18:19], v[2:3], 4, v[0:1]
	v_add_u32_e32 v2, s2, v2
	v_ashrrev_i32_e32 v3, 31, v2
	v_lshl_add_u64 v[20:21], v[2:3], 4, v[0:1]
	v_add_u32_e32 v2, s2, v2
	v_ashrrev_i32_e32 v3, 31, v2
	v_lshl_add_u64 v[22:23], v[2:3], 4, v[0:1]
	v_add_u32_e32 v2, s2, v2
	v_ashrrev_i32_e32 v3, 31, v2
	v_lshl_add_u64 v[24:25], v[2:3], 4, v[0:1]
	v_add_u32_e32 v2, s2, v2
	v_ashrrev_i32_e32 v3, 31, v2
	v_lshl_add_u64 v[26:27], v[2:3], 4, v[0:1]
	v_add_u32_e32 v2, s2, v2
	v_ashrrev_i32_e32 v3, 31, v2
	v_lshl_add_u64 v[28:29], v[2:3], 4, v[0:1]
	v_add_u32_e32 v2, s2, v2
	v_ashrrev_i32_e32 v3, 31, v2
	v_lshl_add_u64 v[30:31], v[2:3], 4, v[0:1]
	v_add_u32_e32 v2, s2, v2
	v_ashrrev_i32_e32 v3, 31, v2
	v_lshl_add_u64 v[32:33], v[2:3], 4, v[0:1]
	v_add_u32_e32 v2, s2, v2
	v_ashrrev_i32_e32 v3, 31, v2
	v_lshl_add_u64 v[34:35], v[2:3], 4, v[0:1]
	v_add_u32_e32 v2, s2, v2
	v_ashrrev_i32_e32 v3, 31, v2
	v_lshl_add_u64 v[36:37], v[2:3], 4, v[0:1]
	v_add_u32_e32 v2, s2, v2
	v_ashrrev_i32_e32 v3, 31, v2
	v_lshl_add_u64 v[38:39], v[2:3], 4, v[0:1]
	v_add_u32_e32 v2, s2, v2
	v_ashrrev_i32_e32 v3, 31, v2
	v_lshl_add_u64 v[40:41], v[2:3], 4, v[0:1]
	v_add_u32_e32 v2, s2, v2
	v_ashrrev_i32_e32 v3, 31, v2
	v_lshl_add_u64 v[42:43], v[2:3], 4, v[0:1]
	v_add_u32_e32 v2, s2, v2
	v_ashrrev_i32_e32 v3, 31, v2
	v_lshl_add_u64 v[160:161], v[2:3], 4, v[0:1]
	v_add_u32_e32 v2, s2, v2
	v_ashrrev_i32_e32 v3, 31, v2
	v_lshl_add_u64 v[162:163], v[2:3], 4, v[0:1]
	v_add_u32_e32 v2, s2, v2
	v_ashrrev_i32_e32 v3, 31, v2
	v_lshl_add_u64 v[166:167], v[2:3], 4, v[0:1]
	v_add_u32_e32 v2, s2, v2
	v_ashrrev_i32_e32 v3, 31, v2
	v_lshl_add_u64 v[168:169], v[2:3], 4, v[0:1]
	v_add_u32_e32 v2, s2, v2
	v_ashrrev_i32_e32 v3, 31, v2
	v_lshl_add_u64 v[170:171], v[2:3], 4, v[0:1]
	v_add_u32_e32 v2, s2, v2
	v_ashrrev_i32_e32 v3, 31, v2
	v_lshl_add_u64 v[172:173], v[2:3], 4, v[0:1]
	v_add_u32_e32 v2, s2, v2
	v_ashrrev_i32_e32 v3, 31, v2
	v_lshl_add_u64 v[174:175], v[2:3], 4, v[0:1]
	v_add_u32_e32 v2, s2, v2
	v_ashrrev_i32_e32 v3, 31, v2
	v_lshl_add_u64 v[176:177], v[2:3], 4, v[0:1]
	v_add_u32_e32 v2, s2, v2
	v_ashrrev_i32_e32 v3, 31, v2
	v_lshl_add_u64 v[178:179], v[2:3], 4, v[0:1]
	v_add_u32_e32 v2, s2, v2
	v_ashrrev_i32_e32 v3, 31, v2
	v_lshl_add_u64 v[180:181], v[2:3], 4, v[0:1]
	v_add_u32_e32 v2, s2, v2
	v_ashrrev_i32_e32 v3, 31, v2
	v_lshl_add_u64 v[182:183], v[2:3], 4, v[0:1]
	v_add_u32_e32 v2, s2, v2
	v_ashrrev_i32_e32 v3, 31, v2
	s_ashr_i32 s3, s2, 31
	v_lshl_add_u64 v[184:185], v[2:3], 4, v[0:1]
	v_lshl_add_u64 v[0:1], s[2:3], 4, v[246:247]
	s_waitcnt vmcnt(0)
	scratch_store_dwordx4 off, v[44:47], off ; 16-byte Folded Spill
	scratch_store_dwordx2 off, v[0:1], off offset:272 ; 8-byte Folded Spill
	global_load_dwordx4 v[152:155], v[0:1], off
	global_load_dwordx4 v[148:151], v[244:245], off
	;; [unrolled: 1-line block ×29, first 2 shown]
	s_mulk_i32 s10, 0x290
	scratch_store_dwordx2 off, v[4:5], off offset:16 ; 8-byte Folded Spill
	scratch_store_dwordx2 off, v[6:7], off offset:24 ; 8-byte Folded Spill
	;; [unrolled: 1-line block ×21, first 2 shown]
	global_load_dwordx4 v[40:43], v[160:161], off
	s_movk_i32 s0, 0x290
	scratch_store_dwordx2 off, v[162:163], off offset:184 ; 8-byte Folded Spill
	global_load_dwordx4 v[36:39], v[162:163], off
	global_load_dwordx4 v[32:35], v[166:167], off
	global_load_dwordx4 v[28:31], v[168:169], off
	global_load_dwordx4 v[24:27], v[170:171], off
	global_load_dwordx4 v[20:23], v[172:173], off
	global_load_dwordx4 v[16:19], v[174:175], off
	global_load_dwordx4 v[12:15], v[176:177], off
	global_load_dwordx4 v[8:11], v[178:179], off
	global_load_dwordx4 v[4:7], v[180:181], off
	global_load_dwordx4 v[160:163], v[184:185], off
	s_add_i32 s1, s10, 0
	v_mad_u32_u24 v238, v164, s0, 0
	v_lshl_add_u32 v237, v164, 4, s1
	v_cmp_ne_u32_e64 s[2:3], 0, v236
	v_cmp_eq_u32_e64 s[0:1], 0, v236
	scratch_store_dwordx2 off, v[166:167], off offset:192 ; 8-byte Folded Spill
	scratch_store_dwordx2 off, v[168:169], off offset:200 ; 8-byte Folded Spill
	;; [unrolled: 1-line block ×10, first 2 shown]
	s_and_saveexec_b64 s[10:11], s[0:1]
	s_cbranch_execz .LBB81_8
; %bb.2:
	scratch_load_dwordx4 v[156:159], off, off ; 16-byte Folded Reload
	s_waitcnt vmcnt(0)
	ds_write2_b64 v237, v[156:157], v[158:159] offset1:1
	ds_write2_b64 v238, v[152:153], v[154:155] offset0:2 offset1:3
	ds_write2_b64 v238, v[148:149], v[150:151] offset0:4 offset1:5
	;; [unrolled: 1-line block ×40, first 2 shown]
	ds_read2_b64 v[164:167], v237 offset1:1
	s_waitcnt lgkmcnt(0)
	v_cmp_neq_f64_e32 vcc, 0, v[164:165]
	v_cmp_neq_f64_e64 s[4:5], 0, v[166:167]
	s_or_b64 s[4:5], vcc, s[4:5]
	s_and_b64 exec, exec, s[4:5]
	s_cbranch_execz .LBB81_8
; %bb.3:
	v_cmp_ngt_f64_e64 s[4:5], |v[164:165]|, |v[166:167]|
                                        ; implicit-def: $vgpr168_vgpr169
	s_and_saveexec_b64 s[12:13], s[4:5]
	s_xor_b64 s[4:5], exec, s[12:13]
                                        ; implicit-def: $vgpr170_vgpr171
	s_cbranch_execz .LBB81_5
; %bb.4:
	v_div_scale_f64 v[168:169], s[12:13], v[166:167], v[166:167], v[164:165]
	v_rcp_f64_e32 v[170:171], v[168:169]
	v_div_scale_f64 v[172:173], vcc, v[164:165], v[166:167], v[164:165]
	v_fma_f64 v[174:175], -v[168:169], v[170:171], 1.0
	v_fmac_f64_e32 v[170:171], v[170:171], v[174:175]
	v_fma_f64 v[174:175], -v[168:169], v[170:171], 1.0
	v_fmac_f64_e32 v[170:171], v[170:171], v[174:175]
	v_mul_f64 v[174:175], v[172:173], v[170:171]
	v_fma_f64 v[168:169], -v[168:169], v[174:175], v[172:173]
	v_div_fmas_f64 v[168:169], v[168:169], v[170:171], v[174:175]
	v_div_fixup_f64 v[168:169], v[168:169], v[166:167], v[164:165]
	v_fmac_f64_e32 v[166:167], v[164:165], v[168:169]
	v_div_scale_f64 v[164:165], s[12:13], v[166:167], v[166:167], 1.0
	v_rcp_f64_e32 v[170:171], v[164:165]
	s_nop 0
	v_fma_f64 v[172:173], -v[164:165], v[170:171], 1.0
	v_fmac_f64_e32 v[170:171], v[170:171], v[172:173]
	v_fma_f64 v[172:173], -v[164:165], v[170:171], 1.0
	v_fmac_f64_e32 v[170:171], v[170:171], v[172:173]
	v_div_scale_f64 v[172:173], vcc, 1.0, v[166:167], 1.0
	v_mul_f64 v[174:175], v[172:173], v[170:171]
	v_fma_f64 v[164:165], -v[164:165], v[174:175], v[172:173]
	s_nop 1
	v_div_fmas_f64 v[164:165], v[164:165], v[170:171], v[174:175]
	v_div_fixup_f64 v[170:171], v[164:165], v[166:167], 1.0
	v_mul_f64 v[168:169], v[168:169], v[170:171]
	v_xor_b32_e32 v171, 0x80000000, v171
                                        ; implicit-def: $vgpr164_vgpr165
.LBB81_5:
	s_andn2_saveexec_b64 s[4:5], s[4:5]
	s_cbranch_execz .LBB81_7
; %bb.6:
	v_div_scale_f64 v[168:169], s[12:13], v[164:165], v[164:165], v[166:167]
	v_rcp_f64_e32 v[170:171], v[168:169]
	v_div_scale_f64 v[172:173], vcc, v[166:167], v[164:165], v[166:167]
	v_fma_f64 v[174:175], -v[168:169], v[170:171], 1.0
	v_fmac_f64_e32 v[170:171], v[170:171], v[174:175]
	v_fma_f64 v[174:175], -v[168:169], v[170:171], 1.0
	v_fmac_f64_e32 v[170:171], v[170:171], v[174:175]
	v_mul_f64 v[174:175], v[172:173], v[170:171]
	v_fma_f64 v[168:169], -v[168:169], v[174:175], v[172:173]
	v_div_fmas_f64 v[168:169], v[168:169], v[170:171], v[174:175]
	v_div_fixup_f64 v[170:171], v[168:169], v[164:165], v[166:167]
	v_fmac_f64_e32 v[164:165], v[166:167], v[170:171]
	v_div_scale_f64 v[166:167], s[12:13], v[164:165], v[164:165], 1.0
	v_rcp_f64_e32 v[168:169], v[166:167]
	s_nop 0
	v_fma_f64 v[172:173], -v[166:167], v[168:169], 1.0
	v_fmac_f64_e32 v[168:169], v[168:169], v[172:173]
	v_fma_f64 v[172:173], -v[166:167], v[168:169], 1.0
	v_fmac_f64_e32 v[168:169], v[168:169], v[172:173]
	v_div_scale_f64 v[172:173], vcc, 1.0, v[164:165], 1.0
	v_mul_f64 v[174:175], v[172:173], v[168:169]
	v_fma_f64 v[166:167], -v[166:167], v[174:175], v[172:173]
	s_nop 1
	v_div_fmas_f64 v[166:167], v[166:167], v[168:169], v[174:175]
	v_div_fixup_f64 v[168:169], v[166:167], v[164:165], 1.0
	v_mul_f64 v[170:171], v[170:171], -v[168:169]
.LBB81_7:
	s_or_b64 exec, exec, s[4:5]
	ds_write2_b64 v237, v[168:169], v[170:171] offset1:1
.LBB81_8:
	s_or_b64 exec, exec, s[10:11]
	s_waitcnt lgkmcnt(0)
	s_barrier
	ds_read2_b64 v[164:167], v237 offset1:1
	s_waitcnt lgkmcnt(0)
	scratch_store_dwordx4 off, v[164:167], off offset:280 ; 16-byte Folded Spill
	s_and_saveexec_b64 s[4:5], s[2:3]
	s_cbranch_execz .LBB81_10
; %bb.9:
	scratch_load_dwordx4 v[166:169], off, off offset:280 ; 16-byte Folded Reload
	scratch_load_dwordx4 v[156:159], off, off ; 16-byte Folded Reload
	s_waitcnt vmcnt(0)
	v_mul_f64 v[164:165], v[168:169], v[158:159]
	v_mul_f64 v[158:159], v[166:167], v[158:159]
	v_fma_f64 v[164:165], v[166:167], v[156:157], -v[164:165]
	v_fmac_f64_e32 v[158:159], v[168:169], v[156:157]
	ds_read2_b64 v[166:169], v238 offset0:2 offset1:3
	s_waitcnt lgkmcnt(0)
	v_mul_f64 v[156:157], v[168:169], v[158:159]
	v_fma_f64 v[156:157], v[166:167], v[164:165], -v[156:157]
	v_mul_f64 v[166:167], v[166:167], v[158:159]
	v_fmac_f64_e32 v[166:167], v[168:169], v[164:165]
	v_add_f64 v[154:155], v[154:155], -v[166:167]
	ds_read2_b64 v[166:169], v238 offset0:4 offset1:5
	v_add_f64 v[152:153], v[152:153], -v[156:157]
	s_waitcnt lgkmcnt(0)
	v_mul_f64 v[156:157], v[168:169], v[158:159]
	v_fma_f64 v[156:157], v[166:167], v[164:165], -v[156:157]
	v_mul_f64 v[166:167], v[166:167], v[158:159]
	v_fmac_f64_e32 v[166:167], v[168:169], v[164:165]
	v_add_f64 v[150:151], v[150:151], -v[166:167]
	ds_read2_b64 v[166:169], v238 offset0:6 offset1:7
	v_add_f64 v[148:149], v[148:149], -v[156:157]
	;; [unrolled: 8-line block ×39, first 2 shown]
	s_waitcnt lgkmcnt(0)
	v_mul_f64 v[156:157], v[168:169], v[158:159]
	v_fma_f64 v[156:157], v[166:167], v[164:165], -v[156:157]
	v_mul_f64 v[166:167], v[166:167], v[158:159]
	v_fmac_f64_e32 v[166:167], v[168:169], v[164:165]
	v_add_f64 v[160:161], v[160:161], -v[156:157]
	v_add_f64 v[162:163], v[162:163], -v[166:167]
	v_mov_b64_e32 v[156:157], v[164:165]
	scratch_store_dwordx4 off, v[156:159], off ; 16-byte Folded Spill
.LBB81_10:
	s_or_b64 exec, exec, s[4:5]
	v_cmp_eq_u32_e32 vcc, 1, v236
	s_waitcnt vmcnt(63) expcnt(7) lgkmcnt(15)
	s_barrier
	s_and_saveexec_b64 s[4:5], vcc
	s_cbranch_execz .LBB81_17
; %bb.11:
	ds_write2_b64 v237, v[152:153], v[154:155] offset1:1
	ds_write2_b64 v238, v[148:149], v[150:151] offset0:4 offset1:5
	ds_write2_b64 v238, v[144:145], v[146:147] offset0:6 offset1:7
	;; [unrolled: 1-line block ×9, first 2 shown]
	s_waitcnt vmcnt(62)
	ds_write2_b64 v238, v[112:113], v[114:115] offset0:22 offset1:23
	s_waitcnt vmcnt(61)
	ds_write2_b64 v238, v[108:109], v[110:111] offset0:24 offset1:25
	;; [unrolled: 2-line block ×28, first 2 shown]
	ds_write2_b64 v238, v[0:1], v[2:3] offset0:78 offset1:79
	s_waitcnt vmcnt(11)
	ds_write2_b64 v238, v[160:161], v[162:163] offset0:80 offset1:81
	ds_read2_b64 v[164:167], v237 offset1:1
	s_waitcnt lgkmcnt(0)
	v_cmp_neq_f64_e32 vcc, 0, v[164:165]
	v_cmp_neq_f64_e64 s[2:3], 0, v[166:167]
	s_or_b64 s[2:3], vcc, s[2:3]
	s_and_b64 exec, exec, s[2:3]
	s_cbranch_execz .LBB81_17
; %bb.12:
	v_cmp_ngt_f64_e64 s[2:3], |v[164:165]|, |v[166:167]|
                                        ; implicit-def: $vgpr168_vgpr169
	s_and_saveexec_b64 s[10:11], s[2:3]
	s_xor_b64 s[2:3], exec, s[10:11]
                                        ; implicit-def: $vgpr170_vgpr171
	s_cbranch_execz .LBB81_14
; %bb.13:
	v_div_scale_f64 v[168:169], s[10:11], v[166:167], v[166:167], v[164:165]
	v_rcp_f64_e32 v[170:171], v[168:169]
	v_div_scale_f64 v[172:173], vcc, v[164:165], v[166:167], v[164:165]
	v_fma_f64 v[174:175], -v[168:169], v[170:171], 1.0
	v_fmac_f64_e32 v[170:171], v[170:171], v[174:175]
	v_fma_f64 v[174:175], -v[168:169], v[170:171], 1.0
	v_fmac_f64_e32 v[170:171], v[170:171], v[174:175]
	v_mul_f64 v[174:175], v[172:173], v[170:171]
	v_fma_f64 v[168:169], -v[168:169], v[174:175], v[172:173]
	v_div_fmas_f64 v[168:169], v[168:169], v[170:171], v[174:175]
	v_div_fixup_f64 v[168:169], v[168:169], v[166:167], v[164:165]
	v_fmac_f64_e32 v[166:167], v[164:165], v[168:169]
	v_div_scale_f64 v[164:165], s[10:11], v[166:167], v[166:167], 1.0
	v_rcp_f64_e32 v[170:171], v[164:165]
	s_nop 0
	v_fma_f64 v[172:173], -v[164:165], v[170:171], 1.0
	v_fmac_f64_e32 v[170:171], v[170:171], v[172:173]
	v_fma_f64 v[172:173], -v[164:165], v[170:171], 1.0
	v_fmac_f64_e32 v[170:171], v[170:171], v[172:173]
	v_div_scale_f64 v[172:173], vcc, 1.0, v[166:167], 1.0
	v_mul_f64 v[174:175], v[172:173], v[170:171]
	v_fma_f64 v[164:165], -v[164:165], v[174:175], v[172:173]
	s_nop 1
	v_div_fmas_f64 v[164:165], v[164:165], v[170:171], v[174:175]
	v_div_fixup_f64 v[170:171], v[164:165], v[166:167], 1.0
	v_mul_f64 v[168:169], v[168:169], v[170:171]
	v_xor_b32_e32 v171, 0x80000000, v171
                                        ; implicit-def: $vgpr164_vgpr165
.LBB81_14:
	s_andn2_saveexec_b64 s[2:3], s[2:3]
	s_cbranch_execz .LBB81_16
; %bb.15:
	v_div_scale_f64 v[168:169], s[10:11], v[164:165], v[164:165], v[166:167]
	v_rcp_f64_e32 v[170:171], v[168:169]
	v_div_scale_f64 v[172:173], vcc, v[166:167], v[164:165], v[166:167]
	v_fma_f64 v[174:175], -v[168:169], v[170:171], 1.0
	v_fmac_f64_e32 v[170:171], v[170:171], v[174:175]
	v_fma_f64 v[174:175], -v[168:169], v[170:171], 1.0
	v_fmac_f64_e32 v[170:171], v[170:171], v[174:175]
	v_mul_f64 v[174:175], v[172:173], v[170:171]
	v_fma_f64 v[168:169], -v[168:169], v[174:175], v[172:173]
	v_div_fmas_f64 v[168:169], v[168:169], v[170:171], v[174:175]
	v_div_fixup_f64 v[170:171], v[168:169], v[164:165], v[166:167]
	v_fmac_f64_e32 v[164:165], v[166:167], v[170:171]
	v_div_scale_f64 v[166:167], s[10:11], v[164:165], v[164:165], 1.0
	v_rcp_f64_e32 v[168:169], v[166:167]
	s_nop 0
	v_fma_f64 v[172:173], -v[166:167], v[168:169], 1.0
	v_fmac_f64_e32 v[168:169], v[168:169], v[172:173]
	v_fma_f64 v[172:173], -v[166:167], v[168:169], 1.0
	v_fmac_f64_e32 v[168:169], v[168:169], v[172:173]
	v_div_scale_f64 v[172:173], vcc, 1.0, v[164:165], 1.0
	v_mul_f64 v[174:175], v[172:173], v[168:169]
	v_fma_f64 v[166:167], -v[166:167], v[174:175], v[172:173]
	s_nop 1
	v_div_fmas_f64 v[166:167], v[166:167], v[168:169], v[174:175]
	v_div_fixup_f64 v[168:169], v[166:167], v[164:165], 1.0
	v_mul_f64 v[170:171], v[170:171], -v[168:169]
.LBB81_16:
	s_or_b64 exec, exec, s[2:3]
	ds_write2_b64 v237, v[168:169], v[170:171] offset1:1
.LBB81_17:
	s_or_b64 exec, exec, s[4:5]
	s_waitcnt lgkmcnt(0)
	s_barrier
	ds_read2_b64 v[164:167], v237 offset1:1
	v_cmp_lt_u32_e32 vcc, 1, v236
	s_waitcnt lgkmcnt(0)
	scratch_store_dwordx4 off, v[164:167], off offset:296 ; 16-byte Folded Spill
	s_and_saveexec_b64 s[2:3], vcc
	s_cbranch_execz .LBB81_19
; %bb.18:
	scratch_load_dwordx4 v[166:169], off, off offset:296 ; 16-byte Folded Reload
	s_waitcnt vmcnt(0)
	v_mul_f64 v[164:165], v[168:169], v[154:155]
	v_mul_f64 v[154:155], v[166:167], v[154:155]
	v_fma_f64 v[164:165], v[166:167], v[152:153], -v[164:165]
	v_fmac_f64_e32 v[154:155], v[168:169], v[152:153]
	ds_read2_b64 v[166:169], v238 offset0:4 offset1:5
	s_waitcnt lgkmcnt(0)
	v_mul_f64 v[152:153], v[168:169], v[154:155]
	v_fma_f64 v[152:153], v[166:167], v[164:165], -v[152:153]
	v_mul_f64 v[166:167], v[166:167], v[154:155]
	v_fmac_f64_e32 v[166:167], v[168:169], v[164:165]
	v_add_f64 v[150:151], v[150:151], -v[166:167]
	ds_read2_b64 v[166:169], v238 offset0:6 offset1:7
	v_add_f64 v[148:149], v[148:149], -v[152:153]
	s_waitcnt lgkmcnt(0)
	v_mul_f64 v[152:153], v[168:169], v[154:155]
	v_fma_f64 v[152:153], v[166:167], v[164:165], -v[152:153]
	v_mul_f64 v[166:167], v[166:167], v[154:155]
	v_fmac_f64_e32 v[166:167], v[168:169], v[164:165]
	v_add_f64 v[146:147], v[146:147], -v[166:167]
	ds_read2_b64 v[166:169], v238 offset0:8 offset1:9
	v_add_f64 v[144:145], v[144:145], -v[152:153]
	;; [unrolled: 8-line block ×38, first 2 shown]
	s_waitcnt lgkmcnt(0)
	v_mul_f64 v[152:153], v[168:169], v[154:155]
	v_fma_f64 v[152:153], v[166:167], v[164:165], -v[152:153]
	v_mul_f64 v[166:167], v[166:167], v[154:155]
	v_fmac_f64_e32 v[166:167], v[168:169], v[164:165]
	v_add_f64 v[160:161], v[160:161], -v[152:153]
	v_add_f64 v[162:163], v[162:163], -v[166:167]
	v_mov_b64_e32 v[152:153], v[164:165]
.LBB81_19:
	s_or_b64 exec, exec, s[2:3]
	v_cmp_eq_u32_e32 vcc, 2, v236
	s_waitcnt vmcnt(63) expcnt(7) lgkmcnt(15)
	s_barrier
	s_and_saveexec_b64 s[4:5], vcc
	s_cbranch_execz .LBB81_26
; %bb.20:
	ds_write2_b64 v237, v[148:149], v[150:151] offset1:1
	ds_write2_b64 v238, v[144:145], v[146:147] offset0:6 offset1:7
	ds_write2_b64 v238, v[140:141], v[142:143] offset0:8 offset1:9
	;; [unrolled: 1-line block ×9, first 2 shown]
	s_waitcnt vmcnt(62)
	ds_write2_b64 v238, v[108:109], v[110:111] offset0:24 offset1:25
	s_waitcnt vmcnt(61)
	ds_write2_b64 v238, v[104:105], v[106:107] offset0:26 offset1:27
	;; [unrolled: 2-line block ×27, first 2 shown]
	ds_write2_b64 v238, v[0:1], v[2:3] offset0:78 offset1:79
	s_waitcnt vmcnt(12)
	ds_write2_b64 v238, v[160:161], v[162:163] offset0:80 offset1:81
	ds_read2_b64 v[164:167], v237 offset1:1
	s_waitcnt lgkmcnt(0)
	v_cmp_neq_f64_e32 vcc, 0, v[164:165]
	v_cmp_neq_f64_e64 s[2:3], 0, v[166:167]
	s_or_b64 s[2:3], vcc, s[2:3]
	s_and_b64 exec, exec, s[2:3]
	s_cbranch_execz .LBB81_26
; %bb.21:
	v_cmp_ngt_f64_e64 s[2:3], |v[164:165]|, |v[166:167]|
                                        ; implicit-def: $vgpr168_vgpr169
	s_and_saveexec_b64 s[10:11], s[2:3]
	s_xor_b64 s[2:3], exec, s[10:11]
                                        ; implicit-def: $vgpr170_vgpr171
	s_cbranch_execz .LBB81_23
; %bb.22:
	v_div_scale_f64 v[168:169], s[10:11], v[166:167], v[166:167], v[164:165]
	v_rcp_f64_e32 v[170:171], v[168:169]
	v_div_scale_f64 v[172:173], vcc, v[164:165], v[166:167], v[164:165]
	v_fma_f64 v[174:175], -v[168:169], v[170:171], 1.0
	v_fmac_f64_e32 v[170:171], v[170:171], v[174:175]
	v_fma_f64 v[174:175], -v[168:169], v[170:171], 1.0
	v_fmac_f64_e32 v[170:171], v[170:171], v[174:175]
	v_mul_f64 v[174:175], v[172:173], v[170:171]
	v_fma_f64 v[168:169], -v[168:169], v[174:175], v[172:173]
	v_div_fmas_f64 v[168:169], v[168:169], v[170:171], v[174:175]
	v_div_fixup_f64 v[168:169], v[168:169], v[166:167], v[164:165]
	v_fmac_f64_e32 v[166:167], v[164:165], v[168:169]
	v_div_scale_f64 v[164:165], s[10:11], v[166:167], v[166:167], 1.0
	v_rcp_f64_e32 v[170:171], v[164:165]
	s_nop 0
	v_fma_f64 v[172:173], -v[164:165], v[170:171], 1.0
	v_fmac_f64_e32 v[170:171], v[170:171], v[172:173]
	v_fma_f64 v[172:173], -v[164:165], v[170:171], 1.0
	v_fmac_f64_e32 v[170:171], v[170:171], v[172:173]
	v_div_scale_f64 v[172:173], vcc, 1.0, v[166:167], 1.0
	v_mul_f64 v[174:175], v[172:173], v[170:171]
	v_fma_f64 v[164:165], -v[164:165], v[174:175], v[172:173]
	s_nop 1
	v_div_fmas_f64 v[164:165], v[164:165], v[170:171], v[174:175]
	v_div_fixup_f64 v[170:171], v[164:165], v[166:167], 1.0
	v_mul_f64 v[168:169], v[168:169], v[170:171]
	v_xor_b32_e32 v171, 0x80000000, v171
                                        ; implicit-def: $vgpr164_vgpr165
.LBB81_23:
	s_andn2_saveexec_b64 s[2:3], s[2:3]
	s_cbranch_execz .LBB81_25
; %bb.24:
	v_div_scale_f64 v[168:169], s[10:11], v[164:165], v[164:165], v[166:167]
	v_rcp_f64_e32 v[170:171], v[168:169]
	v_div_scale_f64 v[172:173], vcc, v[166:167], v[164:165], v[166:167]
	v_fma_f64 v[174:175], -v[168:169], v[170:171], 1.0
	v_fmac_f64_e32 v[170:171], v[170:171], v[174:175]
	v_fma_f64 v[174:175], -v[168:169], v[170:171], 1.0
	v_fmac_f64_e32 v[170:171], v[170:171], v[174:175]
	v_mul_f64 v[174:175], v[172:173], v[170:171]
	v_fma_f64 v[168:169], -v[168:169], v[174:175], v[172:173]
	v_div_fmas_f64 v[168:169], v[168:169], v[170:171], v[174:175]
	v_div_fixup_f64 v[170:171], v[168:169], v[164:165], v[166:167]
	v_fmac_f64_e32 v[164:165], v[166:167], v[170:171]
	v_div_scale_f64 v[166:167], s[10:11], v[164:165], v[164:165], 1.0
	v_rcp_f64_e32 v[168:169], v[166:167]
	s_nop 0
	v_fma_f64 v[172:173], -v[166:167], v[168:169], 1.0
	v_fmac_f64_e32 v[168:169], v[168:169], v[172:173]
	v_fma_f64 v[172:173], -v[166:167], v[168:169], 1.0
	v_fmac_f64_e32 v[168:169], v[168:169], v[172:173]
	v_div_scale_f64 v[172:173], vcc, 1.0, v[164:165], 1.0
	v_mul_f64 v[174:175], v[172:173], v[168:169]
	v_fma_f64 v[166:167], -v[166:167], v[174:175], v[172:173]
	s_nop 1
	v_div_fmas_f64 v[166:167], v[166:167], v[168:169], v[174:175]
	v_div_fixup_f64 v[168:169], v[166:167], v[164:165], 1.0
	v_mul_f64 v[170:171], v[170:171], -v[168:169]
.LBB81_25:
	s_or_b64 exec, exec, s[2:3]
	ds_write2_b64 v237, v[168:169], v[170:171] offset1:1
.LBB81_26:
	s_or_b64 exec, exec, s[4:5]
	s_waitcnt lgkmcnt(0)
	s_barrier
	ds_read2_b64 v[164:167], v237 offset1:1
	v_cmp_lt_u32_e32 vcc, 2, v236
	s_waitcnt lgkmcnt(0)
	scratch_store_dwordx4 off, v[164:167], off offset:312 ; 16-byte Folded Spill
	s_and_saveexec_b64 s[2:3], vcc
	s_cbranch_execz .LBB81_28
; %bb.27:
	scratch_load_dwordx4 v[166:169], off, off offset:312 ; 16-byte Folded Reload
	s_waitcnt vmcnt(0)
	v_mul_f64 v[164:165], v[168:169], v[150:151]
	v_mul_f64 v[150:151], v[166:167], v[150:151]
	v_fma_f64 v[164:165], v[166:167], v[148:149], -v[164:165]
	v_fmac_f64_e32 v[150:151], v[168:169], v[148:149]
	ds_read2_b64 v[166:169], v238 offset0:6 offset1:7
	s_waitcnt lgkmcnt(0)
	v_mul_f64 v[148:149], v[168:169], v[150:151]
	v_fma_f64 v[148:149], v[166:167], v[164:165], -v[148:149]
	v_mul_f64 v[166:167], v[166:167], v[150:151]
	v_fmac_f64_e32 v[166:167], v[168:169], v[164:165]
	v_add_f64 v[146:147], v[146:147], -v[166:167]
	ds_read2_b64 v[166:169], v238 offset0:8 offset1:9
	v_add_f64 v[144:145], v[144:145], -v[148:149]
	s_waitcnt lgkmcnt(0)
	v_mul_f64 v[148:149], v[168:169], v[150:151]
	v_fma_f64 v[148:149], v[166:167], v[164:165], -v[148:149]
	v_mul_f64 v[166:167], v[166:167], v[150:151]
	v_fmac_f64_e32 v[166:167], v[168:169], v[164:165]
	v_add_f64 v[142:143], v[142:143], -v[166:167]
	ds_read2_b64 v[166:169], v238 offset0:10 offset1:11
	v_add_f64 v[140:141], v[140:141], -v[148:149]
	;; [unrolled: 8-line block ×37, first 2 shown]
	s_waitcnt lgkmcnt(0)
	v_mul_f64 v[148:149], v[168:169], v[150:151]
	v_fma_f64 v[148:149], v[166:167], v[164:165], -v[148:149]
	v_mul_f64 v[166:167], v[166:167], v[150:151]
	v_fmac_f64_e32 v[166:167], v[168:169], v[164:165]
	v_add_f64 v[160:161], v[160:161], -v[148:149]
	v_add_f64 v[162:163], v[162:163], -v[166:167]
	v_mov_b64_e32 v[148:149], v[164:165]
.LBB81_28:
	s_or_b64 exec, exec, s[2:3]
	v_cmp_eq_u32_e32 vcc, 3, v236
	s_waitcnt vmcnt(63) expcnt(7) lgkmcnt(15)
	s_barrier
	s_and_saveexec_b64 s[4:5], vcc
	s_cbranch_execz .LBB81_35
; %bb.29:
	ds_write2_b64 v237, v[144:145], v[146:147] offset1:1
	ds_write2_b64 v238, v[140:141], v[142:143] offset0:8 offset1:9
	ds_write2_b64 v238, v[136:137], v[138:139] offset0:10 offset1:11
	;; [unrolled: 1-line block ×9, first 2 shown]
	s_waitcnt vmcnt(62)
	ds_write2_b64 v238, v[104:105], v[106:107] offset0:26 offset1:27
	s_waitcnt vmcnt(61)
	ds_write2_b64 v238, v[100:101], v[102:103] offset0:28 offset1:29
	;; [unrolled: 2-line block ×26, first 2 shown]
	ds_write2_b64 v238, v[0:1], v[2:3] offset0:78 offset1:79
	s_waitcnt vmcnt(13)
	ds_write2_b64 v238, v[160:161], v[162:163] offset0:80 offset1:81
	ds_read2_b64 v[164:167], v237 offset1:1
	s_waitcnt lgkmcnt(0)
	v_cmp_neq_f64_e32 vcc, 0, v[164:165]
	v_cmp_neq_f64_e64 s[2:3], 0, v[166:167]
	s_or_b64 s[2:3], vcc, s[2:3]
	s_and_b64 exec, exec, s[2:3]
	s_cbranch_execz .LBB81_35
; %bb.30:
	v_cmp_ngt_f64_e64 s[2:3], |v[164:165]|, |v[166:167]|
                                        ; implicit-def: $vgpr168_vgpr169
	s_and_saveexec_b64 s[10:11], s[2:3]
	s_xor_b64 s[2:3], exec, s[10:11]
                                        ; implicit-def: $vgpr170_vgpr171
	s_cbranch_execz .LBB81_32
; %bb.31:
	v_div_scale_f64 v[168:169], s[10:11], v[166:167], v[166:167], v[164:165]
	v_rcp_f64_e32 v[170:171], v[168:169]
	v_div_scale_f64 v[172:173], vcc, v[164:165], v[166:167], v[164:165]
	v_fma_f64 v[174:175], -v[168:169], v[170:171], 1.0
	v_fmac_f64_e32 v[170:171], v[170:171], v[174:175]
	v_fma_f64 v[174:175], -v[168:169], v[170:171], 1.0
	v_fmac_f64_e32 v[170:171], v[170:171], v[174:175]
	v_mul_f64 v[174:175], v[172:173], v[170:171]
	v_fma_f64 v[168:169], -v[168:169], v[174:175], v[172:173]
	v_div_fmas_f64 v[168:169], v[168:169], v[170:171], v[174:175]
	v_div_fixup_f64 v[168:169], v[168:169], v[166:167], v[164:165]
	v_fmac_f64_e32 v[166:167], v[164:165], v[168:169]
	v_div_scale_f64 v[164:165], s[10:11], v[166:167], v[166:167], 1.0
	v_rcp_f64_e32 v[170:171], v[164:165]
	s_nop 0
	v_fma_f64 v[172:173], -v[164:165], v[170:171], 1.0
	v_fmac_f64_e32 v[170:171], v[170:171], v[172:173]
	v_fma_f64 v[172:173], -v[164:165], v[170:171], 1.0
	v_fmac_f64_e32 v[170:171], v[170:171], v[172:173]
	v_div_scale_f64 v[172:173], vcc, 1.0, v[166:167], 1.0
	v_mul_f64 v[174:175], v[172:173], v[170:171]
	v_fma_f64 v[164:165], -v[164:165], v[174:175], v[172:173]
	s_nop 1
	v_div_fmas_f64 v[164:165], v[164:165], v[170:171], v[174:175]
	v_div_fixup_f64 v[170:171], v[164:165], v[166:167], 1.0
	v_mul_f64 v[168:169], v[168:169], v[170:171]
	v_xor_b32_e32 v171, 0x80000000, v171
                                        ; implicit-def: $vgpr164_vgpr165
.LBB81_32:
	s_andn2_saveexec_b64 s[2:3], s[2:3]
	s_cbranch_execz .LBB81_34
; %bb.33:
	v_div_scale_f64 v[168:169], s[10:11], v[164:165], v[164:165], v[166:167]
	v_rcp_f64_e32 v[170:171], v[168:169]
	v_div_scale_f64 v[172:173], vcc, v[166:167], v[164:165], v[166:167]
	v_fma_f64 v[174:175], -v[168:169], v[170:171], 1.0
	v_fmac_f64_e32 v[170:171], v[170:171], v[174:175]
	v_fma_f64 v[174:175], -v[168:169], v[170:171], 1.0
	v_fmac_f64_e32 v[170:171], v[170:171], v[174:175]
	v_mul_f64 v[174:175], v[172:173], v[170:171]
	v_fma_f64 v[168:169], -v[168:169], v[174:175], v[172:173]
	v_div_fmas_f64 v[168:169], v[168:169], v[170:171], v[174:175]
	v_div_fixup_f64 v[170:171], v[168:169], v[164:165], v[166:167]
	v_fmac_f64_e32 v[164:165], v[166:167], v[170:171]
	v_div_scale_f64 v[166:167], s[10:11], v[164:165], v[164:165], 1.0
	v_rcp_f64_e32 v[168:169], v[166:167]
	s_nop 0
	v_fma_f64 v[172:173], -v[166:167], v[168:169], 1.0
	v_fmac_f64_e32 v[168:169], v[168:169], v[172:173]
	v_fma_f64 v[172:173], -v[166:167], v[168:169], 1.0
	v_fmac_f64_e32 v[168:169], v[168:169], v[172:173]
	v_div_scale_f64 v[172:173], vcc, 1.0, v[164:165], 1.0
	v_mul_f64 v[174:175], v[172:173], v[168:169]
	v_fma_f64 v[166:167], -v[166:167], v[174:175], v[172:173]
	s_nop 1
	v_div_fmas_f64 v[166:167], v[166:167], v[168:169], v[174:175]
	v_div_fixup_f64 v[168:169], v[166:167], v[164:165], 1.0
	v_mul_f64 v[170:171], v[170:171], -v[168:169]
.LBB81_34:
	s_or_b64 exec, exec, s[2:3]
	ds_write2_b64 v237, v[168:169], v[170:171] offset1:1
.LBB81_35:
	s_or_b64 exec, exec, s[4:5]
	s_waitcnt lgkmcnt(0)
	s_barrier
	ds_read2_b64 v[164:167], v237 offset1:1
	v_cmp_lt_u32_e32 vcc, 3, v236
	s_waitcnt lgkmcnt(0)
	scratch_store_dwordx4 off, v[164:167], off offset:328 ; 16-byte Folded Spill
	s_and_saveexec_b64 s[2:3], vcc
	s_cbranch_execz .LBB81_37
; %bb.36:
	scratch_load_dwordx4 v[166:169], off, off offset:328 ; 16-byte Folded Reload
	s_waitcnt vmcnt(0)
	v_mul_f64 v[164:165], v[168:169], v[146:147]
	v_mul_f64 v[146:147], v[166:167], v[146:147]
	v_fma_f64 v[164:165], v[166:167], v[144:145], -v[164:165]
	v_fmac_f64_e32 v[146:147], v[168:169], v[144:145]
	ds_read2_b64 v[166:169], v238 offset0:8 offset1:9
	s_waitcnt lgkmcnt(0)
	v_mul_f64 v[144:145], v[168:169], v[146:147]
	v_fma_f64 v[144:145], v[166:167], v[164:165], -v[144:145]
	v_mul_f64 v[166:167], v[166:167], v[146:147]
	v_fmac_f64_e32 v[166:167], v[168:169], v[164:165]
	v_add_f64 v[142:143], v[142:143], -v[166:167]
	ds_read2_b64 v[166:169], v238 offset0:10 offset1:11
	v_add_f64 v[140:141], v[140:141], -v[144:145]
	s_waitcnt lgkmcnt(0)
	v_mul_f64 v[144:145], v[168:169], v[146:147]
	v_fma_f64 v[144:145], v[166:167], v[164:165], -v[144:145]
	v_mul_f64 v[166:167], v[166:167], v[146:147]
	v_fmac_f64_e32 v[166:167], v[168:169], v[164:165]
	v_add_f64 v[138:139], v[138:139], -v[166:167]
	ds_read2_b64 v[166:169], v238 offset0:12 offset1:13
	v_add_f64 v[136:137], v[136:137], -v[144:145]
	;; [unrolled: 8-line block ×36, first 2 shown]
	s_waitcnt lgkmcnt(0)
	v_mul_f64 v[144:145], v[168:169], v[146:147]
	v_fma_f64 v[144:145], v[166:167], v[164:165], -v[144:145]
	v_mul_f64 v[166:167], v[166:167], v[146:147]
	v_fmac_f64_e32 v[166:167], v[168:169], v[164:165]
	v_add_f64 v[160:161], v[160:161], -v[144:145]
	v_add_f64 v[162:163], v[162:163], -v[166:167]
	v_mov_b64_e32 v[144:145], v[164:165]
.LBB81_37:
	s_or_b64 exec, exec, s[2:3]
	v_cmp_eq_u32_e32 vcc, 4, v236
	s_waitcnt vmcnt(63) expcnt(7) lgkmcnt(15)
	s_barrier
	s_and_saveexec_b64 s[4:5], vcc
	s_cbranch_execz .LBB81_44
; %bb.38:
	ds_write2_b64 v237, v[140:141], v[142:143] offset1:1
	ds_write2_b64 v238, v[136:137], v[138:139] offset0:10 offset1:11
	ds_write2_b64 v238, v[132:133], v[134:135] offset0:12 offset1:13
	;; [unrolled: 1-line block ×9, first 2 shown]
	s_waitcnt vmcnt(62)
	ds_write2_b64 v238, v[100:101], v[102:103] offset0:28 offset1:29
	s_waitcnt vmcnt(61)
	ds_write2_b64 v238, v[96:97], v[98:99] offset0:30 offset1:31
	;; [unrolled: 2-line block ×25, first 2 shown]
	ds_write2_b64 v238, v[0:1], v[2:3] offset0:78 offset1:79
	s_waitcnt vmcnt(14)
	ds_write2_b64 v238, v[160:161], v[162:163] offset0:80 offset1:81
	ds_read2_b64 v[164:167], v237 offset1:1
	s_waitcnt lgkmcnt(0)
	v_cmp_neq_f64_e32 vcc, 0, v[164:165]
	v_cmp_neq_f64_e64 s[2:3], 0, v[166:167]
	s_or_b64 s[2:3], vcc, s[2:3]
	s_and_b64 exec, exec, s[2:3]
	s_cbranch_execz .LBB81_44
; %bb.39:
	v_cmp_ngt_f64_e64 s[2:3], |v[164:165]|, |v[166:167]|
                                        ; implicit-def: $vgpr168_vgpr169
	s_and_saveexec_b64 s[10:11], s[2:3]
	s_xor_b64 s[2:3], exec, s[10:11]
                                        ; implicit-def: $vgpr170_vgpr171
	s_cbranch_execz .LBB81_41
; %bb.40:
	v_div_scale_f64 v[168:169], s[10:11], v[166:167], v[166:167], v[164:165]
	v_rcp_f64_e32 v[170:171], v[168:169]
	v_div_scale_f64 v[172:173], vcc, v[164:165], v[166:167], v[164:165]
	v_fma_f64 v[174:175], -v[168:169], v[170:171], 1.0
	v_fmac_f64_e32 v[170:171], v[170:171], v[174:175]
	v_fma_f64 v[174:175], -v[168:169], v[170:171], 1.0
	v_fmac_f64_e32 v[170:171], v[170:171], v[174:175]
	v_mul_f64 v[174:175], v[172:173], v[170:171]
	v_fma_f64 v[168:169], -v[168:169], v[174:175], v[172:173]
	v_div_fmas_f64 v[168:169], v[168:169], v[170:171], v[174:175]
	v_div_fixup_f64 v[168:169], v[168:169], v[166:167], v[164:165]
	v_fmac_f64_e32 v[166:167], v[164:165], v[168:169]
	v_div_scale_f64 v[164:165], s[10:11], v[166:167], v[166:167], 1.0
	v_rcp_f64_e32 v[170:171], v[164:165]
	s_nop 0
	v_fma_f64 v[172:173], -v[164:165], v[170:171], 1.0
	v_fmac_f64_e32 v[170:171], v[170:171], v[172:173]
	v_fma_f64 v[172:173], -v[164:165], v[170:171], 1.0
	v_fmac_f64_e32 v[170:171], v[170:171], v[172:173]
	v_div_scale_f64 v[172:173], vcc, 1.0, v[166:167], 1.0
	v_mul_f64 v[174:175], v[172:173], v[170:171]
	v_fma_f64 v[164:165], -v[164:165], v[174:175], v[172:173]
	s_nop 1
	v_div_fmas_f64 v[164:165], v[164:165], v[170:171], v[174:175]
	v_div_fixup_f64 v[170:171], v[164:165], v[166:167], 1.0
	v_mul_f64 v[168:169], v[168:169], v[170:171]
	v_xor_b32_e32 v171, 0x80000000, v171
                                        ; implicit-def: $vgpr164_vgpr165
.LBB81_41:
	s_andn2_saveexec_b64 s[2:3], s[2:3]
	s_cbranch_execz .LBB81_43
; %bb.42:
	v_div_scale_f64 v[168:169], s[10:11], v[164:165], v[164:165], v[166:167]
	v_rcp_f64_e32 v[170:171], v[168:169]
	v_div_scale_f64 v[172:173], vcc, v[166:167], v[164:165], v[166:167]
	v_fma_f64 v[174:175], -v[168:169], v[170:171], 1.0
	v_fmac_f64_e32 v[170:171], v[170:171], v[174:175]
	v_fma_f64 v[174:175], -v[168:169], v[170:171], 1.0
	v_fmac_f64_e32 v[170:171], v[170:171], v[174:175]
	v_mul_f64 v[174:175], v[172:173], v[170:171]
	v_fma_f64 v[168:169], -v[168:169], v[174:175], v[172:173]
	v_div_fmas_f64 v[168:169], v[168:169], v[170:171], v[174:175]
	v_div_fixup_f64 v[170:171], v[168:169], v[164:165], v[166:167]
	v_fmac_f64_e32 v[164:165], v[166:167], v[170:171]
	v_div_scale_f64 v[166:167], s[10:11], v[164:165], v[164:165], 1.0
	v_rcp_f64_e32 v[168:169], v[166:167]
	s_nop 0
	v_fma_f64 v[172:173], -v[166:167], v[168:169], 1.0
	v_fmac_f64_e32 v[168:169], v[168:169], v[172:173]
	v_fma_f64 v[172:173], -v[166:167], v[168:169], 1.0
	v_fmac_f64_e32 v[168:169], v[168:169], v[172:173]
	v_div_scale_f64 v[172:173], vcc, 1.0, v[164:165], 1.0
	v_mul_f64 v[174:175], v[172:173], v[168:169]
	v_fma_f64 v[166:167], -v[166:167], v[174:175], v[172:173]
	s_nop 1
	v_div_fmas_f64 v[166:167], v[166:167], v[168:169], v[174:175]
	v_div_fixup_f64 v[168:169], v[166:167], v[164:165], 1.0
	v_mul_f64 v[170:171], v[170:171], -v[168:169]
.LBB81_43:
	s_or_b64 exec, exec, s[2:3]
	ds_write2_b64 v237, v[168:169], v[170:171] offset1:1
.LBB81_44:
	s_or_b64 exec, exec, s[4:5]
	s_waitcnt lgkmcnt(0)
	s_barrier
	ds_read2_b64 v[164:167], v237 offset1:1
	v_cmp_lt_u32_e32 vcc, 4, v236
	s_waitcnt lgkmcnt(0)
	scratch_store_dwordx4 off, v[164:167], off offset:344 ; 16-byte Folded Spill
	s_and_saveexec_b64 s[2:3], vcc
	s_cbranch_execz .LBB81_46
; %bb.45:
	scratch_load_dwordx4 v[166:169], off, off offset:344 ; 16-byte Folded Reload
	s_waitcnt vmcnt(0)
	v_mul_f64 v[164:165], v[168:169], v[142:143]
	v_mul_f64 v[142:143], v[166:167], v[142:143]
	v_fma_f64 v[164:165], v[166:167], v[140:141], -v[164:165]
	v_fmac_f64_e32 v[142:143], v[168:169], v[140:141]
	ds_read2_b64 v[166:169], v238 offset0:10 offset1:11
	s_waitcnt lgkmcnt(0)
	v_mul_f64 v[140:141], v[168:169], v[142:143]
	v_fma_f64 v[140:141], v[166:167], v[164:165], -v[140:141]
	v_mul_f64 v[166:167], v[166:167], v[142:143]
	v_fmac_f64_e32 v[166:167], v[168:169], v[164:165]
	v_add_f64 v[138:139], v[138:139], -v[166:167]
	ds_read2_b64 v[166:169], v238 offset0:12 offset1:13
	v_add_f64 v[136:137], v[136:137], -v[140:141]
	s_waitcnt lgkmcnt(0)
	v_mul_f64 v[140:141], v[168:169], v[142:143]
	v_fma_f64 v[140:141], v[166:167], v[164:165], -v[140:141]
	v_mul_f64 v[166:167], v[166:167], v[142:143]
	v_fmac_f64_e32 v[166:167], v[168:169], v[164:165]
	v_add_f64 v[134:135], v[134:135], -v[166:167]
	ds_read2_b64 v[166:169], v238 offset0:14 offset1:15
	v_add_f64 v[132:133], v[132:133], -v[140:141]
	;; [unrolled: 8-line block ×35, first 2 shown]
	s_waitcnt lgkmcnt(0)
	v_mul_f64 v[140:141], v[168:169], v[142:143]
	v_fma_f64 v[140:141], v[166:167], v[164:165], -v[140:141]
	v_mul_f64 v[166:167], v[166:167], v[142:143]
	v_fmac_f64_e32 v[166:167], v[168:169], v[164:165]
	v_add_f64 v[160:161], v[160:161], -v[140:141]
	v_add_f64 v[162:163], v[162:163], -v[166:167]
	v_mov_b64_e32 v[140:141], v[164:165]
.LBB81_46:
	s_or_b64 exec, exec, s[2:3]
	v_cmp_eq_u32_e32 vcc, 5, v236
	s_waitcnt vmcnt(63) expcnt(7) lgkmcnt(15)
	s_barrier
	s_and_saveexec_b64 s[4:5], vcc
	s_cbranch_execz .LBB81_53
; %bb.47:
	ds_write2_b64 v237, v[136:137], v[138:139] offset1:1
	ds_write2_b64 v238, v[132:133], v[134:135] offset0:12 offset1:13
	ds_write2_b64 v238, v[128:129], v[130:131] offset0:14 offset1:15
	;; [unrolled: 1-line block ×9, first 2 shown]
	s_waitcnt vmcnt(62)
	ds_write2_b64 v238, v[96:97], v[98:99] offset0:30 offset1:31
	s_waitcnt vmcnt(61)
	ds_write2_b64 v238, v[92:93], v[94:95] offset0:32 offset1:33
	;; [unrolled: 2-line block ×24, first 2 shown]
	ds_write2_b64 v238, v[0:1], v[2:3] offset0:78 offset1:79
	s_waitcnt vmcnt(15)
	ds_write2_b64 v238, v[160:161], v[162:163] offset0:80 offset1:81
	ds_read2_b64 v[164:167], v237 offset1:1
	s_waitcnt lgkmcnt(0)
	v_cmp_neq_f64_e32 vcc, 0, v[164:165]
	v_cmp_neq_f64_e64 s[2:3], 0, v[166:167]
	s_or_b64 s[2:3], vcc, s[2:3]
	s_and_b64 exec, exec, s[2:3]
	s_cbranch_execz .LBB81_53
; %bb.48:
	v_cmp_ngt_f64_e64 s[2:3], |v[164:165]|, |v[166:167]|
                                        ; implicit-def: $vgpr168_vgpr169
	s_and_saveexec_b64 s[10:11], s[2:3]
	s_xor_b64 s[2:3], exec, s[10:11]
                                        ; implicit-def: $vgpr170_vgpr171
	s_cbranch_execz .LBB81_50
; %bb.49:
	v_div_scale_f64 v[168:169], s[10:11], v[166:167], v[166:167], v[164:165]
	v_rcp_f64_e32 v[170:171], v[168:169]
	v_div_scale_f64 v[172:173], vcc, v[164:165], v[166:167], v[164:165]
	v_fma_f64 v[174:175], -v[168:169], v[170:171], 1.0
	v_fmac_f64_e32 v[170:171], v[170:171], v[174:175]
	v_fma_f64 v[174:175], -v[168:169], v[170:171], 1.0
	v_fmac_f64_e32 v[170:171], v[170:171], v[174:175]
	v_mul_f64 v[174:175], v[172:173], v[170:171]
	v_fma_f64 v[168:169], -v[168:169], v[174:175], v[172:173]
	v_div_fmas_f64 v[168:169], v[168:169], v[170:171], v[174:175]
	v_div_fixup_f64 v[168:169], v[168:169], v[166:167], v[164:165]
	v_fmac_f64_e32 v[166:167], v[164:165], v[168:169]
	v_div_scale_f64 v[164:165], s[10:11], v[166:167], v[166:167], 1.0
	v_rcp_f64_e32 v[170:171], v[164:165]
	s_nop 0
	v_fma_f64 v[172:173], -v[164:165], v[170:171], 1.0
	v_fmac_f64_e32 v[170:171], v[170:171], v[172:173]
	v_fma_f64 v[172:173], -v[164:165], v[170:171], 1.0
	v_fmac_f64_e32 v[170:171], v[170:171], v[172:173]
	v_div_scale_f64 v[172:173], vcc, 1.0, v[166:167], 1.0
	v_mul_f64 v[174:175], v[172:173], v[170:171]
	v_fma_f64 v[164:165], -v[164:165], v[174:175], v[172:173]
	s_nop 1
	v_div_fmas_f64 v[164:165], v[164:165], v[170:171], v[174:175]
	v_div_fixup_f64 v[170:171], v[164:165], v[166:167], 1.0
	v_mul_f64 v[168:169], v[168:169], v[170:171]
	v_xor_b32_e32 v171, 0x80000000, v171
                                        ; implicit-def: $vgpr164_vgpr165
.LBB81_50:
	s_andn2_saveexec_b64 s[2:3], s[2:3]
	s_cbranch_execz .LBB81_52
; %bb.51:
	v_div_scale_f64 v[168:169], s[10:11], v[164:165], v[164:165], v[166:167]
	v_rcp_f64_e32 v[170:171], v[168:169]
	v_div_scale_f64 v[172:173], vcc, v[166:167], v[164:165], v[166:167]
	v_fma_f64 v[174:175], -v[168:169], v[170:171], 1.0
	v_fmac_f64_e32 v[170:171], v[170:171], v[174:175]
	v_fma_f64 v[174:175], -v[168:169], v[170:171], 1.0
	v_fmac_f64_e32 v[170:171], v[170:171], v[174:175]
	v_mul_f64 v[174:175], v[172:173], v[170:171]
	v_fma_f64 v[168:169], -v[168:169], v[174:175], v[172:173]
	v_div_fmas_f64 v[168:169], v[168:169], v[170:171], v[174:175]
	v_div_fixup_f64 v[170:171], v[168:169], v[164:165], v[166:167]
	v_fmac_f64_e32 v[164:165], v[166:167], v[170:171]
	v_div_scale_f64 v[166:167], s[10:11], v[164:165], v[164:165], 1.0
	v_rcp_f64_e32 v[168:169], v[166:167]
	s_nop 0
	v_fma_f64 v[172:173], -v[166:167], v[168:169], 1.0
	v_fmac_f64_e32 v[168:169], v[168:169], v[172:173]
	v_fma_f64 v[172:173], -v[166:167], v[168:169], 1.0
	v_fmac_f64_e32 v[168:169], v[168:169], v[172:173]
	v_div_scale_f64 v[172:173], vcc, 1.0, v[164:165], 1.0
	v_mul_f64 v[174:175], v[172:173], v[168:169]
	v_fma_f64 v[166:167], -v[166:167], v[174:175], v[172:173]
	s_nop 1
	v_div_fmas_f64 v[166:167], v[166:167], v[168:169], v[174:175]
	v_div_fixup_f64 v[168:169], v[166:167], v[164:165], 1.0
	v_mul_f64 v[170:171], v[170:171], -v[168:169]
.LBB81_52:
	s_or_b64 exec, exec, s[2:3]
	ds_write2_b64 v237, v[168:169], v[170:171] offset1:1
.LBB81_53:
	s_or_b64 exec, exec, s[4:5]
	s_waitcnt lgkmcnt(0)
	s_barrier
	ds_read2_b64 v[164:167], v237 offset1:1
	v_cmp_lt_u32_e32 vcc, 5, v236
	s_waitcnt lgkmcnt(0)
	scratch_store_dwordx4 off, v[164:167], off offset:360 ; 16-byte Folded Spill
	s_and_saveexec_b64 s[2:3], vcc
	s_cbranch_execz .LBB81_55
; %bb.54:
	scratch_load_dwordx4 v[166:169], off, off offset:360 ; 16-byte Folded Reload
	s_waitcnt vmcnt(0)
	v_mul_f64 v[164:165], v[168:169], v[138:139]
	v_mul_f64 v[138:139], v[166:167], v[138:139]
	v_fma_f64 v[164:165], v[166:167], v[136:137], -v[164:165]
	v_fmac_f64_e32 v[138:139], v[168:169], v[136:137]
	ds_read2_b64 v[166:169], v238 offset0:12 offset1:13
	s_waitcnt lgkmcnt(0)
	v_mul_f64 v[136:137], v[168:169], v[138:139]
	v_fma_f64 v[136:137], v[166:167], v[164:165], -v[136:137]
	v_mul_f64 v[166:167], v[166:167], v[138:139]
	v_fmac_f64_e32 v[166:167], v[168:169], v[164:165]
	v_add_f64 v[134:135], v[134:135], -v[166:167]
	ds_read2_b64 v[166:169], v238 offset0:14 offset1:15
	v_add_f64 v[132:133], v[132:133], -v[136:137]
	s_waitcnt lgkmcnt(0)
	v_mul_f64 v[136:137], v[168:169], v[138:139]
	v_fma_f64 v[136:137], v[166:167], v[164:165], -v[136:137]
	v_mul_f64 v[166:167], v[166:167], v[138:139]
	v_fmac_f64_e32 v[166:167], v[168:169], v[164:165]
	v_add_f64 v[130:131], v[130:131], -v[166:167]
	ds_read2_b64 v[166:169], v238 offset0:16 offset1:17
	v_add_f64 v[128:129], v[128:129], -v[136:137]
	;; [unrolled: 8-line block ×34, first 2 shown]
	s_waitcnt lgkmcnt(0)
	v_mul_f64 v[136:137], v[168:169], v[138:139]
	v_fma_f64 v[136:137], v[166:167], v[164:165], -v[136:137]
	v_mul_f64 v[166:167], v[166:167], v[138:139]
	v_fmac_f64_e32 v[166:167], v[168:169], v[164:165]
	v_add_f64 v[160:161], v[160:161], -v[136:137]
	v_add_f64 v[162:163], v[162:163], -v[166:167]
	v_mov_b64_e32 v[136:137], v[164:165]
.LBB81_55:
	s_or_b64 exec, exec, s[2:3]
	v_cmp_eq_u32_e32 vcc, 6, v236
	s_waitcnt vmcnt(63) expcnt(7) lgkmcnt(15)
	s_barrier
	s_and_saveexec_b64 s[4:5], vcc
	s_cbranch_execz .LBB81_62
; %bb.56:
	ds_write2_b64 v237, v[132:133], v[134:135] offset1:1
	ds_write2_b64 v238, v[128:129], v[130:131] offset0:14 offset1:15
	ds_write2_b64 v238, v[124:125], v[126:127] offset0:16 offset1:17
	;; [unrolled: 1-line block ×9, first 2 shown]
	s_waitcnt vmcnt(62)
	ds_write2_b64 v238, v[92:93], v[94:95] offset0:32 offset1:33
	s_waitcnt vmcnt(61)
	ds_write2_b64 v238, v[88:89], v[90:91] offset0:34 offset1:35
	;; [unrolled: 2-line block ×23, first 2 shown]
	ds_write2_b64 v238, v[0:1], v[2:3] offset0:78 offset1:79
	s_waitcnt vmcnt(16)
	ds_write2_b64 v238, v[160:161], v[162:163] offset0:80 offset1:81
	ds_read2_b64 v[164:167], v237 offset1:1
	s_waitcnt lgkmcnt(0)
	v_cmp_neq_f64_e32 vcc, 0, v[164:165]
	v_cmp_neq_f64_e64 s[2:3], 0, v[166:167]
	s_or_b64 s[2:3], vcc, s[2:3]
	s_and_b64 exec, exec, s[2:3]
	s_cbranch_execz .LBB81_62
; %bb.57:
	v_cmp_ngt_f64_e64 s[2:3], |v[164:165]|, |v[166:167]|
                                        ; implicit-def: $vgpr168_vgpr169
	s_and_saveexec_b64 s[10:11], s[2:3]
	s_xor_b64 s[2:3], exec, s[10:11]
                                        ; implicit-def: $vgpr170_vgpr171
	s_cbranch_execz .LBB81_59
; %bb.58:
	v_div_scale_f64 v[168:169], s[10:11], v[166:167], v[166:167], v[164:165]
	v_rcp_f64_e32 v[170:171], v[168:169]
	v_div_scale_f64 v[172:173], vcc, v[164:165], v[166:167], v[164:165]
	v_fma_f64 v[174:175], -v[168:169], v[170:171], 1.0
	v_fmac_f64_e32 v[170:171], v[170:171], v[174:175]
	v_fma_f64 v[174:175], -v[168:169], v[170:171], 1.0
	v_fmac_f64_e32 v[170:171], v[170:171], v[174:175]
	v_mul_f64 v[174:175], v[172:173], v[170:171]
	v_fma_f64 v[168:169], -v[168:169], v[174:175], v[172:173]
	v_div_fmas_f64 v[168:169], v[168:169], v[170:171], v[174:175]
	v_div_fixup_f64 v[168:169], v[168:169], v[166:167], v[164:165]
	v_fmac_f64_e32 v[166:167], v[164:165], v[168:169]
	v_div_scale_f64 v[164:165], s[10:11], v[166:167], v[166:167], 1.0
	v_rcp_f64_e32 v[170:171], v[164:165]
	s_nop 0
	v_fma_f64 v[172:173], -v[164:165], v[170:171], 1.0
	v_fmac_f64_e32 v[170:171], v[170:171], v[172:173]
	v_fma_f64 v[172:173], -v[164:165], v[170:171], 1.0
	v_fmac_f64_e32 v[170:171], v[170:171], v[172:173]
	v_div_scale_f64 v[172:173], vcc, 1.0, v[166:167], 1.0
	v_mul_f64 v[174:175], v[172:173], v[170:171]
	v_fma_f64 v[164:165], -v[164:165], v[174:175], v[172:173]
	s_nop 1
	v_div_fmas_f64 v[164:165], v[164:165], v[170:171], v[174:175]
	v_div_fixup_f64 v[170:171], v[164:165], v[166:167], 1.0
	v_mul_f64 v[168:169], v[168:169], v[170:171]
	v_xor_b32_e32 v171, 0x80000000, v171
                                        ; implicit-def: $vgpr164_vgpr165
.LBB81_59:
	s_andn2_saveexec_b64 s[2:3], s[2:3]
	s_cbranch_execz .LBB81_61
; %bb.60:
	v_div_scale_f64 v[168:169], s[10:11], v[164:165], v[164:165], v[166:167]
	v_rcp_f64_e32 v[170:171], v[168:169]
	v_div_scale_f64 v[172:173], vcc, v[166:167], v[164:165], v[166:167]
	v_fma_f64 v[174:175], -v[168:169], v[170:171], 1.0
	v_fmac_f64_e32 v[170:171], v[170:171], v[174:175]
	v_fma_f64 v[174:175], -v[168:169], v[170:171], 1.0
	v_fmac_f64_e32 v[170:171], v[170:171], v[174:175]
	v_mul_f64 v[174:175], v[172:173], v[170:171]
	v_fma_f64 v[168:169], -v[168:169], v[174:175], v[172:173]
	v_div_fmas_f64 v[168:169], v[168:169], v[170:171], v[174:175]
	v_div_fixup_f64 v[170:171], v[168:169], v[164:165], v[166:167]
	v_fmac_f64_e32 v[164:165], v[166:167], v[170:171]
	v_div_scale_f64 v[166:167], s[10:11], v[164:165], v[164:165], 1.0
	v_rcp_f64_e32 v[168:169], v[166:167]
	s_nop 0
	v_fma_f64 v[172:173], -v[166:167], v[168:169], 1.0
	v_fmac_f64_e32 v[168:169], v[168:169], v[172:173]
	v_fma_f64 v[172:173], -v[166:167], v[168:169], 1.0
	v_fmac_f64_e32 v[168:169], v[168:169], v[172:173]
	v_div_scale_f64 v[172:173], vcc, 1.0, v[164:165], 1.0
	v_mul_f64 v[174:175], v[172:173], v[168:169]
	v_fma_f64 v[166:167], -v[166:167], v[174:175], v[172:173]
	s_nop 1
	v_div_fmas_f64 v[166:167], v[166:167], v[168:169], v[174:175]
	v_div_fixup_f64 v[168:169], v[166:167], v[164:165], 1.0
	v_mul_f64 v[170:171], v[170:171], -v[168:169]
.LBB81_61:
	s_or_b64 exec, exec, s[2:3]
	ds_write2_b64 v237, v[168:169], v[170:171] offset1:1
.LBB81_62:
	s_or_b64 exec, exec, s[4:5]
	s_waitcnt lgkmcnt(0)
	s_barrier
	ds_read2_b64 v[164:167], v237 offset1:1
	v_cmp_lt_u32_e32 vcc, 6, v236
	s_waitcnt lgkmcnt(0)
	scratch_store_dwordx4 off, v[164:167], off offset:376 ; 16-byte Folded Spill
	s_and_saveexec_b64 s[2:3], vcc
	s_cbranch_execz .LBB81_64
; %bb.63:
	scratch_load_dwordx4 v[166:169], off, off offset:376 ; 16-byte Folded Reload
	s_waitcnt vmcnt(0)
	v_mul_f64 v[164:165], v[168:169], v[134:135]
	v_mul_f64 v[134:135], v[166:167], v[134:135]
	v_fma_f64 v[164:165], v[166:167], v[132:133], -v[164:165]
	v_fmac_f64_e32 v[134:135], v[168:169], v[132:133]
	ds_read2_b64 v[166:169], v238 offset0:14 offset1:15
	s_waitcnt lgkmcnt(0)
	v_mul_f64 v[132:133], v[168:169], v[134:135]
	v_fma_f64 v[132:133], v[166:167], v[164:165], -v[132:133]
	v_mul_f64 v[166:167], v[166:167], v[134:135]
	v_fmac_f64_e32 v[166:167], v[168:169], v[164:165]
	v_add_f64 v[130:131], v[130:131], -v[166:167]
	ds_read2_b64 v[166:169], v238 offset0:16 offset1:17
	v_add_f64 v[128:129], v[128:129], -v[132:133]
	s_waitcnt lgkmcnt(0)
	v_mul_f64 v[132:133], v[168:169], v[134:135]
	v_fma_f64 v[132:133], v[166:167], v[164:165], -v[132:133]
	v_mul_f64 v[166:167], v[166:167], v[134:135]
	v_fmac_f64_e32 v[166:167], v[168:169], v[164:165]
	v_add_f64 v[126:127], v[126:127], -v[166:167]
	ds_read2_b64 v[166:169], v238 offset0:18 offset1:19
	v_add_f64 v[124:125], v[124:125], -v[132:133]
	;; [unrolled: 8-line block ×33, first 2 shown]
	s_waitcnt lgkmcnt(0)
	v_mul_f64 v[132:133], v[168:169], v[134:135]
	v_fma_f64 v[132:133], v[166:167], v[164:165], -v[132:133]
	v_mul_f64 v[166:167], v[166:167], v[134:135]
	v_fmac_f64_e32 v[166:167], v[168:169], v[164:165]
	v_add_f64 v[160:161], v[160:161], -v[132:133]
	v_add_f64 v[162:163], v[162:163], -v[166:167]
	v_mov_b64_e32 v[132:133], v[164:165]
.LBB81_64:
	s_or_b64 exec, exec, s[2:3]
	v_cmp_eq_u32_e32 vcc, 7, v236
	s_waitcnt vmcnt(63) expcnt(7) lgkmcnt(15)
	s_barrier
	s_and_saveexec_b64 s[4:5], vcc
	s_cbranch_execz .LBB81_71
; %bb.65:
	ds_write2_b64 v237, v[128:129], v[130:131] offset1:1
	ds_write2_b64 v238, v[124:125], v[126:127] offset0:16 offset1:17
	ds_write2_b64 v238, v[120:121], v[122:123] offset0:18 offset1:19
	;; [unrolled: 1-line block ×9, first 2 shown]
	s_waitcnt vmcnt(62)
	ds_write2_b64 v238, v[88:89], v[90:91] offset0:34 offset1:35
	s_waitcnt vmcnt(61)
	ds_write2_b64 v238, v[84:85], v[86:87] offset0:36 offset1:37
	;; [unrolled: 2-line block ×22, first 2 shown]
	ds_write2_b64 v238, v[0:1], v[2:3] offset0:78 offset1:79
	s_waitcnt vmcnt(17)
	ds_write2_b64 v238, v[160:161], v[162:163] offset0:80 offset1:81
	ds_read2_b64 v[164:167], v237 offset1:1
	s_waitcnt lgkmcnt(0)
	v_cmp_neq_f64_e32 vcc, 0, v[164:165]
	v_cmp_neq_f64_e64 s[2:3], 0, v[166:167]
	s_or_b64 s[2:3], vcc, s[2:3]
	s_and_b64 exec, exec, s[2:3]
	s_cbranch_execz .LBB81_71
; %bb.66:
	v_cmp_ngt_f64_e64 s[2:3], |v[164:165]|, |v[166:167]|
                                        ; implicit-def: $vgpr168_vgpr169
	s_and_saveexec_b64 s[10:11], s[2:3]
	s_xor_b64 s[2:3], exec, s[10:11]
                                        ; implicit-def: $vgpr170_vgpr171
	s_cbranch_execz .LBB81_68
; %bb.67:
	v_div_scale_f64 v[168:169], s[10:11], v[166:167], v[166:167], v[164:165]
	v_rcp_f64_e32 v[170:171], v[168:169]
	v_div_scale_f64 v[172:173], vcc, v[164:165], v[166:167], v[164:165]
	v_fma_f64 v[174:175], -v[168:169], v[170:171], 1.0
	v_fmac_f64_e32 v[170:171], v[170:171], v[174:175]
	v_fma_f64 v[174:175], -v[168:169], v[170:171], 1.0
	v_fmac_f64_e32 v[170:171], v[170:171], v[174:175]
	v_mul_f64 v[174:175], v[172:173], v[170:171]
	v_fma_f64 v[168:169], -v[168:169], v[174:175], v[172:173]
	v_div_fmas_f64 v[168:169], v[168:169], v[170:171], v[174:175]
	v_div_fixup_f64 v[168:169], v[168:169], v[166:167], v[164:165]
	v_fmac_f64_e32 v[166:167], v[164:165], v[168:169]
	v_div_scale_f64 v[164:165], s[10:11], v[166:167], v[166:167], 1.0
	v_rcp_f64_e32 v[170:171], v[164:165]
	s_nop 0
	v_fma_f64 v[172:173], -v[164:165], v[170:171], 1.0
	v_fmac_f64_e32 v[170:171], v[170:171], v[172:173]
	v_fma_f64 v[172:173], -v[164:165], v[170:171], 1.0
	v_fmac_f64_e32 v[170:171], v[170:171], v[172:173]
	v_div_scale_f64 v[172:173], vcc, 1.0, v[166:167], 1.0
	v_mul_f64 v[174:175], v[172:173], v[170:171]
	v_fma_f64 v[164:165], -v[164:165], v[174:175], v[172:173]
	s_nop 1
	v_div_fmas_f64 v[164:165], v[164:165], v[170:171], v[174:175]
	v_div_fixup_f64 v[170:171], v[164:165], v[166:167], 1.0
	v_mul_f64 v[168:169], v[168:169], v[170:171]
	v_xor_b32_e32 v171, 0x80000000, v171
                                        ; implicit-def: $vgpr164_vgpr165
.LBB81_68:
	s_andn2_saveexec_b64 s[2:3], s[2:3]
	s_cbranch_execz .LBB81_70
; %bb.69:
	v_div_scale_f64 v[168:169], s[10:11], v[164:165], v[164:165], v[166:167]
	v_rcp_f64_e32 v[170:171], v[168:169]
	v_div_scale_f64 v[172:173], vcc, v[166:167], v[164:165], v[166:167]
	v_fma_f64 v[174:175], -v[168:169], v[170:171], 1.0
	v_fmac_f64_e32 v[170:171], v[170:171], v[174:175]
	v_fma_f64 v[174:175], -v[168:169], v[170:171], 1.0
	v_fmac_f64_e32 v[170:171], v[170:171], v[174:175]
	v_mul_f64 v[174:175], v[172:173], v[170:171]
	v_fma_f64 v[168:169], -v[168:169], v[174:175], v[172:173]
	v_div_fmas_f64 v[168:169], v[168:169], v[170:171], v[174:175]
	v_div_fixup_f64 v[170:171], v[168:169], v[164:165], v[166:167]
	v_fmac_f64_e32 v[164:165], v[166:167], v[170:171]
	v_div_scale_f64 v[166:167], s[10:11], v[164:165], v[164:165], 1.0
	v_rcp_f64_e32 v[168:169], v[166:167]
	s_nop 0
	v_fma_f64 v[172:173], -v[166:167], v[168:169], 1.0
	v_fmac_f64_e32 v[168:169], v[168:169], v[172:173]
	v_fma_f64 v[172:173], -v[166:167], v[168:169], 1.0
	v_fmac_f64_e32 v[168:169], v[168:169], v[172:173]
	v_div_scale_f64 v[172:173], vcc, 1.0, v[164:165], 1.0
	v_mul_f64 v[174:175], v[172:173], v[168:169]
	v_fma_f64 v[166:167], -v[166:167], v[174:175], v[172:173]
	s_nop 1
	v_div_fmas_f64 v[166:167], v[166:167], v[168:169], v[174:175]
	v_div_fixup_f64 v[168:169], v[166:167], v[164:165], 1.0
	v_mul_f64 v[170:171], v[170:171], -v[168:169]
.LBB81_70:
	s_or_b64 exec, exec, s[2:3]
	ds_write2_b64 v237, v[168:169], v[170:171] offset1:1
.LBB81_71:
	s_or_b64 exec, exec, s[4:5]
	s_waitcnt lgkmcnt(0)
	s_barrier
	ds_read2_b64 v[164:167], v237 offset1:1
	v_cmp_lt_u32_e32 vcc, 7, v236
	s_waitcnt lgkmcnt(0)
	scratch_store_dwordx4 off, v[164:167], off offset:392 ; 16-byte Folded Spill
	s_and_saveexec_b64 s[2:3], vcc
	s_cbranch_execz .LBB81_73
; %bb.72:
	scratch_load_dwordx4 v[166:169], off, off offset:392 ; 16-byte Folded Reload
	s_waitcnt vmcnt(0)
	v_mul_f64 v[164:165], v[168:169], v[130:131]
	v_mul_f64 v[130:131], v[166:167], v[130:131]
	v_fma_f64 v[164:165], v[166:167], v[128:129], -v[164:165]
	v_fmac_f64_e32 v[130:131], v[168:169], v[128:129]
	ds_read2_b64 v[166:169], v238 offset0:16 offset1:17
	s_waitcnt lgkmcnt(0)
	v_mul_f64 v[128:129], v[168:169], v[130:131]
	v_fma_f64 v[128:129], v[166:167], v[164:165], -v[128:129]
	v_mul_f64 v[166:167], v[166:167], v[130:131]
	v_fmac_f64_e32 v[166:167], v[168:169], v[164:165]
	v_add_f64 v[126:127], v[126:127], -v[166:167]
	ds_read2_b64 v[166:169], v238 offset0:18 offset1:19
	v_add_f64 v[124:125], v[124:125], -v[128:129]
	s_waitcnt lgkmcnt(0)
	v_mul_f64 v[128:129], v[168:169], v[130:131]
	v_fma_f64 v[128:129], v[166:167], v[164:165], -v[128:129]
	v_mul_f64 v[166:167], v[166:167], v[130:131]
	v_fmac_f64_e32 v[166:167], v[168:169], v[164:165]
	v_add_f64 v[122:123], v[122:123], -v[166:167]
	ds_read2_b64 v[166:169], v238 offset0:20 offset1:21
	v_add_f64 v[120:121], v[120:121], -v[128:129]
	;; [unrolled: 8-line block ×32, first 2 shown]
	s_waitcnt lgkmcnt(0)
	v_mul_f64 v[128:129], v[168:169], v[130:131]
	v_fma_f64 v[128:129], v[166:167], v[164:165], -v[128:129]
	v_mul_f64 v[166:167], v[166:167], v[130:131]
	v_fmac_f64_e32 v[166:167], v[168:169], v[164:165]
	v_add_f64 v[160:161], v[160:161], -v[128:129]
	v_add_f64 v[162:163], v[162:163], -v[166:167]
	v_mov_b64_e32 v[128:129], v[164:165]
.LBB81_73:
	s_or_b64 exec, exec, s[2:3]
	v_cmp_eq_u32_e32 vcc, 8, v236
	s_waitcnt vmcnt(63) expcnt(7) lgkmcnt(15)
	s_barrier
	s_and_saveexec_b64 s[4:5], vcc
	s_cbranch_execz .LBB81_80
; %bb.74:
	ds_write2_b64 v237, v[124:125], v[126:127] offset1:1
	ds_write2_b64 v238, v[120:121], v[122:123] offset0:18 offset1:19
	ds_write2_b64 v238, v[116:117], v[118:119] offset0:20 offset1:21
	;; [unrolled: 1-line block ×9, first 2 shown]
	s_waitcnt vmcnt(62)
	ds_write2_b64 v238, v[84:85], v[86:87] offset0:36 offset1:37
	s_waitcnt vmcnt(61)
	ds_write2_b64 v238, v[80:81], v[82:83] offset0:38 offset1:39
	;; [unrolled: 2-line block ×21, first 2 shown]
	ds_write2_b64 v238, v[0:1], v[2:3] offset0:78 offset1:79
	s_waitcnt vmcnt(18)
	ds_write2_b64 v238, v[160:161], v[162:163] offset0:80 offset1:81
	ds_read2_b64 v[164:167], v237 offset1:1
	s_waitcnt lgkmcnt(0)
	v_cmp_neq_f64_e32 vcc, 0, v[164:165]
	v_cmp_neq_f64_e64 s[2:3], 0, v[166:167]
	s_or_b64 s[2:3], vcc, s[2:3]
	s_and_b64 exec, exec, s[2:3]
	s_cbranch_execz .LBB81_80
; %bb.75:
	v_cmp_ngt_f64_e64 s[2:3], |v[164:165]|, |v[166:167]|
                                        ; implicit-def: $vgpr168_vgpr169
	s_and_saveexec_b64 s[10:11], s[2:3]
	s_xor_b64 s[2:3], exec, s[10:11]
                                        ; implicit-def: $vgpr170_vgpr171
	s_cbranch_execz .LBB81_77
; %bb.76:
	v_div_scale_f64 v[168:169], s[10:11], v[166:167], v[166:167], v[164:165]
	v_rcp_f64_e32 v[170:171], v[168:169]
	v_div_scale_f64 v[172:173], vcc, v[164:165], v[166:167], v[164:165]
	v_fma_f64 v[174:175], -v[168:169], v[170:171], 1.0
	v_fmac_f64_e32 v[170:171], v[170:171], v[174:175]
	v_fma_f64 v[174:175], -v[168:169], v[170:171], 1.0
	v_fmac_f64_e32 v[170:171], v[170:171], v[174:175]
	v_mul_f64 v[174:175], v[172:173], v[170:171]
	v_fma_f64 v[168:169], -v[168:169], v[174:175], v[172:173]
	v_div_fmas_f64 v[168:169], v[168:169], v[170:171], v[174:175]
	v_div_fixup_f64 v[168:169], v[168:169], v[166:167], v[164:165]
	v_fmac_f64_e32 v[166:167], v[164:165], v[168:169]
	v_div_scale_f64 v[164:165], s[10:11], v[166:167], v[166:167], 1.0
	v_rcp_f64_e32 v[170:171], v[164:165]
	s_nop 0
	v_fma_f64 v[172:173], -v[164:165], v[170:171], 1.0
	v_fmac_f64_e32 v[170:171], v[170:171], v[172:173]
	v_fma_f64 v[172:173], -v[164:165], v[170:171], 1.0
	v_fmac_f64_e32 v[170:171], v[170:171], v[172:173]
	v_div_scale_f64 v[172:173], vcc, 1.0, v[166:167], 1.0
	v_mul_f64 v[174:175], v[172:173], v[170:171]
	v_fma_f64 v[164:165], -v[164:165], v[174:175], v[172:173]
	s_nop 1
	v_div_fmas_f64 v[164:165], v[164:165], v[170:171], v[174:175]
	v_div_fixup_f64 v[170:171], v[164:165], v[166:167], 1.0
	v_mul_f64 v[168:169], v[168:169], v[170:171]
	v_xor_b32_e32 v171, 0x80000000, v171
                                        ; implicit-def: $vgpr164_vgpr165
.LBB81_77:
	s_andn2_saveexec_b64 s[2:3], s[2:3]
	s_cbranch_execz .LBB81_79
; %bb.78:
	v_div_scale_f64 v[168:169], s[10:11], v[164:165], v[164:165], v[166:167]
	v_rcp_f64_e32 v[170:171], v[168:169]
	v_div_scale_f64 v[172:173], vcc, v[166:167], v[164:165], v[166:167]
	v_fma_f64 v[174:175], -v[168:169], v[170:171], 1.0
	v_fmac_f64_e32 v[170:171], v[170:171], v[174:175]
	v_fma_f64 v[174:175], -v[168:169], v[170:171], 1.0
	v_fmac_f64_e32 v[170:171], v[170:171], v[174:175]
	v_mul_f64 v[174:175], v[172:173], v[170:171]
	v_fma_f64 v[168:169], -v[168:169], v[174:175], v[172:173]
	v_div_fmas_f64 v[168:169], v[168:169], v[170:171], v[174:175]
	v_div_fixup_f64 v[170:171], v[168:169], v[164:165], v[166:167]
	v_fmac_f64_e32 v[164:165], v[166:167], v[170:171]
	v_div_scale_f64 v[166:167], s[10:11], v[164:165], v[164:165], 1.0
	v_rcp_f64_e32 v[168:169], v[166:167]
	s_nop 0
	v_fma_f64 v[172:173], -v[166:167], v[168:169], 1.0
	v_fmac_f64_e32 v[168:169], v[168:169], v[172:173]
	v_fma_f64 v[172:173], -v[166:167], v[168:169], 1.0
	v_fmac_f64_e32 v[168:169], v[168:169], v[172:173]
	v_div_scale_f64 v[172:173], vcc, 1.0, v[164:165], 1.0
	v_mul_f64 v[174:175], v[172:173], v[168:169]
	v_fma_f64 v[166:167], -v[166:167], v[174:175], v[172:173]
	s_nop 1
	v_div_fmas_f64 v[166:167], v[166:167], v[168:169], v[174:175]
	v_div_fixup_f64 v[168:169], v[166:167], v[164:165], 1.0
	v_mul_f64 v[170:171], v[170:171], -v[168:169]
.LBB81_79:
	s_or_b64 exec, exec, s[2:3]
	ds_write2_b64 v237, v[168:169], v[170:171] offset1:1
.LBB81_80:
	s_or_b64 exec, exec, s[4:5]
	s_waitcnt lgkmcnt(0)
	s_barrier
	ds_read2_b64 v[164:167], v237 offset1:1
	v_cmp_lt_u32_e32 vcc, 8, v236
	s_waitcnt lgkmcnt(0)
	scratch_store_dwordx4 off, v[164:167], off offset:408 ; 16-byte Folded Spill
	s_and_saveexec_b64 s[2:3], vcc
	s_cbranch_execz .LBB81_82
; %bb.81:
	scratch_load_dwordx4 v[166:169], off, off offset:408 ; 16-byte Folded Reload
	s_waitcnt vmcnt(0)
	v_mul_f64 v[164:165], v[168:169], v[126:127]
	v_mul_f64 v[126:127], v[166:167], v[126:127]
	v_fma_f64 v[164:165], v[166:167], v[124:125], -v[164:165]
	v_fmac_f64_e32 v[126:127], v[168:169], v[124:125]
	ds_read2_b64 v[166:169], v238 offset0:18 offset1:19
	s_waitcnt lgkmcnt(0)
	v_mul_f64 v[124:125], v[168:169], v[126:127]
	v_fma_f64 v[124:125], v[166:167], v[164:165], -v[124:125]
	v_mul_f64 v[166:167], v[166:167], v[126:127]
	v_fmac_f64_e32 v[166:167], v[168:169], v[164:165]
	v_add_f64 v[122:123], v[122:123], -v[166:167]
	ds_read2_b64 v[166:169], v238 offset0:20 offset1:21
	v_add_f64 v[120:121], v[120:121], -v[124:125]
	s_waitcnt lgkmcnt(0)
	v_mul_f64 v[124:125], v[168:169], v[126:127]
	v_fma_f64 v[124:125], v[166:167], v[164:165], -v[124:125]
	v_mul_f64 v[166:167], v[166:167], v[126:127]
	v_fmac_f64_e32 v[166:167], v[168:169], v[164:165]
	v_add_f64 v[118:119], v[118:119], -v[166:167]
	ds_read2_b64 v[166:169], v238 offset0:22 offset1:23
	v_add_f64 v[116:117], v[116:117], -v[124:125]
	;; [unrolled: 8-line block ×31, first 2 shown]
	s_waitcnt lgkmcnt(0)
	v_mul_f64 v[124:125], v[168:169], v[126:127]
	v_fma_f64 v[124:125], v[166:167], v[164:165], -v[124:125]
	v_mul_f64 v[166:167], v[166:167], v[126:127]
	v_fmac_f64_e32 v[166:167], v[168:169], v[164:165]
	v_add_f64 v[160:161], v[160:161], -v[124:125]
	v_add_f64 v[162:163], v[162:163], -v[166:167]
	v_mov_b64_e32 v[124:125], v[164:165]
.LBB81_82:
	s_or_b64 exec, exec, s[2:3]
	v_cmp_eq_u32_e32 vcc, 9, v236
	s_waitcnt vmcnt(63) expcnt(7) lgkmcnt(15)
	s_barrier
	s_and_saveexec_b64 s[4:5], vcc
	s_cbranch_execz .LBB81_89
; %bb.83:
	ds_write2_b64 v237, v[120:121], v[122:123] offset1:1
	ds_write2_b64 v238, v[116:117], v[118:119] offset0:20 offset1:21
	ds_write2_b64 v238, v[112:113], v[114:115] offset0:22 offset1:23
	;; [unrolled: 1-line block ×9, first 2 shown]
	s_waitcnt vmcnt(62)
	ds_write2_b64 v238, v[80:81], v[82:83] offset0:38 offset1:39
	s_waitcnt vmcnt(61)
	ds_write2_b64 v238, v[76:77], v[78:79] offset0:40 offset1:41
	;; [unrolled: 2-line block ×20, first 2 shown]
	ds_write2_b64 v238, v[0:1], v[2:3] offset0:78 offset1:79
	s_waitcnt vmcnt(19)
	ds_write2_b64 v238, v[160:161], v[162:163] offset0:80 offset1:81
	ds_read2_b64 v[164:167], v237 offset1:1
	s_waitcnt lgkmcnt(0)
	v_cmp_neq_f64_e32 vcc, 0, v[164:165]
	v_cmp_neq_f64_e64 s[2:3], 0, v[166:167]
	s_or_b64 s[2:3], vcc, s[2:3]
	s_and_b64 exec, exec, s[2:3]
	s_cbranch_execz .LBB81_89
; %bb.84:
	v_cmp_ngt_f64_e64 s[2:3], |v[164:165]|, |v[166:167]|
                                        ; implicit-def: $vgpr168_vgpr169
	s_and_saveexec_b64 s[10:11], s[2:3]
	s_xor_b64 s[2:3], exec, s[10:11]
                                        ; implicit-def: $vgpr170_vgpr171
	s_cbranch_execz .LBB81_86
; %bb.85:
	v_div_scale_f64 v[168:169], s[10:11], v[166:167], v[166:167], v[164:165]
	v_rcp_f64_e32 v[170:171], v[168:169]
	v_div_scale_f64 v[172:173], vcc, v[164:165], v[166:167], v[164:165]
	v_fma_f64 v[174:175], -v[168:169], v[170:171], 1.0
	v_fmac_f64_e32 v[170:171], v[170:171], v[174:175]
	v_fma_f64 v[174:175], -v[168:169], v[170:171], 1.0
	v_fmac_f64_e32 v[170:171], v[170:171], v[174:175]
	v_mul_f64 v[174:175], v[172:173], v[170:171]
	v_fma_f64 v[168:169], -v[168:169], v[174:175], v[172:173]
	v_div_fmas_f64 v[168:169], v[168:169], v[170:171], v[174:175]
	v_div_fixup_f64 v[168:169], v[168:169], v[166:167], v[164:165]
	v_fmac_f64_e32 v[166:167], v[164:165], v[168:169]
	v_div_scale_f64 v[164:165], s[10:11], v[166:167], v[166:167], 1.0
	v_rcp_f64_e32 v[170:171], v[164:165]
	s_nop 0
	v_fma_f64 v[172:173], -v[164:165], v[170:171], 1.0
	v_fmac_f64_e32 v[170:171], v[170:171], v[172:173]
	v_fma_f64 v[172:173], -v[164:165], v[170:171], 1.0
	v_fmac_f64_e32 v[170:171], v[170:171], v[172:173]
	v_div_scale_f64 v[172:173], vcc, 1.0, v[166:167], 1.0
	v_mul_f64 v[174:175], v[172:173], v[170:171]
	v_fma_f64 v[164:165], -v[164:165], v[174:175], v[172:173]
	s_nop 1
	v_div_fmas_f64 v[164:165], v[164:165], v[170:171], v[174:175]
	v_div_fixup_f64 v[170:171], v[164:165], v[166:167], 1.0
	v_mul_f64 v[168:169], v[168:169], v[170:171]
	v_xor_b32_e32 v171, 0x80000000, v171
                                        ; implicit-def: $vgpr164_vgpr165
.LBB81_86:
	s_andn2_saveexec_b64 s[2:3], s[2:3]
	s_cbranch_execz .LBB81_88
; %bb.87:
	v_div_scale_f64 v[168:169], s[10:11], v[164:165], v[164:165], v[166:167]
	v_rcp_f64_e32 v[170:171], v[168:169]
	v_div_scale_f64 v[172:173], vcc, v[166:167], v[164:165], v[166:167]
	v_fma_f64 v[174:175], -v[168:169], v[170:171], 1.0
	v_fmac_f64_e32 v[170:171], v[170:171], v[174:175]
	v_fma_f64 v[174:175], -v[168:169], v[170:171], 1.0
	v_fmac_f64_e32 v[170:171], v[170:171], v[174:175]
	v_mul_f64 v[174:175], v[172:173], v[170:171]
	v_fma_f64 v[168:169], -v[168:169], v[174:175], v[172:173]
	v_div_fmas_f64 v[168:169], v[168:169], v[170:171], v[174:175]
	v_div_fixup_f64 v[170:171], v[168:169], v[164:165], v[166:167]
	v_fmac_f64_e32 v[164:165], v[166:167], v[170:171]
	v_div_scale_f64 v[166:167], s[10:11], v[164:165], v[164:165], 1.0
	v_rcp_f64_e32 v[168:169], v[166:167]
	s_nop 0
	v_fma_f64 v[172:173], -v[166:167], v[168:169], 1.0
	v_fmac_f64_e32 v[168:169], v[168:169], v[172:173]
	v_fma_f64 v[172:173], -v[166:167], v[168:169], 1.0
	v_fmac_f64_e32 v[168:169], v[168:169], v[172:173]
	v_div_scale_f64 v[172:173], vcc, 1.0, v[164:165], 1.0
	v_mul_f64 v[174:175], v[172:173], v[168:169]
	v_fma_f64 v[166:167], -v[166:167], v[174:175], v[172:173]
	s_nop 1
	v_div_fmas_f64 v[166:167], v[166:167], v[168:169], v[174:175]
	v_div_fixup_f64 v[168:169], v[166:167], v[164:165], 1.0
	v_mul_f64 v[170:171], v[170:171], -v[168:169]
.LBB81_88:
	s_or_b64 exec, exec, s[2:3]
	ds_write2_b64 v237, v[168:169], v[170:171] offset1:1
.LBB81_89:
	s_or_b64 exec, exec, s[4:5]
	s_waitcnt lgkmcnt(0)
	s_barrier
	ds_read2_b64 v[164:167], v237 offset1:1
	v_cmp_lt_u32_e32 vcc, 9, v236
	s_waitcnt lgkmcnt(0)
	scratch_store_dwordx4 off, v[164:167], off offset:424 ; 16-byte Folded Spill
	s_and_saveexec_b64 s[2:3], vcc
	s_cbranch_execz .LBB81_91
; %bb.90:
	scratch_load_dwordx4 v[166:169], off, off offset:424 ; 16-byte Folded Reload
	s_waitcnt vmcnt(0)
	v_mul_f64 v[164:165], v[168:169], v[122:123]
	v_mul_f64 v[122:123], v[166:167], v[122:123]
	v_fma_f64 v[164:165], v[166:167], v[120:121], -v[164:165]
	v_fmac_f64_e32 v[122:123], v[168:169], v[120:121]
	ds_read2_b64 v[166:169], v238 offset0:20 offset1:21
	s_waitcnt lgkmcnt(0)
	v_mul_f64 v[120:121], v[168:169], v[122:123]
	v_fma_f64 v[120:121], v[166:167], v[164:165], -v[120:121]
	v_mul_f64 v[166:167], v[166:167], v[122:123]
	v_fmac_f64_e32 v[166:167], v[168:169], v[164:165]
	v_add_f64 v[118:119], v[118:119], -v[166:167]
	ds_read2_b64 v[166:169], v238 offset0:22 offset1:23
	v_add_f64 v[116:117], v[116:117], -v[120:121]
	s_waitcnt lgkmcnt(0)
	v_mul_f64 v[120:121], v[168:169], v[122:123]
	v_fma_f64 v[120:121], v[166:167], v[164:165], -v[120:121]
	v_mul_f64 v[166:167], v[166:167], v[122:123]
	v_fmac_f64_e32 v[166:167], v[168:169], v[164:165]
	v_add_f64 v[114:115], v[114:115], -v[166:167]
	ds_read2_b64 v[166:169], v238 offset0:24 offset1:25
	v_add_f64 v[112:113], v[112:113], -v[120:121]
	;; [unrolled: 8-line block ×30, first 2 shown]
	s_waitcnt lgkmcnt(0)
	v_mul_f64 v[120:121], v[168:169], v[122:123]
	v_fma_f64 v[120:121], v[166:167], v[164:165], -v[120:121]
	v_mul_f64 v[166:167], v[166:167], v[122:123]
	v_fmac_f64_e32 v[166:167], v[168:169], v[164:165]
	v_add_f64 v[160:161], v[160:161], -v[120:121]
	v_add_f64 v[162:163], v[162:163], -v[166:167]
	v_mov_b64_e32 v[120:121], v[164:165]
.LBB81_91:
	s_or_b64 exec, exec, s[2:3]
	v_cmp_eq_u32_e32 vcc, 10, v236
	s_waitcnt vmcnt(63) expcnt(7) lgkmcnt(15)
	s_barrier
	s_and_saveexec_b64 s[4:5], vcc
	s_cbranch_execz .LBB81_98
; %bb.92:
	ds_write2_b64 v237, v[116:117], v[118:119] offset1:1
	ds_write2_b64 v238, v[112:113], v[114:115] offset0:22 offset1:23
	ds_write2_b64 v238, v[108:109], v[110:111] offset0:24 offset1:25
	;; [unrolled: 1-line block ×9, first 2 shown]
	s_waitcnt vmcnt(62)
	ds_write2_b64 v238, v[76:77], v[78:79] offset0:40 offset1:41
	s_waitcnt vmcnt(61)
	ds_write2_b64 v238, v[72:73], v[74:75] offset0:42 offset1:43
	;; [unrolled: 2-line block ×19, first 2 shown]
	ds_write2_b64 v238, v[0:1], v[2:3] offset0:78 offset1:79
	s_waitcnt vmcnt(20)
	ds_write2_b64 v238, v[160:161], v[162:163] offset0:80 offset1:81
	ds_read2_b64 v[164:167], v237 offset1:1
	s_waitcnt lgkmcnt(0)
	v_cmp_neq_f64_e32 vcc, 0, v[164:165]
	v_cmp_neq_f64_e64 s[2:3], 0, v[166:167]
	s_or_b64 s[2:3], vcc, s[2:3]
	s_and_b64 exec, exec, s[2:3]
	s_cbranch_execz .LBB81_98
; %bb.93:
	v_cmp_ngt_f64_e64 s[2:3], |v[164:165]|, |v[166:167]|
                                        ; implicit-def: $vgpr168_vgpr169
	s_and_saveexec_b64 s[10:11], s[2:3]
	s_xor_b64 s[2:3], exec, s[10:11]
                                        ; implicit-def: $vgpr170_vgpr171
	s_cbranch_execz .LBB81_95
; %bb.94:
	v_div_scale_f64 v[168:169], s[10:11], v[166:167], v[166:167], v[164:165]
	v_rcp_f64_e32 v[170:171], v[168:169]
	v_div_scale_f64 v[172:173], vcc, v[164:165], v[166:167], v[164:165]
	v_fma_f64 v[174:175], -v[168:169], v[170:171], 1.0
	v_fmac_f64_e32 v[170:171], v[170:171], v[174:175]
	v_fma_f64 v[174:175], -v[168:169], v[170:171], 1.0
	v_fmac_f64_e32 v[170:171], v[170:171], v[174:175]
	v_mul_f64 v[174:175], v[172:173], v[170:171]
	v_fma_f64 v[168:169], -v[168:169], v[174:175], v[172:173]
	v_div_fmas_f64 v[168:169], v[168:169], v[170:171], v[174:175]
	v_div_fixup_f64 v[168:169], v[168:169], v[166:167], v[164:165]
	v_fmac_f64_e32 v[166:167], v[164:165], v[168:169]
	v_div_scale_f64 v[164:165], s[10:11], v[166:167], v[166:167], 1.0
	v_rcp_f64_e32 v[170:171], v[164:165]
	s_nop 0
	v_fma_f64 v[172:173], -v[164:165], v[170:171], 1.0
	v_fmac_f64_e32 v[170:171], v[170:171], v[172:173]
	v_fma_f64 v[172:173], -v[164:165], v[170:171], 1.0
	v_fmac_f64_e32 v[170:171], v[170:171], v[172:173]
	v_div_scale_f64 v[172:173], vcc, 1.0, v[166:167], 1.0
	v_mul_f64 v[174:175], v[172:173], v[170:171]
	v_fma_f64 v[164:165], -v[164:165], v[174:175], v[172:173]
	s_nop 1
	v_div_fmas_f64 v[164:165], v[164:165], v[170:171], v[174:175]
	v_div_fixup_f64 v[170:171], v[164:165], v[166:167], 1.0
	v_mul_f64 v[168:169], v[168:169], v[170:171]
	v_xor_b32_e32 v171, 0x80000000, v171
                                        ; implicit-def: $vgpr164_vgpr165
.LBB81_95:
	s_andn2_saveexec_b64 s[2:3], s[2:3]
	s_cbranch_execz .LBB81_97
; %bb.96:
	v_div_scale_f64 v[168:169], s[10:11], v[164:165], v[164:165], v[166:167]
	v_rcp_f64_e32 v[170:171], v[168:169]
	v_div_scale_f64 v[172:173], vcc, v[166:167], v[164:165], v[166:167]
	v_fma_f64 v[174:175], -v[168:169], v[170:171], 1.0
	v_fmac_f64_e32 v[170:171], v[170:171], v[174:175]
	v_fma_f64 v[174:175], -v[168:169], v[170:171], 1.0
	v_fmac_f64_e32 v[170:171], v[170:171], v[174:175]
	v_mul_f64 v[174:175], v[172:173], v[170:171]
	v_fma_f64 v[168:169], -v[168:169], v[174:175], v[172:173]
	v_div_fmas_f64 v[168:169], v[168:169], v[170:171], v[174:175]
	v_div_fixup_f64 v[170:171], v[168:169], v[164:165], v[166:167]
	v_fmac_f64_e32 v[164:165], v[166:167], v[170:171]
	v_div_scale_f64 v[166:167], s[10:11], v[164:165], v[164:165], 1.0
	v_rcp_f64_e32 v[168:169], v[166:167]
	s_nop 0
	v_fma_f64 v[172:173], -v[166:167], v[168:169], 1.0
	v_fmac_f64_e32 v[168:169], v[168:169], v[172:173]
	v_fma_f64 v[172:173], -v[166:167], v[168:169], 1.0
	v_fmac_f64_e32 v[168:169], v[168:169], v[172:173]
	v_div_scale_f64 v[172:173], vcc, 1.0, v[164:165], 1.0
	v_mul_f64 v[174:175], v[172:173], v[168:169]
	v_fma_f64 v[166:167], -v[166:167], v[174:175], v[172:173]
	s_nop 1
	v_div_fmas_f64 v[166:167], v[166:167], v[168:169], v[174:175]
	v_div_fixup_f64 v[168:169], v[166:167], v[164:165], 1.0
	v_mul_f64 v[170:171], v[170:171], -v[168:169]
.LBB81_97:
	s_or_b64 exec, exec, s[2:3]
	ds_write2_b64 v237, v[168:169], v[170:171] offset1:1
.LBB81_98:
	s_or_b64 exec, exec, s[4:5]
	s_waitcnt lgkmcnt(0)
	s_barrier
	ds_read2_b64 v[164:167], v237 offset1:1
	v_cmp_lt_u32_e32 vcc, 10, v236
	s_waitcnt lgkmcnt(0)
	scratch_store_dwordx4 off, v[164:167], off offset:440 ; 16-byte Folded Spill
	s_and_saveexec_b64 s[2:3], vcc
	s_cbranch_execz .LBB81_100
; %bb.99:
	scratch_load_dwordx4 v[166:169], off, off offset:440 ; 16-byte Folded Reload
	s_waitcnt vmcnt(0)
	v_mul_f64 v[164:165], v[168:169], v[118:119]
	v_mul_f64 v[118:119], v[166:167], v[118:119]
	v_fma_f64 v[164:165], v[166:167], v[116:117], -v[164:165]
	v_fmac_f64_e32 v[118:119], v[168:169], v[116:117]
	ds_read2_b64 v[166:169], v238 offset0:22 offset1:23
	s_waitcnt lgkmcnt(0)
	v_mul_f64 v[116:117], v[168:169], v[118:119]
	v_fma_f64 v[116:117], v[166:167], v[164:165], -v[116:117]
	v_mul_f64 v[166:167], v[166:167], v[118:119]
	v_fmac_f64_e32 v[166:167], v[168:169], v[164:165]
	v_add_f64 v[114:115], v[114:115], -v[166:167]
	ds_read2_b64 v[166:169], v238 offset0:24 offset1:25
	v_add_f64 v[112:113], v[112:113], -v[116:117]
	s_waitcnt lgkmcnt(0)
	v_mul_f64 v[116:117], v[168:169], v[118:119]
	v_fma_f64 v[116:117], v[166:167], v[164:165], -v[116:117]
	v_mul_f64 v[166:167], v[166:167], v[118:119]
	v_fmac_f64_e32 v[166:167], v[168:169], v[164:165]
	v_add_f64 v[110:111], v[110:111], -v[166:167]
	ds_read2_b64 v[166:169], v238 offset0:26 offset1:27
	v_add_f64 v[108:109], v[108:109], -v[116:117]
	;; [unrolled: 8-line block ×29, first 2 shown]
	s_waitcnt lgkmcnt(0)
	v_mul_f64 v[116:117], v[168:169], v[118:119]
	v_fma_f64 v[116:117], v[166:167], v[164:165], -v[116:117]
	v_mul_f64 v[166:167], v[166:167], v[118:119]
	v_fmac_f64_e32 v[166:167], v[168:169], v[164:165]
	v_add_f64 v[160:161], v[160:161], -v[116:117]
	v_add_f64 v[162:163], v[162:163], -v[166:167]
	v_mov_b64_e32 v[116:117], v[164:165]
.LBB81_100:
	s_or_b64 exec, exec, s[2:3]
	v_cmp_eq_u32_e32 vcc, 11, v236
	s_waitcnt vmcnt(63) expcnt(7) lgkmcnt(15)
	s_barrier
	s_and_saveexec_b64 s[4:5], vcc
	s_cbranch_execz .LBB81_107
; %bb.101:
	ds_write2_b64 v237, v[112:113], v[114:115] offset1:1
	ds_write2_b64 v238, v[108:109], v[110:111] offset0:24 offset1:25
	ds_write2_b64 v238, v[104:105], v[106:107] offset0:26 offset1:27
	ds_write2_b64 v238, v[100:101], v[102:103] offset0:28 offset1:29
	ds_write2_b64 v238, v[96:97], v[98:99] offset0:30 offset1:31
	ds_write2_b64 v238, v[92:93], v[94:95] offset0:32 offset1:33
	ds_write2_b64 v238, v[88:89], v[90:91] offset0:34 offset1:35
	ds_write2_b64 v238, v[84:85], v[86:87] offset0:36 offset1:37
	ds_write2_b64 v238, v[80:81], v[82:83] offset0:38 offset1:39
	ds_write2_b64 v238, v[76:77], v[78:79] offset0:40 offset1:41
	s_waitcnt vmcnt(62)
	ds_write2_b64 v238, v[72:73], v[74:75] offset0:42 offset1:43
	s_waitcnt vmcnt(61)
	ds_write2_b64 v238, v[68:69], v[70:71] offset0:44 offset1:45
	;; [unrolled: 2-line block ×18, first 2 shown]
	ds_write2_b64 v238, v[0:1], v[2:3] offset0:78 offset1:79
	s_waitcnt vmcnt(21)
	ds_write2_b64 v238, v[160:161], v[162:163] offset0:80 offset1:81
	ds_read2_b64 v[164:167], v237 offset1:1
	s_waitcnt lgkmcnt(0)
	v_cmp_neq_f64_e32 vcc, 0, v[164:165]
	v_cmp_neq_f64_e64 s[2:3], 0, v[166:167]
	s_or_b64 s[2:3], vcc, s[2:3]
	s_and_b64 exec, exec, s[2:3]
	s_cbranch_execz .LBB81_107
; %bb.102:
	v_cmp_ngt_f64_e64 s[2:3], |v[164:165]|, |v[166:167]|
                                        ; implicit-def: $vgpr168_vgpr169
	s_and_saveexec_b64 s[10:11], s[2:3]
	s_xor_b64 s[2:3], exec, s[10:11]
                                        ; implicit-def: $vgpr170_vgpr171
	s_cbranch_execz .LBB81_104
; %bb.103:
	v_div_scale_f64 v[168:169], s[10:11], v[166:167], v[166:167], v[164:165]
	v_rcp_f64_e32 v[170:171], v[168:169]
	v_div_scale_f64 v[172:173], vcc, v[164:165], v[166:167], v[164:165]
	v_fma_f64 v[174:175], -v[168:169], v[170:171], 1.0
	v_fmac_f64_e32 v[170:171], v[170:171], v[174:175]
	v_fma_f64 v[174:175], -v[168:169], v[170:171], 1.0
	v_fmac_f64_e32 v[170:171], v[170:171], v[174:175]
	v_mul_f64 v[174:175], v[172:173], v[170:171]
	v_fma_f64 v[168:169], -v[168:169], v[174:175], v[172:173]
	v_div_fmas_f64 v[168:169], v[168:169], v[170:171], v[174:175]
	v_div_fixup_f64 v[168:169], v[168:169], v[166:167], v[164:165]
	v_fmac_f64_e32 v[166:167], v[164:165], v[168:169]
	v_div_scale_f64 v[164:165], s[10:11], v[166:167], v[166:167], 1.0
	v_rcp_f64_e32 v[170:171], v[164:165]
	s_nop 0
	v_fma_f64 v[172:173], -v[164:165], v[170:171], 1.0
	v_fmac_f64_e32 v[170:171], v[170:171], v[172:173]
	v_fma_f64 v[172:173], -v[164:165], v[170:171], 1.0
	v_fmac_f64_e32 v[170:171], v[170:171], v[172:173]
	v_div_scale_f64 v[172:173], vcc, 1.0, v[166:167], 1.0
	v_mul_f64 v[174:175], v[172:173], v[170:171]
	v_fma_f64 v[164:165], -v[164:165], v[174:175], v[172:173]
	s_nop 1
	v_div_fmas_f64 v[164:165], v[164:165], v[170:171], v[174:175]
	v_div_fixup_f64 v[170:171], v[164:165], v[166:167], 1.0
	v_mul_f64 v[168:169], v[168:169], v[170:171]
	v_xor_b32_e32 v171, 0x80000000, v171
                                        ; implicit-def: $vgpr164_vgpr165
.LBB81_104:
	s_andn2_saveexec_b64 s[2:3], s[2:3]
	s_cbranch_execz .LBB81_106
; %bb.105:
	v_div_scale_f64 v[168:169], s[10:11], v[164:165], v[164:165], v[166:167]
	v_rcp_f64_e32 v[170:171], v[168:169]
	v_div_scale_f64 v[172:173], vcc, v[166:167], v[164:165], v[166:167]
	v_fma_f64 v[174:175], -v[168:169], v[170:171], 1.0
	v_fmac_f64_e32 v[170:171], v[170:171], v[174:175]
	v_fma_f64 v[174:175], -v[168:169], v[170:171], 1.0
	v_fmac_f64_e32 v[170:171], v[170:171], v[174:175]
	v_mul_f64 v[174:175], v[172:173], v[170:171]
	v_fma_f64 v[168:169], -v[168:169], v[174:175], v[172:173]
	v_div_fmas_f64 v[168:169], v[168:169], v[170:171], v[174:175]
	v_div_fixup_f64 v[170:171], v[168:169], v[164:165], v[166:167]
	v_fmac_f64_e32 v[164:165], v[166:167], v[170:171]
	v_div_scale_f64 v[166:167], s[10:11], v[164:165], v[164:165], 1.0
	v_rcp_f64_e32 v[168:169], v[166:167]
	s_nop 0
	v_fma_f64 v[172:173], -v[166:167], v[168:169], 1.0
	v_fmac_f64_e32 v[168:169], v[168:169], v[172:173]
	v_fma_f64 v[172:173], -v[166:167], v[168:169], 1.0
	v_fmac_f64_e32 v[168:169], v[168:169], v[172:173]
	v_div_scale_f64 v[172:173], vcc, 1.0, v[164:165], 1.0
	v_mul_f64 v[174:175], v[172:173], v[168:169]
	v_fma_f64 v[166:167], -v[166:167], v[174:175], v[172:173]
	s_nop 1
	v_div_fmas_f64 v[166:167], v[166:167], v[168:169], v[174:175]
	v_div_fixup_f64 v[168:169], v[166:167], v[164:165], 1.0
	v_mul_f64 v[170:171], v[170:171], -v[168:169]
.LBB81_106:
	s_or_b64 exec, exec, s[2:3]
	ds_write2_b64 v237, v[168:169], v[170:171] offset1:1
.LBB81_107:
	s_or_b64 exec, exec, s[4:5]
	s_waitcnt lgkmcnt(0)
	s_barrier
	ds_read2_b64 v[164:167], v237 offset1:1
	v_cmp_lt_u32_e32 vcc, 11, v236
	s_waitcnt lgkmcnt(0)
	scratch_store_dwordx4 off, v[164:167], off offset:456 ; 16-byte Folded Spill
	s_and_saveexec_b64 s[2:3], vcc
	s_cbranch_execz .LBB81_109
; %bb.108:
	scratch_load_dwordx4 v[166:169], off, off offset:456 ; 16-byte Folded Reload
	s_waitcnt vmcnt(0)
	v_mul_f64 v[164:165], v[168:169], v[114:115]
	v_mul_f64 v[114:115], v[166:167], v[114:115]
	v_fma_f64 v[164:165], v[166:167], v[112:113], -v[164:165]
	v_fmac_f64_e32 v[114:115], v[168:169], v[112:113]
	ds_read2_b64 v[166:169], v238 offset0:24 offset1:25
	s_waitcnt lgkmcnt(0)
	v_mul_f64 v[112:113], v[168:169], v[114:115]
	v_fma_f64 v[112:113], v[166:167], v[164:165], -v[112:113]
	v_mul_f64 v[166:167], v[166:167], v[114:115]
	v_fmac_f64_e32 v[166:167], v[168:169], v[164:165]
	v_add_f64 v[110:111], v[110:111], -v[166:167]
	ds_read2_b64 v[166:169], v238 offset0:26 offset1:27
	v_add_f64 v[108:109], v[108:109], -v[112:113]
	s_waitcnt lgkmcnt(0)
	v_mul_f64 v[112:113], v[168:169], v[114:115]
	v_fma_f64 v[112:113], v[166:167], v[164:165], -v[112:113]
	v_mul_f64 v[166:167], v[166:167], v[114:115]
	v_fmac_f64_e32 v[166:167], v[168:169], v[164:165]
	v_add_f64 v[106:107], v[106:107], -v[166:167]
	ds_read2_b64 v[166:169], v238 offset0:28 offset1:29
	v_add_f64 v[104:105], v[104:105], -v[112:113]
	;; [unrolled: 8-line block ×28, first 2 shown]
	s_waitcnt lgkmcnt(0)
	v_mul_f64 v[112:113], v[168:169], v[114:115]
	v_fma_f64 v[112:113], v[166:167], v[164:165], -v[112:113]
	v_mul_f64 v[166:167], v[166:167], v[114:115]
	v_fmac_f64_e32 v[166:167], v[168:169], v[164:165]
	v_add_f64 v[160:161], v[160:161], -v[112:113]
	v_add_f64 v[162:163], v[162:163], -v[166:167]
	v_mov_b64_e32 v[112:113], v[164:165]
.LBB81_109:
	s_or_b64 exec, exec, s[2:3]
	v_cmp_eq_u32_e32 vcc, 12, v236
	s_waitcnt vmcnt(63) expcnt(7) lgkmcnt(15)
	s_barrier
	s_and_saveexec_b64 s[4:5], vcc
	s_cbranch_execz .LBB81_116
; %bb.110:
	ds_write2_b64 v237, v[108:109], v[110:111] offset1:1
	ds_write2_b64 v238, v[104:105], v[106:107] offset0:26 offset1:27
	ds_write2_b64 v238, v[100:101], v[102:103] offset0:28 offset1:29
	ds_write2_b64 v238, v[96:97], v[98:99] offset0:30 offset1:31
	ds_write2_b64 v238, v[92:93], v[94:95] offset0:32 offset1:33
	ds_write2_b64 v238, v[88:89], v[90:91] offset0:34 offset1:35
	ds_write2_b64 v238, v[84:85], v[86:87] offset0:36 offset1:37
	ds_write2_b64 v238, v[80:81], v[82:83] offset0:38 offset1:39
	ds_write2_b64 v238, v[76:77], v[78:79] offset0:40 offset1:41
	ds_write2_b64 v238, v[72:73], v[74:75] offset0:42 offset1:43
	s_waitcnt vmcnt(62)
	ds_write2_b64 v238, v[68:69], v[70:71] offset0:44 offset1:45
	s_waitcnt vmcnt(61)
	ds_write2_b64 v238, v[64:65], v[66:67] offset0:46 offset1:47
	;; [unrolled: 2-line block ×17, first 2 shown]
	ds_write2_b64 v238, v[0:1], v[2:3] offset0:78 offset1:79
	s_waitcnt vmcnt(22)
	ds_write2_b64 v238, v[160:161], v[162:163] offset0:80 offset1:81
	ds_read2_b64 v[164:167], v237 offset1:1
	s_waitcnt lgkmcnt(0)
	v_cmp_neq_f64_e32 vcc, 0, v[164:165]
	v_cmp_neq_f64_e64 s[2:3], 0, v[166:167]
	s_or_b64 s[2:3], vcc, s[2:3]
	s_and_b64 exec, exec, s[2:3]
	s_cbranch_execz .LBB81_116
; %bb.111:
	v_cmp_ngt_f64_e64 s[2:3], |v[164:165]|, |v[166:167]|
                                        ; implicit-def: $vgpr168_vgpr169
	s_and_saveexec_b64 s[10:11], s[2:3]
	s_xor_b64 s[2:3], exec, s[10:11]
                                        ; implicit-def: $vgpr170_vgpr171
	s_cbranch_execz .LBB81_113
; %bb.112:
	v_div_scale_f64 v[168:169], s[10:11], v[166:167], v[166:167], v[164:165]
	v_rcp_f64_e32 v[170:171], v[168:169]
	v_div_scale_f64 v[172:173], vcc, v[164:165], v[166:167], v[164:165]
	v_fma_f64 v[174:175], -v[168:169], v[170:171], 1.0
	v_fmac_f64_e32 v[170:171], v[170:171], v[174:175]
	v_fma_f64 v[174:175], -v[168:169], v[170:171], 1.0
	v_fmac_f64_e32 v[170:171], v[170:171], v[174:175]
	v_mul_f64 v[174:175], v[172:173], v[170:171]
	v_fma_f64 v[168:169], -v[168:169], v[174:175], v[172:173]
	v_div_fmas_f64 v[168:169], v[168:169], v[170:171], v[174:175]
	v_div_fixup_f64 v[168:169], v[168:169], v[166:167], v[164:165]
	v_fmac_f64_e32 v[166:167], v[164:165], v[168:169]
	v_div_scale_f64 v[164:165], s[10:11], v[166:167], v[166:167], 1.0
	v_rcp_f64_e32 v[170:171], v[164:165]
	s_nop 0
	v_fma_f64 v[172:173], -v[164:165], v[170:171], 1.0
	v_fmac_f64_e32 v[170:171], v[170:171], v[172:173]
	v_fma_f64 v[172:173], -v[164:165], v[170:171], 1.0
	v_fmac_f64_e32 v[170:171], v[170:171], v[172:173]
	v_div_scale_f64 v[172:173], vcc, 1.0, v[166:167], 1.0
	v_mul_f64 v[174:175], v[172:173], v[170:171]
	v_fma_f64 v[164:165], -v[164:165], v[174:175], v[172:173]
	s_nop 1
	v_div_fmas_f64 v[164:165], v[164:165], v[170:171], v[174:175]
	v_div_fixup_f64 v[170:171], v[164:165], v[166:167], 1.0
	v_mul_f64 v[168:169], v[168:169], v[170:171]
	v_xor_b32_e32 v171, 0x80000000, v171
                                        ; implicit-def: $vgpr164_vgpr165
.LBB81_113:
	s_andn2_saveexec_b64 s[2:3], s[2:3]
	s_cbranch_execz .LBB81_115
; %bb.114:
	v_div_scale_f64 v[168:169], s[10:11], v[164:165], v[164:165], v[166:167]
	v_rcp_f64_e32 v[170:171], v[168:169]
	v_div_scale_f64 v[172:173], vcc, v[166:167], v[164:165], v[166:167]
	v_fma_f64 v[174:175], -v[168:169], v[170:171], 1.0
	v_fmac_f64_e32 v[170:171], v[170:171], v[174:175]
	v_fma_f64 v[174:175], -v[168:169], v[170:171], 1.0
	v_fmac_f64_e32 v[170:171], v[170:171], v[174:175]
	v_mul_f64 v[174:175], v[172:173], v[170:171]
	v_fma_f64 v[168:169], -v[168:169], v[174:175], v[172:173]
	v_div_fmas_f64 v[168:169], v[168:169], v[170:171], v[174:175]
	v_div_fixup_f64 v[170:171], v[168:169], v[164:165], v[166:167]
	v_fmac_f64_e32 v[164:165], v[166:167], v[170:171]
	v_div_scale_f64 v[166:167], s[10:11], v[164:165], v[164:165], 1.0
	v_rcp_f64_e32 v[168:169], v[166:167]
	s_nop 0
	v_fma_f64 v[172:173], -v[166:167], v[168:169], 1.0
	v_fmac_f64_e32 v[168:169], v[168:169], v[172:173]
	v_fma_f64 v[172:173], -v[166:167], v[168:169], 1.0
	v_fmac_f64_e32 v[168:169], v[168:169], v[172:173]
	v_div_scale_f64 v[172:173], vcc, 1.0, v[164:165], 1.0
	v_mul_f64 v[174:175], v[172:173], v[168:169]
	v_fma_f64 v[166:167], -v[166:167], v[174:175], v[172:173]
	s_nop 1
	v_div_fmas_f64 v[166:167], v[166:167], v[168:169], v[174:175]
	v_div_fixup_f64 v[168:169], v[166:167], v[164:165], 1.0
	v_mul_f64 v[170:171], v[170:171], -v[168:169]
.LBB81_115:
	s_or_b64 exec, exec, s[2:3]
	ds_write2_b64 v237, v[168:169], v[170:171] offset1:1
.LBB81_116:
	s_or_b64 exec, exec, s[4:5]
	s_waitcnt lgkmcnt(0)
	s_barrier
	ds_read2_b64 v[164:167], v237 offset1:1
	v_cmp_lt_u32_e32 vcc, 12, v236
	s_waitcnt lgkmcnt(0)
	scratch_store_dwordx4 off, v[164:167], off offset:472 ; 16-byte Folded Spill
	s_and_saveexec_b64 s[2:3], vcc
	s_cbranch_execz .LBB81_118
; %bb.117:
	scratch_load_dwordx4 v[166:169], off, off offset:472 ; 16-byte Folded Reload
	s_waitcnt vmcnt(0)
	v_mul_f64 v[164:165], v[168:169], v[110:111]
	v_mul_f64 v[110:111], v[166:167], v[110:111]
	v_fma_f64 v[164:165], v[166:167], v[108:109], -v[164:165]
	v_fmac_f64_e32 v[110:111], v[168:169], v[108:109]
	ds_read2_b64 v[166:169], v238 offset0:26 offset1:27
	s_waitcnt lgkmcnt(0)
	v_mul_f64 v[108:109], v[168:169], v[110:111]
	v_fma_f64 v[108:109], v[166:167], v[164:165], -v[108:109]
	v_mul_f64 v[166:167], v[166:167], v[110:111]
	v_fmac_f64_e32 v[166:167], v[168:169], v[164:165]
	v_add_f64 v[106:107], v[106:107], -v[166:167]
	ds_read2_b64 v[166:169], v238 offset0:28 offset1:29
	v_add_f64 v[104:105], v[104:105], -v[108:109]
	s_waitcnt lgkmcnt(0)
	v_mul_f64 v[108:109], v[168:169], v[110:111]
	v_fma_f64 v[108:109], v[166:167], v[164:165], -v[108:109]
	v_mul_f64 v[166:167], v[166:167], v[110:111]
	v_fmac_f64_e32 v[166:167], v[168:169], v[164:165]
	v_add_f64 v[102:103], v[102:103], -v[166:167]
	ds_read2_b64 v[166:169], v238 offset0:30 offset1:31
	v_add_f64 v[100:101], v[100:101], -v[108:109]
	;; [unrolled: 8-line block ×27, first 2 shown]
	s_waitcnt lgkmcnt(0)
	v_mul_f64 v[108:109], v[168:169], v[110:111]
	v_fma_f64 v[108:109], v[166:167], v[164:165], -v[108:109]
	v_mul_f64 v[166:167], v[166:167], v[110:111]
	v_fmac_f64_e32 v[166:167], v[168:169], v[164:165]
	v_add_f64 v[160:161], v[160:161], -v[108:109]
	v_add_f64 v[162:163], v[162:163], -v[166:167]
	v_mov_b64_e32 v[108:109], v[164:165]
.LBB81_118:
	s_or_b64 exec, exec, s[2:3]
	v_cmp_eq_u32_e32 vcc, 13, v236
	s_waitcnt vmcnt(63) expcnt(7) lgkmcnt(15)
	s_barrier
	s_and_saveexec_b64 s[4:5], vcc
	s_cbranch_execz .LBB81_125
; %bb.119:
	ds_write2_b64 v237, v[104:105], v[106:107] offset1:1
	ds_write2_b64 v238, v[100:101], v[102:103] offset0:28 offset1:29
	ds_write2_b64 v238, v[96:97], v[98:99] offset0:30 offset1:31
	;; [unrolled: 1-line block ×9, first 2 shown]
	s_waitcnt vmcnt(62)
	ds_write2_b64 v238, v[64:65], v[66:67] offset0:46 offset1:47
	s_waitcnt vmcnt(61)
	ds_write2_b64 v238, v[60:61], v[62:63] offset0:48 offset1:49
	;; [unrolled: 2-line block ×16, first 2 shown]
	ds_write2_b64 v238, v[0:1], v[2:3] offset0:78 offset1:79
	s_waitcnt vmcnt(23)
	ds_write2_b64 v238, v[160:161], v[162:163] offset0:80 offset1:81
	ds_read2_b64 v[164:167], v237 offset1:1
	s_waitcnt lgkmcnt(0)
	v_cmp_neq_f64_e32 vcc, 0, v[164:165]
	v_cmp_neq_f64_e64 s[2:3], 0, v[166:167]
	s_or_b64 s[2:3], vcc, s[2:3]
	s_and_b64 exec, exec, s[2:3]
	s_cbranch_execz .LBB81_125
; %bb.120:
	v_cmp_ngt_f64_e64 s[2:3], |v[164:165]|, |v[166:167]|
                                        ; implicit-def: $vgpr168_vgpr169
	s_and_saveexec_b64 s[10:11], s[2:3]
	s_xor_b64 s[2:3], exec, s[10:11]
                                        ; implicit-def: $vgpr170_vgpr171
	s_cbranch_execz .LBB81_122
; %bb.121:
	v_div_scale_f64 v[168:169], s[10:11], v[166:167], v[166:167], v[164:165]
	v_rcp_f64_e32 v[170:171], v[168:169]
	v_div_scale_f64 v[172:173], vcc, v[164:165], v[166:167], v[164:165]
	v_fma_f64 v[174:175], -v[168:169], v[170:171], 1.0
	v_fmac_f64_e32 v[170:171], v[170:171], v[174:175]
	v_fma_f64 v[174:175], -v[168:169], v[170:171], 1.0
	v_fmac_f64_e32 v[170:171], v[170:171], v[174:175]
	v_mul_f64 v[174:175], v[172:173], v[170:171]
	v_fma_f64 v[168:169], -v[168:169], v[174:175], v[172:173]
	v_div_fmas_f64 v[168:169], v[168:169], v[170:171], v[174:175]
	v_div_fixup_f64 v[168:169], v[168:169], v[166:167], v[164:165]
	v_fmac_f64_e32 v[166:167], v[164:165], v[168:169]
	v_div_scale_f64 v[164:165], s[10:11], v[166:167], v[166:167], 1.0
	v_rcp_f64_e32 v[170:171], v[164:165]
	s_nop 0
	v_fma_f64 v[172:173], -v[164:165], v[170:171], 1.0
	v_fmac_f64_e32 v[170:171], v[170:171], v[172:173]
	v_fma_f64 v[172:173], -v[164:165], v[170:171], 1.0
	v_fmac_f64_e32 v[170:171], v[170:171], v[172:173]
	v_div_scale_f64 v[172:173], vcc, 1.0, v[166:167], 1.0
	v_mul_f64 v[174:175], v[172:173], v[170:171]
	v_fma_f64 v[164:165], -v[164:165], v[174:175], v[172:173]
	s_nop 1
	v_div_fmas_f64 v[164:165], v[164:165], v[170:171], v[174:175]
	v_div_fixup_f64 v[170:171], v[164:165], v[166:167], 1.0
	v_mul_f64 v[168:169], v[168:169], v[170:171]
	v_xor_b32_e32 v171, 0x80000000, v171
                                        ; implicit-def: $vgpr164_vgpr165
.LBB81_122:
	s_andn2_saveexec_b64 s[2:3], s[2:3]
	s_cbranch_execz .LBB81_124
; %bb.123:
	v_div_scale_f64 v[168:169], s[10:11], v[164:165], v[164:165], v[166:167]
	v_rcp_f64_e32 v[170:171], v[168:169]
	v_div_scale_f64 v[172:173], vcc, v[166:167], v[164:165], v[166:167]
	v_fma_f64 v[174:175], -v[168:169], v[170:171], 1.0
	v_fmac_f64_e32 v[170:171], v[170:171], v[174:175]
	v_fma_f64 v[174:175], -v[168:169], v[170:171], 1.0
	v_fmac_f64_e32 v[170:171], v[170:171], v[174:175]
	v_mul_f64 v[174:175], v[172:173], v[170:171]
	v_fma_f64 v[168:169], -v[168:169], v[174:175], v[172:173]
	v_div_fmas_f64 v[168:169], v[168:169], v[170:171], v[174:175]
	v_div_fixup_f64 v[170:171], v[168:169], v[164:165], v[166:167]
	v_fmac_f64_e32 v[164:165], v[166:167], v[170:171]
	v_div_scale_f64 v[166:167], s[10:11], v[164:165], v[164:165], 1.0
	v_rcp_f64_e32 v[168:169], v[166:167]
	s_nop 0
	v_fma_f64 v[172:173], -v[166:167], v[168:169], 1.0
	v_fmac_f64_e32 v[168:169], v[168:169], v[172:173]
	v_fma_f64 v[172:173], -v[166:167], v[168:169], 1.0
	v_fmac_f64_e32 v[168:169], v[168:169], v[172:173]
	v_div_scale_f64 v[172:173], vcc, 1.0, v[164:165], 1.0
	v_mul_f64 v[174:175], v[172:173], v[168:169]
	v_fma_f64 v[166:167], -v[166:167], v[174:175], v[172:173]
	s_nop 1
	v_div_fmas_f64 v[166:167], v[166:167], v[168:169], v[174:175]
	v_div_fixup_f64 v[168:169], v[166:167], v[164:165], 1.0
	v_mul_f64 v[170:171], v[170:171], -v[168:169]
.LBB81_124:
	s_or_b64 exec, exec, s[2:3]
	ds_write2_b64 v237, v[168:169], v[170:171] offset1:1
.LBB81_125:
	s_or_b64 exec, exec, s[4:5]
	s_waitcnt lgkmcnt(0)
	s_barrier
	ds_read2_b64 v[164:167], v237 offset1:1
	v_cmp_lt_u32_e32 vcc, 13, v236
	s_waitcnt lgkmcnt(0)
	scratch_store_dwordx4 off, v[164:167], off offset:488 ; 16-byte Folded Spill
	s_and_saveexec_b64 s[2:3], vcc
	s_cbranch_execz .LBB81_127
; %bb.126:
	scratch_load_dwordx4 v[166:169], off, off offset:488 ; 16-byte Folded Reload
	s_waitcnt vmcnt(0)
	v_mul_f64 v[164:165], v[168:169], v[106:107]
	v_mul_f64 v[106:107], v[166:167], v[106:107]
	v_fma_f64 v[164:165], v[166:167], v[104:105], -v[164:165]
	v_fmac_f64_e32 v[106:107], v[168:169], v[104:105]
	ds_read2_b64 v[166:169], v238 offset0:28 offset1:29
	s_waitcnt lgkmcnt(0)
	v_mul_f64 v[104:105], v[168:169], v[106:107]
	v_fma_f64 v[104:105], v[166:167], v[164:165], -v[104:105]
	v_mul_f64 v[166:167], v[166:167], v[106:107]
	v_fmac_f64_e32 v[166:167], v[168:169], v[164:165]
	v_add_f64 v[102:103], v[102:103], -v[166:167]
	ds_read2_b64 v[166:169], v238 offset0:30 offset1:31
	v_add_f64 v[100:101], v[100:101], -v[104:105]
	s_waitcnt lgkmcnt(0)
	v_mul_f64 v[104:105], v[168:169], v[106:107]
	v_fma_f64 v[104:105], v[166:167], v[164:165], -v[104:105]
	v_mul_f64 v[166:167], v[166:167], v[106:107]
	v_fmac_f64_e32 v[166:167], v[168:169], v[164:165]
	v_add_f64 v[98:99], v[98:99], -v[166:167]
	ds_read2_b64 v[166:169], v238 offset0:32 offset1:33
	v_add_f64 v[96:97], v[96:97], -v[104:105]
	;; [unrolled: 8-line block ×26, first 2 shown]
	s_waitcnt lgkmcnt(0)
	v_mul_f64 v[104:105], v[168:169], v[106:107]
	v_fma_f64 v[104:105], v[166:167], v[164:165], -v[104:105]
	v_mul_f64 v[166:167], v[166:167], v[106:107]
	v_fmac_f64_e32 v[166:167], v[168:169], v[164:165]
	v_add_f64 v[160:161], v[160:161], -v[104:105]
	v_add_f64 v[162:163], v[162:163], -v[166:167]
	v_mov_b64_e32 v[104:105], v[164:165]
.LBB81_127:
	s_or_b64 exec, exec, s[2:3]
	v_cmp_eq_u32_e32 vcc, 14, v236
	s_waitcnt vmcnt(63) expcnt(7) lgkmcnt(15)
	s_barrier
	s_and_saveexec_b64 s[4:5], vcc
	s_cbranch_execz .LBB81_134
; %bb.128:
	ds_write2_b64 v237, v[100:101], v[102:103] offset1:1
	ds_write2_b64 v238, v[96:97], v[98:99] offset0:30 offset1:31
	ds_write2_b64 v238, v[92:93], v[94:95] offset0:32 offset1:33
	;; [unrolled: 1-line block ×9, first 2 shown]
	s_waitcnt vmcnt(62)
	ds_write2_b64 v238, v[60:61], v[62:63] offset0:48 offset1:49
	s_waitcnt vmcnt(61)
	ds_write2_b64 v238, v[56:57], v[58:59] offset0:50 offset1:51
	;; [unrolled: 2-line block ×15, first 2 shown]
	ds_write2_b64 v238, v[0:1], v[2:3] offset0:78 offset1:79
	s_waitcnt vmcnt(24)
	ds_write2_b64 v238, v[160:161], v[162:163] offset0:80 offset1:81
	ds_read2_b64 v[164:167], v237 offset1:1
	s_waitcnt lgkmcnt(0)
	v_cmp_neq_f64_e32 vcc, 0, v[164:165]
	v_cmp_neq_f64_e64 s[2:3], 0, v[166:167]
	s_or_b64 s[2:3], vcc, s[2:3]
	s_and_b64 exec, exec, s[2:3]
	s_cbranch_execz .LBB81_134
; %bb.129:
	v_cmp_ngt_f64_e64 s[2:3], |v[164:165]|, |v[166:167]|
                                        ; implicit-def: $vgpr168_vgpr169
	s_and_saveexec_b64 s[10:11], s[2:3]
	s_xor_b64 s[2:3], exec, s[10:11]
                                        ; implicit-def: $vgpr170_vgpr171
	s_cbranch_execz .LBB81_131
; %bb.130:
	v_div_scale_f64 v[168:169], s[10:11], v[166:167], v[166:167], v[164:165]
	v_rcp_f64_e32 v[170:171], v[168:169]
	v_div_scale_f64 v[172:173], vcc, v[164:165], v[166:167], v[164:165]
	v_fma_f64 v[174:175], -v[168:169], v[170:171], 1.0
	v_fmac_f64_e32 v[170:171], v[170:171], v[174:175]
	v_fma_f64 v[174:175], -v[168:169], v[170:171], 1.0
	v_fmac_f64_e32 v[170:171], v[170:171], v[174:175]
	v_mul_f64 v[174:175], v[172:173], v[170:171]
	v_fma_f64 v[168:169], -v[168:169], v[174:175], v[172:173]
	v_div_fmas_f64 v[168:169], v[168:169], v[170:171], v[174:175]
	v_div_fixup_f64 v[168:169], v[168:169], v[166:167], v[164:165]
	v_fmac_f64_e32 v[166:167], v[164:165], v[168:169]
	v_div_scale_f64 v[164:165], s[10:11], v[166:167], v[166:167], 1.0
	v_rcp_f64_e32 v[170:171], v[164:165]
	s_nop 0
	v_fma_f64 v[172:173], -v[164:165], v[170:171], 1.0
	v_fmac_f64_e32 v[170:171], v[170:171], v[172:173]
	v_fma_f64 v[172:173], -v[164:165], v[170:171], 1.0
	v_fmac_f64_e32 v[170:171], v[170:171], v[172:173]
	v_div_scale_f64 v[172:173], vcc, 1.0, v[166:167], 1.0
	v_mul_f64 v[174:175], v[172:173], v[170:171]
	v_fma_f64 v[164:165], -v[164:165], v[174:175], v[172:173]
	s_nop 1
	v_div_fmas_f64 v[164:165], v[164:165], v[170:171], v[174:175]
	v_div_fixup_f64 v[170:171], v[164:165], v[166:167], 1.0
	v_mul_f64 v[168:169], v[168:169], v[170:171]
	v_xor_b32_e32 v171, 0x80000000, v171
                                        ; implicit-def: $vgpr164_vgpr165
.LBB81_131:
	s_andn2_saveexec_b64 s[2:3], s[2:3]
	s_cbranch_execz .LBB81_133
; %bb.132:
	v_div_scale_f64 v[168:169], s[10:11], v[164:165], v[164:165], v[166:167]
	v_rcp_f64_e32 v[170:171], v[168:169]
	v_div_scale_f64 v[172:173], vcc, v[166:167], v[164:165], v[166:167]
	v_fma_f64 v[174:175], -v[168:169], v[170:171], 1.0
	v_fmac_f64_e32 v[170:171], v[170:171], v[174:175]
	v_fma_f64 v[174:175], -v[168:169], v[170:171], 1.0
	v_fmac_f64_e32 v[170:171], v[170:171], v[174:175]
	v_mul_f64 v[174:175], v[172:173], v[170:171]
	v_fma_f64 v[168:169], -v[168:169], v[174:175], v[172:173]
	v_div_fmas_f64 v[168:169], v[168:169], v[170:171], v[174:175]
	v_div_fixup_f64 v[170:171], v[168:169], v[164:165], v[166:167]
	v_fmac_f64_e32 v[164:165], v[166:167], v[170:171]
	v_div_scale_f64 v[166:167], s[10:11], v[164:165], v[164:165], 1.0
	v_rcp_f64_e32 v[168:169], v[166:167]
	s_nop 0
	v_fma_f64 v[172:173], -v[166:167], v[168:169], 1.0
	v_fmac_f64_e32 v[168:169], v[168:169], v[172:173]
	v_fma_f64 v[172:173], -v[166:167], v[168:169], 1.0
	v_fmac_f64_e32 v[168:169], v[168:169], v[172:173]
	v_div_scale_f64 v[172:173], vcc, 1.0, v[164:165], 1.0
	v_mul_f64 v[174:175], v[172:173], v[168:169]
	v_fma_f64 v[166:167], -v[166:167], v[174:175], v[172:173]
	s_nop 1
	v_div_fmas_f64 v[166:167], v[166:167], v[168:169], v[174:175]
	v_div_fixup_f64 v[168:169], v[166:167], v[164:165], 1.0
	v_mul_f64 v[170:171], v[170:171], -v[168:169]
.LBB81_133:
	s_or_b64 exec, exec, s[2:3]
	ds_write2_b64 v237, v[168:169], v[170:171] offset1:1
.LBB81_134:
	s_or_b64 exec, exec, s[4:5]
	s_waitcnt lgkmcnt(0)
	s_barrier
	ds_read2_b64 v[164:167], v237 offset1:1
	v_cmp_lt_u32_e32 vcc, 14, v236
	s_waitcnt lgkmcnt(0)
	scratch_store_dwordx4 off, v[164:167], off offset:504 ; 16-byte Folded Spill
	s_and_saveexec_b64 s[2:3], vcc
	s_cbranch_execz .LBB81_136
; %bb.135:
	scratch_load_dwordx4 v[166:169], off, off offset:504 ; 16-byte Folded Reload
	s_waitcnt vmcnt(0)
	v_mul_f64 v[164:165], v[168:169], v[102:103]
	v_mul_f64 v[102:103], v[166:167], v[102:103]
	v_fma_f64 v[164:165], v[166:167], v[100:101], -v[164:165]
	v_fmac_f64_e32 v[102:103], v[168:169], v[100:101]
	ds_read2_b64 v[166:169], v238 offset0:30 offset1:31
	s_waitcnt lgkmcnt(0)
	v_mul_f64 v[100:101], v[168:169], v[102:103]
	v_fma_f64 v[100:101], v[166:167], v[164:165], -v[100:101]
	v_mul_f64 v[166:167], v[166:167], v[102:103]
	v_fmac_f64_e32 v[166:167], v[168:169], v[164:165]
	v_add_f64 v[98:99], v[98:99], -v[166:167]
	ds_read2_b64 v[166:169], v238 offset0:32 offset1:33
	v_add_f64 v[96:97], v[96:97], -v[100:101]
	s_waitcnt lgkmcnt(0)
	v_mul_f64 v[100:101], v[168:169], v[102:103]
	v_fma_f64 v[100:101], v[166:167], v[164:165], -v[100:101]
	v_mul_f64 v[166:167], v[166:167], v[102:103]
	v_fmac_f64_e32 v[166:167], v[168:169], v[164:165]
	v_add_f64 v[94:95], v[94:95], -v[166:167]
	ds_read2_b64 v[166:169], v238 offset0:34 offset1:35
	v_add_f64 v[92:93], v[92:93], -v[100:101]
	;; [unrolled: 8-line block ×25, first 2 shown]
	s_waitcnt lgkmcnt(0)
	v_mul_f64 v[100:101], v[168:169], v[102:103]
	v_fma_f64 v[100:101], v[166:167], v[164:165], -v[100:101]
	v_mul_f64 v[166:167], v[166:167], v[102:103]
	v_fmac_f64_e32 v[166:167], v[168:169], v[164:165]
	v_add_f64 v[160:161], v[160:161], -v[100:101]
	v_add_f64 v[162:163], v[162:163], -v[166:167]
	v_mov_b64_e32 v[100:101], v[164:165]
.LBB81_136:
	s_or_b64 exec, exec, s[2:3]
	v_cmp_eq_u32_e32 vcc, 15, v236
	s_waitcnt vmcnt(63) expcnt(7) lgkmcnt(15)
	s_barrier
	s_and_saveexec_b64 s[4:5], vcc
	s_cbranch_execz .LBB81_143
; %bb.137:
	ds_write2_b64 v237, v[96:97], v[98:99] offset1:1
	ds_write2_b64 v238, v[92:93], v[94:95] offset0:32 offset1:33
	ds_write2_b64 v238, v[88:89], v[90:91] offset0:34 offset1:35
	;; [unrolled: 1-line block ×9, first 2 shown]
	s_waitcnt vmcnt(62)
	ds_write2_b64 v238, v[56:57], v[58:59] offset0:50 offset1:51
	s_waitcnt vmcnt(61)
	ds_write2_b64 v238, v[52:53], v[54:55] offset0:52 offset1:53
	;; [unrolled: 2-line block ×14, first 2 shown]
	ds_write2_b64 v238, v[0:1], v[2:3] offset0:78 offset1:79
	s_waitcnt vmcnt(25)
	ds_write2_b64 v238, v[160:161], v[162:163] offset0:80 offset1:81
	ds_read2_b64 v[164:167], v237 offset1:1
	s_waitcnt lgkmcnt(0)
	v_cmp_neq_f64_e32 vcc, 0, v[164:165]
	v_cmp_neq_f64_e64 s[2:3], 0, v[166:167]
	s_or_b64 s[2:3], vcc, s[2:3]
	s_and_b64 exec, exec, s[2:3]
	s_cbranch_execz .LBB81_143
; %bb.138:
	v_cmp_ngt_f64_e64 s[2:3], |v[164:165]|, |v[166:167]|
                                        ; implicit-def: $vgpr168_vgpr169
	s_and_saveexec_b64 s[10:11], s[2:3]
	s_xor_b64 s[2:3], exec, s[10:11]
                                        ; implicit-def: $vgpr170_vgpr171
	s_cbranch_execz .LBB81_140
; %bb.139:
	v_div_scale_f64 v[168:169], s[10:11], v[166:167], v[166:167], v[164:165]
	v_rcp_f64_e32 v[170:171], v[168:169]
	v_div_scale_f64 v[172:173], vcc, v[164:165], v[166:167], v[164:165]
	v_fma_f64 v[174:175], -v[168:169], v[170:171], 1.0
	v_fmac_f64_e32 v[170:171], v[170:171], v[174:175]
	v_fma_f64 v[174:175], -v[168:169], v[170:171], 1.0
	v_fmac_f64_e32 v[170:171], v[170:171], v[174:175]
	v_mul_f64 v[174:175], v[172:173], v[170:171]
	v_fma_f64 v[168:169], -v[168:169], v[174:175], v[172:173]
	v_div_fmas_f64 v[168:169], v[168:169], v[170:171], v[174:175]
	v_div_fixup_f64 v[168:169], v[168:169], v[166:167], v[164:165]
	v_fmac_f64_e32 v[166:167], v[164:165], v[168:169]
	v_div_scale_f64 v[164:165], s[10:11], v[166:167], v[166:167], 1.0
	v_rcp_f64_e32 v[170:171], v[164:165]
	s_nop 0
	v_fma_f64 v[172:173], -v[164:165], v[170:171], 1.0
	v_fmac_f64_e32 v[170:171], v[170:171], v[172:173]
	v_fma_f64 v[172:173], -v[164:165], v[170:171], 1.0
	v_fmac_f64_e32 v[170:171], v[170:171], v[172:173]
	v_div_scale_f64 v[172:173], vcc, 1.0, v[166:167], 1.0
	v_mul_f64 v[174:175], v[172:173], v[170:171]
	v_fma_f64 v[164:165], -v[164:165], v[174:175], v[172:173]
	s_nop 1
	v_div_fmas_f64 v[164:165], v[164:165], v[170:171], v[174:175]
	v_div_fixup_f64 v[170:171], v[164:165], v[166:167], 1.0
	v_mul_f64 v[168:169], v[168:169], v[170:171]
	v_xor_b32_e32 v171, 0x80000000, v171
                                        ; implicit-def: $vgpr164_vgpr165
.LBB81_140:
	s_andn2_saveexec_b64 s[2:3], s[2:3]
	s_cbranch_execz .LBB81_142
; %bb.141:
	v_div_scale_f64 v[168:169], s[10:11], v[164:165], v[164:165], v[166:167]
	v_rcp_f64_e32 v[170:171], v[168:169]
	v_div_scale_f64 v[172:173], vcc, v[166:167], v[164:165], v[166:167]
	v_fma_f64 v[174:175], -v[168:169], v[170:171], 1.0
	v_fmac_f64_e32 v[170:171], v[170:171], v[174:175]
	v_fma_f64 v[174:175], -v[168:169], v[170:171], 1.0
	v_fmac_f64_e32 v[170:171], v[170:171], v[174:175]
	v_mul_f64 v[174:175], v[172:173], v[170:171]
	v_fma_f64 v[168:169], -v[168:169], v[174:175], v[172:173]
	v_div_fmas_f64 v[168:169], v[168:169], v[170:171], v[174:175]
	v_div_fixup_f64 v[170:171], v[168:169], v[164:165], v[166:167]
	v_fmac_f64_e32 v[164:165], v[166:167], v[170:171]
	v_div_scale_f64 v[166:167], s[10:11], v[164:165], v[164:165], 1.0
	v_rcp_f64_e32 v[168:169], v[166:167]
	s_nop 0
	v_fma_f64 v[172:173], -v[166:167], v[168:169], 1.0
	v_fmac_f64_e32 v[168:169], v[168:169], v[172:173]
	v_fma_f64 v[172:173], -v[166:167], v[168:169], 1.0
	v_fmac_f64_e32 v[168:169], v[168:169], v[172:173]
	v_div_scale_f64 v[172:173], vcc, 1.0, v[164:165], 1.0
	v_mul_f64 v[174:175], v[172:173], v[168:169]
	v_fma_f64 v[166:167], -v[166:167], v[174:175], v[172:173]
	s_nop 1
	v_div_fmas_f64 v[166:167], v[166:167], v[168:169], v[174:175]
	v_div_fixup_f64 v[168:169], v[166:167], v[164:165], 1.0
	v_mul_f64 v[170:171], v[170:171], -v[168:169]
.LBB81_142:
	s_or_b64 exec, exec, s[2:3]
	ds_write2_b64 v237, v[168:169], v[170:171] offset1:1
.LBB81_143:
	s_or_b64 exec, exec, s[4:5]
	s_waitcnt lgkmcnt(0)
	s_barrier
	ds_read2_b64 v[164:167], v237 offset1:1
	v_cmp_lt_u32_e32 vcc, 15, v236
	s_waitcnt lgkmcnt(0)
	scratch_store_dwordx4 off, v[164:167], off offset:520 ; 16-byte Folded Spill
	s_and_saveexec_b64 s[2:3], vcc
	s_cbranch_execz .LBB81_145
; %bb.144:
	scratch_load_dwordx4 v[166:169], off, off offset:520 ; 16-byte Folded Reload
	s_waitcnt vmcnt(0)
	v_mul_f64 v[164:165], v[168:169], v[98:99]
	v_mul_f64 v[98:99], v[166:167], v[98:99]
	v_fma_f64 v[164:165], v[166:167], v[96:97], -v[164:165]
	v_fmac_f64_e32 v[98:99], v[168:169], v[96:97]
	ds_read2_b64 v[166:169], v238 offset0:32 offset1:33
	s_waitcnt lgkmcnt(0)
	v_mul_f64 v[96:97], v[168:169], v[98:99]
	v_fma_f64 v[96:97], v[166:167], v[164:165], -v[96:97]
	v_mul_f64 v[166:167], v[166:167], v[98:99]
	v_fmac_f64_e32 v[166:167], v[168:169], v[164:165]
	v_add_f64 v[94:95], v[94:95], -v[166:167]
	ds_read2_b64 v[166:169], v238 offset0:34 offset1:35
	v_add_f64 v[92:93], v[92:93], -v[96:97]
	s_waitcnt lgkmcnt(0)
	v_mul_f64 v[96:97], v[168:169], v[98:99]
	v_fma_f64 v[96:97], v[166:167], v[164:165], -v[96:97]
	v_mul_f64 v[166:167], v[166:167], v[98:99]
	v_fmac_f64_e32 v[166:167], v[168:169], v[164:165]
	v_add_f64 v[90:91], v[90:91], -v[166:167]
	ds_read2_b64 v[166:169], v238 offset0:36 offset1:37
	v_add_f64 v[88:89], v[88:89], -v[96:97]
	;; [unrolled: 8-line block ×24, first 2 shown]
	s_waitcnt lgkmcnt(0)
	v_mul_f64 v[96:97], v[168:169], v[98:99]
	v_fma_f64 v[96:97], v[166:167], v[164:165], -v[96:97]
	v_mul_f64 v[166:167], v[166:167], v[98:99]
	v_fmac_f64_e32 v[166:167], v[168:169], v[164:165]
	v_add_f64 v[160:161], v[160:161], -v[96:97]
	v_add_f64 v[162:163], v[162:163], -v[166:167]
	v_mov_b64_e32 v[96:97], v[164:165]
.LBB81_145:
	s_or_b64 exec, exec, s[2:3]
	v_cmp_eq_u32_e32 vcc, 16, v236
	s_waitcnt vmcnt(63) expcnt(7) lgkmcnt(15)
	s_barrier
	s_and_saveexec_b64 s[4:5], vcc
	s_cbranch_execz .LBB81_152
; %bb.146:
	ds_write2_b64 v237, v[92:93], v[94:95] offset1:1
	ds_write2_b64 v238, v[88:89], v[90:91] offset0:34 offset1:35
	ds_write2_b64 v238, v[84:85], v[86:87] offset0:36 offset1:37
	;; [unrolled: 1-line block ×9, first 2 shown]
	s_waitcnt vmcnt(62)
	ds_write2_b64 v238, v[52:53], v[54:55] offset0:52 offset1:53
	s_waitcnt vmcnt(61)
	ds_write2_b64 v238, v[48:49], v[50:51] offset0:54 offset1:55
	;; [unrolled: 2-line block ×13, first 2 shown]
	ds_write2_b64 v238, v[0:1], v[2:3] offset0:78 offset1:79
	s_waitcnt vmcnt(26)
	ds_write2_b64 v238, v[160:161], v[162:163] offset0:80 offset1:81
	ds_read2_b64 v[164:167], v237 offset1:1
	s_waitcnt lgkmcnt(0)
	v_cmp_neq_f64_e32 vcc, 0, v[164:165]
	v_cmp_neq_f64_e64 s[2:3], 0, v[166:167]
	s_or_b64 s[2:3], vcc, s[2:3]
	s_and_b64 exec, exec, s[2:3]
	s_cbranch_execz .LBB81_152
; %bb.147:
	v_cmp_ngt_f64_e64 s[2:3], |v[164:165]|, |v[166:167]|
                                        ; implicit-def: $vgpr168_vgpr169
	s_and_saveexec_b64 s[10:11], s[2:3]
	s_xor_b64 s[2:3], exec, s[10:11]
                                        ; implicit-def: $vgpr170_vgpr171
	s_cbranch_execz .LBB81_149
; %bb.148:
	v_div_scale_f64 v[168:169], s[10:11], v[166:167], v[166:167], v[164:165]
	v_rcp_f64_e32 v[170:171], v[168:169]
	v_div_scale_f64 v[172:173], vcc, v[164:165], v[166:167], v[164:165]
	v_fma_f64 v[174:175], -v[168:169], v[170:171], 1.0
	v_fmac_f64_e32 v[170:171], v[170:171], v[174:175]
	v_fma_f64 v[174:175], -v[168:169], v[170:171], 1.0
	v_fmac_f64_e32 v[170:171], v[170:171], v[174:175]
	v_mul_f64 v[174:175], v[172:173], v[170:171]
	v_fma_f64 v[168:169], -v[168:169], v[174:175], v[172:173]
	v_div_fmas_f64 v[168:169], v[168:169], v[170:171], v[174:175]
	v_div_fixup_f64 v[168:169], v[168:169], v[166:167], v[164:165]
	v_fmac_f64_e32 v[166:167], v[164:165], v[168:169]
	v_div_scale_f64 v[164:165], s[10:11], v[166:167], v[166:167], 1.0
	v_rcp_f64_e32 v[170:171], v[164:165]
	s_nop 0
	v_fma_f64 v[172:173], -v[164:165], v[170:171], 1.0
	v_fmac_f64_e32 v[170:171], v[170:171], v[172:173]
	v_fma_f64 v[172:173], -v[164:165], v[170:171], 1.0
	v_fmac_f64_e32 v[170:171], v[170:171], v[172:173]
	v_div_scale_f64 v[172:173], vcc, 1.0, v[166:167], 1.0
	v_mul_f64 v[174:175], v[172:173], v[170:171]
	v_fma_f64 v[164:165], -v[164:165], v[174:175], v[172:173]
	s_nop 1
	v_div_fmas_f64 v[164:165], v[164:165], v[170:171], v[174:175]
	v_div_fixup_f64 v[170:171], v[164:165], v[166:167], 1.0
	v_mul_f64 v[168:169], v[168:169], v[170:171]
	v_xor_b32_e32 v171, 0x80000000, v171
                                        ; implicit-def: $vgpr164_vgpr165
.LBB81_149:
	s_andn2_saveexec_b64 s[2:3], s[2:3]
	s_cbranch_execz .LBB81_151
; %bb.150:
	v_div_scale_f64 v[168:169], s[10:11], v[164:165], v[164:165], v[166:167]
	v_rcp_f64_e32 v[170:171], v[168:169]
	v_div_scale_f64 v[172:173], vcc, v[166:167], v[164:165], v[166:167]
	v_fma_f64 v[174:175], -v[168:169], v[170:171], 1.0
	v_fmac_f64_e32 v[170:171], v[170:171], v[174:175]
	v_fma_f64 v[174:175], -v[168:169], v[170:171], 1.0
	v_fmac_f64_e32 v[170:171], v[170:171], v[174:175]
	v_mul_f64 v[174:175], v[172:173], v[170:171]
	v_fma_f64 v[168:169], -v[168:169], v[174:175], v[172:173]
	v_div_fmas_f64 v[168:169], v[168:169], v[170:171], v[174:175]
	v_div_fixup_f64 v[170:171], v[168:169], v[164:165], v[166:167]
	v_fmac_f64_e32 v[164:165], v[166:167], v[170:171]
	v_div_scale_f64 v[166:167], s[10:11], v[164:165], v[164:165], 1.0
	v_rcp_f64_e32 v[168:169], v[166:167]
	s_nop 0
	v_fma_f64 v[172:173], -v[166:167], v[168:169], 1.0
	v_fmac_f64_e32 v[168:169], v[168:169], v[172:173]
	v_fma_f64 v[172:173], -v[166:167], v[168:169], 1.0
	v_fmac_f64_e32 v[168:169], v[168:169], v[172:173]
	v_div_scale_f64 v[172:173], vcc, 1.0, v[164:165], 1.0
	v_mul_f64 v[174:175], v[172:173], v[168:169]
	v_fma_f64 v[166:167], -v[166:167], v[174:175], v[172:173]
	s_nop 1
	v_div_fmas_f64 v[166:167], v[166:167], v[168:169], v[174:175]
	v_div_fixup_f64 v[168:169], v[166:167], v[164:165], 1.0
	v_mul_f64 v[170:171], v[170:171], -v[168:169]
.LBB81_151:
	s_or_b64 exec, exec, s[2:3]
	ds_write2_b64 v237, v[168:169], v[170:171] offset1:1
.LBB81_152:
	s_or_b64 exec, exec, s[4:5]
	s_waitcnt lgkmcnt(0)
	s_barrier
	ds_read2_b64 v[164:167], v237 offset1:1
	v_cmp_lt_u32_e32 vcc, 16, v236
	s_waitcnt lgkmcnt(0)
	scratch_store_dwordx4 off, v[164:167], off offset:536 ; 16-byte Folded Spill
	s_and_saveexec_b64 s[2:3], vcc
	s_cbranch_execz .LBB81_154
; %bb.153:
	scratch_load_dwordx4 v[166:169], off, off offset:536 ; 16-byte Folded Reload
	s_waitcnt vmcnt(0)
	v_mul_f64 v[164:165], v[168:169], v[94:95]
	v_mul_f64 v[94:95], v[166:167], v[94:95]
	v_fma_f64 v[164:165], v[166:167], v[92:93], -v[164:165]
	v_fmac_f64_e32 v[94:95], v[168:169], v[92:93]
	ds_read2_b64 v[166:169], v238 offset0:34 offset1:35
	s_waitcnt lgkmcnt(0)
	v_mul_f64 v[92:93], v[168:169], v[94:95]
	v_fma_f64 v[92:93], v[166:167], v[164:165], -v[92:93]
	v_mul_f64 v[166:167], v[166:167], v[94:95]
	v_fmac_f64_e32 v[166:167], v[168:169], v[164:165]
	v_add_f64 v[90:91], v[90:91], -v[166:167]
	ds_read2_b64 v[166:169], v238 offset0:36 offset1:37
	v_add_f64 v[88:89], v[88:89], -v[92:93]
	s_waitcnt lgkmcnt(0)
	v_mul_f64 v[92:93], v[168:169], v[94:95]
	v_fma_f64 v[92:93], v[166:167], v[164:165], -v[92:93]
	v_mul_f64 v[166:167], v[166:167], v[94:95]
	v_fmac_f64_e32 v[166:167], v[168:169], v[164:165]
	v_add_f64 v[86:87], v[86:87], -v[166:167]
	ds_read2_b64 v[166:169], v238 offset0:38 offset1:39
	v_add_f64 v[84:85], v[84:85], -v[92:93]
	;; [unrolled: 8-line block ×23, first 2 shown]
	s_waitcnt lgkmcnt(0)
	v_mul_f64 v[92:93], v[168:169], v[94:95]
	v_fma_f64 v[92:93], v[166:167], v[164:165], -v[92:93]
	v_mul_f64 v[166:167], v[166:167], v[94:95]
	v_fmac_f64_e32 v[166:167], v[168:169], v[164:165]
	v_add_f64 v[160:161], v[160:161], -v[92:93]
	v_add_f64 v[162:163], v[162:163], -v[166:167]
	v_mov_b64_e32 v[92:93], v[164:165]
.LBB81_154:
	s_or_b64 exec, exec, s[2:3]
	v_cmp_eq_u32_e32 vcc, 17, v236
	s_waitcnt vmcnt(63) expcnt(7) lgkmcnt(15)
	s_barrier
	s_and_saveexec_b64 s[4:5], vcc
	s_cbranch_execz .LBB81_161
; %bb.155:
	ds_write2_b64 v237, v[88:89], v[90:91] offset1:1
	ds_write2_b64 v238, v[84:85], v[86:87] offset0:36 offset1:37
	ds_write2_b64 v238, v[80:81], v[82:83] offset0:38 offset1:39
	ds_write2_b64 v238, v[76:77], v[78:79] offset0:40 offset1:41
	ds_write2_b64 v238, v[72:73], v[74:75] offset0:42 offset1:43
	ds_write2_b64 v238, v[68:69], v[70:71] offset0:44 offset1:45
	ds_write2_b64 v238, v[64:65], v[66:67] offset0:46 offset1:47
	ds_write2_b64 v238, v[60:61], v[62:63] offset0:48 offset1:49
	ds_write2_b64 v238, v[56:57], v[58:59] offset0:50 offset1:51
	ds_write2_b64 v238, v[52:53], v[54:55] offset0:52 offset1:53
	s_waitcnt vmcnt(62)
	ds_write2_b64 v238, v[48:49], v[50:51] offset0:54 offset1:55
	s_waitcnt vmcnt(61)
	ds_write2_b64 v238, v[44:45], v[46:47] offset0:56 offset1:57
	;; [unrolled: 2-line block ×12, first 2 shown]
	ds_write2_b64 v238, v[0:1], v[2:3] offset0:78 offset1:79
	s_waitcnt vmcnt(27)
	ds_write2_b64 v238, v[160:161], v[162:163] offset0:80 offset1:81
	ds_read2_b64 v[164:167], v237 offset1:1
	s_waitcnt lgkmcnt(0)
	v_cmp_neq_f64_e32 vcc, 0, v[164:165]
	v_cmp_neq_f64_e64 s[2:3], 0, v[166:167]
	s_or_b64 s[2:3], vcc, s[2:3]
	s_and_b64 exec, exec, s[2:3]
	s_cbranch_execz .LBB81_161
; %bb.156:
	v_cmp_ngt_f64_e64 s[2:3], |v[164:165]|, |v[166:167]|
                                        ; implicit-def: $vgpr168_vgpr169
	s_and_saveexec_b64 s[10:11], s[2:3]
	s_xor_b64 s[2:3], exec, s[10:11]
                                        ; implicit-def: $vgpr170_vgpr171
	s_cbranch_execz .LBB81_158
; %bb.157:
	v_div_scale_f64 v[168:169], s[10:11], v[166:167], v[166:167], v[164:165]
	v_rcp_f64_e32 v[170:171], v[168:169]
	v_div_scale_f64 v[172:173], vcc, v[164:165], v[166:167], v[164:165]
	v_fma_f64 v[174:175], -v[168:169], v[170:171], 1.0
	v_fmac_f64_e32 v[170:171], v[170:171], v[174:175]
	v_fma_f64 v[174:175], -v[168:169], v[170:171], 1.0
	v_fmac_f64_e32 v[170:171], v[170:171], v[174:175]
	v_mul_f64 v[174:175], v[172:173], v[170:171]
	v_fma_f64 v[168:169], -v[168:169], v[174:175], v[172:173]
	v_div_fmas_f64 v[168:169], v[168:169], v[170:171], v[174:175]
	v_div_fixup_f64 v[168:169], v[168:169], v[166:167], v[164:165]
	v_fmac_f64_e32 v[166:167], v[164:165], v[168:169]
	v_div_scale_f64 v[164:165], s[10:11], v[166:167], v[166:167], 1.0
	v_rcp_f64_e32 v[170:171], v[164:165]
	s_nop 0
	v_fma_f64 v[172:173], -v[164:165], v[170:171], 1.0
	v_fmac_f64_e32 v[170:171], v[170:171], v[172:173]
	v_fma_f64 v[172:173], -v[164:165], v[170:171], 1.0
	v_fmac_f64_e32 v[170:171], v[170:171], v[172:173]
	v_div_scale_f64 v[172:173], vcc, 1.0, v[166:167], 1.0
	v_mul_f64 v[174:175], v[172:173], v[170:171]
	v_fma_f64 v[164:165], -v[164:165], v[174:175], v[172:173]
	s_nop 1
	v_div_fmas_f64 v[164:165], v[164:165], v[170:171], v[174:175]
	v_div_fixup_f64 v[170:171], v[164:165], v[166:167], 1.0
	v_mul_f64 v[168:169], v[168:169], v[170:171]
	v_xor_b32_e32 v171, 0x80000000, v171
                                        ; implicit-def: $vgpr164_vgpr165
.LBB81_158:
	s_andn2_saveexec_b64 s[2:3], s[2:3]
	s_cbranch_execz .LBB81_160
; %bb.159:
	v_div_scale_f64 v[168:169], s[10:11], v[164:165], v[164:165], v[166:167]
	v_rcp_f64_e32 v[170:171], v[168:169]
	v_div_scale_f64 v[172:173], vcc, v[166:167], v[164:165], v[166:167]
	v_fma_f64 v[174:175], -v[168:169], v[170:171], 1.0
	v_fmac_f64_e32 v[170:171], v[170:171], v[174:175]
	v_fma_f64 v[174:175], -v[168:169], v[170:171], 1.0
	v_fmac_f64_e32 v[170:171], v[170:171], v[174:175]
	v_mul_f64 v[174:175], v[172:173], v[170:171]
	v_fma_f64 v[168:169], -v[168:169], v[174:175], v[172:173]
	v_div_fmas_f64 v[168:169], v[168:169], v[170:171], v[174:175]
	v_div_fixup_f64 v[170:171], v[168:169], v[164:165], v[166:167]
	v_fmac_f64_e32 v[164:165], v[166:167], v[170:171]
	v_div_scale_f64 v[166:167], s[10:11], v[164:165], v[164:165], 1.0
	v_rcp_f64_e32 v[168:169], v[166:167]
	s_nop 0
	v_fma_f64 v[172:173], -v[166:167], v[168:169], 1.0
	v_fmac_f64_e32 v[168:169], v[168:169], v[172:173]
	v_fma_f64 v[172:173], -v[166:167], v[168:169], 1.0
	v_fmac_f64_e32 v[168:169], v[168:169], v[172:173]
	v_div_scale_f64 v[172:173], vcc, 1.0, v[164:165], 1.0
	v_mul_f64 v[174:175], v[172:173], v[168:169]
	v_fma_f64 v[166:167], -v[166:167], v[174:175], v[172:173]
	s_nop 1
	v_div_fmas_f64 v[166:167], v[166:167], v[168:169], v[174:175]
	v_div_fixup_f64 v[168:169], v[166:167], v[164:165], 1.0
	v_mul_f64 v[170:171], v[170:171], -v[168:169]
.LBB81_160:
	s_or_b64 exec, exec, s[2:3]
	ds_write2_b64 v237, v[168:169], v[170:171] offset1:1
.LBB81_161:
	s_or_b64 exec, exec, s[4:5]
	s_waitcnt lgkmcnt(0)
	s_barrier
	ds_read2_b64 v[164:167], v237 offset1:1
	v_cmp_lt_u32_e32 vcc, 17, v236
	s_waitcnt lgkmcnt(0)
	scratch_store_dwordx4 off, v[164:167], off offset:552 ; 16-byte Folded Spill
	s_and_saveexec_b64 s[2:3], vcc
	s_cbranch_execz .LBB81_163
; %bb.162:
	scratch_load_dwordx4 v[166:169], off, off offset:552 ; 16-byte Folded Reload
	s_waitcnt vmcnt(0)
	v_mul_f64 v[164:165], v[168:169], v[90:91]
	v_mul_f64 v[90:91], v[166:167], v[90:91]
	v_fma_f64 v[164:165], v[166:167], v[88:89], -v[164:165]
	v_fmac_f64_e32 v[90:91], v[168:169], v[88:89]
	ds_read2_b64 v[166:169], v238 offset0:36 offset1:37
	s_waitcnt lgkmcnt(0)
	v_mul_f64 v[88:89], v[168:169], v[90:91]
	v_fma_f64 v[88:89], v[166:167], v[164:165], -v[88:89]
	v_mul_f64 v[166:167], v[166:167], v[90:91]
	v_fmac_f64_e32 v[166:167], v[168:169], v[164:165]
	v_add_f64 v[86:87], v[86:87], -v[166:167]
	ds_read2_b64 v[166:169], v238 offset0:38 offset1:39
	v_add_f64 v[84:85], v[84:85], -v[88:89]
	s_waitcnt lgkmcnt(0)
	v_mul_f64 v[88:89], v[168:169], v[90:91]
	v_fma_f64 v[88:89], v[166:167], v[164:165], -v[88:89]
	v_mul_f64 v[166:167], v[166:167], v[90:91]
	v_fmac_f64_e32 v[166:167], v[168:169], v[164:165]
	v_add_f64 v[82:83], v[82:83], -v[166:167]
	ds_read2_b64 v[166:169], v238 offset0:40 offset1:41
	v_add_f64 v[80:81], v[80:81], -v[88:89]
	;; [unrolled: 8-line block ×22, first 2 shown]
	s_waitcnt lgkmcnt(0)
	v_mul_f64 v[88:89], v[168:169], v[90:91]
	v_fma_f64 v[88:89], v[166:167], v[164:165], -v[88:89]
	v_mul_f64 v[166:167], v[166:167], v[90:91]
	v_fmac_f64_e32 v[166:167], v[168:169], v[164:165]
	v_add_f64 v[160:161], v[160:161], -v[88:89]
	v_add_f64 v[162:163], v[162:163], -v[166:167]
	v_mov_b64_e32 v[88:89], v[164:165]
.LBB81_163:
	s_or_b64 exec, exec, s[2:3]
	v_cmp_eq_u32_e32 vcc, 18, v236
	s_waitcnt vmcnt(63) expcnt(7) lgkmcnt(15)
	s_barrier
	s_and_saveexec_b64 s[4:5], vcc
	s_cbranch_execz .LBB81_170
; %bb.164:
	ds_write2_b64 v237, v[84:85], v[86:87] offset1:1
	ds_write2_b64 v238, v[80:81], v[82:83] offset0:38 offset1:39
	ds_write2_b64 v238, v[76:77], v[78:79] offset0:40 offset1:41
	;; [unrolled: 1-line block ×9, first 2 shown]
	s_waitcnt vmcnt(62)
	ds_write2_b64 v238, v[44:45], v[46:47] offset0:56 offset1:57
	s_waitcnt vmcnt(39)
	ds_write2_b64 v238, v[40:41], v[42:43] offset0:58 offset1:59
	;; [unrolled: 2-line block ×11, first 2 shown]
	ds_write2_b64 v238, v[0:1], v[2:3] offset0:78 offset1:79
	s_waitcnt vmcnt(28)
	ds_write2_b64 v238, v[160:161], v[162:163] offset0:80 offset1:81
	ds_read2_b64 v[164:167], v237 offset1:1
	s_waitcnt lgkmcnt(0)
	v_cmp_neq_f64_e32 vcc, 0, v[164:165]
	v_cmp_neq_f64_e64 s[2:3], 0, v[166:167]
	s_or_b64 s[2:3], vcc, s[2:3]
	s_and_b64 exec, exec, s[2:3]
	s_cbranch_execz .LBB81_170
; %bb.165:
	v_cmp_ngt_f64_e64 s[2:3], |v[164:165]|, |v[166:167]|
                                        ; implicit-def: $vgpr168_vgpr169
	s_and_saveexec_b64 s[10:11], s[2:3]
	s_xor_b64 s[2:3], exec, s[10:11]
                                        ; implicit-def: $vgpr170_vgpr171
	s_cbranch_execz .LBB81_167
; %bb.166:
	v_div_scale_f64 v[168:169], s[10:11], v[166:167], v[166:167], v[164:165]
	v_rcp_f64_e32 v[170:171], v[168:169]
	v_div_scale_f64 v[172:173], vcc, v[164:165], v[166:167], v[164:165]
	v_fma_f64 v[174:175], -v[168:169], v[170:171], 1.0
	v_fmac_f64_e32 v[170:171], v[170:171], v[174:175]
	v_fma_f64 v[174:175], -v[168:169], v[170:171], 1.0
	v_fmac_f64_e32 v[170:171], v[170:171], v[174:175]
	v_mul_f64 v[174:175], v[172:173], v[170:171]
	v_fma_f64 v[168:169], -v[168:169], v[174:175], v[172:173]
	v_div_fmas_f64 v[168:169], v[168:169], v[170:171], v[174:175]
	v_div_fixup_f64 v[168:169], v[168:169], v[166:167], v[164:165]
	v_fmac_f64_e32 v[166:167], v[164:165], v[168:169]
	v_div_scale_f64 v[164:165], s[10:11], v[166:167], v[166:167], 1.0
	v_rcp_f64_e32 v[170:171], v[164:165]
	s_nop 0
	v_fma_f64 v[172:173], -v[164:165], v[170:171], 1.0
	v_fmac_f64_e32 v[170:171], v[170:171], v[172:173]
	v_fma_f64 v[172:173], -v[164:165], v[170:171], 1.0
	v_fmac_f64_e32 v[170:171], v[170:171], v[172:173]
	v_div_scale_f64 v[172:173], vcc, 1.0, v[166:167], 1.0
	v_mul_f64 v[174:175], v[172:173], v[170:171]
	v_fma_f64 v[164:165], -v[164:165], v[174:175], v[172:173]
	s_nop 1
	v_div_fmas_f64 v[164:165], v[164:165], v[170:171], v[174:175]
	v_div_fixup_f64 v[170:171], v[164:165], v[166:167], 1.0
	v_mul_f64 v[168:169], v[168:169], v[170:171]
	v_xor_b32_e32 v171, 0x80000000, v171
                                        ; implicit-def: $vgpr164_vgpr165
.LBB81_167:
	s_andn2_saveexec_b64 s[2:3], s[2:3]
	s_cbranch_execz .LBB81_169
; %bb.168:
	v_div_scale_f64 v[168:169], s[10:11], v[164:165], v[164:165], v[166:167]
	v_rcp_f64_e32 v[170:171], v[168:169]
	v_div_scale_f64 v[172:173], vcc, v[166:167], v[164:165], v[166:167]
	v_fma_f64 v[174:175], -v[168:169], v[170:171], 1.0
	v_fmac_f64_e32 v[170:171], v[170:171], v[174:175]
	v_fma_f64 v[174:175], -v[168:169], v[170:171], 1.0
	v_fmac_f64_e32 v[170:171], v[170:171], v[174:175]
	v_mul_f64 v[174:175], v[172:173], v[170:171]
	v_fma_f64 v[168:169], -v[168:169], v[174:175], v[172:173]
	v_div_fmas_f64 v[168:169], v[168:169], v[170:171], v[174:175]
	v_div_fixup_f64 v[170:171], v[168:169], v[164:165], v[166:167]
	v_fmac_f64_e32 v[164:165], v[166:167], v[170:171]
	v_div_scale_f64 v[166:167], s[10:11], v[164:165], v[164:165], 1.0
	v_rcp_f64_e32 v[168:169], v[166:167]
	s_nop 0
	v_fma_f64 v[172:173], -v[166:167], v[168:169], 1.0
	v_fmac_f64_e32 v[168:169], v[168:169], v[172:173]
	v_fma_f64 v[172:173], -v[166:167], v[168:169], 1.0
	v_fmac_f64_e32 v[168:169], v[168:169], v[172:173]
	v_div_scale_f64 v[172:173], vcc, 1.0, v[164:165], 1.0
	v_mul_f64 v[174:175], v[172:173], v[168:169]
	v_fma_f64 v[166:167], -v[166:167], v[174:175], v[172:173]
	s_nop 1
	v_div_fmas_f64 v[166:167], v[166:167], v[168:169], v[174:175]
	v_div_fixup_f64 v[168:169], v[166:167], v[164:165], 1.0
	v_mul_f64 v[170:171], v[170:171], -v[168:169]
.LBB81_169:
	s_or_b64 exec, exec, s[2:3]
	ds_write2_b64 v237, v[168:169], v[170:171] offset1:1
.LBB81_170:
	s_or_b64 exec, exec, s[4:5]
	s_waitcnt lgkmcnt(0)
	s_barrier
	ds_read2_b64 v[164:167], v237 offset1:1
	v_cmp_lt_u32_e32 vcc, 18, v236
	s_waitcnt lgkmcnt(0)
	scratch_store_dwordx4 off, v[164:167], off offset:568 ; 16-byte Folded Spill
	s_and_saveexec_b64 s[2:3], vcc
	s_cbranch_execz .LBB81_172
; %bb.171:
	scratch_load_dwordx4 v[166:169], off, off offset:568 ; 16-byte Folded Reload
	s_waitcnt vmcnt(0)
	v_mul_f64 v[164:165], v[168:169], v[86:87]
	v_mul_f64 v[86:87], v[166:167], v[86:87]
	v_fma_f64 v[164:165], v[166:167], v[84:85], -v[164:165]
	v_fmac_f64_e32 v[86:87], v[168:169], v[84:85]
	ds_read2_b64 v[166:169], v238 offset0:38 offset1:39
	s_waitcnt lgkmcnt(0)
	v_mul_f64 v[84:85], v[168:169], v[86:87]
	v_fma_f64 v[84:85], v[166:167], v[164:165], -v[84:85]
	v_mul_f64 v[166:167], v[166:167], v[86:87]
	v_fmac_f64_e32 v[166:167], v[168:169], v[164:165]
	v_add_f64 v[82:83], v[82:83], -v[166:167]
	ds_read2_b64 v[166:169], v238 offset0:40 offset1:41
	v_add_f64 v[80:81], v[80:81], -v[84:85]
	s_waitcnt lgkmcnt(0)
	v_mul_f64 v[84:85], v[168:169], v[86:87]
	v_fma_f64 v[84:85], v[166:167], v[164:165], -v[84:85]
	v_mul_f64 v[166:167], v[166:167], v[86:87]
	v_fmac_f64_e32 v[166:167], v[168:169], v[164:165]
	v_add_f64 v[78:79], v[78:79], -v[166:167]
	ds_read2_b64 v[166:169], v238 offset0:42 offset1:43
	v_add_f64 v[76:77], v[76:77], -v[84:85]
	;; [unrolled: 8-line block ×21, first 2 shown]
	s_waitcnt lgkmcnt(0)
	v_mul_f64 v[84:85], v[168:169], v[86:87]
	v_fma_f64 v[84:85], v[166:167], v[164:165], -v[84:85]
	v_mul_f64 v[166:167], v[166:167], v[86:87]
	v_fmac_f64_e32 v[166:167], v[168:169], v[164:165]
	v_add_f64 v[160:161], v[160:161], -v[84:85]
	v_add_f64 v[162:163], v[162:163], -v[166:167]
	v_mov_b64_e32 v[84:85], v[164:165]
.LBB81_172:
	s_or_b64 exec, exec, s[2:3]
	v_cmp_eq_u32_e32 vcc, 19, v236
	s_waitcnt vmcnt(63) expcnt(7) lgkmcnt(15)
	s_barrier
	s_and_saveexec_b64 s[4:5], vcc
	s_cbranch_execz .LBB81_179
; %bb.173:
	ds_write2_b64 v237, v[80:81], v[82:83] offset1:1
	ds_write2_b64 v238, v[76:77], v[78:79] offset0:40 offset1:41
	ds_write2_b64 v238, v[72:73], v[74:75] offset0:42 offset1:43
	;; [unrolled: 1-line block ×9, first 2 shown]
	s_waitcnt vmcnt(40)
	ds_write2_b64 v238, v[40:41], v[42:43] offset0:58 offset1:59
	s_waitcnt vmcnt(38)
	ds_write2_b64 v238, v[36:37], v[38:39] offset0:60 offset1:61
	s_waitcnt vmcnt(37)
	ds_write2_b64 v238, v[32:33], v[34:35] offset0:62 offset1:63
	s_waitcnt vmcnt(36)
	ds_write2_b64 v238, v[28:29], v[30:31] offset0:64 offset1:65
	s_waitcnt vmcnt(35)
	ds_write2_b64 v238, v[24:25], v[26:27] offset0:66 offset1:67
	s_waitcnt vmcnt(34)
	ds_write2_b64 v238, v[20:21], v[22:23] offset0:68 offset1:69
	s_waitcnt vmcnt(33)
	ds_write2_b64 v238, v[16:17], v[18:19] offset0:70 offset1:71
	s_waitcnt vmcnt(32)
	ds_write2_b64 v238, v[12:13], v[14:15] offset0:72 offset1:73
	s_waitcnt vmcnt(31)
	ds_write2_b64 v238, v[8:9], v[10:11] offset0:74 offset1:75
	s_waitcnt vmcnt(30)
	ds_write2_b64 v238, v[4:5], v[6:7] offset0:76 offset1:77
	ds_write2_b64 v238, v[0:1], v[2:3] offset0:78 offset1:79
	s_waitcnt vmcnt(29)
	ds_write2_b64 v238, v[160:161], v[162:163] offset0:80 offset1:81
	ds_read2_b64 v[164:167], v237 offset1:1
	s_waitcnt lgkmcnt(0)
	v_cmp_neq_f64_e32 vcc, 0, v[164:165]
	v_cmp_neq_f64_e64 s[2:3], 0, v[166:167]
	s_or_b64 s[2:3], vcc, s[2:3]
	s_and_b64 exec, exec, s[2:3]
	s_cbranch_execz .LBB81_179
; %bb.174:
	v_cmp_ngt_f64_e64 s[2:3], |v[164:165]|, |v[166:167]|
                                        ; implicit-def: $vgpr168_vgpr169
	s_and_saveexec_b64 s[10:11], s[2:3]
	s_xor_b64 s[2:3], exec, s[10:11]
                                        ; implicit-def: $vgpr170_vgpr171
	s_cbranch_execz .LBB81_176
; %bb.175:
	v_div_scale_f64 v[168:169], s[10:11], v[166:167], v[166:167], v[164:165]
	v_rcp_f64_e32 v[170:171], v[168:169]
	v_div_scale_f64 v[172:173], vcc, v[164:165], v[166:167], v[164:165]
	v_fma_f64 v[174:175], -v[168:169], v[170:171], 1.0
	v_fmac_f64_e32 v[170:171], v[170:171], v[174:175]
	v_fma_f64 v[174:175], -v[168:169], v[170:171], 1.0
	v_fmac_f64_e32 v[170:171], v[170:171], v[174:175]
	v_mul_f64 v[174:175], v[172:173], v[170:171]
	v_fma_f64 v[168:169], -v[168:169], v[174:175], v[172:173]
	v_div_fmas_f64 v[168:169], v[168:169], v[170:171], v[174:175]
	v_div_fixup_f64 v[168:169], v[168:169], v[166:167], v[164:165]
	v_fmac_f64_e32 v[166:167], v[164:165], v[168:169]
	v_div_scale_f64 v[164:165], s[10:11], v[166:167], v[166:167], 1.0
	v_rcp_f64_e32 v[170:171], v[164:165]
	s_nop 0
	v_fma_f64 v[172:173], -v[164:165], v[170:171], 1.0
	v_fmac_f64_e32 v[170:171], v[170:171], v[172:173]
	v_fma_f64 v[172:173], -v[164:165], v[170:171], 1.0
	v_fmac_f64_e32 v[170:171], v[170:171], v[172:173]
	v_div_scale_f64 v[172:173], vcc, 1.0, v[166:167], 1.0
	v_mul_f64 v[174:175], v[172:173], v[170:171]
	v_fma_f64 v[164:165], -v[164:165], v[174:175], v[172:173]
	s_nop 1
	v_div_fmas_f64 v[164:165], v[164:165], v[170:171], v[174:175]
	v_div_fixup_f64 v[170:171], v[164:165], v[166:167], 1.0
	v_mul_f64 v[168:169], v[168:169], v[170:171]
	v_xor_b32_e32 v171, 0x80000000, v171
                                        ; implicit-def: $vgpr164_vgpr165
.LBB81_176:
	s_andn2_saveexec_b64 s[2:3], s[2:3]
	s_cbranch_execz .LBB81_178
; %bb.177:
	v_div_scale_f64 v[168:169], s[10:11], v[164:165], v[164:165], v[166:167]
	v_rcp_f64_e32 v[170:171], v[168:169]
	v_div_scale_f64 v[172:173], vcc, v[166:167], v[164:165], v[166:167]
	v_fma_f64 v[174:175], -v[168:169], v[170:171], 1.0
	v_fmac_f64_e32 v[170:171], v[170:171], v[174:175]
	v_fma_f64 v[174:175], -v[168:169], v[170:171], 1.0
	v_fmac_f64_e32 v[170:171], v[170:171], v[174:175]
	v_mul_f64 v[174:175], v[172:173], v[170:171]
	v_fma_f64 v[168:169], -v[168:169], v[174:175], v[172:173]
	v_div_fmas_f64 v[168:169], v[168:169], v[170:171], v[174:175]
	v_div_fixup_f64 v[170:171], v[168:169], v[164:165], v[166:167]
	v_fmac_f64_e32 v[164:165], v[166:167], v[170:171]
	v_div_scale_f64 v[166:167], s[10:11], v[164:165], v[164:165], 1.0
	v_rcp_f64_e32 v[168:169], v[166:167]
	s_nop 0
	v_fma_f64 v[172:173], -v[166:167], v[168:169], 1.0
	v_fmac_f64_e32 v[168:169], v[168:169], v[172:173]
	v_fma_f64 v[172:173], -v[166:167], v[168:169], 1.0
	v_fmac_f64_e32 v[168:169], v[168:169], v[172:173]
	v_div_scale_f64 v[172:173], vcc, 1.0, v[164:165], 1.0
	v_mul_f64 v[174:175], v[172:173], v[168:169]
	v_fma_f64 v[166:167], -v[166:167], v[174:175], v[172:173]
	s_nop 1
	v_div_fmas_f64 v[166:167], v[166:167], v[168:169], v[174:175]
	v_div_fixup_f64 v[168:169], v[166:167], v[164:165], 1.0
	v_mul_f64 v[170:171], v[170:171], -v[168:169]
.LBB81_178:
	s_or_b64 exec, exec, s[2:3]
	ds_write2_b64 v237, v[168:169], v[170:171] offset1:1
.LBB81_179:
	s_or_b64 exec, exec, s[4:5]
	s_waitcnt lgkmcnt(0)
	s_barrier
	ds_read2_b64 v[164:167], v237 offset1:1
	v_cmp_lt_u32_e32 vcc, 19, v236
	s_waitcnt lgkmcnt(0)
	scratch_store_dwordx4 off, v[164:167], off offset:584 ; 16-byte Folded Spill
	s_and_saveexec_b64 s[2:3], vcc
	s_cbranch_execz .LBB81_181
; %bb.180:
	scratch_load_dwordx4 v[166:169], off, off offset:584 ; 16-byte Folded Reload
	s_waitcnt vmcnt(0)
	v_mul_f64 v[164:165], v[168:169], v[82:83]
	v_mul_f64 v[82:83], v[166:167], v[82:83]
	v_fma_f64 v[164:165], v[166:167], v[80:81], -v[164:165]
	v_fmac_f64_e32 v[82:83], v[168:169], v[80:81]
	ds_read2_b64 v[166:169], v238 offset0:40 offset1:41
	s_waitcnt lgkmcnt(0)
	v_mul_f64 v[80:81], v[168:169], v[82:83]
	v_fma_f64 v[80:81], v[166:167], v[164:165], -v[80:81]
	v_mul_f64 v[166:167], v[166:167], v[82:83]
	v_fmac_f64_e32 v[166:167], v[168:169], v[164:165]
	v_add_f64 v[78:79], v[78:79], -v[166:167]
	ds_read2_b64 v[166:169], v238 offset0:42 offset1:43
	v_add_f64 v[76:77], v[76:77], -v[80:81]
	s_waitcnt lgkmcnt(0)
	v_mul_f64 v[80:81], v[168:169], v[82:83]
	v_fma_f64 v[80:81], v[166:167], v[164:165], -v[80:81]
	v_mul_f64 v[166:167], v[166:167], v[82:83]
	v_fmac_f64_e32 v[166:167], v[168:169], v[164:165]
	v_add_f64 v[74:75], v[74:75], -v[166:167]
	ds_read2_b64 v[166:169], v238 offset0:44 offset1:45
	v_add_f64 v[72:73], v[72:73], -v[80:81]
	;; [unrolled: 8-line block ×20, first 2 shown]
	s_waitcnt lgkmcnt(0)
	v_mul_f64 v[80:81], v[168:169], v[82:83]
	v_fma_f64 v[80:81], v[166:167], v[164:165], -v[80:81]
	v_mul_f64 v[166:167], v[166:167], v[82:83]
	v_fmac_f64_e32 v[166:167], v[168:169], v[164:165]
	v_add_f64 v[160:161], v[160:161], -v[80:81]
	v_add_f64 v[162:163], v[162:163], -v[166:167]
	v_mov_b64_e32 v[80:81], v[164:165]
.LBB81_181:
	s_or_b64 exec, exec, s[2:3]
	v_cmp_eq_u32_e32 vcc, 20, v236
	s_waitcnt vmcnt(63) expcnt(7) lgkmcnt(15)
	s_barrier
	s_and_saveexec_b64 s[4:5], vcc
	s_cbranch_execz .LBB81_188
; %bb.182:
	ds_write2_b64 v237, v[76:77], v[78:79] offset1:1
	ds_write2_b64 v238, v[72:73], v[74:75] offset0:42 offset1:43
	ds_write2_b64 v238, v[68:69], v[70:71] offset0:44 offset1:45
	;; [unrolled: 1-line block ×8, first 2 shown]
	s_waitcnt vmcnt(41)
	ds_write2_b64 v238, v[40:41], v[42:43] offset0:58 offset1:59
	s_waitcnt vmcnt(39)
	ds_write2_b64 v238, v[36:37], v[38:39] offset0:60 offset1:61
	;; [unrolled: 2-line block ×10, first 2 shown]
	ds_write2_b64 v238, v[0:1], v[2:3] offset0:78 offset1:79
	s_waitcnt vmcnt(30)
	ds_write2_b64 v238, v[160:161], v[162:163] offset0:80 offset1:81
	ds_read2_b64 v[164:167], v237 offset1:1
	s_waitcnt lgkmcnt(0)
	v_cmp_neq_f64_e32 vcc, 0, v[164:165]
	v_cmp_neq_f64_e64 s[2:3], 0, v[166:167]
	s_or_b64 s[2:3], vcc, s[2:3]
	s_and_b64 exec, exec, s[2:3]
	s_cbranch_execz .LBB81_188
; %bb.183:
	v_cmp_ngt_f64_e64 s[2:3], |v[164:165]|, |v[166:167]|
                                        ; implicit-def: $vgpr168_vgpr169
	s_and_saveexec_b64 s[10:11], s[2:3]
	s_xor_b64 s[2:3], exec, s[10:11]
                                        ; implicit-def: $vgpr170_vgpr171
	s_cbranch_execz .LBB81_185
; %bb.184:
	v_div_scale_f64 v[168:169], s[10:11], v[166:167], v[166:167], v[164:165]
	v_rcp_f64_e32 v[170:171], v[168:169]
	v_div_scale_f64 v[172:173], vcc, v[164:165], v[166:167], v[164:165]
	v_fma_f64 v[174:175], -v[168:169], v[170:171], 1.0
	v_fmac_f64_e32 v[170:171], v[170:171], v[174:175]
	v_fma_f64 v[174:175], -v[168:169], v[170:171], 1.0
	v_fmac_f64_e32 v[170:171], v[170:171], v[174:175]
	v_mul_f64 v[174:175], v[172:173], v[170:171]
	v_fma_f64 v[168:169], -v[168:169], v[174:175], v[172:173]
	v_div_fmas_f64 v[168:169], v[168:169], v[170:171], v[174:175]
	v_div_fixup_f64 v[168:169], v[168:169], v[166:167], v[164:165]
	v_fmac_f64_e32 v[166:167], v[164:165], v[168:169]
	v_div_scale_f64 v[164:165], s[10:11], v[166:167], v[166:167], 1.0
	v_rcp_f64_e32 v[170:171], v[164:165]
	s_nop 0
	v_fma_f64 v[172:173], -v[164:165], v[170:171], 1.0
	v_fmac_f64_e32 v[170:171], v[170:171], v[172:173]
	v_fma_f64 v[172:173], -v[164:165], v[170:171], 1.0
	v_fmac_f64_e32 v[170:171], v[170:171], v[172:173]
	v_div_scale_f64 v[172:173], vcc, 1.0, v[166:167], 1.0
	v_mul_f64 v[174:175], v[172:173], v[170:171]
	v_fma_f64 v[164:165], -v[164:165], v[174:175], v[172:173]
	s_nop 1
	v_div_fmas_f64 v[164:165], v[164:165], v[170:171], v[174:175]
	v_div_fixup_f64 v[170:171], v[164:165], v[166:167], 1.0
	v_mul_f64 v[168:169], v[168:169], v[170:171]
	v_xor_b32_e32 v171, 0x80000000, v171
                                        ; implicit-def: $vgpr164_vgpr165
.LBB81_185:
	s_andn2_saveexec_b64 s[2:3], s[2:3]
	s_cbranch_execz .LBB81_187
; %bb.186:
	v_div_scale_f64 v[168:169], s[10:11], v[164:165], v[164:165], v[166:167]
	v_rcp_f64_e32 v[170:171], v[168:169]
	v_div_scale_f64 v[172:173], vcc, v[166:167], v[164:165], v[166:167]
	v_fma_f64 v[174:175], -v[168:169], v[170:171], 1.0
	v_fmac_f64_e32 v[170:171], v[170:171], v[174:175]
	v_fma_f64 v[174:175], -v[168:169], v[170:171], 1.0
	v_fmac_f64_e32 v[170:171], v[170:171], v[174:175]
	v_mul_f64 v[174:175], v[172:173], v[170:171]
	v_fma_f64 v[168:169], -v[168:169], v[174:175], v[172:173]
	v_div_fmas_f64 v[168:169], v[168:169], v[170:171], v[174:175]
	v_div_fixup_f64 v[170:171], v[168:169], v[164:165], v[166:167]
	v_fmac_f64_e32 v[164:165], v[166:167], v[170:171]
	v_div_scale_f64 v[166:167], s[10:11], v[164:165], v[164:165], 1.0
	v_rcp_f64_e32 v[168:169], v[166:167]
	s_nop 0
	v_fma_f64 v[172:173], -v[166:167], v[168:169], 1.0
	v_fmac_f64_e32 v[168:169], v[168:169], v[172:173]
	v_fma_f64 v[172:173], -v[166:167], v[168:169], 1.0
	v_fmac_f64_e32 v[168:169], v[168:169], v[172:173]
	v_div_scale_f64 v[172:173], vcc, 1.0, v[164:165], 1.0
	v_mul_f64 v[174:175], v[172:173], v[168:169]
	v_fma_f64 v[166:167], -v[166:167], v[174:175], v[172:173]
	s_nop 1
	v_div_fmas_f64 v[166:167], v[166:167], v[168:169], v[174:175]
	v_div_fixup_f64 v[168:169], v[166:167], v[164:165], 1.0
	v_mul_f64 v[170:171], v[170:171], -v[168:169]
.LBB81_187:
	s_or_b64 exec, exec, s[2:3]
	ds_write2_b64 v237, v[168:169], v[170:171] offset1:1
.LBB81_188:
	s_or_b64 exec, exec, s[4:5]
	s_waitcnt lgkmcnt(0)
	s_barrier
	ds_read2_b64 v[164:167], v237 offset1:1
	v_cmp_lt_u32_e32 vcc, 20, v236
	s_waitcnt lgkmcnt(0)
	scratch_store_dwordx4 off, v[164:167], off offset:600 ; 16-byte Folded Spill
	s_and_saveexec_b64 s[2:3], vcc
	s_cbranch_execz .LBB81_190
; %bb.189:
	scratch_load_dwordx4 v[166:169], off, off offset:600 ; 16-byte Folded Reload
	s_waitcnt vmcnt(0)
	v_mul_f64 v[164:165], v[168:169], v[78:79]
	v_mul_f64 v[78:79], v[166:167], v[78:79]
	v_fma_f64 v[164:165], v[166:167], v[76:77], -v[164:165]
	v_fmac_f64_e32 v[78:79], v[168:169], v[76:77]
	ds_read2_b64 v[166:169], v238 offset0:42 offset1:43
	s_waitcnt lgkmcnt(0)
	v_mul_f64 v[76:77], v[168:169], v[78:79]
	v_fma_f64 v[76:77], v[166:167], v[164:165], -v[76:77]
	v_mul_f64 v[166:167], v[166:167], v[78:79]
	v_fmac_f64_e32 v[166:167], v[168:169], v[164:165]
	v_add_f64 v[74:75], v[74:75], -v[166:167]
	ds_read2_b64 v[166:169], v238 offset0:44 offset1:45
	v_add_f64 v[72:73], v[72:73], -v[76:77]
	s_waitcnt lgkmcnt(0)
	v_mul_f64 v[76:77], v[168:169], v[78:79]
	v_fma_f64 v[76:77], v[166:167], v[164:165], -v[76:77]
	v_mul_f64 v[166:167], v[166:167], v[78:79]
	v_fmac_f64_e32 v[166:167], v[168:169], v[164:165]
	v_add_f64 v[70:71], v[70:71], -v[166:167]
	ds_read2_b64 v[166:169], v238 offset0:46 offset1:47
	v_add_f64 v[68:69], v[68:69], -v[76:77]
	;; [unrolled: 8-line block ×19, first 2 shown]
	s_waitcnt lgkmcnt(0)
	v_mul_f64 v[76:77], v[168:169], v[78:79]
	v_fma_f64 v[76:77], v[166:167], v[164:165], -v[76:77]
	v_mul_f64 v[166:167], v[166:167], v[78:79]
	v_fmac_f64_e32 v[166:167], v[168:169], v[164:165]
	v_add_f64 v[160:161], v[160:161], -v[76:77]
	v_add_f64 v[162:163], v[162:163], -v[166:167]
	v_mov_b64_e32 v[76:77], v[164:165]
.LBB81_190:
	s_or_b64 exec, exec, s[2:3]
	v_cmp_eq_u32_e32 vcc, 21, v236
	s_waitcnt vmcnt(63) expcnt(7) lgkmcnt(15)
	s_barrier
	s_and_saveexec_b64 s[4:5], vcc
	s_cbranch_execz .LBB81_197
; %bb.191:
	ds_write2_b64 v237, v[72:73], v[74:75] offset1:1
	ds_write2_b64 v238, v[68:69], v[70:71] offset0:44 offset1:45
	ds_write2_b64 v238, v[64:65], v[66:67] offset0:46 offset1:47
	;; [unrolled: 1-line block ×7, first 2 shown]
	s_waitcnt vmcnt(42)
	ds_write2_b64 v238, v[40:41], v[42:43] offset0:58 offset1:59
	s_waitcnt vmcnt(40)
	ds_write2_b64 v238, v[36:37], v[38:39] offset0:60 offset1:61
	;; [unrolled: 2-line block ×10, first 2 shown]
	ds_write2_b64 v238, v[0:1], v[2:3] offset0:78 offset1:79
	s_waitcnt vmcnt(31)
	ds_write2_b64 v238, v[160:161], v[162:163] offset0:80 offset1:81
	ds_read2_b64 v[164:167], v237 offset1:1
	s_waitcnt lgkmcnt(0)
	v_cmp_neq_f64_e32 vcc, 0, v[164:165]
	v_cmp_neq_f64_e64 s[2:3], 0, v[166:167]
	s_or_b64 s[2:3], vcc, s[2:3]
	s_and_b64 exec, exec, s[2:3]
	s_cbranch_execz .LBB81_197
; %bb.192:
	v_cmp_ngt_f64_e64 s[2:3], |v[164:165]|, |v[166:167]|
                                        ; implicit-def: $vgpr168_vgpr169
	s_and_saveexec_b64 s[10:11], s[2:3]
	s_xor_b64 s[2:3], exec, s[10:11]
                                        ; implicit-def: $vgpr170_vgpr171
	s_cbranch_execz .LBB81_194
; %bb.193:
	v_div_scale_f64 v[168:169], s[10:11], v[166:167], v[166:167], v[164:165]
	v_rcp_f64_e32 v[170:171], v[168:169]
	v_div_scale_f64 v[172:173], vcc, v[164:165], v[166:167], v[164:165]
	v_fma_f64 v[174:175], -v[168:169], v[170:171], 1.0
	v_fmac_f64_e32 v[170:171], v[170:171], v[174:175]
	v_fma_f64 v[174:175], -v[168:169], v[170:171], 1.0
	v_fmac_f64_e32 v[170:171], v[170:171], v[174:175]
	v_mul_f64 v[174:175], v[172:173], v[170:171]
	v_fma_f64 v[168:169], -v[168:169], v[174:175], v[172:173]
	v_div_fmas_f64 v[168:169], v[168:169], v[170:171], v[174:175]
	v_div_fixup_f64 v[168:169], v[168:169], v[166:167], v[164:165]
	v_fmac_f64_e32 v[166:167], v[164:165], v[168:169]
	v_div_scale_f64 v[164:165], s[10:11], v[166:167], v[166:167], 1.0
	v_rcp_f64_e32 v[170:171], v[164:165]
	s_nop 0
	v_fma_f64 v[172:173], -v[164:165], v[170:171], 1.0
	v_fmac_f64_e32 v[170:171], v[170:171], v[172:173]
	v_fma_f64 v[172:173], -v[164:165], v[170:171], 1.0
	v_fmac_f64_e32 v[170:171], v[170:171], v[172:173]
	v_div_scale_f64 v[172:173], vcc, 1.0, v[166:167], 1.0
	v_mul_f64 v[174:175], v[172:173], v[170:171]
	v_fma_f64 v[164:165], -v[164:165], v[174:175], v[172:173]
	s_nop 1
	v_div_fmas_f64 v[164:165], v[164:165], v[170:171], v[174:175]
	v_div_fixup_f64 v[170:171], v[164:165], v[166:167], 1.0
	v_mul_f64 v[168:169], v[168:169], v[170:171]
	v_xor_b32_e32 v171, 0x80000000, v171
                                        ; implicit-def: $vgpr164_vgpr165
.LBB81_194:
	s_andn2_saveexec_b64 s[2:3], s[2:3]
	s_cbranch_execz .LBB81_196
; %bb.195:
	v_div_scale_f64 v[168:169], s[10:11], v[164:165], v[164:165], v[166:167]
	v_rcp_f64_e32 v[170:171], v[168:169]
	v_div_scale_f64 v[172:173], vcc, v[166:167], v[164:165], v[166:167]
	v_fma_f64 v[174:175], -v[168:169], v[170:171], 1.0
	v_fmac_f64_e32 v[170:171], v[170:171], v[174:175]
	v_fma_f64 v[174:175], -v[168:169], v[170:171], 1.0
	v_fmac_f64_e32 v[170:171], v[170:171], v[174:175]
	v_mul_f64 v[174:175], v[172:173], v[170:171]
	v_fma_f64 v[168:169], -v[168:169], v[174:175], v[172:173]
	v_div_fmas_f64 v[168:169], v[168:169], v[170:171], v[174:175]
	v_div_fixup_f64 v[170:171], v[168:169], v[164:165], v[166:167]
	v_fmac_f64_e32 v[164:165], v[166:167], v[170:171]
	v_div_scale_f64 v[166:167], s[10:11], v[164:165], v[164:165], 1.0
	v_rcp_f64_e32 v[168:169], v[166:167]
	s_nop 0
	v_fma_f64 v[172:173], -v[166:167], v[168:169], 1.0
	v_fmac_f64_e32 v[168:169], v[168:169], v[172:173]
	v_fma_f64 v[172:173], -v[166:167], v[168:169], 1.0
	v_fmac_f64_e32 v[168:169], v[168:169], v[172:173]
	v_div_scale_f64 v[172:173], vcc, 1.0, v[164:165], 1.0
	v_mul_f64 v[174:175], v[172:173], v[168:169]
	v_fma_f64 v[166:167], -v[166:167], v[174:175], v[172:173]
	s_nop 1
	v_div_fmas_f64 v[166:167], v[166:167], v[168:169], v[174:175]
	v_div_fixup_f64 v[168:169], v[166:167], v[164:165], 1.0
	v_mul_f64 v[170:171], v[170:171], -v[168:169]
.LBB81_196:
	s_or_b64 exec, exec, s[2:3]
	ds_write2_b64 v237, v[168:169], v[170:171] offset1:1
.LBB81_197:
	s_or_b64 exec, exec, s[4:5]
	s_waitcnt lgkmcnt(0)
	s_barrier
	ds_read2_b64 v[164:167], v237 offset1:1
	v_cmp_lt_u32_e32 vcc, 21, v236
	s_waitcnt lgkmcnt(0)
	scratch_store_dwordx4 off, v[164:167], off offset:616 ; 16-byte Folded Spill
	s_and_saveexec_b64 s[2:3], vcc
	s_cbranch_execz .LBB81_199
; %bb.198:
	scratch_load_dwordx4 v[166:169], off, off offset:616 ; 16-byte Folded Reload
	s_waitcnt vmcnt(0)
	v_mul_f64 v[164:165], v[168:169], v[74:75]
	v_mul_f64 v[74:75], v[166:167], v[74:75]
	v_fma_f64 v[164:165], v[166:167], v[72:73], -v[164:165]
	v_fmac_f64_e32 v[74:75], v[168:169], v[72:73]
	ds_read2_b64 v[166:169], v238 offset0:44 offset1:45
	s_waitcnt lgkmcnt(0)
	v_mul_f64 v[72:73], v[168:169], v[74:75]
	v_fma_f64 v[72:73], v[166:167], v[164:165], -v[72:73]
	v_mul_f64 v[166:167], v[166:167], v[74:75]
	v_fmac_f64_e32 v[166:167], v[168:169], v[164:165]
	v_add_f64 v[70:71], v[70:71], -v[166:167]
	ds_read2_b64 v[166:169], v238 offset0:46 offset1:47
	v_add_f64 v[68:69], v[68:69], -v[72:73]
	s_waitcnt lgkmcnt(0)
	v_mul_f64 v[72:73], v[168:169], v[74:75]
	v_fma_f64 v[72:73], v[166:167], v[164:165], -v[72:73]
	v_mul_f64 v[166:167], v[166:167], v[74:75]
	v_fmac_f64_e32 v[166:167], v[168:169], v[164:165]
	v_add_f64 v[66:67], v[66:67], -v[166:167]
	ds_read2_b64 v[166:169], v238 offset0:48 offset1:49
	v_add_f64 v[64:65], v[64:65], -v[72:73]
	;; [unrolled: 8-line block ×18, first 2 shown]
	s_waitcnt lgkmcnt(0)
	v_mul_f64 v[72:73], v[168:169], v[74:75]
	v_fma_f64 v[72:73], v[166:167], v[164:165], -v[72:73]
	v_mul_f64 v[166:167], v[166:167], v[74:75]
	v_fmac_f64_e32 v[166:167], v[168:169], v[164:165]
	v_add_f64 v[160:161], v[160:161], -v[72:73]
	v_add_f64 v[162:163], v[162:163], -v[166:167]
	v_mov_b64_e32 v[72:73], v[164:165]
.LBB81_199:
	s_or_b64 exec, exec, s[2:3]
	v_cmp_eq_u32_e32 vcc, 22, v236
	s_waitcnt vmcnt(63) expcnt(7) lgkmcnt(15)
	s_barrier
	s_and_saveexec_b64 s[4:5], vcc
	s_cbranch_execz .LBB81_206
; %bb.200:
	ds_write2_b64 v237, v[68:69], v[70:71] offset1:1
	ds_write2_b64 v238, v[64:65], v[66:67] offset0:46 offset1:47
	ds_write2_b64 v238, v[60:61], v[62:63] offset0:48 offset1:49
	;; [unrolled: 1-line block ×6, first 2 shown]
	s_waitcnt vmcnt(43)
	ds_write2_b64 v238, v[40:41], v[42:43] offset0:58 offset1:59
	s_waitcnt vmcnt(41)
	ds_write2_b64 v238, v[36:37], v[38:39] offset0:60 offset1:61
	s_waitcnt vmcnt(40)
	ds_write2_b64 v238, v[32:33], v[34:35] offset0:62 offset1:63
	s_waitcnt vmcnt(39)
	ds_write2_b64 v238, v[28:29], v[30:31] offset0:64 offset1:65
	s_waitcnt vmcnt(38)
	ds_write2_b64 v238, v[24:25], v[26:27] offset0:66 offset1:67
	s_waitcnt vmcnt(37)
	ds_write2_b64 v238, v[20:21], v[22:23] offset0:68 offset1:69
	s_waitcnt vmcnt(36)
	ds_write2_b64 v238, v[16:17], v[18:19] offset0:70 offset1:71
	s_waitcnt vmcnt(35)
	ds_write2_b64 v238, v[12:13], v[14:15] offset0:72 offset1:73
	s_waitcnt vmcnt(34)
	ds_write2_b64 v238, v[8:9], v[10:11] offset0:74 offset1:75
	s_waitcnt vmcnt(33)
	ds_write2_b64 v238, v[4:5], v[6:7] offset0:76 offset1:77
	ds_write2_b64 v238, v[0:1], v[2:3] offset0:78 offset1:79
	s_waitcnt vmcnt(32)
	ds_write2_b64 v238, v[160:161], v[162:163] offset0:80 offset1:81
	ds_read2_b64 v[164:167], v237 offset1:1
	s_waitcnt lgkmcnt(0)
	v_cmp_neq_f64_e32 vcc, 0, v[164:165]
	v_cmp_neq_f64_e64 s[2:3], 0, v[166:167]
	s_or_b64 s[2:3], vcc, s[2:3]
	s_and_b64 exec, exec, s[2:3]
	s_cbranch_execz .LBB81_206
; %bb.201:
	v_cmp_ngt_f64_e64 s[2:3], |v[164:165]|, |v[166:167]|
                                        ; implicit-def: $vgpr168_vgpr169
	s_and_saveexec_b64 s[10:11], s[2:3]
	s_xor_b64 s[2:3], exec, s[10:11]
                                        ; implicit-def: $vgpr170_vgpr171
	s_cbranch_execz .LBB81_203
; %bb.202:
	v_div_scale_f64 v[168:169], s[10:11], v[166:167], v[166:167], v[164:165]
	v_rcp_f64_e32 v[170:171], v[168:169]
	v_div_scale_f64 v[172:173], vcc, v[164:165], v[166:167], v[164:165]
	v_fma_f64 v[174:175], -v[168:169], v[170:171], 1.0
	v_fmac_f64_e32 v[170:171], v[170:171], v[174:175]
	v_fma_f64 v[174:175], -v[168:169], v[170:171], 1.0
	v_fmac_f64_e32 v[170:171], v[170:171], v[174:175]
	v_mul_f64 v[174:175], v[172:173], v[170:171]
	v_fma_f64 v[168:169], -v[168:169], v[174:175], v[172:173]
	v_div_fmas_f64 v[168:169], v[168:169], v[170:171], v[174:175]
	v_div_fixup_f64 v[168:169], v[168:169], v[166:167], v[164:165]
	v_fmac_f64_e32 v[166:167], v[164:165], v[168:169]
	v_div_scale_f64 v[164:165], s[10:11], v[166:167], v[166:167], 1.0
	v_rcp_f64_e32 v[170:171], v[164:165]
	s_nop 0
	v_fma_f64 v[172:173], -v[164:165], v[170:171], 1.0
	v_fmac_f64_e32 v[170:171], v[170:171], v[172:173]
	v_fma_f64 v[172:173], -v[164:165], v[170:171], 1.0
	v_fmac_f64_e32 v[170:171], v[170:171], v[172:173]
	v_div_scale_f64 v[172:173], vcc, 1.0, v[166:167], 1.0
	v_mul_f64 v[174:175], v[172:173], v[170:171]
	v_fma_f64 v[164:165], -v[164:165], v[174:175], v[172:173]
	s_nop 1
	v_div_fmas_f64 v[164:165], v[164:165], v[170:171], v[174:175]
	v_div_fixup_f64 v[170:171], v[164:165], v[166:167], 1.0
	v_mul_f64 v[168:169], v[168:169], v[170:171]
	v_xor_b32_e32 v171, 0x80000000, v171
                                        ; implicit-def: $vgpr164_vgpr165
.LBB81_203:
	s_andn2_saveexec_b64 s[2:3], s[2:3]
	s_cbranch_execz .LBB81_205
; %bb.204:
	v_div_scale_f64 v[168:169], s[10:11], v[164:165], v[164:165], v[166:167]
	v_rcp_f64_e32 v[170:171], v[168:169]
	v_div_scale_f64 v[172:173], vcc, v[166:167], v[164:165], v[166:167]
	v_fma_f64 v[174:175], -v[168:169], v[170:171], 1.0
	v_fmac_f64_e32 v[170:171], v[170:171], v[174:175]
	v_fma_f64 v[174:175], -v[168:169], v[170:171], 1.0
	v_fmac_f64_e32 v[170:171], v[170:171], v[174:175]
	v_mul_f64 v[174:175], v[172:173], v[170:171]
	v_fma_f64 v[168:169], -v[168:169], v[174:175], v[172:173]
	v_div_fmas_f64 v[168:169], v[168:169], v[170:171], v[174:175]
	v_div_fixup_f64 v[170:171], v[168:169], v[164:165], v[166:167]
	v_fmac_f64_e32 v[164:165], v[166:167], v[170:171]
	v_div_scale_f64 v[166:167], s[10:11], v[164:165], v[164:165], 1.0
	v_rcp_f64_e32 v[168:169], v[166:167]
	s_nop 0
	v_fma_f64 v[172:173], -v[166:167], v[168:169], 1.0
	v_fmac_f64_e32 v[168:169], v[168:169], v[172:173]
	v_fma_f64 v[172:173], -v[166:167], v[168:169], 1.0
	v_fmac_f64_e32 v[168:169], v[168:169], v[172:173]
	v_div_scale_f64 v[172:173], vcc, 1.0, v[164:165], 1.0
	v_mul_f64 v[174:175], v[172:173], v[168:169]
	v_fma_f64 v[166:167], -v[166:167], v[174:175], v[172:173]
	s_nop 1
	v_div_fmas_f64 v[166:167], v[166:167], v[168:169], v[174:175]
	v_div_fixup_f64 v[168:169], v[166:167], v[164:165], 1.0
	v_mul_f64 v[170:171], v[170:171], -v[168:169]
.LBB81_205:
	s_or_b64 exec, exec, s[2:3]
	ds_write2_b64 v237, v[168:169], v[170:171] offset1:1
.LBB81_206:
	s_or_b64 exec, exec, s[4:5]
	s_waitcnt lgkmcnt(0)
	s_barrier
	ds_read2_b64 v[164:167], v237 offset1:1
	v_cmp_lt_u32_e32 vcc, 22, v236
	s_waitcnt lgkmcnt(0)
	scratch_store_dwordx4 off, v[164:167], off offset:632 ; 16-byte Folded Spill
	s_and_saveexec_b64 s[2:3], vcc
	s_cbranch_execz .LBB81_208
; %bb.207:
	scratch_load_dwordx4 v[166:169], off, off offset:632 ; 16-byte Folded Reload
	s_waitcnt vmcnt(0)
	v_mul_f64 v[164:165], v[168:169], v[70:71]
	v_mul_f64 v[70:71], v[166:167], v[70:71]
	v_fma_f64 v[164:165], v[166:167], v[68:69], -v[164:165]
	v_fmac_f64_e32 v[70:71], v[168:169], v[68:69]
	ds_read2_b64 v[166:169], v238 offset0:46 offset1:47
	s_waitcnt lgkmcnt(0)
	v_mul_f64 v[68:69], v[168:169], v[70:71]
	v_fma_f64 v[68:69], v[166:167], v[164:165], -v[68:69]
	v_mul_f64 v[166:167], v[166:167], v[70:71]
	v_fmac_f64_e32 v[166:167], v[168:169], v[164:165]
	v_add_f64 v[66:67], v[66:67], -v[166:167]
	ds_read2_b64 v[166:169], v238 offset0:48 offset1:49
	v_add_f64 v[64:65], v[64:65], -v[68:69]
	s_waitcnt lgkmcnt(0)
	v_mul_f64 v[68:69], v[168:169], v[70:71]
	v_fma_f64 v[68:69], v[166:167], v[164:165], -v[68:69]
	v_mul_f64 v[166:167], v[166:167], v[70:71]
	v_fmac_f64_e32 v[166:167], v[168:169], v[164:165]
	v_add_f64 v[62:63], v[62:63], -v[166:167]
	ds_read2_b64 v[166:169], v238 offset0:50 offset1:51
	v_add_f64 v[60:61], v[60:61], -v[68:69]
	;; [unrolled: 8-line block ×17, first 2 shown]
	s_waitcnt lgkmcnt(0)
	v_mul_f64 v[68:69], v[168:169], v[70:71]
	v_fma_f64 v[68:69], v[166:167], v[164:165], -v[68:69]
	v_mul_f64 v[166:167], v[166:167], v[70:71]
	v_fmac_f64_e32 v[166:167], v[168:169], v[164:165]
	v_add_f64 v[160:161], v[160:161], -v[68:69]
	v_add_f64 v[162:163], v[162:163], -v[166:167]
	v_mov_b64_e32 v[68:69], v[164:165]
.LBB81_208:
	s_or_b64 exec, exec, s[2:3]
	v_cmp_eq_u32_e32 vcc, 23, v236
	s_waitcnt vmcnt(63) expcnt(7) lgkmcnt(15)
	s_barrier
	s_and_saveexec_b64 s[4:5], vcc
	s_cbranch_execz .LBB81_215
; %bb.209:
	ds_write2_b64 v237, v[64:65], v[66:67] offset1:1
	ds_write2_b64 v238, v[60:61], v[62:63] offset0:48 offset1:49
	ds_write2_b64 v238, v[56:57], v[58:59] offset0:50 offset1:51
	;; [unrolled: 1-line block ×5, first 2 shown]
	s_waitcnt vmcnt(44)
	ds_write2_b64 v238, v[40:41], v[42:43] offset0:58 offset1:59
	s_waitcnt vmcnt(42)
	ds_write2_b64 v238, v[36:37], v[38:39] offset0:60 offset1:61
	;; [unrolled: 2-line block ×10, first 2 shown]
	ds_write2_b64 v238, v[0:1], v[2:3] offset0:78 offset1:79
	s_waitcnt vmcnt(33)
	ds_write2_b64 v238, v[160:161], v[162:163] offset0:80 offset1:81
	ds_read2_b64 v[164:167], v237 offset1:1
	s_waitcnt lgkmcnt(0)
	v_cmp_neq_f64_e32 vcc, 0, v[164:165]
	v_cmp_neq_f64_e64 s[2:3], 0, v[166:167]
	s_or_b64 s[2:3], vcc, s[2:3]
	s_and_b64 exec, exec, s[2:3]
	s_cbranch_execz .LBB81_215
; %bb.210:
	v_cmp_ngt_f64_e64 s[2:3], |v[164:165]|, |v[166:167]|
                                        ; implicit-def: $vgpr168_vgpr169
	s_and_saveexec_b64 s[10:11], s[2:3]
	s_xor_b64 s[2:3], exec, s[10:11]
                                        ; implicit-def: $vgpr170_vgpr171
	s_cbranch_execz .LBB81_212
; %bb.211:
	v_div_scale_f64 v[168:169], s[10:11], v[166:167], v[166:167], v[164:165]
	v_rcp_f64_e32 v[170:171], v[168:169]
	v_div_scale_f64 v[172:173], vcc, v[164:165], v[166:167], v[164:165]
	v_fma_f64 v[174:175], -v[168:169], v[170:171], 1.0
	v_fmac_f64_e32 v[170:171], v[170:171], v[174:175]
	v_fma_f64 v[174:175], -v[168:169], v[170:171], 1.0
	v_fmac_f64_e32 v[170:171], v[170:171], v[174:175]
	v_mul_f64 v[174:175], v[172:173], v[170:171]
	v_fma_f64 v[168:169], -v[168:169], v[174:175], v[172:173]
	v_div_fmas_f64 v[168:169], v[168:169], v[170:171], v[174:175]
	v_div_fixup_f64 v[168:169], v[168:169], v[166:167], v[164:165]
	v_fmac_f64_e32 v[166:167], v[164:165], v[168:169]
	v_div_scale_f64 v[164:165], s[10:11], v[166:167], v[166:167], 1.0
	v_rcp_f64_e32 v[170:171], v[164:165]
	s_nop 0
	v_fma_f64 v[172:173], -v[164:165], v[170:171], 1.0
	v_fmac_f64_e32 v[170:171], v[170:171], v[172:173]
	v_fma_f64 v[172:173], -v[164:165], v[170:171], 1.0
	v_fmac_f64_e32 v[170:171], v[170:171], v[172:173]
	v_div_scale_f64 v[172:173], vcc, 1.0, v[166:167], 1.0
	v_mul_f64 v[174:175], v[172:173], v[170:171]
	v_fma_f64 v[164:165], -v[164:165], v[174:175], v[172:173]
	s_nop 1
	v_div_fmas_f64 v[164:165], v[164:165], v[170:171], v[174:175]
	v_div_fixup_f64 v[170:171], v[164:165], v[166:167], 1.0
	v_mul_f64 v[168:169], v[168:169], v[170:171]
	v_xor_b32_e32 v171, 0x80000000, v171
                                        ; implicit-def: $vgpr164_vgpr165
.LBB81_212:
	s_andn2_saveexec_b64 s[2:3], s[2:3]
	s_cbranch_execz .LBB81_214
; %bb.213:
	v_div_scale_f64 v[168:169], s[10:11], v[164:165], v[164:165], v[166:167]
	v_rcp_f64_e32 v[170:171], v[168:169]
	v_div_scale_f64 v[172:173], vcc, v[166:167], v[164:165], v[166:167]
	v_fma_f64 v[174:175], -v[168:169], v[170:171], 1.0
	v_fmac_f64_e32 v[170:171], v[170:171], v[174:175]
	v_fma_f64 v[174:175], -v[168:169], v[170:171], 1.0
	v_fmac_f64_e32 v[170:171], v[170:171], v[174:175]
	v_mul_f64 v[174:175], v[172:173], v[170:171]
	v_fma_f64 v[168:169], -v[168:169], v[174:175], v[172:173]
	v_div_fmas_f64 v[168:169], v[168:169], v[170:171], v[174:175]
	v_div_fixup_f64 v[170:171], v[168:169], v[164:165], v[166:167]
	v_fmac_f64_e32 v[164:165], v[166:167], v[170:171]
	v_div_scale_f64 v[166:167], s[10:11], v[164:165], v[164:165], 1.0
	v_rcp_f64_e32 v[168:169], v[166:167]
	s_nop 0
	v_fma_f64 v[172:173], -v[166:167], v[168:169], 1.0
	v_fmac_f64_e32 v[168:169], v[168:169], v[172:173]
	v_fma_f64 v[172:173], -v[166:167], v[168:169], 1.0
	v_fmac_f64_e32 v[168:169], v[168:169], v[172:173]
	v_div_scale_f64 v[172:173], vcc, 1.0, v[164:165], 1.0
	v_mul_f64 v[174:175], v[172:173], v[168:169]
	v_fma_f64 v[166:167], -v[166:167], v[174:175], v[172:173]
	s_nop 1
	v_div_fmas_f64 v[166:167], v[166:167], v[168:169], v[174:175]
	v_div_fixup_f64 v[168:169], v[166:167], v[164:165], 1.0
	v_mul_f64 v[170:171], v[170:171], -v[168:169]
.LBB81_214:
	s_or_b64 exec, exec, s[2:3]
	ds_write2_b64 v237, v[168:169], v[170:171] offset1:1
.LBB81_215:
	s_or_b64 exec, exec, s[4:5]
	s_waitcnt lgkmcnt(0)
	s_barrier
	ds_read2_b64 v[164:167], v237 offset1:1
	v_cmp_lt_u32_e32 vcc, 23, v236
	s_waitcnt lgkmcnt(0)
	scratch_store_dwordx4 off, v[164:167], off offset:648 ; 16-byte Folded Spill
	s_and_saveexec_b64 s[2:3], vcc
	s_cbranch_execz .LBB81_217
; %bb.216:
	scratch_load_dwordx4 v[164:167], off, off offset:648 ; 16-byte Folded Reload
	ds_read2_b64 v[170:173], v238 offset0:48 offset1:49
	s_waitcnt vmcnt(0)
	v_mul_f64 v[168:169], v[166:167], v[66:67]
	v_mul_f64 v[66:67], v[164:165], v[66:67]
	v_fmac_f64_e32 v[66:67], v[166:167], v[64:65]
	v_fma_f64 v[168:169], v[164:165], v[64:65], -v[168:169]
	s_waitcnt lgkmcnt(0)
	v_mul_f64 v[64:65], v[172:173], v[66:67]
	v_fma_f64 v[64:65], v[170:171], v[168:169], -v[64:65]
	v_mul_f64 v[170:171], v[170:171], v[66:67]
	v_fmac_f64_e32 v[170:171], v[172:173], v[168:169]
	v_add_f64 v[62:63], v[62:63], -v[170:171]
	ds_read2_b64 v[170:173], v238 offset0:50 offset1:51
	v_add_f64 v[60:61], v[60:61], -v[64:65]
	s_waitcnt lgkmcnt(0)
	v_mul_f64 v[64:65], v[172:173], v[66:67]
	v_fma_f64 v[64:65], v[170:171], v[168:169], -v[64:65]
	v_mul_f64 v[170:171], v[170:171], v[66:67]
	v_fmac_f64_e32 v[170:171], v[172:173], v[168:169]
	v_add_f64 v[58:59], v[58:59], -v[170:171]
	ds_read2_b64 v[170:173], v238 offset0:52 offset1:53
	v_add_f64 v[56:57], v[56:57], -v[64:65]
	;; [unrolled: 8-line block ×16, first 2 shown]
	s_waitcnt lgkmcnt(0)
	v_mul_f64 v[64:65], v[172:173], v[66:67]
	v_fma_f64 v[64:65], v[170:171], v[168:169], -v[64:65]
	v_mul_f64 v[170:171], v[170:171], v[66:67]
	v_fmac_f64_e32 v[170:171], v[172:173], v[168:169]
	v_add_f64 v[160:161], v[160:161], -v[64:65]
	v_add_f64 v[162:163], v[162:163], -v[170:171]
	v_mov_b64_e32 v[64:65], v[168:169]
.LBB81_217:
	s_or_b64 exec, exec, s[2:3]
	v_cmp_eq_u32_e32 vcc, 24, v236
	s_waitcnt vmcnt(63) expcnt(7) lgkmcnt(15)
	s_barrier
	s_and_saveexec_b64 s[4:5], vcc
	s_cbranch_execz .LBB81_224
; %bb.218:
	ds_write2_b64 v237, v[60:61], v[62:63] offset1:1
	ds_write2_b64 v238, v[56:57], v[58:59] offset0:50 offset1:51
	ds_write2_b64 v238, v[52:53], v[54:55] offset0:52 offset1:53
	;; [unrolled: 1-line block ×4, first 2 shown]
	s_waitcnt vmcnt(45)
	ds_write2_b64 v238, v[40:41], v[42:43] offset0:58 offset1:59
	s_waitcnt vmcnt(43)
	ds_write2_b64 v238, v[36:37], v[38:39] offset0:60 offset1:61
	s_waitcnt vmcnt(42)
	ds_write2_b64 v238, v[32:33], v[34:35] offset0:62 offset1:63
	s_waitcnt vmcnt(41)
	ds_write2_b64 v238, v[28:29], v[30:31] offset0:64 offset1:65
	s_waitcnt vmcnt(40)
	ds_write2_b64 v238, v[24:25], v[26:27] offset0:66 offset1:67
	s_waitcnt vmcnt(39)
	ds_write2_b64 v238, v[20:21], v[22:23] offset0:68 offset1:69
	s_waitcnt vmcnt(38)
	ds_write2_b64 v238, v[16:17], v[18:19] offset0:70 offset1:71
	s_waitcnt vmcnt(37)
	ds_write2_b64 v238, v[12:13], v[14:15] offset0:72 offset1:73
	s_waitcnt vmcnt(36)
	ds_write2_b64 v238, v[8:9], v[10:11] offset0:74 offset1:75
	s_waitcnt vmcnt(35)
	ds_write2_b64 v238, v[4:5], v[6:7] offset0:76 offset1:77
	ds_write2_b64 v238, v[0:1], v[2:3] offset0:78 offset1:79
	s_waitcnt vmcnt(34)
	ds_write2_b64 v238, v[160:161], v[162:163] offset0:80 offset1:81
	ds_read2_b64 v[168:171], v237 offset1:1
	s_waitcnt lgkmcnt(0)
	v_cmp_neq_f64_e32 vcc, 0, v[168:169]
	v_cmp_neq_f64_e64 s[2:3], 0, v[170:171]
	s_or_b64 s[2:3], vcc, s[2:3]
	s_and_b64 exec, exec, s[2:3]
	s_cbranch_execz .LBB81_224
; %bb.219:
	v_cmp_ngt_f64_e64 s[2:3], |v[168:169]|, |v[170:171]|
                                        ; implicit-def: $vgpr172_vgpr173
	s_and_saveexec_b64 s[10:11], s[2:3]
	s_xor_b64 s[2:3], exec, s[10:11]
                                        ; implicit-def: $vgpr174_vgpr175
	s_cbranch_execz .LBB81_221
; %bb.220:
	v_div_scale_f64 v[172:173], s[10:11], v[170:171], v[170:171], v[168:169]
	v_rcp_f64_e32 v[174:175], v[172:173]
	v_div_scale_f64 v[176:177], vcc, v[168:169], v[170:171], v[168:169]
	v_fma_f64 v[178:179], -v[172:173], v[174:175], 1.0
	v_fmac_f64_e32 v[174:175], v[174:175], v[178:179]
	v_fma_f64 v[178:179], -v[172:173], v[174:175], 1.0
	v_fmac_f64_e32 v[174:175], v[174:175], v[178:179]
	v_mul_f64 v[178:179], v[176:177], v[174:175]
	v_fma_f64 v[172:173], -v[172:173], v[178:179], v[176:177]
	v_div_fmas_f64 v[172:173], v[172:173], v[174:175], v[178:179]
	v_div_fixup_f64 v[172:173], v[172:173], v[170:171], v[168:169]
	v_fmac_f64_e32 v[170:171], v[168:169], v[172:173]
	v_div_scale_f64 v[168:169], s[10:11], v[170:171], v[170:171], 1.0
	v_rcp_f64_e32 v[174:175], v[168:169]
	s_nop 0
	v_fma_f64 v[176:177], -v[168:169], v[174:175], 1.0
	v_fmac_f64_e32 v[174:175], v[174:175], v[176:177]
	v_fma_f64 v[176:177], -v[168:169], v[174:175], 1.0
	v_fmac_f64_e32 v[174:175], v[174:175], v[176:177]
	v_div_scale_f64 v[176:177], vcc, 1.0, v[170:171], 1.0
	v_mul_f64 v[178:179], v[176:177], v[174:175]
	v_fma_f64 v[168:169], -v[168:169], v[178:179], v[176:177]
	s_nop 1
	v_div_fmas_f64 v[168:169], v[168:169], v[174:175], v[178:179]
	v_div_fixup_f64 v[174:175], v[168:169], v[170:171], 1.0
	v_mul_f64 v[172:173], v[172:173], v[174:175]
	v_xor_b32_e32 v175, 0x80000000, v175
                                        ; implicit-def: $vgpr168_vgpr169
.LBB81_221:
	s_andn2_saveexec_b64 s[2:3], s[2:3]
	s_cbranch_execz .LBB81_223
; %bb.222:
	v_div_scale_f64 v[172:173], s[10:11], v[168:169], v[168:169], v[170:171]
	v_rcp_f64_e32 v[174:175], v[172:173]
	v_div_scale_f64 v[176:177], vcc, v[170:171], v[168:169], v[170:171]
	v_fma_f64 v[178:179], -v[172:173], v[174:175], 1.0
	v_fmac_f64_e32 v[174:175], v[174:175], v[178:179]
	v_fma_f64 v[178:179], -v[172:173], v[174:175], 1.0
	v_fmac_f64_e32 v[174:175], v[174:175], v[178:179]
	v_mul_f64 v[178:179], v[176:177], v[174:175]
	v_fma_f64 v[172:173], -v[172:173], v[178:179], v[176:177]
	v_div_fmas_f64 v[172:173], v[172:173], v[174:175], v[178:179]
	v_div_fixup_f64 v[174:175], v[172:173], v[168:169], v[170:171]
	v_fmac_f64_e32 v[168:169], v[170:171], v[174:175]
	v_div_scale_f64 v[170:171], s[10:11], v[168:169], v[168:169], 1.0
	v_rcp_f64_e32 v[172:173], v[170:171]
	s_nop 0
	v_fma_f64 v[176:177], -v[170:171], v[172:173], 1.0
	v_fmac_f64_e32 v[172:173], v[172:173], v[176:177]
	v_fma_f64 v[176:177], -v[170:171], v[172:173], 1.0
	v_fmac_f64_e32 v[172:173], v[172:173], v[176:177]
	v_div_scale_f64 v[176:177], vcc, 1.0, v[168:169], 1.0
	v_mul_f64 v[178:179], v[176:177], v[172:173]
	v_fma_f64 v[170:171], -v[170:171], v[178:179], v[176:177]
	s_nop 1
	v_div_fmas_f64 v[170:171], v[170:171], v[172:173], v[178:179]
	v_div_fixup_f64 v[172:173], v[170:171], v[168:169], 1.0
	v_mul_f64 v[174:175], v[174:175], -v[172:173]
.LBB81_223:
	s_or_b64 exec, exec, s[2:3]
	ds_write2_b64 v237, v[172:173], v[174:175] offset1:1
.LBB81_224:
	s_or_b64 exec, exec, s[4:5]
	s_waitcnt lgkmcnt(0)
	s_barrier
	ds_read2_b64 v[168:171], v237 offset1:1
	v_cmp_lt_u32_e32 vcc, 24, v236
	s_and_saveexec_b64 s[2:3], vcc
	s_cbranch_execz .LBB81_226
; %bb.225:
	ds_read2_b64 v[174:177], v238 offset0:50 offset1:51
	s_waitcnt lgkmcnt(1)
	v_mul_f64 v[172:173], v[168:169], v[62:63]
	v_fmac_f64_e32 v[172:173], v[170:171], v[60:61]
	v_mul_f64 v[62:63], v[170:171], v[62:63]
	v_fma_f64 v[60:61], v[168:169], v[60:61], -v[62:63]
	s_waitcnt lgkmcnt(0)
	v_mul_f64 v[62:63], v[176:177], v[172:173]
	v_fma_f64 v[62:63], v[174:175], v[60:61], -v[62:63]
	v_mul_f64 v[174:175], v[174:175], v[172:173]
	v_fmac_f64_e32 v[174:175], v[176:177], v[60:61]
	v_add_f64 v[58:59], v[58:59], -v[174:175]
	ds_read2_b64 v[174:177], v238 offset0:52 offset1:53
	v_add_f64 v[56:57], v[56:57], -v[62:63]
	s_waitcnt lgkmcnt(0)
	v_mul_f64 v[62:63], v[176:177], v[172:173]
	v_fma_f64 v[62:63], v[174:175], v[60:61], -v[62:63]
	v_mul_f64 v[174:175], v[174:175], v[172:173]
	v_fmac_f64_e32 v[174:175], v[176:177], v[60:61]
	v_add_f64 v[54:55], v[54:55], -v[174:175]
	ds_read2_b64 v[174:177], v238 offset0:54 offset1:55
	v_add_f64 v[52:53], v[52:53], -v[62:63]
	;; [unrolled: 8-line block ×4, first 2 shown]
	s_waitcnt lgkmcnt(0)
	v_mul_f64 v[62:63], v[176:177], v[172:173]
	v_fma_f64 v[62:63], v[174:175], v[60:61], -v[62:63]
	v_mul_f64 v[174:175], v[174:175], v[172:173]
	v_fmac_f64_e32 v[174:175], v[176:177], v[60:61]
	s_waitcnt vmcnt(45)
	v_add_f64 v[42:43], v[42:43], -v[174:175]
	ds_read2_b64 v[174:177], v238 offset0:60 offset1:61
	v_add_f64 v[40:41], v[40:41], -v[62:63]
	s_waitcnt lgkmcnt(0)
	v_mul_f64 v[62:63], v[176:177], v[172:173]
	v_fma_f64 v[62:63], v[174:175], v[60:61], -v[62:63]
	v_mul_f64 v[174:175], v[174:175], v[172:173]
	v_fmac_f64_e32 v[174:175], v[176:177], v[60:61]
	s_waitcnt vmcnt(43)
	v_add_f64 v[38:39], v[38:39], -v[174:175]
	ds_read2_b64 v[174:177], v238 offset0:62 offset1:63
	v_add_f64 v[36:37], v[36:37], -v[62:63]
	;; [unrolled: 9-line block ×10, first 2 shown]
	s_waitcnt lgkmcnt(0)
	v_mul_f64 v[62:63], v[176:177], v[172:173]
	v_fma_f64 v[62:63], v[174:175], v[60:61], -v[62:63]
	v_mul_f64 v[174:175], v[174:175], v[172:173]
	v_fmac_f64_e32 v[174:175], v[176:177], v[60:61]
	v_add_f64 v[2:3], v[2:3], -v[174:175]
	ds_read2_b64 v[174:177], v238 offset0:80 offset1:81
	v_add_f64 v[0:1], v[0:1], -v[62:63]
	s_waitcnt lgkmcnt(0)
	v_mul_f64 v[62:63], v[176:177], v[172:173]
	v_fma_f64 v[62:63], v[174:175], v[60:61], -v[62:63]
	v_mul_f64 v[174:175], v[174:175], v[172:173]
	v_fmac_f64_e32 v[174:175], v[176:177], v[60:61]
	s_waitcnt vmcnt(34)
	v_add_f64 v[160:161], v[160:161], -v[62:63]
	v_add_f64 v[162:163], v[162:163], -v[174:175]
	v_mov_b64_e32 v[62:63], v[172:173]
.LBB81_226:
	s_or_b64 exec, exec, s[2:3]
	v_cmp_eq_u32_e32 vcc, 25, v236
	s_waitcnt lgkmcnt(0)
	s_barrier
	s_and_saveexec_b64 s[4:5], vcc
	s_cbranch_execz .LBB81_233
; %bb.227:
	ds_write2_b64 v237, v[56:57], v[58:59] offset1:1
	ds_write2_b64 v238, v[52:53], v[54:55] offset0:52 offset1:53
	ds_write2_b64 v238, v[48:49], v[50:51] offset0:54 offset1:55
	;; [unrolled: 1-line block ×3, first 2 shown]
	s_waitcnt vmcnt(45)
	ds_write2_b64 v238, v[40:41], v[42:43] offset0:58 offset1:59
	s_waitcnt vmcnt(43)
	ds_write2_b64 v238, v[36:37], v[38:39] offset0:60 offset1:61
	;; [unrolled: 2-line block ×10, first 2 shown]
	ds_write2_b64 v238, v[0:1], v[2:3] offset0:78 offset1:79
	s_waitcnt vmcnt(34)
	ds_write2_b64 v238, v[160:161], v[162:163] offset0:80 offset1:81
	ds_read2_b64 v[172:175], v237 offset1:1
	s_waitcnt lgkmcnt(0)
	v_cmp_neq_f64_e32 vcc, 0, v[172:173]
	v_cmp_neq_f64_e64 s[2:3], 0, v[174:175]
	s_or_b64 s[2:3], vcc, s[2:3]
	s_and_b64 exec, exec, s[2:3]
	s_cbranch_execz .LBB81_233
; %bb.228:
	v_cmp_ngt_f64_e64 s[2:3], |v[172:173]|, |v[174:175]|
                                        ; implicit-def: $vgpr176_vgpr177
	s_and_saveexec_b64 s[10:11], s[2:3]
	s_xor_b64 s[2:3], exec, s[10:11]
                                        ; implicit-def: $vgpr178_vgpr179
	s_cbranch_execz .LBB81_230
; %bb.229:
	v_div_scale_f64 v[176:177], s[10:11], v[174:175], v[174:175], v[172:173]
	v_rcp_f64_e32 v[178:179], v[176:177]
	v_div_scale_f64 v[180:181], vcc, v[172:173], v[174:175], v[172:173]
	v_fma_f64 v[182:183], -v[176:177], v[178:179], 1.0
	v_fmac_f64_e32 v[178:179], v[178:179], v[182:183]
	v_fma_f64 v[182:183], -v[176:177], v[178:179], 1.0
	v_fmac_f64_e32 v[178:179], v[178:179], v[182:183]
	v_mul_f64 v[182:183], v[180:181], v[178:179]
	v_fma_f64 v[176:177], -v[176:177], v[182:183], v[180:181]
	v_div_fmas_f64 v[176:177], v[176:177], v[178:179], v[182:183]
	v_div_fixup_f64 v[176:177], v[176:177], v[174:175], v[172:173]
	v_fmac_f64_e32 v[174:175], v[172:173], v[176:177]
	v_div_scale_f64 v[172:173], s[10:11], v[174:175], v[174:175], 1.0
	v_rcp_f64_e32 v[178:179], v[172:173]
	s_nop 0
	v_fma_f64 v[180:181], -v[172:173], v[178:179], 1.0
	v_fmac_f64_e32 v[178:179], v[178:179], v[180:181]
	v_fma_f64 v[180:181], -v[172:173], v[178:179], 1.0
	v_fmac_f64_e32 v[178:179], v[178:179], v[180:181]
	v_div_scale_f64 v[180:181], vcc, 1.0, v[174:175], 1.0
	v_mul_f64 v[182:183], v[180:181], v[178:179]
	v_fma_f64 v[172:173], -v[172:173], v[182:183], v[180:181]
	s_nop 1
	v_div_fmas_f64 v[172:173], v[172:173], v[178:179], v[182:183]
	v_div_fixup_f64 v[178:179], v[172:173], v[174:175], 1.0
	v_mul_f64 v[176:177], v[176:177], v[178:179]
	v_xor_b32_e32 v179, 0x80000000, v179
                                        ; implicit-def: $vgpr172_vgpr173
.LBB81_230:
	s_andn2_saveexec_b64 s[2:3], s[2:3]
	s_cbranch_execz .LBB81_232
; %bb.231:
	v_div_scale_f64 v[176:177], s[10:11], v[172:173], v[172:173], v[174:175]
	v_rcp_f64_e32 v[178:179], v[176:177]
	v_div_scale_f64 v[180:181], vcc, v[174:175], v[172:173], v[174:175]
	v_fma_f64 v[182:183], -v[176:177], v[178:179], 1.0
	v_fmac_f64_e32 v[178:179], v[178:179], v[182:183]
	v_fma_f64 v[182:183], -v[176:177], v[178:179], 1.0
	v_fmac_f64_e32 v[178:179], v[178:179], v[182:183]
	v_mul_f64 v[182:183], v[180:181], v[178:179]
	v_fma_f64 v[176:177], -v[176:177], v[182:183], v[180:181]
	v_div_fmas_f64 v[176:177], v[176:177], v[178:179], v[182:183]
	v_div_fixup_f64 v[178:179], v[176:177], v[172:173], v[174:175]
	v_fmac_f64_e32 v[172:173], v[174:175], v[178:179]
	v_div_scale_f64 v[174:175], s[10:11], v[172:173], v[172:173], 1.0
	v_rcp_f64_e32 v[176:177], v[174:175]
	s_nop 0
	v_fma_f64 v[180:181], -v[174:175], v[176:177], 1.0
	v_fmac_f64_e32 v[176:177], v[176:177], v[180:181]
	v_fma_f64 v[180:181], -v[174:175], v[176:177], 1.0
	v_fmac_f64_e32 v[176:177], v[176:177], v[180:181]
	v_div_scale_f64 v[180:181], vcc, 1.0, v[172:173], 1.0
	v_mul_f64 v[182:183], v[180:181], v[176:177]
	v_fma_f64 v[174:175], -v[174:175], v[182:183], v[180:181]
	s_nop 1
	v_div_fmas_f64 v[174:175], v[174:175], v[176:177], v[182:183]
	v_div_fixup_f64 v[176:177], v[174:175], v[172:173], 1.0
	v_mul_f64 v[178:179], v[178:179], -v[176:177]
.LBB81_232:
	s_or_b64 exec, exec, s[2:3]
	ds_write2_b64 v237, v[176:177], v[178:179] offset1:1
.LBB81_233:
	s_or_b64 exec, exec, s[4:5]
	s_waitcnt lgkmcnt(0)
	s_barrier
	ds_read2_b64 v[172:175], v237 offset1:1
	v_cmp_lt_u32_e32 vcc, 25, v236
	s_and_saveexec_b64 s[2:3], vcc
	s_cbranch_execz .LBB81_235
; %bb.234:
	ds_read2_b64 v[178:181], v238 offset0:52 offset1:53
	s_waitcnt lgkmcnt(1)
	v_mul_f64 v[176:177], v[172:173], v[58:59]
	v_fmac_f64_e32 v[176:177], v[174:175], v[56:57]
	v_mul_f64 v[58:59], v[174:175], v[58:59]
	v_fma_f64 v[56:57], v[172:173], v[56:57], -v[58:59]
	s_waitcnt lgkmcnt(0)
	v_mul_f64 v[58:59], v[180:181], v[176:177]
	v_fma_f64 v[58:59], v[178:179], v[56:57], -v[58:59]
	v_mul_f64 v[178:179], v[178:179], v[176:177]
	v_fmac_f64_e32 v[178:179], v[180:181], v[56:57]
	v_add_f64 v[54:55], v[54:55], -v[178:179]
	ds_read2_b64 v[178:181], v238 offset0:54 offset1:55
	v_add_f64 v[52:53], v[52:53], -v[58:59]
	s_waitcnt lgkmcnt(0)
	v_mul_f64 v[58:59], v[180:181], v[176:177]
	v_fma_f64 v[58:59], v[178:179], v[56:57], -v[58:59]
	v_mul_f64 v[178:179], v[178:179], v[176:177]
	v_fmac_f64_e32 v[178:179], v[180:181], v[56:57]
	v_add_f64 v[50:51], v[50:51], -v[178:179]
	ds_read2_b64 v[178:181], v238 offset0:56 offset1:57
	v_add_f64 v[48:49], v[48:49], -v[58:59]
	;; [unrolled: 8-line block ×3, first 2 shown]
	s_waitcnt lgkmcnt(0)
	v_mul_f64 v[58:59], v[180:181], v[176:177]
	v_fma_f64 v[58:59], v[178:179], v[56:57], -v[58:59]
	v_mul_f64 v[178:179], v[178:179], v[176:177]
	v_fmac_f64_e32 v[178:179], v[180:181], v[56:57]
	s_waitcnt vmcnt(45)
	v_add_f64 v[42:43], v[42:43], -v[178:179]
	ds_read2_b64 v[178:181], v238 offset0:60 offset1:61
	v_add_f64 v[40:41], v[40:41], -v[58:59]
	s_waitcnt lgkmcnt(0)
	v_mul_f64 v[58:59], v[180:181], v[176:177]
	v_fma_f64 v[58:59], v[178:179], v[56:57], -v[58:59]
	v_mul_f64 v[178:179], v[178:179], v[176:177]
	v_fmac_f64_e32 v[178:179], v[180:181], v[56:57]
	s_waitcnt vmcnt(43)
	v_add_f64 v[38:39], v[38:39], -v[178:179]
	ds_read2_b64 v[178:181], v238 offset0:62 offset1:63
	v_add_f64 v[36:37], v[36:37], -v[58:59]
	;; [unrolled: 9-line block ×10, first 2 shown]
	s_waitcnt lgkmcnt(0)
	v_mul_f64 v[58:59], v[180:181], v[176:177]
	v_fma_f64 v[58:59], v[178:179], v[56:57], -v[58:59]
	v_mul_f64 v[178:179], v[178:179], v[176:177]
	v_fmac_f64_e32 v[178:179], v[180:181], v[56:57]
	v_add_f64 v[2:3], v[2:3], -v[178:179]
	ds_read2_b64 v[178:181], v238 offset0:80 offset1:81
	v_add_f64 v[0:1], v[0:1], -v[58:59]
	s_waitcnt lgkmcnt(0)
	v_mul_f64 v[58:59], v[180:181], v[176:177]
	v_fma_f64 v[58:59], v[178:179], v[56:57], -v[58:59]
	v_mul_f64 v[178:179], v[178:179], v[176:177]
	v_fmac_f64_e32 v[178:179], v[180:181], v[56:57]
	s_waitcnt vmcnt(34)
	v_add_f64 v[160:161], v[160:161], -v[58:59]
	v_add_f64 v[162:163], v[162:163], -v[178:179]
	v_mov_b64_e32 v[58:59], v[176:177]
.LBB81_235:
	s_or_b64 exec, exec, s[2:3]
	v_cmp_eq_u32_e32 vcc, 26, v236
	s_waitcnt lgkmcnt(0)
	s_barrier
	s_and_saveexec_b64 s[4:5], vcc
	s_cbranch_execz .LBB81_242
; %bb.236:
	ds_write2_b64 v237, v[52:53], v[54:55] offset1:1
	ds_write2_b64 v238, v[48:49], v[50:51] offset0:54 offset1:55
	ds_write2_b64 v238, v[44:45], v[46:47] offset0:56 offset1:57
	s_waitcnt vmcnt(45)
	ds_write2_b64 v238, v[40:41], v[42:43] offset0:58 offset1:59
	s_waitcnt vmcnt(43)
	;; [unrolled: 2-line block ×10, first 2 shown]
	ds_write2_b64 v238, v[4:5], v[6:7] offset0:76 offset1:77
	ds_write2_b64 v238, v[0:1], v[2:3] offset0:78 offset1:79
	s_waitcnt vmcnt(34)
	ds_write2_b64 v238, v[160:161], v[162:163] offset0:80 offset1:81
	ds_read2_b64 v[176:179], v237 offset1:1
	s_waitcnt lgkmcnt(0)
	v_cmp_neq_f64_e32 vcc, 0, v[176:177]
	v_cmp_neq_f64_e64 s[2:3], 0, v[178:179]
	s_or_b64 s[2:3], vcc, s[2:3]
	s_and_b64 exec, exec, s[2:3]
	s_cbranch_execz .LBB81_242
; %bb.237:
	v_cmp_ngt_f64_e64 s[2:3], |v[176:177]|, |v[178:179]|
                                        ; implicit-def: $vgpr180_vgpr181
	s_and_saveexec_b64 s[10:11], s[2:3]
	s_xor_b64 s[2:3], exec, s[10:11]
                                        ; implicit-def: $vgpr182_vgpr183
	s_cbranch_execz .LBB81_239
; %bb.238:
	v_div_scale_f64 v[180:181], s[10:11], v[178:179], v[178:179], v[176:177]
	v_rcp_f64_e32 v[182:183], v[180:181]
	v_div_scale_f64 v[184:185], vcc, v[176:177], v[178:179], v[176:177]
	v_fma_f64 v[186:187], -v[180:181], v[182:183], 1.0
	v_fmac_f64_e32 v[182:183], v[182:183], v[186:187]
	v_fma_f64 v[186:187], -v[180:181], v[182:183], 1.0
	v_fmac_f64_e32 v[182:183], v[182:183], v[186:187]
	v_mul_f64 v[186:187], v[184:185], v[182:183]
	v_fma_f64 v[180:181], -v[180:181], v[186:187], v[184:185]
	v_div_fmas_f64 v[180:181], v[180:181], v[182:183], v[186:187]
	v_div_fixup_f64 v[180:181], v[180:181], v[178:179], v[176:177]
	v_fmac_f64_e32 v[178:179], v[176:177], v[180:181]
	v_div_scale_f64 v[176:177], s[10:11], v[178:179], v[178:179], 1.0
	v_rcp_f64_e32 v[182:183], v[176:177]
	s_nop 0
	v_fma_f64 v[184:185], -v[176:177], v[182:183], 1.0
	v_fmac_f64_e32 v[182:183], v[182:183], v[184:185]
	v_fma_f64 v[184:185], -v[176:177], v[182:183], 1.0
	v_fmac_f64_e32 v[182:183], v[182:183], v[184:185]
	v_div_scale_f64 v[184:185], vcc, 1.0, v[178:179], 1.0
	v_mul_f64 v[186:187], v[184:185], v[182:183]
	v_fma_f64 v[176:177], -v[176:177], v[186:187], v[184:185]
	s_nop 1
	v_div_fmas_f64 v[176:177], v[176:177], v[182:183], v[186:187]
	v_div_fixup_f64 v[182:183], v[176:177], v[178:179], 1.0
	v_mul_f64 v[180:181], v[180:181], v[182:183]
	v_xor_b32_e32 v183, 0x80000000, v183
                                        ; implicit-def: $vgpr176_vgpr177
.LBB81_239:
	s_andn2_saveexec_b64 s[2:3], s[2:3]
	s_cbranch_execz .LBB81_241
; %bb.240:
	v_div_scale_f64 v[180:181], s[10:11], v[176:177], v[176:177], v[178:179]
	v_rcp_f64_e32 v[182:183], v[180:181]
	v_div_scale_f64 v[184:185], vcc, v[178:179], v[176:177], v[178:179]
	v_fma_f64 v[186:187], -v[180:181], v[182:183], 1.0
	v_fmac_f64_e32 v[182:183], v[182:183], v[186:187]
	v_fma_f64 v[186:187], -v[180:181], v[182:183], 1.0
	v_fmac_f64_e32 v[182:183], v[182:183], v[186:187]
	v_mul_f64 v[186:187], v[184:185], v[182:183]
	v_fma_f64 v[180:181], -v[180:181], v[186:187], v[184:185]
	v_div_fmas_f64 v[180:181], v[180:181], v[182:183], v[186:187]
	v_div_fixup_f64 v[182:183], v[180:181], v[176:177], v[178:179]
	v_fmac_f64_e32 v[176:177], v[178:179], v[182:183]
	v_div_scale_f64 v[178:179], s[10:11], v[176:177], v[176:177], 1.0
	v_rcp_f64_e32 v[180:181], v[178:179]
	s_nop 0
	v_fma_f64 v[184:185], -v[178:179], v[180:181], 1.0
	v_fmac_f64_e32 v[180:181], v[180:181], v[184:185]
	v_fma_f64 v[184:185], -v[178:179], v[180:181], 1.0
	v_fmac_f64_e32 v[180:181], v[180:181], v[184:185]
	v_div_scale_f64 v[184:185], vcc, 1.0, v[176:177], 1.0
	v_mul_f64 v[186:187], v[184:185], v[180:181]
	v_fma_f64 v[178:179], -v[178:179], v[186:187], v[184:185]
	s_nop 1
	v_div_fmas_f64 v[178:179], v[178:179], v[180:181], v[186:187]
	v_div_fixup_f64 v[180:181], v[178:179], v[176:177], 1.0
	v_mul_f64 v[182:183], v[182:183], -v[180:181]
.LBB81_241:
	s_or_b64 exec, exec, s[2:3]
	ds_write2_b64 v237, v[180:181], v[182:183] offset1:1
.LBB81_242:
	s_or_b64 exec, exec, s[4:5]
	s_waitcnt lgkmcnt(0)
	s_barrier
	ds_read2_b64 v[176:179], v237 offset1:1
	v_cmp_lt_u32_e32 vcc, 26, v236
	s_and_saveexec_b64 s[2:3], vcc
	s_cbranch_execz .LBB81_244
; %bb.243:
	ds_read2_b64 v[182:185], v238 offset0:54 offset1:55
	s_waitcnt lgkmcnt(1)
	v_mul_f64 v[180:181], v[176:177], v[54:55]
	v_fmac_f64_e32 v[180:181], v[178:179], v[52:53]
	v_mul_f64 v[54:55], v[178:179], v[54:55]
	v_fma_f64 v[52:53], v[176:177], v[52:53], -v[54:55]
	s_waitcnt lgkmcnt(0)
	v_mul_f64 v[54:55], v[184:185], v[180:181]
	v_fma_f64 v[54:55], v[182:183], v[52:53], -v[54:55]
	v_mul_f64 v[182:183], v[182:183], v[180:181]
	v_fmac_f64_e32 v[182:183], v[184:185], v[52:53]
	v_add_f64 v[50:51], v[50:51], -v[182:183]
	ds_read2_b64 v[182:185], v238 offset0:56 offset1:57
	v_add_f64 v[48:49], v[48:49], -v[54:55]
	s_waitcnt lgkmcnt(0)
	v_mul_f64 v[54:55], v[184:185], v[180:181]
	v_fma_f64 v[54:55], v[182:183], v[52:53], -v[54:55]
	v_mul_f64 v[182:183], v[182:183], v[180:181]
	v_fmac_f64_e32 v[182:183], v[184:185], v[52:53]
	v_add_f64 v[46:47], v[46:47], -v[182:183]
	ds_read2_b64 v[182:185], v238 offset0:58 offset1:59
	v_add_f64 v[44:45], v[44:45], -v[54:55]
	s_waitcnt lgkmcnt(0)
	v_mul_f64 v[54:55], v[184:185], v[180:181]
	v_fma_f64 v[54:55], v[182:183], v[52:53], -v[54:55]
	v_mul_f64 v[182:183], v[182:183], v[180:181]
	v_fmac_f64_e32 v[182:183], v[184:185], v[52:53]
	s_waitcnt vmcnt(45)
	v_add_f64 v[42:43], v[42:43], -v[182:183]
	ds_read2_b64 v[182:185], v238 offset0:60 offset1:61
	v_add_f64 v[40:41], v[40:41], -v[54:55]
	s_waitcnt lgkmcnt(0)
	v_mul_f64 v[54:55], v[184:185], v[180:181]
	v_fma_f64 v[54:55], v[182:183], v[52:53], -v[54:55]
	v_mul_f64 v[182:183], v[182:183], v[180:181]
	v_fmac_f64_e32 v[182:183], v[184:185], v[52:53]
	s_waitcnt vmcnt(43)
	;; [unrolled: 9-line block ×10, first 2 shown]
	v_add_f64 v[6:7], v[6:7], -v[182:183]
	ds_read2_b64 v[182:185], v238 offset0:78 offset1:79
	v_add_f64 v[4:5], v[4:5], -v[54:55]
	s_waitcnt lgkmcnt(0)
	v_mul_f64 v[54:55], v[184:185], v[180:181]
	v_fma_f64 v[54:55], v[182:183], v[52:53], -v[54:55]
	v_mul_f64 v[182:183], v[182:183], v[180:181]
	v_fmac_f64_e32 v[182:183], v[184:185], v[52:53]
	v_add_f64 v[2:3], v[2:3], -v[182:183]
	ds_read2_b64 v[182:185], v238 offset0:80 offset1:81
	v_add_f64 v[0:1], v[0:1], -v[54:55]
	s_waitcnt lgkmcnt(0)
	v_mul_f64 v[54:55], v[184:185], v[180:181]
	v_fma_f64 v[54:55], v[182:183], v[52:53], -v[54:55]
	v_mul_f64 v[182:183], v[182:183], v[180:181]
	v_fmac_f64_e32 v[182:183], v[184:185], v[52:53]
	s_waitcnt vmcnt(34)
	v_add_f64 v[160:161], v[160:161], -v[54:55]
	v_add_f64 v[162:163], v[162:163], -v[182:183]
	v_mov_b64_e32 v[54:55], v[180:181]
.LBB81_244:
	s_or_b64 exec, exec, s[2:3]
	v_cmp_eq_u32_e32 vcc, 27, v236
	s_waitcnt lgkmcnt(0)
	s_barrier
	s_and_saveexec_b64 s[4:5], vcc
	s_cbranch_execz .LBB81_251
; %bb.245:
	ds_write2_b64 v237, v[48:49], v[50:51] offset1:1
	ds_write2_b64 v238, v[44:45], v[46:47] offset0:56 offset1:57
	s_waitcnt vmcnt(45)
	ds_write2_b64 v238, v[40:41], v[42:43] offset0:58 offset1:59
	s_waitcnt vmcnt(43)
	;; [unrolled: 2-line block ×10, first 2 shown]
	ds_write2_b64 v238, v[4:5], v[6:7] offset0:76 offset1:77
	ds_write2_b64 v238, v[0:1], v[2:3] offset0:78 offset1:79
	s_waitcnt vmcnt(34)
	ds_write2_b64 v238, v[160:161], v[162:163] offset0:80 offset1:81
	ds_read2_b64 v[180:183], v237 offset1:1
	s_waitcnt lgkmcnt(0)
	v_cmp_neq_f64_e32 vcc, 0, v[180:181]
	v_cmp_neq_f64_e64 s[2:3], 0, v[182:183]
	s_or_b64 s[2:3], vcc, s[2:3]
	s_and_b64 exec, exec, s[2:3]
	s_cbranch_execz .LBB81_251
; %bb.246:
	v_cmp_ngt_f64_e64 s[2:3], |v[180:181]|, |v[182:183]|
                                        ; implicit-def: $vgpr184_vgpr185
	s_and_saveexec_b64 s[10:11], s[2:3]
	s_xor_b64 s[2:3], exec, s[10:11]
                                        ; implicit-def: $vgpr186_vgpr187
	s_cbranch_execz .LBB81_248
; %bb.247:
	v_div_scale_f64 v[184:185], s[10:11], v[182:183], v[182:183], v[180:181]
	v_rcp_f64_e32 v[186:187], v[184:185]
	v_div_scale_f64 v[188:189], vcc, v[180:181], v[182:183], v[180:181]
	v_fma_f64 v[190:191], -v[184:185], v[186:187], 1.0
	v_fmac_f64_e32 v[186:187], v[186:187], v[190:191]
	v_fma_f64 v[190:191], -v[184:185], v[186:187], 1.0
	v_fmac_f64_e32 v[186:187], v[186:187], v[190:191]
	v_mul_f64 v[190:191], v[188:189], v[186:187]
	v_fma_f64 v[184:185], -v[184:185], v[190:191], v[188:189]
	v_div_fmas_f64 v[184:185], v[184:185], v[186:187], v[190:191]
	v_div_fixup_f64 v[184:185], v[184:185], v[182:183], v[180:181]
	v_fmac_f64_e32 v[182:183], v[180:181], v[184:185]
	v_div_scale_f64 v[180:181], s[10:11], v[182:183], v[182:183], 1.0
	v_rcp_f64_e32 v[186:187], v[180:181]
	s_nop 0
	v_fma_f64 v[188:189], -v[180:181], v[186:187], 1.0
	v_fmac_f64_e32 v[186:187], v[186:187], v[188:189]
	v_fma_f64 v[188:189], -v[180:181], v[186:187], 1.0
	v_fmac_f64_e32 v[186:187], v[186:187], v[188:189]
	v_div_scale_f64 v[188:189], vcc, 1.0, v[182:183], 1.0
	v_mul_f64 v[190:191], v[188:189], v[186:187]
	v_fma_f64 v[180:181], -v[180:181], v[190:191], v[188:189]
	s_nop 1
	v_div_fmas_f64 v[180:181], v[180:181], v[186:187], v[190:191]
	v_div_fixup_f64 v[186:187], v[180:181], v[182:183], 1.0
	v_mul_f64 v[184:185], v[184:185], v[186:187]
	v_xor_b32_e32 v187, 0x80000000, v187
                                        ; implicit-def: $vgpr180_vgpr181
.LBB81_248:
	s_andn2_saveexec_b64 s[2:3], s[2:3]
	s_cbranch_execz .LBB81_250
; %bb.249:
	v_div_scale_f64 v[184:185], s[10:11], v[180:181], v[180:181], v[182:183]
	v_rcp_f64_e32 v[186:187], v[184:185]
	v_div_scale_f64 v[188:189], vcc, v[182:183], v[180:181], v[182:183]
	v_fma_f64 v[190:191], -v[184:185], v[186:187], 1.0
	v_fmac_f64_e32 v[186:187], v[186:187], v[190:191]
	v_fma_f64 v[190:191], -v[184:185], v[186:187], 1.0
	v_fmac_f64_e32 v[186:187], v[186:187], v[190:191]
	v_mul_f64 v[190:191], v[188:189], v[186:187]
	v_fma_f64 v[184:185], -v[184:185], v[190:191], v[188:189]
	v_div_fmas_f64 v[184:185], v[184:185], v[186:187], v[190:191]
	v_div_fixup_f64 v[186:187], v[184:185], v[180:181], v[182:183]
	v_fmac_f64_e32 v[180:181], v[182:183], v[186:187]
	v_div_scale_f64 v[182:183], s[10:11], v[180:181], v[180:181], 1.0
	v_rcp_f64_e32 v[184:185], v[182:183]
	s_nop 0
	v_fma_f64 v[188:189], -v[182:183], v[184:185], 1.0
	v_fmac_f64_e32 v[184:185], v[184:185], v[188:189]
	v_fma_f64 v[188:189], -v[182:183], v[184:185], 1.0
	v_fmac_f64_e32 v[184:185], v[184:185], v[188:189]
	v_div_scale_f64 v[188:189], vcc, 1.0, v[180:181], 1.0
	v_mul_f64 v[190:191], v[188:189], v[184:185]
	v_fma_f64 v[182:183], -v[182:183], v[190:191], v[188:189]
	s_nop 1
	v_div_fmas_f64 v[182:183], v[182:183], v[184:185], v[190:191]
	v_div_fixup_f64 v[184:185], v[182:183], v[180:181], 1.0
	v_mul_f64 v[186:187], v[186:187], -v[184:185]
.LBB81_250:
	s_or_b64 exec, exec, s[2:3]
	ds_write2_b64 v237, v[184:185], v[186:187] offset1:1
.LBB81_251:
	s_or_b64 exec, exec, s[4:5]
	s_waitcnt lgkmcnt(0)
	s_barrier
	ds_read2_b64 v[180:183], v237 offset1:1
	v_cmp_lt_u32_e32 vcc, 27, v236
	s_and_saveexec_b64 s[2:3], vcc
	s_cbranch_execz .LBB81_253
; %bb.252:
	ds_read2_b64 v[186:189], v238 offset0:56 offset1:57
	s_waitcnt lgkmcnt(1)
	v_mul_f64 v[184:185], v[180:181], v[50:51]
	v_fmac_f64_e32 v[184:185], v[182:183], v[48:49]
	v_mul_f64 v[50:51], v[182:183], v[50:51]
	v_fma_f64 v[48:49], v[180:181], v[48:49], -v[50:51]
	s_waitcnt lgkmcnt(0)
	v_mul_f64 v[50:51], v[188:189], v[184:185]
	v_fma_f64 v[50:51], v[186:187], v[48:49], -v[50:51]
	v_mul_f64 v[186:187], v[186:187], v[184:185]
	v_fmac_f64_e32 v[186:187], v[188:189], v[48:49]
	v_add_f64 v[46:47], v[46:47], -v[186:187]
	ds_read2_b64 v[186:189], v238 offset0:58 offset1:59
	v_add_f64 v[44:45], v[44:45], -v[50:51]
	s_waitcnt lgkmcnt(0)
	v_mul_f64 v[50:51], v[188:189], v[184:185]
	v_fma_f64 v[50:51], v[186:187], v[48:49], -v[50:51]
	v_mul_f64 v[186:187], v[186:187], v[184:185]
	v_fmac_f64_e32 v[186:187], v[188:189], v[48:49]
	s_waitcnt vmcnt(45)
	v_add_f64 v[42:43], v[42:43], -v[186:187]
	ds_read2_b64 v[186:189], v238 offset0:60 offset1:61
	v_add_f64 v[40:41], v[40:41], -v[50:51]
	s_waitcnt lgkmcnt(0)
	v_mul_f64 v[50:51], v[188:189], v[184:185]
	v_fma_f64 v[50:51], v[186:187], v[48:49], -v[50:51]
	v_mul_f64 v[186:187], v[186:187], v[184:185]
	v_fmac_f64_e32 v[186:187], v[188:189], v[48:49]
	s_waitcnt vmcnt(43)
	;; [unrolled: 9-line block ×10, first 2 shown]
	v_add_f64 v[6:7], v[6:7], -v[186:187]
	ds_read2_b64 v[186:189], v238 offset0:78 offset1:79
	v_add_f64 v[4:5], v[4:5], -v[50:51]
	s_waitcnt lgkmcnt(0)
	v_mul_f64 v[50:51], v[188:189], v[184:185]
	v_fma_f64 v[50:51], v[186:187], v[48:49], -v[50:51]
	v_mul_f64 v[186:187], v[186:187], v[184:185]
	v_fmac_f64_e32 v[186:187], v[188:189], v[48:49]
	v_add_f64 v[2:3], v[2:3], -v[186:187]
	ds_read2_b64 v[186:189], v238 offset0:80 offset1:81
	v_add_f64 v[0:1], v[0:1], -v[50:51]
	s_waitcnt lgkmcnt(0)
	v_mul_f64 v[50:51], v[188:189], v[184:185]
	v_fma_f64 v[50:51], v[186:187], v[48:49], -v[50:51]
	v_mul_f64 v[186:187], v[186:187], v[184:185]
	v_fmac_f64_e32 v[186:187], v[188:189], v[48:49]
	s_waitcnt vmcnt(34)
	v_add_f64 v[160:161], v[160:161], -v[50:51]
	v_add_f64 v[162:163], v[162:163], -v[186:187]
	v_mov_b64_e32 v[50:51], v[184:185]
.LBB81_253:
	s_or_b64 exec, exec, s[2:3]
	v_cmp_eq_u32_e32 vcc, 28, v236
	s_waitcnt lgkmcnt(0)
	s_barrier
	s_and_saveexec_b64 s[4:5], vcc
	s_cbranch_execz .LBB81_260
; %bb.254:
	ds_write2_b64 v237, v[44:45], v[46:47] offset1:1
	s_waitcnt vmcnt(45)
	ds_write2_b64 v238, v[40:41], v[42:43] offset0:58 offset1:59
	s_waitcnt vmcnt(43)
	ds_write2_b64 v238, v[36:37], v[38:39] offset0:60 offset1:61
	;; [unrolled: 2-line block ×10, first 2 shown]
	ds_write2_b64 v238, v[0:1], v[2:3] offset0:78 offset1:79
	s_waitcnt vmcnt(34)
	ds_write2_b64 v238, v[160:161], v[162:163] offset0:80 offset1:81
	ds_read2_b64 v[184:187], v237 offset1:1
	s_waitcnt lgkmcnt(0)
	v_cmp_neq_f64_e32 vcc, 0, v[184:185]
	v_cmp_neq_f64_e64 s[2:3], 0, v[186:187]
	s_or_b64 s[2:3], vcc, s[2:3]
	s_and_b64 exec, exec, s[2:3]
	s_cbranch_execz .LBB81_260
; %bb.255:
	v_cmp_ngt_f64_e64 s[2:3], |v[184:185]|, |v[186:187]|
                                        ; implicit-def: $vgpr188_vgpr189
	s_and_saveexec_b64 s[10:11], s[2:3]
	s_xor_b64 s[2:3], exec, s[10:11]
                                        ; implicit-def: $vgpr190_vgpr191
	s_cbranch_execz .LBB81_257
; %bb.256:
	v_div_scale_f64 v[188:189], s[10:11], v[186:187], v[186:187], v[184:185]
	v_rcp_f64_e32 v[190:191], v[188:189]
	v_div_scale_f64 v[192:193], vcc, v[184:185], v[186:187], v[184:185]
	v_fma_f64 v[194:195], -v[188:189], v[190:191], 1.0
	v_fmac_f64_e32 v[190:191], v[190:191], v[194:195]
	v_fma_f64 v[194:195], -v[188:189], v[190:191], 1.0
	v_fmac_f64_e32 v[190:191], v[190:191], v[194:195]
	v_mul_f64 v[194:195], v[192:193], v[190:191]
	v_fma_f64 v[188:189], -v[188:189], v[194:195], v[192:193]
	v_div_fmas_f64 v[188:189], v[188:189], v[190:191], v[194:195]
	v_div_fixup_f64 v[188:189], v[188:189], v[186:187], v[184:185]
	v_fmac_f64_e32 v[186:187], v[184:185], v[188:189]
	v_div_scale_f64 v[184:185], s[10:11], v[186:187], v[186:187], 1.0
	v_rcp_f64_e32 v[190:191], v[184:185]
	s_nop 0
	v_fma_f64 v[192:193], -v[184:185], v[190:191], 1.0
	v_fmac_f64_e32 v[190:191], v[190:191], v[192:193]
	v_fma_f64 v[192:193], -v[184:185], v[190:191], 1.0
	v_fmac_f64_e32 v[190:191], v[190:191], v[192:193]
	v_div_scale_f64 v[192:193], vcc, 1.0, v[186:187], 1.0
	v_mul_f64 v[194:195], v[192:193], v[190:191]
	v_fma_f64 v[184:185], -v[184:185], v[194:195], v[192:193]
	s_nop 1
	v_div_fmas_f64 v[184:185], v[184:185], v[190:191], v[194:195]
	v_div_fixup_f64 v[190:191], v[184:185], v[186:187], 1.0
	v_mul_f64 v[188:189], v[188:189], v[190:191]
	v_xor_b32_e32 v191, 0x80000000, v191
                                        ; implicit-def: $vgpr184_vgpr185
.LBB81_257:
	s_andn2_saveexec_b64 s[2:3], s[2:3]
	s_cbranch_execz .LBB81_259
; %bb.258:
	v_div_scale_f64 v[188:189], s[10:11], v[184:185], v[184:185], v[186:187]
	v_rcp_f64_e32 v[190:191], v[188:189]
	v_div_scale_f64 v[192:193], vcc, v[186:187], v[184:185], v[186:187]
	v_fma_f64 v[194:195], -v[188:189], v[190:191], 1.0
	v_fmac_f64_e32 v[190:191], v[190:191], v[194:195]
	v_fma_f64 v[194:195], -v[188:189], v[190:191], 1.0
	v_fmac_f64_e32 v[190:191], v[190:191], v[194:195]
	v_mul_f64 v[194:195], v[192:193], v[190:191]
	v_fma_f64 v[188:189], -v[188:189], v[194:195], v[192:193]
	v_div_fmas_f64 v[188:189], v[188:189], v[190:191], v[194:195]
	v_div_fixup_f64 v[190:191], v[188:189], v[184:185], v[186:187]
	v_fmac_f64_e32 v[184:185], v[186:187], v[190:191]
	v_div_scale_f64 v[186:187], s[10:11], v[184:185], v[184:185], 1.0
	v_rcp_f64_e32 v[188:189], v[186:187]
	s_nop 0
	v_fma_f64 v[192:193], -v[186:187], v[188:189], 1.0
	v_fmac_f64_e32 v[188:189], v[188:189], v[192:193]
	v_fma_f64 v[192:193], -v[186:187], v[188:189], 1.0
	v_fmac_f64_e32 v[188:189], v[188:189], v[192:193]
	v_div_scale_f64 v[192:193], vcc, 1.0, v[184:185], 1.0
	v_mul_f64 v[194:195], v[192:193], v[188:189]
	v_fma_f64 v[186:187], -v[186:187], v[194:195], v[192:193]
	s_nop 1
	v_div_fmas_f64 v[186:187], v[186:187], v[188:189], v[194:195]
	v_div_fixup_f64 v[188:189], v[186:187], v[184:185], 1.0
	v_mul_f64 v[190:191], v[190:191], -v[188:189]
.LBB81_259:
	s_or_b64 exec, exec, s[2:3]
	ds_write2_b64 v237, v[188:189], v[190:191] offset1:1
.LBB81_260:
	s_or_b64 exec, exec, s[4:5]
	s_waitcnt lgkmcnt(0)
	s_barrier
	ds_read2_b64 v[184:187], v237 offset1:1
	v_cmp_lt_u32_e32 vcc, 28, v236
	s_and_saveexec_b64 s[2:3], vcc
	s_cbranch_execz .LBB81_262
; %bb.261:
	ds_read2_b64 v[190:193], v238 offset0:58 offset1:59
	s_waitcnt lgkmcnt(1)
	v_mul_f64 v[188:189], v[184:185], v[46:47]
	v_fmac_f64_e32 v[188:189], v[186:187], v[44:45]
	v_mul_f64 v[46:47], v[186:187], v[46:47]
	v_fma_f64 v[44:45], v[184:185], v[44:45], -v[46:47]
	s_waitcnt lgkmcnt(0)
	v_mul_f64 v[46:47], v[192:193], v[188:189]
	v_fma_f64 v[46:47], v[190:191], v[44:45], -v[46:47]
	v_mul_f64 v[190:191], v[190:191], v[188:189]
	v_fmac_f64_e32 v[190:191], v[192:193], v[44:45]
	s_waitcnt vmcnt(45)
	v_add_f64 v[42:43], v[42:43], -v[190:191]
	ds_read2_b64 v[190:193], v238 offset0:60 offset1:61
	v_add_f64 v[40:41], v[40:41], -v[46:47]
	s_waitcnt lgkmcnt(0)
	v_mul_f64 v[46:47], v[192:193], v[188:189]
	v_fma_f64 v[46:47], v[190:191], v[44:45], -v[46:47]
	v_mul_f64 v[190:191], v[190:191], v[188:189]
	v_fmac_f64_e32 v[190:191], v[192:193], v[44:45]
	s_waitcnt vmcnt(43)
	v_add_f64 v[38:39], v[38:39], -v[190:191]
	ds_read2_b64 v[190:193], v238 offset0:62 offset1:63
	v_add_f64 v[36:37], v[36:37], -v[46:47]
	;; [unrolled: 9-line block ×10, first 2 shown]
	s_waitcnt lgkmcnt(0)
	v_mul_f64 v[46:47], v[192:193], v[188:189]
	v_fma_f64 v[46:47], v[190:191], v[44:45], -v[46:47]
	v_mul_f64 v[190:191], v[190:191], v[188:189]
	v_fmac_f64_e32 v[190:191], v[192:193], v[44:45]
	v_add_f64 v[2:3], v[2:3], -v[190:191]
	ds_read2_b64 v[190:193], v238 offset0:80 offset1:81
	v_add_f64 v[0:1], v[0:1], -v[46:47]
	s_waitcnt lgkmcnt(0)
	v_mul_f64 v[46:47], v[192:193], v[188:189]
	v_fma_f64 v[46:47], v[190:191], v[44:45], -v[46:47]
	v_mul_f64 v[190:191], v[190:191], v[188:189]
	v_fmac_f64_e32 v[190:191], v[192:193], v[44:45]
	s_waitcnt vmcnt(34)
	v_add_f64 v[160:161], v[160:161], -v[46:47]
	v_add_f64 v[162:163], v[162:163], -v[190:191]
	v_mov_b64_e32 v[46:47], v[188:189]
.LBB81_262:
	s_or_b64 exec, exec, s[2:3]
	v_cmp_eq_u32_e32 vcc, 29, v236
	s_waitcnt lgkmcnt(0)
	s_barrier
	s_and_saveexec_b64 s[4:5], vcc
	s_cbranch_execz .LBB81_269
; %bb.263:
	s_waitcnt vmcnt(45)
	ds_write2_b64 v237, v[40:41], v[42:43] offset1:1
	s_waitcnt vmcnt(43)
	ds_write2_b64 v238, v[36:37], v[38:39] offset0:60 offset1:61
	s_waitcnt vmcnt(42)
	ds_write2_b64 v238, v[32:33], v[34:35] offset0:62 offset1:63
	;; [unrolled: 2-line block ×9, first 2 shown]
	ds_write2_b64 v238, v[0:1], v[2:3] offset0:78 offset1:79
	s_waitcnt vmcnt(34)
	ds_write2_b64 v238, v[160:161], v[162:163] offset0:80 offset1:81
	ds_read2_b64 v[188:191], v237 offset1:1
	s_waitcnt lgkmcnt(0)
	v_cmp_neq_f64_e32 vcc, 0, v[188:189]
	v_cmp_neq_f64_e64 s[2:3], 0, v[190:191]
	s_or_b64 s[2:3], vcc, s[2:3]
	s_and_b64 exec, exec, s[2:3]
	s_cbranch_execz .LBB81_269
; %bb.264:
	v_cmp_ngt_f64_e64 s[2:3], |v[188:189]|, |v[190:191]|
                                        ; implicit-def: $vgpr192_vgpr193
	s_and_saveexec_b64 s[10:11], s[2:3]
	s_xor_b64 s[2:3], exec, s[10:11]
                                        ; implicit-def: $vgpr194_vgpr195
	s_cbranch_execz .LBB81_266
; %bb.265:
	v_div_scale_f64 v[192:193], s[10:11], v[190:191], v[190:191], v[188:189]
	v_rcp_f64_e32 v[194:195], v[192:193]
	v_div_scale_f64 v[196:197], vcc, v[188:189], v[190:191], v[188:189]
	v_fma_f64 v[198:199], -v[192:193], v[194:195], 1.0
	v_fmac_f64_e32 v[194:195], v[194:195], v[198:199]
	v_fma_f64 v[198:199], -v[192:193], v[194:195], 1.0
	v_fmac_f64_e32 v[194:195], v[194:195], v[198:199]
	v_mul_f64 v[198:199], v[196:197], v[194:195]
	v_fma_f64 v[192:193], -v[192:193], v[198:199], v[196:197]
	v_div_fmas_f64 v[192:193], v[192:193], v[194:195], v[198:199]
	v_div_fixup_f64 v[192:193], v[192:193], v[190:191], v[188:189]
	v_fmac_f64_e32 v[190:191], v[188:189], v[192:193]
	v_div_scale_f64 v[188:189], s[10:11], v[190:191], v[190:191], 1.0
	v_rcp_f64_e32 v[194:195], v[188:189]
	s_nop 0
	v_fma_f64 v[196:197], -v[188:189], v[194:195], 1.0
	v_fmac_f64_e32 v[194:195], v[194:195], v[196:197]
	v_fma_f64 v[196:197], -v[188:189], v[194:195], 1.0
	v_fmac_f64_e32 v[194:195], v[194:195], v[196:197]
	v_div_scale_f64 v[196:197], vcc, 1.0, v[190:191], 1.0
	v_mul_f64 v[198:199], v[196:197], v[194:195]
	v_fma_f64 v[188:189], -v[188:189], v[198:199], v[196:197]
	s_nop 1
	v_div_fmas_f64 v[188:189], v[188:189], v[194:195], v[198:199]
	v_div_fixup_f64 v[194:195], v[188:189], v[190:191], 1.0
	v_mul_f64 v[192:193], v[192:193], v[194:195]
	v_xor_b32_e32 v195, 0x80000000, v195
                                        ; implicit-def: $vgpr188_vgpr189
.LBB81_266:
	s_andn2_saveexec_b64 s[2:3], s[2:3]
	s_cbranch_execz .LBB81_268
; %bb.267:
	v_div_scale_f64 v[192:193], s[10:11], v[188:189], v[188:189], v[190:191]
	v_rcp_f64_e32 v[194:195], v[192:193]
	v_div_scale_f64 v[196:197], vcc, v[190:191], v[188:189], v[190:191]
	v_fma_f64 v[198:199], -v[192:193], v[194:195], 1.0
	v_fmac_f64_e32 v[194:195], v[194:195], v[198:199]
	v_fma_f64 v[198:199], -v[192:193], v[194:195], 1.0
	v_fmac_f64_e32 v[194:195], v[194:195], v[198:199]
	v_mul_f64 v[198:199], v[196:197], v[194:195]
	v_fma_f64 v[192:193], -v[192:193], v[198:199], v[196:197]
	v_div_fmas_f64 v[192:193], v[192:193], v[194:195], v[198:199]
	v_div_fixup_f64 v[194:195], v[192:193], v[188:189], v[190:191]
	v_fmac_f64_e32 v[188:189], v[190:191], v[194:195]
	v_div_scale_f64 v[190:191], s[10:11], v[188:189], v[188:189], 1.0
	v_rcp_f64_e32 v[192:193], v[190:191]
	s_nop 0
	v_fma_f64 v[196:197], -v[190:191], v[192:193], 1.0
	v_fmac_f64_e32 v[192:193], v[192:193], v[196:197]
	v_fma_f64 v[196:197], -v[190:191], v[192:193], 1.0
	v_fmac_f64_e32 v[192:193], v[192:193], v[196:197]
	v_div_scale_f64 v[196:197], vcc, 1.0, v[188:189], 1.0
	v_mul_f64 v[198:199], v[196:197], v[192:193]
	v_fma_f64 v[190:191], -v[190:191], v[198:199], v[196:197]
	s_nop 1
	v_div_fmas_f64 v[190:191], v[190:191], v[192:193], v[198:199]
	v_div_fixup_f64 v[192:193], v[190:191], v[188:189], 1.0
	v_mul_f64 v[194:195], v[194:195], -v[192:193]
.LBB81_268:
	s_or_b64 exec, exec, s[2:3]
	ds_write2_b64 v237, v[192:193], v[194:195] offset1:1
.LBB81_269:
	s_or_b64 exec, exec, s[4:5]
	s_waitcnt lgkmcnt(0)
	s_barrier
	ds_read2_b64 v[188:191], v237 offset1:1
	v_cmp_lt_u32_e32 vcc, 29, v236
	s_and_saveexec_b64 s[2:3], vcc
	s_cbranch_execz .LBB81_271
; %bb.270:
	ds_read2_b64 v[194:197], v238 offset0:60 offset1:61
	s_waitcnt vmcnt(45) lgkmcnt(1)
	v_mul_f64 v[192:193], v[188:189], v[42:43]
	v_fmac_f64_e32 v[192:193], v[190:191], v[40:41]
	v_mul_f64 v[42:43], v[190:191], v[42:43]
	v_fma_f64 v[40:41], v[188:189], v[40:41], -v[42:43]
	s_waitcnt lgkmcnt(0)
	v_mul_f64 v[42:43], v[196:197], v[192:193]
	v_fma_f64 v[42:43], v[194:195], v[40:41], -v[42:43]
	v_mul_f64 v[194:195], v[194:195], v[192:193]
	v_fmac_f64_e32 v[194:195], v[196:197], v[40:41]
	s_waitcnt vmcnt(43)
	v_add_f64 v[38:39], v[38:39], -v[194:195]
	ds_read2_b64 v[194:197], v238 offset0:62 offset1:63
	v_add_f64 v[36:37], v[36:37], -v[42:43]
	s_waitcnt lgkmcnt(0)
	v_mul_f64 v[42:43], v[196:197], v[192:193]
	v_fma_f64 v[42:43], v[194:195], v[40:41], -v[42:43]
	v_mul_f64 v[194:195], v[194:195], v[192:193]
	v_fmac_f64_e32 v[194:195], v[196:197], v[40:41]
	s_waitcnt vmcnt(42)
	v_add_f64 v[34:35], v[34:35], -v[194:195]
	ds_read2_b64 v[194:197], v238 offset0:64 offset1:65
	v_add_f64 v[32:33], v[32:33], -v[42:43]
	;; [unrolled: 9-line block ×9, first 2 shown]
	s_waitcnt lgkmcnt(0)
	v_mul_f64 v[42:43], v[196:197], v[192:193]
	v_fma_f64 v[42:43], v[194:195], v[40:41], -v[42:43]
	v_mul_f64 v[194:195], v[194:195], v[192:193]
	v_fmac_f64_e32 v[194:195], v[196:197], v[40:41]
	v_add_f64 v[2:3], v[2:3], -v[194:195]
	ds_read2_b64 v[194:197], v238 offset0:80 offset1:81
	v_add_f64 v[0:1], v[0:1], -v[42:43]
	s_waitcnt lgkmcnt(0)
	v_mul_f64 v[42:43], v[196:197], v[192:193]
	v_fma_f64 v[42:43], v[194:195], v[40:41], -v[42:43]
	v_mul_f64 v[194:195], v[194:195], v[192:193]
	v_fmac_f64_e32 v[194:195], v[196:197], v[40:41]
	s_waitcnt vmcnt(34)
	v_add_f64 v[160:161], v[160:161], -v[42:43]
	v_add_f64 v[162:163], v[162:163], -v[194:195]
	v_mov_b64_e32 v[42:43], v[192:193]
.LBB81_271:
	s_or_b64 exec, exec, s[2:3]
	v_cmp_eq_u32_e32 vcc, 30, v236
	s_waitcnt lgkmcnt(0)
	s_barrier
	s_and_saveexec_b64 s[4:5], vcc
	s_cbranch_execz .LBB81_278
; %bb.272:
	s_waitcnt vmcnt(43)
	ds_write2_b64 v237, v[36:37], v[38:39] offset1:1
	s_waitcnt vmcnt(42)
	ds_write2_b64 v238, v[32:33], v[34:35] offset0:62 offset1:63
	s_waitcnt vmcnt(41)
	ds_write2_b64 v238, v[28:29], v[30:31] offset0:64 offset1:65
	s_waitcnt vmcnt(40)
	ds_write2_b64 v238, v[24:25], v[26:27] offset0:66 offset1:67
	s_waitcnt vmcnt(39)
	ds_write2_b64 v238, v[20:21], v[22:23] offset0:68 offset1:69
	s_waitcnt vmcnt(38)
	ds_write2_b64 v238, v[16:17], v[18:19] offset0:70 offset1:71
	s_waitcnt vmcnt(37)
	ds_write2_b64 v238, v[12:13], v[14:15] offset0:72 offset1:73
	s_waitcnt vmcnt(36)
	ds_write2_b64 v238, v[8:9], v[10:11] offset0:74 offset1:75
	s_waitcnt vmcnt(35)
	ds_write2_b64 v238, v[4:5], v[6:7] offset0:76 offset1:77
	ds_write2_b64 v238, v[0:1], v[2:3] offset0:78 offset1:79
	s_waitcnt vmcnt(34)
	ds_write2_b64 v238, v[160:161], v[162:163] offset0:80 offset1:81
	ds_read2_b64 v[192:195], v237 offset1:1
	s_waitcnt lgkmcnt(0)
	v_cmp_neq_f64_e32 vcc, 0, v[192:193]
	v_cmp_neq_f64_e64 s[2:3], 0, v[194:195]
	s_or_b64 s[2:3], vcc, s[2:3]
	s_and_b64 exec, exec, s[2:3]
	s_cbranch_execz .LBB81_278
; %bb.273:
	v_cmp_ngt_f64_e64 s[2:3], |v[192:193]|, |v[194:195]|
                                        ; implicit-def: $vgpr196_vgpr197
	s_and_saveexec_b64 s[10:11], s[2:3]
	s_xor_b64 s[2:3], exec, s[10:11]
                                        ; implicit-def: $vgpr198_vgpr199
	s_cbranch_execz .LBB81_275
; %bb.274:
	v_div_scale_f64 v[196:197], s[10:11], v[194:195], v[194:195], v[192:193]
	v_rcp_f64_e32 v[198:199], v[196:197]
	v_div_scale_f64 v[200:201], vcc, v[192:193], v[194:195], v[192:193]
	v_fma_f64 v[202:203], -v[196:197], v[198:199], 1.0
	v_fmac_f64_e32 v[198:199], v[198:199], v[202:203]
	v_fma_f64 v[202:203], -v[196:197], v[198:199], 1.0
	v_fmac_f64_e32 v[198:199], v[198:199], v[202:203]
	v_mul_f64 v[202:203], v[200:201], v[198:199]
	v_fma_f64 v[196:197], -v[196:197], v[202:203], v[200:201]
	v_div_fmas_f64 v[196:197], v[196:197], v[198:199], v[202:203]
	v_div_fixup_f64 v[196:197], v[196:197], v[194:195], v[192:193]
	v_fmac_f64_e32 v[194:195], v[192:193], v[196:197]
	v_div_scale_f64 v[192:193], s[10:11], v[194:195], v[194:195], 1.0
	v_rcp_f64_e32 v[198:199], v[192:193]
	s_nop 0
	v_fma_f64 v[200:201], -v[192:193], v[198:199], 1.0
	v_fmac_f64_e32 v[198:199], v[198:199], v[200:201]
	v_fma_f64 v[200:201], -v[192:193], v[198:199], 1.0
	v_fmac_f64_e32 v[198:199], v[198:199], v[200:201]
	v_div_scale_f64 v[200:201], vcc, 1.0, v[194:195], 1.0
	v_mul_f64 v[202:203], v[200:201], v[198:199]
	v_fma_f64 v[192:193], -v[192:193], v[202:203], v[200:201]
	s_nop 1
	v_div_fmas_f64 v[192:193], v[192:193], v[198:199], v[202:203]
	v_div_fixup_f64 v[198:199], v[192:193], v[194:195], 1.0
	v_mul_f64 v[196:197], v[196:197], v[198:199]
	v_xor_b32_e32 v199, 0x80000000, v199
                                        ; implicit-def: $vgpr192_vgpr193
.LBB81_275:
	s_andn2_saveexec_b64 s[2:3], s[2:3]
	s_cbranch_execz .LBB81_277
; %bb.276:
	v_div_scale_f64 v[196:197], s[10:11], v[192:193], v[192:193], v[194:195]
	v_rcp_f64_e32 v[198:199], v[196:197]
	v_div_scale_f64 v[200:201], vcc, v[194:195], v[192:193], v[194:195]
	v_fma_f64 v[202:203], -v[196:197], v[198:199], 1.0
	v_fmac_f64_e32 v[198:199], v[198:199], v[202:203]
	v_fma_f64 v[202:203], -v[196:197], v[198:199], 1.0
	v_fmac_f64_e32 v[198:199], v[198:199], v[202:203]
	v_mul_f64 v[202:203], v[200:201], v[198:199]
	v_fma_f64 v[196:197], -v[196:197], v[202:203], v[200:201]
	v_div_fmas_f64 v[196:197], v[196:197], v[198:199], v[202:203]
	v_div_fixup_f64 v[198:199], v[196:197], v[192:193], v[194:195]
	v_fmac_f64_e32 v[192:193], v[194:195], v[198:199]
	v_div_scale_f64 v[194:195], s[10:11], v[192:193], v[192:193], 1.0
	v_rcp_f64_e32 v[196:197], v[194:195]
	s_nop 0
	v_fma_f64 v[200:201], -v[194:195], v[196:197], 1.0
	v_fmac_f64_e32 v[196:197], v[196:197], v[200:201]
	v_fma_f64 v[200:201], -v[194:195], v[196:197], 1.0
	v_fmac_f64_e32 v[196:197], v[196:197], v[200:201]
	v_div_scale_f64 v[200:201], vcc, 1.0, v[192:193], 1.0
	v_mul_f64 v[202:203], v[200:201], v[196:197]
	v_fma_f64 v[194:195], -v[194:195], v[202:203], v[200:201]
	s_nop 1
	v_div_fmas_f64 v[194:195], v[194:195], v[196:197], v[202:203]
	v_div_fixup_f64 v[196:197], v[194:195], v[192:193], 1.0
	v_mul_f64 v[198:199], v[198:199], -v[196:197]
.LBB81_277:
	s_or_b64 exec, exec, s[2:3]
	ds_write2_b64 v237, v[196:197], v[198:199] offset1:1
.LBB81_278:
	s_or_b64 exec, exec, s[4:5]
	s_waitcnt lgkmcnt(0)
	s_barrier
	ds_read2_b64 v[156:159], v237 offset1:1
	v_cmp_lt_u32_e32 vcc, 30, v236
	s_and_saveexec_b64 s[2:3], vcc
	s_cbranch_execz .LBB81_280
; %bb.279:
	ds_read2_b64 v[198:201], v238 offset0:62 offset1:63
	s_waitcnt vmcnt(43) lgkmcnt(1)
	v_mul_f64 v[196:197], v[156:157], v[38:39]
	v_fmac_f64_e32 v[196:197], v[158:159], v[36:37]
	v_mul_f64 v[38:39], v[158:159], v[38:39]
	v_fma_f64 v[36:37], v[156:157], v[36:37], -v[38:39]
	s_waitcnt lgkmcnt(0)
	v_mul_f64 v[38:39], v[200:201], v[196:197]
	v_fma_f64 v[38:39], v[198:199], v[36:37], -v[38:39]
	v_mul_f64 v[198:199], v[198:199], v[196:197]
	v_fmac_f64_e32 v[198:199], v[200:201], v[36:37]
	s_waitcnt vmcnt(42)
	v_add_f64 v[34:35], v[34:35], -v[198:199]
	ds_read2_b64 v[198:201], v238 offset0:64 offset1:65
	v_add_f64 v[32:33], v[32:33], -v[38:39]
	s_waitcnt lgkmcnt(0)
	v_mul_f64 v[38:39], v[200:201], v[196:197]
	v_fma_f64 v[38:39], v[198:199], v[36:37], -v[38:39]
	v_mul_f64 v[198:199], v[198:199], v[196:197]
	v_fmac_f64_e32 v[198:199], v[200:201], v[36:37]
	s_waitcnt vmcnt(41)
	v_add_f64 v[30:31], v[30:31], -v[198:199]
	ds_read2_b64 v[198:201], v238 offset0:66 offset1:67
	v_add_f64 v[28:29], v[28:29], -v[38:39]
	;; [unrolled: 9-line block ×8, first 2 shown]
	s_waitcnt lgkmcnt(0)
	v_mul_f64 v[38:39], v[200:201], v[196:197]
	v_fma_f64 v[38:39], v[198:199], v[36:37], -v[38:39]
	v_mul_f64 v[198:199], v[198:199], v[196:197]
	v_fmac_f64_e32 v[198:199], v[200:201], v[36:37]
	v_add_f64 v[2:3], v[2:3], -v[198:199]
	ds_read2_b64 v[198:201], v238 offset0:80 offset1:81
	v_add_f64 v[0:1], v[0:1], -v[38:39]
	s_waitcnt lgkmcnt(0)
	v_mul_f64 v[38:39], v[200:201], v[196:197]
	v_fma_f64 v[38:39], v[198:199], v[36:37], -v[38:39]
	v_mul_f64 v[198:199], v[198:199], v[196:197]
	v_fmac_f64_e32 v[198:199], v[200:201], v[36:37]
	s_waitcnt vmcnt(34)
	v_add_f64 v[160:161], v[160:161], -v[38:39]
	v_add_f64 v[162:163], v[162:163], -v[198:199]
	v_mov_b64_e32 v[38:39], v[196:197]
.LBB81_280:
	s_or_b64 exec, exec, s[2:3]
	v_cmp_eq_u32_e32 vcc, 31, v236
	s_waitcnt lgkmcnt(0)
	s_barrier
	s_and_saveexec_b64 s[4:5], vcc
	s_cbranch_execz .LBB81_287
; %bb.281:
	s_waitcnt vmcnt(42)
	ds_write2_b64 v237, v[32:33], v[34:35] offset1:1
	s_waitcnt vmcnt(41)
	ds_write2_b64 v238, v[28:29], v[30:31] offset0:64 offset1:65
	s_waitcnt vmcnt(40)
	ds_write2_b64 v238, v[24:25], v[26:27] offset0:66 offset1:67
	;; [unrolled: 2-line block ×7, first 2 shown]
	ds_write2_b64 v238, v[0:1], v[2:3] offset0:78 offset1:79
	s_waitcnt vmcnt(34)
	ds_write2_b64 v238, v[160:161], v[162:163] offset0:80 offset1:81
	ds_read2_b64 v[196:199], v237 offset1:1
	s_waitcnt lgkmcnt(0)
	v_cmp_neq_f64_e32 vcc, 0, v[196:197]
	v_cmp_neq_f64_e64 s[2:3], 0, v[198:199]
	s_or_b64 s[2:3], vcc, s[2:3]
	s_and_b64 exec, exec, s[2:3]
	s_cbranch_execz .LBB81_287
; %bb.282:
	v_cmp_ngt_f64_e64 s[2:3], |v[196:197]|, |v[198:199]|
                                        ; implicit-def: $vgpr200_vgpr201
	s_and_saveexec_b64 s[10:11], s[2:3]
	s_xor_b64 s[2:3], exec, s[10:11]
                                        ; implicit-def: $vgpr202_vgpr203
	s_cbranch_execz .LBB81_284
; %bb.283:
	v_div_scale_f64 v[200:201], s[10:11], v[198:199], v[198:199], v[196:197]
	v_rcp_f64_e32 v[202:203], v[200:201]
	v_div_scale_f64 v[204:205], vcc, v[196:197], v[198:199], v[196:197]
	v_fma_f64 v[206:207], -v[200:201], v[202:203], 1.0
	v_fmac_f64_e32 v[202:203], v[202:203], v[206:207]
	v_fma_f64 v[206:207], -v[200:201], v[202:203], 1.0
	v_fmac_f64_e32 v[202:203], v[202:203], v[206:207]
	v_mul_f64 v[206:207], v[204:205], v[202:203]
	v_fma_f64 v[200:201], -v[200:201], v[206:207], v[204:205]
	v_div_fmas_f64 v[200:201], v[200:201], v[202:203], v[206:207]
	v_div_fixup_f64 v[200:201], v[200:201], v[198:199], v[196:197]
	v_fmac_f64_e32 v[198:199], v[196:197], v[200:201]
	v_div_scale_f64 v[196:197], s[10:11], v[198:199], v[198:199], 1.0
	v_rcp_f64_e32 v[202:203], v[196:197]
	s_nop 0
	v_fma_f64 v[204:205], -v[196:197], v[202:203], 1.0
	v_fmac_f64_e32 v[202:203], v[202:203], v[204:205]
	v_fma_f64 v[204:205], -v[196:197], v[202:203], 1.0
	v_fmac_f64_e32 v[202:203], v[202:203], v[204:205]
	v_div_scale_f64 v[204:205], vcc, 1.0, v[198:199], 1.0
	v_mul_f64 v[206:207], v[204:205], v[202:203]
	v_fma_f64 v[196:197], -v[196:197], v[206:207], v[204:205]
	s_nop 1
	v_div_fmas_f64 v[196:197], v[196:197], v[202:203], v[206:207]
	v_div_fixup_f64 v[202:203], v[196:197], v[198:199], 1.0
	v_mul_f64 v[200:201], v[200:201], v[202:203]
	v_xor_b32_e32 v203, 0x80000000, v203
                                        ; implicit-def: $vgpr196_vgpr197
.LBB81_284:
	s_andn2_saveexec_b64 s[2:3], s[2:3]
	s_cbranch_execz .LBB81_286
; %bb.285:
	v_div_scale_f64 v[200:201], s[10:11], v[196:197], v[196:197], v[198:199]
	v_rcp_f64_e32 v[202:203], v[200:201]
	v_div_scale_f64 v[204:205], vcc, v[198:199], v[196:197], v[198:199]
	v_fma_f64 v[206:207], -v[200:201], v[202:203], 1.0
	v_fmac_f64_e32 v[202:203], v[202:203], v[206:207]
	v_fma_f64 v[206:207], -v[200:201], v[202:203], 1.0
	v_fmac_f64_e32 v[202:203], v[202:203], v[206:207]
	v_mul_f64 v[206:207], v[204:205], v[202:203]
	v_fma_f64 v[200:201], -v[200:201], v[206:207], v[204:205]
	v_div_fmas_f64 v[200:201], v[200:201], v[202:203], v[206:207]
	v_div_fixup_f64 v[202:203], v[200:201], v[196:197], v[198:199]
	v_fmac_f64_e32 v[196:197], v[198:199], v[202:203]
	v_div_scale_f64 v[198:199], s[10:11], v[196:197], v[196:197], 1.0
	v_rcp_f64_e32 v[200:201], v[198:199]
	s_nop 0
	v_fma_f64 v[204:205], -v[198:199], v[200:201], 1.0
	v_fmac_f64_e32 v[200:201], v[200:201], v[204:205]
	v_fma_f64 v[204:205], -v[198:199], v[200:201], 1.0
	v_fmac_f64_e32 v[200:201], v[200:201], v[204:205]
	v_div_scale_f64 v[204:205], vcc, 1.0, v[196:197], 1.0
	v_mul_f64 v[206:207], v[204:205], v[200:201]
	v_fma_f64 v[198:199], -v[198:199], v[206:207], v[204:205]
	s_nop 1
	v_div_fmas_f64 v[198:199], v[198:199], v[200:201], v[206:207]
	v_div_fixup_f64 v[200:201], v[198:199], v[196:197], 1.0
	v_mul_f64 v[202:203], v[202:203], -v[200:201]
.LBB81_286:
	s_or_b64 exec, exec, s[2:3]
	ds_write2_b64 v237, v[200:201], v[202:203] offset1:1
.LBB81_287:
	s_or_b64 exec, exec, s[4:5]
	s_waitcnt lgkmcnt(0)
	s_barrier
	ds_read2_b64 v[194:197], v237 offset1:1
	v_cmp_lt_u32_e32 vcc, 31, v236
	s_and_saveexec_b64 s[2:3], vcc
	s_cbranch_execz .LBB81_289
; %bb.288:
	ds_read2_b64 v[202:205], v238 offset0:64 offset1:65
	s_waitcnt vmcnt(42) lgkmcnt(1)
	v_mul_f64 v[200:201], v[194:195], v[34:35]
	v_fmac_f64_e32 v[200:201], v[196:197], v[32:33]
	v_mul_f64 v[34:35], v[196:197], v[34:35]
	v_fma_f64 v[32:33], v[194:195], v[32:33], -v[34:35]
	s_waitcnt lgkmcnt(0)
	v_mul_f64 v[34:35], v[204:205], v[200:201]
	v_fma_f64 v[34:35], v[202:203], v[32:33], -v[34:35]
	v_mul_f64 v[202:203], v[202:203], v[200:201]
	v_fmac_f64_e32 v[202:203], v[204:205], v[32:33]
	s_waitcnt vmcnt(41)
	v_add_f64 v[30:31], v[30:31], -v[202:203]
	ds_read2_b64 v[202:205], v238 offset0:66 offset1:67
	v_add_f64 v[28:29], v[28:29], -v[34:35]
	s_waitcnt lgkmcnt(0)
	v_mul_f64 v[34:35], v[204:205], v[200:201]
	v_fma_f64 v[34:35], v[202:203], v[32:33], -v[34:35]
	v_mul_f64 v[202:203], v[202:203], v[200:201]
	v_fmac_f64_e32 v[202:203], v[204:205], v[32:33]
	s_waitcnt vmcnt(40)
	v_add_f64 v[26:27], v[26:27], -v[202:203]
	ds_read2_b64 v[202:205], v238 offset0:68 offset1:69
	v_add_f64 v[24:25], v[24:25], -v[34:35]
	;; [unrolled: 9-line block ×7, first 2 shown]
	s_waitcnt lgkmcnt(0)
	v_mul_f64 v[34:35], v[204:205], v[200:201]
	v_fma_f64 v[34:35], v[202:203], v[32:33], -v[34:35]
	v_mul_f64 v[202:203], v[202:203], v[200:201]
	v_fmac_f64_e32 v[202:203], v[204:205], v[32:33]
	v_add_f64 v[2:3], v[2:3], -v[202:203]
	ds_read2_b64 v[202:205], v238 offset0:80 offset1:81
	v_add_f64 v[0:1], v[0:1], -v[34:35]
	s_waitcnt lgkmcnt(0)
	v_mul_f64 v[34:35], v[204:205], v[200:201]
	v_fma_f64 v[34:35], v[202:203], v[32:33], -v[34:35]
	v_mul_f64 v[202:203], v[202:203], v[200:201]
	v_fmac_f64_e32 v[202:203], v[204:205], v[32:33]
	s_waitcnt vmcnt(34)
	v_add_f64 v[160:161], v[160:161], -v[34:35]
	v_add_f64 v[162:163], v[162:163], -v[202:203]
	v_mov_b64_e32 v[34:35], v[200:201]
.LBB81_289:
	s_or_b64 exec, exec, s[2:3]
	v_cmp_eq_u32_e32 vcc, 32, v236
	s_waitcnt lgkmcnt(0)
	s_barrier
	s_and_saveexec_b64 s[4:5], vcc
	s_cbranch_execz .LBB81_296
; %bb.290:
	s_waitcnt vmcnt(41)
	ds_write2_b64 v237, v[28:29], v[30:31] offset1:1
	s_waitcnt vmcnt(40)
	ds_write2_b64 v238, v[24:25], v[26:27] offset0:66 offset1:67
	s_waitcnt vmcnt(39)
	ds_write2_b64 v238, v[20:21], v[22:23] offset0:68 offset1:69
	;; [unrolled: 2-line block ×6, first 2 shown]
	ds_write2_b64 v238, v[0:1], v[2:3] offset0:78 offset1:79
	s_waitcnt vmcnt(34)
	ds_write2_b64 v238, v[160:161], v[162:163] offset0:80 offset1:81
	ds_read2_b64 v[200:203], v237 offset1:1
	s_waitcnt lgkmcnt(0)
	v_cmp_neq_f64_e32 vcc, 0, v[200:201]
	v_cmp_neq_f64_e64 s[2:3], 0, v[202:203]
	s_or_b64 s[2:3], vcc, s[2:3]
	s_and_b64 exec, exec, s[2:3]
	s_cbranch_execz .LBB81_296
; %bb.291:
	v_cmp_ngt_f64_e64 s[2:3], |v[200:201]|, |v[202:203]|
                                        ; implicit-def: $vgpr204_vgpr205
	s_and_saveexec_b64 s[10:11], s[2:3]
	s_xor_b64 s[2:3], exec, s[10:11]
                                        ; implicit-def: $vgpr206_vgpr207
	s_cbranch_execz .LBB81_293
; %bb.292:
	v_div_scale_f64 v[204:205], s[10:11], v[202:203], v[202:203], v[200:201]
	v_rcp_f64_e32 v[206:207], v[204:205]
	v_div_scale_f64 v[208:209], vcc, v[200:201], v[202:203], v[200:201]
	v_fma_f64 v[210:211], -v[204:205], v[206:207], 1.0
	v_fmac_f64_e32 v[206:207], v[206:207], v[210:211]
	v_fma_f64 v[210:211], -v[204:205], v[206:207], 1.0
	v_fmac_f64_e32 v[206:207], v[206:207], v[210:211]
	v_mul_f64 v[210:211], v[208:209], v[206:207]
	v_fma_f64 v[204:205], -v[204:205], v[210:211], v[208:209]
	v_div_fmas_f64 v[204:205], v[204:205], v[206:207], v[210:211]
	v_div_fixup_f64 v[204:205], v[204:205], v[202:203], v[200:201]
	v_fmac_f64_e32 v[202:203], v[200:201], v[204:205]
	v_div_scale_f64 v[200:201], s[10:11], v[202:203], v[202:203], 1.0
	v_rcp_f64_e32 v[206:207], v[200:201]
	s_nop 0
	v_fma_f64 v[208:209], -v[200:201], v[206:207], 1.0
	v_fmac_f64_e32 v[206:207], v[206:207], v[208:209]
	v_fma_f64 v[208:209], -v[200:201], v[206:207], 1.0
	v_fmac_f64_e32 v[206:207], v[206:207], v[208:209]
	v_div_scale_f64 v[208:209], vcc, 1.0, v[202:203], 1.0
	v_mul_f64 v[210:211], v[208:209], v[206:207]
	v_fma_f64 v[200:201], -v[200:201], v[210:211], v[208:209]
	s_nop 1
	v_div_fmas_f64 v[200:201], v[200:201], v[206:207], v[210:211]
	v_div_fixup_f64 v[206:207], v[200:201], v[202:203], 1.0
	v_mul_f64 v[204:205], v[204:205], v[206:207]
	v_xor_b32_e32 v207, 0x80000000, v207
                                        ; implicit-def: $vgpr200_vgpr201
.LBB81_293:
	s_andn2_saveexec_b64 s[2:3], s[2:3]
	s_cbranch_execz .LBB81_295
; %bb.294:
	v_div_scale_f64 v[204:205], s[10:11], v[200:201], v[200:201], v[202:203]
	v_rcp_f64_e32 v[206:207], v[204:205]
	v_div_scale_f64 v[208:209], vcc, v[202:203], v[200:201], v[202:203]
	v_fma_f64 v[210:211], -v[204:205], v[206:207], 1.0
	v_fmac_f64_e32 v[206:207], v[206:207], v[210:211]
	v_fma_f64 v[210:211], -v[204:205], v[206:207], 1.0
	v_fmac_f64_e32 v[206:207], v[206:207], v[210:211]
	v_mul_f64 v[210:211], v[208:209], v[206:207]
	v_fma_f64 v[204:205], -v[204:205], v[210:211], v[208:209]
	v_div_fmas_f64 v[204:205], v[204:205], v[206:207], v[210:211]
	v_div_fixup_f64 v[206:207], v[204:205], v[200:201], v[202:203]
	v_fmac_f64_e32 v[200:201], v[202:203], v[206:207]
	v_div_scale_f64 v[202:203], s[10:11], v[200:201], v[200:201], 1.0
	v_rcp_f64_e32 v[204:205], v[202:203]
	s_nop 0
	v_fma_f64 v[208:209], -v[202:203], v[204:205], 1.0
	v_fmac_f64_e32 v[204:205], v[204:205], v[208:209]
	v_fma_f64 v[208:209], -v[202:203], v[204:205], 1.0
	v_fmac_f64_e32 v[204:205], v[204:205], v[208:209]
	v_div_scale_f64 v[208:209], vcc, 1.0, v[200:201], 1.0
	v_mul_f64 v[210:211], v[208:209], v[204:205]
	v_fma_f64 v[202:203], -v[202:203], v[210:211], v[208:209]
	s_nop 1
	v_div_fmas_f64 v[202:203], v[202:203], v[204:205], v[210:211]
	v_div_fixup_f64 v[204:205], v[202:203], v[200:201], 1.0
	v_mul_f64 v[206:207], v[206:207], -v[204:205]
.LBB81_295:
	s_or_b64 exec, exec, s[2:3]
	ds_write2_b64 v237, v[204:205], v[206:207] offset1:1
.LBB81_296:
	s_or_b64 exec, exec, s[4:5]
	s_waitcnt lgkmcnt(0)
	s_barrier
	ds_read2_b64 v[200:203], v237 offset1:1
	v_cmp_lt_u32_e32 vcc, 32, v236
	s_and_saveexec_b64 s[2:3], vcc
	s_cbranch_execz .LBB81_298
; %bb.297:
	ds_read2_b64 v[206:209], v238 offset0:66 offset1:67
	s_waitcnt vmcnt(41) lgkmcnt(1)
	v_mul_f64 v[204:205], v[200:201], v[30:31]
	v_fmac_f64_e32 v[204:205], v[202:203], v[28:29]
	v_mul_f64 v[30:31], v[202:203], v[30:31]
	v_fma_f64 v[28:29], v[200:201], v[28:29], -v[30:31]
	s_waitcnt lgkmcnt(0)
	v_mul_f64 v[30:31], v[208:209], v[204:205]
	v_fma_f64 v[30:31], v[206:207], v[28:29], -v[30:31]
	v_mul_f64 v[206:207], v[206:207], v[204:205]
	v_fmac_f64_e32 v[206:207], v[208:209], v[28:29]
	s_waitcnt vmcnt(40)
	v_add_f64 v[26:27], v[26:27], -v[206:207]
	ds_read2_b64 v[206:209], v238 offset0:68 offset1:69
	v_add_f64 v[24:25], v[24:25], -v[30:31]
	s_waitcnt lgkmcnt(0)
	v_mul_f64 v[30:31], v[208:209], v[204:205]
	v_fma_f64 v[30:31], v[206:207], v[28:29], -v[30:31]
	v_mul_f64 v[206:207], v[206:207], v[204:205]
	v_fmac_f64_e32 v[206:207], v[208:209], v[28:29]
	s_waitcnt vmcnt(39)
	v_add_f64 v[22:23], v[22:23], -v[206:207]
	ds_read2_b64 v[206:209], v238 offset0:70 offset1:71
	v_add_f64 v[20:21], v[20:21], -v[30:31]
	;; [unrolled: 9-line block ×6, first 2 shown]
	s_waitcnt lgkmcnt(0)
	v_mul_f64 v[30:31], v[208:209], v[204:205]
	v_fma_f64 v[30:31], v[206:207], v[28:29], -v[30:31]
	v_mul_f64 v[206:207], v[206:207], v[204:205]
	v_fmac_f64_e32 v[206:207], v[208:209], v[28:29]
	v_add_f64 v[2:3], v[2:3], -v[206:207]
	ds_read2_b64 v[206:209], v238 offset0:80 offset1:81
	v_add_f64 v[0:1], v[0:1], -v[30:31]
	s_waitcnt lgkmcnt(0)
	v_mul_f64 v[30:31], v[208:209], v[204:205]
	v_fma_f64 v[30:31], v[206:207], v[28:29], -v[30:31]
	v_mul_f64 v[206:207], v[206:207], v[204:205]
	v_fmac_f64_e32 v[206:207], v[208:209], v[28:29]
	s_waitcnt vmcnt(34)
	v_add_f64 v[160:161], v[160:161], -v[30:31]
	v_add_f64 v[162:163], v[162:163], -v[206:207]
	v_mov_b64_e32 v[30:31], v[204:205]
.LBB81_298:
	s_or_b64 exec, exec, s[2:3]
	v_cmp_eq_u32_e32 vcc, 33, v236
	s_waitcnt lgkmcnt(0)
	s_barrier
	s_and_saveexec_b64 s[4:5], vcc
	s_cbranch_execz .LBB81_305
; %bb.299:
	s_waitcnt vmcnt(40)
	ds_write2_b64 v237, v[24:25], v[26:27] offset1:1
	s_waitcnt vmcnt(39)
	ds_write2_b64 v238, v[20:21], v[22:23] offset0:68 offset1:69
	s_waitcnt vmcnt(38)
	ds_write2_b64 v238, v[16:17], v[18:19] offset0:70 offset1:71
	;; [unrolled: 2-line block ×5, first 2 shown]
	ds_write2_b64 v238, v[0:1], v[2:3] offset0:78 offset1:79
	s_waitcnt vmcnt(34)
	ds_write2_b64 v238, v[160:161], v[162:163] offset0:80 offset1:81
	ds_read2_b64 v[204:207], v237 offset1:1
	s_waitcnt lgkmcnt(0)
	v_cmp_neq_f64_e32 vcc, 0, v[204:205]
	v_cmp_neq_f64_e64 s[2:3], 0, v[206:207]
	s_or_b64 s[2:3], vcc, s[2:3]
	s_and_b64 exec, exec, s[2:3]
	s_cbranch_execz .LBB81_305
; %bb.300:
	v_cmp_ngt_f64_e64 s[2:3], |v[204:205]|, |v[206:207]|
                                        ; implicit-def: $vgpr208_vgpr209
	s_and_saveexec_b64 s[10:11], s[2:3]
	s_xor_b64 s[2:3], exec, s[10:11]
                                        ; implicit-def: $vgpr210_vgpr211
	s_cbranch_execz .LBB81_302
; %bb.301:
	v_div_scale_f64 v[208:209], s[10:11], v[206:207], v[206:207], v[204:205]
	v_rcp_f64_e32 v[210:211], v[208:209]
	v_div_scale_f64 v[212:213], vcc, v[204:205], v[206:207], v[204:205]
	v_fma_f64 v[214:215], -v[208:209], v[210:211], 1.0
	v_fmac_f64_e32 v[210:211], v[210:211], v[214:215]
	v_fma_f64 v[214:215], -v[208:209], v[210:211], 1.0
	v_fmac_f64_e32 v[210:211], v[210:211], v[214:215]
	v_mul_f64 v[214:215], v[212:213], v[210:211]
	v_fma_f64 v[208:209], -v[208:209], v[214:215], v[212:213]
	v_div_fmas_f64 v[208:209], v[208:209], v[210:211], v[214:215]
	v_div_fixup_f64 v[208:209], v[208:209], v[206:207], v[204:205]
	v_fmac_f64_e32 v[206:207], v[204:205], v[208:209]
	v_div_scale_f64 v[204:205], s[10:11], v[206:207], v[206:207], 1.0
	v_rcp_f64_e32 v[210:211], v[204:205]
	s_nop 0
	v_fma_f64 v[212:213], -v[204:205], v[210:211], 1.0
	v_fmac_f64_e32 v[210:211], v[210:211], v[212:213]
	v_fma_f64 v[212:213], -v[204:205], v[210:211], 1.0
	v_fmac_f64_e32 v[210:211], v[210:211], v[212:213]
	v_div_scale_f64 v[212:213], vcc, 1.0, v[206:207], 1.0
	v_mul_f64 v[214:215], v[212:213], v[210:211]
	v_fma_f64 v[204:205], -v[204:205], v[214:215], v[212:213]
	s_nop 1
	v_div_fmas_f64 v[204:205], v[204:205], v[210:211], v[214:215]
	v_div_fixup_f64 v[210:211], v[204:205], v[206:207], 1.0
	v_mul_f64 v[208:209], v[208:209], v[210:211]
	v_xor_b32_e32 v211, 0x80000000, v211
                                        ; implicit-def: $vgpr204_vgpr205
.LBB81_302:
	s_andn2_saveexec_b64 s[2:3], s[2:3]
	s_cbranch_execz .LBB81_304
; %bb.303:
	v_div_scale_f64 v[208:209], s[10:11], v[204:205], v[204:205], v[206:207]
	v_rcp_f64_e32 v[210:211], v[208:209]
	v_div_scale_f64 v[212:213], vcc, v[206:207], v[204:205], v[206:207]
	v_fma_f64 v[214:215], -v[208:209], v[210:211], 1.0
	v_fmac_f64_e32 v[210:211], v[210:211], v[214:215]
	v_fma_f64 v[214:215], -v[208:209], v[210:211], 1.0
	v_fmac_f64_e32 v[210:211], v[210:211], v[214:215]
	v_mul_f64 v[214:215], v[212:213], v[210:211]
	v_fma_f64 v[208:209], -v[208:209], v[214:215], v[212:213]
	v_div_fmas_f64 v[208:209], v[208:209], v[210:211], v[214:215]
	v_div_fixup_f64 v[210:211], v[208:209], v[204:205], v[206:207]
	v_fmac_f64_e32 v[204:205], v[206:207], v[210:211]
	v_div_scale_f64 v[206:207], s[10:11], v[204:205], v[204:205], 1.0
	v_rcp_f64_e32 v[208:209], v[206:207]
	s_nop 0
	v_fma_f64 v[212:213], -v[206:207], v[208:209], 1.0
	v_fmac_f64_e32 v[208:209], v[208:209], v[212:213]
	v_fma_f64 v[212:213], -v[206:207], v[208:209], 1.0
	v_fmac_f64_e32 v[208:209], v[208:209], v[212:213]
	v_div_scale_f64 v[212:213], vcc, 1.0, v[204:205], 1.0
	v_mul_f64 v[214:215], v[212:213], v[208:209]
	v_fma_f64 v[206:207], -v[206:207], v[214:215], v[212:213]
	s_nop 1
	v_div_fmas_f64 v[206:207], v[206:207], v[208:209], v[214:215]
	v_div_fixup_f64 v[208:209], v[206:207], v[204:205], 1.0
	v_mul_f64 v[210:211], v[210:211], -v[208:209]
.LBB81_304:
	s_or_b64 exec, exec, s[2:3]
	ds_write2_b64 v237, v[208:209], v[210:211] offset1:1
.LBB81_305:
	s_or_b64 exec, exec, s[4:5]
	s_waitcnt lgkmcnt(0)
	s_barrier
	ds_read2_b64 v[204:207], v237 offset1:1
	v_cmp_lt_u32_e32 vcc, 33, v236
	s_and_saveexec_b64 s[2:3], vcc
	s_cbranch_execz .LBB81_307
; %bb.306:
	ds_read2_b64 v[210:213], v238 offset0:68 offset1:69
	s_waitcnt vmcnt(40) lgkmcnt(1)
	v_mul_f64 v[208:209], v[204:205], v[26:27]
	v_fmac_f64_e32 v[208:209], v[206:207], v[24:25]
	v_mul_f64 v[26:27], v[206:207], v[26:27]
	v_fma_f64 v[24:25], v[204:205], v[24:25], -v[26:27]
	s_waitcnt lgkmcnt(0)
	v_mul_f64 v[26:27], v[212:213], v[208:209]
	v_fma_f64 v[26:27], v[210:211], v[24:25], -v[26:27]
	v_mul_f64 v[210:211], v[210:211], v[208:209]
	v_fmac_f64_e32 v[210:211], v[212:213], v[24:25]
	s_waitcnt vmcnt(39)
	v_add_f64 v[22:23], v[22:23], -v[210:211]
	ds_read2_b64 v[210:213], v238 offset0:70 offset1:71
	v_add_f64 v[20:21], v[20:21], -v[26:27]
	s_waitcnt lgkmcnt(0)
	v_mul_f64 v[26:27], v[212:213], v[208:209]
	v_fma_f64 v[26:27], v[210:211], v[24:25], -v[26:27]
	v_mul_f64 v[210:211], v[210:211], v[208:209]
	v_fmac_f64_e32 v[210:211], v[212:213], v[24:25]
	s_waitcnt vmcnt(38)
	v_add_f64 v[18:19], v[18:19], -v[210:211]
	ds_read2_b64 v[210:213], v238 offset0:72 offset1:73
	v_add_f64 v[16:17], v[16:17], -v[26:27]
	;; [unrolled: 9-line block ×5, first 2 shown]
	s_waitcnt lgkmcnt(0)
	v_mul_f64 v[26:27], v[212:213], v[208:209]
	v_fma_f64 v[26:27], v[210:211], v[24:25], -v[26:27]
	v_mul_f64 v[210:211], v[210:211], v[208:209]
	v_fmac_f64_e32 v[210:211], v[212:213], v[24:25]
	v_add_f64 v[2:3], v[2:3], -v[210:211]
	ds_read2_b64 v[210:213], v238 offset0:80 offset1:81
	v_add_f64 v[0:1], v[0:1], -v[26:27]
	s_waitcnt lgkmcnt(0)
	v_mul_f64 v[26:27], v[212:213], v[208:209]
	v_fma_f64 v[26:27], v[210:211], v[24:25], -v[26:27]
	v_mul_f64 v[210:211], v[210:211], v[208:209]
	v_fmac_f64_e32 v[210:211], v[212:213], v[24:25]
	s_waitcnt vmcnt(34)
	v_add_f64 v[160:161], v[160:161], -v[26:27]
	v_add_f64 v[162:163], v[162:163], -v[210:211]
	v_mov_b64_e32 v[26:27], v[208:209]
.LBB81_307:
	s_or_b64 exec, exec, s[2:3]
	v_cmp_eq_u32_e32 vcc, 34, v236
	s_waitcnt lgkmcnt(0)
	s_barrier
	s_and_saveexec_b64 s[4:5], vcc
	s_cbranch_execz .LBB81_314
; %bb.308:
	s_waitcnt vmcnt(39)
	ds_write2_b64 v237, v[20:21], v[22:23] offset1:1
	s_waitcnt vmcnt(38)
	ds_write2_b64 v238, v[16:17], v[18:19] offset0:70 offset1:71
	s_waitcnt vmcnt(37)
	ds_write2_b64 v238, v[12:13], v[14:15] offset0:72 offset1:73
	;; [unrolled: 2-line block ×4, first 2 shown]
	ds_write2_b64 v238, v[0:1], v[2:3] offset0:78 offset1:79
	s_waitcnt vmcnt(34)
	ds_write2_b64 v238, v[160:161], v[162:163] offset0:80 offset1:81
	ds_read2_b64 v[208:211], v237 offset1:1
	s_waitcnt lgkmcnt(0)
	v_cmp_neq_f64_e32 vcc, 0, v[208:209]
	v_cmp_neq_f64_e64 s[2:3], 0, v[210:211]
	s_or_b64 s[2:3], vcc, s[2:3]
	s_and_b64 exec, exec, s[2:3]
	s_cbranch_execz .LBB81_314
; %bb.309:
	v_cmp_ngt_f64_e64 s[2:3], |v[208:209]|, |v[210:211]|
                                        ; implicit-def: $vgpr212_vgpr213
	s_and_saveexec_b64 s[10:11], s[2:3]
	s_xor_b64 s[2:3], exec, s[10:11]
                                        ; implicit-def: $vgpr214_vgpr215
	s_cbranch_execz .LBB81_311
; %bb.310:
	v_div_scale_f64 v[212:213], s[10:11], v[210:211], v[210:211], v[208:209]
	v_rcp_f64_e32 v[214:215], v[212:213]
	v_div_scale_f64 v[216:217], vcc, v[208:209], v[210:211], v[208:209]
	v_fma_f64 v[218:219], -v[212:213], v[214:215], 1.0
	v_fmac_f64_e32 v[214:215], v[214:215], v[218:219]
	v_fma_f64 v[218:219], -v[212:213], v[214:215], 1.0
	v_fmac_f64_e32 v[214:215], v[214:215], v[218:219]
	v_mul_f64 v[218:219], v[216:217], v[214:215]
	v_fma_f64 v[212:213], -v[212:213], v[218:219], v[216:217]
	v_div_fmas_f64 v[212:213], v[212:213], v[214:215], v[218:219]
	v_div_fixup_f64 v[212:213], v[212:213], v[210:211], v[208:209]
	v_fmac_f64_e32 v[210:211], v[208:209], v[212:213]
	v_div_scale_f64 v[208:209], s[10:11], v[210:211], v[210:211], 1.0
	v_rcp_f64_e32 v[214:215], v[208:209]
	s_nop 0
	v_fma_f64 v[216:217], -v[208:209], v[214:215], 1.0
	v_fmac_f64_e32 v[214:215], v[214:215], v[216:217]
	v_fma_f64 v[216:217], -v[208:209], v[214:215], 1.0
	v_fmac_f64_e32 v[214:215], v[214:215], v[216:217]
	v_div_scale_f64 v[216:217], vcc, 1.0, v[210:211], 1.0
	v_mul_f64 v[218:219], v[216:217], v[214:215]
	v_fma_f64 v[208:209], -v[208:209], v[218:219], v[216:217]
	s_nop 1
	v_div_fmas_f64 v[208:209], v[208:209], v[214:215], v[218:219]
	v_div_fixup_f64 v[214:215], v[208:209], v[210:211], 1.0
	v_mul_f64 v[212:213], v[212:213], v[214:215]
	v_xor_b32_e32 v215, 0x80000000, v215
                                        ; implicit-def: $vgpr208_vgpr209
.LBB81_311:
	s_andn2_saveexec_b64 s[2:3], s[2:3]
	s_cbranch_execz .LBB81_313
; %bb.312:
	v_div_scale_f64 v[212:213], s[10:11], v[208:209], v[208:209], v[210:211]
	v_rcp_f64_e32 v[214:215], v[212:213]
	v_div_scale_f64 v[216:217], vcc, v[210:211], v[208:209], v[210:211]
	v_fma_f64 v[218:219], -v[212:213], v[214:215], 1.0
	v_fmac_f64_e32 v[214:215], v[214:215], v[218:219]
	v_fma_f64 v[218:219], -v[212:213], v[214:215], 1.0
	v_fmac_f64_e32 v[214:215], v[214:215], v[218:219]
	v_mul_f64 v[218:219], v[216:217], v[214:215]
	v_fma_f64 v[212:213], -v[212:213], v[218:219], v[216:217]
	v_div_fmas_f64 v[212:213], v[212:213], v[214:215], v[218:219]
	v_div_fixup_f64 v[214:215], v[212:213], v[208:209], v[210:211]
	v_fmac_f64_e32 v[208:209], v[210:211], v[214:215]
	v_div_scale_f64 v[210:211], s[10:11], v[208:209], v[208:209], 1.0
	v_rcp_f64_e32 v[212:213], v[210:211]
	s_nop 0
	v_fma_f64 v[216:217], -v[210:211], v[212:213], 1.0
	v_fmac_f64_e32 v[212:213], v[212:213], v[216:217]
	v_fma_f64 v[216:217], -v[210:211], v[212:213], 1.0
	v_fmac_f64_e32 v[212:213], v[212:213], v[216:217]
	v_div_scale_f64 v[216:217], vcc, 1.0, v[208:209], 1.0
	v_mul_f64 v[218:219], v[216:217], v[212:213]
	v_fma_f64 v[210:211], -v[210:211], v[218:219], v[216:217]
	s_nop 1
	v_div_fmas_f64 v[210:211], v[210:211], v[212:213], v[218:219]
	v_div_fixup_f64 v[212:213], v[210:211], v[208:209], 1.0
	v_mul_f64 v[214:215], v[214:215], -v[212:213]
.LBB81_313:
	s_or_b64 exec, exec, s[2:3]
	ds_write2_b64 v237, v[212:213], v[214:215] offset1:1
.LBB81_314:
	s_or_b64 exec, exec, s[4:5]
	s_waitcnt lgkmcnt(0)
	s_barrier
	ds_read2_b64 v[208:211], v237 offset1:1
	v_cmp_lt_u32_e32 vcc, 34, v236
	s_and_saveexec_b64 s[2:3], vcc
	s_cbranch_execz .LBB81_316
; %bb.315:
	ds_read2_b64 v[212:215], v238 offset0:70 offset1:71
	s_waitcnt vmcnt(39) lgkmcnt(1)
	v_mul_f64 v[216:217], v[208:209], v[22:23]
	v_fmac_f64_e32 v[216:217], v[210:211], v[20:21]
	v_mul_f64 v[22:23], v[210:211], v[22:23]
	v_fma_f64 v[20:21], v[208:209], v[20:21], -v[22:23]
	s_waitcnt lgkmcnt(0)
	v_mul_f64 v[22:23], v[214:215], v[216:217]
	v_fma_f64 v[22:23], v[212:213], v[20:21], -v[22:23]
	v_mul_f64 v[212:213], v[212:213], v[216:217]
	v_fmac_f64_e32 v[212:213], v[214:215], v[20:21]
	s_waitcnt vmcnt(38)
	v_add_f64 v[18:19], v[18:19], -v[212:213]
	ds_read2_b64 v[212:215], v238 offset0:72 offset1:73
	v_add_f64 v[16:17], v[16:17], -v[22:23]
	s_waitcnt lgkmcnt(0)
	v_mul_f64 v[22:23], v[214:215], v[216:217]
	v_fma_f64 v[22:23], v[212:213], v[20:21], -v[22:23]
	v_mul_f64 v[212:213], v[212:213], v[216:217]
	v_fmac_f64_e32 v[212:213], v[214:215], v[20:21]
	s_waitcnt vmcnt(37)
	v_add_f64 v[14:15], v[14:15], -v[212:213]
	ds_read2_b64 v[212:215], v238 offset0:74 offset1:75
	v_add_f64 v[12:13], v[12:13], -v[22:23]
	;; [unrolled: 9-line block ×4, first 2 shown]
	s_waitcnt lgkmcnt(0)
	v_mul_f64 v[22:23], v[214:215], v[216:217]
	v_fma_f64 v[22:23], v[212:213], v[20:21], -v[22:23]
	v_mul_f64 v[212:213], v[212:213], v[216:217]
	v_fmac_f64_e32 v[212:213], v[214:215], v[20:21]
	v_add_f64 v[2:3], v[2:3], -v[212:213]
	ds_read2_b64 v[212:215], v238 offset0:80 offset1:81
	v_add_f64 v[0:1], v[0:1], -v[22:23]
	s_waitcnt lgkmcnt(0)
	v_mul_f64 v[22:23], v[214:215], v[216:217]
	v_fma_f64 v[22:23], v[212:213], v[20:21], -v[22:23]
	v_mul_f64 v[212:213], v[212:213], v[216:217]
	v_fmac_f64_e32 v[212:213], v[214:215], v[20:21]
	s_waitcnt vmcnt(34)
	v_add_f64 v[160:161], v[160:161], -v[22:23]
	v_add_f64 v[162:163], v[162:163], -v[212:213]
	v_mov_b64_e32 v[22:23], v[216:217]
.LBB81_316:
	s_or_b64 exec, exec, s[2:3]
	v_cmp_eq_u32_e32 vcc, 35, v236
	s_waitcnt lgkmcnt(0)
	s_barrier
	s_and_saveexec_b64 s[4:5], vcc
	s_cbranch_execz .LBB81_323
; %bb.317:
	s_waitcnt vmcnt(38)
	ds_write2_b64 v237, v[16:17], v[18:19] offset1:1
	s_waitcnt vmcnt(37)
	ds_write2_b64 v238, v[12:13], v[14:15] offset0:72 offset1:73
	s_waitcnt vmcnt(36)
	ds_write2_b64 v238, v[8:9], v[10:11] offset0:74 offset1:75
	;; [unrolled: 2-line block ×3, first 2 shown]
	ds_write2_b64 v238, v[0:1], v[2:3] offset0:78 offset1:79
	s_waitcnt vmcnt(34)
	ds_write2_b64 v238, v[160:161], v[162:163] offset0:80 offset1:81
	ds_read2_b64 v[212:215], v237 offset1:1
	s_waitcnt lgkmcnt(0)
	v_cmp_neq_f64_e32 vcc, 0, v[212:213]
	v_cmp_neq_f64_e64 s[2:3], 0, v[214:215]
	s_or_b64 s[2:3], vcc, s[2:3]
	s_and_b64 exec, exec, s[2:3]
	s_cbranch_execz .LBB81_323
; %bb.318:
	v_cmp_ngt_f64_e64 s[2:3], |v[212:213]|, |v[214:215]|
                                        ; implicit-def: $vgpr216_vgpr217
	s_and_saveexec_b64 s[10:11], s[2:3]
	s_xor_b64 s[2:3], exec, s[10:11]
                                        ; implicit-def: $vgpr218_vgpr219
	s_cbranch_execz .LBB81_320
; %bb.319:
	v_div_scale_f64 v[216:217], s[10:11], v[214:215], v[214:215], v[212:213]
	v_rcp_f64_e32 v[218:219], v[216:217]
	v_div_scale_f64 v[220:221], vcc, v[212:213], v[214:215], v[212:213]
	v_fma_f64 v[222:223], -v[216:217], v[218:219], 1.0
	v_fmac_f64_e32 v[218:219], v[218:219], v[222:223]
	v_fma_f64 v[222:223], -v[216:217], v[218:219], 1.0
	v_fmac_f64_e32 v[218:219], v[218:219], v[222:223]
	v_mul_f64 v[222:223], v[220:221], v[218:219]
	v_fma_f64 v[216:217], -v[216:217], v[222:223], v[220:221]
	v_div_fmas_f64 v[216:217], v[216:217], v[218:219], v[222:223]
	v_div_fixup_f64 v[216:217], v[216:217], v[214:215], v[212:213]
	v_fmac_f64_e32 v[214:215], v[212:213], v[216:217]
	v_div_scale_f64 v[212:213], s[10:11], v[214:215], v[214:215], 1.0
	v_rcp_f64_e32 v[218:219], v[212:213]
	s_nop 0
	v_fma_f64 v[220:221], -v[212:213], v[218:219], 1.0
	v_fmac_f64_e32 v[218:219], v[218:219], v[220:221]
	v_fma_f64 v[220:221], -v[212:213], v[218:219], 1.0
	v_fmac_f64_e32 v[218:219], v[218:219], v[220:221]
	v_div_scale_f64 v[220:221], vcc, 1.0, v[214:215], 1.0
	v_mul_f64 v[222:223], v[220:221], v[218:219]
	v_fma_f64 v[212:213], -v[212:213], v[222:223], v[220:221]
	s_nop 1
	v_div_fmas_f64 v[212:213], v[212:213], v[218:219], v[222:223]
	v_div_fixup_f64 v[218:219], v[212:213], v[214:215], 1.0
	v_mul_f64 v[216:217], v[216:217], v[218:219]
	v_xor_b32_e32 v219, 0x80000000, v219
                                        ; implicit-def: $vgpr212_vgpr213
.LBB81_320:
	s_andn2_saveexec_b64 s[2:3], s[2:3]
	s_cbranch_execz .LBB81_322
; %bb.321:
	v_div_scale_f64 v[216:217], s[10:11], v[212:213], v[212:213], v[214:215]
	v_rcp_f64_e32 v[218:219], v[216:217]
	v_div_scale_f64 v[220:221], vcc, v[214:215], v[212:213], v[214:215]
	v_fma_f64 v[222:223], -v[216:217], v[218:219], 1.0
	v_fmac_f64_e32 v[218:219], v[218:219], v[222:223]
	v_fma_f64 v[222:223], -v[216:217], v[218:219], 1.0
	v_fmac_f64_e32 v[218:219], v[218:219], v[222:223]
	v_mul_f64 v[222:223], v[220:221], v[218:219]
	v_fma_f64 v[216:217], -v[216:217], v[222:223], v[220:221]
	v_div_fmas_f64 v[216:217], v[216:217], v[218:219], v[222:223]
	v_div_fixup_f64 v[218:219], v[216:217], v[212:213], v[214:215]
	v_fmac_f64_e32 v[212:213], v[214:215], v[218:219]
	v_div_scale_f64 v[214:215], s[10:11], v[212:213], v[212:213], 1.0
	v_rcp_f64_e32 v[216:217], v[214:215]
	s_nop 0
	v_fma_f64 v[220:221], -v[214:215], v[216:217], 1.0
	v_fmac_f64_e32 v[216:217], v[216:217], v[220:221]
	v_fma_f64 v[220:221], -v[214:215], v[216:217], 1.0
	v_fmac_f64_e32 v[216:217], v[216:217], v[220:221]
	v_div_scale_f64 v[220:221], vcc, 1.0, v[212:213], 1.0
	v_mul_f64 v[222:223], v[220:221], v[216:217]
	v_fma_f64 v[214:215], -v[214:215], v[222:223], v[220:221]
	s_nop 1
	v_div_fmas_f64 v[214:215], v[214:215], v[216:217], v[222:223]
	v_div_fixup_f64 v[216:217], v[214:215], v[212:213], 1.0
	v_mul_f64 v[218:219], v[218:219], -v[216:217]
.LBB81_322:
	s_or_b64 exec, exec, s[2:3]
	ds_write2_b64 v237, v[216:217], v[218:219] offset1:1
.LBB81_323:
	s_or_b64 exec, exec, s[4:5]
	s_waitcnt lgkmcnt(0)
	s_barrier
	ds_read2_b64 v[212:215], v237 offset1:1
	v_cmp_lt_u32_e32 vcc, 35, v236
	s_and_saveexec_b64 s[2:3], vcc
	s_cbranch_execz .LBB81_325
; %bb.324:
	ds_read2_b64 v[216:219], v238 offset0:72 offset1:73
	s_waitcnt vmcnt(38) lgkmcnt(1)
	v_mul_f64 v[220:221], v[212:213], v[18:19]
	v_fmac_f64_e32 v[220:221], v[214:215], v[16:17]
	v_mul_f64 v[18:19], v[214:215], v[18:19]
	v_fma_f64 v[16:17], v[212:213], v[16:17], -v[18:19]
	s_waitcnt lgkmcnt(0)
	v_mul_f64 v[18:19], v[218:219], v[220:221]
	v_fma_f64 v[18:19], v[216:217], v[16:17], -v[18:19]
	v_mul_f64 v[216:217], v[216:217], v[220:221]
	v_fmac_f64_e32 v[216:217], v[218:219], v[16:17]
	s_waitcnt vmcnt(37)
	v_add_f64 v[14:15], v[14:15], -v[216:217]
	ds_read2_b64 v[216:219], v238 offset0:74 offset1:75
	v_add_f64 v[12:13], v[12:13], -v[18:19]
	s_waitcnt lgkmcnt(0)
	v_mul_f64 v[18:19], v[218:219], v[220:221]
	v_fma_f64 v[18:19], v[216:217], v[16:17], -v[18:19]
	v_mul_f64 v[216:217], v[216:217], v[220:221]
	v_fmac_f64_e32 v[216:217], v[218:219], v[16:17]
	s_waitcnt vmcnt(36)
	v_add_f64 v[10:11], v[10:11], -v[216:217]
	ds_read2_b64 v[216:219], v238 offset0:76 offset1:77
	v_add_f64 v[8:9], v[8:9], -v[18:19]
	;; [unrolled: 9-line block ×3, first 2 shown]
	s_waitcnt lgkmcnt(0)
	v_mul_f64 v[18:19], v[218:219], v[220:221]
	v_fma_f64 v[18:19], v[216:217], v[16:17], -v[18:19]
	v_mul_f64 v[216:217], v[216:217], v[220:221]
	v_fmac_f64_e32 v[216:217], v[218:219], v[16:17]
	v_add_f64 v[2:3], v[2:3], -v[216:217]
	ds_read2_b64 v[216:219], v238 offset0:80 offset1:81
	v_add_f64 v[0:1], v[0:1], -v[18:19]
	s_waitcnt lgkmcnt(0)
	v_mul_f64 v[18:19], v[218:219], v[220:221]
	v_fma_f64 v[18:19], v[216:217], v[16:17], -v[18:19]
	v_mul_f64 v[216:217], v[216:217], v[220:221]
	v_fmac_f64_e32 v[216:217], v[218:219], v[16:17]
	s_waitcnt vmcnt(34)
	v_add_f64 v[160:161], v[160:161], -v[18:19]
	v_add_f64 v[162:163], v[162:163], -v[216:217]
	v_mov_b64_e32 v[18:19], v[220:221]
.LBB81_325:
	s_or_b64 exec, exec, s[2:3]
	v_cmp_eq_u32_e32 vcc, 36, v236
	s_waitcnt lgkmcnt(0)
	s_barrier
	s_and_saveexec_b64 s[4:5], vcc
	s_cbranch_execz .LBB81_332
; %bb.326:
	s_waitcnt vmcnt(37)
	ds_write2_b64 v237, v[12:13], v[14:15] offset1:1
	s_waitcnt vmcnt(36)
	ds_write2_b64 v238, v[8:9], v[10:11] offset0:74 offset1:75
	s_waitcnt vmcnt(35)
	ds_write2_b64 v238, v[4:5], v[6:7] offset0:76 offset1:77
	ds_write2_b64 v238, v[0:1], v[2:3] offset0:78 offset1:79
	s_waitcnt vmcnt(34)
	ds_write2_b64 v238, v[160:161], v[162:163] offset0:80 offset1:81
	ds_read2_b64 v[216:219], v237 offset1:1
	s_waitcnt lgkmcnt(0)
	v_cmp_neq_f64_e32 vcc, 0, v[216:217]
	v_cmp_neq_f64_e64 s[2:3], 0, v[218:219]
	s_or_b64 s[2:3], vcc, s[2:3]
	s_and_b64 exec, exec, s[2:3]
	s_cbranch_execz .LBB81_332
; %bb.327:
	v_cmp_ngt_f64_e64 s[2:3], |v[216:217]|, |v[218:219]|
                                        ; implicit-def: $vgpr220_vgpr221
	s_and_saveexec_b64 s[10:11], s[2:3]
	s_xor_b64 s[2:3], exec, s[10:11]
                                        ; implicit-def: $vgpr222_vgpr223
	s_cbranch_execz .LBB81_329
; %bb.328:
	v_div_scale_f64 v[220:221], s[10:11], v[218:219], v[218:219], v[216:217]
	v_rcp_f64_e32 v[222:223], v[220:221]
	v_div_scale_f64 v[224:225], vcc, v[216:217], v[218:219], v[216:217]
	v_fma_f64 v[226:227], -v[220:221], v[222:223], 1.0
	v_fmac_f64_e32 v[222:223], v[222:223], v[226:227]
	v_fma_f64 v[226:227], -v[220:221], v[222:223], 1.0
	v_fmac_f64_e32 v[222:223], v[222:223], v[226:227]
	v_mul_f64 v[226:227], v[224:225], v[222:223]
	v_fma_f64 v[220:221], -v[220:221], v[226:227], v[224:225]
	v_div_fmas_f64 v[220:221], v[220:221], v[222:223], v[226:227]
	v_div_fixup_f64 v[220:221], v[220:221], v[218:219], v[216:217]
	v_fmac_f64_e32 v[218:219], v[216:217], v[220:221]
	v_div_scale_f64 v[216:217], s[10:11], v[218:219], v[218:219], 1.0
	v_rcp_f64_e32 v[222:223], v[216:217]
	s_nop 0
	v_fma_f64 v[224:225], -v[216:217], v[222:223], 1.0
	v_fmac_f64_e32 v[222:223], v[222:223], v[224:225]
	v_fma_f64 v[224:225], -v[216:217], v[222:223], 1.0
	v_fmac_f64_e32 v[222:223], v[222:223], v[224:225]
	v_div_scale_f64 v[224:225], vcc, 1.0, v[218:219], 1.0
	v_mul_f64 v[226:227], v[224:225], v[222:223]
	v_fma_f64 v[216:217], -v[216:217], v[226:227], v[224:225]
	s_nop 1
	v_div_fmas_f64 v[216:217], v[216:217], v[222:223], v[226:227]
	v_div_fixup_f64 v[222:223], v[216:217], v[218:219], 1.0
	v_mul_f64 v[220:221], v[220:221], v[222:223]
	v_xor_b32_e32 v223, 0x80000000, v223
                                        ; implicit-def: $vgpr216_vgpr217
.LBB81_329:
	s_andn2_saveexec_b64 s[2:3], s[2:3]
	s_cbranch_execz .LBB81_331
; %bb.330:
	v_div_scale_f64 v[220:221], s[10:11], v[216:217], v[216:217], v[218:219]
	v_rcp_f64_e32 v[222:223], v[220:221]
	v_div_scale_f64 v[224:225], vcc, v[218:219], v[216:217], v[218:219]
	v_fma_f64 v[226:227], -v[220:221], v[222:223], 1.0
	v_fmac_f64_e32 v[222:223], v[222:223], v[226:227]
	v_fma_f64 v[226:227], -v[220:221], v[222:223], 1.0
	v_fmac_f64_e32 v[222:223], v[222:223], v[226:227]
	v_mul_f64 v[226:227], v[224:225], v[222:223]
	v_fma_f64 v[220:221], -v[220:221], v[226:227], v[224:225]
	v_div_fmas_f64 v[220:221], v[220:221], v[222:223], v[226:227]
	v_div_fixup_f64 v[222:223], v[220:221], v[216:217], v[218:219]
	v_fmac_f64_e32 v[216:217], v[218:219], v[222:223]
	v_div_scale_f64 v[218:219], s[10:11], v[216:217], v[216:217], 1.0
	v_rcp_f64_e32 v[220:221], v[218:219]
	s_nop 0
	v_fma_f64 v[224:225], -v[218:219], v[220:221], 1.0
	v_fmac_f64_e32 v[220:221], v[220:221], v[224:225]
	v_fma_f64 v[224:225], -v[218:219], v[220:221], 1.0
	v_fmac_f64_e32 v[220:221], v[220:221], v[224:225]
	v_div_scale_f64 v[224:225], vcc, 1.0, v[216:217], 1.0
	v_mul_f64 v[226:227], v[224:225], v[220:221]
	v_fma_f64 v[218:219], -v[218:219], v[226:227], v[224:225]
	s_nop 1
	v_div_fmas_f64 v[218:219], v[218:219], v[220:221], v[226:227]
	v_div_fixup_f64 v[220:221], v[218:219], v[216:217], 1.0
	v_mul_f64 v[222:223], v[222:223], -v[220:221]
.LBB81_331:
	s_or_b64 exec, exec, s[2:3]
	ds_write2_b64 v237, v[220:221], v[222:223] offset1:1
.LBB81_332:
	s_or_b64 exec, exec, s[4:5]
	s_waitcnt lgkmcnt(0)
	s_barrier
	ds_read2_b64 v[216:219], v237 offset1:1
	v_cmp_lt_u32_e32 vcc, 36, v236
	s_and_saveexec_b64 s[2:3], vcc
	s_cbranch_execz .LBB81_334
; %bb.333:
	ds_read2_b64 v[220:223], v238 offset0:74 offset1:75
	s_waitcnt vmcnt(37) lgkmcnt(1)
	v_mul_f64 v[224:225], v[216:217], v[14:15]
	v_fmac_f64_e32 v[224:225], v[218:219], v[12:13]
	v_mul_f64 v[14:15], v[218:219], v[14:15]
	v_fma_f64 v[12:13], v[216:217], v[12:13], -v[14:15]
	s_waitcnt lgkmcnt(0)
	v_mul_f64 v[14:15], v[222:223], v[224:225]
	v_fma_f64 v[14:15], v[220:221], v[12:13], -v[14:15]
	v_mul_f64 v[220:221], v[220:221], v[224:225]
	v_fmac_f64_e32 v[220:221], v[222:223], v[12:13]
	s_waitcnt vmcnt(36)
	v_add_f64 v[10:11], v[10:11], -v[220:221]
	ds_read2_b64 v[220:223], v238 offset0:76 offset1:77
	v_add_f64 v[8:9], v[8:9], -v[14:15]
	s_waitcnt lgkmcnt(0)
	v_mul_f64 v[14:15], v[222:223], v[224:225]
	v_fma_f64 v[14:15], v[220:221], v[12:13], -v[14:15]
	v_mul_f64 v[220:221], v[220:221], v[224:225]
	v_fmac_f64_e32 v[220:221], v[222:223], v[12:13]
	s_waitcnt vmcnt(35)
	v_add_f64 v[6:7], v[6:7], -v[220:221]
	ds_read2_b64 v[220:223], v238 offset0:78 offset1:79
	v_add_f64 v[4:5], v[4:5], -v[14:15]
	s_waitcnt lgkmcnt(0)
	v_mul_f64 v[14:15], v[222:223], v[224:225]
	v_fma_f64 v[14:15], v[220:221], v[12:13], -v[14:15]
	v_mul_f64 v[220:221], v[220:221], v[224:225]
	v_fmac_f64_e32 v[220:221], v[222:223], v[12:13]
	v_add_f64 v[2:3], v[2:3], -v[220:221]
	ds_read2_b64 v[220:223], v238 offset0:80 offset1:81
	v_add_f64 v[0:1], v[0:1], -v[14:15]
	s_waitcnt lgkmcnt(0)
	v_mul_f64 v[14:15], v[222:223], v[224:225]
	v_fma_f64 v[14:15], v[220:221], v[12:13], -v[14:15]
	v_mul_f64 v[220:221], v[220:221], v[224:225]
	v_fmac_f64_e32 v[220:221], v[222:223], v[12:13]
	s_waitcnt vmcnt(34)
	v_add_f64 v[160:161], v[160:161], -v[14:15]
	v_add_f64 v[162:163], v[162:163], -v[220:221]
	v_mov_b64_e32 v[14:15], v[224:225]
.LBB81_334:
	s_or_b64 exec, exec, s[2:3]
	v_cmp_eq_u32_e32 vcc, 37, v236
	s_waitcnt lgkmcnt(0)
	s_barrier
	s_and_saveexec_b64 s[4:5], vcc
	s_cbranch_execz .LBB81_341
; %bb.335:
	s_waitcnt vmcnt(36)
	ds_write2_b64 v237, v[8:9], v[10:11] offset1:1
	s_waitcnt vmcnt(35)
	ds_write2_b64 v238, v[4:5], v[6:7] offset0:76 offset1:77
	ds_write2_b64 v238, v[0:1], v[2:3] offset0:78 offset1:79
	s_waitcnt vmcnt(34)
	ds_write2_b64 v238, v[160:161], v[162:163] offset0:80 offset1:81
	ds_read2_b64 v[220:223], v237 offset1:1
	s_waitcnt lgkmcnt(0)
	v_cmp_neq_f64_e32 vcc, 0, v[220:221]
	v_cmp_neq_f64_e64 s[2:3], 0, v[222:223]
	s_or_b64 s[2:3], vcc, s[2:3]
	s_and_b64 exec, exec, s[2:3]
	s_cbranch_execz .LBB81_341
; %bb.336:
	v_cmp_ngt_f64_e64 s[2:3], |v[220:221]|, |v[222:223]|
                                        ; implicit-def: $vgpr224_vgpr225
	s_and_saveexec_b64 s[10:11], s[2:3]
	s_xor_b64 s[2:3], exec, s[10:11]
                                        ; implicit-def: $vgpr226_vgpr227
	s_cbranch_execz .LBB81_338
; %bb.337:
	v_div_scale_f64 v[224:225], s[10:11], v[222:223], v[222:223], v[220:221]
	v_rcp_f64_e32 v[226:227], v[224:225]
	v_div_scale_f64 v[228:229], vcc, v[220:221], v[222:223], v[220:221]
	v_fma_f64 v[230:231], -v[224:225], v[226:227], 1.0
	v_fmac_f64_e32 v[226:227], v[226:227], v[230:231]
	v_fma_f64 v[230:231], -v[224:225], v[226:227], 1.0
	v_fmac_f64_e32 v[226:227], v[226:227], v[230:231]
	v_mul_f64 v[230:231], v[228:229], v[226:227]
	v_fma_f64 v[224:225], -v[224:225], v[230:231], v[228:229]
	v_div_fmas_f64 v[224:225], v[224:225], v[226:227], v[230:231]
	v_div_fixup_f64 v[224:225], v[224:225], v[222:223], v[220:221]
	v_fmac_f64_e32 v[222:223], v[220:221], v[224:225]
	v_div_scale_f64 v[220:221], s[10:11], v[222:223], v[222:223], 1.0
	v_rcp_f64_e32 v[226:227], v[220:221]
	s_nop 0
	v_fma_f64 v[228:229], -v[220:221], v[226:227], 1.0
	v_fmac_f64_e32 v[226:227], v[226:227], v[228:229]
	v_fma_f64 v[228:229], -v[220:221], v[226:227], 1.0
	v_fmac_f64_e32 v[226:227], v[226:227], v[228:229]
	v_div_scale_f64 v[228:229], vcc, 1.0, v[222:223], 1.0
	v_mul_f64 v[230:231], v[228:229], v[226:227]
	v_fma_f64 v[220:221], -v[220:221], v[230:231], v[228:229]
	s_nop 1
	v_div_fmas_f64 v[220:221], v[220:221], v[226:227], v[230:231]
	v_div_fixup_f64 v[226:227], v[220:221], v[222:223], 1.0
	v_mul_f64 v[224:225], v[224:225], v[226:227]
	v_xor_b32_e32 v227, 0x80000000, v227
                                        ; implicit-def: $vgpr220_vgpr221
.LBB81_338:
	s_andn2_saveexec_b64 s[2:3], s[2:3]
	s_cbranch_execz .LBB81_340
; %bb.339:
	v_div_scale_f64 v[224:225], s[10:11], v[220:221], v[220:221], v[222:223]
	v_rcp_f64_e32 v[226:227], v[224:225]
	v_div_scale_f64 v[228:229], vcc, v[222:223], v[220:221], v[222:223]
	v_fma_f64 v[230:231], -v[224:225], v[226:227], 1.0
	v_fmac_f64_e32 v[226:227], v[226:227], v[230:231]
	v_fma_f64 v[230:231], -v[224:225], v[226:227], 1.0
	v_fmac_f64_e32 v[226:227], v[226:227], v[230:231]
	v_mul_f64 v[230:231], v[228:229], v[226:227]
	v_fma_f64 v[224:225], -v[224:225], v[230:231], v[228:229]
	v_div_fmas_f64 v[224:225], v[224:225], v[226:227], v[230:231]
	v_div_fixup_f64 v[226:227], v[224:225], v[220:221], v[222:223]
	v_fmac_f64_e32 v[220:221], v[222:223], v[226:227]
	v_div_scale_f64 v[222:223], s[10:11], v[220:221], v[220:221], 1.0
	v_rcp_f64_e32 v[224:225], v[222:223]
	s_nop 0
	v_fma_f64 v[228:229], -v[222:223], v[224:225], 1.0
	v_fmac_f64_e32 v[224:225], v[224:225], v[228:229]
	v_fma_f64 v[228:229], -v[222:223], v[224:225], 1.0
	v_fmac_f64_e32 v[224:225], v[224:225], v[228:229]
	v_div_scale_f64 v[228:229], vcc, 1.0, v[220:221], 1.0
	v_mul_f64 v[230:231], v[228:229], v[224:225]
	v_fma_f64 v[222:223], -v[222:223], v[230:231], v[228:229]
	s_nop 1
	v_div_fmas_f64 v[222:223], v[222:223], v[224:225], v[230:231]
	v_div_fixup_f64 v[224:225], v[222:223], v[220:221], 1.0
	v_mul_f64 v[226:227], v[226:227], -v[224:225]
.LBB81_340:
	s_or_b64 exec, exec, s[2:3]
	ds_write2_b64 v237, v[224:225], v[226:227] offset1:1
.LBB81_341:
	s_or_b64 exec, exec, s[4:5]
	s_waitcnt lgkmcnt(0)
	s_barrier
	ds_read2_b64 v[220:223], v237 offset1:1
	v_cmp_lt_u32_e32 vcc, 37, v236
	s_and_saveexec_b64 s[2:3], vcc
	s_cbranch_execz .LBB81_343
; %bb.342:
	ds_read2_b64 v[224:227], v238 offset0:76 offset1:77
	s_waitcnt vmcnt(36) lgkmcnt(1)
	v_mul_f64 v[228:229], v[220:221], v[10:11]
	v_fmac_f64_e32 v[228:229], v[222:223], v[8:9]
	v_mul_f64 v[10:11], v[222:223], v[10:11]
	v_fma_f64 v[8:9], v[220:221], v[8:9], -v[10:11]
	s_waitcnt lgkmcnt(0)
	v_mul_f64 v[10:11], v[226:227], v[228:229]
	v_fma_f64 v[10:11], v[224:225], v[8:9], -v[10:11]
	v_mul_f64 v[224:225], v[224:225], v[228:229]
	v_fmac_f64_e32 v[224:225], v[226:227], v[8:9]
	s_waitcnt vmcnt(35)
	v_add_f64 v[6:7], v[6:7], -v[224:225]
	ds_read2_b64 v[224:227], v238 offset0:78 offset1:79
	v_add_f64 v[4:5], v[4:5], -v[10:11]
	s_waitcnt lgkmcnt(0)
	v_mul_f64 v[10:11], v[226:227], v[228:229]
	v_fma_f64 v[10:11], v[224:225], v[8:9], -v[10:11]
	v_mul_f64 v[224:225], v[224:225], v[228:229]
	v_fmac_f64_e32 v[224:225], v[226:227], v[8:9]
	v_add_f64 v[2:3], v[2:3], -v[224:225]
	ds_read2_b64 v[224:227], v238 offset0:80 offset1:81
	v_add_f64 v[0:1], v[0:1], -v[10:11]
	s_waitcnt lgkmcnt(0)
	v_mul_f64 v[10:11], v[226:227], v[228:229]
	v_fma_f64 v[10:11], v[224:225], v[8:9], -v[10:11]
	v_mul_f64 v[224:225], v[224:225], v[228:229]
	v_fmac_f64_e32 v[224:225], v[226:227], v[8:9]
	s_waitcnt vmcnt(34)
	v_add_f64 v[160:161], v[160:161], -v[10:11]
	v_add_f64 v[162:163], v[162:163], -v[224:225]
	v_mov_b64_e32 v[10:11], v[228:229]
.LBB81_343:
	s_or_b64 exec, exec, s[2:3]
	v_cmp_eq_u32_e32 vcc, 38, v236
	s_waitcnt lgkmcnt(0)
	s_barrier
	s_and_saveexec_b64 s[4:5], vcc
	s_cbranch_execz .LBB81_350
; %bb.344:
	s_waitcnt vmcnt(35)
	ds_write2_b64 v237, v[4:5], v[6:7] offset1:1
	ds_write2_b64 v238, v[0:1], v[2:3] offset0:78 offset1:79
	s_waitcnt vmcnt(34)
	ds_write2_b64 v238, v[160:161], v[162:163] offset0:80 offset1:81
	ds_read2_b64 v[224:227], v237 offset1:1
	s_waitcnt lgkmcnt(0)
	v_cmp_neq_f64_e32 vcc, 0, v[224:225]
	v_cmp_neq_f64_e64 s[2:3], 0, v[226:227]
	s_or_b64 s[2:3], vcc, s[2:3]
	s_and_b64 exec, exec, s[2:3]
	s_cbranch_execz .LBB81_350
; %bb.345:
	v_cmp_ngt_f64_e64 s[2:3], |v[224:225]|, |v[226:227]|
                                        ; implicit-def: $vgpr228_vgpr229
	s_and_saveexec_b64 s[10:11], s[2:3]
	s_xor_b64 s[2:3], exec, s[10:11]
                                        ; implicit-def: $vgpr230_vgpr231
	s_cbranch_execz .LBB81_347
; %bb.346:
	v_div_scale_f64 v[228:229], s[10:11], v[226:227], v[226:227], v[224:225]
	v_rcp_f64_e32 v[230:231], v[228:229]
	v_div_scale_f64 v[232:233], vcc, v[224:225], v[226:227], v[224:225]
	v_fma_f64 v[234:235], -v[228:229], v[230:231], 1.0
	v_fmac_f64_e32 v[230:231], v[230:231], v[234:235]
	v_fma_f64 v[234:235], -v[228:229], v[230:231], 1.0
	v_fmac_f64_e32 v[230:231], v[230:231], v[234:235]
	v_mul_f64 v[234:235], v[232:233], v[230:231]
	v_fma_f64 v[228:229], -v[228:229], v[234:235], v[232:233]
	v_div_fmas_f64 v[228:229], v[228:229], v[230:231], v[234:235]
	v_div_fixup_f64 v[228:229], v[228:229], v[226:227], v[224:225]
	v_fmac_f64_e32 v[226:227], v[224:225], v[228:229]
	v_div_scale_f64 v[224:225], s[10:11], v[226:227], v[226:227], 1.0
	v_rcp_f64_e32 v[230:231], v[224:225]
	s_nop 0
	v_fma_f64 v[232:233], -v[224:225], v[230:231], 1.0
	v_fmac_f64_e32 v[230:231], v[230:231], v[232:233]
	v_fma_f64 v[232:233], -v[224:225], v[230:231], 1.0
	v_fmac_f64_e32 v[230:231], v[230:231], v[232:233]
	v_div_scale_f64 v[232:233], vcc, 1.0, v[226:227], 1.0
	v_mul_f64 v[234:235], v[232:233], v[230:231]
	v_fma_f64 v[224:225], -v[224:225], v[234:235], v[232:233]
	s_nop 1
	v_div_fmas_f64 v[224:225], v[224:225], v[230:231], v[234:235]
	v_div_fixup_f64 v[230:231], v[224:225], v[226:227], 1.0
	v_mul_f64 v[228:229], v[228:229], v[230:231]
	v_xor_b32_e32 v231, 0x80000000, v231
                                        ; implicit-def: $vgpr224_vgpr225
.LBB81_347:
	s_andn2_saveexec_b64 s[2:3], s[2:3]
	s_cbranch_execz .LBB81_349
; %bb.348:
	v_div_scale_f64 v[228:229], s[10:11], v[224:225], v[224:225], v[226:227]
	v_rcp_f64_e32 v[230:231], v[228:229]
	v_div_scale_f64 v[232:233], vcc, v[226:227], v[224:225], v[226:227]
	v_fma_f64 v[234:235], -v[228:229], v[230:231], 1.0
	v_fmac_f64_e32 v[230:231], v[230:231], v[234:235]
	v_fma_f64 v[234:235], -v[228:229], v[230:231], 1.0
	v_fmac_f64_e32 v[230:231], v[230:231], v[234:235]
	v_mul_f64 v[234:235], v[232:233], v[230:231]
	v_fma_f64 v[228:229], -v[228:229], v[234:235], v[232:233]
	v_div_fmas_f64 v[228:229], v[228:229], v[230:231], v[234:235]
	v_div_fixup_f64 v[230:231], v[228:229], v[224:225], v[226:227]
	v_fmac_f64_e32 v[224:225], v[226:227], v[230:231]
	v_div_scale_f64 v[226:227], s[10:11], v[224:225], v[224:225], 1.0
	v_rcp_f64_e32 v[228:229], v[226:227]
	s_nop 0
	v_fma_f64 v[232:233], -v[226:227], v[228:229], 1.0
	v_fmac_f64_e32 v[228:229], v[228:229], v[232:233]
	v_fma_f64 v[232:233], -v[226:227], v[228:229], 1.0
	v_fmac_f64_e32 v[228:229], v[228:229], v[232:233]
	v_div_scale_f64 v[232:233], vcc, 1.0, v[224:225], 1.0
	v_mul_f64 v[234:235], v[232:233], v[228:229]
	v_fma_f64 v[226:227], -v[226:227], v[234:235], v[232:233]
	s_nop 1
	v_div_fmas_f64 v[226:227], v[226:227], v[228:229], v[234:235]
	v_div_fixup_f64 v[228:229], v[226:227], v[224:225], 1.0
	v_mul_f64 v[230:231], v[230:231], -v[228:229]
.LBB81_349:
	s_or_b64 exec, exec, s[2:3]
	ds_write2_b64 v237, v[228:229], v[230:231] offset1:1
.LBB81_350:
	s_or_b64 exec, exec, s[4:5]
	s_waitcnt lgkmcnt(0)
	s_barrier
	ds_read2_b64 v[224:227], v237 offset1:1
	v_cmp_lt_u32_e32 vcc, 38, v236
	s_and_saveexec_b64 s[2:3], vcc
	s_cbranch_execz .LBB81_352
; %bb.351:
	ds_read2_b64 v[228:231], v238 offset0:78 offset1:79
	s_waitcnt vmcnt(35) lgkmcnt(1)
	v_mul_f64 v[232:233], v[224:225], v[6:7]
	v_fmac_f64_e32 v[232:233], v[226:227], v[4:5]
	v_mul_f64 v[6:7], v[226:227], v[6:7]
	v_fma_f64 v[4:5], v[224:225], v[4:5], -v[6:7]
	s_waitcnt lgkmcnt(0)
	v_mul_f64 v[6:7], v[230:231], v[232:233]
	v_fma_f64 v[6:7], v[228:229], v[4:5], -v[6:7]
	v_mul_f64 v[228:229], v[228:229], v[232:233]
	v_fmac_f64_e32 v[228:229], v[230:231], v[4:5]
	v_add_f64 v[2:3], v[2:3], -v[228:229]
	ds_read2_b64 v[228:231], v238 offset0:80 offset1:81
	v_add_f64 v[0:1], v[0:1], -v[6:7]
	s_waitcnt lgkmcnt(0)
	v_mul_f64 v[6:7], v[230:231], v[232:233]
	v_fma_f64 v[6:7], v[228:229], v[4:5], -v[6:7]
	v_mul_f64 v[228:229], v[228:229], v[232:233]
	v_fmac_f64_e32 v[228:229], v[230:231], v[4:5]
	s_waitcnt vmcnt(34)
	v_add_f64 v[160:161], v[160:161], -v[6:7]
	v_add_f64 v[162:163], v[162:163], -v[228:229]
	v_mov_b64_e32 v[6:7], v[232:233]
.LBB81_352:
	s_or_b64 exec, exec, s[2:3]
	v_cmp_eq_u32_e32 vcc, 39, v236
	s_waitcnt lgkmcnt(0)
	s_barrier
	s_and_saveexec_b64 s[4:5], vcc
	s_cbranch_execz .LBB81_359
; %bb.353:
	ds_write2_b64 v237, v[0:1], v[2:3] offset1:1
	s_waitcnt vmcnt(34)
	ds_write2_b64 v238, v[160:161], v[162:163] offset0:80 offset1:81
	ds_read2_b64 v[228:231], v237 offset1:1
	s_waitcnt lgkmcnt(0)
	v_cmp_neq_f64_e32 vcc, 0, v[228:229]
	v_cmp_neq_f64_e64 s[2:3], 0, v[230:231]
	s_or_b64 s[2:3], vcc, s[2:3]
	s_and_b64 exec, exec, s[2:3]
	s_cbranch_execz .LBB81_359
; %bb.354:
	v_cmp_ngt_f64_e64 s[2:3], |v[228:229]|, |v[230:231]|
                                        ; implicit-def: $vgpr232_vgpr233
	s_and_saveexec_b64 s[10:11], s[2:3]
	s_xor_b64 s[2:3], exec, s[10:11]
                                        ; implicit-def: $vgpr234_vgpr235
	s_cbranch_execz .LBB81_356
; %bb.355:
	v_div_scale_f64 v[232:233], s[10:11], v[230:231], v[230:231], v[228:229]
	v_rcp_f64_e32 v[234:235], v[232:233]
	v_mov_b64_e32 v[166:167], v[242:243]
	v_mov_b64_e32 v[164:165], v[240:241]
	v_div_scale_f64 v[240:241], vcc, v[228:229], v[230:231], v[228:229]
	v_fma_f64 v[242:243], -v[232:233], v[234:235], 1.0
	v_fmac_f64_e32 v[234:235], v[234:235], v[242:243]
	v_fma_f64 v[242:243], -v[232:233], v[234:235], 1.0
	v_fmac_f64_e32 v[234:235], v[234:235], v[242:243]
	v_mul_f64 v[242:243], v[240:241], v[234:235]
	v_fma_f64 v[232:233], -v[232:233], v[242:243], v[240:241]
	v_div_fmas_f64 v[232:233], v[232:233], v[234:235], v[242:243]
	v_div_fixup_f64 v[232:233], v[232:233], v[230:231], v[228:229]
	v_fmac_f64_e32 v[230:231], v[228:229], v[232:233]
	v_div_scale_f64 v[228:229], s[10:11], v[230:231], v[230:231], 1.0
	v_rcp_f64_e32 v[234:235], v[228:229]
	s_nop 0
	v_fma_f64 v[240:241], -v[228:229], v[234:235], 1.0
	v_fmac_f64_e32 v[234:235], v[234:235], v[240:241]
	v_fma_f64 v[240:241], -v[228:229], v[234:235], 1.0
	v_fmac_f64_e32 v[234:235], v[234:235], v[240:241]
	v_div_scale_f64 v[240:241], vcc, 1.0, v[230:231], 1.0
	v_mul_f64 v[242:243], v[240:241], v[234:235]
	v_fma_f64 v[228:229], -v[228:229], v[242:243], v[240:241]
	v_mov_b64_e32 v[240:241], v[164:165]
	s_nop 0
	v_div_fmas_f64 v[228:229], v[228:229], v[234:235], v[242:243]
	v_div_fixup_f64 v[234:235], v[228:229], v[230:231], 1.0
	v_mov_b64_e32 v[242:243], v[166:167]
	v_mul_f64 v[232:233], v[232:233], v[234:235]
	v_xor_b32_e32 v235, 0x80000000, v235
                                        ; implicit-def: $vgpr228_vgpr229
.LBB81_356:
	s_andn2_saveexec_b64 s[2:3], s[2:3]
	s_cbranch_execz .LBB81_358
; %bb.357:
	v_div_scale_f64 v[232:233], s[10:11], v[228:229], v[228:229], v[230:231]
	v_rcp_f64_e32 v[234:235], v[232:233]
	v_mov_b64_e32 v[166:167], v[242:243]
	v_mov_b64_e32 v[164:165], v[240:241]
	v_div_scale_f64 v[240:241], vcc, v[230:231], v[228:229], v[230:231]
	v_fma_f64 v[242:243], -v[232:233], v[234:235], 1.0
	v_fmac_f64_e32 v[234:235], v[234:235], v[242:243]
	v_fma_f64 v[242:243], -v[232:233], v[234:235], 1.0
	v_fmac_f64_e32 v[234:235], v[234:235], v[242:243]
	v_mul_f64 v[242:243], v[240:241], v[234:235]
	v_fma_f64 v[232:233], -v[232:233], v[242:243], v[240:241]
	v_div_fmas_f64 v[232:233], v[232:233], v[234:235], v[242:243]
	v_div_fixup_f64 v[234:235], v[232:233], v[228:229], v[230:231]
	v_fmac_f64_e32 v[228:229], v[230:231], v[234:235]
	v_div_scale_f64 v[230:231], s[10:11], v[228:229], v[228:229], 1.0
	v_rcp_f64_e32 v[232:233], v[230:231]
	s_nop 0
	v_fma_f64 v[240:241], -v[230:231], v[232:233], 1.0
	v_fmac_f64_e32 v[232:233], v[232:233], v[240:241]
	v_fma_f64 v[240:241], -v[230:231], v[232:233], 1.0
	v_fmac_f64_e32 v[232:233], v[232:233], v[240:241]
	v_div_scale_f64 v[240:241], vcc, 1.0, v[228:229], 1.0
	v_mul_f64 v[242:243], v[240:241], v[232:233]
	v_fma_f64 v[230:231], -v[230:231], v[242:243], v[240:241]
	v_mov_b64_e32 v[240:241], v[164:165]
	s_nop 0
	v_div_fmas_f64 v[230:231], v[230:231], v[232:233], v[242:243]
	v_div_fixup_f64 v[232:233], v[230:231], v[228:229], 1.0
	v_mov_b64_e32 v[242:243], v[166:167]
	v_mul_f64 v[234:235], v[234:235], -v[232:233]
.LBB81_358:
	s_or_b64 exec, exec, s[2:3]
	ds_write2_b64 v237, v[232:233], v[234:235] offset1:1
.LBB81_359:
	s_or_b64 exec, exec, s[4:5]
	s_waitcnt lgkmcnt(0)
	s_barrier
	ds_read2_b64 v[228:231], v237 offset1:1
	v_cmp_lt_u32_e32 vcc, 39, v236
	s_and_saveexec_b64 s[2:3], vcc
	s_cbranch_execz .LBB81_361
; %bb.360:
	ds_read2_b64 v[232:235], v238 offset0:80 offset1:81
	s_waitcnt lgkmcnt(1)
	v_mul_f64 v[238:239], v[228:229], v[2:3]
	v_mul_f64 v[2:3], v[230:231], v[2:3]
	v_fmac_f64_e32 v[238:239], v[230:231], v[0:1]
	v_fma_f64 v[0:1], v[228:229], v[0:1], -v[2:3]
	s_waitcnt lgkmcnt(0)
	v_mul_f64 v[2:3], v[234:235], v[238:239]
	v_fma_f64 v[2:3], v[232:233], v[0:1], -v[2:3]
	v_mul_f64 v[232:233], v[232:233], v[238:239]
	v_fmac_f64_e32 v[232:233], v[234:235], v[0:1]
	s_waitcnt vmcnt(34)
	v_add_f64 v[160:161], v[160:161], -v[2:3]
	v_add_f64 v[162:163], v[162:163], -v[232:233]
	v_mov_b64_e32 v[2:3], v[238:239]
.LBB81_361:
	s_or_b64 exec, exec, s[2:3]
	v_cmp_eq_u32_e32 vcc, 40, v236
	s_waitcnt lgkmcnt(0)
	s_barrier
	s_and_saveexec_b64 s[4:5], vcc
	s_cbranch_execz .LBB81_368
; %bb.362:
	s_waitcnt vmcnt(34)
	v_cmp_neq_f64_e32 vcc, 0, v[160:161]
	v_cmp_neq_f64_e64 s[2:3], 0, v[162:163]
	s_or_b64 s[2:3], vcc, s[2:3]
	ds_write2_b64 v237, v[160:161], v[162:163] offset1:1
	s_and_b64 exec, exec, s[2:3]
	s_cbranch_execz .LBB81_368
; %bb.363:
	v_cmp_ngt_f64_e64 s[2:3], |v[160:161]|, |v[162:163]|
                                        ; implicit-def: $vgpr232_vgpr233
	s_and_saveexec_b64 s[10:11], s[2:3]
	s_xor_b64 s[2:3], exec, s[10:11]
                                        ; implicit-def: $vgpr234_vgpr235
	s_cbranch_execz .LBB81_365
; %bb.364:
	v_div_scale_f64 v[232:233], s[10:11], v[162:163], v[162:163], v[160:161]
	v_rcp_f64_e32 v[234:235], v[232:233]
	v_mov_b64_e32 v[166:167], v[240:241]
	v_div_scale_f64 v[238:239], vcc, v[160:161], v[162:163], v[160:161]
	v_fma_f64 v[240:241], -v[232:233], v[234:235], 1.0
	v_fmac_f64_e32 v[234:235], v[234:235], v[240:241]
	v_fma_f64 v[240:241], -v[232:233], v[234:235], 1.0
	v_fmac_f64_e32 v[234:235], v[234:235], v[240:241]
	v_mul_f64 v[240:241], v[238:239], v[234:235]
	v_fma_f64 v[232:233], -v[232:233], v[240:241], v[238:239]
	v_div_fmas_f64 v[232:233], v[232:233], v[234:235], v[240:241]
	v_div_fixup_f64 v[232:233], v[232:233], v[162:163], v[160:161]
	v_fma_f64 v[234:235], v[160:161], v[232:233], v[162:163]
	v_mov_b64_e32 v[192:193], v[190:191]
	v_div_scale_f64 v[238:239], s[10:11], v[234:235], v[234:235], 1.0
	v_mov_b64_e32 v[190:191], v[188:189]
	v_mov_b64_e32 v[188:189], v[186:187]
	v_rcp_f64_e32 v[240:241], v[238:239]
	v_mov_b64_e32 v[186:187], v[184:185]
	v_mov_b64_e32 v[184:185], v[182:183]
	;; [unrolled: 1-line block ×10, first 2 shown]
	v_fma_f64 v[242:243], -v[238:239], v[240:241], 1.0
	v_fmac_f64_e32 v[240:241], v[240:241], v[242:243]
	v_fma_f64 v[242:243], -v[238:239], v[240:241], 1.0
	v_fmac_f64_e32 v[240:241], v[240:241], v[242:243]
	v_div_scale_f64 v[242:243], vcc, 1.0, v[234:235], 1.0
	v_mov_b64_e32 v[164:165], v[254:255]
	v_mov_b64_e32 v[254:255], v[252:253]
	;; [unrolled: 1-line block ×6, first 2 shown]
	v_mul_f64 v[244:245], v[242:243], v[240:241]
	v_fma_f64 v[238:239], -v[238:239], v[244:245], v[242:243]
	v_mov_b64_e32 v[242:243], v[168:169]
	v_mov_b64_e32 v[168:169], v[170:171]
	;; [unrolled: 1-line block ×10, first 2 shown]
	v_div_fmas_f64 v[238:239], v[238:239], v[240:241], v[244:245]
	v_mov_b64_e32 v[186:187], v[188:189]
	v_mov_b64_e32 v[188:189], v[190:191]
	v_div_fixup_f64 v[234:235], v[238:239], v[234:235], 1.0
	v_mov_b64_e32 v[190:191], v[192:193]
	v_mov_b64_e32 v[240:241], v[166:167]
	;; [unrolled: 1-line block ×8, first 2 shown]
	v_mul_f64 v[232:233], v[232:233], v[234:235]
	v_xor_b32_e32 v235, 0x80000000, v235
.LBB81_365:
	s_andn2_saveexec_b64 s[2:3], s[2:3]
	s_cbranch_execz .LBB81_367
; %bb.366:
	v_div_scale_f64 v[232:233], s[10:11], v[160:161], v[160:161], v[162:163]
	v_rcp_f64_e32 v[234:235], v[232:233]
	v_mov_b64_e32 v[166:167], v[240:241]
	v_div_scale_f64 v[238:239], vcc, v[162:163], v[160:161], v[162:163]
	v_fma_f64 v[240:241], -v[232:233], v[234:235], 1.0
	v_fmac_f64_e32 v[234:235], v[234:235], v[240:241]
	v_fma_f64 v[240:241], -v[232:233], v[234:235], 1.0
	v_fmac_f64_e32 v[234:235], v[234:235], v[240:241]
	v_mul_f64 v[240:241], v[238:239], v[234:235]
	v_fma_f64 v[232:233], -v[232:233], v[240:241], v[238:239]
	v_div_fmas_f64 v[232:233], v[232:233], v[234:235], v[240:241]
	v_div_fixup_f64 v[234:235], v[232:233], v[160:161], v[162:163]
	v_fma_f64 v[232:233], v[162:163], v[234:235], v[160:161]
	v_mov_b64_e32 v[192:193], v[190:191]
	v_div_scale_f64 v[238:239], s[10:11], v[232:233], v[232:233], 1.0
	v_mov_b64_e32 v[190:191], v[188:189]
	v_mov_b64_e32 v[188:189], v[186:187]
	v_rcp_f64_e32 v[240:241], v[238:239]
	v_mov_b64_e32 v[186:187], v[184:185]
	v_mov_b64_e32 v[184:185], v[182:183]
	;; [unrolled: 1-line block ×10, first 2 shown]
	v_fma_f64 v[242:243], -v[238:239], v[240:241], 1.0
	v_fmac_f64_e32 v[240:241], v[240:241], v[242:243]
	v_fma_f64 v[242:243], -v[238:239], v[240:241], 1.0
	v_fmac_f64_e32 v[240:241], v[240:241], v[242:243]
	v_div_scale_f64 v[242:243], vcc, 1.0, v[232:233], 1.0
	v_mov_b64_e32 v[164:165], v[254:255]
	v_mov_b64_e32 v[254:255], v[252:253]
	;; [unrolled: 1-line block ×6, first 2 shown]
	v_mul_f64 v[244:245], v[242:243], v[240:241]
	v_fma_f64 v[238:239], -v[238:239], v[244:245], v[242:243]
	v_mov_b64_e32 v[242:243], v[168:169]
	v_mov_b64_e32 v[168:169], v[170:171]
	;; [unrolled: 1-line block ×10, first 2 shown]
	v_div_fmas_f64 v[238:239], v[238:239], v[240:241], v[244:245]
	v_mov_b64_e32 v[186:187], v[188:189]
	v_mov_b64_e32 v[188:189], v[190:191]
	v_div_fixup_f64 v[232:233], v[238:239], v[232:233], 1.0
	v_mov_b64_e32 v[190:191], v[192:193]
	v_mov_b64_e32 v[240:241], v[166:167]
	;; [unrolled: 1-line block ×8, first 2 shown]
	v_mul_f64 v[234:235], v[234:235], -v[232:233]
.LBB81_367:
	s_or_b64 exec, exec, s[2:3]
	ds_write2_b64 v237, v[232:233], v[234:235] offset1:1
.LBB81_368:
	s_or_b64 exec, exec, s[4:5]
	s_waitcnt lgkmcnt(0)
	s_barrier
	ds_read2_b64 v[232:235], v237 offset1:1
	s_waitcnt lgkmcnt(0)
	s_barrier
	s_and_saveexec_b64 s[2:3], s[0:1]
	s_cbranch_execz .LBB81_371
; %bb.369:
	scratch_load_dwordx4 v[164:167], off, off offset:280 ; 16-byte Folded Reload
	s_waitcnt vmcnt(0)
	v_cmp_eq_f64_e32 vcc, 0, v[164:165]
	v_cmp_eq_f64_e64 s[0:1], 0, v[166:167]
	scratch_load_dwordx4 v[164:167], off, off offset:296 ; 16-byte Folded Reload
	s_and_b64 s[4:5], vcc, s[0:1]
	v_cndmask_b32_e64 v237, 0, 1, s[4:5]
	s_waitcnt vmcnt(0)
	v_cmp_neq_f64_e32 vcc, 0, v[164:165]
	v_cmp_neq_f64_e64 s[0:1], 0, v[166:167]
	scratch_load_dwordx4 v[164:167], off, off offset:312 ; 16-byte Folded Reload
	s_or_b64 s[0:1], vcc, s[0:1]
	s_or_b64 vcc, s[0:1], s[4:5]
	v_cndmask_b32_e32 v237, 2, v237, vcc
	s_waitcnt vmcnt(0)
	v_cmp_eq_f64_e32 vcc, 0, v[164:165]
	v_cmp_eq_f64_e64 s[0:1], 0, v[166:167]
	scratch_load_dwordx4 v[164:167], off, off offset:328 ; 16-byte Folded Reload
	s_and_b64 s[0:1], vcc, s[0:1]
	v_cmp_eq_u32_e32 vcc, 0, v237
	s_and_b64 s[0:1], s[0:1], vcc
	v_cndmask_b32_e64 v237, v237, 3, s[0:1]
	s_waitcnt vmcnt(0)
	v_cmp_eq_f64_e32 vcc, 0, v[164:165]
	v_cmp_eq_f64_e64 s[0:1], 0, v[166:167]
	scratch_load_dwordx4 v[164:167], off, off offset:344 ; 16-byte Folded Reload
	s_and_b64 s[0:1], vcc, s[0:1]
	v_cmp_eq_u32_e32 vcc, 0, v237
	s_and_b64 s[0:1], s[0:1], vcc
	v_cndmask_b32_e64 v237, v237, 4, s[0:1]
	;; [unrolled: 8-line block ×21, first 2 shown]
	s_waitcnt vmcnt(0)
	v_cmp_eq_f64_e32 vcc, 0, v[164:165]
	v_cmp_eq_f64_e64 s[0:1], 0, v[166:167]
	s_and_b64 s[0:1], vcc, s[0:1]
	v_cmp_eq_u32_e32 vcc, 0, v237
	s_and_b64 s[0:1], s[0:1], vcc
	v_cmp_eq_f64_e32 vcc, 0, v[168:169]
	scratch_load_dwordx2 v[168:169], off, off offset:664 ; 8-byte Folded Reload
	v_cndmask_b32_e64 v164, v237, 24, s[0:1]
	v_cmp_eq_f64_e64 s[0:1], 0, v[170:171]
	s_and_b64 s[0:1], vcc, s[0:1]
	v_cmp_eq_u32_e32 vcc, 0, v164
	s_and_b64 s[0:1], s[0:1], vcc
	v_cndmask_b32_e64 v164, v164, 25, s[0:1]
	v_cmp_eq_f64_e32 vcc, 0, v[172:173]
	v_cmp_eq_f64_e64 s[0:1], 0, v[174:175]
	s_and_b64 s[0:1], vcc, s[0:1]
	v_cmp_eq_u32_e32 vcc, 0, v164
	s_and_b64 s[0:1], s[0:1], vcc
	v_cndmask_b32_e64 v164, v164, 26, s[0:1]
	v_cmp_eq_f64_e32 vcc, 0, v[176:177]
	v_cmp_eq_f64_e64 s[0:1], 0, v[178:179]
	s_and_b64 s[0:1], vcc, s[0:1]
	v_cmp_eq_u32_e32 vcc, 0, v164
	s_and_b64 s[0:1], s[0:1], vcc
	v_cndmask_b32_e64 v166, v164, 27, s[0:1]
	v_mov_b32_e32 v164, s6
	v_mov_b32_e32 v165, s7
	v_cmp_eq_f64_e32 vcc, 0, v[180:181]
	v_cmp_eq_f64_e64 s[0:1], 0, v[182:183]
	s_and_b64 s[0:1], vcc, s[0:1]
	v_cmp_eq_u32_e32 vcc, 0, v166
	s_and_b64 s[0:1], s[0:1], vcc
	v_cndmask_b32_e64 v166, v166, 28, s[0:1]
	v_cmp_eq_f64_e32 vcc, 0, v[184:185]
	v_cmp_eq_f64_e64 s[0:1], 0, v[186:187]
	s_and_b64 s[0:1], vcc, s[0:1]
	v_cmp_eq_u32_e32 vcc, 0, v166
	s_and_b64 s[0:1], s[0:1], vcc
	v_cndmask_b32_e64 v166, v166, 29, s[0:1]
	;; [unrolled: 6-line block ×9, first 2 shown]
	v_cmp_eq_f64_e32 vcc, 0, v[216:217]
	v_cmp_eq_f64_e64 s[0:1], 0, v[218:219]
	s_and_b64 s[0:1], vcc, s[0:1]
	v_cmp_eq_u32_e32 vcc, 0, v166
	s_and_b64 s[0:1], s[0:1], vcc
	s_waitcnt vmcnt(0)
	v_lshl_add_u64 v[164:165], v[168:169], 2, v[164:165]
	global_load_dword v167, v[164:165], off
	v_cndmask_b32_e64 v166, v166, 37, s[0:1]
	v_cmp_eq_f64_e32 vcc, 0, v[220:221]
	v_cmp_eq_f64_e64 s[0:1], 0, v[222:223]
	s_and_b64 s[0:1], vcc, s[0:1]
	v_cmp_eq_u32_e32 vcc, 0, v166
	s_and_b64 s[0:1], s[0:1], vcc
	v_cndmask_b32_e64 v166, v166, 38, s[0:1]
	v_cmp_eq_f64_e32 vcc, 0, v[224:225]
	v_cmp_eq_f64_e64 s[0:1], 0, v[226:227]
	s_and_b64 s[0:1], vcc, s[0:1]
	v_cmp_eq_u32_e32 vcc, 0, v166
	s_and_b64 s[0:1], s[0:1], vcc
	;; [unrolled: 6-line block ×4, first 2 shown]
	v_cndmask_b32_e64 v166, v166, 41, s[0:1]
	v_cmp_ne_u32_e64 s[0:1], 0, v166
	s_waitcnt vmcnt(0)
	v_cmp_eq_u32_e32 vcc, 0, v167
	s_and_b64 s[0:1], vcc, s[0:1]
	s_and_b64 exec, exec, s[0:1]
	s_cbranch_execz .LBB81_371
; %bb.370:
	v_add_u32_e32 v166, s9, v166
	global_store_dword v[164:165], v166, off
.LBB81_371:
	s_or_b64 exec, exec, s[2:3]
	scratch_load_dwordx4 v[156:159], off, off ; 16-byte Folded Reload
	s_waitcnt vmcnt(35)
	v_mul_f64 v[164:165], v[234:235], v[162:163]
	v_mul_f64 v[166:167], v[232:233], v[162:163]
	v_fma_f64 v[164:165], v[232:233], v[160:161], -v[164:165]
	v_fmac_f64_e32 v[166:167], v[234:235], v[160:161]
	v_cmp_lt_u32_e32 vcc, 40, v236
	s_waitcnt vmcnt(0)
	global_store_dwordx4 v[246:247], v[156:159], off
	scratch_load_dwordx2 v[156:157], off, off offset:272 ; 8-byte Folded Reload
	v_cndmask_b32_e32 v163, v163, v167, vcc
	v_cndmask_b32_e32 v162, v162, v166, vcc
	;; [unrolled: 1-line block ×4, first 2 shown]
	s_waitcnt vmcnt(0)
	global_store_dwordx4 v[156:157], v[152:155], off
	global_store_dwordx4 v[244:245], v[148:151], off
	;; [unrolled: 1-line block ×8, first 2 shown]
	scratch_load_dwordx2 v[124:125], off, off offset:16 ; 8-byte Folded Reload
	s_waitcnt vmcnt(0)
	global_store_dwordx4 v[124:125], v[120:123], off
	scratch_load_dwordx2 v[120:121], off, off offset:24 ; 8-byte Folded Reload
	s_waitcnt vmcnt(0)
	global_store_dwordx4 v[120:121], v[116:119], off
	;; [unrolled: 3-line block ×32, first 2 shown]
.LBB81_372:
	s_endpgm
	.section	.rodata,"a",@progbits
	.p2align	6, 0x0
	.amdhsa_kernel _ZN9rocsolver6v33100L23getf2_npvt_small_kernelILi41E19rocblas_complex_numIdEiiPS3_EEvT1_T3_lS5_lPT2_S5_S5_
		.amdhsa_group_segment_fixed_size 0
		.amdhsa_private_segment_fixed_size 676
		.amdhsa_kernarg_size 312
		.amdhsa_user_sgpr_count 2
		.amdhsa_user_sgpr_dispatch_ptr 0
		.amdhsa_user_sgpr_queue_ptr 0
		.amdhsa_user_sgpr_kernarg_segment_ptr 1
		.amdhsa_user_sgpr_dispatch_id 0
		.amdhsa_user_sgpr_kernarg_preload_length 0
		.amdhsa_user_sgpr_kernarg_preload_offset 0
		.amdhsa_user_sgpr_private_segment_size 0
		.amdhsa_uses_dynamic_stack 0
		.amdhsa_enable_private_segment 1
		.amdhsa_system_sgpr_workgroup_id_x 1
		.amdhsa_system_sgpr_workgroup_id_y 1
		.amdhsa_system_sgpr_workgroup_id_z 0
		.amdhsa_system_sgpr_workgroup_info 0
		.amdhsa_system_vgpr_workitem_id 1
		.amdhsa_next_free_vgpr 256
		.amdhsa_next_free_sgpr 16
		.amdhsa_accum_offset 256
		.amdhsa_reserve_vcc 1
		.amdhsa_float_round_mode_32 0
		.amdhsa_float_round_mode_16_64 0
		.amdhsa_float_denorm_mode_32 3
		.amdhsa_float_denorm_mode_16_64 3
		.amdhsa_dx10_clamp 1
		.amdhsa_ieee_mode 1
		.amdhsa_fp16_overflow 0
		.amdhsa_tg_split 0
		.amdhsa_exception_fp_ieee_invalid_op 0
		.amdhsa_exception_fp_denorm_src 0
		.amdhsa_exception_fp_ieee_div_zero 0
		.amdhsa_exception_fp_ieee_overflow 0
		.amdhsa_exception_fp_ieee_underflow 0
		.amdhsa_exception_fp_ieee_inexact 0
		.amdhsa_exception_int_div_zero 0
	.end_amdhsa_kernel
	.section	.text._ZN9rocsolver6v33100L23getf2_npvt_small_kernelILi41E19rocblas_complex_numIdEiiPS3_EEvT1_T3_lS5_lPT2_S5_S5_,"axG",@progbits,_ZN9rocsolver6v33100L23getf2_npvt_small_kernelILi41E19rocblas_complex_numIdEiiPS3_EEvT1_T3_lS5_lPT2_S5_S5_,comdat
.Lfunc_end81:
	.size	_ZN9rocsolver6v33100L23getf2_npvt_small_kernelILi41E19rocblas_complex_numIdEiiPS3_EEvT1_T3_lS5_lPT2_S5_S5_, .Lfunc_end81-_ZN9rocsolver6v33100L23getf2_npvt_small_kernelILi41E19rocblas_complex_numIdEiiPS3_EEvT1_T3_lS5_lPT2_S5_S5_
                                        ; -- End function
	.set _ZN9rocsolver6v33100L23getf2_npvt_small_kernelILi41E19rocblas_complex_numIdEiiPS3_EEvT1_T3_lS5_lPT2_S5_S5_.num_vgpr, 256
	.set _ZN9rocsolver6v33100L23getf2_npvt_small_kernelILi41E19rocblas_complex_numIdEiiPS3_EEvT1_T3_lS5_lPT2_S5_S5_.num_agpr, 0
	.set _ZN9rocsolver6v33100L23getf2_npvt_small_kernelILi41E19rocblas_complex_numIdEiiPS3_EEvT1_T3_lS5_lPT2_S5_S5_.numbered_sgpr, 16
	.set _ZN9rocsolver6v33100L23getf2_npvt_small_kernelILi41E19rocblas_complex_numIdEiiPS3_EEvT1_T3_lS5_lPT2_S5_S5_.num_named_barrier, 0
	.set _ZN9rocsolver6v33100L23getf2_npvt_small_kernelILi41E19rocblas_complex_numIdEiiPS3_EEvT1_T3_lS5_lPT2_S5_S5_.private_seg_size, 676
	.set _ZN9rocsolver6v33100L23getf2_npvt_small_kernelILi41E19rocblas_complex_numIdEiiPS3_EEvT1_T3_lS5_lPT2_S5_S5_.uses_vcc, 1
	.set _ZN9rocsolver6v33100L23getf2_npvt_small_kernelILi41E19rocblas_complex_numIdEiiPS3_EEvT1_T3_lS5_lPT2_S5_S5_.uses_flat_scratch, 0
	.set _ZN9rocsolver6v33100L23getf2_npvt_small_kernelILi41E19rocblas_complex_numIdEiiPS3_EEvT1_T3_lS5_lPT2_S5_S5_.has_dyn_sized_stack, 0
	.set _ZN9rocsolver6v33100L23getf2_npvt_small_kernelILi41E19rocblas_complex_numIdEiiPS3_EEvT1_T3_lS5_lPT2_S5_S5_.has_recursion, 0
	.set _ZN9rocsolver6v33100L23getf2_npvt_small_kernelILi41E19rocblas_complex_numIdEiiPS3_EEvT1_T3_lS5_lPT2_S5_S5_.has_indirect_call, 0
	.section	.AMDGPU.csdata,"",@progbits
; Kernel info:
; codeLenInByte = 81460
; TotalNumSgprs: 22
; NumVgprs: 256
; NumAgprs: 0
; TotalNumVgprs: 256
; ScratchSize: 676
; MemoryBound: 1
; FloatMode: 240
; IeeeMode: 1
; LDSByteSize: 0 bytes/workgroup (compile time only)
; SGPRBlocks: 2
; VGPRBlocks: 31
; NumSGPRsForWavesPerEU: 22
; NumVGPRsForWavesPerEU: 256
; AccumOffset: 256
; Occupancy: 2
; WaveLimiterHint : 0
; COMPUTE_PGM_RSRC2:SCRATCH_EN: 1
; COMPUTE_PGM_RSRC2:USER_SGPR: 2
; COMPUTE_PGM_RSRC2:TRAP_HANDLER: 0
; COMPUTE_PGM_RSRC2:TGID_X_EN: 1
; COMPUTE_PGM_RSRC2:TGID_Y_EN: 1
; COMPUTE_PGM_RSRC2:TGID_Z_EN: 0
; COMPUTE_PGM_RSRC2:TIDIG_COMP_CNT: 1
; COMPUTE_PGM_RSRC3_GFX90A:ACCUM_OFFSET: 63
; COMPUTE_PGM_RSRC3_GFX90A:TG_SPLIT: 0
	.section	.text._ZN9rocsolver6v33100L18getf2_small_kernelILi42E19rocblas_complex_numIdEiiPS3_EEvT1_T3_lS5_lPS5_llPT2_S5_S5_S7_l,"axG",@progbits,_ZN9rocsolver6v33100L18getf2_small_kernelILi42E19rocblas_complex_numIdEiiPS3_EEvT1_T3_lS5_lPS5_llPT2_S5_S5_S7_l,comdat
	.globl	_ZN9rocsolver6v33100L18getf2_small_kernelILi42E19rocblas_complex_numIdEiiPS3_EEvT1_T3_lS5_lPS5_llPT2_S5_S5_S7_l ; -- Begin function _ZN9rocsolver6v33100L18getf2_small_kernelILi42E19rocblas_complex_numIdEiiPS3_EEvT1_T3_lS5_lPS5_llPT2_S5_S5_S7_l
	.p2align	8
	.type	_ZN9rocsolver6v33100L18getf2_small_kernelILi42E19rocblas_complex_numIdEiiPS3_EEvT1_T3_lS5_lPS5_llPT2_S5_S5_S7_l,@function
_ZN9rocsolver6v33100L18getf2_small_kernelILi42E19rocblas_complex_numIdEiiPS3_EEvT1_T3_lS5_lPS5_llPT2_S5_S5_S7_l: ; @_ZN9rocsolver6v33100L18getf2_small_kernelILi42E19rocblas_complex_numIdEiiPS3_EEvT1_T3_lS5_lPS5_llPT2_S5_S5_S7_l
; %bb.0:
	s_load_dword s2, s[0:1], 0x6c
	s_load_dwordx2 s[12:13], s[0:1], 0x48
	v_bfe_u32 v168, v0, 10, 10
	s_waitcnt lgkmcnt(0)
	s_lshr_b32 s2, s2, 16
	s_mul_i32 s3, s3, s2
	v_add_u32_e32 v174, s3, v168
	v_cmp_gt_i32_e32 vcc, s12, v174
	s_and_saveexec_b64 s[2:3], vcc
	s_cbranch_execz .LBB82_883
; %bb.1:
	s_load_dwordx4 s[4:7], s[0:1], 0x50
	v_ashrrev_i32_e32 v175, 31, v174
	v_mov_b64_e32 v[176:177], 0
	s_waitcnt lgkmcnt(0)
	s_cmp_eq_u64 s[4:5], 0
	s_cselect_b64 s[14:15], -1, 0
	s_and_b64 vcc, exec, s[14:15]
	s_cbranch_vccnz .LBB82_3
; %bb.2:
	v_mul_lo_u32 v1, s7, v174
	v_mul_lo_u32 v4, s6, v175
	v_mad_u64_u32 v[2:3], s[2:3], s6, v174, 0
	v_add3_u32 v3, v3, v4, v1
	v_lshl_add_u64 v[176:177], v[2:3], 2, s[4:5]
.LBB82_3:
	s_load_dwordx4 s[16:19], s[0:1], 0x8
	s_load_dwordx8 s[4:11], s[0:1], 0x20
	s_load_dword s2, s[0:1], 0x18
	s_load_dword s20, s[0:1], 0x0
	v_and_b32_e32 v183, 0x3ff, v0
	s_waitcnt lgkmcnt(0)
	v_mov_b32_e32 v2, s16
	v_mul_lo_u32 v1, s5, v174
	v_mul_lo_u32 v6, s4, v175
	v_mad_u64_u32 v[4:5], s[4:5], s4, v174, 0
	v_mov_b32_e32 v3, s17
	v_add3_u32 v5, v5, v6, v1
	v_lshl_add_u64 v[2:3], v[4:5], 4, v[2:3]
	s_add_i32 s12, s2, s2
	v_lshl_add_u64 v[172:173], s[18:19], 4, v[2:3]
	v_add_u32_e32 v2, s12, v183
	v_add_u32_e32 v4, s2, v2
	;; [unrolled: 1-line block ×3, first 2 shown]
	v_lshlrev_b32_e32 v178, 4, v183
	v_mov_b32_e32 v179, 0
	v_add_u32_e32 v8, s2, v6
	v_lshl_add_u64 v[0:1], v[172:173], 0, v[178:179]
	s_ashr_i32 s3, s2, 31
	v_ashrrev_i32_e32 v9, 31, v8
	v_add_u32_e32 v12, s2, v8
	v_lshl_add_u64 v[10:11], s[2:3], 4, v[0:1]
	global_load_dwordx4 v[108:111], v[0:1], off
	global_load_dwordx4 v[104:107], v[10:11], off
	v_lshl_add_u64 v[0:1], v[8:9], 4, v[172:173]
	v_ashrrev_i32_e32 v13, 31, v12
	v_add_u32_e32 v8, s2, v12
	v_lshl_add_u64 v[10:11], v[12:13], 4, v[172:173]
	v_add_u32_e32 v12, s2, v8
	v_add_u32_e32 v14, s2, v12
	v_add_u32_e32 v16, s2, v14
	v_add_u32_e32 v18, s2, v16
	v_add_u32_e32 v20, s2, v18
	v_add_u32_e32 v22, s2, v20
	v_add_u32_e32 v24, s2, v22
	v_add_u32_e32 v26, s2, v24
	v_add_u32_e32 v28, s2, v26
	v_add_u32_e32 v30, s2, v28
	v_add_u32_e32 v32, s2, v30
	v_add_u32_e32 v34, s2, v32
	v_add_u32_e32 v36, s2, v34
	v_add_u32_e32 v38, s2, v36
	v_add_u32_e32 v40, s2, v38
	v_ashrrev_i32_e32 v41, 31, v40
	v_lshl_add_u64 v[42:43], v[40:41], 4, v[172:173]
	v_add_u32_e32 v40, s2, v40
	v_ashrrev_i32_e32 v41, 31, v40
	v_lshl_add_u64 v[44:45], v[40:41], 4, v[172:173]
	v_add_u32_e32 v40, s2, v40
	;; [unrolled: 3-line block ×18, first 2 shown]
	v_ashrrev_i32_e32 v41, 31, v40
	v_ashrrev_i32_e32 v3, 31, v2
	;; [unrolled: 1-line block ×19, first 2 shown]
	v_lshl_add_u64 v[200:201], v[40:41], 4, v[172:173]
	v_add_u32_e32 v40, s2, v40
	v_lshl_add_u64 v[2:3], v[2:3], 4, v[172:173]
	v_lshl_add_u64 v[4:5], v[4:5], 4, v[172:173]
	;; [unrolled: 1-line block ×18, first 2 shown]
	v_ashrrev_i32_e32 v41, 31, v40
	v_lshl_add_u64 v[202:203], v[40:41], 4, v[172:173]
	global_load_dwordx4 v[160:163], v[2:3], off
	global_load_dwordx4 v[156:159], v[4:5], off
	;; [unrolled: 1-line block ×7, first 2 shown]
                                        ; kill: killed $vgpr12_vgpr13
                                        ; kill: killed $vgpr2_vgpr3
                                        ; kill: killed $vgpr4_vgpr5
                                        ; kill: killed $vgpr6_vgpr7
                                        ; kill: killed $vgpr0_vgpr1
                                        ; kill: killed $vgpr10_vgpr11
                                        ; kill: killed $vgpr8_vgpr9
	global_load_dwordx4 v[132:135], v[14:15], off
	global_load_dwordx4 v[128:131], v[16:17], off
	global_load_dwordx4 v[124:127], v[18:19], off
	global_load_dwordx4 v[120:123], v[20:21], off
                                        ; kill: killed $vgpr14_vgpr15
                                        ; kill: killed $vgpr16_vgpr17
                                        ; kill: killed $vgpr18_vgpr19
                                        ; kill: killed $vgpr20_vgpr21
	global_load_dwordx4 v[116:119], v[22:23], off
	global_load_dwordx4 v[112:115], v[24:25], off
                                        ; kill: killed $vgpr22_vgpr23
                                        ; kill: killed $vgpr24_vgpr25
	global_load_dwordx4 v[100:103], v[26:27], off
	global_load_dwordx4 v[96:99], v[28:29], off
	;; [unrolled: 1-line block ×12, first 2 shown]
	s_nop 0
	global_load_dwordx4 v[52:55], v[52:53], off
	s_nop 0
	global_load_dwordx4 v[48:51], v[164:165], off
	global_load_dwordx4 v[44:47], v[166:167], off
	global_load_dwordx4 v[40:43], v[170:171], off
	global_load_dwordx4 v[36:39], v[180:181], off
	global_load_dwordx4 v[32:35], v[184:185], off
	global_load_dwordx4 v[28:31], v[186:187], off
	global_load_dwordx4 v[24:27], v[188:189], off
	global_load_dwordx4 v[20:23], v[190:191], off
	global_load_dwordx4 v[16:19], v[192:193], off
	global_load_dwordx4 v[12:15], v[194:195], off
	global_load_dwordx4 v[8:11], v[196:197], off
	global_load_dwordx4 v[4:7], v[198:199], off
	global_load_dwordx4 v[0:3], v[200:201], off
	global_load_dwordx4 v[164:167], v[202:203], off
	s_load_dwordx2 s[4:5], s[0:1], 0x40
	s_max_i32 s0, s20, 42
	v_mul_lo_u32 v181, s0, v168
	v_lshl_add_u32 v180, v181, 4, 0
	v_add_u32_e32 v168, v180, v178
	s_waitcnt vmcnt(41)
	ds_write2_b64 v168, v[108:109], v[110:111] offset1:1
	s_waitcnt lgkmcnt(0)
	s_barrier
	ds_read2_b64 v[168:171], v180 offset1:1
	s_cmp_lt_i32 s20, 2
	v_lshlrev_b32_e32 v184, 4, v181
	s_cbranch_scc1 .LBB82_6
; %bb.4:
	v_add3_u32 v178, v184, 0, 16
	s_mov_b32 s16, 1
	v_mov_b32_e32 v179, 0
.LBB82_5:                               ; =>This Inner Loop Header: Depth=1
	ds_read2_b64 v[186:189], v178 offset1:1
	s_waitcnt lgkmcnt(1)
	v_xor_b32_e32 v181, 0x80000000, v169
	v_xor_b32_e32 v182, 0x80000000, v171
	v_cmp_gt_f64_e32 vcc, 0, v[170:171]
	v_cmp_gt_f64_e64 s[0:1], 0, v[168:169]
	v_mov_b32_e32 v190, v168
	v_mov_b32_e32 v192, v170
	v_cndmask_b32_e64 v191, v169, v181, s[0:1]
	v_cndmask_b32_e32 v193, v171, v182, vcc
	s_waitcnt lgkmcnt(0)
	v_xor_b32_e32 v181, 0x80000000, v187
	v_xor_b32_e32 v182, 0x80000000, v189
	v_cmp_gt_f64_e32 vcc, 0, v[188:189]
	v_cmp_gt_f64_e64 s[0:1], 0, v[186:187]
	v_add_f64 v[190:191], v[190:191], v[192:193]
	v_mov_b32_e32 v192, v186
	v_mov_b32_e32 v194, v188
	v_cndmask_b32_e64 v193, v187, v181, s[0:1]
	v_cndmask_b32_e32 v195, v189, v182, vcc
	v_add_f64 v[192:193], v[192:193], v[194:195]
	v_mov_b32_e32 v185, s16
	s_add_i32 s16, s16, 1
	v_cmp_lt_f64_e32 vcc, v[190:191], v[192:193]
	v_add_u32_e32 v178, 16, v178
	s_cmp_eq_u32 s20, s16
	v_cndmask_b32_e32 v169, v169, v187, vcc
	v_cndmask_b32_e32 v168, v168, v186, vcc
	;; [unrolled: 1-line block ×5, first 2 shown]
	s_cbranch_scc0 .LBB82_5
.LBB82_6:
	s_waitcnt lgkmcnt(0)
	v_cmp_neq_f64_e32 vcc, 0, v[168:169]
	v_cmp_neq_f64_e64 s[0:1], 0, v[170:171]
	s_or_b64 s[16:17], vcc, s[0:1]
	v_mov_b32_e32 v182, 1
	v_mov_b32_e32 v185, 1
	s_and_saveexec_b64 s[0:1], s[16:17]
	s_cbranch_execz .LBB82_12
; %bb.7:
	v_cmp_ngt_f64_e64 s[16:17], |v[168:169]|, |v[170:171]|
	s_and_saveexec_b64 s[18:19], s[16:17]
	s_xor_b64 s[16:17], exec, s[18:19]
	s_cbranch_execz .LBB82_9
; %bb.8:
	v_div_scale_f64 v[186:187], s[18:19], v[170:171], v[170:171], v[168:169]
	v_rcp_f64_e32 v[188:189], v[186:187]
	v_div_scale_f64 v[190:191], vcc, v[168:169], v[170:171], v[168:169]
	v_fma_f64 v[192:193], -v[186:187], v[188:189], 1.0
	v_fmac_f64_e32 v[188:189], v[188:189], v[192:193]
	v_fma_f64 v[192:193], -v[186:187], v[188:189], 1.0
	v_fmac_f64_e32 v[188:189], v[188:189], v[192:193]
	v_mul_f64 v[192:193], v[190:191], v[188:189]
	v_fma_f64 v[186:187], -v[186:187], v[192:193], v[190:191]
	v_div_fmas_f64 v[186:187], v[186:187], v[188:189], v[192:193]
	v_div_fixup_f64 v[186:187], v[186:187], v[170:171], v[168:169]
	v_fmac_f64_e32 v[170:171], v[168:169], v[186:187]
	v_div_scale_f64 v[168:169], s[18:19], v[170:171], v[170:171], 1.0
	v_rcp_f64_e32 v[188:189], v[168:169]
	s_nop 0
	v_fma_f64 v[190:191], -v[168:169], v[188:189], 1.0
	v_fmac_f64_e32 v[188:189], v[188:189], v[190:191]
	v_fma_f64 v[190:191], -v[168:169], v[188:189], 1.0
	v_fmac_f64_e32 v[188:189], v[188:189], v[190:191]
	v_div_scale_f64 v[190:191], vcc, 1.0, v[170:171], 1.0
	v_mul_f64 v[192:193], v[190:191], v[188:189]
	v_fma_f64 v[168:169], -v[168:169], v[192:193], v[190:191]
	s_nop 1
	v_div_fmas_f64 v[168:169], v[168:169], v[188:189], v[192:193]
	v_div_fixup_f64 v[170:171], v[168:169], v[170:171], 1.0
	v_mul_f64 v[168:169], v[186:187], v[170:171]
	v_xor_b32_e32 v171, 0x80000000, v171
.LBB82_9:
	s_andn2_saveexec_b64 s[16:17], s[16:17]
	s_cbranch_execz .LBB82_11
; %bb.10:
	v_div_scale_f64 v[186:187], s[18:19], v[168:169], v[168:169], v[170:171]
	v_rcp_f64_e32 v[188:189], v[186:187]
	v_div_scale_f64 v[190:191], vcc, v[170:171], v[168:169], v[170:171]
	v_fma_f64 v[192:193], -v[186:187], v[188:189], 1.0
	v_fmac_f64_e32 v[188:189], v[188:189], v[192:193]
	v_fma_f64 v[192:193], -v[186:187], v[188:189], 1.0
	v_fmac_f64_e32 v[188:189], v[188:189], v[192:193]
	v_mul_f64 v[192:193], v[190:191], v[188:189]
	v_fma_f64 v[186:187], -v[186:187], v[192:193], v[190:191]
	v_div_fmas_f64 v[186:187], v[186:187], v[188:189], v[192:193]
	v_div_fixup_f64 v[186:187], v[186:187], v[168:169], v[170:171]
	v_fmac_f64_e32 v[168:169], v[170:171], v[186:187]
	v_div_scale_f64 v[170:171], s[18:19], v[168:169], v[168:169], 1.0
	v_rcp_f64_e32 v[188:189], v[170:171]
	s_nop 0
	v_fma_f64 v[190:191], -v[170:171], v[188:189], 1.0
	v_fmac_f64_e32 v[188:189], v[188:189], v[190:191]
	v_fma_f64 v[190:191], -v[170:171], v[188:189], 1.0
	v_fmac_f64_e32 v[188:189], v[188:189], v[190:191]
	v_div_scale_f64 v[190:191], vcc, 1.0, v[168:169], 1.0
	v_mul_f64 v[192:193], v[190:191], v[188:189]
	v_fma_f64 v[170:171], -v[170:171], v[192:193], v[190:191]
	s_nop 1
	v_div_fmas_f64 v[170:171], v[170:171], v[188:189], v[192:193]
	v_div_fixup_f64 v[168:169], v[170:171], v[168:169], 1.0
	v_mul_f64 v[170:171], v[186:187], -v[168:169]
.LBB82_11:
	s_or_b64 exec, exec, s[16:17]
	v_mov_b32_e32 v185, 0
	v_mov_b32_e32 v182, 2
.LBB82_12:
	s_or_b64 exec, exec, s[0:1]
	v_cmp_ne_u32_e32 vcc, v183, v179
	s_and_saveexec_b64 s[0:1], vcc
	s_xor_b64 s[0:1], exec, s[0:1]
	s_cbranch_execz .LBB82_18
; %bb.13:
	v_cmp_eq_u32_e32 vcc, 0, v183
	s_and_saveexec_b64 s[16:17], vcc
	s_cbranch_execz .LBB82_17
; %bb.14:
	v_cmp_ne_u32_e32 vcc, 0, v179
	s_xor_b64 s[18:19], s[14:15], -1
	s_and_b64 s[22:23], s[18:19], vcc
	s_and_saveexec_b64 s[18:19], s[22:23]
	s_cbranch_execz .LBB82_16
; %bb.15:
	v_ashrrev_i32_e32 v187, 31, v179
	v_mov_b32_e32 v186, v179
	v_lshl_add_u64 v[186:187], v[186:187], 2, v[176:177]
	global_load_dword v178, v[186:187], off
	global_load_dword v181, v[176:177], off
	s_waitcnt vmcnt(1)
	global_store_dword v[176:177], v178, off
	s_waitcnt vmcnt(1)
	global_store_dword v[186:187], v181, off
.LBB82_16:
	s_or_b64 exec, exec, s[18:19]
	v_mov_b32_e32 v183, v179
.LBB82_17:
	s_or_b64 exec, exec, s[16:17]
.LBB82_18:
	s_or_saveexec_b64 s[0:1], s[0:1]
	v_mov_b32_e32 v181, v183
	s_xor_b64 exec, exec, s[0:1]
	s_cbranch_execz .LBB82_20
; %bb.19:
	v_mov_b32_e32 v181, 0
	s_waitcnt vmcnt(40)
	ds_write2_b64 v180, v[104:105], v[106:107] offset0:2 offset1:3
	s_waitcnt vmcnt(39)
	ds_write2_b64 v180, v[160:161], v[162:163] offset0:4 offset1:5
	;; [unrolled: 2-line block ×41, first 2 shown]
.LBB82_20:
	s_or_b64 exec, exec, s[0:1]
	v_cmp_lt_i32_e32 vcc, 0, v181
	s_waitcnt lgkmcnt(0)
	s_barrier
	s_and_saveexec_b64 s[0:1], vcc
	s_cbranch_execz .LBB82_22
; %bb.21:
	ds_read2_b64 v[186:189], v180 offset0:2 offset1:3
	v_mul_f64 v[178:179], v[170:171], v[110:111]
	v_mul_f64 v[110:111], v[168:169], v[110:111]
	v_fmac_f64_e32 v[110:111], v[170:171], v[108:109]
	v_fma_f64 v[178:179], v[168:169], v[108:109], -v[178:179]
	ds_read2_b64 v[168:171], v180 offset0:4 offset1:5
	s_waitcnt lgkmcnt(1)
	v_mul_f64 v[108:109], v[188:189], v[110:111]
	v_fma_f64 v[108:109], v[186:187], v[178:179], -v[108:109]
	v_mul_f64 v[186:187], v[186:187], v[110:111]
	v_fmac_f64_e32 v[186:187], v[188:189], v[178:179]
	s_waitcnt vmcnt(40)
	v_add_f64 v[106:107], v[106:107], -v[186:187]
	ds_read2_b64 v[186:189], v180 offset0:6 offset1:7
	v_add_f64 v[104:105], v[104:105], -v[108:109]
	s_waitcnt lgkmcnt(1)
	v_mul_f64 v[108:109], v[170:171], v[110:111]
	v_fma_f64 v[108:109], v[168:169], v[178:179], -v[108:109]
	v_mul_f64 v[168:169], v[168:169], v[110:111]
	v_fmac_f64_e32 v[168:169], v[170:171], v[178:179]
	s_waitcnt vmcnt(39)
	v_add_f64 v[160:161], v[160:161], -v[108:109]
	v_add_f64 v[162:163], v[162:163], -v[168:169]
	ds_read2_b64 v[168:171], v180 offset0:8 offset1:9
	s_waitcnt lgkmcnt(1)
	v_mul_f64 v[108:109], v[188:189], v[110:111]
	v_fma_f64 v[108:109], v[186:187], v[178:179], -v[108:109]
	v_mul_f64 v[186:187], v[186:187], v[110:111]
	v_fmac_f64_e32 v[186:187], v[188:189], v[178:179]
	s_waitcnt vmcnt(38)
	v_add_f64 v[158:159], v[158:159], -v[186:187]
	ds_read2_b64 v[186:189], v180 offset0:10 offset1:11
	v_add_f64 v[156:157], v[156:157], -v[108:109]
	s_waitcnt lgkmcnt(1)
	v_mul_f64 v[108:109], v[170:171], v[110:111]
	v_fma_f64 v[108:109], v[168:169], v[178:179], -v[108:109]
	v_mul_f64 v[168:169], v[168:169], v[110:111]
	v_fmac_f64_e32 v[168:169], v[170:171], v[178:179]
	s_waitcnt vmcnt(37)
	v_add_f64 v[152:153], v[152:153], -v[108:109]
	v_add_f64 v[154:155], v[154:155], -v[168:169]
	;; [unrolled: 18-line block ×20, first 2 shown]
	s_waitcnt lgkmcnt(0)
	v_mul_f64 v[108:109], v[188:189], v[110:111]
	v_mul_f64 v[168:169], v[186:187], v[110:111]
	v_fma_f64 v[108:109], v[186:187], v[178:179], -v[108:109]
	v_fmac_f64_e32 v[168:169], v[188:189], v[178:179]
	s_waitcnt vmcnt(0)
	v_add_f64 v[164:165], v[164:165], -v[108:109]
	v_add_f64 v[166:167], v[166:167], -v[168:169]
	v_mov_b64_e32 v[108:109], v[178:179]
.LBB82_22:
	s_or_b64 exec, exec, s[0:1]
	v_lshl_add_u32 v168, v181, 4, v180
	s_barrier
	s_waitcnt vmcnt(40)
	ds_write2_b64 v168, v[104:105], v[106:107] offset1:1
	s_waitcnt lgkmcnt(0)
	s_barrier
	ds_read2_b64 v[168:171], v180 offset0:2 offset1:3
	s_cmp_lt_i32 s20, 3
	v_mov_b32_e32 v178, 1
	s_cbranch_scc1 .LBB82_25
; %bb.23:
	v_add3_u32 v179, v184, 0, 32
	s_mov_b32 s16, 2
	v_mov_b32_e32 v178, 1
.LBB82_24:                              ; =>This Inner Loop Header: Depth=1
	ds_read2_b64 v[186:189], v179 offset1:1
	s_waitcnt lgkmcnt(1)
	v_xor_b32_e32 v191, 0x80000000, v169
	v_xor_b32_e32 v193, 0x80000000, v171
	v_cmp_gt_f64_e32 vcc, 0, v[170:171]
	v_cmp_gt_f64_e64 s[0:1], 0, v[168:169]
	v_mov_b32_e32 v190, v168
	v_mov_b32_e32 v192, v170
	v_cndmask_b32_e64 v191, v169, v191, s[0:1]
	v_cndmask_b32_e32 v193, v171, v193, vcc
	v_add_f64 v[190:191], v[190:191], v[192:193]
	s_waitcnt lgkmcnt(0)
	v_xor_b32_e32 v193, 0x80000000, v187
	v_xor_b32_e32 v195, 0x80000000, v189
	v_cmp_gt_f64_e32 vcc, 0, v[188:189]
	v_cmp_gt_f64_e64 s[0:1], 0, v[186:187]
	v_mov_b32_e32 v192, v186
	v_mov_b32_e32 v194, v188
	v_cndmask_b32_e64 v193, v187, v193, s[0:1]
	v_cndmask_b32_e32 v195, v189, v195, vcc
	v_add_f64 v[192:193], v[192:193], v[194:195]
	v_mov_b32_e32 v196, s16
	s_add_i32 s16, s16, 1
	v_cmp_lt_f64_e32 vcc, v[190:191], v[192:193]
	v_add_u32_e32 v179, 16, v179
	s_cmp_lg_u32 s20, s16
	v_cndmask_b32_e32 v169, v169, v187, vcc
	v_cndmask_b32_e32 v168, v168, v186, vcc
	;; [unrolled: 1-line block ×5, first 2 shown]
	s_cbranch_scc1 .LBB82_24
.LBB82_25:
	s_waitcnt lgkmcnt(0)
	v_cmp_neq_f64_e32 vcc, 0, v[168:169]
	v_cmp_neq_f64_e64 s[0:1], 0, v[170:171]
	s_or_b64 s[16:17], vcc, s[0:1]
	s_and_saveexec_b64 s[0:1], s[16:17]
	s_cbranch_execz .LBB82_31
; %bb.26:
	v_cmp_ngt_f64_e64 s[16:17], |v[168:169]|, |v[170:171]|
	s_and_saveexec_b64 s[18:19], s[16:17]
	s_xor_b64 s[16:17], exec, s[18:19]
	s_cbranch_execz .LBB82_28
; %bb.27:
	v_div_scale_f64 v[186:187], s[18:19], v[170:171], v[170:171], v[168:169]
	v_rcp_f64_e32 v[188:189], v[186:187]
	v_div_scale_f64 v[190:191], vcc, v[168:169], v[170:171], v[168:169]
	v_fma_f64 v[192:193], -v[186:187], v[188:189], 1.0
	v_fmac_f64_e32 v[188:189], v[188:189], v[192:193]
	v_fma_f64 v[192:193], -v[186:187], v[188:189], 1.0
	v_fmac_f64_e32 v[188:189], v[188:189], v[192:193]
	v_mul_f64 v[192:193], v[190:191], v[188:189]
	v_fma_f64 v[186:187], -v[186:187], v[192:193], v[190:191]
	v_div_fmas_f64 v[186:187], v[186:187], v[188:189], v[192:193]
	v_div_fixup_f64 v[186:187], v[186:187], v[170:171], v[168:169]
	v_fmac_f64_e32 v[170:171], v[168:169], v[186:187]
	v_div_scale_f64 v[168:169], s[18:19], v[170:171], v[170:171], 1.0
	v_rcp_f64_e32 v[188:189], v[168:169]
	s_nop 0
	v_fma_f64 v[190:191], -v[168:169], v[188:189], 1.0
	v_fmac_f64_e32 v[188:189], v[188:189], v[190:191]
	v_fma_f64 v[190:191], -v[168:169], v[188:189], 1.0
	v_fmac_f64_e32 v[188:189], v[188:189], v[190:191]
	v_div_scale_f64 v[190:191], vcc, 1.0, v[170:171], 1.0
	v_mul_f64 v[192:193], v[190:191], v[188:189]
	v_fma_f64 v[168:169], -v[168:169], v[192:193], v[190:191]
	s_nop 1
	v_div_fmas_f64 v[168:169], v[168:169], v[188:189], v[192:193]
	v_div_fixup_f64 v[170:171], v[168:169], v[170:171], 1.0
	v_mul_f64 v[168:169], v[186:187], v[170:171]
	v_xor_b32_e32 v171, 0x80000000, v171
.LBB82_28:
	s_andn2_saveexec_b64 s[16:17], s[16:17]
	s_cbranch_execz .LBB82_30
; %bb.29:
	v_div_scale_f64 v[186:187], s[18:19], v[168:169], v[168:169], v[170:171]
	v_rcp_f64_e32 v[188:189], v[186:187]
	v_div_scale_f64 v[190:191], vcc, v[170:171], v[168:169], v[170:171]
	v_fma_f64 v[192:193], -v[186:187], v[188:189], 1.0
	v_fmac_f64_e32 v[188:189], v[188:189], v[192:193]
	v_fma_f64 v[192:193], -v[186:187], v[188:189], 1.0
	v_fmac_f64_e32 v[188:189], v[188:189], v[192:193]
	v_mul_f64 v[192:193], v[190:191], v[188:189]
	v_fma_f64 v[186:187], -v[186:187], v[192:193], v[190:191]
	v_div_fmas_f64 v[186:187], v[186:187], v[188:189], v[192:193]
	v_div_fixup_f64 v[186:187], v[186:187], v[168:169], v[170:171]
	v_fmac_f64_e32 v[168:169], v[170:171], v[186:187]
	v_div_scale_f64 v[170:171], s[18:19], v[168:169], v[168:169], 1.0
	v_rcp_f64_e32 v[188:189], v[170:171]
	s_nop 0
	v_fma_f64 v[190:191], -v[170:171], v[188:189], 1.0
	v_fmac_f64_e32 v[188:189], v[188:189], v[190:191]
	v_fma_f64 v[190:191], -v[170:171], v[188:189], 1.0
	v_fmac_f64_e32 v[188:189], v[188:189], v[190:191]
	v_div_scale_f64 v[190:191], vcc, 1.0, v[168:169], 1.0
	v_mul_f64 v[192:193], v[190:191], v[188:189]
	v_fma_f64 v[170:171], -v[170:171], v[192:193], v[190:191]
	s_nop 1
	v_div_fmas_f64 v[170:171], v[170:171], v[188:189], v[192:193]
	v_div_fixup_f64 v[168:169], v[170:171], v[168:169], 1.0
	v_mul_f64 v[170:171], v[186:187], -v[168:169]
.LBB82_30:
	s_or_b64 exec, exec, s[16:17]
	v_mov_b32_e32 v182, v185
.LBB82_31:
	s_or_b64 exec, exec, s[0:1]
	v_cmp_ne_u32_e32 vcc, v181, v178
	s_and_saveexec_b64 s[0:1], vcc
	s_xor_b64 s[0:1], exec, s[0:1]
	s_cbranch_execz .LBB82_37
; %bb.32:
	v_cmp_eq_u32_e32 vcc, 1, v181
	s_and_saveexec_b64 s[16:17], vcc
	s_cbranch_execz .LBB82_36
; %bb.33:
	v_cmp_ne_u32_e32 vcc, 1, v178
	s_xor_b64 s[18:19], s[14:15], -1
	s_and_b64 s[22:23], s[18:19], vcc
	s_and_saveexec_b64 s[18:19], s[22:23]
	s_cbranch_execz .LBB82_35
; %bb.34:
	v_ashrrev_i32_e32 v179, 31, v178
	v_lshl_add_u64 v[186:187], v[178:179], 2, v[176:177]
	global_load_dword v179, v[186:187], off
	global_load_dword v181, v[176:177], off offset:4
	s_waitcnt vmcnt(1)
	global_store_dword v[176:177], v179, off offset:4
	s_waitcnt vmcnt(1)
	global_store_dword v[186:187], v181, off
.LBB82_35:
	s_or_b64 exec, exec, s[18:19]
	v_mov_b32_e32 v181, v178
	v_mov_b32_e32 v183, v178
.LBB82_36:
	s_or_b64 exec, exec, s[16:17]
.LBB82_37:
	s_andn2_saveexec_b64 s[0:1], s[0:1]
	s_cbranch_execz .LBB82_39
; %bb.38:
	v_mov_b32_e32 v181, 1
	s_waitcnt vmcnt(39)
	ds_write2_b64 v180, v[160:161], v[162:163] offset0:4 offset1:5
	s_waitcnt vmcnt(38)
	ds_write2_b64 v180, v[156:157], v[158:159] offset0:6 offset1:7
	;; [unrolled: 2-line block ×40, first 2 shown]
.LBB82_39:
	s_or_b64 exec, exec, s[0:1]
	v_cmp_lt_i32_e32 vcc, 1, v181
	s_waitcnt lgkmcnt(0)
	s_barrier
	s_and_saveexec_b64 s[0:1], vcc
	s_cbranch_execz .LBB82_41
; %bb.40:
	ds_read2_b64 v[186:189], v180 offset0:4 offset1:5
	v_mul_f64 v[178:179], v[170:171], v[106:107]
	v_mul_f64 v[106:107], v[168:169], v[106:107]
	v_fma_f64 v[178:179], v[168:169], v[104:105], -v[178:179]
	v_fmac_f64_e32 v[106:107], v[170:171], v[104:105]
	ds_read2_b64 v[168:171], v180 offset0:6 offset1:7
	s_waitcnt lgkmcnt(1)
	v_mul_f64 v[104:105], v[188:189], v[106:107]
	v_fma_f64 v[104:105], v[186:187], v[178:179], -v[104:105]
	v_mul_f64 v[186:187], v[186:187], v[106:107]
	v_fmac_f64_e32 v[186:187], v[188:189], v[178:179]
	s_waitcnt vmcnt(39)
	v_add_f64 v[160:161], v[160:161], -v[104:105]
	s_waitcnt lgkmcnt(0)
	v_mul_f64 v[104:105], v[170:171], v[106:107]
	v_add_f64 v[162:163], v[162:163], -v[186:187]
	v_fma_f64 v[104:105], v[168:169], v[178:179], -v[104:105]
	v_mul_f64 v[168:169], v[168:169], v[106:107]
	ds_read2_b64 v[186:189], v180 offset0:8 offset1:9
	v_fmac_f64_e32 v[168:169], v[170:171], v[178:179]
	s_waitcnt vmcnt(38)
	v_add_f64 v[158:159], v[158:159], -v[168:169]
	ds_read2_b64 v[168:171], v180 offset0:10 offset1:11
	v_add_f64 v[156:157], v[156:157], -v[104:105]
	s_waitcnt lgkmcnt(1)
	v_mul_f64 v[104:105], v[188:189], v[106:107]
	v_fma_f64 v[104:105], v[186:187], v[178:179], -v[104:105]
	v_mul_f64 v[186:187], v[186:187], v[106:107]
	v_fmac_f64_e32 v[186:187], v[188:189], v[178:179]
	s_waitcnt vmcnt(37)
	v_add_f64 v[152:153], v[152:153], -v[104:105]
	s_waitcnt lgkmcnt(0)
	v_mul_f64 v[104:105], v[170:171], v[106:107]
	v_add_f64 v[154:155], v[154:155], -v[186:187]
	v_fma_f64 v[104:105], v[168:169], v[178:179], -v[104:105]
	v_mul_f64 v[168:169], v[168:169], v[106:107]
	ds_read2_b64 v[186:189], v180 offset0:12 offset1:13
	v_fmac_f64_e32 v[168:169], v[170:171], v[178:179]
	s_waitcnt vmcnt(36)
	v_add_f64 v[150:151], v[150:151], -v[168:169]
	ds_read2_b64 v[168:171], v180 offset0:14 offset1:15
	v_add_f64 v[148:149], v[148:149], -v[104:105]
	;; [unrolled: 18-line block ×19, first 2 shown]
	s_waitcnt lgkmcnt(1)
	v_mul_f64 v[104:105], v[188:189], v[106:107]
	v_fma_f64 v[104:105], v[186:187], v[178:179], -v[104:105]
	s_waitcnt vmcnt(1)
	v_add_f64 v[0:1], v[0:1], -v[104:105]
	s_waitcnt lgkmcnt(0)
	v_mul_f64 v[104:105], v[170:171], v[106:107]
	v_mul_f64 v[186:187], v[186:187], v[106:107]
	v_fma_f64 v[104:105], v[168:169], v[178:179], -v[104:105]
	v_mul_f64 v[168:169], v[168:169], v[106:107]
	v_fmac_f64_e32 v[186:187], v[188:189], v[178:179]
	v_fmac_f64_e32 v[168:169], v[170:171], v[178:179]
	v_add_f64 v[2:3], v[2:3], -v[186:187]
	s_waitcnt vmcnt(0)
	v_add_f64 v[164:165], v[164:165], -v[104:105]
	v_add_f64 v[166:167], v[166:167], -v[168:169]
	v_mov_b64_e32 v[104:105], v[178:179]
.LBB82_41:
	s_or_b64 exec, exec, s[0:1]
	v_lshl_add_u32 v168, v181, 4, v180
	s_barrier
	s_waitcnt vmcnt(39)
	ds_write2_b64 v168, v[160:161], v[162:163] offset1:1
	s_waitcnt lgkmcnt(0)
	s_barrier
	ds_read2_b64 v[168:171], v180 offset0:4 offset1:5
	s_cmp_lt_i32 s20, 4
	v_mov_b32_e32 v178, 2
	s_cbranch_scc1 .LBB82_44
; %bb.42:
	v_add3_u32 v179, v184, 0, 48
	s_mov_b32 s16, 3
	v_mov_b32_e32 v178, 2
.LBB82_43:                              ; =>This Inner Loop Header: Depth=1
	ds_read2_b64 v[186:189], v179 offset1:1
	s_waitcnt lgkmcnt(1)
	v_xor_b32_e32 v185, 0x80000000, v169
	v_xor_b32_e32 v193, 0x80000000, v171
	v_cmp_gt_f64_e32 vcc, 0, v[170:171]
	v_cmp_gt_f64_e64 s[0:1], 0, v[168:169]
	v_mov_b32_e32 v190, v168
	v_mov_b32_e32 v192, v170
	v_cndmask_b32_e64 v191, v169, v185, s[0:1]
	v_cndmask_b32_e32 v193, v171, v193, vcc
	s_waitcnt lgkmcnt(0)
	v_xor_b32_e32 v185, 0x80000000, v187
	v_xor_b32_e32 v195, 0x80000000, v189
	v_cmp_gt_f64_e32 vcc, 0, v[188:189]
	v_cmp_gt_f64_e64 s[0:1], 0, v[186:187]
	v_add_f64 v[190:191], v[190:191], v[192:193]
	v_mov_b32_e32 v192, v186
	v_mov_b32_e32 v194, v188
	v_cndmask_b32_e64 v193, v187, v185, s[0:1]
	v_cndmask_b32_e32 v195, v189, v195, vcc
	v_add_f64 v[192:193], v[192:193], v[194:195]
	v_mov_b32_e32 v196, s16
	s_add_i32 s16, s16, 1
	v_cmp_lt_f64_e32 vcc, v[190:191], v[192:193]
	v_add_u32_e32 v179, 16, v179
	s_cmp_lg_u32 s20, s16
	v_cndmask_b32_e32 v169, v169, v187, vcc
	v_cndmask_b32_e32 v168, v168, v186, vcc
	;; [unrolled: 1-line block ×5, first 2 shown]
	s_cbranch_scc1 .LBB82_43
.LBB82_44:
	s_waitcnt lgkmcnt(0)
	v_cmp_eq_f64_e32 vcc, 0, v[168:169]
	v_cmp_eq_f64_e64 s[0:1], 0, v[170:171]
	s_and_b64 s[0:1], vcc, s[0:1]
	s_and_saveexec_b64 s[16:17], s[0:1]
	s_xor_b64 s[0:1], exec, s[16:17]
; %bb.45:
	v_cmp_ne_u32_e32 vcc, 0, v182
	s_nop 1
	v_cndmask_b32_e32 v182, 3, v182, vcc
; %bb.46:
	s_andn2_saveexec_b64 s[0:1], s[0:1]
	s_cbranch_execz .LBB82_52
; %bb.47:
	v_cmp_ngt_f64_e64 s[16:17], |v[168:169]|, |v[170:171]|
	s_and_saveexec_b64 s[18:19], s[16:17]
	s_xor_b64 s[16:17], exec, s[18:19]
	s_cbranch_execz .LBB82_49
; %bb.48:
	v_div_scale_f64 v[186:187], s[18:19], v[170:171], v[170:171], v[168:169]
	v_rcp_f64_e32 v[188:189], v[186:187]
	v_div_scale_f64 v[190:191], vcc, v[168:169], v[170:171], v[168:169]
	v_fma_f64 v[192:193], -v[186:187], v[188:189], 1.0
	v_fmac_f64_e32 v[188:189], v[188:189], v[192:193]
	v_fma_f64 v[192:193], -v[186:187], v[188:189], 1.0
	v_fmac_f64_e32 v[188:189], v[188:189], v[192:193]
	v_mul_f64 v[192:193], v[190:191], v[188:189]
	v_fma_f64 v[186:187], -v[186:187], v[192:193], v[190:191]
	v_div_fmas_f64 v[186:187], v[186:187], v[188:189], v[192:193]
	v_div_fixup_f64 v[186:187], v[186:187], v[170:171], v[168:169]
	v_fmac_f64_e32 v[170:171], v[168:169], v[186:187]
	v_div_scale_f64 v[168:169], s[18:19], v[170:171], v[170:171], 1.0
	v_rcp_f64_e32 v[188:189], v[168:169]
	s_nop 0
	v_fma_f64 v[190:191], -v[168:169], v[188:189], 1.0
	v_fmac_f64_e32 v[188:189], v[188:189], v[190:191]
	v_fma_f64 v[190:191], -v[168:169], v[188:189], 1.0
	v_fmac_f64_e32 v[188:189], v[188:189], v[190:191]
	v_div_scale_f64 v[190:191], vcc, 1.0, v[170:171], 1.0
	v_mul_f64 v[192:193], v[190:191], v[188:189]
	v_fma_f64 v[168:169], -v[168:169], v[192:193], v[190:191]
	s_nop 1
	v_div_fmas_f64 v[168:169], v[168:169], v[188:189], v[192:193]
	v_div_fixup_f64 v[170:171], v[168:169], v[170:171], 1.0
	v_mul_f64 v[168:169], v[186:187], v[170:171]
	v_xor_b32_e32 v171, 0x80000000, v171
.LBB82_49:
	s_andn2_saveexec_b64 s[16:17], s[16:17]
	s_cbranch_execz .LBB82_51
; %bb.50:
	v_div_scale_f64 v[186:187], s[18:19], v[168:169], v[168:169], v[170:171]
	v_rcp_f64_e32 v[188:189], v[186:187]
	v_div_scale_f64 v[190:191], vcc, v[170:171], v[168:169], v[170:171]
	v_fma_f64 v[192:193], -v[186:187], v[188:189], 1.0
	v_fmac_f64_e32 v[188:189], v[188:189], v[192:193]
	v_fma_f64 v[192:193], -v[186:187], v[188:189], 1.0
	v_fmac_f64_e32 v[188:189], v[188:189], v[192:193]
	v_mul_f64 v[192:193], v[190:191], v[188:189]
	v_fma_f64 v[186:187], -v[186:187], v[192:193], v[190:191]
	v_div_fmas_f64 v[186:187], v[186:187], v[188:189], v[192:193]
	v_div_fixup_f64 v[186:187], v[186:187], v[168:169], v[170:171]
	v_fmac_f64_e32 v[168:169], v[170:171], v[186:187]
	v_div_scale_f64 v[170:171], s[18:19], v[168:169], v[168:169], 1.0
	v_rcp_f64_e32 v[188:189], v[170:171]
	s_nop 0
	v_fma_f64 v[190:191], -v[170:171], v[188:189], 1.0
	v_fmac_f64_e32 v[188:189], v[188:189], v[190:191]
	v_fma_f64 v[190:191], -v[170:171], v[188:189], 1.0
	v_fmac_f64_e32 v[188:189], v[188:189], v[190:191]
	v_div_scale_f64 v[190:191], vcc, 1.0, v[168:169], 1.0
	v_mul_f64 v[192:193], v[190:191], v[188:189]
	v_fma_f64 v[170:171], -v[170:171], v[192:193], v[190:191]
	s_nop 1
	v_div_fmas_f64 v[170:171], v[170:171], v[188:189], v[192:193]
	v_div_fixup_f64 v[168:169], v[170:171], v[168:169], 1.0
	v_mul_f64 v[170:171], v[186:187], -v[168:169]
.LBB82_51:
	s_or_b64 exec, exec, s[16:17]
.LBB82_52:
	s_or_b64 exec, exec, s[0:1]
	v_cmp_ne_u32_e32 vcc, v181, v178
	s_and_saveexec_b64 s[0:1], vcc
	s_xor_b64 s[0:1], exec, s[0:1]
	s_cbranch_execz .LBB82_58
; %bb.53:
	v_cmp_eq_u32_e32 vcc, 2, v181
	s_and_saveexec_b64 s[16:17], vcc
	s_cbranch_execz .LBB82_57
; %bb.54:
	v_cmp_ne_u32_e32 vcc, 2, v178
	s_xor_b64 s[18:19], s[14:15], -1
	s_and_b64 s[22:23], s[18:19], vcc
	s_and_saveexec_b64 s[18:19], s[22:23]
	s_cbranch_execz .LBB82_56
; %bb.55:
	v_ashrrev_i32_e32 v179, 31, v178
	v_lshl_add_u64 v[186:187], v[178:179], 2, v[176:177]
	global_load_dword v179, v[186:187], off
	global_load_dword v181, v[176:177], off offset:8
	s_waitcnt vmcnt(1)
	global_store_dword v[176:177], v179, off offset:8
	s_waitcnt vmcnt(1)
	global_store_dword v[186:187], v181, off
.LBB82_56:
	s_or_b64 exec, exec, s[18:19]
	v_mov_b32_e32 v181, v178
	v_mov_b32_e32 v183, v178
.LBB82_57:
	s_or_b64 exec, exec, s[16:17]
.LBB82_58:
	s_andn2_saveexec_b64 s[0:1], s[0:1]
	s_cbranch_execz .LBB82_60
; %bb.59:
	v_mov_b32_e32 v181, 2
	s_waitcnt vmcnt(38)
	ds_write2_b64 v180, v[156:157], v[158:159] offset0:6 offset1:7
	s_waitcnt vmcnt(37)
	ds_write2_b64 v180, v[152:153], v[154:155] offset0:8 offset1:9
	;; [unrolled: 2-line block ×39, first 2 shown]
.LBB82_60:
	s_or_b64 exec, exec, s[0:1]
	v_cmp_lt_i32_e32 vcc, 2, v181
	s_waitcnt lgkmcnt(0)
	s_barrier
	s_and_saveexec_b64 s[0:1], vcc
	s_cbranch_execz .LBB82_62
; %bb.61:
	ds_read2_b64 v[186:189], v180 offset0:6 offset1:7
	v_mul_f64 v[178:179], v[170:171], v[162:163]
	v_mul_f64 v[162:163], v[168:169], v[162:163]
	v_fmac_f64_e32 v[162:163], v[170:171], v[160:161]
	v_fma_f64 v[178:179], v[168:169], v[160:161], -v[178:179]
	ds_read2_b64 v[168:171], v180 offset0:8 offset1:9
	s_waitcnt lgkmcnt(1)
	v_mul_f64 v[160:161], v[188:189], v[162:163]
	v_fma_f64 v[160:161], v[186:187], v[178:179], -v[160:161]
	v_mul_f64 v[186:187], v[186:187], v[162:163]
	v_fmac_f64_e32 v[186:187], v[188:189], v[178:179]
	s_waitcnt vmcnt(38)
	v_add_f64 v[158:159], v[158:159], -v[186:187]
	ds_read2_b64 v[186:189], v180 offset0:10 offset1:11
	v_add_f64 v[156:157], v[156:157], -v[160:161]
	s_waitcnt lgkmcnt(1)
	v_mul_f64 v[160:161], v[170:171], v[162:163]
	v_fma_f64 v[160:161], v[168:169], v[178:179], -v[160:161]
	v_mul_f64 v[168:169], v[168:169], v[162:163]
	v_fmac_f64_e32 v[168:169], v[170:171], v[178:179]
	s_waitcnt vmcnt(37)
	v_add_f64 v[152:153], v[152:153], -v[160:161]
	v_add_f64 v[154:155], v[154:155], -v[168:169]
	ds_read2_b64 v[168:171], v180 offset0:12 offset1:13
	s_waitcnt lgkmcnt(1)
	v_mul_f64 v[160:161], v[188:189], v[162:163]
	v_fma_f64 v[160:161], v[186:187], v[178:179], -v[160:161]
	v_mul_f64 v[186:187], v[186:187], v[162:163]
	v_fmac_f64_e32 v[186:187], v[188:189], v[178:179]
	s_waitcnt vmcnt(36)
	v_add_f64 v[150:151], v[150:151], -v[186:187]
	ds_read2_b64 v[186:189], v180 offset0:14 offset1:15
	v_add_f64 v[148:149], v[148:149], -v[160:161]
	s_waitcnt lgkmcnt(1)
	v_mul_f64 v[160:161], v[170:171], v[162:163]
	v_fma_f64 v[160:161], v[168:169], v[178:179], -v[160:161]
	v_mul_f64 v[168:169], v[168:169], v[162:163]
	v_fmac_f64_e32 v[168:169], v[170:171], v[178:179]
	s_waitcnt vmcnt(35)
	v_add_f64 v[144:145], v[144:145], -v[160:161]
	v_add_f64 v[146:147], v[146:147], -v[168:169]
	;; [unrolled: 18-line block ×19, first 2 shown]
	s_waitcnt lgkmcnt(0)
	v_mul_f64 v[160:161], v[188:189], v[162:163]
	v_mul_f64 v[168:169], v[186:187], v[162:163]
	v_fma_f64 v[160:161], v[186:187], v[178:179], -v[160:161]
	v_fmac_f64_e32 v[168:169], v[188:189], v[178:179]
	s_waitcnt vmcnt(0)
	v_add_f64 v[164:165], v[164:165], -v[160:161]
	v_add_f64 v[166:167], v[166:167], -v[168:169]
	v_mov_b64_e32 v[160:161], v[178:179]
.LBB82_62:
	s_or_b64 exec, exec, s[0:1]
	v_lshl_add_u32 v168, v181, 4, v180
	s_barrier
	s_waitcnt vmcnt(38)
	ds_write2_b64 v168, v[156:157], v[158:159] offset1:1
	s_waitcnt lgkmcnt(0)
	s_barrier
	ds_read2_b64 v[168:171], v180 offset0:6 offset1:7
	s_mov_b32 s16, 4
	s_cmp_lt_i32 s20, 5
	v_mov_b32_e32 v178, 3
	s_cbranch_scc1 .LBB82_65
; %bb.63:
	v_add3_u32 v179, v184, 0, 64
	v_mov_b32_e32 v178, 3
.LBB82_64:                              ; =>This Inner Loop Header: Depth=1
	ds_read2_b64 v[184:187], v179 offset1:1
	s_waitcnt lgkmcnt(1)
	v_xor_b32_e32 v189, 0x80000000, v169
	v_xor_b32_e32 v191, 0x80000000, v171
	v_cmp_gt_f64_e32 vcc, 0, v[170:171]
	v_cmp_gt_f64_e64 s[0:1], 0, v[168:169]
	v_mov_b32_e32 v188, v168
	v_mov_b32_e32 v190, v170
	v_cndmask_b32_e64 v189, v169, v189, s[0:1]
	v_cndmask_b32_e32 v191, v171, v191, vcc
	v_add_f64 v[188:189], v[188:189], v[190:191]
	s_waitcnt lgkmcnt(0)
	v_xor_b32_e32 v191, 0x80000000, v185
	v_xor_b32_e32 v193, 0x80000000, v187
	v_cmp_gt_f64_e32 vcc, 0, v[186:187]
	v_cmp_gt_f64_e64 s[0:1], 0, v[184:185]
	v_mov_b32_e32 v190, v184
	v_mov_b32_e32 v192, v186
	v_cndmask_b32_e64 v191, v185, v191, s[0:1]
	v_cndmask_b32_e32 v193, v187, v193, vcc
	v_add_f64 v[190:191], v[190:191], v[192:193]
	v_mov_b32_e32 v194, s16
	s_add_i32 s16, s16, 1
	v_cmp_lt_f64_e32 vcc, v[188:189], v[190:191]
	v_add_u32_e32 v179, 16, v179
	s_cmp_lg_u32 s20, s16
	v_cndmask_b32_e32 v169, v169, v185, vcc
	v_cndmask_b32_e32 v168, v168, v184, vcc
	;; [unrolled: 1-line block ×5, first 2 shown]
	s_cbranch_scc1 .LBB82_64
.LBB82_65:
	s_waitcnt lgkmcnt(0)
	v_cmp_eq_f64_e32 vcc, 0, v[168:169]
	v_cmp_eq_f64_e64 s[0:1], 0, v[170:171]
	s_and_b64 s[0:1], vcc, s[0:1]
	s_and_saveexec_b64 s[16:17], s[0:1]
	s_xor_b64 s[0:1], exec, s[16:17]
; %bb.66:
	v_cmp_ne_u32_e32 vcc, 0, v182
	s_nop 1
	v_cndmask_b32_e32 v182, 4, v182, vcc
; %bb.67:
	s_andn2_saveexec_b64 s[0:1], s[0:1]
	s_cbranch_execz .LBB82_73
; %bb.68:
	v_cmp_ngt_f64_e64 s[16:17], |v[168:169]|, |v[170:171]|
	s_and_saveexec_b64 s[18:19], s[16:17]
	s_xor_b64 s[16:17], exec, s[18:19]
	s_cbranch_execz .LBB82_70
; %bb.69:
	v_div_scale_f64 v[184:185], s[18:19], v[170:171], v[170:171], v[168:169]
	v_rcp_f64_e32 v[186:187], v[184:185]
	v_div_scale_f64 v[188:189], vcc, v[168:169], v[170:171], v[168:169]
	v_fma_f64 v[190:191], -v[184:185], v[186:187], 1.0
	v_fmac_f64_e32 v[186:187], v[186:187], v[190:191]
	v_fma_f64 v[190:191], -v[184:185], v[186:187], 1.0
	v_fmac_f64_e32 v[186:187], v[186:187], v[190:191]
	v_mul_f64 v[190:191], v[188:189], v[186:187]
	v_fma_f64 v[184:185], -v[184:185], v[190:191], v[188:189]
	v_div_fmas_f64 v[184:185], v[184:185], v[186:187], v[190:191]
	v_div_fixup_f64 v[184:185], v[184:185], v[170:171], v[168:169]
	v_fmac_f64_e32 v[170:171], v[168:169], v[184:185]
	v_div_scale_f64 v[168:169], s[18:19], v[170:171], v[170:171], 1.0
	v_rcp_f64_e32 v[186:187], v[168:169]
	s_nop 0
	v_fma_f64 v[188:189], -v[168:169], v[186:187], 1.0
	v_fmac_f64_e32 v[186:187], v[186:187], v[188:189]
	v_fma_f64 v[188:189], -v[168:169], v[186:187], 1.0
	v_fmac_f64_e32 v[186:187], v[186:187], v[188:189]
	v_div_scale_f64 v[188:189], vcc, 1.0, v[170:171], 1.0
	v_mul_f64 v[190:191], v[188:189], v[186:187]
	v_fma_f64 v[168:169], -v[168:169], v[190:191], v[188:189]
	s_nop 1
	v_div_fmas_f64 v[168:169], v[168:169], v[186:187], v[190:191]
	v_div_fixup_f64 v[170:171], v[168:169], v[170:171], 1.0
	v_mul_f64 v[168:169], v[184:185], v[170:171]
	v_xor_b32_e32 v171, 0x80000000, v171
.LBB82_70:
	s_andn2_saveexec_b64 s[16:17], s[16:17]
	s_cbranch_execz .LBB82_72
; %bb.71:
	v_div_scale_f64 v[184:185], s[18:19], v[168:169], v[168:169], v[170:171]
	v_rcp_f64_e32 v[186:187], v[184:185]
	v_div_scale_f64 v[188:189], vcc, v[170:171], v[168:169], v[170:171]
	v_fma_f64 v[190:191], -v[184:185], v[186:187], 1.0
	v_fmac_f64_e32 v[186:187], v[186:187], v[190:191]
	v_fma_f64 v[190:191], -v[184:185], v[186:187], 1.0
	v_fmac_f64_e32 v[186:187], v[186:187], v[190:191]
	v_mul_f64 v[190:191], v[188:189], v[186:187]
	v_fma_f64 v[184:185], -v[184:185], v[190:191], v[188:189]
	v_div_fmas_f64 v[184:185], v[184:185], v[186:187], v[190:191]
	v_div_fixup_f64 v[184:185], v[184:185], v[168:169], v[170:171]
	v_fmac_f64_e32 v[168:169], v[170:171], v[184:185]
	v_div_scale_f64 v[170:171], s[18:19], v[168:169], v[168:169], 1.0
	v_rcp_f64_e32 v[186:187], v[170:171]
	s_nop 0
	v_fma_f64 v[188:189], -v[170:171], v[186:187], 1.0
	v_fmac_f64_e32 v[186:187], v[186:187], v[188:189]
	v_fma_f64 v[188:189], -v[170:171], v[186:187], 1.0
	v_fmac_f64_e32 v[186:187], v[186:187], v[188:189]
	v_div_scale_f64 v[188:189], vcc, 1.0, v[168:169], 1.0
	v_mul_f64 v[190:191], v[188:189], v[186:187]
	v_fma_f64 v[170:171], -v[170:171], v[190:191], v[188:189]
	s_nop 1
	v_div_fmas_f64 v[170:171], v[170:171], v[186:187], v[190:191]
	v_div_fixup_f64 v[168:169], v[170:171], v[168:169], 1.0
	v_mul_f64 v[170:171], v[184:185], -v[168:169]
.LBB82_72:
	s_or_b64 exec, exec, s[16:17]
.LBB82_73:
	s_or_b64 exec, exec, s[0:1]
	v_cmp_ne_u32_e32 vcc, v181, v178
	s_and_saveexec_b64 s[0:1], vcc
	s_xor_b64 s[0:1], exec, s[0:1]
	s_cbranch_execz .LBB82_79
; %bb.74:
	v_cmp_eq_u32_e32 vcc, 3, v181
	s_and_saveexec_b64 s[16:17], vcc
	s_cbranch_execz .LBB82_78
; %bb.75:
	v_cmp_ne_u32_e32 vcc, 3, v178
	s_xor_b64 s[18:19], s[14:15], -1
	s_and_b64 s[22:23], s[18:19], vcc
	s_and_saveexec_b64 s[18:19], s[22:23]
	s_cbranch_execz .LBB82_77
; %bb.76:
	v_ashrrev_i32_e32 v179, 31, v178
	v_lshl_add_u64 v[184:185], v[178:179], 2, v[176:177]
	global_load_dword v179, v[184:185], off
	global_load_dword v181, v[176:177], off offset:12
	s_waitcnt vmcnt(1)
	global_store_dword v[176:177], v179, off offset:12
	s_waitcnt vmcnt(1)
	global_store_dword v[184:185], v181, off
.LBB82_77:
	s_or_b64 exec, exec, s[18:19]
	v_mov_b32_e32 v181, v178
	v_mov_b32_e32 v183, v178
.LBB82_78:
	s_or_b64 exec, exec, s[16:17]
.LBB82_79:
	s_andn2_saveexec_b64 s[0:1], s[0:1]
	s_cbranch_execz .LBB82_81
; %bb.80:
	v_mov_b32_e32 v181, 3
	s_waitcnt vmcnt(37)
	ds_write2_b64 v180, v[152:153], v[154:155] offset0:8 offset1:9
	s_waitcnt vmcnt(36)
	ds_write2_b64 v180, v[148:149], v[150:151] offset0:10 offset1:11
	s_waitcnt vmcnt(35)
	ds_write2_b64 v180, v[144:145], v[146:147] offset0:12 offset1:13
	s_waitcnt vmcnt(34)
	ds_write2_b64 v180, v[140:141], v[142:143] offset0:14 offset1:15
	s_waitcnt vmcnt(33)
	ds_write2_b64 v180, v[136:137], v[138:139] offset0:16 offset1:17
	s_waitcnt vmcnt(32)
	ds_write2_b64 v180, v[132:133], v[134:135] offset0:18 offset1:19
	s_waitcnt vmcnt(31)
	ds_write2_b64 v180, v[128:129], v[130:131] offset0:20 offset1:21
	s_waitcnt vmcnt(30)
	ds_write2_b64 v180, v[124:125], v[126:127] offset0:22 offset1:23
	s_waitcnt vmcnt(29)
	ds_write2_b64 v180, v[120:121], v[122:123] offset0:24 offset1:25
	s_waitcnt vmcnt(28)
	ds_write2_b64 v180, v[116:117], v[118:119] offset0:26 offset1:27
	s_waitcnt vmcnt(27)
	ds_write2_b64 v180, v[112:113], v[114:115] offset0:28 offset1:29
	s_waitcnt vmcnt(26)
	ds_write2_b64 v180, v[100:101], v[102:103] offset0:30 offset1:31
	s_waitcnt vmcnt(25)
	ds_write2_b64 v180, v[96:97], v[98:99] offset0:32 offset1:33
	s_waitcnt vmcnt(24)
	ds_write2_b64 v180, v[92:93], v[94:95] offset0:34 offset1:35
	s_waitcnt vmcnt(23)
	ds_write2_b64 v180, v[88:89], v[90:91] offset0:36 offset1:37
	s_waitcnt vmcnt(22)
	ds_write2_b64 v180, v[84:85], v[86:87] offset0:38 offset1:39
	s_waitcnt vmcnt(21)
	ds_write2_b64 v180, v[80:81], v[82:83] offset0:40 offset1:41
	s_waitcnt vmcnt(20)
	ds_write2_b64 v180, v[76:77], v[78:79] offset0:42 offset1:43
	s_waitcnt vmcnt(19)
	ds_write2_b64 v180, v[72:73], v[74:75] offset0:44 offset1:45
	s_waitcnt vmcnt(18)
	ds_write2_b64 v180, v[68:69], v[70:71] offset0:46 offset1:47
	s_waitcnt vmcnt(17)
	ds_write2_b64 v180, v[64:65], v[66:67] offset0:48 offset1:49
	s_waitcnt vmcnt(16)
	ds_write2_b64 v180, v[60:61], v[62:63] offset0:50 offset1:51
	s_waitcnt vmcnt(15)
	ds_write2_b64 v180, v[56:57], v[58:59] offset0:52 offset1:53
	s_waitcnt vmcnt(14)
	ds_write2_b64 v180, v[52:53], v[54:55] offset0:54 offset1:55
	s_waitcnt vmcnt(13)
	ds_write2_b64 v180, v[48:49], v[50:51] offset0:56 offset1:57
	s_waitcnt vmcnt(12)
	ds_write2_b64 v180, v[44:45], v[46:47] offset0:58 offset1:59
	s_waitcnt vmcnt(11)
	ds_write2_b64 v180, v[40:41], v[42:43] offset0:60 offset1:61
	s_waitcnt vmcnt(10)
	ds_write2_b64 v180, v[36:37], v[38:39] offset0:62 offset1:63
	s_waitcnt vmcnt(9)
	ds_write2_b64 v180, v[32:33], v[34:35] offset0:64 offset1:65
	s_waitcnt vmcnt(8)
	ds_write2_b64 v180, v[28:29], v[30:31] offset0:66 offset1:67
	s_waitcnt vmcnt(7)
	ds_write2_b64 v180, v[24:25], v[26:27] offset0:68 offset1:69
	s_waitcnt vmcnt(6)
	ds_write2_b64 v180, v[20:21], v[22:23] offset0:70 offset1:71
	s_waitcnt vmcnt(5)
	ds_write2_b64 v180, v[16:17], v[18:19] offset0:72 offset1:73
	s_waitcnt vmcnt(4)
	ds_write2_b64 v180, v[12:13], v[14:15] offset0:74 offset1:75
	s_waitcnt vmcnt(3)
	ds_write2_b64 v180, v[8:9], v[10:11] offset0:76 offset1:77
	s_waitcnt vmcnt(2)
	ds_write2_b64 v180, v[4:5], v[6:7] offset0:78 offset1:79
	s_waitcnt vmcnt(1)
	ds_write2_b64 v180, v[0:1], v[2:3] offset0:80 offset1:81
	s_waitcnt vmcnt(0)
	ds_write2_b64 v180, v[164:165], v[166:167] offset0:82 offset1:83
.LBB82_81:
	s_or_b64 exec, exec, s[0:1]
	v_cmp_lt_i32_e32 vcc, 3, v181
	s_waitcnt lgkmcnt(0)
	s_barrier
	s_and_saveexec_b64 s[0:1], vcc
	s_cbranch_execz .LBB82_83
; %bb.82:
	ds_read2_b64 v[184:187], v180 offset0:8 offset1:9
	v_mul_f64 v[178:179], v[170:171], v[158:159]
	v_mul_f64 v[158:159], v[168:169], v[158:159]
	v_fma_f64 v[178:179], v[168:169], v[156:157], -v[178:179]
	v_fmac_f64_e32 v[158:159], v[170:171], v[156:157]
	ds_read2_b64 v[168:171], v180 offset0:10 offset1:11
	s_waitcnt lgkmcnt(1)
	v_mul_f64 v[156:157], v[186:187], v[158:159]
	v_fma_f64 v[156:157], v[184:185], v[178:179], -v[156:157]
	v_mul_f64 v[184:185], v[184:185], v[158:159]
	v_fmac_f64_e32 v[184:185], v[186:187], v[178:179]
	s_waitcnt vmcnt(37)
	v_add_f64 v[152:153], v[152:153], -v[156:157]
	s_waitcnt lgkmcnt(0)
	v_mul_f64 v[156:157], v[170:171], v[158:159]
	v_add_f64 v[154:155], v[154:155], -v[184:185]
	v_fma_f64 v[156:157], v[168:169], v[178:179], -v[156:157]
	v_mul_f64 v[168:169], v[168:169], v[158:159]
	ds_read2_b64 v[184:187], v180 offset0:12 offset1:13
	v_fmac_f64_e32 v[168:169], v[170:171], v[178:179]
	s_waitcnt vmcnt(36)
	v_add_f64 v[150:151], v[150:151], -v[168:169]
	ds_read2_b64 v[168:171], v180 offset0:14 offset1:15
	v_add_f64 v[148:149], v[148:149], -v[156:157]
	s_waitcnt lgkmcnt(1)
	v_mul_f64 v[156:157], v[186:187], v[158:159]
	v_fma_f64 v[156:157], v[184:185], v[178:179], -v[156:157]
	v_mul_f64 v[184:185], v[184:185], v[158:159]
	v_fmac_f64_e32 v[184:185], v[186:187], v[178:179]
	s_waitcnt vmcnt(35)
	v_add_f64 v[144:145], v[144:145], -v[156:157]
	s_waitcnt lgkmcnt(0)
	v_mul_f64 v[156:157], v[170:171], v[158:159]
	v_add_f64 v[146:147], v[146:147], -v[184:185]
	v_fma_f64 v[156:157], v[168:169], v[178:179], -v[156:157]
	v_mul_f64 v[168:169], v[168:169], v[158:159]
	ds_read2_b64 v[184:187], v180 offset0:16 offset1:17
	v_fmac_f64_e32 v[168:169], v[170:171], v[178:179]
	s_waitcnt vmcnt(34)
	v_add_f64 v[142:143], v[142:143], -v[168:169]
	ds_read2_b64 v[168:171], v180 offset0:18 offset1:19
	v_add_f64 v[140:141], v[140:141], -v[156:157]
	;; [unrolled: 18-line block ×18, first 2 shown]
	s_waitcnt lgkmcnt(1)
	v_mul_f64 v[156:157], v[186:187], v[158:159]
	v_fma_f64 v[156:157], v[184:185], v[178:179], -v[156:157]
	s_waitcnt vmcnt(1)
	v_add_f64 v[0:1], v[0:1], -v[156:157]
	s_waitcnt lgkmcnt(0)
	v_mul_f64 v[156:157], v[170:171], v[158:159]
	v_mul_f64 v[184:185], v[184:185], v[158:159]
	v_fma_f64 v[156:157], v[168:169], v[178:179], -v[156:157]
	v_mul_f64 v[168:169], v[168:169], v[158:159]
	v_fmac_f64_e32 v[184:185], v[186:187], v[178:179]
	v_fmac_f64_e32 v[168:169], v[170:171], v[178:179]
	v_add_f64 v[2:3], v[2:3], -v[184:185]
	s_waitcnt vmcnt(0)
	v_add_f64 v[164:165], v[164:165], -v[156:157]
	v_add_f64 v[166:167], v[166:167], -v[168:169]
	v_mov_b64_e32 v[156:157], v[178:179]
.LBB82_83:
	s_or_b64 exec, exec, s[0:1]
	v_lshl_add_u32 v168, v181, 4, v180
	s_barrier
	s_waitcnt vmcnt(37)
	ds_write2_b64 v168, v[152:153], v[154:155] offset1:1
	s_waitcnt lgkmcnt(0)
	s_barrier
	ds_read2_b64 v[168:171], v180 offset0:8 offset1:9
	s_cmp_lt_i32 s20, 6
	v_mov_b32_e32 v178, 4
	s_cbranch_scc1 .LBB82_86
; %bb.84:
	v_mov_b32_e32 v178, 4
	v_add_u32_e32 v179, 0x50, v180
	s_mov_b32 s16, 5
.LBB82_85:                              ; =>This Inner Loop Header: Depth=1
	ds_read2_b64 v[184:187], v179 offset1:1
	s_waitcnt lgkmcnt(1)
	v_xor_b32_e32 v189, 0x80000000, v169
	v_xor_b32_e32 v191, 0x80000000, v171
	v_cmp_gt_f64_e32 vcc, 0, v[170:171]
	v_cmp_gt_f64_e64 s[0:1], 0, v[168:169]
	v_mov_b32_e32 v188, v168
	v_mov_b32_e32 v190, v170
	v_cndmask_b32_e64 v189, v169, v189, s[0:1]
	v_cndmask_b32_e32 v191, v171, v191, vcc
	v_add_f64 v[188:189], v[188:189], v[190:191]
	s_waitcnt lgkmcnt(0)
	v_xor_b32_e32 v191, 0x80000000, v185
	v_xor_b32_e32 v193, 0x80000000, v187
	v_cmp_gt_f64_e32 vcc, 0, v[186:187]
	v_cmp_gt_f64_e64 s[0:1], 0, v[184:185]
	v_mov_b32_e32 v190, v184
	v_mov_b32_e32 v192, v186
	v_cndmask_b32_e64 v191, v185, v191, s[0:1]
	v_cndmask_b32_e32 v193, v187, v193, vcc
	v_add_f64 v[190:191], v[190:191], v[192:193]
	v_mov_b32_e32 v194, s16
	s_add_i32 s16, s16, 1
	v_cmp_lt_f64_e32 vcc, v[188:189], v[190:191]
	v_add_u32_e32 v179, 16, v179
	s_cmp_lg_u32 s20, s16
	v_cndmask_b32_e32 v169, v169, v185, vcc
	v_cndmask_b32_e32 v168, v168, v184, vcc
	;; [unrolled: 1-line block ×5, first 2 shown]
	s_cbranch_scc1 .LBB82_85
.LBB82_86:
	s_waitcnt lgkmcnt(0)
	v_cmp_eq_f64_e32 vcc, 0, v[168:169]
	v_cmp_eq_f64_e64 s[0:1], 0, v[170:171]
	s_and_b64 s[0:1], vcc, s[0:1]
	s_and_saveexec_b64 s[16:17], s[0:1]
	s_xor_b64 s[0:1], exec, s[16:17]
; %bb.87:
	v_cmp_ne_u32_e32 vcc, 0, v182
	s_nop 1
	v_cndmask_b32_e32 v182, 5, v182, vcc
; %bb.88:
	s_andn2_saveexec_b64 s[0:1], s[0:1]
	s_cbranch_execz .LBB82_94
; %bb.89:
	v_cmp_ngt_f64_e64 s[16:17], |v[168:169]|, |v[170:171]|
	s_and_saveexec_b64 s[18:19], s[16:17]
	s_xor_b64 s[16:17], exec, s[18:19]
	s_cbranch_execz .LBB82_91
; %bb.90:
	v_div_scale_f64 v[184:185], s[18:19], v[170:171], v[170:171], v[168:169]
	v_rcp_f64_e32 v[186:187], v[184:185]
	v_div_scale_f64 v[188:189], vcc, v[168:169], v[170:171], v[168:169]
	v_fma_f64 v[190:191], -v[184:185], v[186:187], 1.0
	v_fmac_f64_e32 v[186:187], v[186:187], v[190:191]
	v_fma_f64 v[190:191], -v[184:185], v[186:187], 1.0
	v_fmac_f64_e32 v[186:187], v[186:187], v[190:191]
	v_mul_f64 v[190:191], v[188:189], v[186:187]
	v_fma_f64 v[184:185], -v[184:185], v[190:191], v[188:189]
	v_div_fmas_f64 v[184:185], v[184:185], v[186:187], v[190:191]
	v_div_fixup_f64 v[184:185], v[184:185], v[170:171], v[168:169]
	v_fmac_f64_e32 v[170:171], v[168:169], v[184:185]
	v_div_scale_f64 v[168:169], s[18:19], v[170:171], v[170:171], 1.0
	v_rcp_f64_e32 v[186:187], v[168:169]
	s_nop 0
	v_fma_f64 v[188:189], -v[168:169], v[186:187], 1.0
	v_fmac_f64_e32 v[186:187], v[186:187], v[188:189]
	v_fma_f64 v[188:189], -v[168:169], v[186:187], 1.0
	v_fmac_f64_e32 v[186:187], v[186:187], v[188:189]
	v_div_scale_f64 v[188:189], vcc, 1.0, v[170:171], 1.0
	v_mul_f64 v[190:191], v[188:189], v[186:187]
	v_fma_f64 v[168:169], -v[168:169], v[190:191], v[188:189]
	s_nop 1
	v_div_fmas_f64 v[168:169], v[168:169], v[186:187], v[190:191]
	v_div_fixup_f64 v[170:171], v[168:169], v[170:171], 1.0
	v_mul_f64 v[168:169], v[184:185], v[170:171]
	v_xor_b32_e32 v171, 0x80000000, v171
.LBB82_91:
	s_andn2_saveexec_b64 s[16:17], s[16:17]
	s_cbranch_execz .LBB82_93
; %bb.92:
	v_div_scale_f64 v[184:185], s[18:19], v[168:169], v[168:169], v[170:171]
	v_rcp_f64_e32 v[186:187], v[184:185]
	v_div_scale_f64 v[188:189], vcc, v[170:171], v[168:169], v[170:171]
	v_fma_f64 v[190:191], -v[184:185], v[186:187], 1.0
	v_fmac_f64_e32 v[186:187], v[186:187], v[190:191]
	v_fma_f64 v[190:191], -v[184:185], v[186:187], 1.0
	v_fmac_f64_e32 v[186:187], v[186:187], v[190:191]
	v_mul_f64 v[190:191], v[188:189], v[186:187]
	v_fma_f64 v[184:185], -v[184:185], v[190:191], v[188:189]
	v_div_fmas_f64 v[184:185], v[184:185], v[186:187], v[190:191]
	v_div_fixup_f64 v[184:185], v[184:185], v[168:169], v[170:171]
	v_fmac_f64_e32 v[168:169], v[170:171], v[184:185]
	v_div_scale_f64 v[170:171], s[18:19], v[168:169], v[168:169], 1.0
	v_rcp_f64_e32 v[186:187], v[170:171]
	s_nop 0
	v_fma_f64 v[188:189], -v[170:171], v[186:187], 1.0
	v_fmac_f64_e32 v[186:187], v[186:187], v[188:189]
	v_fma_f64 v[188:189], -v[170:171], v[186:187], 1.0
	v_fmac_f64_e32 v[186:187], v[186:187], v[188:189]
	v_div_scale_f64 v[188:189], vcc, 1.0, v[168:169], 1.0
	v_mul_f64 v[190:191], v[188:189], v[186:187]
	v_fma_f64 v[170:171], -v[170:171], v[190:191], v[188:189]
	s_nop 1
	v_div_fmas_f64 v[170:171], v[170:171], v[186:187], v[190:191]
	v_div_fixup_f64 v[168:169], v[170:171], v[168:169], 1.0
	v_mul_f64 v[170:171], v[184:185], -v[168:169]
.LBB82_93:
	s_or_b64 exec, exec, s[16:17]
.LBB82_94:
	s_or_b64 exec, exec, s[0:1]
	v_cmp_ne_u32_e32 vcc, v181, v178
	s_and_saveexec_b64 s[0:1], vcc
	s_xor_b64 s[0:1], exec, s[0:1]
	s_cbranch_execz .LBB82_100
; %bb.95:
	v_cmp_eq_u32_e32 vcc, 4, v181
	s_and_saveexec_b64 s[16:17], vcc
	s_cbranch_execz .LBB82_99
; %bb.96:
	v_cmp_ne_u32_e32 vcc, 4, v178
	s_xor_b64 s[18:19], s[14:15], -1
	s_and_b64 s[22:23], s[18:19], vcc
	s_and_saveexec_b64 s[18:19], s[22:23]
	s_cbranch_execz .LBB82_98
; %bb.97:
	v_ashrrev_i32_e32 v179, 31, v178
	v_lshl_add_u64 v[184:185], v[178:179], 2, v[176:177]
	global_load_dword v179, v[184:185], off
	global_load_dword v181, v[176:177], off offset:16
	s_waitcnt vmcnt(1)
	global_store_dword v[176:177], v179, off offset:16
	s_waitcnt vmcnt(1)
	global_store_dword v[184:185], v181, off
.LBB82_98:
	s_or_b64 exec, exec, s[18:19]
	v_mov_b32_e32 v181, v178
	v_mov_b32_e32 v183, v178
.LBB82_99:
	s_or_b64 exec, exec, s[16:17]
.LBB82_100:
	s_andn2_saveexec_b64 s[0:1], s[0:1]
	s_cbranch_execz .LBB82_102
; %bb.101:
	v_mov_b32_e32 v181, 4
	s_waitcnt vmcnt(36)
	ds_write2_b64 v180, v[148:149], v[150:151] offset0:10 offset1:11
	s_waitcnt vmcnt(35)
	ds_write2_b64 v180, v[144:145], v[146:147] offset0:12 offset1:13
	;; [unrolled: 2-line block ×37, first 2 shown]
.LBB82_102:
	s_or_b64 exec, exec, s[0:1]
	v_cmp_lt_i32_e32 vcc, 4, v181
	s_waitcnt lgkmcnt(0)
	s_barrier
	s_and_saveexec_b64 s[0:1], vcc
	s_cbranch_execz .LBB82_104
; %bb.103:
	ds_read2_b64 v[184:187], v180 offset0:10 offset1:11
	v_mul_f64 v[178:179], v[170:171], v[154:155]
	v_mul_f64 v[154:155], v[168:169], v[154:155]
	v_fmac_f64_e32 v[154:155], v[170:171], v[152:153]
	v_fma_f64 v[178:179], v[168:169], v[152:153], -v[178:179]
	ds_read2_b64 v[168:171], v180 offset0:12 offset1:13
	s_waitcnt lgkmcnt(1)
	v_mul_f64 v[152:153], v[186:187], v[154:155]
	v_fma_f64 v[152:153], v[184:185], v[178:179], -v[152:153]
	v_mul_f64 v[184:185], v[184:185], v[154:155]
	v_fmac_f64_e32 v[184:185], v[186:187], v[178:179]
	s_waitcnt vmcnt(36)
	v_add_f64 v[150:151], v[150:151], -v[184:185]
	ds_read2_b64 v[184:187], v180 offset0:14 offset1:15
	v_add_f64 v[148:149], v[148:149], -v[152:153]
	s_waitcnt lgkmcnt(1)
	v_mul_f64 v[152:153], v[170:171], v[154:155]
	v_fma_f64 v[152:153], v[168:169], v[178:179], -v[152:153]
	v_mul_f64 v[168:169], v[168:169], v[154:155]
	v_fmac_f64_e32 v[168:169], v[170:171], v[178:179]
	s_waitcnt vmcnt(35)
	v_add_f64 v[144:145], v[144:145], -v[152:153]
	v_add_f64 v[146:147], v[146:147], -v[168:169]
	ds_read2_b64 v[168:171], v180 offset0:16 offset1:17
	s_waitcnt lgkmcnt(1)
	v_mul_f64 v[152:153], v[186:187], v[154:155]
	v_fma_f64 v[152:153], v[184:185], v[178:179], -v[152:153]
	v_mul_f64 v[184:185], v[184:185], v[154:155]
	v_fmac_f64_e32 v[184:185], v[186:187], v[178:179]
	s_waitcnt vmcnt(34)
	v_add_f64 v[142:143], v[142:143], -v[184:185]
	ds_read2_b64 v[184:187], v180 offset0:18 offset1:19
	v_add_f64 v[140:141], v[140:141], -v[152:153]
	s_waitcnt lgkmcnt(1)
	v_mul_f64 v[152:153], v[170:171], v[154:155]
	v_fma_f64 v[152:153], v[168:169], v[178:179], -v[152:153]
	v_mul_f64 v[168:169], v[168:169], v[154:155]
	v_fmac_f64_e32 v[168:169], v[170:171], v[178:179]
	s_waitcnt vmcnt(33)
	v_add_f64 v[136:137], v[136:137], -v[152:153]
	v_add_f64 v[138:139], v[138:139], -v[168:169]
	;; [unrolled: 18-line block ×18, first 2 shown]
	s_waitcnt lgkmcnt(0)
	v_mul_f64 v[152:153], v[186:187], v[154:155]
	v_mul_f64 v[168:169], v[184:185], v[154:155]
	v_fma_f64 v[152:153], v[184:185], v[178:179], -v[152:153]
	v_fmac_f64_e32 v[168:169], v[186:187], v[178:179]
	s_waitcnt vmcnt(0)
	v_add_f64 v[164:165], v[164:165], -v[152:153]
	v_add_f64 v[166:167], v[166:167], -v[168:169]
	v_mov_b64_e32 v[152:153], v[178:179]
.LBB82_104:
	s_or_b64 exec, exec, s[0:1]
	v_lshl_add_u32 v168, v181, 4, v180
	s_barrier
	s_waitcnt vmcnt(36)
	ds_write2_b64 v168, v[148:149], v[150:151] offset1:1
	s_waitcnt lgkmcnt(0)
	s_barrier
	ds_read2_b64 v[168:171], v180 offset0:10 offset1:11
	s_cmp_lt_i32 s20, 7
	v_mov_b32_e32 v178, 5
	s_cbranch_scc1 .LBB82_107
; %bb.105:
	v_add_u32_e32 v179, 0x60, v180
	s_mov_b32 s16, 6
	v_mov_b32_e32 v178, 5
.LBB82_106:                             ; =>This Inner Loop Header: Depth=1
	ds_read2_b64 v[184:187], v179 offset1:1
	s_waitcnt lgkmcnt(1)
	v_xor_b32_e32 v189, 0x80000000, v169
	v_xor_b32_e32 v191, 0x80000000, v171
	v_cmp_gt_f64_e32 vcc, 0, v[170:171]
	v_cmp_gt_f64_e64 s[0:1], 0, v[168:169]
	v_mov_b32_e32 v188, v168
	v_mov_b32_e32 v190, v170
	v_cndmask_b32_e64 v189, v169, v189, s[0:1]
	v_cndmask_b32_e32 v191, v171, v191, vcc
	v_add_f64 v[188:189], v[188:189], v[190:191]
	s_waitcnt lgkmcnt(0)
	v_xor_b32_e32 v191, 0x80000000, v185
	v_xor_b32_e32 v193, 0x80000000, v187
	v_cmp_gt_f64_e32 vcc, 0, v[186:187]
	v_cmp_gt_f64_e64 s[0:1], 0, v[184:185]
	v_mov_b32_e32 v190, v184
	v_mov_b32_e32 v192, v186
	v_cndmask_b32_e64 v191, v185, v191, s[0:1]
	v_cndmask_b32_e32 v193, v187, v193, vcc
	v_add_f64 v[190:191], v[190:191], v[192:193]
	v_mov_b32_e32 v194, s16
	s_add_i32 s16, s16, 1
	v_cmp_lt_f64_e32 vcc, v[188:189], v[190:191]
	v_add_u32_e32 v179, 16, v179
	s_cmp_lg_u32 s20, s16
	v_cndmask_b32_e32 v169, v169, v185, vcc
	v_cndmask_b32_e32 v168, v168, v184, vcc
	;; [unrolled: 1-line block ×5, first 2 shown]
	s_cbranch_scc1 .LBB82_106
.LBB82_107:
	s_waitcnt lgkmcnt(0)
	v_cmp_eq_f64_e32 vcc, 0, v[168:169]
	v_cmp_eq_f64_e64 s[0:1], 0, v[170:171]
	s_and_b64 s[0:1], vcc, s[0:1]
	s_and_saveexec_b64 s[16:17], s[0:1]
	s_xor_b64 s[0:1], exec, s[16:17]
; %bb.108:
	v_cmp_ne_u32_e32 vcc, 0, v182
	s_nop 1
	v_cndmask_b32_e32 v182, 6, v182, vcc
; %bb.109:
	s_andn2_saveexec_b64 s[0:1], s[0:1]
	s_cbranch_execz .LBB82_115
; %bb.110:
	v_cmp_ngt_f64_e64 s[16:17], |v[168:169]|, |v[170:171]|
	s_and_saveexec_b64 s[18:19], s[16:17]
	s_xor_b64 s[16:17], exec, s[18:19]
	s_cbranch_execz .LBB82_112
; %bb.111:
	v_div_scale_f64 v[184:185], s[18:19], v[170:171], v[170:171], v[168:169]
	v_rcp_f64_e32 v[186:187], v[184:185]
	v_div_scale_f64 v[188:189], vcc, v[168:169], v[170:171], v[168:169]
	v_fma_f64 v[190:191], -v[184:185], v[186:187], 1.0
	v_fmac_f64_e32 v[186:187], v[186:187], v[190:191]
	v_fma_f64 v[190:191], -v[184:185], v[186:187], 1.0
	v_fmac_f64_e32 v[186:187], v[186:187], v[190:191]
	v_mul_f64 v[190:191], v[188:189], v[186:187]
	v_fma_f64 v[184:185], -v[184:185], v[190:191], v[188:189]
	v_div_fmas_f64 v[184:185], v[184:185], v[186:187], v[190:191]
	v_div_fixup_f64 v[184:185], v[184:185], v[170:171], v[168:169]
	v_fmac_f64_e32 v[170:171], v[168:169], v[184:185]
	v_div_scale_f64 v[168:169], s[18:19], v[170:171], v[170:171], 1.0
	v_rcp_f64_e32 v[186:187], v[168:169]
	s_nop 0
	v_fma_f64 v[188:189], -v[168:169], v[186:187], 1.0
	v_fmac_f64_e32 v[186:187], v[186:187], v[188:189]
	v_fma_f64 v[188:189], -v[168:169], v[186:187], 1.0
	v_fmac_f64_e32 v[186:187], v[186:187], v[188:189]
	v_div_scale_f64 v[188:189], vcc, 1.0, v[170:171], 1.0
	v_mul_f64 v[190:191], v[188:189], v[186:187]
	v_fma_f64 v[168:169], -v[168:169], v[190:191], v[188:189]
	s_nop 1
	v_div_fmas_f64 v[168:169], v[168:169], v[186:187], v[190:191]
	v_div_fixup_f64 v[170:171], v[168:169], v[170:171], 1.0
	v_mul_f64 v[168:169], v[184:185], v[170:171]
	v_xor_b32_e32 v171, 0x80000000, v171
.LBB82_112:
	s_andn2_saveexec_b64 s[16:17], s[16:17]
	s_cbranch_execz .LBB82_114
; %bb.113:
	v_div_scale_f64 v[184:185], s[18:19], v[168:169], v[168:169], v[170:171]
	v_rcp_f64_e32 v[186:187], v[184:185]
	v_div_scale_f64 v[188:189], vcc, v[170:171], v[168:169], v[170:171]
	v_fma_f64 v[190:191], -v[184:185], v[186:187], 1.0
	v_fmac_f64_e32 v[186:187], v[186:187], v[190:191]
	v_fma_f64 v[190:191], -v[184:185], v[186:187], 1.0
	v_fmac_f64_e32 v[186:187], v[186:187], v[190:191]
	v_mul_f64 v[190:191], v[188:189], v[186:187]
	v_fma_f64 v[184:185], -v[184:185], v[190:191], v[188:189]
	v_div_fmas_f64 v[184:185], v[184:185], v[186:187], v[190:191]
	v_div_fixup_f64 v[184:185], v[184:185], v[168:169], v[170:171]
	v_fmac_f64_e32 v[168:169], v[170:171], v[184:185]
	v_div_scale_f64 v[170:171], s[18:19], v[168:169], v[168:169], 1.0
	v_rcp_f64_e32 v[186:187], v[170:171]
	s_nop 0
	v_fma_f64 v[188:189], -v[170:171], v[186:187], 1.0
	v_fmac_f64_e32 v[186:187], v[186:187], v[188:189]
	v_fma_f64 v[188:189], -v[170:171], v[186:187], 1.0
	v_fmac_f64_e32 v[186:187], v[186:187], v[188:189]
	v_div_scale_f64 v[188:189], vcc, 1.0, v[168:169], 1.0
	v_mul_f64 v[190:191], v[188:189], v[186:187]
	v_fma_f64 v[170:171], -v[170:171], v[190:191], v[188:189]
	s_nop 1
	v_div_fmas_f64 v[170:171], v[170:171], v[186:187], v[190:191]
	v_div_fixup_f64 v[168:169], v[170:171], v[168:169], 1.0
	v_mul_f64 v[170:171], v[184:185], -v[168:169]
.LBB82_114:
	s_or_b64 exec, exec, s[16:17]
.LBB82_115:
	s_or_b64 exec, exec, s[0:1]
	v_cmp_ne_u32_e32 vcc, v181, v178
	s_and_saveexec_b64 s[0:1], vcc
	s_xor_b64 s[0:1], exec, s[0:1]
	s_cbranch_execz .LBB82_121
; %bb.116:
	v_cmp_eq_u32_e32 vcc, 5, v181
	s_and_saveexec_b64 s[16:17], vcc
	s_cbranch_execz .LBB82_120
; %bb.117:
	v_cmp_ne_u32_e32 vcc, 5, v178
	s_xor_b64 s[18:19], s[14:15], -1
	s_and_b64 s[22:23], s[18:19], vcc
	s_and_saveexec_b64 s[18:19], s[22:23]
	s_cbranch_execz .LBB82_119
; %bb.118:
	v_ashrrev_i32_e32 v179, 31, v178
	v_lshl_add_u64 v[184:185], v[178:179], 2, v[176:177]
	global_load_dword v179, v[184:185], off
	global_load_dword v181, v[176:177], off offset:20
	s_waitcnt vmcnt(1)
	global_store_dword v[176:177], v179, off offset:20
	s_waitcnt vmcnt(1)
	global_store_dword v[184:185], v181, off
.LBB82_119:
	s_or_b64 exec, exec, s[18:19]
	v_mov_b32_e32 v181, v178
	v_mov_b32_e32 v183, v178
.LBB82_120:
	s_or_b64 exec, exec, s[16:17]
.LBB82_121:
	s_andn2_saveexec_b64 s[0:1], s[0:1]
	s_cbranch_execz .LBB82_123
; %bb.122:
	v_mov_b32_e32 v181, 5
	s_waitcnt vmcnt(35)
	ds_write2_b64 v180, v[144:145], v[146:147] offset0:12 offset1:13
	s_waitcnt vmcnt(34)
	ds_write2_b64 v180, v[140:141], v[142:143] offset0:14 offset1:15
	;; [unrolled: 2-line block ×36, first 2 shown]
.LBB82_123:
	s_or_b64 exec, exec, s[0:1]
	v_cmp_lt_i32_e32 vcc, 5, v181
	s_waitcnt lgkmcnt(0)
	s_barrier
	s_and_saveexec_b64 s[0:1], vcc
	s_cbranch_execz .LBB82_125
; %bb.124:
	ds_read2_b64 v[184:187], v180 offset0:12 offset1:13
	v_mul_f64 v[178:179], v[170:171], v[150:151]
	v_mul_f64 v[150:151], v[168:169], v[150:151]
	v_fma_f64 v[178:179], v[168:169], v[148:149], -v[178:179]
	v_fmac_f64_e32 v[150:151], v[170:171], v[148:149]
	ds_read2_b64 v[168:171], v180 offset0:14 offset1:15
	s_waitcnt lgkmcnt(1)
	v_mul_f64 v[148:149], v[186:187], v[150:151]
	v_fma_f64 v[148:149], v[184:185], v[178:179], -v[148:149]
	v_mul_f64 v[184:185], v[184:185], v[150:151]
	v_fmac_f64_e32 v[184:185], v[186:187], v[178:179]
	s_waitcnt vmcnt(35)
	v_add_f64 v[144:145], v[144:145], -v[148:149]
	s_waitcnt lgkmcnt(0)
	v_mul_f64 v[148:149], v[170:171], v[150:151]
	v_add_f64 v[146:147], v[146:147], -v[184:185]
	v_fma_f64 v[148:149], v[168:169], v[178:179], -v[148:149]
	v_mul_f64 v[168:169], v[168:169], v[150:151]
	ds_read2_b64 v[184:187], v180 offset0:16 offset1:17
	v_fmac_f64_e32 v[168:169], v[170:171], v[178:179]
	s_waitcnt vmcnt(34)
	v_add_f64 v[142:143], v[142:143], -v[168:169]
	ds_read2_b64 v[168:171], v180 offset0:18 offset1:19
	v_add_f64 v[140:141], v[140:141], -v[148:149]
	s_waitcnt lgkmcnt(1)
	v_mul_f64 v[148:149], v[186:187], v[150:151]
	v_fma_f64 v[148:149], v[184:185], v[178:179], -v[148:149]
	v_mul_f64 v[184:185], v[184:185], v[150:151]
	v_fmac_f64_e32 v[184:185], v[186:187], v[178:179]
	s_waitcnt vmcnt(33)
	v_add_f64 v[136:137], v[136:137], -v[148:149]
	s_waitcnt lgkmcnt(0)
	v_mul_f64 v[148:149], v[170:171], v[150:151]
	v_add_f64 v[138:139], v[138:139], -v[184:185]
	v_fma_f64 v[148:149], v[168:169], v[178:179], -v[148:149]
	v_mul_f64 v[168:169], v[168:169], v[150:151]
	ds_read2_b64 v[184:187], v180 offset0:20 offset1:21
	v_fmac_f64_e32 v[168:169], v[170:171], v[178:179]
	s_waitcnt vmcnt(32)
	v_add_f64 v[134:135], v[134:135], -v[168:169]
	ds_read2_b64 v[168:171], v180 offset0:22 offset1:23
	v_add_f64 v[132:133], v[132:133], -v[148:149]
	;; [unrolled: 18-line block ×17, first 2 shown]
	s_waitcnt lgkmcnt(1)
	v_mul_f64 v[148:149], v[186:187], v[150:151]
	v_fma_f64 v[148:149], v[184:185], v[178:179], -v[148:149]
	s_waitcnt vmcnt(1)
	v_add_f64 v[0:1], v[0:1], -v[148:149]
	s_waitcnt lgkmcnt(0)
	v_mul_f64 v[148:149], v[170:171], v[150:151]
	v_mul_f64 v[184:185], v[184:185], v[150:151]
	v_fma_f64 v[148:149], v[168:169], v[178:179], -v[148:149]
	v_mul_f64 v[168:169], v[168:169], v[150:151]
	v_fmac_f64_e32 v[184:185], v[186:187], v[178:179]
	v_fmac_f64_e32 v[168:169], v[170:171], v[178:179]
	v_add_f64 v[2:3], v[2:3], -v[184:185]
	s_waitcnt vmcnt(0)
	v_add_f64 v[164:165], v[164:165], -v[148:149]
	v_add_f64 v[166:167], v[166:167], -v[168:169]
	v_mov_b64_e32 v[148:149], v[178:179]
.LBB82_125:
	s_or_b64 exec, exec, s[0:1]
	v_lshl_add_u32 v168, v181, 4, v180
	s_barrier
	s_waitcnt vmcnt(35)
	ds_write2_b64 v168, v[144:145], v[146:147] offset1:1
	s_waitcnt lgkmcnt(0)
	s_barrier
	ds_read2_b64 v[168:171], v180 offset0:12 offset1:13
	s_cmp_lt_i32 s20, 8
	v_mov_b32_e32 v178, 6
	s_cbranch_scc1 .LBB82_128
; %bb.126:
	v_add_u32_e32 v179, 0x70, v180
	s_mov_b32 s16, 7
	v_mov_b32_e32 v178, 6
.LBB82_127:                             ; =>This Inner Loop Header: Depth=1
	ds_read2_b64 v[184:187], v179 offset1:1
	s_waitcnt lgkmcnt(1)
	v_xor_b32_e32 v189, 0x80000000, v169
	v_xor_b32_e32 v191, 0x80000000, v171
	v_cmp_gt_f64_e32 vcc, 0, v[170:171]
	v_cmp_gt_f64_e64 s[0:1], 0, v[168:169]
	v_mov_b32_e32 v188, v168
	v_mov_b32_e32 v190, v170
	v_cndmask_b32_e64 v189, v169, v189, s[0:1]
	v_cndmask_b32_e32 v191, v171, v191, vcc
	v_add_f64 v[188:189], v[188:189], v[190:191]
	s_waitcnt lgkmcnt(0)
	v_xor_b32_e32 v191, 0x80000000, v185
	v_xor_b32_e32 v193, 0x80000000, v187
	v_cmp_gt_f64_e32 vcc, 0, v[186:187]
	v_cmp_gt_f64_e64 s[0:1], 0, v[184:185]
	v_mov_b32_e32 v190, v184
	v_mov_b32_e32 v192, v186
	v_cndmask_b32_e64 v191, v185, v191, s[0:1]
	v_cndmask_b32_e32 v193, v187, v193, vcc
	v_add_f64 v[190:191], v[190:191], v[192:193]
	v_mov_b32_e32 v194, s16
	s_add_i32 s16, s16, 1
	v_cmp_lt_f64_e32 vcc, v[188:189], v[190:191]
	v_add_u32_e32 v179, 16, v179
	s_cmp_lg_u32 s20, s16
	v_cndmask_b32_e32 v169, v169, v185, vcc
	v_cndmask_b32_e32 v168, v168, v184, vcc
	;; [unrolled: 1-line block ×5, first 2 shown]
	s_cbranch_scc1 .LBB82_127
.LBB82_128:
	s_waitcnt lgkmcnt(0)
	v_cmp_eq_f64_e32 vcc, 0, v[168:169]
	v_cmp_eq_f64_e64 s[0:1], 0, v[170:171]
	s_and_b64 s[0:1], vcc, s[0:1]
	s_and_saveexec_b64 s[16:17], s[0:1]
	s_xor_b64 s[0:1], exec, s[16:17]
; %bb.129:
	v_cmp_ne_u32_e32 vcc, 0, v182
	s_nop 1
	v_cndmask_b32_e32 v182, 7, v182, vcc
; %bb.130:
	s_andn2_saveexec_b64 s[0:1], s[0:1]
	s_cbranch_execz .LBB82_136
; %bb.131:
	v_cmp_ngt_f64_e64 s[16:17], |v[168:169]|, |v[170:171]|
	s_and_saveexec_b64 s[18:19], s[16:17]
	s_xor_b64 s[16:17], exec, s[18:19]
	s_cbranch_execz .LBB82_133
; %bb.132:
	v_div_scale_f64 v[184:185], s[18:19], v[170:171], v[170:171], v[168:169]
	v_rcp_f64_e32 v[186:187], v[184:185]
	v_div_scale_f64 v[188:189], vcc, v[168:169], v[170:171], v[168:169]
	v_fma_f64 v[190:191], -v[184:185], v[186:187], 1.0
	v_fmac_f64_e32 v[186:187], v[186:187], v[190:191]
	v_fma_f64 v[190:191], -v[184:185], v[186:187], 1.0
	v_fmac_f64_e32 v[186:187], v[186:187], v[190:191]
	v_mul_f64 v[190:191], v[188:189], v[186:187]
	v_fma_f64 v[184:185], -v[184:185], v[190:191], v[188:189]
	v_div_fmas_f64 v[184:185], v[184:185], v[186:187], v[190:191]
	v_div_fixup_f64 v[184:185], v[184:185], v[170:171], v[168:169]
	v_fmac_f64_e32 v[170:171], v[168:169], v[184:185]
	v_div_scale_f64 v[168:169], s[18:19], v[170:171], v[170:171], 1.0
	v_rcp_f64_e32 v[186:187], v[168:169]
	s_nop 0
	v_fma_f64 v[188:189], -v[168:169], v[186:187], 1.0
	v_fmac_f64_e32 v[186:187], v[186:187], v[188:189]
	v_fma_f64 v[188:189], -v[168:169], v[186:187], 1.0
	v_fmac_f64_e32 v[186:187], v[186:187], v[188:189]
	v_div_scale_f64 v[188:189], vcc, 1.0, v[170:171], 1.0
	v_mul_f64 v[190:191], v[188:189], v[186:187]
	v_fma_f64 v[168:169], -v[168:169], v[190:191], v[188:189]
	s_nop 1
	v_div_fmas_f64 v[168:169], v[168:169], v[186:187], v[190:191]
	v_div_fixup_f64 v[170:171], v[168:169], v[170:171], 1.0
	v_mul_f64 v[168:169], v[184:185], v[170:171]
	v_xor_b32_e32 v171, 0x80000000, v171
.LBB82_133:
	s_andn2_saveexec_b64 s[16:17], s[16:17]
	s_cbranch_execz .LBB82_135
; %bb.134:
	v_div_scale_f64 v[184:185], s[18:19], v[168:169], v[168:169], v[170:171]
	v_rcp_f64_e32 v[186:187], v[184:185]
	v_div_scale_f64 v[188:189], vcc, v[170:171], v[168:169], v[170:171]
	v_fma_f64 v[190:191], -v[184:185], v[186:187], 1.0
	v_fmac_f64_e32 v[186:187], v[186:187], v[190:191]
	v_fma_f64 v[190:191], -v[184:185], v[186:187], 1.0
	v_fmac_f64_e32 v[186:187], v[186:187], v[190:191]
	v_mul_f64 v[190:191], v[188:189], v[186:187]
	v_fma_f64 v[184:185], -v[184:185], v[190:191], v[188:189]
	v_div_fmas_f64 v[184:185], v[184:185], v[186:187], v[190:191]
	v_div_fixup_f64 v[184:185], v[184:185], v[168:169], v[170:171]
	v_fmac_f64_e32 v[168:169], v[170:171], v[184:185]
	v_div_scale_f64 v[170:171], s[18:19], v[168:169], v[168:169], 1.0
	v_rcp_f64_e32 v[186:187], v[170:171]
	s_nop 0
	v_fma_f64 v[188:189], -v[170:171], v[186:187], 1.0
	v_fmac_f64_e32 v[186:187], v[186:187], v[188:189]
	v_fma_f64 v[188:189], -v[170:171], v[186:187], 1.0
	v_fmac_f64_e32 v[186:187], v[186:187], v[188:189]
	v_div_scale_f64 v[188:189], vcc, 1.0, v[168:169], 1.0
	v_mul_f64 v[190:191], v[188:189], v[186:187]
	v_fma_f64 v[170:171], -v[170:171], v[190:191], v[188:189]
	s_nop 1
	v_div_fmas_f64 v[170:171], v[170:171], v[186:187], v[190:191]
	v_div_fixup_f64 v[168:169], v[170:171], v[168:169], 1.0
	v_mul_f64 v[170:171], v[184:185], -v[168:169]
.LBB82_135:
	s_or_b64 exec, exec, s[16:17]
.LBB82_136:
	s_or_b64 exec, exec, s[0:1]
	v_cmp_ne_u32_e32 vcc, v181, v178
	s_and_saveexec_b64 s[0:1], vcc
	s_xor_b64 s[0:1], exec, s[0:1]
	s_cbranch_execz .LBB82_142
; %bb.137:
	v_cmp_eq_u32_e32 vcc, 6, v181
	s_and_saveexec_b64 s[16:17], vcc
	s_cbranch_execz .LBB82_141
; %bb.138:
	v_cmp_ne_u32_e32 vcc, 6, v178
	s_xor_b64 s[18:19], s[14:15], -1
	s_and_b64 s[22:23], s[18:19], vcc
	s_and_saveexec_b64 s[18:19], s[22:23]
	s_cbranch_execz .LBB82_140
; %bb.139:
	v_ashrrev_i32_e32 v179, 31, v178
	v_lshl_add_u64 v[184:185], v[178:179], 2, v[176:177]
	global_load_dword v179, v[184:185], off
	global_load_dword v181, v[176:177], off offset:24
	s_waitcnt vmcnt(1)
	global_store_dword v[176:177], v179, off offset:24
	s_waitcnt vmcnt(1)
	global_store_dword v[184:185], v181, off
.LBB82_140:
	s_or_b64 exec, exec, s[18:19]
	v_mov_b32_e32 v181, v178
	v_mov_b32_e32 v183, v178
.LBB82_141:
	s_or_b64 exec, exec, s[16:17]
.LBB82_142:
	s_andn2_saveexec_b64 s[0:1], s[0:1]
	s_cbranch_execz .LBB82_144
; %bb.143:
	v_mov_b32_e32 v181, 6
	s_waitcnt vmcnt(34)
	ds_write2_b64 v180, v[140:141], v[142:143] offset0:14 offset1:15
	s_waitcnt vmcnt(33)
	ds_write2_b64 v180, v[136:137], v[138:139] offset0:16 offset1:17
	;; [unrolled: 2-line block ×35, first 2 shown]
.LBB82_144:
	s_or_b64 exec, exec, s[0:1]
	v_cmp_lt_i32_e32 vcc, 6, v181
	s_waitcnt lgkmcnt(0)
	s_barrier
	s_and_saveexec_b64 s[0:1], vcc
	s_cbranch_execz .LBB82_146
; %bb.145:
	ds_read2_b64 v[184:187], v180 offset0:14 offset1:15
	v_mul_f64 v[178:179], v[170:171], v[146:147]
	v_mul_f64 v[146:147], v[168:169], v[146:147]
	v_fmac_f64_e32 v[146:147], v[170:171], v[144:145]
	v_fma_f64 v[178:179], v[168:169], v[144:145], -v[178:179]
	ds_read2_b64 v[168:171], v180 offset0:16 offset1:17
	s_waitcnt lgkmcnt(1)
	v_mul_f64 v[144:145], v[186:187], v[146:147]
	v_fma_f64 v[144:145], v[184:185], v[178:179], -v[144:145]
	v_mul_f64 v[184:185], v[184:185], v[146:147]
	v_fmac_f64_e32 v[184:185], v[186:187], v[178:179]
	s_waitcnt vmcnt(34)
	v_add_f64 v[142:143], v[142:143], -v[184:185]
	ds_read2_b64 v[184:187], v180 offset0:18 offset1:19
	v_add_f64 v[140:141], v[140:141], -v[144:145]
	s_waitcnt lgkmcnt(1)
	v_mul_f64 v[144:145], v[170:171], v[146:147]
	v_fma_f64 v[144:145], v[168:169], v[178:179], -v[144:145]
	v_mul_f64 v[168:169], v[168:169], v[146:147]
	v_fmac_f64_e32 v[168:169], v[170:171], v[178:179]
	s_waitcnt vmcnt(33)
	v_add_f64 v[136:137], v[136:137], -v[144:145]
	v_add_f64 v[138:139], v[138:139], -v[168:169]
	ds_read2_b64 v[168:171], v180 offset0:20 offset1:21
	s_waitcnt lgkmcnt(1)
	v_mul_f64 v[144:145], v[186:187], v[146:147]
	v_fma_f64 v[144:145], v[184:185], v[178:179], -v[144:145]
	v_mul_f64 v[184:185], v[184:185], v[146:147]
	v_fmac_f64_e32 v[184:185], v[186:187], v[178:179]
	s_waitcnt vmcnt(32)
	v_add_f64 v[134:135], v[134:135], -v[184:185]
	ds_read2_b64 v[184:187], v180 offset0:22 offset1:23
	v_add_f64 v[132:133], v[132:133], -v[144:145]
	s_waitcnt lgkmcnt(1)
	v_mul_f64 v[144:145], v[170:171], v[146:147]
	v_fma_f64 v[144:145], v[168:169], v[178:179], -v[144:145]
	v_mul_f64 v[168:169], v[168:169], v[146:147]
	v_fmac_f64_e32 v[168:169], v[170:171], v[178:179]
	s_waitcnt vmcnt(31)
	v_add_f64 v[128:129], v[128:129], -v[144:145]
	v_add_f64 v[130:131], v[130:131], -v[168:169]
	;; [unrolled: 18-line block ×17, first 2 shown]
	s_waitcnt lgkmcnt(0)
	v_mul_f64 v[144:145], v[186:187], v[146:147]
	v_mul_f64 v[168:169], v[184:185], v[146:147]
	v_fma_f64 v[144:145], v[184:185], v[178:179], -v[144:145]
	v_fmac_f64_e32 v[168:169], v[186:187], v[178:179]
	s_waitcnt vmcnt(0)
	v_add_f64 v[164:165], v[164:165], -v[144:145]
	v_add_f64 v[166:167], v[166:167], -v[168:169]
	v_mov_b64_e32 v[144:145], v[178:179]
.LBB82_146:
	s_or_b64 exec, exec, s[0:1]
	v_lshl_add_u32 v168, v181, 4, v180
	s_barrier
	s_waitcnt vmcnt(34)
	ds_write2_b64 v168, v[140:141], v[142:143] offset1:1
	s_waitcnt lgkmcnt(0)
	s_barrier
	ds_read2_b64 v[168:171], v180 offset0:14 offset1:15
	s_cmp_lt_i32 s20, 9
	v_mov_b32_e32 v178, 7
	s_cbranch_scc1 .LBB82_149
; %bb.147:
	v_add_u32_e32 v179, 0x80, v180
	s_mov_b32 s16, 8
	v_mov_b32_e32 v178, 7
.LBB82_148:                             ; =>This Inner Loop Header: Depth=1
	ds_read2_b64 v[184:187], v179 offset1:1
	s_waitcnt lgkmcnt(1)
	v_xor_b32_e32 v189, 0x80000000, v169
	v_xor_b32_e32 v191, 0x80000000, v171
	v_cmp_gt_f64_e32 vcc, 0, v[170:171]
	v_cmp_gt_f64_e64 s[0:1], 0, v[168:169]
	v_mov_b32_e32 v188, v168
	v_mov_b32_e32 v190, v170
	v_cndmask_b32_e64 v189, v169, v189, s[0:1]
	v_cndmask_b32_e32 v191, v171, v191, vcc
	v_add_f64 v[188:189], v[188:189], v[190:191]
	s_waitcnt lgkmcnt(0)
	v_xor_b32_e32 v191, 0x80000000, v185
	v_xor_b32_e32 v193, 0x80000000, v187
	v_cmp_gt_f64_e32 vcc, 0, v[186:187]
	v_cmp_gt_f64_e64 s[0:1], 0, v[184:185]
	v_mov_b32_e32 v190, v184
	v_mov_b32_e32 v192, v186
	v_cndmask_b32_e64 v191, v185, v191, s[0:1]
	v_cndmask_b32_e32 v193, v187, v193, vcc
	v_add_f64 v[190:191], v[190:191], v[192:193]
	v_mov_b32_e32 v194, s16
	s_add_i32 s16, s16, 1
	v_cmp_lt_f64_e32 vcc, v[188:189], v[190:191]
	v_add_u32_e32 v179, 16, v179
	s_cmp_lg_u32 s20, s16
	v_cndmask_b32_e32 v169, v169, v185, vcc
	v_cndmask_b32_e32 v168, v168, v184, vcc
	;; [unrolled: 1-line block ×5, first 2 shown]
	s_cbranch_scc1 .LBB82_148
.LBB82_149:
	s_waitcnt lgkmcnt(0)
	v_cmp_eq_f64_e32 vcc, 0, v[168:169]
	v_cmp_eq_f64_e64 s[0:1], 0, v[170:171]
	s_and_b64 s[0:1], vcc, s[0:1]
	s_and_saveexec_b64 s[16:17], s[0:1]
	s_xor_b64 s[0:1], exec, s[16:17]
; %bb.150:
	v_cmp_ne_u32_e32 vcc, 0, v182
	s_nop 1
	v_cndmask_b32_e32 v182, 8, v182, vcc
; %bb.151:
	s_andn2_saveexec_b64 s[0:1], s[0:1]
	s_cbranch_execz .LBB82_157
; %bb.152:
	v_cmp_ngt_f64_e64 s[16:17], |v[168:169]|, |v[170:171]|
	s_and_saveexec_b64 s[18:19], s[16:17]
	s_xor_b64 s[16:17], exec, s[18:19]
	s_cbranch_execz .LBB82_154
; %bb.153:
	v_div_scale_f64 v[184:185], s[18:19], v[170:171], v[170:171], v[168:169]
	v_rcp_f64_e32 v[186:187], v[184:185]
	v_div_scale_f64 v[188:189], vcc, v[168:169], v[170:171], v[168:169]
	v_fma_f64 v[190:191], -v[184:185], v[186:187], 1.0
	v_fmac_f64_e32 v[186:187], v[186:187], v[190:191]
	v_fma_f64 v[190:191], -v[184:185], v[186:187], 1.0
	v_fmac_f64_e32 v[186:187], v[186:187], v[190:191]
	v_mul_f64 v[190:191], v[188:189], v[186:187]
	v_fma_f64 v[184:185], -v[184:185], v[190:191], v[188:189]
	v_div_fmas_f64 v[184:185], v[184:185], v[186:187], v[190:191]
	v_div_fixup_f64 v[184:185], v[184:185], v[170:171], v[168:169]
	v_fmac_f64_e32 v[170:171], v[168:169], v[184:185]
	v_div_scale_f64 v[168:169], s[18:19], v[170:171], v[170:171], 1.0
	v_rcp_f64_e32 v[186:187], v[168:169]
	s_nop 0
	v_fma_f64 v[188:189], -v[168:169], v[186:187], 1.0
	v_fmac_f64_e32 v[186:187], v[186:187], v[188:189]
	v_fma_f64 v[188:189], -v[168:169], v[186:187], 1.0
	v_fmac_f64_e32 v[186:187], v[186:187], v[188:189]
	v_div_scale_f64 v[188:189], vcc, 1.0, v[170:171], 1.0
	v_mul_f64 v[190:191], v[188:189], v[186:187]
	v_fma_f64 v[168:169], -v[168:169], v[190:191], v[188:189]
	s_nop 1
	v_div_fmas_f64 v[168:169], v[168:169], v[186:187], v[190:191]
	v_div_fixup_f64 v[170:171], v[168:169], v[170:171], 1.0
	v_mul_f64 v[168:169], v[184:185], v[170:171]
	v_xor_b32_e32 v171, 0x80000000, v171
.LBB82_154:
	s_andn2_saveexec_b64 s[16:17], s[16:17]
	s_cbranch_execz .LBB82_156
; %bb.155:
	v_div_scale_f64 v[184:185], s[18:19], v[168:169], v[168:169], v[170:171]
	v_rcp_f64_e32 v[186:187], v[184:185]
	v_div_scale_f64 v[188:189], vcc, v[170:171], v[168:169], v[170:171]
	v_fma_f64 v[190:191], -v[184:185], v[186:187], 1.0
	v_fmac_f64_e32 v[186:187], v[186:187], v[190:191]
	v_fma_f64 v[190:191], -v[184:185], v[186:187], 1.0
	v_fmac_f64_e32 v[186:187], v[186:187], v[190:191]
	v_mul_f64 v[190:191], v[188:189], v[186:187]
	v_fma_f64 v[184:185], -v[184:185], v[190:191], v[188:189]
	v_div_fmas_f64 v[184:185], v[184:185], v[186:187], v[190:191]
	v_div_fixup_f64 v[184:185], v[184:185], v[168:169], v[170:171]
	v_fmac_f64_e32 v[168:169], v[170:171], v[184:185]
	v_div_scale_f64 v[170:171], s[18:19], v[168:169], v[168:169], 1.0
	v_rcp_f64_e32 v[186:187], v[170:171]
	s_nop 0
	v_fma_f64 v[188:189], -v[170:171], v[186:187], 1.0
	v_fmac_f64_e32 v[186:187], v[186:187], v[188:189]
	v_fma_f64 v[188:189], -v[170:171], v[186:187], 1.0
	v_fmac_f64_e32 v[186:187], v[186:187], v[188:189]
	v_div_scale_f64 v[188:189], vcc, 1.0, v[168:169], 1.0
	v_mul_f64 v[190:191], v[188:189], v[186:187]
	v_fma_f64 v[170:171], -v[170:171], v[190:191], v[188:189]
	s_nop 1
	v_div_fmas_f64 v[170:171], v[170:171], v[186:187], v[190:191]
	v_div_fixup_f64 v[168:169], v[170:171], v[168:169], 1.0
	v_mul_f64 v[170:171], v[184:185], -v[168:169]
.LBB82_156:
	s_or_b64 exec, exec, s[16:17]
.LBB82_157:
	s_or_b64 exec, exec, s[0:1]
	v_cmp_ne_u32_e32 vcc, v181, v178
	s_and_saveexec_b64 s[0:1], vcc
	s_xor_b64 s[0:1], exec, s[0:1]
	s_cbranch_execz .LBB82_163
; %bb.158:
	v_cmp_eq_u32_e32 vcc, 7, v181
	s_and_saveexec_b64 s[16:17], vcc
	s_cbranch_execz .LBB82_162
; %bb.159:
	v_cmp_ne_u32_e32 vcc, 7, v178
	s_xor_b64 s[18:19], s[14:15], -1
	s_and_b64 s[22:23], s[18:19], vcc
	s_and_saveexec_b64 s[18:19], s[22:23]
	s_cbranch_execz .LBB82_161
; %bb.160:
	v_ashrrev_i32_e32 v179, 31, v178
	v_lshl_add_u64 v[184:185], v[178:179], 2, v[176:177]
	global_load_dword v179, v[184:185], off
	global_load_dword v181, v[176:177], off offset:28
	s_waitcnt vmcnt(1)
	global_store_dword v[176:177], v179, off offset:28
	s_waitcnt vmcnt(1)
	global_store_dword v[184:185], v181, off
.LBB82_161:
	s_or_b64 exec, exec, s[18:19]
	v_mov_b32_e32 v181, v178
	v_mov_b32_e32 v183, v178
.LBB82_162:
	s_or_b64 exec, exec, s[16:17]
.LBB82_163:
	s_andn2_saveexec_b64 s[0:1], s[0:1]
	s_cbranch_execz .LBB82_165
; %bb.164:
	v_mov_b32_e32 v181, 7
	s_waitcnt vmcnt(33)
	ds_write2_b64 v180, v[136:137], v[138:139] offset0:16 offset1:17
	s_waitcnt vmcnt(32)
	ds_write2_b64 v180, v[132:133], v[134:135] offset0:18 offset1:19
	;; [unrolled: 2-line block ×34, first 2 shown]
.LBB82_165:
	s_or_b64 exec, exec, s[0:1]
	v_cmp_lt_i32_e32 vcc, 7, v181
	s_waitcnt lgkmcnt(0)
	s_barrier
	s_and_saveexec_b64 s[0:1], vcc
	s_cbranch_execz .LBB82_167
; %bb.166:
	ds_read2_b64 v[184:187], v180 offset0:16 offset1:17
	v_mul_f64 v[178:179], v[170:171], v[142:143]
	v_mul_f64 v[142:143], v[168:169], v[142:143]
	v_fma_f64 v[178:179], v[168:169], v[140:141], -v[178:179]
	v_fmac_f64_e32 v[142:143], v[170:171], v[140:141]
	ds_read2_b64 v[168:171], v180 offset0:18 offset1:19
	s_waitcnt lgkmcnt(1)
	v_mul_f64 v[140:141], v[186:187], v[142:143]
	v_fma_f64 v[140:141], v[184:185], v[178:179], -v[140:141]
	v_mul_f64 v[184:185], v[184:185], v[142:143]
	v_fmac_f64_e32 v[184:185], v[186:187], v[178:179]
	s_waitcnt vmcnt(33)
	v_add_f64 v[136:137], v[136:137], -v[140:141]
	s_waitcnt lgkmcnt(0)
	v_mul_f64 v[140:141], v[170:171], v[142:143]
	v_add_f64 v[138:139], v[138:139], -v[184:185]
	v_fma_f64 v[140:141], v[168:169], v[178:179], -v[140:141]
	v_mul_f64 v[168:169], v[168:169], v[142:143]
	ds_read2_b64 v[184:187], v180 offset0:20 offset1:21
	v_fmac_f64_e32 v[168:169], v[170:171], v[178:179]
	s_waitcnt vmcnt(32)
	v_add_f64 v[134:135], v[134:135], -v[168:169]
	ds_read2_b64 v[168:171], v180 offset0:22 offset1:23
	v_add_f64 v[132:133], v[132:133], -v[140:141]
	s_waitcnt lgkmcnt(1)
	v_mul_f64 v[140:141], v[186:187], v[142:143]
	v_fma_f64 v[140:141], v[184:185], v[178:179], -v[140:141]
	v_mul_f64 v[184:185], v[184:185], v[142:143]
	v_fmac_f64_e32 v[184:185], v[186:187], v[178:179]
	s_waitcnt vmcnt(31)
	v_add_f64 v[128:129], v[128:129], -v[140:141]
	s_waitcnt lgkmcnt(0)
	v_mul_f64 v[140:141], v[170:171], v[142:143]
	v_add_f64 v[130:131], v[130:131], -v[184:185]
	v_fma_f64 v[140:141], v[168:169], v[178:179], -v[140:141]
	v_mul_f64 v[168:169], v[168:169], v[142:143]
	ds_read2_b64 v[184:187], v180 offset0:24 offset1:25
	v_fmac_f64_e32 v[168:169], v[170:171], v[178:179]
	s_waitcnt vmcnt(30)
	v_add_f64 v[126:127], v[126:127], -v[168:169]
	ds_read2_b64 v[168:171], v180 offset0:26 offset1:27
	v_add_f64 v[124:125], v[124:125], -v[140:141]
	;; [unrolled: 18-line block ×16, first 2 shown]
	s_waitcnt lgkmcnt(1)
	v_mul_f64 v[140:141], v[186:187], v[142:143]
	v_fma_f64 v[140:141], v[184:185], v[178:179], -v[140:141]
	s_waitcnt vmcnt(1)
	v_add_f64 v[0:1], v[0:1], -v[140:141]
	s_waitcnt lgkmcnt(0)
	v_mul_f64 v[140:141], v[170:171], v[142:143]
	v_mul_f64 v[184:185], v[184:185], v[142:143]
	v_fma_f64 v[140:141], v[168:169], v[178:179], -v[140:141]
	v_mul_f64 v[168:169], v[168:169], v[142:143]
	v_fmac_f64_e32 v[184:185], v[186:187], v[178:179]
	v_fmac_f64_e32 v[168:169], v[170:171], v[178:179]
	v_add_f64 v[2:3], v[2:3], -v[184:185]
	s_waitcnt vmcnt(0)
	v_add_f64 v[164:165], v[164:165], -v[140:141]
	v_add_f64 v[166:167], v[166:167], -v[168:169]
	v_mov_b64_e32 v[140:141], v[178:179]
.LBB82_167:
	s_or_b64 exec, exec, s[0:1]
	v_lshl_add_u32 v168, v181, 4, v180
	s_barrier
	s_waitcnt vmcnt(33)
	ds_write2_b64 v168, v[136:137], v[138:139] offset1:1
	s_waitcnt lgkmcnt(0)
	s_barrier
	ds_read2_b64 v[168:171], v180 offset0:16 offset1:17
	s_cmp_lt_i32 s20, 10
	v_mov_b32_e32 v178, 8
	s_cbranch_scc1 .LBB82_170
; %bb.168:
	v_add_u32_e32 v179, 0x90, v180
	s_mov_b32 s16, 9
	v_mov_b32_e32 v178, 8
.LBB82_169:                             ; =>This Inner Loop Header: Depth=1
	ds_read2_b64 v[184:187], v179 offset1:1
	s_waitcnt lgkmcnt(1)
	v_xor_b32_e32 v189, 0x80000000, v169
	v_xor_b32_e32 v191, 0x80000000, v171
	v_cmp_gt_f64_e32 vcc, 0, v[170:171]
	v_cmp_gt_f64_e64 s[0:1], 0, v[168:169]
	v_mov_b32_e32 v188, v168
	v_mov_b32_e32 v190, v170
	v_cndmask_b32_e64 v189, v169, v189, s[0:1]
	v_cndmask_b32_e32 v191, v171, v191, vcc
	v_add_f64 v[188:189], v[188:189], v[190:191]
	s_waitcnt lgkmcnt(0)
	v_xor_b32_e32 v191, 0x80000000, v185
	v_xor_b32_e32 v193, 0x80000000, v187
	v_cmp_gt_f64_e32 vcc, 0, v[186:187]
	v_cmp_gt_f64_e64 s[0:1], 0, v[184:185]
	v_mov_b32_e32 v190, v184
	v_mov_b32_e32 v192, v186
	v_cndmask_b32_e64 v191, v185, v191, s[0:1]
	v_cndmask_b32_e32 v193, v187, v193, vcc
	v_add_f64 v[190:191], v[190:191], v[192:193]
	v_mov_b32_e32 v194, s16
	s_add_i32 s16, s16, 1
	v_cmp_lt_f64_e32 vcc, v[188:189], v[190:191]
	v_add_u32_e32 v179, 16, v179
	s_cmp_lg_u32 s20, s16
	v_cndmask_b32_e32 v169, v169, v185, vcc
	v_cndmask_b32_e32 v168, v168, v184, vcc
	;; [unrolled: 1-line block ×5, first 2 shown]
	s_cbranch_scc1 .LBB82_169
.LBB82_170:
	s_waitcnt lgkmcnt(0)
	v_cmp_eq_f64_e32 vcc, 0, v[168:169]
	v_cmp_eq_f64_e64 s[0:1], 0, v[170:171]
	s_and_b64 s[0:1], vcc, s[0:1]
	s_and_saveexec_b64 s[16:17], s[0:1]
	s_xor_b64 s[0:1], exec, s[16:17]
; %bb.171:
	v_cmp_ne_u32_e32 vcc, 0, v182
	s_nop 1
	v_cndmask_b32_e32 v182, 9, v182, vcc
; %bb.172:
	s_andn2_saveexec_b64 s[0:1], s[0:1]
	s_cbranch_execz .LBB82_178
; %bb.173:
	v_cmp_ngt_f64_e64 s[16:17], |v[168:169]|, |v[170:171]|
	s_and_saveexec_b64 s[18:19], s[16:17]
	s_xor_b64 s[16:17], exec, s[18:19]
	s_cbranch_execz .LBB82_175
; %bb.174:
	v_div_scale_f64 v[184:185], s[18:19], v[170:171], v[170:171], v[168:169]
	v_rcp_f64_e32 v[186:187], v[184:185]
	v_div_scale_f64 v[188:189], vcc, v[168:169], v[170:171], v[168:169]
	v_fma_f64 v[190:191], -v[184:185], v[186:187], 1.0
	v_fmac_f64_e32 v[186:187], v[186:187], v[190:191]
	v_fma_f64 v[190:191], -v[184:185], v[186:187], 1.0
	v_fmac_f64_e32 v[186:187], v[186:187], v[190:191]
	v_mul_f64 v[190:191], v[188:189], v[186:187]
	v_fma_f64 v[184:185], -v[184:185], v[190:191], v[188:189]
	v_div_fmas_f64 v[184:185], v[184:185], v[186:187], v[190:191]
	v_div_fixup_f64 v[184:185], v[184:185], v[170:171], v[168:169]
	v_fmac_f64_e32 v[170:171], v[168:169], v[184:185]
	v_div_scale_f64 v[168:169], s[18:19], v[170:171], v[170:171], 1.0
	v_rcp_f64_e32 v[186:187], v[168:169]
	s_nop 0
	v_fma_f64 v[188:189], -v[168:169], v[186:187], 1.0
	v_fmac_f64_e32 v[186:187], v[186:187], v[188:189]
	v_fma_f64 v[188:189], -v[168:169], v[186:187], 1.0
	v_fmac_f64_e32 v[186:187], v[186:187], v[188:189]
	v_div_scale_f64 v[188:189], vcc, 1.0, v[170:171], 1.0
	v_mul_f64 v[190:191], v[188:189], v[186:187]
	v_fma_f64 v[168:169], -v[168:169], v[190:191], v[188:189]
	s_nop 1
	v_div_fmas_f64 v[168:169], v[168:169], v[186:187], v[190:191]
	v_div_fixup_f64 v[170:171], v[168:169], v[170:171], 1.0
	v_mul_f64 v[168:169], v[184:185], v[170:171]
	v_xor_b32_e32 v171, 0x80000000, v171
.LBB82_175:
	s_andn2_saveexec_b64 s[16:17], s[16:17]
	s_cbranch_execz .LBB82_177
; %bb.176:
	v_div_scale_f64 v[184:185], s[18:19], v[168:169], v[168:169], v[170:171]
	v_rcp_f64_e32 v[186:187], v[184:185]
	v_div_scale_f64 v[188:189], vcc, v[170:171], v[168:169], v[170:171]
	v_fma_f64 v[190:191], -v[184:185], v[186:187], 1.0
	v_fmac_f64_e32 v[186:187], v[186:187], v[190:191]
	v_fma_f64 v[190:191], -v[184:185], v[186:187], 1.0
	v_fmac_f64_e32 v[186:187], v[186:187], v[190:191]
	v_mul_f64 v[190:191], v[188:189], v[186:187]
	v_fma_f64 v[184:185], -v[184:185], v[190:191], v[188:189]
	v_div_fmas_f64 v[184:185], v[184:185], v[186:187], v[190:191]
	v_div_fixup_f64 v[184:185], v[184:185], v[168:169], v[170:171]
	v_fmac_f64_e32 v[168:169], v[170:171], v[184:185]
	v_div_scale_f64 v[170:171], s[18:19], v[168:169], v[168:169], 1.0
	v_rcp_f64_e32 v[186:187], v[170:171]
	s_nop 0
	v_fma_f64 v[188:189], -v[170:171], v[186:187], 1.0
	v_fmac_f64_e32 v[186:187], v[186:187], v[188:189]
	v_fma_f64 v[188:189], -v[170:171], v[186:187], 1.0
	v_fmac_f64_e32 v[186:187], v[186:187], v[188:189]
	v_div_scale_f64 v[188:189], vcc, 1.0, v[168:169], 1.0
	v_mul_f64 v[190:191], v[188:189], v[186:187]
	v_fma_f64 v[170:171], -v[170:171], v[190:191], v[188:189]
	s_nop 1
	v_div_fmas_f64 v[170:171], v[170:171], v[186:187], v[190:191]
	v_div_fixup_f64 v[168:169], v[170:171], v[168:169], 1.0
	v_mul_f64 v[170:171], v[184:185], -v[168:169]
.LBB82_177:
	s_or_b64 exec, exec, s[16:17]
.LBB82_178:
	s_or_b64 exec, exec, s[0:1]
	v_cmp_ne_u32_e32 vcc, v181, v178
	s_and_saveexec_b64 s[0:1], vcc
	s_xor_b64 s[0:1], exec, s[0:1]
	s_cbranch_execz .LBB82_184
; %bb.179:
	v_cmp_eq_u32_e32 vcc, 8, v181
	s_and_saveexec_b64 s[16:17], vcc
	s_cbranch_execz .LBB82_183
; %bb.180:
	v_cmp_ne_u32_e32 vcc, 8, v178
	s_xor_b64 s[18:19], s[14:15], -1
	s_and_b64 s[22:23], s[18:19], vcc
	s_and_saveexec_b64 s[18:19], s[22:23]
	s_cbranch_execz .LBB82_182
; %bb.181:
	v_ashrrev_i32_e32 v179, 31, v178
	v_lshl_add_u64 v[184:185], v[178:179], 2, v[176:177]
	global_load_dword v179, v[184:185], off
	global_load_dword v181, v[176:177], off offset:32
	s_waitcnt vmcnt(1)
	global_store_dword v[176:177], v179, off offset:32
	s_waitcnt vmcnt(1)
	global_store_dword v[184:185], v181, off
.LBB82_182:
	s_or_b64 exec, exec, s[18:19]
	v_mov_b32_e32 v181, v178
	v_mov_b32_e32 v183, v178
.LBB82_183:
	s_or_b64 exec, exec, s[16:17]
.LBB82_184:
	s_andn2_saveexec_b64 s[0:1], s[0:1]
	s_cbranch_execz .LBB82_186
; %bb.185:
	v_mov_b32_e32 v181, 8
	s_waitcnt vmcnt(32)
	ds_write2_b64 v180, v[132:133], v[134:135] offset0:18 offset1:19
	s_waitcnt vmcnt(31)
	ds_write2_b64 v180, v[128:129], v[130:131] offset0:20 offset1:21
	;; [unrolled: 2-line block ×33, first 2 shown]
.LBB82_186:
	s_or_b64 exec, exec, s[0:1]
	v_cmp_lt_i32_e32 vcc, 8, v181
	s_waitcnt lgkmcnt(0)
	s_barrier
	s_and_saveexec_b64 s[0:1], vcc
	s_cbranch_execz .LBB82_188
; %bb.187:
	ds_read2_b64 v[184:187], v180 offset0:18 offset1:19
	v_mul_f64 v[178:179], v[170:171], v[138:139]
	v_mul_f64 v[138:139], v[168:169], v[138:139]
	v_fmac_f64_e32 v[138:139], v[170:171], v[136:137]
	v_fma_f64 v[178:179], v[168:169], v[136:137], -v[178:179]
	ds_read2_b64 v[168:171], v180 offset0:20 offset1:21
	s_waitcnt lgkmcnt(1)
	v_mul_f64 v[136:137], v[186:187], v[138:139]
	v_fma_f64 v[136:137], v[184:185], v[178:179], -v[136:137]
	v_mul_f64 v[184:185], v[184:185], v[138:139]
	v_fmac_f64_e32 v[184:185], v[186:187], v[178:179]
	s_waitcnt vmcnt(32)
	v_add_f64 v[134:135], v[134:135], -v[184:185]
	ds_read2_b64 v[184:187], v180 offset0:22 offset1:23
	v_add_f64 v[132:133], v[132:133], -v[136:137]
	s_waitcnt lgkmcnt(1)
	v_mul_f64 v[136:137], v[170:171], v[138:139]
	v_fma_f64 v[136:137], v[168:169], v[178:179], -v[136:137]
	v_mul_f64 v[168:169], v[168:169], v[138:139]
	v_fmac_f64_e32 v[168:169], v[170:171], v[178:179]
	s_waitcnt vmcnt(31)
	v_add_f64 v[128:129], v[128:129], -v[136:137]
	v_add_f64 v[130:131], v[130:131], -v[168:169]
	ds_read2_b64 v[168:171], v180 offset0:24 offset1:25
	s_waitcnt lgkmcnt(1)
	v_mul_f64 v[136:137], v[186:187], v[138:139]
	v_fma_f64 v[136:137], v[184:185], v[178:179], -v[136:137]
	v_mul_f64 v[184:185], v[184:185], v[138:139]
	v_fmac_f64_e32 v[184:185], v[186:187], v[178:179]
	s_waitcnt vmcnt(30)
	v_add_f64 v[126:127], v[126:127], -v[184:185]
	ds_read2_b64 v[184:187], v180 offset0:26 offset1:27
	v_add_f64 v[124:125], v[124:125], -v[136:137]
	s_waitcnt lgkmcnt(1)
	v_mul_f64 v[136:137], v[170:171], v[138:139]
	v_fma_f64 v[136:137], v[168:169], v[178:179], -v[136:137]
	v_mul_f64 v[168:169], v[168:169], v[138:139]
	v_fmac_f64_e32 v[168:169], v[170:171], v[178:179]
	s_waitcnt vmcnt(29)
	v_add_f64 v[120:121], v[120:121], -v[136:137]
	v_add_f64 v[122:123], v[122:123], -v[168:169]
	;; [unrolled: 18-line block ×16, first 2 shown]
	s_waitcnt lgkmcnt(0)
	v_mul_f64 v[136:137], v[186:187], v[138:139]
	v_mul_f64 v[168:169], v[184:185], v[138:139]
	v_fma_f64 v[136:137], v[184:185], v[178:179], -v[136:137]
	v_fmac_f64_e32 v[168:169], v[186:187], v[178:179]
	s_waitcnt vmcnt(0)
	v_add_f64 v[164:165], v[164:165], -v[136:137]
	v_add_f64 v[166:167], v[166:167], -v[168:169]
	v_mov_b64_e32 v[136:137], v[178:179]
.LBB82_188:
	s_or_b64 exec, exec, s[0:1]
	v_lshl_add_u32 v168, v181, 4, v180
	s_barrier
	s_waitcnt vmcnt(32)
	ds_write2_b64 v168, v[132:133], v[134:135] offset1:1
	s_waitcnt lgkmcnt(0)
	s_barrier
	ds_read2_b64 v[168:171], v180 offset0:18 offset1:19
	s_cmp_lt_i32 s20, 11
	v_mov_b32_e32 v178, 9
	s_cbranch_scc1 .LBB82_191
; %bb.189:
	v_add_u32_e32 v179, 0xa0, v180
	s_mov_b32 s16, 10
	v_mov_b32_e32 v178, 9
.LBB82_190:                             ; =>This Inner Loop Header: Depth=1
	ds_read2_b64 v[184:187], v179 offset1:1
	s_waitcnt lgkmcnt(1)
	v_xor_b32_e32 v189, 0x80000000, v169
	v_xor_b32_e32 v191, 0x80000000, v171
	v_cmp_gt_f64_e32 vcc, 0, v[170:171]
	v_cmp_gt_f64_e64 s[0:1], 0, v[168:169]
	v_mov_b32_e32 v188, v168
	v_mov_b32_e32 v190, v170
	v_cndmask_b32_e64 v189, v169, v189, s[0:1]
	v_cndmask_b32_e32 v191, v171, v191, vcc
	v_add_f64 v[188:189], v[188:189], v[190:191]
	s_waitcnt lgkmcnt(0)
	v_xor_b32_e32 v191, 0x80000000, v185
	v_xor_b32_e32 v193, 0x80000000, v187
	v_cmp_gt_f64_e32 vcc, 0, v[186:187]
	v_cmp_gt_f64_e64 s[0:1], 0, v[184:185]
	v_mov_b32_e32 v190, v184
	v_mov_b32_e32 v192, v186
	v_cndmask_b32_e64 v191, v185, v191, s[0:1]
	v_cndmask_b32_e32 v193, v187, v193, vcc
	v_add_f64 v[190:191], v[190:191], v[192:193]
	v_mov_b32_e32 v194, s16
	s_add_i32 s16, s16, 1
	v_cmp_lt_f64_e32 vcc, v[188:189], v[190:191]
	v_add_u32_e32 v179, 16, v179
	s_cmp_lg_u32 s20, s16
	v_cndmask_b32_e32 v169, v169, v185, vcc
	v_cndmask_b32_e32 v168, v168, v184, vcc
	v_cndmask_b32_e32 v171, v171, v187, vcc
	v_cndmask_b32_e32 v170, v170, v186, vcc
	v_cndmask_b32_e32 v178, v178, v194, vcc
	s_cbranch_scc1 .LBB82_190
.LBB82_191:
	s_waitcnt lgkmcnt(0)
	v_cmp_eq_f64_e32 vcc, 0, v[168:169]
	v_cmp_eq_f64_e64 s[0:1], 0, v[170:171]
	s_and_b64 s[0:1], vcc, s[0:1]
	s_and_saveexec_b64 s[16:17], s[0:1]
	s_xor_b64 s[0:1], exec, s[16:17]
; %bb.192:
	v_cmp_ne_u32_e32 vcc, 0, v182
	s_nop 1
	v_cndmask_b32_e32 v182, 10, v182, vcc
; %bb.193:
	s_andn2_saveexec_b64 s[0:1], s[0:1]
	s_cbranch_execz .LBB82_199
; %bb.194:
	v_cmp_ngt_f64_e64 s[16:17], |v[168:169]|, |v[170:171]|
	s_and_saveexec_b64 s[18:19], s[16:17]
	s_xor_b64 s[16:17], exec, s[18:19]
	s_cbranch_execz .LBB82_196
; %bb.195:
	v_div_scale_f64 v[184:185], s[18:19], v[170:171], v[170:171], v[168:169]
	v_rcp_f64_e32 v[186:187], v[184:185]
	v_div_scale_f64 v[188:189], vcc, v[168:169], v[170:171], v[168:169]
	v_fma_f64 v[190:191], -v[184:185], v[186:187], 1.0
	v_fmac_f64_e32 v[186:187], v[186:187], v[190:191]
	v_fma_f64 v[190:191], -v[184:185], v[186:187], 1.0
	v_fmac_f64_e32 v[186:187], v[186:187], v[190:191]
	v_mul_f64 v[190:191], v[188:189], v[186:187]
	v_fma_f64 v[184:185], -v[184:185], v[190:191], v[188:189]
	v_div_fmas_f64 v[184:185], v[184:185], v[186:187], v[190:191]
	v_div_fixup_f64 v[184:185], v[184:185], v[170:171], v[168:169]
	v_fmac_f64_e32 v[170:171], v[168:169], v[184:185]
	v_div_scale_f64 v[168:169], s[18:19], v[170:171], v[170:171], 1.0
	v_rcp_f64_e32 v[186:187], v[168:169]
	s_nop 0
	v_fma_f64 v[188:189], -v[168:169], v[186:187], 1.0
	v_fmac_f64_e32 v[186:187], v[186:187], v[188:189]
	v_fma_f64 v[188:189], -v[168:169], v[186:187], 1.0
	v_fmac_f64_e32 v[186:187], v[186:187], v[188:189]
	v_div_scale_f64 v[188:189], vcc, 1.0, v[170:171], 1.0
	v_mul_f64 v[190:191], v[188:189], v[186:187]
	v_fma_f64 v[168:169], -v[168:169], v[190:191], v[188:189]
	s_nop 1
	v_div_fmas_f64 v[168:169], v[168:169], v[186:187], v[190:191]
	v_div_fixup_f64 v[170:171], v[168:169], v[170:171], 1.0
	v_mul_f64 v[168:169], v[184:185], v[170:171]
	v_xor_b32_e32 v171, 0x80000000, v171
.LBB82_196:
	s_andn2_saveexec_b64 s[16:17], s[16:17]
	s_cbranch_execz .LBB82_198
; %bb.197:
	v_div_scale_f64 v[184:185], s[18:19], v[168:169], v[168:169], v[170:171]
	v_rcp_f64_e32 v[186:187], v[184:185]
	v_div_scale_f64 v[188:189], vcc, v[170:171], v[168:169], v[170:171]
	v_fma_f64 v[190:191], -v[184:185], v[186:187], 1.0
	v_fmac_f64_e32 v[186:187], v[186:187], v[190:191]
	v_fma_f64 v[190:191], -v[184:185], v[186:187], 1.0
	v_fmac_f64_e32 v[186:187], v[186:187], v[190:191]
	v_mul_f64 v[190:191], v[188:189], v[186:187]
	v_fma_f64 v[184:185], -v[184:185], v[190:191], v[188:189]
	v_div_fmas_f64 v[184:185], v[184:185], v[186:187], v[190:191]
	v_div_fixup_f64 v[184:185], v[184:185], v[168:169], v[170:171]
	v_fmac_f64_e32 v[168:169], v[170:171], v[184:185]
	v_div_scale_f64 v[170:171], s[18:19], v[168:169], v[168:169], 1.0
	v_rcp_f64_e32 v[186:187], v[170:171]
	s_nop 0
	v_fma_f64 v[188:189], -v[170:171], v[186:187], 1.0
	v_fmac_f64_e32 v[186:187], v[186:187], v[188:189]
	v_fma_f64 v[188:189], -v[170:171], v[186:187], 1.0
	v_fmac_f64_e32 v[186:187], v[186:187], v[188:189]
	v_div_scale_f64 v[188:189], vcc, 1.0, v[168:169], 1.0
	v_mul_f64 v[190:191], v[188:189], v[186:187]
	v_fma_f64 v[170:171], -v[170:171], v[190:191], v[188:189]
	s_nop 1
	v_div_fmas_f64 v[170:171], v[170:171], v[186:187], v[190:191]
	v_div_fixup_f64 v[168:169], v[170:171], v[168:169], 1.0
	v_mul_f64 v[170:171], v[184:185], -v[168:169]
.LBB82_198:
	s_or_b64 exec, exec, s[16:17]
.LBB82_199:
	s_or_b64 exec, exec, s[0:1]
	v_cmp_ne_u32_e32 vcc, v181, v178
	s_and_saveexec_b64 s[0:1], vcc
	s_xor_b64 s[0:1], exec, s[0:1]
	s_cbranch_execz .LBB82_205
; %bb.200:
	v_cmp_eq_u32_e32 vcc, 9, v181
	s_and_saveexec_b64 s[16:17], vcc
	s_cbranch_execz .LBB82_204
; %bb.201:
	v_cmp_ne_u32_e32 vcc, 9, v178
	s_xor_b64 s[18:19], s[14:15], -1
	s_and_b64 s[22:23], s[18:19], vcc
	s_and_saveexec_b64 s[18:19], s[22:23]
	s_cbranch_execz .LBB82_203
; %bb.202:
	v_ashrrev_i32_e32 v179, 31, v178
	v_lshl_add_u64 v[184:185], v[178:179], 2, v[176:177]
	global_load_dword v179, v[184:185], off
	global_load_dword v181, v[176:177], off offset:36
	s_waitcnt vmcnt(1)
	global_store_dword v[176:177], v179, off offset:36
	s_waitcnt vmcnt(1)
	global_store_dword v[184:185], v181, off
.LBB82_203:
	s_or_b64 exec, exec, s[18:19]
	v_mov_b32_e32 v181, v178
	v_mov_b32_e32 v183, v178
.LBB82_204:
	s_or_b64 exec, exec, s[16:17]
.LBB82_205:
	s_andn2_saveexec_b64 s[0:1], s[0:1]
	s_cbranch_execz .LBB82_207
; %bb.206:
	v_mov_b32_e32 v181, 9
	s_waitcnt vmcnt(31)
	ds_write2_b64 v180, v[128:129], v[130:131] offset0:20 offset1:21
	s_waitcnt vmcnt(30)
	ds_write2_b64 v180, v[124:125], v[126:127] offset0:22 offset1:23
	;; [unrolled: 2-line block ×32, first 2 shown]
.LBB82_207:
	s_or_b64 exec, exec, s[0:1]
	v_cmp_lt_i32_e32 vcc, 9, v181
	s_waitcnt lgkmcnt(0)
	s_barrier
	s_and_saveexec_b64 s[0:1], vcc
	s_cbranch_execz .LBB82_209
; %bb.208:
	ds_read2_b64 v[184:187], v180 offset0:20 offset1:21
	v_mul_f64 v[178:179], v[170:171], v[134:135]
	v_mul_f64 v[134:135], v[168:169], v[134:135]
	v_fma_f64 v[178:179], v[168:169], v[132:133], -v[178:179]
	v_fmac_f64_e32 v[134:135], v[170:171], v[132:133]
	ds_read2_b64 v[168:171], v180 offset0:22 offset1:23
	s_waitcnt lgkmcnt(1)
	v_mul_f64 v[132:133], v[186:187], v[134:135]
	v_fma_f64 v[132:133], v[184:185], v[178:179], -v[132:133]
	v_mul_f64 v[184:185], v[184:185], v[134:135]
	v_fmac_f64_e32 v[184:185], v[186:187], v[178:179]
	s_waitcnt vmcnt(31)
	v_add_f64 v[128:129], v[128:129], -v[132:133]
	s_waitcnt lgkmcnt(0)
	v_mul_f64 v[132:133], v[170:171], v[134:135]
	v_add_f64 v[130:131], v[130:131], -v[184:185]
	v_fma_f64 v[132:133], v[168:169], v[178:179], -v[132:133]
	v_mul_f64 v[168:169], v[168:169], v[134:135]
	ds_read2_b64 v[184:187], v180 offset0:24 offset1:25
	v_fmac_f64_e32 v[168:169], v[170:171], v[178:179]
	s_waitcnt vmcnt(30)
	v_add_f64 v[126:127], v[126:127], -v[168:169]
	ds_read2_b64 v[168:171], v180 offset0:26 offset1:27
	v_add_f64 v[124:125], v[124:125], -v[132:133]
	s_waitcnt lgkmcnt(1)
	v_mul_f64 v[132:133], v[186:187], v[134:135]
	v_fma_f64 v[132:133], v[184:185], v[178:179], -v[132:133]
	v_mul_f64 v[184:185], v[184:185], v[134:135]
	v_fmac_f64_e32 v[184:185], v[186:187], v[178:179]
	s_waitcnt vmcnt(29)
	v_add_f64 v[120:121], v[120:121], -v[132:133]
	s_waitcnt lgkmcnt(0)
	v_mul_f64 v[132:133], v[170:171], v[134:135]
	v_add_f64 v[122:123], v[122:123], -v[184:185]
	v_fma_f64 v[132:133], v[168:169], v[178:179], -v[132:133]
	v_mul_f64 v[168:169], v[168:169], v[134:135]
	ds_read2_b64 v[184:187], v180 offset0:28 offset1:29
	v_fmac_f64_e32 v[168:169], v[170:171], v[178:179]
	s_waitcnt vmcnt(28)
	v_add_f64 v[118:119], v[118:119], -v[168:169]
	ds_read2_b64 v[168:171], v180 offset0:30 offset1:31
	v_add_f64 v[116:117], v[116:117], -v[132:133]
	;; [unrolled: 18-line block ×15, first 2 shown]
	s_waitcnt lgkmcnt(1)
	v_mul_f64 v[132:133], v[186:187], v[134:135]
	v_fma_f64 v[132:133], v[184:185], v[178:179], -v[132:133]
	s_waitcnt vmcnt(1)
	v_add_f64 v[0:1], v[0:1], -v[132:133]
	s_waitcnt lgkmcnt(0)
	v_mul_f64 v[132:133], v[170:171], v[134:135]
	v_mul_f64 v[184:185], v[184:185], v[134:135]
	v_fma_f64 v[132:133], v[168:169], v[178:179], -v[132:133]
	v_mul_f64 v[168:169], v[168:169], v[134:135]
	v_fmac_f64_e32 v[184:185], v[186:187], v[178:179]
	v_fmac_f64_e32 v[168:169], v[170:171], v[178:179]
	v_add_f64 v[2:3], v[2:3], -v[184:185]
	s_waitcnt vmcnt(0)
	v_add_f64 v[164:165], v[164:165], -v[132:133]
	v_add_f64 v[166:167], v[166:167], -v[168:169]
	v_mov_b64_e32 v[132:133], v[178:179]
.LBB82_209:
	s_or_b64 exec, exec, s[0:1]
	v_lshl_add_u32 v168, v181, 4, v180
	s_barrier
	s_waitcnt vmcnt(31)
	ds_write2_b64 v168, v[128:129], v[130:131] offset1:1
	s_waitcnt lgkmcnt(0)
	s_barrier
	ds_read2_b64 v[168:171], v180 offset0:20 offset1:21
	s_cmp_lt_i32 s20, 12
	v_mov_b32_e32 v178, 10
	s_cbranch_scc1 .LBB82_212
; %bb.210:
	v_add_u32_e32 v179, 0xb0, v180
	s_mov_b32 s16, 11
	v_mov_b32_e32 v178, 10
.LBB82_211:                             ; =>This Inner Loop Header: Depth=1
	ds_read2_b64 v[184:187], v179 offset1:1
	s_waitcnt lgkmcnt(1)
	v_xor_b32_e32 v189, 0x80000000, v169
	v_xor_b32_e32 v191, 0x80000000, v171
	v_cmp_gt_f64_e32 vcc, 0, v[170:171]
	v_cmp_gt_f64_e64 s[0:1], 0, v[168:169]
	v_mov_b32_e32 v188, v168
	v_mov_b32_e32 v190, v170
	v_cndmask_b32_e64 v189, v169, v189, s[0:1]
	v_cndmask_b32_e32 v191, v171, v191, vcc
	v_add_f64 v[188:189], v[188:189], v[190:191]
	s_waitcnt lgkmcnt(0)
	v_xor_b32_e32 v191, 0x80000000, v185
	v_xor_b32_e32 v193, 0x80000000, v187
	v_cmp_gt_f64_e32 vcc, 0, v[186:187]
	v_cmp_gt_f64_e64 s[0:1], 0, v[184:185]
	v_mov_b32_e32 v190, v184
	v_mov_b32_e32 v192, v186
	v_cndmask_b32_e64 v191, v185, v191, s[0:1]
	v_cndmask_b32_e32 v193, v187, v193, vcc
	v_add_f64 v[190:191], v[190:191], v[192:193]
	v_mov_b32_e32 v194, s16
	s_add_i32 s16, s16, 1
	v_cmp_lt_f64_e32 vcc, v[188:189], v[190:191]
	v_add_u32_e32 v179, 16, v179
	s_cmp_lg_u32 s20, s16
	v_cndmask_b32_e32 v169, v169, v185, vcc
	v_cndmask_b32_e32 v168, v168, v184, vcc
	;; [unrolled: 1-line block ×5, first 2 shown]
	s_cbranch_scc1 .LBB82_211
.LBB82_212:
	s_waitcnt lgkmcnt(0)
	v_cmp_eq_f64_e32 vcc, 0, v[168:169]
	v_cmp_eq_f64_e64 s[0:1], 0, v[170:171]
	s_and_b64 s[0:1], vcc, s[0:1]
	s_and_saveexec_b64 s[16:17], s[0:1]
	s_xor_b64 s[0:1], exec, s[16:17]
; %bb.213:
	v_cmp_ne_u32_e32 vcc, 0, v182
	s_nop 1
	v_cndmask_b32_e32 v182, 11, v182, vcc
; %bb.214:
	s_andn2_saveexec_b64 s[0:1], s[0:1]
	s_cbranch_execz .LBB82_220
; %bb.215:
	v_cmp_ngt_f64_e64 s[16:17], |v[168:169]|, |v[170:171]|
	s_and_saveexec_b64 s[18:19], s[16:17]
	s_xor_b64 s[16:17], exec, s[18:19]
	s_cbranch_execz .LBB82_217
; %bb.216:
	v_div_scale_f64 v[184:185], s[18:19], v[170:171], v[170:171], v[168:169]
	v_rcp_f64_e32 v[186:187], v[184:185]
	v_div_scale_f64 v[188:189], vcc, v[168:169], v[170:171], v[168:169]
	v_fma_f64 v[190:191], -v[184:185], v[186:187], 1.0
	v_fmac_f64_e32 v[186:187], v[186:187], v[190:191]
	v_fma_f64 v[190:191], -v[184:185], v[186:187], 1.0
	v_fmac_f64_e32 v[186:187], v[186:187], v[190:191]
	v_mul_f64 v[190:191], v[188:189], v[186:187]
	v_fma_f64 v[184:185], -v[184:185], v[190:191], v[188:189]
	v_div_fmas_f64 v[184:185], v[184:185], v[186:187], v[190:191]
	v_div_fixup_f64 v[184:185], v[184:185], v[170:171], v[168:169]
	v_fmac_f64_e32 v[170:171], v[168:169], v[184:185]
	v_div_scale_f64 v[168:169], s[18:19], v[170:171], v[170:171], 1.0
	v_rcp_f64_e32 v[186:187], v[168:169]
	s_nop 0
	v_fma_f64 v[188:189], -v[168:169], v[186:187], 1.0
	v_fmac_f64_e32 v[186:187], v[186:187], v[188:189]
	v_fma_f64 v[188:189], -v[168:169], v[186:187], 1.0
	v_fmac_f64_e32 v[186:187], v[186:187], v[188:189]
	v_div_scale_f64 v[188:189], vcc, 1.0, v[170:171], 1.0
	v_mul_f64 v[190:191], v[188:189], v[186:187]
	v_fma_f64 v[168:169], -v[168:169], v[190:191], v[188:189]
	s_nop 1
	v_div_fmas_f64 v[168:169], v[168:169], v[186:187], v[190:191]
	v_div_fixup_f64 v[170:171], v[168:169], v[170:171], 1.0
	v_mul_f64 v[168:169], v[184:185], v[170:171]
	v_xor_b32_e32 v171, 0x80000000, v171
.LBB82_217:
	s_andn2_saveexec_b64 s[16:17], s[16:17]
	s_cbranch_execz .LBB82_219
; %bb.218:
	v_div_scale_f64 v[184:185], s[18:19], v[168:169], v[168:169], v[170:171]
	v_rcp_f64_e32 v[186:187], v[184:185]
	v_div_scale_f64 v[188:189], vcc, v[170:171], v[168:169], v[170:171]
	v_fma_f64 v[190:191], -v[184:185], v[186:187], 1.0
	v_fmac_f64_e32 v[186:187], v[186:187], v[190:191]
	v_fma_f64 v[190:191], -v[184:185], v[186:187], 1.0
	v_fmac_f64_e32 v[186:187], v[186:187], v[190:191]
	v_mul_f64 v[190:191], v[188:189], v[186:187]
	v_fma_f64 v[184:185], -v[184:185], v[190:191], v[188:189]
	v_div_fmas_f64 v[184:185], v[184:185], v[186:187], v[190:191]
	v_div_fixup_f64 v[184:185], v[184:185], v[168:169], v[170:171]
	v_fmac_f64_e32 v[168:169], v[170:171], v[184:185]
	v_div_scale_f64 v[170:171], s[18:19], v[168:169], v[168:169], 1.0
	v_rcp_f64_e32 v[186:187], v[170:171]
	s_nop 0
	v_fma_f64 v[188:189], -v[170:171], v[186:187], 1.0
	v_fmac_f64_e32 v[186:187], v[186:187], v[188:189]
	v_fma_f64 v[188:189], -v[170:171], v[186:187], 1.0
	v_fmac_f64_e32 v[186:187], v[186:187], v[188:189]
	v_div_scale_f64 v[188:189], vcc, 1.0, v[168:169], 1.0
	v_mul_f64 v[190:191], v[188:189], v[186:187]
	v_fma_f64 v[170:171], -v[170:171], v[190:191], v[188:189]
	s_nop 1
	v_div_fmas_f64 v[170:171], v[170:171], v[186:187], v[190:191]
	v_div_fixup_f64 v[168:169], v[170:171], v[168:169], 1.0
	v_mul_f64 v[170:171], v[184:185], -v[168:169]
.LBB82_219:
	s_or_b64 exec, exec, s[16:17]
.LBB82_220:
	s_or_b64 exec, exec, s[0:1]
	v_cmp_ne_u32_e32 vcc, v181, v178
	s_and_saveexec_b64 s[0:1], vcc
	s_xor_b64 s[0:1], exec, s[0:1]
	s_cbranch_execz .LBB82_226
; %bb.221:
	v_cmp_eq_u32_e32 vcc, 10, v181
	s_and_saveexec_b64 s[16:17], vcc
	s_cbranch_execz .LBB82_225
; %bb.222:
	v_cmp_ne_u32_e32 vcc, 10, v178
	s_xor_b64 s[18:19], s[14:15], -1
	s_and_b64 s[22:23], s[18:19], vcc
	s_and_saveexec_b64 s[18:19], s[22:23]
	s_cbranch_execz .LBB82_224
; %bb.223:
	v_ashrrev_i32_e32 v179, 31, v178
	v_lshl_add_u64 v[184:185], v[178:179], 2, v[176:177]
	global_load_dword v179, v[184:185], off
	global_load_dword v181, v[176:177], off offset:40
	s_waitcnt vmcnt(1)
	global_store_dword v[176:177], v179, off offset:40
	s_waitcnt vmcnt(1)
	global_store_dword v[184:185], v181, off
.LBB82_224:
	s_or_b64 exec, exec, s[18:19]
	v_mov_b32_e32 v181, v178
	v_mov_b32_e32 v183, v178
.LBB82_225:
	s_or_b64 exec, exec, s[16:17]
.LBB82_226:
	s_andn2_saveexec_b64 s[0:1], s[0:1]
	s_cbranch_execz .LBB82_228
; %bb.227:
	v_mov_b32_e32 v181, 10
	s_waitcnt vmcnt(30)
	ds_write2_b64 v180, v[124:125], v[126:127] offset0:22 offset1:23
	s_waitcnt vmcnt(29)
	ds_write2_b64 v180, v[120:121], v[122:123] offset0:24 offset1:25
	;; [unrolled: 2-line block ×31, first 2 shown]
.LBB82_228:
	s_or_b64 exec, exec, s[0:1]
	v_cmp_lt_i32_e32 vcc, 10, v181
	s_waitcnt lgkmcnt(0)
	s_barrier
	s_and_saveexec_b64 s[0:1], vcc
	s_cbranch_execz .LBB82_230
; %bb.229:
	ds_read2_b64 v[184:187], v180 offset0:22 offset1:23
	v_mul_f64 v[178:179], v[170:171], v[130:131]
	v_mul_f64 v[130:131], v[168:169], v[130:131]
	v_fmac_f64_e32 v[130:131], v[170:171], v[128:129]
	v_fma_f64 v[178:179], v[168:169], v[128:129], -v[178:179]
	ds_read2_b64 v[168:171], v180 offset0:24 offset1:25
	s_waitcnt lgkmcnt(1)
	v_mul_f64 v[128:129], v[186:187], v[130:131]
	v_fma_f64 v[128:129], v[184:185], v[178:179], -v[128:129]
	v_mul_f64 v[184:185], v[184:185], v[130:131]
	v_fmac_f64_e32 v[184:185], v[186:187], v[178:179]
	s_waitcnt vmcnt(30)
	v_add_f64 v[126:127], v[126:127], -v[184:185]
	ds_read2_b64 v[184:187], v180 offset0:26 offset1:27
	v_add_f64 v[124:125], v[124:125], -v[128:129]
	s_waitcnt lgkmcnt(1)
	v_mul_f64 v[128:129], v[170:171], v[130:131]
	v_fma_f64 v[128:129], v[168:169], v[178:179], -v[128:129]
	v_mul_f64 v[168:169], v[168:169], v[130:131]
	v_fmac_f64_e32 v[168:169], v[170:171], v[178:179]
	s_waitcnt vmcnt(29)
	v_add_f64 v[120:121], v[120:121], -v[128:129]
	v_add_f64 v[122:123], v[122:123], -v[168:169]
	ds_read2_b64 v[168:171], v180 offset0:28 offset1:29
	s_waitcnt lgkmcnt(1)
	v_mul_f64 v[128:129], v[186:187], v[130:131]
	v_fma_f64 v[128:129], v[184:185], v[178:179], -v[128:129]
	v_mul_f64 v[184:185], v[184:185], v[130:131]
	v_fmac_f64_e32 v[184:185], v[186:187], v[178:179]
	s_waitcnt vmcnt(28)
	v_add_f64 v[118:119], v[118:119], -v[184:185]
	ds_read2_b64 v[184:187], v180 offset0:30 offset1:31
	v_add_f64 v[116:117], v[116:117], -v[128:129]
	s_waitcnt lgkmcnt(1)
	v_mul_f64 v[128:129], v[170:171], v[130:131]
	v_fma_f64 v[128:129], v[168:169], v[178:179], -v[128:129]
	v_mul_f64 v[168:169], v[168:169], v[130:131]
	v_fmac_f64_e32 v[168:169], v[170:171], v[178:179]
	s_waitcnt vmcnt(27)
	v_add_f64 v[112:113], v[112:113], -v[128:129]
	v_add_f64 v[114:115], v[114:115], -v[168:169]
	;; [unrolled: 18-line block ×15, first 2 shown]
	s_waitcnt lgkmcnt(0)
	v_mul_f64 v[128:129], v[186:187], v[130:131]
	v_mul_f64 v[168:169], v[184:185], v[130:131]
	v_fma_f64 v[128:129], v[184:185], v[178:179], -v[128:129]
	v_fmac_f64_e32 v[168:169], v[186:187], v[178:179]
	s_waitcnt vmcnt(0)
	v_add_f64 v[164:165], v[164:165], -v[128:129]
	v_add_f64 v[166:167], v[166:167], -v[168:169]
	v_mov_b64_e32 v[128:129], v[178:179]
.LBB82_230:
	s_or_b64 exec, exec, s[0:1]
	v_lshl_add_u32 v168, v181, 4, v180
	s_barrier
	s_waitcnt vmcnt(30)
	ds_write2_b64 v168, v[124:125], v[126:127] offset1:1
	s_waitcnt lgkmcnt(0)
	s_barrier
	ds_read2_b64 v[168:171], v180 offset0:22 offset1:23
	s_cmp_lt_i32 s20, 13
	v_mov_b32_e32 v178, 11
	s_cbranch_scc1 .LBB82_233
; %bb.231:
	v_add_u32_e32 v179, 0xc0, v180
	s_mov_b32 s16, 12
	v_mov_b32_e32 v178, 11
.LBB82_232:                             ; =>This Inner Loop Header: Depth=1
	ds_read2_b64 v[184:187], v179 offset1:1
	s_waitcnt lgkmcnt(1)
	v_xor_b32_e32 v189, 0x80000000, v169
	v_xor_b32_e32 v191, 0x80000000, v171
	v_cmp_gt_f64_e32 vcc, 0, v[170:171]
	v_cmp_gt_f64_e64 s[0:1], 0, v[168:169]
	v_mov_b32_e32 v188, v168
	v_mov_b32_e32 v190, v170
	v_cndmask_b32_e64 v189, v169, v189, s[0:1]
	v_cndmask_b32_e32 v191, v171, v191, vcc
	v_add_f64 v[188:189], v[188:189], v[190:191]
	s_waitcnt lgkmcnt(0)
	v_xor_b32_e32 v191, 0x80000000, v185
	v_xor_b32_e32 v193, 0x80000000, v187
	v_cmp_gt_f64_e32 vcc, 0, v[186:187]
	v_cmp_gt_f64_e64 s[0:1], 0, v[184:185]
	v_mov_b32_e32 v190, v184
	v_mov_b32_e32 v192, v186
	v_cndmask_b32_e64 v191, v185, v191, s[0:1]
	v_cndmask_b32_e32 v193, v187, v193, vcc
	v_add_f64 v[190:191], v[190:191], v[192:193]
	v_mov_b32_e32 v194, s16
	s_add_i32 s16, s16, 1
	v_cmp_lt_f64_e32 vcc, v[188:189], v[190:191]
	v_add_u32_e32 v179, 16, v179
	s_cmp_lg_u32 s20, s16
	v_cndmask_b32_e32 v169, v169, v185, vcc
	v_cndmask_b32_e32 v168, v168, v184, vcc
	;; [unrolled: 1-line block ×5, first 2 shown]
	s_cbranch_scc1 .LBB82_232
.LBB82_233:
	s_waitcnt lgkmcnt(0)
	v_cmp_eq_f64_e32 vcc, 0, v[168:169]
	v_cmp_eq_f64_e64 s[0:1], 0, v[170:171]
	s_and_b64 s[0:1], vcc, s[0:1]
	s_and_saveexec_b64 s[16:17], s[0:1]
	s_xor_b64 s[0:1], exec, s[16:17]
; %bb.234:
	v_cmp_ne_u32_e32 vcc, 0, v182
	s_nop 1
	v_cndmask_b32_e32 v182, 12, v182, vcc
; %bb.235:
	s_andn2_saveexec_b64 s[0:1], s[0:1]
	s_cbranch_execz .LBB82_241
; %bb.236:
	v_cmp_ngt_f64_e64 s[16:17], |v[168:169]|, |v[170:171]|
	s_and_saveexec_b64 s[18:19], s[16:17]
	s_xor_b64 s[16:17], exec, s[18:19]
	s_cbranch_execz .LBB82_238
; %bb.237:
	v_div_scale_f64 v[184:185], s[18:19], v[170:171], v[170:171], v[168:169]
	v_rcp_f64_e32 v[186:187], v[184:185]
	v_div_scale_f64 v[188:189], vcc, v[168:169], v[170:171], v[168:169]
	v_fma_f64 v[190:191], -v[184:185], v[186:187], 1.0
	v_fmac_f64_e32 v[186:187], v[186:187], v[190:191]
	v_fma_f64 v[190:191], -v[184:185], v[186:187], 1.0
	v_fmac_f64_e32 v[186:187], v[186:187], v[190:191]
	v_mul_f64 v[190:191], v[188:189], v[186:187]
	v_fma_f64 v[184:185], -v[184:185], v[190:191], v[188:189]
	v_div_fmas_f64 v[184:185], v[184:185], v[186:187], v[190:191]
	v_div_fixup_f64 v[184:185], v[184:185], v[170:171], v[168:169]
	v_fmac_f64_e32 v[170:171], v[168:169], v[184:185]
	v_div_scale_f64 v[168:169], s[18:19], v[170:171], v[170:171], 1.0
	v_rcp_f64_e32 v[186:187], v[168:169]
	s_nop 0
	v_fma_f64 v[188:189], -v[168:169], v[186:187], 1.0
	v_fmac_f64_e32 v[186:187], v[186:187], v[188:189]
	v_fma_f64 v[188:189], -v[168:169], v[186:187], 1.0
	v_fmac_f64_e32 v[186:187], v[186:187], v[188:189]
	v_div_scale_f64 v[188:189], vcc, 1.0, v[170:171], 1.0
	v_mul_f64 v[190:191], v[188:189], v[186:187]
	v_fma_f64 v[168:169], -v[168:169], v[190:191], v[188:189]
	s_nop 1
	v_div_fmas_f64 v[168:169], v[168:169], v[186:187], v[190:191]
	v_div_fixup_f64 v[170:171], v[168:169], v[170:171], 1.0
	v_mul_f64 v[168:169], v[184:185], v[170:171]
	v_xor_b32_e32 v171, 0x80000000, v171
.LBB82_238:
	s_andn2_saveexec_b64 s[16:17], s[16:17]
	s_cbranch_execz .LBB82_240
; %bb.239:
	v_div_scale_f64 v[184:185], s[18:19], v[168:169], v[168:169], v[170:171]
	v_rcp_f64_e32 v[186:187], v[184:185]
	v_div_scale_f64 v[188:189], vcc, v[170:171], v[168:169], v[170:171]
	v_fma_f64 v[190:191], -v[184:185], v[186:187], 1.0
	v_fmac_f64_e32 v[186:187], v[186:187], v[190:191]
	v_fma_f64 v[190:191], -v[184:185], v[186:187], 1.0
	v_fmac_f64_e32 v[186:187], v[186:187], v[190:191]
	v_mul_f64 v[190:191], v[188:189], v[186:187]
	v_fma_f64 v[184:185], -v[184:185], v[190:191], v[188:189]
	v_div_fmas_f64 v[184:185], v[184:185], v[186:187], v[190:191]
	v_div_fixup_f64 v[184:185], v[184:185], v[168:169], v[170:171]
	v_fmac_f64_e32 v[168:169], v[170:171], v[184:185]
	v_div_scale_f64 v[170:171], s[18:19], v[168:169], v[168:169], 1.0
	v_rcp_f64_e32 v[186:187], v[170:171]
	s_nop 0
	v_fma_f64 v[188:189], -v[170:171], v[186:187], 1.0
	v_fmac_f64_e32 v[186:187], v[186:187], v[188:189]
	v_fma_f64 v[188:189], -v[170:171], v[186:187], 1.0
	v_fmac_f64_e32 v[186:187], v[186:187], v[188:189]
	v_div_scale_f64 v[188:189], vcc, 1.0, v[168:169], 1.0
	v_mul_f64 v[190:191], v[188:189], v[186:187]
	v_fma_f64 v[170:171], -v[170:171], v[190:191], v[188:189]
	s_nop 1
	v_div_fmas_f64 v[170:171], v[170:171], v[186:187], v[190:191]
	v_div_fixup_f64 v[168:169], v[170:171], v[168:169], 1.0
	v_mul_f64 v[170:171], v[184:185], -v[168:169]
.LBB82_240:
	s_or_b64 exec, exec, s[16:17]
.LBB82_241:
	s_or_b64 exec, exec, s[0:1]
	v_cmp_ne_u32_e32 vcc, v181, v178
	s_and_saveexec_b64 s[0:1], vcc
	s_xor_b64 s[0:1], exec, s[0:1]
	s_cbranch_execz .LBB82_247
; %bb.242:
	v_cmp_eq_u32_e32 vcc, 11, v181
	s_and_saveexec_b64 s[16:17], vcc
	s_cbranch_execz .LBB82_246
; %bb.243:
	v_cmp_ne_u32_e32 vcc, 11, v178
	s_xor_b64 s[18:19], s[14:15], -1
	s_and_b64 s[22:23], s[18:19], vcc
	s_and_saveexec_b64 s[18:19], s[22:23]
	s_cbranch_execz .LBB82_245
; %bb.244:
	v_ashrrev_i32_e32 v179, 31, v178
	v_lshl_add_u64 v[184:185], v[178:179], 2, v[176:177]
	global_load_dword v179, v[184:185], off
	global_load_dword v181, v[176:177], off offset:44
	s_waitcnt vmcnt(1)
	global_store_dword v[176:177], v179, off offset:44
	s_waitcnt vmcnt(1)
	global_store_dword v[184:185], v181, off
.LBB82_245:
	s_or_b64 exec, exec, s[18:19]
	v_mov_b32_e32 v181, v178
	v_mov_b32_e32 v183, v178
.LBB82_246:
	s_or_b64 exec, exec, s[16:17]
.LBB82_247:
	s_andn2_saveexec_b64 s[0:1], s[0:1]
	s_cbranch_execz .LBB82_249
; %bb.248:
	v_mov_b32_e32 v181, 11
	s_waitcnt vmcnt(29)
	ds_write2_b64 v180, v[120:121], v[122:123] offset0:24 offset1:25
	s_waitcnt vmcnt(28)
	ds_write2_b64 v180, v[116:117], v[118:119] offset0:26 offset1:27
	;; [unrolled: 2-line block ×30, first 2 shown]
.LBB82_249:
	s_or_b64 exec, exec, s[0:1]
	v_cmp_lt_i32_e32 vcc, 11, v181
	s_waitcnt lgkmcnt(0)
	s_barrier
	s_and_saveexec_b64 s[0:1], vcc
	s_cbranch_execz .LBB82_251
; %bb.250:
	ds_read2_b64 v[184:187], v180 offset0:24 offset1:25
	v_mul_f64 v[178:179], v[170:171], v[126:127]
	v_mul_f64 v[126:127], v[168:169], v[126:127]
	v_fma_f64 v[178:179], v[168:169], v[124:125], -v[178:179]
	v_fmac_f64_e32 v[126:127], v[170:171], v[124:125]
	ds_read2_b64 v[168:171], v180 offset0:26 offset1:27
	s_waitcnt lgkmcnt(1)
	v_mul_f64 v[124:125], v[186:187], v[126:127]
	v_fma_f64 v[124:125], v[184:185], v[178:179], -v[124:125]
	v_mul_f64 v[184:185], v[184:185], v[126:127]
	v_fmac_f64_e32 v[184:185], v[186:187], v[178:179]
	s_waitcnt vmcnt(29)
	v_add_f64 v[120:121], v[120:121], -v[124:125]
	s_waitcnt lgkmcnt(0)
	v_mul_f64 v[124:125], v[170:171], v[126:127]
	v_add_f64 v[122:123], v[122:123], -v[184:185]
	v_fma_f64 v[124:125], v[168:169], v[178:179], -v[124:125]
	v_mul_f64 v[168:169], v[168:169], v[126:127]
	ds_read2_b64 v[184:187], v180 offset0:28 offset1:29
	v_fmac_f64_e32 v[168:169], v[170:171], v[178:179]
	s_waitcnt vmcnt(28)
	v_add_f64 v[118:119], v[118:119], -v[168:169]
	ds_read2_b64 v[168:171], v180 offset0:30 offset1:31
	v_add_f64 v[116:117], v[116:117], -v[124:125]
	s_waitcnt lgkmcnt(1)
	v_mul_f64 v[124:125], v[186:187], v[126:127]
	v_fma_f64 v[124:125], v[184:185], v[178:179], -v[124:125]
	v_mul_f64 v[184:185], v[184:185], v[126:127]
	v_fmac_f64_e32 v[184:185], v[186:187], v[178:179]
	s_waitcnt vmcnt(27)
	v_add_f64 v[112:113], v[112:113], -v[124:125]
	s_waitcnt lgkmcnt(0)
	v_mul_f64 v[124:125], v[170:171], v[126:127]
	v_add_f64 v[114:115], v[114:115], -v[184:185]
	v_fma_f64 v[124:125], v[168:169], v[178:179], -v[124:125]
	v_mul_f64 v[168:169], v[168:169], v[126:127]
	ds_read2_b64 v[184:187], v180 offset0:32 offset1:33
	v_fmac_f64_e32 v[168:169], v[170:171], v[178:179]
	s_waitcnt vmcnt(26)
	v_add_f64 v[102:103], v[102:103], -v[168:169]
	ds_read2_b64 v[168:171], v180 offset0:34 offset1:35
	v_add_f64 v[100:101], v[100:101], -v[124:125]
	;; [unrolled: 18-line block ×14, first 2 shown]
	s_waitcnt lgkmcnt(1)
	v_mul_f64 v[124:125], v[186:187], v[126:127]
	v_fma_f64 v[124:125], v[184:185], v[178:179], -v[124:125]
	s_waitcnt vmcnt(1)
	v_add_f64 v[0:1], v[0:1], -v[124:125]
	s_waitcnt lgkmcnt(0)
	v_mul_f64 v[124:125], v[170:171], v[126:127]
	v_mul_f64 v[184:185], v[184:185], v[126:127]
	v_fma_f64 v[124:125], v[168:169], v[178:179], -v[124:125]
	v_mul_f64 v[168:169], v[168:169], v[126:127]
	v_fmac_f64_e32 v[184:185], v[186:187], v[178:179]
	v_fmac_f64_e32 v[168:169], v[170:171], v[178:179]
	v_add_f64 v[2:3], v[2:3], -v[184:185]
	s_waitcnt vmcnt(0)
	v_add_f64 v[164:165], v[164:165], -v[124:125]
	v_add_f64 v[166:167], v[166:167], -v[168:169]
	v_mov_b64_e32 v[124:125], v[178:179]
.LBB82_251:
	s_or_b64 exec, exec, s[0:1]
	v_lshl_add_u32 v168, v181, 4, v180
	s_barrier
	s_waitcnt vmcnt(29)
	ds_write2_b64 v168, v[120:121], v[122:123] offset1:1
	s_waitcnt lgkmcnt(0)
	s_barrier
	ds_read2_b64 v[168:171], v180 offset0:24 offset1:25
	s_cmp_lt_i32 s20, 14
	v_mov_b32_e32 v178, 12
	s_cbranch_scc1 .LBB82_254
; %bb.252:
	v_add_u32_e32 v179, 0xd0, v180
	s_mov_b32 s16, 13
	v_mov_b32_e32 v178, 12
.LBB82_253:                             ; =>This Inner Loop Header: Depth=1
	ds_read2_b64 v[184:187], v179 offset1:1
	s_waitcnt lgkmcnt(1)
	v_xor_b32_e32 v189, 0x80000000, v169
	v_xor_b32_e32 v191, 0x80000000, v171
	v_cmp_gt_f64_e32 vcc, 0, v[170:171]
	v_cmp_gt_f64_e64 s[0:1], 0, v[168:169]
	v_mov_b32_e32 v188, v168
	v_mov_b32_e32 v190, v170
	v_cndmask_b32_e64 v189, v169, v189, s[0:1]
	v_cndmask_b32_e32 v191, v171, v191, vcc
	v_add_f64 v[188:189], v[188:189], v[190:191]
	s_waitcnt lgkmcnt(0)
	v_xor_b32_e32 v191, 0x80000000, v185
	v_xor_b32_e32 v193, 0x80000000, v187
	v_cmp_gt_f64_e32 vcc, 0, v[186:187]
	v_cmp_gt_f64_e64 s[0:1], 0, v[184:185]
	v_mov_b32_e32 v190, v184
	v_mov_b32_e32 v192, v186
	v_cndmask_b32_e64 v191, v185, v191, s[0:1]
	v_cndmask_b32_e32 v193, v187, v193, vcc
	v_add_f64 v[190:191], v[190:191], v[192:193]
	v_mov_b32_e32 v194, s16
	s_add_i32 s16, s16, 1
	v_cmp_lt_f64_e32 vcc, v[188:189], v[190:191]
	v_add_u32_e32 v179, 16, v179
	s_cmp_lg_u32 s20, s16
	v_cndmask_b32_e32 v169, v169, v185, vcc
	v_cndmask_b32_e32 v168, v168, v184, vcc
	;; [unrolled: 1-line block ×5, first 2 shown]
	s_cbranch_scc1 .LBB82_253
.LBB82_254:
	s_waitcnt lgkmcnt(0)
	v_cmp_eq_f64_e32 vcc, 0, v[168:169]
	v_cmp_eq_f64_e64 s[0:1], 0, v[170:171]
	s_and_b64 s[0:1], vcc, s[0:1]
	s_and_saveexec_b64 s[16:17], s[0:1]
	s_xor_b64 s[0:1], exec, s[16:17]
; %bb.255:
	v_cmp_ne_u32_e32 vcc, 0, v182
	s_nop 1
	v_cndmask_b32_e32 v182, 13, v182, vcc
; %bb.256:
	s_andn2_saveexec_b64 s[0:1], s[0:1]
	s_cbranch_execz .LBB82_262
; %bb.257:
	v_cmp_ngt_f64_e64 s[16:17], |v[168:169]|, |v[170:171]|
	s_and_saveexec_b64 s[18:19], s[16:17]
	s_xor_b64 s[16:17], exec, s[18:19]
	s_cbranch_execz .LBB82_259
; %bb.258:
	v_div_scale_f64 v[184:185], s[18:19], v[170:171], v[170:171], v[168:169]
	v_rcp_f64_e32 v[186:187], v[184:185]
	v_div_scale_f64 v[188:189], vcc, v[168:169], v[170:171], v[168:169]
	v_fma_f64 v[190:191], -v[184:185], v[186:187], 1.0
	v_fmac_f64_e32 v[186:187], v[186:187], v[190:191]
	v_fma_f64 v[190:191], -v[184:185], v[186:187], 1.0
	v_fmac_f64_e32 v[186:187], v[186:187], v[190:191]
	v_mul_f64 v[190:191], v[188:189], v[186:187]
	v_fma_f64 v[184:185], -v[184:185], v[190:191], v[188:189]
	v_div_fmas_f64 v[184:185], v[184:185], v[186:187], v[190:191]
	v_div_fixup_f64 v[184:185], v[184:185], v[170:171], v[168:169]
	v_fmac_f64_e32 v[170:171], v[168:169], v[184:185]
	v_div_scale_f64 v[168:169], s[18:19], v[170:171], v[170:171], 1.0
	v_rcp_f64_e32 v[186:187], v[168:169]
	s_nop 0
	v_fma_f64 v[188:189], -v[168:169], v[186:187], 1.0
	v_fmac_f64_e32 v[186:187], v[186:187], v[188:189]
	v_fma_f64 v[188:189], -v[168:169], v[186:187], 1.0
	v_fmac_f64_e32 v[186:187], v[186:187], v[188:189]
	v_div_scale_f64 v[188:189], vcc, 1.0, v[170:171], 1.0
	v_mul_f64 v[190:191], v[188:189], v[186:187]
	v_fma_f64 v[168:169], -v[168:169], v[190:191], v[188:189]
	s_nop 1
	v_div_fmas_f64 v[168:169], v[168:169], v[186:187], v[190:191]
	v_div_fixup_f64 v[170:171], v[168:169], v[170:171], 1.0
	v_mul_f64 v[168:169], v[184:185], v[170:171]
	v_xor_b32_e32 v171, 0x80000000, v171
.LBB82_259:
	s_andn2_saveexec_b64 s[16:17], s[16:17]
	s_cbranch_execz .LBB82_261
; %bb.260:
	v_div_scale_f64 v[184:185], s[18:19], v[168:169], v[168:169], v[170:171]
	v_rcp_f64_e32 v[186:187], v[184:185]
	v_div_scale_f64 v[188:189], vcc, v[170:171], v[168:169], v[170:171]
	v_fma_f64 v[190:191], -v[184:185], v[186:187], 1.0
	v_fmac_f64_e32 v[186:187], v[186:187], v[190:191]
	v_fma_f64 v[190:191], -v[184:185], v[186:187], 1.0
	v_fmac_f64_e32 v[186:187], v[186:187], v[190:191]
	v_mul_f64 v[190:191], v[188:189], v[186:187]
	v_fma_f64 v[184:185], -v[184:185], v[190:191], v[188:189]
	v_div_fmas_f64 v[184:185], v[184:185], v[186:187], v[190:191]
	v_div_fixup_f64 v[184:185], v[184:185], v[168:169], v[170:171]
	v_fmac_f64_e32 v[168:169], v[170:171], v[184:185]
	v_div_scale_f64 v[170:171], s[18:19], v[168:169], v[168:169], 1.0
	v_rcp_f64_e32 v[186:187], v[170:171]
	s_nop 0
	v_fma_f64 v[188:189], -v[170:171], v[186:187], 1.0
	v_fmac_f64_e32 v[186:187], v[186:187], v[188:189]
	v_fma_f64 v[188:189], -v[170:171], v[186:187], 1.0
	v_fmac_f64_e32 v[186:187], v[186:187], v[188:189]
	v_div_scale_f64 v[188:189], vcc, 1.0, v[168:169], 1.0
	v_mul_f64 v[190:191], v[188:189], v[186:187]
	v_fma_f64 v[170:171], -v[170:171], v[190:191], v[188:189]
	s_nop 1
	v_div_fmas_f64 v[170:171], v[170:171], v[186:187], v[190:191]
	v_div_fixup_f64 v[168:169], v[170:171], v[168:169], 1.0
	v_mul_f64 v[170:171], v[184:185], -v[168:169]
.LBB82_261:
	s_or_b64 exec, exec, s[16:17]
.LBB82_262:
	s_or_b64 exec, exec, s[0:1]
	v_cmp_ne_u32_e32 vcc, v181, v178
	s_and_saveexec_b64 s[0:1], vcc
	s_xor_b64 s[0:1], exec, s[0:1]
	s_cbranch_execz .LBB82_268
; %bb.263:
	v_cmp_eq_u32_e32 vcc, 12, v181
	s_and_saveexec_b64 s[16:17], vcc
	s_cbranch_execz .LBB82_267
; %bb.264:
	v_cmp_ne_u32_e32 vcc, 12, v178
	s_xor_b64 s[18:19], s[14:15], -1
	s_and_b64 s[22:23], s[18:19], vcc
	s_and_saveexec_b64 s[18:19], s[22:23]
	s_cbranch_execz .LBB82_266
; %bb.265:
	v_ashrrev_i32_e32 v179, 31, v178
	v_lshl_add_u64 v[184:185], v[178:179], 2, v[176:177]
	global_load_dword v179, v[184:185], off
	global_load_dword v181, v[176:177], off offset:48
	s_waitcnt vmcnt(1)
	global_store_dword v[176:177], v179, off offset:48
	s_waitcnt vmcnt(1)
	global_store_dword v[184:185], v181, off
.LBB82_266:
	s_or_b64 exec, exec, s[18:19]
	v_mov_b32_e32 v181, v178
	v_mov_b32_e32 v183, v178
.LBB82_267:
	s_or_b64 exec, exec, s[16:17]
.LBB82_268:
	s_andn2_saveexec_b64 s[0:1], s[0:1]
	s_cbranch_execz .LBB82_270
; %bb.269:
	v_mov_b32_e32 v181, 12
	s_waitcnt vmcnt(28)
	ds_write2_b64 v180, v[116:117], v[118:119] offset0:26 offset1:27
	s_waitcnt vmcnt(27)
	ds_write2_b64 v180, v[112:113], v[114:115] offset0:28 offset1:29
	s_waitcnt vmcnt(26)
	ds_write2_b64 v180, v[100:101], v[102:103] offset0:30 offset1:31
	s_waitcnt vmcnt(25)
	ds_write2_b64 v180, v[96:97], v[98:99] offset0:32 offset1:33
	s_waitcnt vmcnt(24)
	ds_write2_b64 v180, v[92:93], v[94:95] offset0:34 offset1:35
	s_waitcnt vmcnt(23)
	ds_write2_b64 v180, v[88:89], v[90:91] offset0:36 offset1:37
	s_waitcnt vmcnt(22)
	ds_write2_b64 v180, v[84:85], v[86:87] offset0:38 offset1:39
	s_waitcnt vmcnt(21)
	ds_write2_b64 v180, v[80:81], v[82:83] offset0:40 offset1:41
	s_waitcnt vmcnt(20)
	ds_write2_b64 v180, v[76:77], v[78:79] offset0:42 offset1:43
	s_waitcnt vmcnt(19)
	ds_write2_b64 v180, v[72:73], v[74:75] offset0:44 offset1:45
	s_waitcnt vmcnt(18)
	ds_write2_b64 v180, v[68:69], v[70:71] offset0:46 offset1:47
	s_waitcnt vmcnt(17)
	ds_write2_b64 v180, v[64:65], v[66:67] offset0:48 offset1:49
	s_waitcnt vmcnt(16)
	ds_write2_b64 v180, v[60:61], v[62:63] offset0:50 offset1:51
	s_waitcnt vmcnt(15)
	ds_write2_b64 v180, v[56:57], v[58:59] offset0:52 offset1:53
	s_waitcnt vmcnt(14)
	ds_write2_b64 v180, v[52:53], v[54:55] offset0:54 offset1:55
	s_waitcnt vmcnt(13)
	ds_write2_b64 v180, v[48:49], v[50:51] offset0:56 offset1:57
	s_waitcnt vmcnt(12)
	ds_write2_b64 v180, v[44:45], v[46:47] offset0:58 offset1:59
	s_waitcnt vmcnt(11)
	ds_write2_b64 v180, v[40:41], v[42:43] offset0:60 offset1:61
	s_waitcnt vmcnt(10)
	ds_write2_b64 v180, v[36:37], v[38:39] offset0:62 offset1:63
	s_waitcnt vmcnt(9)
	ds_write2_b64 v180, v[32:33], v[34:35] offset0:64 offset1:65
	s_waitcnt vmcnt(8)
	ds_write2_b64 v180, v[28:29], v[30:31] offset0:66 offset1:67
	s_waitcnt vmcnt(7)
	ds_write2_b64 v180, v[24:25], v[26:27] offset0:68 offset1:69
	s_waitcnt vmcnt(6)
	ds_write2_b64 v180, v[20:21], v[22:23] offset0:70 offset1:71
	s_waitcnt vmcnt(5)
	ds_write2_b64 v180, v[16:17], v[18:19] offset0:72 offset1:73
	s_waitcnt vmcnt(4)
	ds_write2_b64 v180, v[12:13], v[14:15] offset0:74 offset1:75
	s_waitcnt vmcnt(3)
	ds_write2_b64 v180, v[8:9], v[10:11] offset0:76 offset1:77
	s_waitcnt vmcnt(2)
	ds_write2_b64 v180, v[4:5], v[6:7] offset0:78 offset1:79
	s_waitcnt vmcnt(1)
	ds_write2_b64 v180, v[0:1], v[2:3] offset0:80 offset1:81
	s_waitcnt vmcnt(0)
	ds_write2_b64 v180, v[164:165], v[166:167] offset0:82 offset1:83
.LBB82_270:
	s_or_b64 exec, exec, s[0:1]
	v_cmp_lt_i32_e32 vcc, 12, v181
	s_waitcnt lgkmcnt(0)
	s_barrier
	s_and_saveexec_b64 s[0:1], vcc
	s_cbranch_execz .LBB82_272
; %bb.271:
	ds_read2_b64 v[184:187], v180 offset0:26 offset1:27
	v_mul_f64 v[178:179], v[170:171], v[122:123]
	v_mul_f64 v[122:123], v[168:169], v[122:123]
	v_fmac_f64_e32 v[122:123], v[170:171], v[120:121]
	v_fma_f64 v[178:179], v[168:169], v[120:121], -v[178:179]
	ds_read2_b64 v[168:171], v180 offset0:28 offset1:29
	s_waitcnt lgkmcnt(1)
	v_mul_f64 v[120:121], v[186:187], v[122:123]
	v_fma_f64 v[120:121], v[184:185], v[178:179], -v[120:121]
	v_mul_f64 v[184:185], v[184:185], v[122:123]
	v_fmac_f64_e32 v[184:185], v[186:187], v[178:179]
	s_waitcnt vmcnt(28)
	v_add_f64 v[118:119], v[118:119], -v[184:185]
	ds_read2_b64 v[184:187], v180 offset0:30 offset1:31
	v_add_f64 v[116:117], v[116:117], -v[120:121]
	s_waitcnt lgkmcnt(1)
	v_mul_f64 v[120:121], v[170:171], v[122:123]
	v_fma_f64 v[120:121], v[168:169], v[178:179], -v[120:121]
	v_mul_f64 v[168:169], v[168:169], v[122:123]
	v_fmac_f64_e32 v[168:169], v[170:171], v[178:179]
	s_waitcnt vmcnt(27)
	v_add_f64 v[112:113], v[112:113], -v[120:121]
	v_add_f64 v[114:115], v[114:115], -v[168:169]
	ds_read2_b64 v[168:171], v180 offset0:32 offset1:33
	s_waitcnt lgkmcnt(1)
	v_mul_f64 v[120:121], v[186:187], v[122:123]
	v_fma_f64 v[120:121], v[184:185], v[178:179], -v[120:121]
	v_mul_f64 v[184:185], v[184:185], v[122:123]
	v_fmac_f64_e32 v[184:185], v[186:187], v[178:179]
	s_waitcnt vmcnt(26)
	v_add_f64 v[102:103], v[102:103], -v[184:185]
	ds_read2_b64 v[184:187], v180 offset0:34 offset1:35
	v_add_f64 v[100:101], v[100:101], -v[120:121]
	s_waitcnt lgkmcnt(1)
	v_mul_f64 v[120:121], v[170:171], v[122:123]
	v_fma_f64 v[120:121], v[168:169], v[178:179], -v[120:121]
	v_mul_f64 v[168:169], v[168:169], v[122:123]
	v_fmac_f64_e32 v[168:169], v[170:171], v[178:179]
	s_waitcnt vmcnt(25)
	v_add_f64 v[96:97], v[96:97], -v[120:121]
	v_add_f64 v[98:99], v[98:99], -v[168:169]
	ds_read2_b64 v[168:171], v180 offset0:36 offset1:37
	s_waitcnt lgkmcnt(1)
	v_mul_f64 v[120:121], v[186:187], v[122:123]
	v_fma_f64 v[120:121], v[184:185], v[178:179], -v[120:121]
	v_mul_f64 v[184:185], v[184:185], v[122:123]
	v_fmac_f64_e32 v[184:185], v[186:187], v[178:179]
	s_waitcnt vmcnt(24)
	v_add_f64 v[94:95], v[94:95], -v[184:185]
	ds_read2_b64 v[184:187], v180 offset0:38 offset1:39
	v_add_f64 v[92:93], v[92:93], -v[120:121]
	s_waitcnt lgkmcnt(1)
	v_mul_f64 v[120:121], v[170:171], v[122:123]
	v_fma_f64 v[120:121], v[168:169], v[178:179], -v[120:121]
	v_mul_f64 v[168:169], v[168:169], v[122:123]
	v_fmac_f64_e32 v[168:169], v[170:171], v[178:179]
	s_waitcnt vmcnt(23)
	v_add_f64 v[88:89], v[88:89], -v[120:121]
	v_add_f64 v[90:91], v[90:91], -v[168:169]
	ds_read2_b64 v[168:171], v180 offset0:40 offset1:41
	s_waitcnt lgkmcnt(1)
	v_mul_f64 v[120:121], v[186:187], v[122:123]
	v_fma_f64 v[120:121], v[184:185], v[178:179], -v[120:121]
	v_mul_f64 v[184:185], v[184:185], v[122:123]
	v_fmac_f64_e32 v[184:185], v[186:187], v[178:179]
	s_waitcnt vmcnt(22)
	v_add_f64 v[86:87], v[86:87], -v[184:185]
	ds_read2_b64 v[184:187], v180 offset0:42 offset1:43
	v_add_f64 v[84:85], v[84:85], -v[120:121]
	s_waitcnt lgkmcnt(1)
	v_mul_f64 v[120:121], v[170:171], v[122:123]
	v_fma_f64 v[120:121], v[168:169], v[178:179], -v[120:121]
	v_mul_f64 v[168:169], v[168:169], v[122:123]
	v_fmac_f64_e32 v[168:169], v[170:171], v[178:179]
	s_waitcnt vmcnt(21)
	v_add_f64 v[80:81], v[80:81], -v[120:121]
	v_add_f64 v[82:83], v[82:83], -v[168:169]
	ds_read2_b64 v[168:171], v180 offset0:44 offset1:45
	s_waitcnt lgkmcnt(1)
	v_mul_f64 v[120:121], v[186:187], v[122:123]
	v_fma_f64 v[120:121], v[184:185], v[178:179], -v[120:121]
	v_mul_f64 v[184:185], v[184:185], v[122:123]
	v_fmac_f64_e32 v[184:185], v[186:187], v[178:179]
	s_waitcnt vmcnt(20)
	v_add_f64 v[78:79], v[78:79], -v[184:185]
	ds_read2_b64 v[184:187], v180 offset0:46 offset1:47
	v_add_f64 v[76:77], v[76:77], -v[120:121]
	s_waitcnt lgkmcnt(1)
	v_mul_f64 v[120:121], v[170:171], v[122:123]
	v_fma_f64 v[120:121], v[168:169], v[178:179], -v[120:121]
	v_mul_f64 v[168:169], v[168:169], v[122:123]
	v_fmac_f64_e32 v[168:169], v[170:171], v[178:179]
	s_waitcnt vmcnt(19)
	v_add_f64 v[72:73], v[72:73], -v[120:121]
	v_add_f64 v[74:75], v[74:75], -v[168:169]
	ds_read2_b64 v[168:171], v180 offset0:48 offset1:49
	s_waitcnt lgkmcnt(1)
	v_mul_f64 v[120:121], v[186:187], v[122:123]
	v_fma_f64 v[120:121], v[184:185], v[178:179], -v[120:121]
	v_mul_f64 v[184:185], v[184:185], v[122:123]
	v_fmac_f64_e32 v[184:185], v[186:187], v[178:179]
	s_waitcnt vmcnt(18)
	v_add_f64 v[70:71], v[70:71], -v[184:185]
	ds_read2_b64 v[184:187], v180 offset0:50 offset1:51
	v_add_f64 v[68:69], v[68:69], -v[120:121]
	s_waitcnt lgkmcnt(1)
	v_mul_f64 v[120:121], v[170:171], v[122:123]
	v_fma_f64 v[120:121], v[168:169], v[178:179], -v[120:121]
	v_mul_f64 v[168:169], v[168:169], v[122:123]
	v_fmac_f64_e32 v[168:169], v[170:171], v[178:179]
	s_waitcnt vmcnt(17)
	v_add_f64 v[64:65], v[64:65], -v[120:121]
	v_add_f64 v[66:67], v[66:67], -v[168:169]
	ds_read2_b64 v[168:171], v180 offset0:52 offset1:53
	s_waitcnt lgkmcnt(1)
	v_mul_f64 v[120:121], v[186:187], v[122:123]
	v_fma_f64 v[120:121], v[184:185], v[178:179], -v[120:121]
	v_mul_f64 v[184:185], v[184:185], v[122:123]
	v_fmac_f64_e32 v[184:185], v[186:187], v[178:179]
	s_waitcnt vmcnt(16)
	v_add_f64 v[62:63], v[62:63], -v[184:185]
	ds_read2_b64 v[184:187], v180 offset0:54 offset1:55
	v_add_f64 v[60:61], v[60:61], -v[120:121]
	s_waitcnt lgkmcnt(1)
	v_mul_f64 v[120:121], v[170:171], v[122:123]
	v_fma_f64 v[120:121], v[168:169], v[178:179], -v[120:121]
	v_mul_f64 v[168:169], v[168:169], v[122:123]
	v_fmac_f64_e32 v[168:169], v[170:171], v[178:179]
	s_waitcnt vmcnt(15)
	v_add_f64 v[56:57], v[56:57], -v[120:121]
	v_add_f64 v[58:59], v[58:59], -v[168:169]
	ds_read2_b64 v[168:171], v180 offset0:56 offset1:57
	s_waitcnt lgkmcnt(1)
	v_mul_f64 v[120:121], v[186:187], v[122:123]
	v_fma_f64 v[120:121], v[184:185], v[178:179], -v[120:121]
	v_mul_f64 v[184:185], v[184:185], v[122:123]
	v_fmac_f64_e32 v[184:185], v[186:187], v[178:179]
	s_waitcnt vmcnt(14)
	v_add_f64 v[54:55], v[54:55], -v[184:185]
	ds_read2_b64 v[184:187], v180 offset0:58 offset1:59
	v_add_f64 v[52:53], v[52:53], -v[120:121]
	s_waitcnt lgkmcnt(1)
	v_mul_f64 v[120:121], v[170:171], v[122:123]
	v_fma_f64 v[120:121], v[168:169], v[178:179], -v[120:121]
	v_mul_f64 v[168:169], v[168:169], v[122:123]
	v_fmac_f64_e32 v[168:169], v[170:171], v[178:179]
	s_waitcnt vmcnt(13)
	v_add_f64 v[48:49], v[48:49], -v[120:121]
	v_add_f64 v[50:51], v[50:51], -v[168:169]
	ds_read2_b64 v[168:171], v180 offset0:60 offset1:61
	s_waitcnt lgkmcnt(1)
	v_mul_f64 v[120:121], v[186:187], v[122:123]
	v_fma_f64 v[120:121], v[184:185], v[178:179], -v[120:121]
	v_mul_f64 v[184:185], v[184:185], v[122:123]
	v_fmac_f64_e32 v[184:185], v[186:187], v[178:179]
	s_waitcnt vmcnt(12)
	v_add_f64 v[46:47], v[46:47], -v[184:185]
	ds_read2_b64 v[184:187], v180 offset0:62 offset1:63
	v_add_f64 v[44:45], v[44:45], -v[120:121]
	s_waitcnt lgkmcnt(1)
	v_mul_f64 v[120:121], v[170:171], v[122:123]
	v_fma_f64 v[120:121], v[168:169], v[178:179], -v[120:121]
	v_mul_f64 v[168:169], v[168:169], v[122:123]
	v_fmac_f64_e32 v[168:169], v[170:171], v[178:179]
	s_waitcnt vmcnt(11)
	v_add_f64 v[40:41], v[40:41], -v[120:121]
	v_add_f64 v[42:43], v[42:43], -v[168:169]
	ds_read2_b64 v[168:171], v180 offset0:64 offset1:65
	s_waitcnt lgkmcnt(1)
	v_mul_f64 v[120:121], v[186:187], v[122:123]
	v_fma_f64 v[120:121], v[184:185], v[178:179], -v[120:121]
	v_mul_f64 v[184:185], v[184:185], v[122:123]
	v_fmac_f64_e32 v[184:185], v[186:187], v[178:179]
	s_waitcnt vmcnt(10)
	v_add_f64 v[38:39], v[38:39], -v[184:185]
	ds_read2_b64 v[184:187], v180 offset0:66 offset1:67
	v_add_f64 v[36:37], v[36:37], -v[120:121]
	s_waitcnt lgkmcnt(1)
	v_mul_f64 v[120:121], v[170:171], v[122:123]
	v_fma_f64 v[120:121], v[168:169], v[178:179], -v[120:121]
	v_mul_f64 v[168:169], v[168:169], v[122:123]
	v_fmac_f64_e32 v[168:169], v[170:171], v[178:179]
	s_waitcnt vmcnt(9)
	v_add_f64 v[32:33], v[32:33], -v[120:121]
	v_add_f64 v[34:35], v[34:35], -v[168:169]
	ds_read2_b64 v[168:171], v180 offset0:68 offset1:69
	s_waitcnt lgkmcnt(1)
	v_mul_f64 v[120:121], v[186:187], v[122:123]
	v_fma_f64 v[120:121], v[184:185], v[178:179], -v[120:121]
	v_mul_f64 v[184:185], v[184:185], v[122:123]
	v_fmac_f64_e32 v[184:185], v[186:187], v[178:179]
	s_waitcnt vmcnt(8)
	v_add_f64 v[30:31], v[30:31], -v[184:185]
	ds_read2_b64 v[184:187], v180 offset0:70 offset1:71
	v_add_f64 v[28:29], v[28:29], -v[120:121]
	s_waitcnt lgkmcnt(1)
	v_mul_f64 v[120:121], v[170:171], v[122:123]
	v_fma_f64 v[120:121], v[168:169], v[178:179], -v[120:121]
	v_mul_f64 v[168:169], v[168:169], v[122:123]
	v_fmac_f64_e32 v[168:169], v[170:171], v[178:179]
	s_waitcnt vmcnt(7)
	v_add_f64 v[24:25], v[24:25], -v[120:121]
	v_add_f64 v[26:27], v[26:27], -v[168:169]
	ds_read2_b64 v[168:171], v180 offset0:72 offset1:73
	s_waitcnt lgkmcnt(1)
	v_mul_f64 v[120:121], v[186:187], v[122:123]
	v_fma_f64 v[120:121], v[184:185], v[178:179], -v[120:121]
	v_mul_f64 v[184:185], v[184:185], v[122:123]
	v_fmac_f64_e32 v[184:185], v[186:187], v[178:179]
	s_waitcnt vmcnt(6)
	v_add_f64 v[22:23], v[22:23], -v[184:185]
	ds_read2_b64 v[184:187], v180 offset0:74 offset1:75
	v_add_f64 v[20:21], v[20:21], -v[120:121]
	s_waitcnt lgkmcnt(1)
	v_mul_f64 v[120:121], v[170:171], v[122:123]
	v_fma_f64 v[120:121], v[168:169], v[178:179], -v[120:121]
	v_mul_f64 v[168:169], v[168:169], v[122:123]
	v_fmac_f64_e32 v[168:169], v[170:171], v[178:179]
	s_waitcnt vmcnt(5)
	v_add_f64 v[16:17], v[16:17], -v[120:121]
	v_add_f64 v[18:19], v[18:19], -v[168:169]
	ds_read2_b64 v[168:171], v180 offset0:76 offset1:77
	s_waitcnt lgkmcnt(1)
	v_mul_f64 v[120:121], v[186:187], v[122:123]
	v_fma_f64 v[120:121], v[184:185], v[178:179], -v[120:121]
	v_mul_f64 v[184:185], v[184:185], v[122:123]
	v_fmac_f64_e32 v[184:185], v[186:187], v[178:179]
	s_waitcnt vmcnt(4)
	v_add_f64 v[14:15], v[14:15], -v[184:185]
	ds_read2_b64 v[184:187], v180 offset0:78 offset1:79
	v_add_f64 v[12:13], v[12:13], -v[120:121]
	s_waitcnt lgkmcnt(1)
	v_mul_f64 v[120:121], v[170:171], v[122:123]
	v_fma_f64 v[120:121], v[168:169], v[178:179], -v[120:121]
	v_mul_f64 v[168:169], v[168:169], v[122:123]
	v_fmac_f64_e32 v[168:169], v[170:171], v[178:179]
	s_waitcnt vmcnt(3)
	v_add_f64 v[8:9], v[8:9], -v[120:121]
	v_add_f64 v[10:11], v[10:11], -v[168:169]
	ds_read2_b64 v[168:171], v180 offset0:80 offset1:81
	s_waitcnt lgkmcnt(1)
	v_mul_f64 v[120:121], v[186:187], v[122:123]
	v_fma_f64 v[120:121], v[184:185], v[178:179], -v[120:121]
	v_mul_f64 v[184:185], v[184:185], v[122:123]
	v_fmac_f64_e32 v[184:185], v[186:187], v[178:179]
	s_waitcnt vmcnt(2)
	v_add_f64 v[6:7], v[6:7], -v[184:185]
	ds_read2_b64 v[184:187], v180 offset0:82 offset1:83
	v_add_f64 v[4:5], v[4:5], -v[120:121]
	s_waitcnt lgkmcnt(1)
	v_mul_f64 v[120:121], v[170:171], v[122:123]
	v_fma_f64 v[120:121], v[168:169], v[178:179], -v[120:121]
	v_mul_f64 v[168:169], v[168:169], v[122:123]
	v_fmac_f64_e32 v[168:169], v[170:171], v[178:179]
	s_waitcnt vmcnt(1)
	v_add_f64 v[0:1], v[0:1], -v[120:121]
	v_add_f64 v[2:3], v[2:3], -v[168:169]
	s_waitcnt lgkmcnt(0)
	v_mul_f64 v[120:121], v[186:187], v[122:123]
	v_mul_f64 v[168:169], v[184:185], v[122:123]
	v_fma_f64 v[120:121], v[184:185], v[178:179], -v[120:121]
	v_fmac_f64_e32 v[168:169], v[186:187], v[178:179]
	s_waitcnt vmcnt(0)
	v_add_f64 v[164:165], v[164:165], -v[120:121]
	v_add_f64 v[166:167], v[166:167], -v[168:169]
	v_mov_b64_e32 v[120:121], v[178:179]
.LBB82_272:
	s_or_b64 exec, exec, s[0:1]
	v_lshl_add_u32 v168, v181, 4, v180
	s_barrier
	s_waitcnt vmcnt(28)
	ds_write2_b64 v168, v[116:117], v[118:119] offset1:1
	s_waitcnt lgkmcnt(0)
	s_barrier
	ds_read2_b64 v[168:171], v180 offset0:26 offset1:27
	s_cmp_lt_i32 s20, 15
	v_mov_b32_e32 v178, 13
	s_cbranch_scc1 .LBB82_275
; %bb.273:
	v_add_u32_e32 v179, 0xe0, v180
	s_mov_b32 s16, 14
	v_mov_b32_e32 v178, 13
.LBB82_274:                             ; =>This Inner Loop Header: Depth=1
	ds_read2_b64 v[184:187], v179 offset1:1
	s_waitcnt lgkmcnt(1)
	v_xor_b32_e32 v189, 0x80000000, v169
	v_xor_b32_e32 v191, 0x80000000, v171
	v_cmp_gt_f64_e32 vcc, 0, v[170:171]
	v_cmp_gt_f64_e64 s[0:1], 0, v[168:169]
	v_mov_b32_e32 v188, v168
	v_mov_b32_e32 v190, v170
	v_cndmask_b32_e64 v189, v169, v189, s[0:1]
	v_cndmask_b32_e32 v191, v171, v191, vcc
	v_add_f64 v[188:189], v[188:189], v[190:191]
	s_waitcnt lgkmcnt(0)
	v_xor_b32_e32 v191, 0x80000000, v185
	v_xor_b32_e32 v193, 0x80000000, v187
	v_cmp_gt_f64_e32 vcc, 0, v[186:187]
	v_cmp_gt_f64_e64 s[0:1], 0, v[184:185]
	v_mov_b32_e32 v190, v184
	v_mov_b32_e32 v192, v186
	v_cndmask_b32_e64 v191, v185, v191, s[0:1]
	v_cndmask_b32_e32 v193, v187, v193, vcc
	v_add_f64 v[190:191], v[190:191], v[192:193]
	v_mov_b32_e32 v194, s16
	s_add_i32 s16, s16, 1
	v_cmp_lt_f64_e32 vcc, v[188:189], v[190:191]
	v_add_u32_e32 v179, 16, v179
	s_cmp_lg_u32 s20, s16
	v_cndmask_b32_e32 v169, v169, v185, vcc
	v_cndmask_b32_e32 v168, v168, v184, vcc
	;; [unrolled: 1-line block ×5, first 2 shown]
	s_cbranch_scc1 .LBB82_274
.LBB82_275:
	s_waitcnt lgkmcnt(0)
	v_cmp_eq_f64_e32 vcc, 0, v[168:169]
	v_cmp_eq_f64_e64 s[0:1], 0, v[170:171]
	s_and_b64 s[0:1], vcc, s[0:1]
	s_and_saveexec_b64 s[16:17], s[0:1]
	s_xor_b64 s[0:1], exec, s[16:17]
; %bb.276:
	v_cmp_ne_u32_e32 vcc, 0, v182
	s_nop 1
	v_cndmask_b32_e32 v182, 14, v182, vcc
; %bb.277:
	s_andn2_saveexec_b64 s[0:1], s[0:1]
	s_cbranch_execz .LBB82_283
; %bb.278:
	v_cmp_ngt_f64_e64 s[16:17], |v[168:169]|, |v[170:171]|
	s_and_saveexec_b64 s[18:19], s[16:17]
	s_xor_b64 s[16:17], exec, s[18:19]
	s_cbranch_execz .LBB82_280
; %bb.279:
	v_div_scale_f64 v[184:185], s[18:19], v[170:171], v[170:171], v[168:169]
	v_rcp_f64_e32 v[186:187], v[184:185]
	v_div_scale_f64 v[188:189], vcc, v[168:169], v[170:171], v[168:169]
	v_fma_f64 v[190:191], -v[184:185], v[186:187], 1.0
	v_fmac_f64_e32 v[186:187], v[186:187], v[190:191]
	v_fma_f64 v[190:191], -v[184:185], v[186:187], 1.0
	v_fmac_f64_e32 v[186:187], v[186:187], v[190:191]
	v_mul_f64 v[190:191], v[188:189], v[186:187]
	v_fma_f64 v[184:185], -v[184:185], v[190:191], v[188:189]
	v_div_fmas_f64 v[184:185], v[184:185], v[186:187], v[190:191]
	v_div_fixup_f64 v[184:185], v[184:185], v[170:171], v[168:169]
	v_fmac_f64_e32 v[170:171], v[168:169], v[184:185]
	v_div_scale_f64 v[168:169], s[18:19], v[170:171], v[170:171], 1.0
	v_rcp_f64_e32 v[186:187], v[168:169]
	s_nop 0
	v_fma_f64 v[188:189], -v[168:169], v[186:187], 1.0
	v_fmac_f64_e32 v[186:187], v[186:187], v[188:189]
	v_fma_f64 v[188:189], -v[168:169], v[186:187], 1.0
	v_fmac_f64_e32 v[186:187], v[186:187], v[188:189]
	v_div_scale_f64 v[188:189], vcc, 1.0, v[170:171], 1.0
	v_mul_f64 v[190:191], v[188:189], v[186:187]
	v_fma_f64 v[168:169], -v[168:169], v[190:191], v[188:189]
	s_nop 1
	v_div_fmas_f64 v[168:169], v[168:169], v[186:187], v[190:191]
	v_div_fixup_f64 v[170:171], v[168:169], v[170:171], 1.0
	v_mul_f64 v[168:169], v[184:185], v[170:171]
	v_xor_b32_e32 v171, 0x80000000, v171
.LBB82_280:
	s_andn2_saveexec_b64 s[16:17], s[16:17]
	s_cbranch_execz .LBB82_282
; %bb.281:
	v_div_scale_f64 v[184:185], s[18:19], v[168:169], v[168:169], v[170:171]
	v_rcp_f64_e32 v[186:187], v[184:185]
	v_div_scale_f64 v[188:189], vcc, v[170:171], v[168:169], v[170:171]
	v_fma_f64 v[190:191], -v[184:185], v[186:187], 1.0
	v_fmac_f64_e32 v[186:187], v[186:187], v[190:191]
	v_fma_f64 v[190:191], -v[184:185], v[186:187], 1.0
	v_fmac_f64_e32 v[186:187], v[186:187], v[190:191]
	v_mul_f64 v[190:191], v[188:189], v[186:187]
	v_fma_f64 v[184:185], -v[184:185], v[190:191], v[188:189]
	v_div_fmas_f64 v[184:185], v[184:185], v[186:187], v[190:191]
	v_div_fixup_f64 v[184:185], v[184:185], v[168:169], v[170:171]
	v_fmac_f64_e32 v[168:169], v[170:171], v[184:185]
	v_div_scale_f64 v[170:171], s[18:19], v[168:169], v[168:169], 1.0
	v_rcp_f64_e32 v[186:187], v[170:171]
	s_nop 0
	v_fma_f64 v[188:189], -v[170:171], v[186:187], 1.0
	v_fmac_f64_e32 v[186:187], v[186:187], v[188:189]
	v_fma_f64 v[188:189], -v[170:171], v[186:187], 1.0
	v_fmac_f64_e32 v[186:187], v[186:187], v[188:189]
	v_div_scale_f64 v[188:189], vcc, 1.0, v[168:169], 1.0
	v_mul_f64 v[190:191], v[188:189], v[186:187]
	v_fma_f64 v[170:171], -v[170:171], v[190:191], v[188:189]
	s_nop 1
	v_div_fmas_f64 v[170:171], v[170:171], v[186:187], v[190:191]
	v_div_fixup_f64 v[168:169], v[170:171], v[168:169], 1.0
	v_mul_f64 v[170:171], v[184:185], -v[168:169]
.LBB82_282:
	s_or_b64 exec, exec, s[16:17]
.LBB82_283:
	s_or_b64 exec, exec, s[0:1]
	v_cmp_ne_u32_e32 vcc, v181, v178
	s_and_saveexec_b64 s[0:1], vcc
	s_xor_b64 s[0:1], exec, s[0:1]
	s_cbranch_execz .LBB82_289
; %bb.284:
	v_cmp_eq_u32_e32 vcc, 13, v181
	s_and_saveexec_b64 s[16:17], vcc
	s_cbranch_execz .LBB82_288
; %bb.285:
	v_cmp_ne_u32_e32 vcc, 13, v178
	s_xor_b64 s[18:19], s[14:15], -1
	s_and_b64 s[22:23], s[18:19], vcc
	s_and_saveexec_b64 s[18:19], s[22:23]
	s_cbranch_execz .LBB82_287
; %bb.286:
	v_ashrrev_i32_e32 v179, 31, v178
	v_lshl_add_u64 v[184:185], v[178:179], 2, v[176:177]
	global_load_dword v179, v[184:185], off
	global_load_dword v181, v[176:177], off offset:52
	s_waitcnt vmcnt(1)
	global_store_dword v[176:177], v179, off offset:52
	s_waitcnt vmcnt(1)
	global_store_dword v[184:185], v181, off
.LBB82_287:
	s_or_b64 exec, exec, s[18:19]
	v_mov_b32_e32 v181, v178
	v_mov_b32_e32 v183, v178
.LBB82_288:
	s_or_b64 exec, exec, s[16:17]
.LBB82_289:
	s_andn2_saveexec_b64 s[0:1], s[0:1]
	s_cbranch_execz .LBB82_291
; %bb.290:
	v_mov_b32_e32 v181, 13
	s_waitcnt vmcnt(27)
	ds_write2_b64 v180, v[112:113], v[114:115] offset0:28 offset1:29
	s_waitcnt vmcnt(26)
	ds_write2_b64 v180, v[100:101], v[102:103] offset0:30 offset1:31
	;; [unrolled: 2-line block ×28, first 2 shown]
.LBB82_291:
	s_or_b64 exec, exec, s[0:1]
	v_cmp_lt_i32_e32 vcc, 13, v181
	s_waitcnt lgkmcnt(0)
	s_barrier
	s_and_saveexec_b64 s[0:1], vcc
	s_cbranch_execz .LBB82_293
; %bb.292:
	ds_read2_b64 v[184:187], v180 offset0:28 offset1:29
	v_mul_f64 v[178:179], v[170:171], v[118:119]
	v_mul_f64 v[118:119], v[168:169], v[118:119]
	v_fma_f64 v[178:179], v[168:169], v[116:117], -v[178:179]
	v_fmac_f64_e32 v[118:119], v[170:171], v[116:117]
	ds_read2_b64 v[168:171], v180 offset0:30 offset1:31
	s_waitcnt lgkmcnt(1)
	v_mul_f64 v[116:117], v[186:187], v[118:119]
	v_fma_f64 v[116:117], v[184:185], v[178:179], -v[116:117]
	v_mul_f64 v[184:185], v[184:185], v[118:119]
	v_fmac_f64_e32 v[184:185], v[186:187], v[178:179]
	s_waitcnt vmcnt(27)
	v_add_f64 v[112:113], v[112:113], -v[116:117]
	s_waitcnt lgkmcnt(0)
	v_mul_f64 v[116:117], v[170:171], v[118:119]
	v_add_f64 v[114:115], v[114:115], -v[184:185]
	v_fma_f64 v[116:117], v[168:169], v[178:179], -v[116:117]
	v_mul_f64 v[168:169], v[168:169], v[118:119]
	ds_read2_b64 v[184:187], v180 offset0:32 offset1:33
	v_fmac_f64_e32 v[168:169], v[170:171], v[178:179]
	s_waitcnt vmcnt(26)
	v_add_f64 v[102:103], v[102:103], -v[168:169]
	ds_read2_b64 v[168:171], v180 offset0:34 offset1:35
	v_add_f64 v[100:101], v[100:101], -v[116:117]
	s_waitcnt lgkmcnt(1)
	v_mul_f64 v[116:117], v[186:187], v[118:119]
	v_fma_f64 v[116:117], v[184:185], v[178:179], -v[116:117]
	v_mul_f64 v[184:185], v[184:185], v[118:119]
	v_fmac_f64_e32 v[184:185], v[186:187], v[178:179]
	s_waitcnt vmcnt(25)
	v_add_f64 v[96:97], v[96:97], -v[116:117]
	s_waitcnt lgkmcnt(0)
	v_mul_f64 v[116:117], v[170:171], v[118:119]
	v_add_f64 v[98:99], v[98:99], -v[184:185]
	v_fma_f64 v[116:117], v[168:169], v[178:179], -v[116:117]
	v_mul_f64 v[168:169], v[168:169], v[118:119]
	ds_read2_b64 v[184:187], v180 offset0:36 offset1:37
	v_fmac_f64_e32 v[168:169], v[170:171], v[178:179]
	s_waitcnt vmcnt(24)
	v_add_f64 v[94:95], v[94:95], -v[168:169]
	ds_read2_b64 v[168:171], v180 offset0:38 offset1:39
	v_add_f64 v[92:93], v[92:93], -v[116:117]
	;; [unrolled: 18-line block ×13, first 2 shown]
	s_waitcnt lgkmcnt(1)
	v_mul_f64 v[116:117], v[186:187], v[118:119]
	v_fma_f64 v[116:117], v[184:185], v[178:179], -v[116:117]
	s_waitcnt vmcnt(1)
	v_add_f64 v[0:1], v[0:1], -v[116:117]
	s_waitcnt lgkmcnt(0)
	v_mul_f64 v[116:117], v[170:171], v[118:119]
	v_mul_f64 v[184:185], v[184:185], v[118:119]
	v_fma_f64 v[116:117], v[168:169], v[178:179], -v[116:117]
	v_mul_f64 v[168:169], v[168:169], v[118:119]
	v_fmac_f64_e32 v[184:185], v[186:187], v[178:179]
	v_fmac_f64_e32 v[168:169], v[170:171], v[178:179]
	v_add_f64 v[2:3], v[2:3], -v[184:185]
	s_waitcnt vmcnt(0)
	v_add_f64 v[164:165], v[164:165], -v[116:117]
	v_add_f64 v[166:167], v[166:167], -v[168:169]
	v_mov_b64_e32 v[116:117], v[178:179]
.LBB82_293:
	s_or_b64 exec, exec, s[0:1]
	v_lshl_add_u32 v168, v181, 4, v180
	s_barrier
	s_waitcnt vmcnt(27)
	ds_write2_b64 v168, v[112:113], v[114:115] offset1:1
	s_waitcnt lgkmcnt(0)
	s_barrier
	ds_read2_b64 v[168:171], v180 offset0:28 offset1:29
	s_cmp_lt_i32 s20, 16
	v_mov_b32_e32 v178, 14
	s_cbranch_scc1 .LBB82_296
; %bb.294:
	v_add_u32_e32 v179, 0xf0, v180
	s_mov_b32 s16, 15
	v_mov_b32_e32 v178, 14
.LBB82_295:                             ; =>This Inner Loop Header: Depth=1
	ds_read2_b64 v[184:187], v179 offset1:1
	s_waitcnt lgkmcnt(1)
	v_xor_b32_e32 v189, 0x80000000, v169
	v_xor_b32_e32 v191, 0x80000000, v171
	v_cmp_gt_f64_e32 vcc, 0, v[170:171]
	v_cmp_gt_f64_e64 s[0:1], 0, v[168:169]
	v_mov_b32_e32 v188, v168
	v_mov_b32_e32 v190, v170
	v_cndmask_b32_e64 v189, v169, v189, s[0:1]
	v_cndmask_b32_e32 v191, v171, v191, vcc
	v_add_f64 v[188:189], v[188:189], v[190:191]
	s_waitcnt lgkmcnt(0)
	v_xor_b32_e32 v191, 0x80000000, v185
	v_xor_b32_e32 v193, 0x80000000, v187
	v_cmp_gt_f64_e32 vcc, 0, v[186:187]
	v_cmp_gt_f64_e64 s[0:1], 0, v[184:185]
	v_mov_b32_e32 v190, v184
	v_mov_b32_e32 v192, v186
	v_cndmask_b32_e64 v191, v185, v191, s[0:1]
	v_cndmask_b32_e32 v193, v187, v193, vcc
	v_add_f64 v[190:191], v[190:191], v[192:193]
	v_mov_b32_e32 v194, s16
	s_add_i32 s16, s16, 1
	v_cmp_lt_f64_e32 vcc, v[188:189], v[190:191]
	v_add_u32_e32 v179, 16, v179
	s_cmp_lg_u32 s20, s16
	v_cndmask_b32_e32 v169, v169, v185, vcc
	v_cndmask_b32_e32 v168, v168, v184, vcc
	;; [unrolled: 1-line block ×5, first 2 shown]
	s_cbranch_scc1 .LBB82_295
.LBB82_296:
	s_waitcnt lgkmcnt(0)
	v_cmp_eq_f64_e32 vcc, 0, v[168:169]
	v_cmp_eq_f64_e64 s[0:1], 0, v[170:171]
	s_and_b64 s[0:1], vcc, s[0:1]
	s_and_saveexec_b64 s[16:17], s[0:1]
	s_xor_b64 s[0:1], exec, s[16:17]
; %bb.297:
	v_cmp_ne_u32_e32 vcc, 0, v182
	s_nop 1
	v_cndmask_b32_e32 v182, 15, v182, vcc
; %bb.298:
	s_andn2_saveexec_b64 s[0:1], s[0:1]
	s_cbranch_execz .LBB82_304
; %bb.299:
	v_cmp_ngt_f64_e64 s[16:17], |v[168:169]|, |v[170:171]|
	s_and_saveexec_b64 s[18:19], s[16:17]
	s_xor_b64 s[16:17], exec, s[18:19]
	s_cbranch_execz .LBB82_301
; %bb.300:
	v_div_scale_f64 v[184:185], s[18:19], v[170:171], v[170:171], v[168:169]
	v_rcp_f64_e32 v[186:187], v[184:185]
	v_div_scale_f64 v[188:189], vcc, v[168:169], v[170:171], v[168:169]
	v_fma_f64 v[190:191], -v[184:185], v[186:187], 1.0
	v_fmac_f64_e32 v[186:187], v[186:187], v[190:191]
	v_fma_f64 v[190:191], -v[184:185], v[186:187], 1.0
	v_fmac_f64_e32 v[186:187], v[186:187], v[190:191]
	v_mul_f64 v[190:191], v[188:189], v[186:187]
	v_fma_f64 v[184:185], -v[184:185], v[190:191], v[188:189]
	v_div_fmas_f64 v[184:185], v[184:185], v[186:187], v[190:191]
	v_div_fixup_f64 v[184:185], v[184:185], v[170:171], v[168:169]
	v_fmac_f64_e32 v[170:171], v[168:169], v[184:185]
	v_div_scale_f64 v[168:169], s[18:19], v[170:171], v[170:171], 1.0
	v_rcp_f64_e32 v[186:187], v[168:169]
	s_nop 0
	v_fma_f64 v[188:189], -v[168:169], v[186:187], 1.0
	v_fmac_f64_e32 v[186:187], v[186:187], v[188:189]
	v_fma_f64 v[188:189], -v[168:169], v[186:187], 1.0
	v_fmac_f64_e32 v[186:187], v[186:187], v[188:189]
	v_div_scale_f64 v[188:189], vcc, 1.0, v[170:171], 1.0
	v_mul_f64 v[190:191], v[188:189], v[186:187]
	v_fma_f64 v[168:169], -v[168:169], v[190:191], v[188:189]
	s_nop 1
	v_div_fmas_f64 v[168:169], v[168:169], v[186:187], v[190:191]
	v_div_fixup_f64 v[170:171], v[168:169], v[170:171], 1.0
	v_mul_f64 v[168:169], v[184:185], v[170:171]
	v_xor_b32_e32 v171, 0x80000000, v171
.LBB82_301:
	s_andn2_saveexec_b64 s[16:17], s[16:17]
	s_cbranch_execz .LBB82_303
; %bb.302:
	v_div_scale_f64 v[184:185], s[18:19], v[168:169], v[168:169], v[170:171]
	v_rcp_f64_e32 v[186:187], v[184:185]
	v_div_scale_f64 v[188:189], vcc, v[170:171], v[168:169], v[170:171]
	v_fma_f64 v[190:191], -v[184:185], v[186:187], 1.0
	v_fmac_f64_e32 v[186:187], v[186:187], v[190:191]
	v_fma_f64 v[190:191], -v[184:185], v[186:187], 1.0
	v_fmac_f64_e32 v[186:187], v[186:187], v[190:191]
	v_mul_f64 v[190:191], v[188:189], v[186:187]
	v_fma_f64 v[184:185], -v[184:185], v[190:191], v[188:189]
	v_div_fmas_f64 v[184:185], v[184:185], v[186:187], v[190:191]
	v_div_fixup_f64 v[184:185], v[184:185], v[168:169], v[170:171]
	v_fmac_f64_e32 v[168:169], v[170:171], v[184:185]
	v_div_scale_f64 v[170:171], s[18:19], v[168:169], v[168:169], 1.0
	v_rcp_f64_e32 v[186:187], v[170:171]
	s_nop 0
	v_fma_f64 v[188:189], -v[170:171], v[186:187], 1.0
	v_fmac_f64_e32 v[186:187], v[186:187], v[188:189]
	v_fma_f64 v[188:189], -v[170:171], v[186:187], 1.0
	v_fmac_f64_e32 v[186:187], v[186:187], v[188:189]
	v_div_scale_f64 v[188:189], vcc, 1.0, v[168:169], 1.0
	v_mul_f64 v[190:191], v[188:189], v[186:187]
	v_fma_f64 v[170:171], -v[170:171], v[190:191], v[188:189]
	s_nop 1
	v_div_fmas_f64 v[170:171], v[170:171], v[186:187], v[190:191]
	v_div_fixup_f64 v[168:169], v[170:171], v[168:169], 1.0
	v_mul_f64 v[170:171], v[184:185], -v[168:169]
.LBB82_303:
	s_or_b64 exec, exec, s[16:17]
.LBB82_304:
	s_or_b64 exec, exec, s[0:1]
	v_cmp_ne_u32_e32 vcc, v181, v178
	s_and_saveexec_b64 s[0:1], vcc
	s_xor_b64 s[0:1], exec, s[0:1]
	s_cbranch_execz .LBB82_310
; %bb.305:
	v_cmp_eq_u32_e32 vcc, 14, v181
	s_and_saveexec_b64 s[16:17], vcc
	s_cbranch_execz .LBB82_309
; %bb.306:
	v_cmp_ne_u32_e32 vcc, 14, v178
	s_xor_b64 s[18:19], s[14:15], -1
	s_and_b64 s[22:23], s[18:19], vcc
	s_and_saveexec_b64 s[18:19], s[22:23]
	s_cbranch_execz .LBB82_308
; %bb.307:
	v_ashrrev_i32_e32 v179, 31, v178
	v_lshl_add_u64 v[184:185], v[178:179], 2, v[176:177]
	global_load_dword v179, v[184:185], off
	global_load_dword v181, v[176:177], off offset:56
	s_waitcnt vmcnt(1)
	global_store_dword v[176:177], v179, off offset:56
	s_waitcnt vmcnt(1)
	global_store_dword v[184:185], v181, off
.LBB82_308:
	s_or_b64 exec, exec, s[18:19]
	v_mov_b32_e32 v181, v178
	v_mov_b32_e32 v183, v178
.LBB82_309:
	s_or_b64 exec, exec, s[16:17]
.LBB82_310:
	s_andn2_saveexec_b64 s[0:1], s[0:1]
	s_cbranch_execz .LBB82_312
; %bb.311:
	v_mov_b32_e32 v181, 14
	s_waitcnt vmcnt(26)
	ds_write2_b64 v180, v[100:101], v[102:103] offset0:30 offset1:31
	s_waitcnt vmcnt(25)
	ds_write2_b64 v180, v[96:97], v[98:99] offset0:32 offset1:33
	s_waitcnt vmcnt(24)
	ds_write2_b64 v180, v[92:93], v[94:95] offset0:34 offset1:35
	s_waitcnt vmcnt(23)
	ds_write2_b64 v180, v[88:89], v[90:91] offset0:36 offset1:37
	s_waitcnt vmcnt(22)
	ds_write2_b64 v180, v[84:85], v[86:87] offset0:38 offset1:39
	s_waitcnt vmcnt(21)
	ds_write2_b64 v180, v[80:81], v[82:83] offset0:40 offset1:41
	s_waitcnt vmcnt(20)
	ds_write2_b64 v180, v[76:77], v[78:79] offset0:42 offset1:43
	s_waitcnt vmcnt(19)
	ds_write2_b64 v180, v[72:73], v[74:75] offset0:44 offset1:45
	s_waitcnt vmcnt(18)
	ds_write2_b64 v180, v[68:69], v[70:71] offset0:46 offset1:47
	s_waitcnt vmcnt(17)
	ds_write2_b64 v180, v[64:65], v[66:67] offset0:48 offset1:49
	s_waitcnt vmcnt(16)
	ds_write2_b64 v180, v[60:61], v[62:63] offset0:50 offset1:51
	s_waitcnt vmcnt(15)
	ds_write2_b64 v180, v[56:57], v[58:59] offset0:52 offset1:53
	s_waitcnt vmcnt(14)
	ds_write2_b64 v180, v[52:53], v[54:55] offset0:54 offset1:55
	s_waitcnt vmcnt(13)
	ds_write2_b64 v180, v[48:49], v[50:51] offset0:56 offset1:57
	s_waitcnt vmcnt(12)
	ds_write2_b64 v180, v[44:45], v[46:47] offset0:58 offset1:59
	s_waitcnt vmcnt(11)
	ds_write2_b64 v180, v[40:41], v[42:43] offset0:60 offset1:61
	s_waitcnt vmcnt(10)
	ds_write2_b64 v180, v[36:37], v[38:39] offset0:62 offset1:63
	s_waitcnt vmcnt(9)
	ds_write2_b64 v180, v[32:33], v[34:35] offset0:64 offset1:65
	s_waitcnt vmcnt(8)
	ds_write2_b64 v180, v[28:29], v[30:31] offset0:66 offset1:67
	s_waitcnt vmcnt(7)
	ds_write2_b64 v180, v[24:25], v[26:27] offset0:68 offset1:69
	s_waitcnt vmcnt(6)
	ds_write2_b64 v180, v[20:21], v[22:23] offset0:70 offset1:71
	s_waitcnt vmcnt(5)
	ds_write2_b64 v180, v[16:17], v[18:19] offset0:72 offset1:73
	s_waitcnt vmcnt(4)
	ds_write2_b64 v180, v[12:13], v[14:15] offset0:74 offset1:75
	s_waitcnt vmcnt(3)
	ds_write2_b64 v180, v[8:9], v[10:11] offset0:76 offset1:77
	s_waitcnt vmcnt(2)
	ds_write2_b64 v180, v[4:5], v[6:7] offset0:78 offset1:79
	s_waitcnt vmcnt(1)
	ds_write2_b64 v180, v[0:1], v[2:3] offset0:80 offset1:81
	s_waitcnt vmcnt(0)
	ds_write2_b64 v180, v[164:165], v[166:167] offset0:82 offset1:83
.LBB82_312:
	s_or_b64 exec, exec, s[0:1]
	v_cmp_lt_i32_e32 vcc, 14, v181
	s_waitcnt lgkmcnt(0)
	s_barrier
	s_and_saveexec_b64 s[0:1], vcc
	s_cbranch_execz .LBB82_314
; %bb.313:
	ds_read2_b64 v[184:187], v180 offset0:30 offset1:31
	v_mul_f64 v[178:179], v[170:171], v[114:115]
	v_mul_f64 v[114:115], v[168:169], v[114:115]
	v_fmac_f64_e32 v[114:115], v[170:171], v[112:113]
	v_fma_f64 v[178:179], v[168:169], v[112:113], -v[178:179]
	ds_read2_b64 v[168:171], v180 offset0:32 offset1:33
	s_waitcnt lgkmcnt(1)
	v_mul_f64 v[112:113], v[186:187], v[114:115]
	v_fma_f64 v[112:113], v[184:185], v[178:179], -v[112:113]
	v_mul_f64 v[184:185], v[184:185], v[114:115]
	v_fmac_f64_e32 v[184:185], v[186:187], v[178:179]
	s_waitcnt vmcnt(26)
	v_add_f64 v[102:103], v[102:103], -v[184:185]
	ds_read2_b64 v[184:187], v180 offset0:34 offset1:35
	v_add_f64 v[100:101], v[100:101], -v[112:113]
	s_waitcnt lgkmcnt(1)
	v_mul_f64 v[112:113], v[170:171], v[114:115]
	v_fma_f64 v[112:113], v[168:169], v[178:179], -v[112:113]
	v_mul_f64 v[168:169], v[168:169], v[114:115]
	v_fmac_f64_e32 v[168:169], v[170:171], v[178:179]
	s_waitcnt vmcnt(25)
	v_add_f64 v[96:97], v[96:97], -v[112:113]
	v_add_f64 v[98:99], v[98:99], -v[168:169]
	ds_read2_b64 v[168:171], v180 offset0:36 offset1:37
	s_waitcnt lgkmcnt(1)
	v_mul_f64 v[112:113], v[186:187], v[114:115]
	v_fma_f64 v[112:113], v[184:185], v[178:179], -v[112:113]
	v_mul_f64 v[184:185], v[184:185], v[114:115]
	v_fmac_f64_e32 v[184:185], v[186:187], v[178:179]
	s_waitcnt vmcnt(24)
	v_add_f64 v[94:95], v[94:95], -v[184:185]
	ds_read2_b64 v[184:187], v180 offset0:38 offset1:39
	v_add_f64 v[92:93], v[92:93], -v[112:113]
	s_waitcnt lgkmcnt(1)
	v_mul_f64 v[112:113], v[170:171], v[114:115]
	v_fma_f64 v[112:113], v[168:169], v[178:179], -v[112:113]
	v_mul_f64 v[168:169], v[168:169], v[114:115]
	v_fmac_f64_e32 v[168:169], v[170:171], v[178:179]
	s_waitcnt vmcnt(23)
	v_add_f64 v[88:89], v[88:89], -v[112:113]
	v_add_f64 v[90:91], v[90:91], -v[168:169]
	;; [unrolled: 18-line block ×13, first 2 shown]
	s_waitcnt lgkmcnt(0)
	v_mul_f64 v[112:113], v[186:187], v[114:115]
	v_mul_f64 v[168:169], v[184:185], v[114:115]
	v_fma_f64 v[112:113], v[184:185], v[178:179], -v[112:113]
	v_fmac_f64_e32 v[168:169], v[186:187], v[178:179]
	s_waitcnt vmcnt(0)
	v_add_f64 v[164:165], v[164:165], -v[112:113]
	v_add_f64 v[166:167], v[166:167], -v[168:169]
	v_mov_b64_e32 v[112:113], v[178:179]
.LBB82_314:
	s_or_b64 exec, exec, s[0:1]
	v_lshl_add_u32 v168, v181, 4, v180
	s_barrier
	s_waitcnt vmcnt(26)
	ds_write2_b64 v168, v[100:101], v[102:103] offset1:1
	s_waitcnt lgkmcnt(0)
	s_barrier
	ds_read2_b64 v[168:171], v180 offset0:30 offset1:31
	s_cmp_lt_i32 s20, 17
	v_mov_b32_e32 v178, 15
	s_cbranch_scc1 .LBB82_317
; %bb.315:
	v_add_u32_e32 v179, 0x100, v180
	s_mov_b32 s16, 16
	v_mov_b32_e32 v178, 15
.LBB82_316:                             ; =>This Inner Loop Header: Depth=1
	ds_read2_b64 v[184:187], v179 offset1:1
	s_waitcnt lgkmcnt(1)
	v_xor_b32_e32 v189, 0x80000000, v169
	v_xor_b32_e32 v191, 0x80000000, v171
	v_cmp_gt_f64_e32 vcc, 0, v[170:171]
	v_cmp_gt_f64_e64 s[0:1], 0, v[168:169]
	v_mov_b32_e32 v188, v168
	v_mov_b32_e32 v190, v170
	v_cndmask_b32_e64 v189, v169, v189, s[0:1]
	v_cndmask_b32_e32 v191, v171, v191, vcc
	v_add_f64 v[188:189], v[188:189], v[190:191]
	s_waitcnt lgkmcnt(0)
	v_xor_b32_e32 v191, 0x80000000, v185
	v_xor_b32_e32 v193, 0x80000000, v187
	v_cmp_gt_f64_e32 vcc, 0, v[186:187]
	v_cmp_gt_f64_e64 s[0:1], 0, v[184:185]
	v_mov_b32_e32 v190, v184
	v_mov_b32_e32 v192, v186
	v_cndmask_b32_e64 v191, v185, v191, s[0:1]
	v_cndmask_b32_e32 v193, v187, v193, vcc
	v_add_f64 v[190:191], v[190:191], v[192:193]
	v_mov_b32_e32 v194, s16
	s_add_i32 s16, s16, 1
	v_cmp_lt_f64_e32 vcc, v[188:189], v[190:191]
	v_add_u32_e32 v179, 16, v179
	s_cmp_lg_u32 s20, s16
	v_cndmask_b32_e32 v169, v169, v185, vcc
	v_cndmask_b32_e32 v168, v168, v184, vcc
	;; [unrolled: 1-line block ×5, first 2 shown]
	s_cbranch_scc1 .LBB82_316
.LBB82_317:
	s_waitcnt lgkmcnt(0)
	v_cmp_eq_f64_e32 vcc, 0, v[168:169]
	v_cmp_eq_f64_e64 s[0:1], 0, v[170:171]
	s_and_b64 s[0:1], vcc, s[0:1]
	s_and_saveexec_b64 s[16:17], s[0:1]
	s_xor_b64 s[0:1], exec, s[16:17]
; %bb.318:
	v_cmp_ne_u32_e32 vcc, 0, v182
	s_nop 1
	v_cndmask_b32_e32 v182, 16, v182, vcc
; %bb.319:
	s_andn2_saveexec_b64 s[0:1], s[0:1]
	s_cbranch_execz .LBB82_325
; %bb.320:
	v_cmp_ngt_f64_e64 s[16:17], |v[168:169]|, |v[170:171]|
	s_and_saveexec_b64 s[18:19], s[16:17]
	s_xor_b64 s[16:17], exec, s[18:19]
	s_cbranch_execz .LBB82_322
; %bb.321:
	v_div_scale_f64 v[184:185], s[18:19], v[170:171], v[170:171], v[168:169]
	v_rcp_f64_e32 v[186:187], v[184:185]
	v_div_scale_f64 v[188:189], vcc, v[168:169], v[170:171], v[168:169]
	v_fma_f64 v[190:191], -v[184:185], v[186:187], 1.0
	v_fmac_f64_e32 v[186:187], v[186:187], v[190:191]
	v_fma_f64 v[190:191], -v[184:185], v[186:187], 1.0
	v_fmac_f64_e32 v[186:187], v[186:187], v[190:191]
	v_mul_f64 v[190:191], v[188:189], v[186:187]
	v_fma_f64 v[184:185], -v[184:185], v[190:191], v[188:189]
	v_div_fmas_f64 v[184:185], v[184:185], v[186:187], v[190:191]
	v_div_fixup_f64 v[184:185], v[184:185], v[170:171], v[168:169]
	v_fmac_f64_e32 v[170:171], v[168:169], v[184:185]
	v_div_scale_f64 v[168:169], s[18:19], v[170:171], v[170:171], 1.0
	v_rcp_f64_e32 v[186:187], v[168:169]
	s_nop 0
	v_fma_f64 v[188:189], -v[168:169], v[186:187], 1.0
	v_fmac_f64_e32 v[186:187], v[186:187], v[188:189]
	v_fma_f64 v[188:189], -v[168:169], v[186:187], 1.0
	v_fmac_f64_e32 v[186:187], v[186:187], v[188:189]
	v_div_scale_f64 v[188:189], vcc, 1.0, v[170:171], 1.0
	v_mul_f64 v[190:191], v[188:189], v[186:187]
	v_fma_f64 v[168:169], -v[168:169], v[190:191], v[188:189]
	s_nop 1
	v_div_fmas_f64 v[168:169], v[168:169], v[186:187], v[190:191]
	v_div_fixup_f64 v[170:171], v[168:169], v[170:171], 1.0
	v_mul_f64 v[168:169], v[184:185], v[170:171]
	v_xor_b32_e32 v171, 0x80000000, v171
.LBB82_322:
	s_andn2_saveexec_b64 s[16:17], s[16:17]
	s_cbranch_execz .LBB82_324
; %bb.323:
	v_div_scale_f64 v[184:185], s[18:19], v[168:169], v[168:169], v[170:171]
	v_rcp_f64_e32 v[186:187], v[184:185]
	v_div_scale_f64 v[188:189], vcc, v[170:171], v[168:169], v[170:171]
	v_fma_f64 v[190:191], -v[184:185], v[186:187], 1.0
	v_fmac_f64_e32 v[186:187], v[186:187], v[190:191]
	v_fma_f64 v[190:191], -v[184:185], v[186:187], 1.0
	v_fmac_f64_e32 v[186:187], v[186:187], v[190:191]
	v_mul_f64 v[190:191], v[188:189], v[186:187]
	v_fma_f64 v[184:185], -v[184:185], v[190:191], v[188:189]
	v_div_fmas_f64 v[184:185], v[184:185], v[186:187], v[190:191]
	v_div_fixup_f64 v[184:185], v[184:185], v[168:169], v[170:171]
	v_fmac_f64_e32 v[168:169], v[170:171], v[184:185]
	v_div_scale_f64 v[170:171], s[18:19], v[168:169], v[168:169], 1.0
	v_rcp_f64_e32 v[186:187], v[170:171]
	s_nop 0
	v_fma_f64 v[188:189], -v[170:171], v[186:187], 1.0
	v_fmac_f64_e32 v[186:187], v[186:187], v[188:189]
	v_fma_f64 v[188:189], -v[170:171], v[186:187], 1.0
	v_fmac_f64_e32 v[186:187], v[186:187], v[188:189]
	v_div_scale_f64 v[188:189], vcc, 1.0, v[168:169], 1.0
	v_mul_f64 v[190:191], v[188:189], v[186:187]
	v_fma_f64 v[170:171], -v[170:171], v[190:191], v[188:189]
	s_nop 1
	v_div_fmas_f64 v[170:171], v[170:171], v[186:187], v[190:191]
	v_div_fixup_f64 v[168:169], v[170:171], v[168:169], 1.0
	v_mul_f64 v[170:171], v[184:185], -v[168:169]
.LBB82_324:
	s_or_b64 exec, exec, s[16:17]
.LBB82_325:
	s_or_b64 exec, exec, s[0:1]
	v_cmp_ne_u32_e32 vcc, v181, v178
	s_and_saveexec_b64 s[0:1], vcc
	s_xor_b64 s[0:1], exec, s[0:1]
	s_cbranch_execz .LBB82_331
; %bb.326:
	v_cmp_eq_u32_e32 vcc, 15, v181
	s_and_saveexec_b64 s[16:17], vcc
	s_cbranch_execz .LBB82_330
; %bb.327:
	v_cmp_ne_u32_e32 vcc, 15, v178
	s_xor_b64 s[18:19], s[14:15], -1
	s_and_b64 s[22:23], s[18:19], vcc
	s_and_saveexec_b64 s[18:19], s[22:23]
	s_cbranch_execz .LBB82_329
; %bb.328:
	v_ashrrev_i32_e32 v179, 31, v178
	v_lshl_add_u64 v[184:185], v[178:179], 2, v[176:177]
	global_load_dword v179, v[184:185], off
	global_load_dword v181, v[176:177], off offset:60
	s_waitcnt vmcnt(1)
	global_store_dword v[176:177], v179, off offset:60
	s_waitcnt vmcnt(1)
	global_store_dword v[184:185], v181, off
.LBB82_329:
	s_or_b64 exec, exec, s[18:19]
	v_mov_b32_e32 v181, v178
	v_mov_b32_e32 v183, v178
.LBB82_330:
	s_or_b64 exec, exec, s[16:17]
.LBB82_331:
	s_andn2_saveexec_b64 s[0:1], s[0:1]
	s_cbranch_execz .LBB82_333
; %bb.332:
	v_mov_b32_e32 v181, 15
	s_waitcnt vmcnt(25)
	ds_write2_b64 v180, v[96:97], v[98:99] offset0:32 offset1:33
	s_waitcnt vmcnt(24)
	ds_write2_b64 v180, v[92:93], v[94:95] offset0:34 offset1:35
	;; [unrolled: 2-line block ×26, first 2 shown]
.LBB82_333:
	s_or_b64 exec, exec, s[0:1]
	v_cmp_lt_i32_e32 vcc, 15, v181
	s_waitcnt lgkmcnt(0)
	s_barrier
	s_and_saveexec_b64 s[0:1], vcc
	s_cbranch_execz .LBB82_335
; %bb.334:
	ds_read2_b64 v[184:187], v180 offset0:32 offset1:33
	v_mul_f64 v[178:179], v[170:171], v[102:103]
	v_mul_f64 v[102:103], v[168:169], v[102:103]
	v_fma_f64 v[178:179], v[168:169], v[100:101], -v[178:179]
	v_fmac_f64_e32 v[102:103], v[170:171], v[100:101]
	ds_read2_b64 v[168:171], v180 offset0:34 offset1:35
	s_waitcnt lgkmcnt(1)
	v_mul_f64 v[100:101], v[186:187], v[102:103]
	v_fma_f64 v[100:101], v[184:185], v[178:179], -v[100:101]
	v_mul_f64 v[184:185], v[184:185], v[102:103]
	v_fmac_f64_e32 v[184:185], v[186:187], v[178:179]
	s_waitcnt vmcnt(25)
	v_add_f64 v[96:97], v[96:97], -v[100:101]
	s_waitcnt lgkmcnt(0)
	v_mul_f64 v[100:101], v[170:171], v[102:103]
	v_add_f64 v[98:99], v[98:99], -v[184:185]
	v_fma_f64 v[100:101], v[168:169], v[178:179], -v[100:101]
	v_mul_f64 v[168:169], v[168:169], v[102:103]
	ds_read2_b64 v[184:187], v180 offset0:36 offset1:37
	v_fmac_f64_e32 v[168:169], v[170:171], v[178:179]
	s_waitcnt vmcnt(24)
	v_add_f64 v[94:95], v[94:95], -v[168:169]
	ds_read2_b64 v[168:171], v180 offset0:38 offset1:39
	v_add_f64 v[92:93], v[92:93], -v[100:101]
	s_waitcnt lgkmcnt(1)
	v_mul_f64 v[100:101], v[186:187], v[102:103]
	v_fma_f64 v[100:101], v[184:185], v[178:179], -v[100:101]
	v_mul_f64 v[184:185], v[184:185], v[102:103]
	v_fmac_f64_e32 v[184:185], v[186:187], v[178:179]
	s_waitcnt vmcnt(23)
	v_add_f64 v[88:89], v[88:89], -v[100:101]
	s_waitcnt lgkmcnt(0)
	v_mul_f64 v[100:101], v[170:171], v[102:103]
	v_add_f64 v[90:91], v[90:91], -v[184:185]
	v_fma_f64 v[100:101], v[168:169], v[178:179], -v[100:101]
	v_mul_f64 v[168:169], v[168:169], v[102:103]
	ds_read2_b64 v[184:187], v180 offset0:40 offset1:41
	v_fmac_f64_e32 v[168:169], v[170:171], v[178:179]
	s_waitcnt vmcnt(22)
	v_add_f64 v[86:87], v[86:87], -v[168:169]
	ds_read2_b64 v[168:171], v180 offset0:42 offset1:43
	v_add_f64 v[84:85], v[84:85], -v[100:101]
	;; [unrolled: 18-line block ×12, first 2 shown]
	s_waitcnt lgkmcnt(1)
	v_mul_f64 v[100:101], v[186:187], v[102:103]
	v_fma_f64 v[100:101], v[184:185], v[178:179], -v[100:101]
	s_waitcnt vmcnt(1)
	v_add_f64 v[0:1], v[0:1], -v[100:101]
	s_waitcnt lgkmcnt(0)
	v_mul_f64 v[100:101], v[170:171], v[102:103]
	v_mul_f64 v[184:185], v[184:185], v[102:103]
	v_fma_f64 v[100:101], v[168:169], v[178:179], -v[100:101]
	v_mul_f64 v[168:169], v[168:169], v[102:103]
	v_fmac_f64_e32 v[184:185], v[186:187], v[178:179]
	v_fmac_f64_e32 v[168:169], v[170:171], v[178:179]
	v_add_f64 v[2:3], v[2:3], -v[184:185]
	s_waitcnt vmcnt(0)
	v_add_f64 v[164:165], v[164:165], -v[100:101]
	v_add_f64 v[166:167], v[166:167], -v[168:169]
	v_mov_b64_e32 v[100:101], v[178:179]
.LBB82_335:
	s_or_b64 exec, exec, s[0:1]
	v_lshl_add_u32 v168, v181, 4, v180
	s_barrier
	s_waitcnt vmcnt(25)
	ds_write2_b64 v168, v[96:97], v[98:99] offset1:1
	s_waitcnt lgkmcnt(0)
	s_barrier
	ds_read2_b64 v[168:171], v180 offset0:32 offset1:33
	s_cmp_lt_i32 s20, 18
	v_mov_b32_e32 v178, 16
	s_cbranch_scc1 .LBB82_338
; %bb.336:
	v_add_u32_e32 v179, 0x110, v180
	s_mov_b32 s16, 17
	v_mov_b32_e32 v178, 16
.LBB82_337:                             ; =>This Inner Loop Header: Depth=1
	ds_read2_b64 v[184:187], v179 offset1:1
	s_waitcnt lgkmcnt(1)
	v_xor_b32_e32 v189, 0x80000000, v169
	v_xor_b32_e32 v191, 0x80000000, v171
	v_cmp_gt_f64_e32 vcc, 0, v[170:171]
	v_cmp_gt_f64_e64 s[0:1], 0, v[168:169]
	v_mov_b32_e32 v188, v168
	v_mov_b32_e32 v190, v170
	v_cndmask_b32_e64 v189, v169, v189, s[0:1]
	v_cndmask_b32_e32 v191, v171, v191, vcc
	v_add_f64 v[188:189], v[188:189], v[190:191]
	s_waitcnt lgkmcnt(0)
	v_xor_b32_e32 v191, 0x80000000, v185
	v_xor_b32_e32 v193, 0x80000000, v187
	v_cmp_gt_f64_e32 vcc, 0, v[186:187]
	v_cmp_gt_f64_e64 s[0:1], 0, v[184:185]
	v_mov_b32_e32 v190, v184
	v_mov_b32_e32 v192, v186
	v_cndmask_b32_e64 v191, v185, v191, s[0:1]
	v_cndmask_b32_e32 v193, v187, v193, vcc
	v_add_f64 v[190:191], v[190:191], v[192:193]
	v_mov_b32_e32 v194, s16
	s_add_i32 s16, s16, 1
	v_cmp_lt_f64_e32 vcc, v[188:189], v[190:191]
	v_add_u32_e32 v179, 16, v179
	s_cmp_lg_u32 s20, s16
	v_cndmask_b32_e32 v169, v169, v185, vcc
	v_cndmask_b32_e32 v168, v168, v184, vcc
	;; [unrolled: 1-line block ×5, first 2 shown]
	s_cbranch_scc1 .LBB82_337
.LBB82_338:
	s_waitcnt lgkmcnt(0)
	v_cmp_eq_f64_e32 vcc, 0, v[168:169]
	v_cmp_eq_f64_e64 s[0:1], 0, v[170:171]
	s_and_b64 s[0:1], vcc, s[0:1]
	s_and_saveexec_b64 s[16:17], s[0:1]
	s_xor_b64 s[0:1], exec, s[16:17]
; %bb.339:
	v_cmp_ne_u32_e32 vcc, 0, v182
	s_nop 1
	v_cndmask_b32_e32 v182, 17, v182, vcc
; %bb.340:
	s_andn2_saveexec_b64 s[0:1], s[0:1]
	s_cbranch_execz .LBB82_346
; %bb.341:
	v_cmp_ngt_f64_e64 s[16:17], |v[168:169]|, |v[170:171]|
	s_and_saveexec_b64 s[18:19], s[16:17]
	s_xor_b64 s[16:17], exec, s[18:19]
	s_cbranch_execz .LBB82_343
; %bb.342:
	v_div_scale_f64 v[184:185], s[18:19], v[170:171], v[170:171], v[168:169]
	v_rcp_f64_e32 v[186:187], v[184:185]
	v_div_scale_f64 v[188:189], vcc, v[168:169], v[170:171], v[168:169]
	v_fma_f64 v[190:191], -v[184:185], v[186:187], 1.0
	v_fmac_f64_e32 v[186:187], v[186:187], v[190:191]
	v_fma_f64 v[190:191], -v[184:185], v[186:187], 1.0
	v_fmac_f64_e32 v[186:187], v[186:187], v[190:191]
	v_mul_f64 v[190:191], v[188:189], v[186:187]
	v_fma_f64 v[184:185], -v[184:185], v[190:191], v[188:189]
	v_div_fmas_f64 v[184:185], v[184:185], v[186:187], v[190:191]
	v_div_fixup_f64 v[184:185], v[184:185], v[170:171], v[168:169]
	v_fmac_f64_e32 v[170:171], v[168:169], v[184:185]
	v_div_scale_f64 v[168:169], s[18:19], v[170:171], v[170:171], 1.0
	v_rcp_f64_e32 v[186:187], v[168:169]
	s_nop 0
	v_fma_f64 v[188:189], -v[168:169], v[186:187], 1.0
	v_fmac_f64_e32 v[186:187], v[186:187], v[188:189]
	v_fma_f64 v[188:189], -v[168:169], v[186:187], 1.0
	v_fmac_f64_e32 v[186:187], v[186:187], v[188:189]
	v_div_scale_f64 v[188:189], vcc, 1.0, v[170:171], 1.0
	v_mul_f64 v[190:191], v[188:189], v[186:187]
	v_fma_f64 v[168:169], -v[168:169], v[190:191], v[188:189]
	s_nop 1
	v_div_fmas_f64 v[168:169], v[168:169], v[186:187], v[190:191]
	v_div_fixup_f64 v[170:171], v[168:169], v[170:171], 1.0
	v_mul_f64 v[168:169], v[184:185], v[170:171]
	v_xor_b32_e32 v171, 0x80000000, v171
.LBB82_343:
	s_andn2_saveexec_b64 s[16:17], s[16:17]
	s_cbranch_execz .LBB82_345
; %bb.344:
	v_div_scale_f64 v[184:185], s[18:19], v[168:169], v[168:169], v[170:171]
	v_rcp_f64_e32 v[186:187], v[184:185]
	v_div_scale_f64 v[188:189], vcc, v[170:171], v[168:169], v[170:171]
	v_fma_f64 v[190:191], -v[184:185], v[186:187], 1.0
	v_fmac_f64_e32 v[186:187], v[186:187], v[190:191]
	v_fma_f64 v[190:191], -v[184:185], v[186:187], 1.0
	v_fmac_f64_e32 v[186:187], v[186:187], v[190:191]
	v_mul_f64 v[190:191], v[188:189], v[186:187]
	v_fma_f64 v[184:185], -v[184:185], v[190:191], v[188:189]
	v_div_fmas_f64 v[184:185], v[184:185], v[186:187], v[190:191]
	v_div_fixup_f64 v[184:185], v[184:185], v[168:169], v[170:171]
	v_fmac_f64_e32 v[168:169], v[170:171], v[184:185]
	v_div_scale_f64 v[170:171], s[18:19], v[168:169], v[168:169], 1.0
	v_rcp_f64_e32 v[186:187], v[170:171]
	s_nop 0
	v_fma_f64 v[188:189], -v[170:171], v[186:187], 1.0
	v_fmac_f64_e32 v[186:187], v[186:187], v[188:189]
	v_fma_f64 v[188:189], -v[170:171], v[186:187], 1.0
	v_fmac_f64_e32 v[186:187], v[186:187], v[188:189]
	v_div_scale_f64 v[188:189], vcc, 1.0, v[168:169], 1.0
	v_mul_f64 v[190:191], v[188:189], v[186:187]
	v_fma_f64 v[170:171], -v[170:171], v[190:191], v[188:189]
	s_nop 1
	v_div_fmas_f64 v[170:171], v[170:171], v[186:187], v[190:191]
	v_div_fixup_f64 v[168:169], v[170:171], v[168:169], 1.0
	v_mul_f64 v[170:171], v[184:185], -v[168:169]
.LBB82_345:
	s_or_b64 exec, exec, s[16:17]
.LBB82_346:
	s_or_b64 exec, exec, s[0:1]
	v_cmp_ne_u32_e32 vcc, v181, v178
	s_and_saveexec_b64 s[0:1], vcc
	s_xor_b64 s[0:1], exec, s[0:1]
	s_cbranch_execz .LBB82_352
; %bb.347:
	v_cmp_eq_u32_e32 vcc, 16, v181
	s_and_saveexec_b64 s[16:17], vcc
	s_cbranch_execz .LBB82_351
; %bb.348:
	v_cmp_ne_u32_e32 vcc, 16, v178
	s_xor_b64 s[18:19], s[14:15], -1
	s_and_b64 s[22:23], s[18:19], vcc
	s_and_saveexec_b64 s[18:19], s[22:23]
	s_cbranch_execz .LBB82_350
; %bb.349:
	v_ashrrev_i32_e32 v179, 31, v178
	v_lshl_add_u64 v[184:185], v[178:179], 2, v[176:177]
	global_load_dword v179, v[184:185], off
	global_load_dword v181, v[176:177], off offset:64
	s_waitcnt vmcnt(1)
	global_store_dword v[176:177], v179, off offset:64
	s_waitcnt vmcnt(1)
	global_store_dword v[184:185], v181, off
.LBB82_350:
	s_or_b64 exec, exec, s[18:19]
	v_mov_b32_e32 v181, v178
	v_mov_b32_e32 v183, v178
.LBB82_351:
	s_or_b64 exec, exec, s[16:17]
.LBB82_352:
	s_andn2_saveexec_b64 s[0:1], s[0:1]
	s_cbranch_execz .LBB82_354
; %bb.353:
	v_mov_b32_e32 v181, 16
	s_waitcnt vmcnt(24)
	ds_write2_b64 v180, v[92:93], v[94:95] offset0:34 offset1:35
	s_waitcnt vmcnt(23)
	ds_write2_b64 v180, v[88:89], v[90:91] offset0:36 offset1:37
	;; [unrolled: 2-line block ×25, first 2 shown]
.LBB82_354:
	s_or_b64 exec, exec, s[0:1]
	v_cmp_lt_i32_e32 vcc, 16, v181
	s_waitcnt lgkmcnt(0)
	s_barrier
	s_and_saveexec_b64 s[0:1], vcc
	s_cbranch_execz .LBB82_356
; %bb.355:
	ds_read2_b64 v[184:187], v180 offset0:34 offset1:35
	v_mul_f64 v[178:179], v[170:171], v[98:99]
	v_mul_f64 v[98:99], v[168:169], v[98:99]
	v_fmac_f64_e32 v[98:99], v[170:171], v[96:97]
	v_fma_f64 v[178:179], v[168:169], v[96:97], -v[178:179]
	ds_read2_b64 v[168:171], v180 offset0:36 offset1:37
	s_waitcnt lgkmcnt(1)
	v_mul_f64 v[96:97], v[186:187], v[98:99]
	v_fma_f64 v[96:97], v[184:185], v[178:179], -v[96:97]
	v_mul_f64 v[184:185], v[184:185], v[98:99]
	v_fmac_f64_e32 v[184:185], v[186:187], v[178:179]
	s_waitcnt vmcnt(24)
	v_add_f64 v[94:95], v[94:95], -v[184:185]
	ds_read2_b64 v[184:187], v180 offset0:38 offset1:39
	v_add_f64 v[92:93], v[92:93], -v[96:97]
	s_waitcnt lgkmcnt(1)
	v_mul_f64 v[96:97], v[170:171], v[98:99]
	v_fma_f64 v[96:97], v[168:169], v[178:179], -v[96:97]
	v_mul_f64 v[168:169], v[168:169], v[98:99]
	v_fmac_f64_e32 v[168:169], v[170:171], v[178:179]
	s_waitcnt vmcnt(23)
	v_add_f64 v[88:89], v[88:89], -v[96:97]
	v_add_f64 v[90:91], v[90:91], -v[168:169]
	ds_read2_b64 v[168:171], v180 offset0:40 offset1:41
	s_waitcnt lgkmcnt(1)
	v_mul_f64 v[96:97], v[186:187], v[98:99]
	v_fma_f64 v[96:97], v[184:185], v[178:179], -v[96:97]
	v_mul_f64 v[184:185], v[184:185], v[98:99]
	v_fmac_f64_e32 v[184:185], v[186:187], v[178:179]
	s_waitcnt vmcnt(22)
	v_add_f64 v[86:87], v[86:87], -v[184:185]
	ds_read2_b64 v[184:187], v180 offset0:42 offset1:43
	v_add_f64 v[84:85], v[84:85], -v[96:97]
	s_waitcnt lgkmcnt(1)
	v_mul_f64 v[96:97], v[170:171], v[98:99]
	v_fma_f64 v[96:97], v[168:169], v[178:179], -v[96:97]
	v_mul_f64 v[168:169], v[168:169], v[98:99]
	v_fmac_f64_e32 v[168:169], v[170:171], v[178:179]
	s_waitcnt vmcnt(21)
	v_add_f64 v[80:81], v[80:81], -v[96:97]
	v_add_f64 v[82:83], v[82:83], -v[168:169]
	;; [unrolled: 18-line block ×12, first 2 shown]
	s_waitcnt lgkmcnt(0)
	v_mul_f64 v[96:97], v[186:187], v[98:99]
	v_mul_f64 v[168:169], v[184:185], v[98:99]
	v_fma_f64 v[96:97], v[184:185], v[178:179], -v[96:97]
	v_fmac_f64_e32 v[168:169], v[186:187], v[178:179]
	s_waitcnt vmcnt(0)
	v_add_f64 v[164:165], v[164:165], -v[96:97]
	v_add_f64 v[166:167], v[166:167], -v[168:169]
	v_mov_b64_e32 v[96:97], v[178:179]
.LBB82_356:
	s_or_b64 exec, exec, s[0:1]
	v_lshl_add_u32 v168, v181, 4, v180
	s_barrier
	s_waitcnt vmcnt(24)
	ds_write2_b64 v168, v[92:93], v[94:95] offset1:1
	s_waitcnt lgkmcnt(0)
	s_barrier
	ds_read2_b64 v[168:171], v180 offset0:34 offset1:35
	s_cmp_lt_i32 s20, 19
	v_mov_b32_e32 v178, 17
	s_cbranch_scc1 .LBB82_359
; %bb.357:
	v_add_u32_e32 v179, 0x120, v180
	s_mov_b32 s16, 18
	v_mov_b32_e32 v178, 17
.LBB82_358:                             ; =>This Inner Loop Header: Depth=1
	ds_read2_b64 v[184:187], v179 offset1:1
	s_waitcnt lgkmcnt(1)
	v_xor_b32_e32 v189, 0x80000000, v169
	v_xor_b32_e32 v191, 0x80000000, v171
	v_cmp_gt_f64_e32 vcc, 0, v[170:171]
	v_cmp_gt_f64_e64 s[0:1], 0, v[168:169]
	v_mov_b32_e32 v188, v168
	v_mov_b32_e32 v190, v170
	v_cndmask_b32_e64 v189, v169, v189, s[0:1]
	v_cndmask_b32_e32 v191, v171, v191, vcc
	v_add_f64 v[188:189], v[188:189], v[190:191]
	s_waitcnt lgkmcnt(0)
	v_xor_b32_e32 v191, 0x80000000, v185
	v_xor_b32_e32 v193, 0x80000000, v187
	v_cmp_gt_f64_e32 vcc, 0, v[186:187]
	v_cmp_gt_f64_e64 s[0:1], 0, v[184:185]
	v_mov_b32_e32 v190, v184
	v_mov_b32_e32 v192, v186
	v_cndmask_b32_e64 v191, v185, v191, s[0:1]
	v_cndmask_b32_e32 v193, v187, v193, vcc
	v_add_f64 v[190:191], v[190:191], v[192:193]
	v_mov_b32_e32 v194, s16
	s_add_i32 s16, s16, 1
	v_cmp_lt_f64_e32 vcc, v[188:189], v[190:191]
	v_add_u32_e32 v179, 16, v179
	s_cmp_lg_u32 s20, s16
	v_cndmask_b32_e32 v169, v169, v185, vcc
	v_cndmask_b32_e32 v168, v168, v184, vcc
	;; [unrolled: 1-line block ×5, first 2 shown]
	s_cbranch_scc1 .LBB82_358
.LBB82_359:
	s_waitcnt lgkmcnt(0)
	v_cmp_eq_f64_e32 vcc, 0, v[168:169]
	v_cmp_eq_f64_e64 s[0:1], 0, v[170:171]
	s_and_b64 s[0:1], vcc, s[0:1]
	s_and_saveexec_b64 s[16:17], s[0:1]
	s_xor_b64 s[0:1], exec, s[16:17]
; %bb.360:
	v_cmp_ne_u32_e32 vcc, 0, v182
	s_nop 1
	v_cndmask_b32_e32 v182, 18, v182, vcc
; %bb.361:
	s_andn2_saveexec_b64 s[0:1], s[0:1]
	s_cbranch_execz .LBB82_367
; %bb.362:
	v_cmp_ngt_f64_e64 s[16:17], |v[168:169]|, |v[170:171]|
	s_and_saveexec_b64 s[18:19], s[16:17]
	s_xor_b64 s[16:17], exec, s[18:19]
	s_cbranch_execz .LBB82_364
; %bb.363:
	v_div_scale_f64 v[184:185], s[18:19], v[170:171], v[170:171], v[168:169]
	v_rcp_f64_e32 v[186:187], v[184:185]
	v_div_scale_f64 v[188:189], vcc, v[168:169], v[170:171], v[168:169]
	v_fma_f64 v[190:191], -v[184:185], v[186:187], 1.0
	v_fmac_f64_e32 v[186:187], v[186:187], v[190:191]
	v_fma_f64 v[190:191], -v[184:185], v[186:187], 1.0
	v_fmac_f64_e32 v[186:187], v[186:187], v[190:191]
	v_mul_f64 v[190:191], v[188:189], v[186:187]
	v_fma_f64 v[184:185], -v[184:185], v[190:191], v[188:189]
	v_div_fmas_f64 v[184:185], v[184:185], v[186:187], v[190:191]
	v_div_fixup_f64 v[184:185], v[184:185], v[170:171], v[168:169]
	v_fmac_f64_e32 v[170:171], v[168:169], v[184:185]
	v_div_scale_f64 v[168:169], s[18:19], v[170:171], v[170:171], 1.0
	v_rcp_f64_e32 v[186:187], v[168:169]
	s_nop 0
	v_fma_f64 v[188:189], -v[168:169], v[186:187], 1.0
	v_fmac_f64_e32 v[186:187], v[186:187], v[188:189]
	v_fma_f64 v[188:189], -v[168:169], v[186:187], 1.0
	v_fmac_f64_e32 v[186:187], v[186:187], v[188:189]
	v_div_scale_f64 v[188:189], vcc, 1.0, v[170:171], 1.0
	v_mul_f64 v[190:191], v[188:189], v[186:187]
	v_fma_f64 v[168:169], -v[168:169], v[190:191], v[188:189]
	s_nop 1
	v_div_fmas_f64 v[168:169], v[168:169], v[186:187], v[190:191]
	v_div_fixup_f64 v[170:171], v[168:169], v[170:171], 1.0
	v_mul_f64 v[168:169], v[184:185], v[170:171]
	v_xor_b32_e32 v171, 0x80000000, v171
.LBB82_364:
	s_andn2_saveexec_b64 s[16:17], s[16:17]
	s_cbranch_execz .LBB82_366
; %bb.365:
	v_div_scale_f64 v[184:185], s[18:19], v[168:169], v[168:169], v[170:171]
	v_rcp_f64_e32 v[186:187], v[184:185]
	v_div_scale_f64 v[188:189], vcc, v[170:171], v[168:169], v[170:171]
	v_fma_f64 v[190:191], -v[184:185], v[186:187], 1.0
	v_fmac_f64_e32 v[186:187], v[186:187], v[190:191]
	v_fma_f64 v[190:191], -v[184:185], v[186:187], 1.0
	v_fmac_f64_e32 v[186:187], v[186:187], v[190:191]
	v_mul_f64 v[190:191], v[188:189], v[186:187]
	v_fma_f64 v[184:185], -v[184:185], v[190:191], v[188:189]
	v_div_fmas_f64 v[184:185], v[184:185], v[186:187], v[190:191]
	v_div_fixup_f64 v[184:185], v[184:185], v[168:169], v[170:171]
	v_fmac_f64_e32 v[168:169], v[170:171], v[184:185]
	v_div_scale_f64 v[170:171], s[18:19], v[168:169], v[168:169], 1.0
	v_rcp_f64_e32 v[186:187], v[170:171]
	s_nop 0
	v_fma_f64 v[188:189], -v[170:171], v[186:187], 1.0
	v_fmac_f64_e32 v[186:187], v[186:187], v[188:189]
	v_fma_f64 v[188:189], -v[170:171], v[186:187], 1.0
	v_fmac_f64_e32 v[186:187], v[186:187], v[188:189]
	v_div_scale_f64 v[188:189], vcc, 1.0, v[168:169], 1.0
	v_mul_f64 v[190:191], v[188:189], v[186:187]
	v_fma_f64 v[170:171], -v[170:171], v[190:191], v[188:189]
	s_nop 1
	v_div_fmas_f64 v[170:171], v[170:171], v[186:187], v[190:191]
	v_div_fixup_f64 v[168:169], v[170:171], v[168:169], 1.0
	v_mul_f64 v[170:171], v[184:185], -v[168:169]
.LBB82_366:
	s_or_b64 exec, exec, s[16:17]
.LBB82_367:
	s_or_b64 exec, exec, s[0:1]
	v_cmp_ne_u32_e32 vcc, v181, v178
	s_and_saveexec_b64 s[0:1], vcc
	s_xor_b64 s[0:1], exec, s[0:1]
	s_cbranch_execz .LBB82_373
; %bb.368:
	v_cmp_eq_u32_e32 vcc, 17, v181
	s_and_saveexec_b64 s[16:17], vcc
	s_cbranch_execz .LBB82_372
; %bb.369:
	v_cmp_ne_u32_e32 vcc, 17, v178
	s_xor_b64 s[18:19], s[14:15], -1
	s_and_b64 s[22:23], s[18:19], vcc
	s_and_saveexec_b64 s[18:19], s[22:23]
	s_cbranch_execz .LBB82_371
; %bb.370:
	v_ashrrev_i32_e32 v179, 31, v178
	v_lshl_add_u64 v[184:185], v[178:179], 2, v[176:177]
	global_load_dword v179, v[184:185], off
	global_load_dword v181, v[176:177], off offset:68
	s_waitcnt vmcnt(1)
	global_store_dword v[176:177], v179, off offset:68
	s_waitcnt vmcnt(1)
	global_store_dword v[184:185], v181, off
.LBB82_371:
	s_or_b64 exec, exec, s[18:19]
	v_mov_b32_e32 v181, v178
	v_mov_b32_e32 v183, v178
.LBB82_372:
	s_or_b64 exec, exec, s[16:17]
.LBB82_373:
	s_andn2_saveexec_b64 s[0:1], s[0:1]
	s_cbranch_execz .LBB82_375
; %bb.374:
	v_mov_b32_e32 v181, 17
	s_waitcnt vmcnt(23)
	ds_write2_b64 v180, v[88:89], v[90:91] offset0:36 offset1:37
	s_waitcnt vmcnt(22)
	ds_write2_b64 v180, v[84:85], v[86:87] offset0:38 offset1:39
	s_waitcnt vmcnt(21)
	ds_write2_b64 v180, v[80:81], v[82:83] offset0:40 offset1:41
	s_waitcnt vmcnt(20)
	ds_write2_b64 v180, v[76:77], v[78:79] offset0:42 offset1:43
	s_waitcnt vmcnt(19)
	ds_write2_b64 v180, v[72:73], v[74:75] offset0:44 offset1:45
	s_waitcnt vmcnt(18)
	ds_write2_b64 v180, v[68:69], v[70:71] offset0:46 offset1:47
	s_waitcnt vmcnt(17)
	ds_write2_b64 v180, v[64:65], v[66:67] offset0:48 offset1:49
	s_waitcnt vmcnt(16)
	ds_write2_b64 v180, v[60:61], v[62:63] offset0:50 offset1:51
	s_waitcnt vmcnt(15)
	ds_write2_b64 v180, v[56:57], v[58:59] offset0:52 offset1:53
	s_waitcnt vmcnt(14)
	ds_write2_b64 v180, v[52:53], v[54:55] offset0:54 offset1:55
	s_waitcnt vmcnt(13)
	ds_write2_b64 v180, v[48:49], v[50:51] offset0:56 offset1:57
	s_waitcnt vmcnt(12)
	ds_write2_b64 v180, v[44:45], v[46:47] offset0:58 offset1:59
	s_waitcnt vmcnt(11)
	ds_write2_b64 v180, v[40:41], v[42:43] offset0:60 offset1:61
	s_waitcnt vmcnt(10)
	ds_write2_b64 v180, v[36:37], v[38:39] offset0:62 offset1:63
	s_waitcnt vmcnt(9)
	ds_write2_b64 v180, v[32:33], v[34:35] offset0:64 offset1:65
	s_waitcnt vmcnt(8)
	ds_write2_b64 v180, v[28:29], v[30:31] offset0:66 offset1:67
	s_waitcnt vmcnt(7)
	ds_write2_b64 v180, v[24:25], v[26:27] offset0:68 offset1:69
	s_waitcnt vmcnt(6)
	ds_write2_b64 v180, v[20:21], v[22:23] offset0:70 offset1:71
	s_waitcnt vmcnt(5)
	ds_write2_b64 v180, v[16:17], v[18:19] offset0:72 offset1:73
	s_waitcnt vmcnt(4)
	ds_write2_b64 v180, v[12:13], v[14:15] offset0:74 offset1:75
	s_waitcnt vmcnt(3)
	ds_write2_b64 v180, v[8:9], v[10:11] offset0:76 offset1:77
	s_waitcnt vmcnt(2)
	ds_write2_b64 v180, v[4:5], v[6:7] offset0:78 offset1:79
	s_waitcnt vmcnt(1)
	ds_write2_b64 v180, v[0:1], v[2:3] offset0:80 offset1:81
	s_waitcnt vmcnt(0)
	ds_write2_b64 v180, v[164:165], v[166:167] offset0:82 offset1:83
.LBB82_375:
	s_or_b64 exec, exec, s[0:1]
	v_cmp_lt_i32_e32 vcc, 17, v181
	s_waitcnt lgkmcnt(0)
	s_barrier
	s_and_saveexec_b64 s[0:1], vcc
	s_cbranch_execz .LBB82_377
; %bb.376:
	ds_read2_b64 v[184:187], v180 offset0:36 offset1:37
	v_mul_f64 v[178:179], v[170:171], v[94:95]
	v_mul_f64 v[94:95], v[168:169], v[94:95]
	v_fma_f64 v[178:179], v[168:169], v[92:93], -v[178:179]
	v_fmac_f64_e32 v[94:95], v[170:171], v[92:93]
	ds_read2_b64 v[168:171], v180 offset0:38 offset1:39
	s_waitcnt lgkmcnt(1)
	v_mul_f64 v[92:93], v[186:187], v[94:95]
	v_fma_f64 v[92:93], v[184:185], v[178:179], -v[92:93]
	v_mul_f64 v[184:185], v[184:185], v[94:95]
	v_fmac_f64_e32 v[184:185], v[186:187], v[178:179]
	s_waitcnt vmcnt(23)
	v_add_f64 v[88:89], v[88:89], -v[92:93]
	s_waitcnt lgkmcnt(0)
	v_mul_f64 v[92:93], v[170:171], v[94:95]
	v_add_f64 v[90:91], v[90:91], -v[184:185]
	v_fma_f64 v[92:93], v[168:169], v[178:179], -v[92:93]
	v_mul_f64 v[168:169], v[168:169], v[94:95]
	ds_read2_b64 v[184:187], v180 offset0:40 offset1:41
	v_fmac_f64_e32 v[168:169], v[170:171], v[178:179]
	s_waitcnt vmcnt(22)
	v_add_f64 v[86:87], v[86:87], -v[168:169]
	ds_read2_b64 v[168:171], v180 offset0:42 offset1:43
	v_add_f64 v[84:85], v[84:85], -v[92:93]
	s_waitcnt lgkmcnt(1)
	v_mul_f64 v[92:93], v[186:187], v[94:95]
	v_fma_f64 v[92:93], v[184:185], v[178:179], -v[92:93]
	v_mul_f64 v[184:185], v[184:185], v[94:95]
	v_fmac_f64_e32 v[184:185], v[186:187], v[178:179]
	s_waitcnt vmcnt(21)
	v_add_f64 v[80:81], v[80:81], -v[92:93]
	s_waitcnt lgkmcnt(0)
	v_mul_f64 v[92:93], v[170:171], v[94:95]
	v_add_f64 v[82:83], v[82:83], -v[184:185]
	v_fma_f64 v[92:93], v[168:169], v[178:179], -v[92:93]
	v_mul_f64 v[168:169], v[168:169], v[94:95]
	ds_read2_b64 v[184:187], v180 offset0:44 offset1:45
	v_fmac_f64_e32 v[168:169], v[170:171], v[178:179]
	s_waitcnt vmcnt(20)
	v_add_f64 v[78:79], v[78:79], -v[168:169]
	ds_read2_b64 v[168:171], v180 offset0:46 offset1:47
	v_add_f64 v[76:77], v[76:77], -v[92:93]
	;; [unrolled: 18-line block ×11, first 2 shown]
	s_waitcnt lgkmcnt(1)
	v_mul_f64 v[92:93], v[186:187], v[94:95]
	v_fma_f64 v[92:93], v[184:185], v[178:179], -v[92:93]
	s_waitcnt vmcnt(1)
	v_add_f64 v[0:1], v[0:1], -v[92:93]
	s_waitcnt lgkmcnt(0)
	v_mul_f64 v[92:93], v[170:171], v[94:95]
	v_mul_f64 v[184:185], v[184:185], v[94:95]
	v_fma_f64 v[92:93], v[168:169], v[178:179], -v[92:93]
	v_mul_f64 v[168:169], v[168:169], v[94:95]
	v_fmac_f64_e32 v[184:185], v[186:187], v[178:179]
	v_fmac_f64_e32 v[168:169], v[170:171], v[178:179]
	v_add_f64 v[2:3], v[2:3], -v[184:185]
	s_waitcnt vmcnt(0)
	v_add_f64 v[164:165], v[164:165], -v[92:93]
	v_add_f64 v[166:167], v[166:167], -v[168:169]
	v_mov_b64_e32 v[92:93], v[178:179]
.LBB82_377:
	s_or_b64 exec, exec, s[0:1]
	v_lshl_add_u32 v168, v181, 4, v180
	s_barrier
	s_waitcnt vmcnt(23)
	ds_write2_b64 v168, v[88:89], v[90:91] offset1:1
	s_waitcnt lgkmcnt(0)
	s_barrier
	ds_read2_b64 v[168:171], v180 offset0:36 offset1:37
	s_cmp_lt_i32 s20, 20
	v_mov_b32_e32 v178, 18
	s_cbranch_scc1 .LBB82_380
; %bb.378:
	v_add_u32_e32 v179, 0x130, v180
	s_mov_b32 s16, 19
	v_mov_b32_e32 v178, 18
.LBB82_379:                             ; =>This Inner Loop Header: Depth=1
	ds_read2_b64 v[184:187], v179 offset1:1
	s_waitcnt lgkmcnt(1)
	v_xor_b32_e32 v189, 0x80000000, v169
	v_xor_b32_e32 v191, 0x80000000, v171
	v_cmp_gt_f64_e32 vcc, 0, v[170:171]
	v_cmp_gt_f64_e64 s[0:1], 0, v[168:169]
	v_mov_b32_e32 v188, v168
	v_mov_b32_e32 v190, v170
	v_cndmask_b32_e64 v189, v169, v189, s[0:1]
	v_cndmask_b32_e32 v191, v171, v191, vcc
	v_add_f64 v[188:189], v[188:189], v[190:191]
	s_waitcnt lgkmcnt(0)
	v_xor_b32_e32 v191, 0x80000000, v185
	v_xor_b32_e32 v193, 0x80000000, v187
	v_cmp_gt_f64_e32 vcc, 0, v[186:187]
	v_cmp_gt_f64_e64 s[0:1], 0, v[184:185]
	v_mov_b32_e32 v190, v184
	v_mov_b32_e32 v192, v186
	v_cndmask_b32_e64 v191, v185, v191, s[0:1]
	v_cndmask_b32_e32 v193, v187, v193, vcc
	v_add_f64 v[190:191], v[190:191], v[192:193]
	v_mov_b32_e32 v194, s16
	s_add_i32 s16, s16, 1
	v_cmp_lt_f64_e32 vcc, v[188:189], v[190:191]
	v_add_u32_e32 v179, 16, v179
	s_cmp_lg_u32 s20, s16
	v_cndmask_b32_e32 v169, v169, v185, vcc
	v_cndmask_b32_e32 v168, v168, v184, vcc
	;; [unrolled: 1-line block ×5, first 2 shown]
	s_cbranch_scc1 .LBB82_379
.LBB82_380:
	s_waitcnt lgkmcnt(0)
	v_cmp_eq_f64_e32 vcc, 0, v[168:169]
	v_cmp_eq_f64_e64 s[0:1], 0, v[170:171]
	s_and_b64 s[0:1], vcc, s[0:1]
	s_and_saveexec_b64 s[16:17], s[0:1]
	s_xor_b64 s[0:1], exec, s[16:17]
; %bb.381:
	v_cmp_ne_u32_e32 vcc, 0, v182
	s_nop 1
	v_cndmask_b32_e32 v182, 19, v182, vcc
; %bb.382:
	s_andn2_saveexec_b64 s[0:1], s[0:1]
	s_cbranch_execz .LBB82_388
; %bb.383:
	v_cmp_ngt_f64_e64 s[16:17], |v[168:169]|, |v[170:171]|
	s_and_saveexec_b64 s[18:19], s[16:17]
	s_xor_b64 s[16:17], exec, s[18:19]
	s_cbranch_execz .LBB82_385
; %bb.384:
	v_div_scale_f64 v[184:185], s[18:19], v[170:171], v[170:171], v[168:169]
	v_rcp_f64_e32 v[186:187], v[184:185]
	v_div_scale_f64 v[188:189], vcc, v[168:169], v[170:171], v[168:169]
	v_fma_f64 v[190:191], -v[184:185], v[186:187], 1.0
	v_fmac_f64_e32 v[186:187], v[186:187], v[190:191]
	v_fma_f64 v[190:191], -v[184:185], v[186:187], 1.0
	v_fmac_f64_e32 v[186:187], v[186:187], v[190:191]
	v_mul_f64 v[190:191], v[188:189], v[186:187]
	v_fma_f64 v[184:185], -v[184:185], v[190:191], v[188:189]
	v_div_fmas_f64 v[184:185], v[184:185], v[186:187], v[190:191]
	v_div_fixup_f64 v[184:185], v[184:185], v[170:171], v[168:169]
	v_fmac_f64_e32 v[170:171], v[168:169], v[184:185]
	v_div_scale_f64 v[168:169], s[18:19], v[170:171], v[170:171], 1.0
	v_rcp_f64_e32 v[186:187], v[168:169]
	s_nop 0
	v_fma_f64 v[188:189], -v[168:169], v[186:187], 1.0
	v_fmac_f64_e32 v[186:187], v[186:187], v[188:189]
	v_fma_f64 v[188:189], -v[168:169], v[186:187], 1.0
	v_fmac_f64_e32 v[186:187], v[186:187], v[188:189]
	v_div_scale_f64 v[188:189], vcc, 1.0, v[170:171], 1.0
	v_mul_f64 v[190:191], v[188:189], v[186:187]
	v_fma_f64 v[168:169], -v[168:169], v[190:191], v[188:189]
	s_nop 1
	v_div_fmas_f64 v[168:169], v[168:169], v[186:187], v[190:191]
	v_div_fixup_f64 v[170:171], v[168:169], v[170:171], 1.0
	v_mul_f64 v[168:169], v[184:185], v[170:171]
	v_xor_b32_e32 v171, 0x80000000, v171
.LBB82_385:
	s_andn2_saveexec_b64 s[16:17], s[16:17]
	s_cbranch_execz .LBB82_387
; %bb.386:
	v_div_scale_f64 v[184:185], s[18:19], v[168:169], v[168:169], v[170:171]
	v_rcp_f64_e32 v[186:187], v[184:185]
	v_div_scale_f64 v[188:189], vcc, v[170:171], v[168:169], v[170:171]
	v_fma_f64 v[190:191], -v[184:185], v[186:187], 1.0
	v_fmac_f64_e32 v[186:187], v[186:187], v[190:191]
	v_fma_f64 v[190:191], -v[184:185], v[186:187], 1.0
	v_fmac_f64_e32 v[186:187], v[186:187], v[190:191]
	v_mul_f64 v[190:191], v[188:189], v[186:187]
	v_fma_f64 v[184:185], -v[184:185], v[190:191], v[188:189]
	v_div_fmas_f64 v[184:185], v[184:185], v[186:187], v[190:191]
	v_div_fixup_f64 v[184:185], v[184:185], v[168:169], v[170:171]
	v_fmac_f64_e32 v[168:169], v[170:171], v[184:185]
	v_div_scale_f64 v[170:171], s[18:19], v[168:169], v[168:169], 1.0
	v_rcp_f64_e32 v[186:187], v[170:171]
	s_nop 0
	v_fma_f64 v[188:189], -v[170:171], v[186:187], 1.0
	v_fmac_f64_e32 v[186:187], v[186:187], v[188:189]
	v_fma_f64 v[188:189], -v[170:171], v[186:187], 1.0
	v_fmac_f64_e32 v[186:187], v[186:187], v[188:189]
	v_div_scale_f64 v[188:189], vcc, 1.0, v[168:169], 1.0
	v_mul_f64 v[190:191], v[188:189], v[186:187]
	v_fma_f64 v[170:171], -v[170:171], v[190:191], v[188:189]
	s_nop 1
	v_div_fmas_f64 v[170:171], v[170:171], v[186:187], v[190:191]
	v_div_fixup_f64 v[168:169], v[170:171], v[168:169], 1.0
	v_mul_f64 v[170:171], v[184:185], -v[168:169]
.LBB82_387:
	s_or_b64 exec, exec, s[16:17]
.LBB82_388:
	s_or_b64 exec, exec, s[0:1]
	v_cmp_ne_u32_e32 vcc, v181, v178
	s_and_saveexec_b64 s[0:1], vcc
	s_xor_b64 s[0:1], exec, s[0:1]
	s_cbranch_execz .LBB82_394
; %bb.389:
	v_cmp_eq_u32_e32 vcc, 18, v181
	s_and_saveexec_b64 s[16:17], vcc
	s_cbranch_execz .LBB82_393
; %bb.390:
	v_cmp_ne_u32_e32 vcc, 18, v178
	s_xor_b64 s[18:19], s[14:15], -1
	s_and_b64 s[22:23], s[18:19], vcc
	s_and_saveexec_b64 s[18:19], s[22:23]
	s_cbranch_execz .LBB82_392
; %bb.391:
	v_ashrrev_i32_e32 v179, 31, v178
	v_lshl_add_u64 v[184:185], v[178:179], 2, v[176:177]
	global_load_dword v179, v[184:185], off
	global_load_dword v181, v[176:177], off offset:72
	s_waitcnt vmcnt(1)
	global_store_dword v[176:177], v179, off offset:72
	s_waitcnt vmcnt(1)
	global_store_dword v[184:185], v181, off
.LBB82_392:
	s_or_b64 exec, exec, s[18:19]
	v_mov_b32_e32 v181, v178
	v_mov_b32_e32 v183, v178
.LBB82_393:
	s_or_b64 exec, exec, s[16:17]
.LBB82_394:
	s_andn2_saveexec_b64 s[0:1], s[0:1]
	s_cbranch_execz .LBB82_396
; %bb.395:
	v_mov_b32_e32 v181, 18
	s_waitcnt vmcnt(22)
	ds_write2_b64 v180, v[84:85], v[86:87] offset0:38 offset1:39
	s_waitcnt vmcnt(21)
	ds_write2_b64 v180, v[80:81], v[82:83] offset0:40 offset1:41
	;; [unrolled: 2-line block ×23, first 2 shown]
.LBB82_396:
	s_or_b64 exec, exec, s[0:1]
	v_cmp_lt_i32_e32 vcc, 18, v181
	s_waitcnt lgkmcnt(0)
	s_barrier
	s_and_saveexec_b64 s[0:1], vcc
	s_cbranch_execz .LBB82_398
; %bb.397:
	ds_read2_b64 v[184:187], v180 offset0:38 offset1:39
	v_mul_f64 v[178:179], v[170:171], v[90:91]
	v_mul_f64 v[90:91], v[168:169], v[90:91]
	v_fmac_f64_e32 v[90:91], v[170:171], v[88:89]
	v_fma_f64 v[178:179], v[168:169], v[88:89], -v[178:179]
	ds_read2_b64 v[168:171], v180 offset0:40 offset1:41
	s_waitcnt lgkmcnt(1)
	v_mul_f64 v[88:89], v[186:187], v[90:91]
	v_fma_f64 v[88:89], v[184:185], v[178:179], -v[88:89]
	v_mul_f64 v[184:185], v[184:185], v[90:91]
	v_fmac_f64_e32 v[184:185], v[186:187], v[178:179]
	s_waitcnt vmcnt(22)
	v_add_f64 v[86:87], v[86:87], -v[184:185]
	ds_read2_b64 v[184:187], v180 offset0:42 offset1:43
	v_add_f64 v[84:85], v[84:85], -v[88:89]
	s_waitcnt lgkmcnt(1)
	v_mul_f64 v[88:89], v[170:171], v[90:91]
	v_fma_f64 v[88:89], v[168:169], v[178:179], -v[88:89]
	v_mul_f64 v[168:169], v[168:169], v[90:91]
	v_fmac_f64_e32 v[168:169], v[170:171], v[178:179]
	s_waitcnt vmcnt(21)
	v_add_f64 v[80:81], v[80:81], -v[88:89]
	v_add_f64 v[82:83], v[82:83], -v[168:169]
	ds_read2_b64 v[168:171], v180 offset0:44 offset1:45
	s_waitcnt lgkmcnt(1)
	v_mul_f64 v[88:89], v[186:187], v[90:91]
	v_fma_f64 v[88:89], v[184:185], v[178:179], -v[88:89]
	v_mul_f64 v[184:185], v[184:185], v[90:91]
	v_fmac_f64_e32 v[184:185], v[186:187], v[178:179]
	s_waitcnt vmcnt(20)
	v_add_f64 v[78:79], v[78:79], -v[184:185]
	ds_read2_b64 v[184:187], v180 offset0:46 offset1:47
	v_add_f64 v[76:77], v[76:77], -v[88:89]
	s_waitcnt lgkmcnt(1)
	v_mul_f64 v[88:89], v[170:171], v[90:91]
	v_fma_f64 v[88:89], v[168:169], v[178:179], -v[88:89]
	v_mul_f64 v[168:169], v[168:169], v[90:91]
	v_fmac_f64_e32 v[168:169], v[170:171], v[178:179]
	s_waitcnt vmcnt(19)
	v_add_f64 v[72:73], v[72:73], -v[88:89]
	v_add_f64 v[74:75], v[74:75], -v[168:169]
	;; [unrolled: 18-line block ×11, first 2 shown]
	s_waitcnt lgkmcnt(0)
	v_mul_f64 v[88:89], v[186:187], v[90:91]
	v_mul_f64 v[168:169], v[184:185], v[90:91]
	v_fma_f64 v[88:89], v[184:185], v[178:179], -v[88:89]
	v_fmac_f64_e32 v[168:169], v[186:187], v[178:179]
	s_waitcnt vmcnt(0)
	v_add_f64 v[164:165], v[164:165], -v[88:89]
	v_add_f64 v[166:167], v[166:167], -v[168:169]
	v_mov_b64_e32 v[88:89], v[178:179]
.LBB82_398:
	s_or_b64 exec, exec, s[0:1]
	v_lshl_add_u32 v168, v181, 4, v180
	s_barrier
	s_waitcnt vmcnt(22)
	ds_write2_b64 v168, v[84:85], v[86:87] offset1:1
	s_waitcnt lgkmcnt(0)
	s_barrier
	ds_read2_b64 v[168:171], v180 offset0:38 offset1:39
	s_cmp_lt_i32 s20, 21
	v_mov_b32_e32 v178, 19
	s_cbranch_scc1 .LBB82_401
; %bb.399:
	v_add_u32_e32 v179, 0x140, v180
	s_mov_b32 s16, 20
	v_mov_b32_e32 v178, 19
.LBB82_400:                             ; =>This Inner Loop Header: Depth=1
	ds_read2_b64 v[184:187], v179 offset1:1
	s_waitcnt lgkmcnt(1)
	v_xor_b32_e32 v189, 0x80000000, v169
	v_xor_b32_e32 v191, 0x80000000, v171
	v_cmp_gt_f64_e32 vcc, 0, v[170:171]
	v_cmp_gt_f64_e64 s[0:1], 0, v[168:169]
	v_mov_b32_e32 v188, v168
	v_mov_b32_e32 v190, v170
	v_cndmask_b32_e64 v189, v169, v189, s[0:1]
	v_cndmask_b32_e32 v191, v171, v191, vcc
	v_add_f64 v[188:189], v[188:189], v[190:191]
	s_waitcnt lgkmcnt(0)
	v_xor_b32_e32 v191, 0x80000000, v185
	v_xor_b32_e32 v193, 0x80000000, v187
	v_cmp_gt_f64_e32 vcc, 0, v[186:187]
	v_cmp_gt_f64_e64 s[0:1], 0, v[184:185]
	v_mov_b32_e32 v190, v184
	v_mov_b32_e32 v192, v186
	v_cndmask_b32_e64 v191, v185, v191, s[0:1]
	v_cndmask_b32_e32 v193, v187, v193, vcc
	v_add_f64 v[190:191], v[190:191], v[192:193]
	v_mov_b32_e32 v194, s16
	s_add_i32 s16, s16, 1
	v_cmp_lt_f64_e32 vcc, v[188:189], v[190:191]
	v_add_u32_e32 v179, 16, v179
	s_cmp_lg_u32 s20, s16
	v_cndmask_b32_e32 v169, v169, v185, vcc
	v_cndmask_b32_e32 v168, v168, v184, vcc
	;; [unrolled: 1-line block ×5, first 2 shown]
	s_cbranch_scc1 .LBB82_400
.LBB82_401:
	s_waitcnt lgkmcnt(0)
	v_cmp_eq_f64_e32 vcc, 0, v[168:169]
	v_cmp_eq_f64_e64 s[0:1], 0, v[170:171]
	s_and_b64 s[0:1], vcc, s[0:1]
	s_and_saveexec_b64 s[16:17], s[0:1]
	s_xor_b64 s[0:1], exec, s[16:17]
; %bb.402:
	v_cmp_ne_u32_e32 vcc, 0, v182
	s_nop 1
	v_cndmask_b32_e32 v182, 20, v182, vcc
; %bb.403:
	s_andn2_saveexec_b64 s[0:1], s[0:1]
	s_cbranch_execz .LBB82_409
; %bb.404:
	v_cmp_ngt_f64_e64 s[16:17], |v[168:169]|, |v[170:171]|
	s_and_saveexec_b64 s[18:19], s[16:17]
	s_xor_b64 s[16:17], exec, s[18:19]
	s_cbranch_execz .LBB82_406
; %bb.405:
	v_div_scale_f64 v[184:185], s[18:19], v[170:171], v[170:171], v[168:169]
	v_rcp_f64_e32 v[186:187], v[184:185]
	v_div_scale_f64 v[188:189], vcc, v[168:169], v[170:171], v[168:169]
	v_fma_f64 v[190:191], -v[184:185], v[186:187], 1.0
	v_fmac_f64_e32 v[186:187], v[186:187], v[190:191]
	v_fma_f64 v[190:191], -v[184:185], v[186:187], 1.0
	v_fmac_f64_e32 v[186:187], v[186:187], v[190:191]
	v_mul_f64 v[190:191], v[188:189], v[186:187]
	v_fma_f64 v[184:185], -v[184:185], v[190:191], v[188:189]
	v_div_fmas_f64 v[184:185], v[184:185], v[186:187], v[190:191]
	v_div_fixup_f64 v[184:185], v[184:185], v[170:171], v[168:169]
	v_fmac_f64_e32 v[170:171], v[168:169], v[184:185]
	v_div_scale_f64 v[168:169], s[18:19], v[170:171], v[170:171], 1.0
	v_rcp_f64_e32 v[186:187], v[168:169]
	s_nop 0
	v_fma_f64 v[188:189], -v[168:169], v[186:187], 1.0
	v_fmac_f64_e32 v[186:187], v[186:187], v[188:189]
	v_fma_f64 v[188:189], -v[168:169], v[186:187], 1.0
	v_fmac_f64_e32 v[186:187], v[186:187], v[188:189]
	v_div_scale_f64 v[188:189], vcc, 1.0, v[170:171], 1.0
	v_mul_f64 v[190:191], v[188:189], v[186:187]
	v_fma_f64 v[168:169], -v[168:169], v[190:191], v[188:189]
	s_nop 1
	v_div_fmas_f64 v[168:169], v[168:169], v[186:187], v[190:191]
	v_div_fixup_f64 v[170:171], v[168:169], v[170:171], 1.0
	v_mul_f64 v[168:169], v[184:185], v[170:171]
	v_xor_b32_e32 v171, 0x80000000, v171
.LBB82_406:
	s_andn2_saveexec_b64 s[16:17], s[16:17]
	s_cbranch_execz .LBB82_408
; %bb.407:
	v_div_scale_f64 v[184:185], s[18:19], v[168:169], v[168:169], v[170:171]
	v_rcp_f64_e32 v[186:187], v[184:185]
	v_div_scale_f64 v[188:189], vcc, v[170:171], v[168:169], v[170:171]
	v_fma_f64 v[190:191], -v[184:185], v[186:187], 1.0
	v_fmac_f64_e32 v[186:187], v[186:187], v[190:191]
	v_fma_f64 v[190:191], -v[184:185], v[186:187], 1.0
	v_fmac_f64_e32 v[186:187], v[186:187], v[190:191]
	v_mul_f64 v[190:191], v[188:189], v[186:187]
	v_fma_f64 v[184:185], -v[184:185], v[190:191], v[188:189]
	v_div_fmas_f64 v[184:185], v[184:185], v[186:187], v[190:191]
	v_div_fixup_f64 v[184:185], v[184:185], v[168:169], v[170:171]
	v_fmac_f64_e32 v[168:169], v[170:171], v[184:185]
	v_div_scale_f64 v[170:171], s[18:19], v[168:169], v[168:169], 1.0
	v_rcp_f64_e32 v[186:187], v[170:171]
	s_nop 0
	v_fma_f64 v[188:189], -v[170:171], v[186:187], 1.0
	v_fmac_f64_e32 v[186:187], v[186:187], v[188:189]
	v_fma_f64 v[188:189], -v[170:171], v[186:187], 1.0
	v_fmac_f64_e32 v[186:187], v[186:187], v[188:189]
	v_div_scale_f64 v[188:189], vcc, 1.0, v[168:169], 1.0
	v_mul_f64 v[190:191], v[188:189], v[186:187]
	v_fma_f64 v[170:171], -v[170:171], v[190:191], v[188:189]
	s_nop 1
	v_div_fmas_f64 v[170:171], v[170:171], v[186:187], v[190:191]
	v_div_fixup_f64 v[168:169], v[170:171], v[168:169], 1.0
	v_mul_f64 v[170:171], v[184:185], -v[168:169]
.LBB82_408:
	s_or_b64 exec, exec, s[16:17]
.LBB82_409:
	s_or_b64 exec, exec, s[0:1]
	v_cmp_ne_u32_e32 vcc, v181, v178
	s_and_saveexec_b64 s[0:1], vcc
	s_xor_b64 s[0:1], exec, s[0:1]
	s_cbranch_execz .LBB82_415
; %bb.410:
	v_cmp_eq_u32_e32 vcc, 19, v181
	s_and_saveexec_b64 s[16:17], vcc
	s_cbranch_execz .LBB82_414
; %bb.411:
	v_cmp_ne_u32_e32 vcc, 19, v178
	s_xor_b64 s[18:19], s[14:15], -1
	s_and_b64 s[22:23], s[18:19], vcc
	s_and_saveexec_b64 s[18:19], s[22:23]
	s_cbranch_execz .LBB82_413
; %bb.412:
	v_ashrrev_i32_e32 v179, 31, v178
	v_lshl_add_u64 v[184:185], v[178:179], 2, v[176:177]
	global_load_dword v179, v[184:185], off
	global_load_dword v181, v[176:177], off offset:76
	s_waitcnt vmcnt(1)
	global_store_dword v[176:177], v179, off offset:76
	s_waitcnt vmcnt(1)
	global_store_dword v[184:185], v181, off
.LBB82_413:
	s_or_b64 exec, exec, s[18:19]
	v_mov_b32_e32 v181, v178
	v_mov_b32_e32 v183, v178
.LBB82_414:
	s_or_b64 exec, exec, s[16:17]
.LBB82_415:
	s_andn2_saveexec_b64 s[0:1], s[0:1]
	s_cbranch_execz .LBB82_417
; %bb.416:
	v_mov_b32_e32 v181, 19
	s_waitcnt vmcnt(21)
	ds_write2_b64 v180, v[80:81], v[82:83] offset0:40 offset1:41
	s_waitcnt vmcnt(20)
	ds_write2_b64 v180, v[76:77], v[78:79] offset0:42 offset1:43
	;; [unrolled: 2-line block ×22, first 2 shown]
.LBB82_417:
	s_or_b64 exec, exec, s[0:1]
	v_cmp_lt_i32_e32 vcc, 19, v181
	s_waitcnt lgkmcnt(0)
	s_barrier
	s_and_saveexec_b64 s[0:1], vcc
	s_cbranch_execz .LBB82_419
; %bb.418:
	ds_read2_b64 v[184:187], v180 offset0:40 offset1:41
	v_mul_f64 v[178:179], v[170:171], v[86:87]
	v_mul_f64 v[86:87], v[168:169], v[86:87]
	v_fma_f64 v[178:179], v[168:169], v[84:85], -v[178:179]
	v_fmac_f64_e32 v[86:87], v[170:171], v[84:85]
	ds_read2_b64 v[168:171], v180 offset0:42 offset1:43
	s_waitcnt lgkmcnt(1)
	v_mul_f64 v[84:85], v[186:187], v[86:87]
	v_fma_f64 v[84:85], v[184:185], v[178:179], -v[84:85]
	v_mul_f64 v[184:185], v[184:185], v[86:87]
	v_fmac_f64_e32 v[184:185], v[186:187], v[178:179]
	s_waitcnt vmcnt(21)
	v_add_f64 v[80:81], v[80:81], -v[84:85]
	s_waitcnt lgkmcnt(0)
	v_mul_f64 v[84:85], v[170:171], v[86:87]
	v_add_f64 v[82:83], v[82:83], -v[184:185]
	v_fma_f64 v[84:85], v[168:169], v[178:179], -v[84:85]
	v_mul_f64 v[168:169], v[168:169], v[86:87]
	ds_read2_b64 v[184:187], v180 offset0:44 offset1:45
	v_fmac_f64_e32 v[168:169], v[170:171], v[178:179]
	s_waitcnt vmcnt(20)
	v_add_f64 v[78:79], v[78:79], -v[168:169]
	ds_read2_b64 v[168:171], v180 offset0:46 offset1:47
	v_add_f64 v[76:77], v[76:77], -v[84:85]
	s_waitcnt lgkmcnt(1)
	v_mul_f64 v[84:85], v[186:187], v[86:87]
	v_fma_f64 v[84:85], v[184:185], v[178:179], -v[84:85]
	v_mul_f64 v[184:185], v[184:185], v[86:87]
	v_fmac_f64_e32 v[184:185], v[186:187], v[178:179]
	s_waitcnt vmcnt(19)
	v_add_f64 v[72:73], v[72:73], -v[84:85]
	s_waitcnt lgkmcnt(0)
	v_mul_f64 v[84:85], v[170:171], v[86:87]
	v_add_f64 v[74:75], v[74:75], -v[184:185]
	v_fma_f64 v[84:85], v[168:169], v[178:179], -v[84:85]
	v_mul_f64 v[168:169], v[168:169], v[86:87]
	ds_read2_b64 v[184:187], v180 offset0:48 offset1:49
	v_fmac_f64_e32 v[168:169], v[170:171], v[178:179]
	s_waitcnt vmcnt(18)
	v_add_f64 v[70:71], v[70:71], -v[168:169]
	ds_read2_b64 v[168:171], v180 offset0:50 offset1:51
	v_add_f64 v[68:69], v[68:69], -v[84:85]
	;; [unrolled: 18-line block ×10, first 2 shown]
	s_waitcnt lgkmcnt(1)
	v_mul_f64 v[84:85], v[186:187], v[86:87]
	v_fma_f64 v[84:85], v[184:185], v[178:179], -v[84:85]
	s_waitcnt vmcnt(1)
	v_add_f64 v[0:1], v[0:1], -v[84:85]
	s_waitcnt lgkmcnt(0)
	v_mul_f64 v[84:85], v[170:171], v[86:87]
	v_mul_f64 v[184:185], v[184:185], v[86:87]
	v_fma_f64 v[84:85], v[168:169], v[178:179], -v[84:85]
	v_mul_f64 v[168:169], v[168:169], v[86:87]
	v_fmac_f64_e32 v[184:185], v[186:187], v[178:179]
	v_fmac_f64_e32 v[168:169], v[170:171], v[178:179]
	v_add_f64 v[2:3], v[2:3], -v[184:185]
	s_waitcnt vmcnt(0)
	v_add_f64 v[164:165], v[164:165], -v[84:85]
	v_add_f64 v[166:167], v[166:167], -v[168:169]
	v_mov_b64_e32 v[84:85], v[178:179]
.LBB82_419:
	s_or_b64 exec, exec, s[0:1]
	v_lshl_add_u32 v168, v181, 4, v180
	s_barrier
	s_waitcnt vmcnt(21)
	ds_write2_b64 v168, v[80:81], v[82:83] offset1:1
	s_waitcnt lgkmcnt(0)
	s_barrier
	ds_read2_b64 v[168:171], v180 offset0:40 offset1:41
	s_cmp_lt_i32 s20, 22
	v_mov_b32_e32 v178, 20
	s_cbranch_scc1 .LBB82_422
; %bb.420:
	v_add_u32_e32 v179, 0x150, v180
	s_mov_b32 s16, 21
	v_mov_b32_e32 v178, 20
.LBB82_421:                             ; =>This Inner Loop Header: Depth=1
	ds_read2_b64 v[184:187], v179 offset1:1
	s_waitcnt lgkmcnt(1)
	v_xor_b32_e32 v189, 0x80000000, v169
	v_xor_b32_e32 v191, 0x80000000, v171
	v_cmp_gt_f64_e32 vcc, 0, v[170:171]
	v_cmp_gt_f64_e64 s[0:1], 0, v[168:169]
	v_mov_b32_e32 v188, v168
	v_mov_b32_e32 v190, v170
	v_cndmask_b32_e64 v189, v169, v189, s[0:1]
	v_cndmask_b32_e32 v191, v171, v191, vcc
	v_add_f64 v[188:189], v[188:189], v[190:191]
	s_waitcnt lgkmcnt(0)
	v_xor_b32_e32 v191, 0x80000000, v185
	v_xor_b32_e32 v193, 0x80000000, v187
	v_cmp_gt_f64_e32 vcc, 0, v[186:187]
	v_cmp_gt_f64_e64 s[0:1], 0, v[184:185]
	v_mov_b32_e32 v190, v184
	v_mov_b32_e32 v192, v186
	v_cndmask_b32_e64 v191, v185, v191, s[0:1]
	v_cndmask_b32_e32 v193, v187, v193, vcc
	v_add_f64 v[190:191], v[190:191], v[192:193]
	v_mov_b32_e32 v194, s16
	s_add_i32 s16, s16, 1
	v_cmp_lt_f64_e32 vcc, v[188:189], v[190:191]
	v_add_u32_e32 v179, 16, v179
	s_cmp_lg_u32 s20, s16
	v_cndmask_b32_e32 v169, v169, v185, vcc
	v_cndmask_b32_e32 v168, v168, v184, vcc
	;; [unrolled: 1-line block ×5, first 2 shown]
	s_cbranch_scc1 .LBB82_421
.LBB82_422:
	s_waitcnt lgkmcnt(0)
	v_cmp_eq_f64_e32 vcc, 0, v[168:169]
	v_cmp_eq_f64_e64 s[0:1], 0, v[170:171]
	s_and_b64 s[0:1], vcc, s[0:1]
	s_and_saveexec_b64 s[16:17], s[0:1]
	s_xor_b64 s[0:1], exec, s[16:17]
; %bb.423:
	v_cmp_ne_u32_e32 vcc, 0, v182
	s_nop 1
	v_cndmask_b32_e32 v182, 21, v182, vcc
; %bb.424:
	s_andn2_saveexec_b64 s[0:1], s[0:1]
	s_cbranch_execz .LBB82_430
; %bb.425:
	v_cmp_ngt_f64_e64 s[16:17], |v[168:169]|, |v[170:171]|
	s_and_saveexec_b64 s[18:19], s[16:17]
	s_xor_b64 s[16:17], exec, s[18:19]
	s_cbranch_execz .LBB82_427
; %bb.426:
	v_div_scale_f64 v[184:185], s[18:19], v[170:171], v[170:171], v[168:169]
	v_rcp_f64_e32 v[186:187], v[184:185]
	v_div_scale_f64 v[188:189], vcc, v[168:169], v[170:171], v[168:169]
	v_fma_f64 v[190:191], -v[184:185], v[186:187], 1.0
	v_fmac_f64_e32 v[186:187], v[186:187], v[190:191]
	v_fma_f64 v[190:191], -v[184:185], v[186:187], 1.0
	v_fmac_f64_e32 v[186:187], v[186:187], v[190:191]
	v_mul_f64 v[190:191], v[188:189], v[186:187]
	v_fma_f64 v[184:185], -v[184:185], v[190:191], v[188:189]
	v_div_fmas_f64 v[184:185], v[184:185], v[186:187], v[190:191]
	v_div_fixup_f64 v[184:185], v[184:185], v[170:171], v[168:169]
	v_fmac_f64_e32 v[170:171], v[168:169], v[184:185]
	v_div_scale_f64 v[168:169], s[18:19], v[170:171], v[170:171], 1.0
	v_rcp_f64_e32 v[186:187], v[168:169]
	s_nop 0
	v_fma_f64 v[188:189], -v[168:169], v[186:187], 1.0
	v_fmac_f64_e32 v[186:187], v[186:187], v[188:189]
	v_fma_f64 v[188:189], -v[168:169], v[186:187], 1.0
	v_fmac_f64_e32 v[186:187], v[186:187], v[188:189]
	v_div_scale_f64 v[188:189], vcc, 1.0, v[170:171], 1.0
	v_mul_f64 v[190:191], v[188:189], v[186:187]
	v_fma_f64 v[168:169], -v[168:169], v[190:191], v[188:189]
	s_nop 1
	v_div_fmas_f64 v[168:169], v[168:169], v[186:187], v[190:191]
	v_div_fixup_f64 v[170:171], v[168:169], v[170:171], 1.0
	v_mul_f64 v[168:169], v[184:185], v[170:171]
	v_xor_b32_e32 v171, 0x80000000, v171
.LBB82_427:
	s_andn2_saveexec_b64 s[16:17], s[16:17]
	s_cbranch_execz .LBB82_429
; %bb.428:
	v_div_scale_f64 v[184:185], s[18:19], v[168:169], v[168:169], v[170:171]
	v_rcp_f64_e32 v[186:187], v[184:185]
	v_div_scale_f64 v[188:189], vcc, v[170:171], v[168:169], v[170:171]
	v_fma_f64 v[190:191], -v[184:185], v[186:187], 1.0
	v_fmac_f64_e32 v[186:187], v[186:187], v[190:191]
	v_fma_f64 v[190:191], -v[184:185], v[186:187], 1.0
	v_fmac_f64_e32 v[186:187], v[186:187], v[190:191]
	v_mul_f64 v[190:191], v[188:189], v[186:187]
	v_fma_f64 v[184:185], -v[184:185], v[190:191], v[188:189]
	v_div_fmas_f64 v[184:185], v[184:185], v[186:187], v[190:191]
	v_div_fixup_f64 v[184:185], v[184:185], v[168:169], v[170:171]
	v_fmac_f64_e32 v[168:169], v[170:171], v[184:185]
	v_div_scale_f64 v[170:171], s[18:19], v[168:169], v[168:169], 1.0
	v_rcp_f64_e32 v[186:187], v[170:171]
	s_nop 0
	v_fma_f64 v[188:189], -v[170:171], v[186:187], 1.0
	v_fmac_f64_e32 v[186:187], v[186:187], v[188:189]
	v_fma_f64 v[188:189], -v[170:171], v[186:187], 1.0
	v_fmac_f64_e32 v[186:187], v[186:187], v[188:189]
	v_div_scale_f64 v[188:189], vcc, 1.0, v[168:169], 1.0
	v_mul_f64 v[190:191], v[188:189], v[186:187]
	v_fma_f64 v[170:171], -v[170:171], v[190:191], v[188:189]
	s_nop 1
	v_div_fmas_f64 v[170:171], v[170:171], v[186:187], v[190:191]
	v_div_fixup_f64 v[168:169], v[170:171], v[168:169], 1.0
	v_mul_f64 v[170:171], v[184:185], -v[168:169]
.LBB82_429:
	s_or_b64 exec, exec, s[16:17]
.LBB82_430:
	s_or_b64 exec, exec, s[0:1]
	v_cmp_ne_u32_e32 vcc, v181, v178
	s_and_saveexec_b64 s[0:1], vcc
	s_xor_b64 s[0:1], exec, s[0:1]
	s_cbranch_execz .LBB82_436
; %bb.431:
	v_cmp_eq_u32_e32 vcc, 20, v181
	s_and_saveexec_b64 s[16:17], vcc
	s_cbranch_execz .LBB82_435
; %bb.432:
	v_cmp_ne_u32_e32 vcc, 20, v178
	s_xor_b64 s[18:19], s[14:15], -1
	s_and_b64 s[22:23], s[18:19], vcc
	s_and_saveexec_b64 s[18:19], s[22:23]
	s_cbranch_execz .LBB82_434
; %bb.433:
	v_ashrrev_i32_e32 v179, 31, v178
	v_lshl_add_u64 v[184:185], v[178:179], 2, v[176:177]
	global_load_dword v179, v[184:185], off
	global_load_dword v181, v[176:177], off offset:80
	s_waitcnt vmcnt(1)
	global_store_dword v[176:177], v179, off offset:80
	s_waitcnt vmcnt(1)
	global_store_dword v[184:185], v181, off
.LBB82_434:
	s_or_b64 exec, exec, s[18:19]
	v_mov_b32_e32 v181, v178
	v_mov_b32_e32 v183, v178
.LBB82_435:
	s_or_b64 exec, exec, s[16:17]
.LBB82_436:
	s_andn2_saveexec_b64 s[0:1], s[0:1]
	s_cbranch_execz .LBB82_438
; %bb.437:
	v_mov_b32_e32 v181, 20
	s_waitcnt vmcnt(20)
	ds_write2_b64 v180, v[76:77], v[78:79] offset0:42 offset1:43
	s_waitcnt vmcnt(19)
	ds_write2_b64 v180, v[72:73], v[74:75] offset0:44 offset1:45
	;; [unrolled: 2-line block ×21, first 2 shown]
.LBB82_438:
	s_or_b64 exec, exec, s[0:1]
	v_cmp_lt_i32_e32 vcc, 20, v181
	s_waitcnt lgkmcnt(0)
	s_barrier
	s_and_saveexec_b64 s[0:1], vcc
	s_cbranch_execz .LBB82_440
; %bb.439:
	ds_read2_b64 v[184:187], v180 offset0:42 offset1:43
	v_mul_f64 v[178:179], v[170:171], v[82:83]
	v_mul_f64 v[82:83], v[168:169], v[82:83]
	v_fmac_f64_e32 v[82:83], v[170:171], v[80:81]
	v_fma_f64 v[178:179], v[168:169], v[80:81], -v[178:179]
	ds_read2_b64 v[168:171], v180 offset0:44 offset1:45
	s_waitcnt lgkmcnt(1)
	v_mul_f64 v[80:81], v[186:187], v[82:83]
	v_fma_f64 v[80:81], v[184:185], v[178:179], -v[80:81]
	v_mul_f64 v[184:185], v[184:185], v[82:83]
	v_fmac_f64_e32 v[184:185], v[186:187], v[178:179]
	s_waitcnt vmcnt(20)
	v_add_f64 v[78:79], v[78:79], -v[184:185]
	ds_read2_b64 v[184:187], v180 offset0:46 offset1:47
	v_add_f64 v[76:77], v[76:77], -v[80:81]
	s_waitcnt lgkmcnt(1)
	v_mul_f64 v[80:81], v[170:171], v[82:83]
	v_fma_f64 v[80:81], v[168:169], v[178:179], -v[80:81]
	v_mul_f64 v[168:169], v[168:169], v[82:83]
	v_fmac_f64_e32 v[168:169], v[170:171], v[178:179]
	s_waitcnt vmcnt(19)
	v_add_f64 v[72:73], v[72:73], -v[80:81]
	v_add_f64 v[74:75], v[74:75], -v[168:169]
	ds_read2_b64 v[168:171], v180 offset0:48 offset1:49
	s_waitcnt lgkmcnt(1)
	v_mul_f64 v[80:81], v[186:187], v[82:83]
	v_fma_f64 v[80:81], v[184:185], v[178:179], -v[80:81]
	v_mul_f64 v[184:185], v[184:185], v[82:83]
	v_fmac_f64_e32 v[184:185], v[186:187], v[178:179]
	s_waitcnt vmcnt(18)
	v_add_f64 v[70:71], v[70:71], -v[184:185]
	ds_read2_b64 v[184:187], v180 offset0:50 offset1:51
	v_add_f64 v[68:69], v[68:69], -v[80:81]
	s_waitcnt lgkmcnt(1)
	v_mul_f64 v[80:81], v[170:171], v[82:83]
	v_fma_f64 v[80:81], v[168:169], v[178:179], -v[80:81]
	v_mul_f64 v[168:169], v[168:169], v[82:83]
	v_fmac_f64_e32 v[168:169], v[170:171], v[178:179]
	s_waitcnt vmcnt(17)
	v_add_f64 v[64:65], v[64:65], -v[80:81]
	v_add_f64 v[66:67], v[66:67], -v[168:169]
	;; [unrolled: 18-line block ×10, first 2 shown]
	s_waitcnt lgkmcnt(0)
	v_mul_f64 v[80:81], v[186:187], v[82:83]
	v_mul_f64 v[168:169], v[184:185], v[82:83]
	v_fma_f64 v[80:81], v[184:185], v[178:179], -v[80:81]
	v_fmac_f64_e32 v[168:169], v[186:187], v[178:179]
	s_waitcnt vmcnt(0)
	v_add_f64 v[164:165], v[164:165], -v[80:81]
	v_add_f64 v[166:167], v[166:167], -v[168:169]
	v_mov_b64_e32 v[80:81], v[178:179]
.LBB82_440:
	s_or_b64 exec, exec, s[0:1]
	v_lshl_add_u32 v168, v181, 4, v180
	s_barrier
	s_waitcnt vmcnt(20)
	ds_write2_b64 v168, v[76:77], v[78:79] offset1:1
	s_waitcnt lgkmcnt(0)
	s_barrier
	ds_read2_b64 v[168:171], v180 offset0:42 offset1:43
	s_cmp_lt_i32 s20, 23
	v_mov_b32_e32 v178, 21
	s_cbranch_scc1 .LBB82_443
; %bb.441:
	v_add_u32_e32 v179, 0x160, v180
	s_mov_b32 s16, 22
	v_mov_b32_e32 v178, 21
.LBB82_442:                             ; =>This Inner Loop Header: Depth=1
	ds_read2_b64 v[184:187], v179 offset1:1
	s_waitcnt lgkmcnt(1)
	v_xor_b32_e32 v189, 0x80000000, v169
	v_xor_b32_e32 v191, 0x80000000, v171
	v_cmp_gt_f64_e32 vcc, 0, v[170:171]
	v_cmp_gt_f64_e64 s[0:1], 0, v[168:169]
	v_mov_b32_e32 v188, v168
	v_mov_b32_e32 v190, v170
	v_cndmask_b32_e64 v189, v169, v189, s[0:1]
	v_cndmask_b32_e32 v191, v171, v191, vcc
	v_add_f64 v[188:189], v[188:189], v[190:191]
	s_waitcnt lgkmcnt(0)
	v_xor_b32_e32 v191, 0x80000000, v185
	v_xor_b32_e32 v193, 0x80000000, v187
	v_cmp_gt_f64_e32 vcc, 0, v[186:187]
	v_cmp_gt_f64_e64 s[0:1], 0, v[184:185]
	v_mov_b32_e32 v190, v184
	v_mov_b32_e32 v192, v186
	v_cndmask_b32_e64 v191, v185, v191, s[0:1]
	v_cndmask_b32_e32 v193, v187, v193, vcc
	v_add_f64 v[190:191], v[190:191], v[192:193]
	v_mov_b32_e32 v194, s16
	s_add_i32 s16, s16, 1
	v_cmp_lt_f64_e32 vcc, v[188:189], v[190:191]
	v_add_u32_e32 v179, 16, v179
	s_cmp_lg_u32 s20, s16
	v_cndmask_b32_e32 v169, v169, v185, vcc
	v_cndmask_b32_e32 v168, v168, v184, vcc
	;; [unrolled: 1-line block ×5, first 2 shown]
	s_cbranch_scc1 .LBB82_442
.LBB82_443:
	s_waitcnt lgkmcnt(0)
	v_cmp_eq_f64_e32 vcc, 0, v[168:169]
	v_cmp_eq_f64_e64 s[0:1], 0, v[170:171]
	s_and_b64 s[0:1], vcc, s[0:1]
	s_and_saveexec_b64 s[16:17], s[0:1]
	s_xor_b64 s[0:1], exec, s[16:17]
; %bb.444:
	v_cmp_ne_u32_e32 vcc, 0, v182
	s_nop 1
	v_cndmask_b32_e32 v182, 22, v182, vcc
; %bb.445:
	s_andn2_saveexec_b64 s[0:1], s[0:1]
	s_cbranch_execz .LBB82_451
; %bb.446:
	v_cmp_ngt_f64_e64 s[16:17], |v[168:169]|, |v[170:171]|
	s_and_saveexec_b64 s[18:19], s[16:17]
	s_xor_b64 s[16:17], exec, s[18:19]
	s_cbranch_execz .LBB82_448
; %bb.447:
	v_div_scale_f64 v[184:185], s[18:19], v[170:171], v[170:171], v[168:169]
	v_rcp_f64_e32 v[186:187], v[184:185]
	v_div_scale_f64 v[188:189], vcc, v[168:169], v[170:171], v[168:169]
	v_fma_f64 v[190:191], -v[184:185], v[186:187], 1.0
	v_fmac_f64_e32 v[186:187], v[186:187], v[190:191]
	v_fma_f64 v[190:191], -v[184:185], v[186:187], 1.0
	v_fmac_f64_e32 v[186:187], v[186:187], v[190:191]
	v_mul_f64 v[190:191], v[188:189], v[186:187]
	v_fma_f64 v[184:185], -v[184:185], v[190:191], v[188:189]
	v_div_fmas_f64 v[184:185], v[184:185], v[186:187], v[190:191]
	v_div_fixup_f64 v[184:185], v[184:185], v[170:171], v[168:169]
	v_fmac_f64_e32 v[170:171], v[168:169], v[184:185]
	v_div_scale_f64 v[168:169], s[18:19], v[170:171], v[170:171], 1.0
	v_rcp_f64_e32 v[186:187], v[168:169]
	s_nop 0
	v_fma_f64 v[188:189], -v[168:169], v[186:187], 1.0
	v_fmac_f64_e32 v[186:187], v[186:187], v[188:189]
	v_fma_f64 v[188:189], -v[168:169], v[186:187], 1.0
	v_fmac_f64_e32 v[186:187], v[186:187], v[188:189]
	v_div_scale_f64 v[188:189], vcc, 1.0, v[170:171], 1.0
	v_mul_f64 v[190:191], v[188:189], v[186:187]
	v_fma_f64 v[168:169], -v[168:169], v[190:191], v[188:189]
	s_nop 1
	v_div_fmas_f64 v[168:169], v[168:169], v[186:187], v[190:191]
	v_div_fixup_f64 v[170:171], v[168:169], v[170:171], 1.0
	v_mul_f64 v[168:169], v[184:185], v[170:171]
	v_xor_b32_e32 v171, 0x80000000, v171
.LBB82_448:
	s_andn2_saveexec_b64 s[16:17], s[16:17]
	s_cbranch_execz .LBB82_450
; %bb.449:
	v_div_scale_f64 v[184:185], s[18:19], v[168:169], v[168:169], v[170:171]
	v_rcp_f64_e32 v[186:187], v[184:185]
	v_div_scale_f64 v[188:189], vcc, v[170:171], v[168:169], v[170:171]
	v_fma_f64 v[190:191], -v[184:185], v[186:187], 1.0
	v_fmac_f64_e32 v[186:187], v[186:187], v[190:191]
	v_fma_f64 v[190:191], -v[184:185], v[186:187], 1.0
	v_fmac_f64_e32 v[186:187], v[186:187], v[190:191]
	v_mul_f64 v[190:191], v[188:189], v[186:187]
	v_fma_f64 v[184:185], -v[184:185], v[190:191], v[188:189]
	v_div_fmas_f64 v[184:185], v[184:185], v[186:187], v[190:191]
	v_div_fixup_f64 v[184:185], v[184:185], v[168:169], v[170:171]
	v_fmac_f64_e32 v[168:169], v[170:171], v[184:185]
	v_div_scale_f64 v[170:171], s[18:19], v[168:169], v[168:169], 1.0
	v_rcp_f64_e32 v[186:187], v[170:171]
	s_nop 0
	v_fma_f64 v[188:189], -v[170:171], v[186:187], 1.0
	v_fmac_f64_e32 v[186:187], v[186:187], v[188:189]
	v_fma_f64 v[188:189], -v[170:171], v[186:187], 1.0
	v_fmac_f64_e32 v[186:187], v[186:187], v[188:189]
	v_div_scale_f64 v[188:189], vcc, 1.0, v[168:169], 1.0
	v_mul_f64 v[190:191], v[188:189], v[186:187]
	v_fma_f64 v[170:171], -v[170:171], v[190:191], v[188:189]
	s_nop 1
	v_div_fmas_f64 v[170:171], v[170:171], v[186:187], v[190:191]
	v_div_fixup_f64 v[168:169], v[170:171], v[168:169], 1.0
	v_mul_f64 v[170:171], v[184:185], -v[168:169]
.LBB82_450:
	s_or_b64 exec, exec, s[16:17]
.LBB82_451:
	s_or_b64 exec, exec, s[0:1]
	v_cmp_ne_u32_e32 vcc, v181, v178
	s_and_saveexec_b64 s[0:1], vcc
	s_xor_b64 s[0:1], exec, s[0:1]
	s_cbranch_execz .LBB82_457
; %bb.452:
	v_cmp_eq_u32_e32 vcc, 21, v181
	s_and_saveexec_b64 s[16:17], vcc
	s_cbranch_execz .LBB82_456
; %bb.453:
	v_cmp_ne_u32_e32 vcc, 21, v178
	s_xor_b64 s[18:19], s[14:15], -1
	s_and_b64 s[22:23], s[18:19], vcc
	s_and_saveexec_b64 s[18:19], s[22:23]
	s_cbranch_execz .LBB82_455
; %bb.454:
	v_ashrrev_i32_e32 v179, 31, v178
	v_lshl_add_u64 v[184:185], v[178:179], 2, v[176:177]
	global_load_dword v179, v[184:185], off
	global_load_dword v181, v[176:177], off offset:84
	s_waitcnt vmcnt(1)
	global_store_dword v[176:177], v179, off offset:84
	s_waitcnt vmcnt(1)
	global_store_dword v[184:185], v181, off
.LBB82_455:
	s_or_b64 exec, exec, s[18:19]
	v_mov_b32_e32 v181, v178
	v_mov_b32_e32 v183, v178
.LBB82_456:
	s_or_b64 exec, exec, s[16:17]
.LBB82_457:
	s_andn2_saveexec_b64 s[0:1], s[0:1]
	s_cbranch_execz .LBB82_459
; %bb.458:
	v_mov_b32_e32 v181, 21
	s_waitcnt vmcnt(19)
	ds_write2_b64 v180, v[72:73], v[74:75] offset0:44 offset1:45
	s_waitcnt vmcnt(18)
	ds_write2_b64 v180, v[68:69], v[70:71] offset0:46 offset1:47
	s_waitcnt vmcnt(17)
	ds_write2_b64 v180, v[64:65], v[66:67] offset0:48 offset1:49
	s_waitcnt vmcnt(16)
	ds_write2_b64 v180, v[60:61], v[62:63] offset0:50 offset1:51
	s_waitcnt vmcnt(15)
	ds_write2_b64 v180, v[56:57], v[58:59] offset0:52 offset1:53
	s_waitcnt vmcnt(14)
	ds_write2_b64 v180, v[52:53], v[54:55] offset0:54 offset1:55
	s_waitcnt vmcnt(13)
	ds_write2_b64 v180, v[48:49], v[50:51] offset0:56 offset1:57
	s_waitcnt vmcnt(12)
	ds_write2_b64 v180, v[44:45], v[46:47] offset0:58 offset1:59
	s_waitcnt vmcnt(11)
	ds_write2_b64 v180, v[40:41], v[42:43] offset0:60 offset1:61
	s_waitcnt vmcnt(10)
	ds_write2_b64 v180, v[36:37], v[38:39] offset0:62 offset1:63
	s_waitcnt vmcnt(9)
	ds_write2_b64 v180, v[32:33], v[34:35] offset0:64 offset1:65
	s_waitcnt vmcnt(8)
	ds_write2_b64 v180, v[28:29], v[30:31] offset0:66 offset1:67
	s_waitcnt vmcnt(7)
	ds_write2_b64 v180, v[24:25], v[26:27] offset0:68 offset1:69
	s_waitcnt vmcnt(6)
	ds_write2_b64 v180, v[20:21], v[22:23] offset0:70 offset1:71
	s_waitcnt vmcnt(5)
	ds_write2_b64 v180, v[16:17], v[18:19] offset0:72 offset1:73
	s_waitcnt vmcnt(4)
	ds_write2_b64 v180, v[12:13], v[14:15] offset0:74 offset1:75
	s_waitcnt vmcnt(3)
	ds_write2_b64 v180, v[8:9], v[10:11] offset0:76 offset1:77
	s_waitcnt vmcnt(2)
	ds_write2_b64 v180, v[4:5], v[6:7] offset0:78 offset1:79
	s_waitcnt vmcnt(1)
	ds_write2_b64 v180, v[0:1], v[2:3] offset0:80 offset1:81
	s_waitcnt vmcnt(0)
	ds_write2_b64 v180, v[164:165], v[166:167] offset0:82 offset1:83
.LBB82_459:
	s_or_b64 exec, exec, s[0:1]
	v_cmp_lt_i32_e32 vcc, 21, v181
	s_waitcnt lgkmcnt(0)
	s_barrier
	s_and_saveexec_b64 s[0:1], vcc
	s_cbranch_execz .LBB82_461
; %bb.460:
	ds_read2_b64 v[184:187], v180 offset0:44 offset1:45
	v_mul_f64 v[178:179], v[170:171], v[78:79]
	v_mul_f64 v[78:79], v[168:169], v[78:79]
	v_fma_f64 v[178:179], v[168:169], v[76:77], -v[178:179]
	v_fmac_f64_e32 v[78:79], v[170:171], v[76:77]
	ds_read2_b64 v[168:171], v180 offset0:46 offset1:47
	s_waitcnt lgkmcnt(1)
	v_mul_f64 v[76:77], v[186:187], v[78:79]
	v_fma_f64 v[76:77], v[184:185], v[178:179], -v[76:77]
	v_mul_f64 v[184:185], v[184:185], v[78:79]
	v_fmac_f64_e32 v[184:185], v[186:187], v[178:179]
	s_waitcnt vmcnt(19)
	v_add_f64 v[72:73], v[72:73], -v[76:77]
	s_waitcnt lgkmcnt(0)
	v_mul_f64 v[76:77], v[170:171], v[78:79]
	v_add_f64 v[74:75], v[74:75], -v[184:185]
	v_fma_f64 v[76:77], v[168:169], v[178:179], -v[76:77]
	v_mul_f64 v[168:169], v[168:169], v[78:79]
	ds_read2_b64 v[184:187], v180 offset0:48 offset1:49
	v_fmac_f64_e32 v[168:169], v[170:171], v[178:179]
	s_waitcnt vmcnt(18)
	v_add_f64 v[70:71], v[70:71], -v[168:169]
	ds_read2_b64 v[168:171], v180 offset0:50 offset1:51
	v_add_f64 v[68:69], v[68:69], -v[76:77]
	s_waitcnt lgkmcnt(1)
	v_mul_f64 v[76:77], v[186:187], v[78:79]
	v_fma_f64 v[76:77], v[184:185], v[178:179], -v[76:77]
	v_mul_f64 v[184:185], v[184:185], v[78:79]
	v_fmac_f64_e32 v[184:185], v[186:187], v[178:179]
	s_waitcnt vmcnt(17)
	v_add_f64 v[64:65], v[64:65], -v[76:77]
	s_waitcnt lgkmcnt(0)
	v_mul_f64 v[76:77], v[170:171], v[78:79]
	v_add_f64 v[66:67], v[66:67], -v[184:185]
	v_fma_f64 v[76:77], v[168:169], v[178:179], -v[76:77]
	v_mul_f64 v[168:169], v[168:169], v[78:79]
	ds_read2_b64 v[184:187], v180 offset0:52 offset1:53
	v_fmac_f64_e32 v[168:169], v[170:171], v[178:179]
	s_waitcnt vmcnt(16)
	v_add_f64 v[62:63], v[62:63], -v[168:169]
	ds_read2_b64 v[168:171], v180 offset0:54 offset1:55
	v_add_f64 v[60:61], v[60:61], -v[76:77]
	;; [unrolled: 18-line block ×9, first 2 shown]
	s_waitcnt lgkmcnt(1)
	v_mul_f64 v[76:77], v[186:187], v[78:79]
	v_fma_f64 v[76:77], v[184:185], v[178:179], -v[76:77]
	s_waitcnt vmcnt(1)
	v_add_f64 v[0:1], v[0:1], -v[76:77]
	s_waitcnt lgkmcnt(0)
	v_mul_f64 v[76:77], v[170:171], v[78:79]
	v_mul_f64 v[184:185], v[184:185], v[78:79]
	v_fma_f64 v[76:77], v[168:169], v[178:179], -v[76:77]
	v_mul_f64 v[168:169], v[168:169], v[78:79]
	v_fmac_f64_e32 v[184:185], v[186:187], v[178:179]
	v_fmac_f64_e32 v[168:169], v[170:171], v[178:179]
	v_add_f64 v[2:3], v[2:3], -v[184:185]
	s_waitcnt vmcnt(0)
	v_add_f64 v[164:165], v[164:165], -v[76:77]
	v_add_f64 v[166:167], v[166:167], -v[168:169]
	v_mov_b64_e32 v[76:77], v[178:179]
.LBB82_461:
	s_or_b64 exec, exec, s[0:1]
	v_lshl_add_u32 v168, v181, 4, v180
	s_barrier
	s_waitcnt vmcnt(19)
	ds_write2_b64 v168, v[72:73], v[74:75] offset1:1
	s_waitcnt lgkmcnt(0)
	s_barrier
	ds_read2_b64 v[168:171], v180 offset0:44 offset1:45
	s_cmp_lt_i32 s20, 24
	v_mov_b32_e32 v178, 22
	s_cbranch_scc1 .LBB82_464
; %bb.462:
	v_add_u32_e32 v179, 0x170, v180
	s_mov_b32 s16, 23
	v_mov_b32_e32 v178, 22
.LBB82_463:                             ; =>This Inner Loop Header: Depth=1
	ds_read2_b64 v[184:187], v179 offset1:1
	s_waitcnt lgkmcnt(1)
	v_xor_b32_e32 v189, 0x80000000, v169
	v_xor_b32_e32 v191, 0x80000000, v171
	v_cmp_gt_f64_e32 vcc, 0, v[170:171]
	v_cmp_gt_f64_e64 s[0:1], 0, v[168:169]
	v_mov_b32_e32 v188, v168
	v_mov_b32_e32 v190, v170
	v_cndmask_b32_e64 v189, v169, v189, s[0:1]
	v_cndmask_b32_e32 v191, v171, v191, vcc
	v_add_f64 v[188:189], v[188:189], v[190:191]
	s_waitcnt lgkmcnt(0)
	v_xor_b32_e32 v191, 0x80000000, v185
	v_xor_b32_e32 v193, 0x80000000, v187
	v_cmp_gt_f64_e32 vcc, 0, v[186:187]
	v_cmp_gt_f64_e64 s[0:1], 0, v[184:185]
	v_mov_b32_e32 v190, v184
	v_mov_b32_e32 v192, v186
	v_cndmask_b32_e64 v191, v185, v191, s[0:1]
	v_cndmask_b32_e32 v193, v187, v193, vcc
	v_add_f64 v[190:191], v[190:191], v[192:193]
	v_mov_b32_e32 v194, s16
	s_add_i32 s16, s16, 1
	v_cmp_lt_f64_e32 vcc, v[188:189], v[190:191]
	v_add_u32_e32 v179, 16, v179
	s_cmp_lg_u32 s20, s16
	v_cndmask_b32_e32 v169, v169, v185, vcc
	v_cndmask_b32_e32 v168, v168, v184, vcc
	;; [unrolled: 1-line block ×5, first 2 shown]
	s_cbranch_scc1 .LBB82_463
.LBB82_464:
	s_waitcnt lgkmcnt(0)
	v_cmp_eq_f64_e32 vcc, 0, v[168:169]
	v_cmp_eq_f64_e64 s[0:1], 0, v[170:171]
	s_and_b64 s[0:1], vcc, s[0:1]
	s_and_saveexec_b64 s[16:17], s[0:1]
	s_xor_b64 s[0:1], exec, s[16:17]
; %bb.465:
	v_cmp_ne_u32_e32 vcc, 0, v182
	s_nop 1
	v_cndmask_b32_e32 v182, 23, v182, vcc
; %bb.466:
	s_andn2_saveexec_b64 s[0:1], s[0:1]
	s_cbranch_execz .LBB82_472
; %bb.467:
	v_cmp_ngt_f64_e64 s[16:17], |v[168:169]|, |v[170:171]|
	s_and_saveexec_b64 s[18:19], s[16:17]
	s_xor_b64 s[16:17], exec, s[18:19]
	s_cbranch_execz .LBB82_469
; %bb.468:
	v_div_scale_f64 v[184:185], s[18:19], v[170:171], v[170:171], v[168:169]
	v_rcp_f64_e32 v[186:187], v[184:185]
	v_div_scale_f64 v[188:189], vcc, v[168:169], v[170:171], v[168:169]
	v_fma_f64 v[190:191], -v[184:185], v[186:187], 1.0
	v_fmac_f64_e32 v[186:187], v[186:187], v[190:191]
	v_fma_f64 v[190:191], -v[184:185], v[186:187], 1.0
	v_fmac_f64_e32 v[186:187], v[186:187], v[190:191]
	v_mul_f64 v[190:191], v[188:189], v[186:187]
	v_fma_f64 v[184:185], -v[184:185], v[190:191], v[188:189]
	v_div_fmas_f64 v[184:185], v[184:185], v[186:187], v[190:191]
	v_div_fixup_f64 v[184:185], v[184:185], v[170:171], v[168:169]
	v_fmac_f64_e32 v[170:171], v[168:169], v[184:185]
	v_div_scale_f64 v[168:169], s[18:19], v[170:171], v[170:171], 1.0
	v_rcp_f64_e32 v[186:187], v[168:169]
	s_nop 0
	v_fma_f64 v[188:189], -v[168:169], v[186:187], 1.0
	v_fmac_f64_e32 v[186:187], v[186:187], v[188:189]
	v_fma_f64 v[188:189], -v[168:169], v[186:187], 1.0
	v_fmac_f64_e32 v[186:187], v[186:187], v[188:189]
	v_div_scale_f64 v[188:189], vcc, 1.0, v[170:171], 1.0
	v_mul_f64 v[190:191], v[188:189], v[186:187]
	v_fma_f64 v[168:169], -v[168:169], v[190:191], v[188:189]
	s_nop 1
	v_div_fmas_f64 v[168:169], v[168:169], v[186:187], v[190:191]
	v_div_fixup_f64 v[170:171], v[168:169], v[170:171], 1.0
	v_mul_f64 v[168:169], v[184:185], v[170:171]
	v_xor_b32_e32 v171, 0x80000000, v171
.LBB82_469:
	s_andn2_saveexec_b64 s[16:17], s[16:17]
	s_cbranch_execz .LBB82_471
; %bb.470:
	v_div_scale_f64 v[184:185], s[18:19], v[168:169], v[168:169], v[170:171]
	v_rcp_f64_e32 v[186:187], v[184:185]
	v_div_scale_f64 v[188:189], vcc, v[170:171], v[168:169], v[170:171]
	v_fma_f64 v[190:191], -v[184:185], v[186:187], 1.0
	v_fmac_f64_e32 v[186:187], v[186:187], v[190:191]
	v_fma_f64 v[190:191], -v[184:185], v[186:187], 1.0
	v_fmac_f64_e32 v[186:187], v[186:187], v[190:191]
	v_mul_f64 v[190:191], v[188:189], v[186:187]
	v_fma_f64 v[184:185], -v[184:185], v[190:191], v[188:189]
	v_div_fmas_f64 v[184:185], v[184:185], v[186:187], v[190:191]
	v_div_fixup_f64 v[184:185], v[184:185], v[168:169], v[170:171]
	v_fmac_f64_e32 v[168:169], v[170:171], v[184:185]
	v_div_scale_f64 v[170:171], s[18:19], v[168:169], v[168:169], 1.0
	v_rcp_f64_e32 v[186:187], v[170:171]
	s_nop 0
	v_fma_f64 v[188:189], -v[170:171], v[186:187], 1.0
	v_fmac_f64_e32 v[186:187], v[186:187], v[188:189]
	v_fma_f64 v[188:189], -v[170:171], v[186:187], 1.0
	v_fmac_f64_e32 v[186:187], v[186:187], v[188:189]
	v_div_scale_f64 v[188:189], vcc, 1.0, v[168:169], 1.0
	v_mul_f64 v[190:191], v[188:189], v[186:187]
	v_fma_f64 v[170:171], -v[170:171], v[190:191], v[188:189]
	s_nop 1
	v_div_fmas_f64 v[170:171], v[170:171], v[186:187], v[190:191]
	v_div_fixup_f64 v[168:169], v[170:171], v[168:169], 1.0
	v_mul_f64 v[170:171], v[184:185], -v[168:169]
.LBB82_471:
	s_or_b64 exec, exec, s[16:17]
.LBB82_472:
	s_or_b64 exec, exec, s[0:1]
	v_cmp_ne_u32_e32 vcc, v181, v178
	s_and_saveexec_b64 s[0:1], vcc
	s_xor_b64 s[0:1], exec, s[0:1]
	s_cbranch_execz .LBB82_478
; %bb.473:
	v_cmp_eq_u32_e32 vcc, 22, v181
	s_and_saveexec_b64 s[16:17], vcc
	s_cbranch_execz .LBB82_477
; %bb.474:
	v_cmp_ne_u32_e32 vcc, 22, v178
	s_xor_b64 s[18:19], s[14:15], -1
	s_and_b64 s[22:23], s[18:19], vcc
	s_and_saveexec_b64 s[18:19], s[22:23]
	s_cbranch_execz .LBB82_476
; %bb.475:
	v_ashrrev_i32_e32 v179, 31, v178
	v_lshl_add_u64 v[184:185], v[178:179], 2, v[176:177]
	global_load_dword v179, v[184:185], off
	global_load_dword v181, v[176:177], off offset:88
	s_waitcnt vmcnt(1)
	global_store_dword v[176:177], v179, off offset:88
	s_waitcnt vmcnt(1)
	global_store_dword v[184:185], v181, off
.LBB82_476:
	s_or_b64 exec, exec, s[18:19]
	v_mov_b32_e32 v181, v178
	v_mov_b32_e32 v183, v178
.LBB82_477:
	s_or_b64 exec, exec, s[16:17]
.LBB82_478:
	s_andn2_saveexec_b64 s[0:1], s[0:1]
	s_cbranch_execz .LBB82_480
; %bb.479:
	v_mov_b32_e32 v181, 22
	s_waitcnt vmcnt(18)
	ds_write2_b64 v180, v[68:69], v[70:71] offset0:46 offset1:47
	s_waitcnt vmcnt(17)
	ds_write2_b64 v180, v[64:65], v[66:67] offset0:48 offset1:49
	;; [unrolled: 2-line block ×19, first 2 shown]
.LBB82_480:
	s_or_b64 exec, exec, s[0:1]
	v_cmp_lt_i32_e32 vcc, 22, v181
	s_waitcnt lgkmcnt(0)
	s_barrier
	s_and_saveexec_b64 s[0:1], vcc
	s_cbranch_execz .LBB82_482
; %bb.481:
	ds_read2_b64 v[184:187], v180 offset0:46 offset1:47
	v_mul_f64 v[178:179], v[170:171], v[74:75]
	v_mul_f64 v[74:75], v[168:169], v[74:75]
	v_fmac_f64_e32 v[74:75], v[170:171], v[72:73]
	v_fma_f64 v[178:179], v[168:169], v[72:73], -v[178:179]
	ds_read2_b64 v[168:171], v180 offset0:48 offset1:49
	s_waitcnt lgkmcnt(1)
	v_mul_f64 v[72:73], v[186:187], v[74:75]
	v_fma_f64 v[72:73], v[184:185], v[178:179], -v[72:73]
	v_mul_f64 v[184:185], v[184:185], v[74:75]
	v_fmac_f64_e32 v[184:185], v[186:187], v[178:179]
	s_waitcnt vmcnt(18)
	v_add_f64 v[70:71], v[70:71], -v[184:185]
	ds_read2_b64 v[184:187], v180 offset0:50 offset1:51
	v_add_f64 v[68:69], v[68:69], -v[72:73]
	s_waitcnt lgkmcnt(1)
	v_mul_f64 v[72:73], v[170:171], v[74:75]
	v_fma_f64 v[72:73], v[168:169], v[178:179], -v[72:73]
	v_mul_f64 v[168:169], v[168:169], v[74:75]
	v_fmac_f64_e32 v[168:169], v[170:171], v[178:179]
	s_waitcnt vmcnt(17)
	v_add_f64 v[64:65], v[64:65], -v[72:73]
	v_add_f64 v[66:67], v[66:67], -v[168:169]
	ds_read2_b64 v[168:171], v180 offset0:52 offset1:53
	s_waitcnt lgkmcnt(1)
	v_mul_f64 v[72:73], v[186:187], v[74:75]
	v_fma_f64 v[72:73], v[184:185], v[178:179], -v[72:73]
	v_mul_f64 v[184:185], v[184:185], v[74:75]
	v_fmac_f64_e32 v[184:185], v[186:187], v[178:179]
	s_waitcnt vmcnt(16)
	v_add_f64 v[62:63], v[62:63], -v[184:185]
	ds_read2_b64 v[184:187], v180 offset0:54 offset1:55
	v_add_f64 v[60:61], v[60:61], -v[72:73]
	s_waitcnt lgkmcnt(1)
	v_mul_f64 v[72:73], v[170:171], v[74:75]
	v_fma_f64 v[72:73], v[168:169], v[178:179], -v[72:73]
	v_mul_f64 v[168:169], v[168:169], v[74:75]
	v_fmac_f64_e32 v[168:169], v[170:171], v[178:179]
	s_waitcnt vmcnt(15)
	v_add_f64 v[56:57], v[56:57], -v[72:73]
	v_add_f64 v[58:59], v[58:59], -v[168:169]
	;; [unrolled: 18-line block ×9, first 2 shown]
	s_waitcnt lgkmcnt(0)
	v_mul_f64 v[72:73], v[186:187], v[74:75]
	v_mul_f64 v[168:169], v[184:185], v[74:75]
	v_fma_f64 v[72:73], v[184:185], v[178:179], -v[72:73]
	v_fmac_f64_e32 v[168:169], v[186:187], v[178:179]
	s_waitcnt vmcnt(0)
	v_add_f64 v[164:165], v[164:165], -v[72:73]
	v_add_f64 v[166:167], v[166:167], -v[168:169]
	v_mov_b64_e32 v[72:73], v[178:179]
.LBB82_482:
	s_or_b64 exec, exec, s[0:1]
	v_lshl_add_u32 v168, v181, 4, v180
	s_barrier
	s_waitcnt vmcnt(18)
	ds_write2_b64 v168, v[68:69], v[70:71] offset1:1
	s_waitcnt lgkmcnt(0)
	s_barrier
	ds_read2_b64 v[168:171], v180 offset0:46 offset1:47
	s_cmp_lt_i32 s20, 25
	v_mov_b32_e32 v178, 23
	s_cbranch_scc1 .LBB82_485
; %bb.483:
	v_add_u32_e32 v179, 0x180, v180
	s_mov_b32 s16, 24
	v_mov_b32_e32 v178, 23
.LBB82_484:                             ; =>This Inner Loop Header: Depth=1
	ds_read2_b64 v[184:187], v179 offset1:1
	s_waitcnt lgkmcnt(1)
	v_xor_b32_e32 v189, 0x80000000, v169
	v_xor_b32_e32 v191, 0x80000000, v171
	v_cmp_gt_f64_e32 vcc, 0, v[170:171]
	v_cmp_gt_f64_e64 s[0:1], 0, v[168:169]
	v_mov_b32_e32 v188, v168
	v_mov_b32_e32 v190, v170
	v_cndmask_b32_e64 v189, v169, v189, s[0:1]
	v_cndmask_b32_e32 v191, v171, v191, vcc
	v_add_f64 v[188:189], v[188:189], v[190:191]
	s_waitcnt lgkmcnt(0)
	v_xor_b32_e32 v191, 0x80000000, v185
	v_xor_b32_e32 v193, 0x80000000, v187
	v_cmp_gt_f64_e32 vcc, 0, v[186:187]
	v_cmp_gt_f64_e64 s[0:1], 0, v[184:185]
	v_mov_b32_e32 v190, v184
	v_mov_b32_e32 v192, v186
	v_cndmask_b32_e64 v191, v185, v191, s[0:1]
	v_cndmask_b32_e32 v193, v187, v193, vcc
	v_add_f64 v[190:191], v[190:191], v[192:193]
	v_mov_b32_e32 v194, s16
	s_add_i32 s16, s16, 1
	v_cmp_lt_f64_e32 vcc, v[188:189], v[190:191]
	v_add_u32_e32 v179, 16, v179
	s_cmp_lg_u32 s20, s16
	v_cndmask_b32_e32 v169, v169, v185, vcc
	v_cndmask_b32_e32 v168, v168, v184, vcc
	v_cndmask_b32_e32 v171, v171, v187, vcc
	v_cndmask_b32_e32 v170, v170, v186, vcc
	v_cndmask_b32_e32 v178, v178, v194, vcc
	s_cbranch_scc1 .LBB82_484
.LBB82_485:
	s_waitcnt lgkmcnt(0)
	v_cmp_eq_f64_e32 vcc, 0, v[168:169]
	v_cmp_eq_f64_e64 s[0:1], 0, v[170:171]
	s_and_b64 s[0:1], vcc, s[0:1]
	s_and_saveexec_b64 s[16:17], s[0:1]
	s_xor_b64 s[0:1], exec, s[16:17]
; %bb.486:
	v_cmp_ne_u32_e32 vcc, 0, v182
	s_nop 1
	v_cndmask_b32_e32 v182, 24, v182, vcc
; %bb.487:
	s_andn2_saveexec_b64 s[0:1], s[0:1]
	s_cbranch_execz .LBB82_493
; %bb.488:
	v_cmp_ngt_f64_e64 s[16:17], |v[168:169]|, |v[170:171]|
	s_and_saveexec_b64 s[18:19], s[16:17]
	s_xor_b64 s[16:17], exec, s[18:19]
	s_cbranch_execz .LBB82_490
; %bb.489:
	v_div_scale_f64 v[184:185], s[18:19], v[170:171], v[170:171], v[168:169]
	v_rcp_f64_e32 v[186:187], v[184:185]
	v_div_scale_f64 v[188:189], vcc, v[168:169], v[170:171], v[168:169]
	v_fma_f64 v[190:191], -v[184:185], v[186:187], 1.0
	v_fmac_f64_e32 v[186:187], v[186:187], v[190:191]
	v_fma_f64 v[190:191], -v[184:185], v[186:187], 1.0
	v_fmac_f64_e32 v[186:187], v[186:187], v[190:191]
	v_mul_f64 v[190:191], v[188:189], v[186:187]
	v_fma_f64 v[184:185], -v[184:185], v[190:191], v[188:189]
	v_div_fmas_f64 v[184:185], v[184:185], v[186:187], v[190:191]
	v_div_fixup_f64 v[184:185], v[184:185], v[170:171], v[168:169]
	v_fmac_f64_e32 v[170:171], v[168:169], v[184:185]
	v_div_scale_f64 v[168:169], s[18:19], v[170:171], v[170:171], 1.0
	v_rcp_f64_e32 v[186:187], v[168:169]
	s_nop 0
	v_fma_f64 v[188:189], -v[168:169], v[186:187], 1.0
	v_fmac_f64_e32 v[186:187], v[186:187], v[188:189]
	v_fma_f64 v[188:189], -v[168:169], v[186:187], 1.0
	v_fmac_f64_e32 v[186:187], v[186:187], v[188:189]
	v_div_scale_f64 v[188:189], vcc, 1.0, v[170:171], 1.0
	v_mul_f64 v[190:191], v[188:189], v[186:187]
	v_fma_f64 v[168:169], -v[168:169], v[190:191], v[188:189]
	s_nop 1
	v_div_fmas_f64 v[168:169], v[168:169], v[186:187], v[190:191]
	v_div_fixup_f64 v[170:171], v[168:169], v[170:171], 1.0
	v_mul_f64 v[168:169], v[184:185], v[170:171]
	v_xor_b32_e32 v171, 0x80000000, v171
.LBB82_490:
	s_andn2_saveexec_b64 s[16:17], s[16:17]
	s_cbranch_execz .LBB82_492
; %bb.491:
	v_div_scale_f64 v[184:185], s[18:19], v[168:169], v[168:169], v[170:171]
	v_rcp_f64_e32 v[186:187], v[184:185]
	v_div_scale_f64 v[188:189], vcc, v[170:171], v[168:169], v[170:171]
	v_fma_f64 v[190:191], -v[184:185], v[186:187], 1.0
	v_fmac_f64_e32 v[186:187], v[186:187], v[190:191]
	v_fma_f64 v[190:191], -v[184:185], v[186:187], 1.0
	v_fmac_f64_e32 v[186:187], v[186:187], v[190:191]
	v_mul_f64 v[190:191], v[188:189], v[186:187]
	v_fma_f64 v[184:185], -v[184:185], v[190:191], v[188:189]
	v_div_fmas_f64 v[184:185], v[184:185], v[186:187], v[190:191]
	v_div_fixup_f64 v[184:185], v[184:185], v[168:169], v[170:171]
	v_fmac_f64_e32 v[168:169], v[170:171], v[184:185]
	v_div_scale_f64 v[170:171], s[18:19], v[168:169], v[168:169], 1.0
	v_rcp_f64_e32 v[186:187], v[170:171]
	s_nop 0
	v_fma_f64 v[188:189], -v[170:171], v[186:187], 1.0
	v_fmac_f64_e32 v[186:187], v[186:187], v[188:189]
	v_fma_f64 v[188:189], -v[170:171], v[186:187], 1.0
	v_fmac_f64_e32 v[186:187], v[186:187], v[188:189]
	v_div_scale_f64 v[188:189], vcc, 1.0, v[168:169], 1.0
	v_mul_f64 v[190:191], v[188:189], v[186:187]
	v_fma_f64 v[170:171], -v[170:171], v[190:191], v[188:189]
	s_nop 1
	v_div_fmas_f64 v[170:171], v[170:171], v[186:187], v[190:191]
	v_div_fixup_f64 v[168:169], v[170:171], v[168:169], 1.0
	v_mul_f64 v[170:171], v[184:185], -v[168:169]
.LBB82_492:
	s_or_b64 exec, exec, s[16:17]
.LBB82_493:
	s_or_b64 exec, exec, s[0:1]
	v_cmp_ne_u32_e32 vcc, v181, v178
	s_and_saveexec_b64 s[0:1], vcc
	s_xor_b64 s[0:1], exec, s[0:1]
	s_cbranch_execz .LBB82_499
; %bb.494:
	v_cmp_eq_u32_e32 vcc, 23, v181
	s_and_saveexec_b64 s[16:17], vcc
	s_cbranch_execz .LBB82_498
; %bb.495:
	v_cmp_ne_u32_e32 vcc, 23, v178
	s_xor_b64 s[18:19], s[14:15], -1
	s_and_b64 s[22:23], s[18:19], vcc
	s_and_saveexec_b64 s[18:19], s[22:23]
	s_cbranch_execz .LBB82_497
; %bb.496:
	v_ashrrev_i32_e32 v179, 31, v178
	v_lshl_add_u64 v[184:185], v[178:179], 2, v[176:177]
	global_load_dword v179, v[184:185], off
	global_load_dword v181, v[176:177], off offset:92
	s_waitcnt vmcnt(1)
	global_store_dword v[176:177], v179, off offset:92
	s_waitcnt vmcnt(1)
	global_store_dword v[184:185], v181, off
.LBB82_497:
	s_or_b64 exec, exec, s[18:19]
	v_mov_b32_e32 v181, v178
	v_mov_b32_e32 v183, v178
.LBB82_498:
	s_or_b64 exec, exec, s[16:17]
.LBB82_499:
	s_andn2_saveexec_b64 s[0:1], s[0:1]
	s_cbranch_execz .LBB82_501
; %bb.500:
	v_mov_b32_e32 v181, 23
	s_waitcnt vmcnt(17)
	ds_write2_b64 v180, v[64:65], v[66:67] offset0:48 offset1:49
	s_waitcnt vmcnt(16)
	ds_write2_b64 v180, v[60:61], v[62:63] offset0:50 offset1:51
	;; [unrolled: 2-line block ×18, first 2 shown]
.LBB82_501:
	s_or_b64 exec, exec, s[0:1]
	v_cmp_lt_i32_e32 vcc, 23, v181
	s_waitcnt lgkmcnt(0)
	s_barrier
	s_and_saveexec_b64 s[0:1], vcc
	s_cbranch_execz .LBB82_503
; %bb.502:
	ds_read2_b64 v[184:187], v180 offset0:48 offset1:49
	v_mul_f64 v[178:179], v[170:171], v[70:71]
	v_mul_f64 v[70:71], v[168:169], v[70:71]
	v_fma_f64 v[178:179], v[168:169], v[68:69], -v[178:179]
	v_fmac_f64_e32 v[70:71], v[170:171], v[68:69]
	ds_read2_b64 v[168:171], v180 offset0:50 offset1:51
	s_waitcnt lgkmcnt(1)
	v_mul_f64 v[68:69], v[186:187], v[70:71]
	v_fma_f64 v[68:69], v[184:185], v[178:179], -v[68:69]
	v_mul_f64 v[184:185], v[184:185], v[70:71]
	v_fmac_f64_e32 v[184:185], v[186:187], v[178:179]
	s_waitcnt vmcnt(17)
	v_add_f64 v[64:65], v[64:65], -v[68:69]
	s_waitcnt lgkmcnt(0)
	v_mul_f64 v[68:69], v[170:171], v[70:71]
	v_add_f64 v[66:67], v[66:67], -v[184:185]
	v_fma_f64 v[68:69], v[168:169], v[178:179], -v[68:69]
	v_mul_f64 v[168:169], v[168:169], v[70:71]
	ds_read2_b64 v[184:187], v180 offset0:52 offset1:53
	v_fmac_f64_e32 v[168:169], v[170:171], v[178:179]
	s_waitcnt vmcnt(16)
	v_add_f64 v[62:63], v[62:63], -v[168:169]
	ds_read2_b64 v[168:171], v180 offset0:54 offset1:55
	v_add_f64 v[60:61], v[60:61], -v[68:69]
	s_waitcnt lgkmcnt(1)
	v_mul_f64 v[68:69], v[186:187], v[70:71]
	v_fma_f64 v[68:69], v[184:185], v[178:179], -v[68:69]
	v_mul_f64 v[184:185], v[184:185], v[70:71]
	v_fmac_f64_e32 v[184:185], v[186:187], v[178:179]
	s_waitcnt vmcnt(15)
	v_add_f64 v[56:57], v[56:57], -v[68:69]
	s_waitcnt lgkmcnt(0)
	v_mul_f64 v[68:69], v[170:171], v[70:71]
	v_add_f64 v[58:59], v[58:59], -v[184:185]
	v_fma_f64 v[68:69], v[168:169], v[178:179], -v[68:69]
	v_mul_f64 v[168:169], v[168:169], v[70:71]
	ds_read2_b64 v[184:187], v180 offset0:56 offset1:57
	v_fmac_f64_e32 v[168:169], v[170:171], v[178:179]
	s_waitcnt vmcnt(14)
	v_add_f64 v[54:55], v[54:55], -v[168:169]
	ds_read2_b64 v[168:171], v180 offset0:58 offset1:59
	v_add_f64 v[52:53], v[52:53], -v[68:69]
	;; [unrolled: 18-line block ×8, first 2 shown]
	s_waitcnt lgkmcnt(1)
	v_mul_f64 v[68:69], v[186:187], v[70:71]
	v_fma_f64 v[68:69], v[184:185], v[178:179], -v[68:69]
	s_waitcnt vmcnt(1)
	v_add_f64 v[0:1], v[0:1], -v[68:69]
	s_waitcnt lgkmcnt(0)
	v_mul_f64 v[68:69], v[170:171], v[70:71]
	v_mul_f64 v[184:185], v[184:185], v[70:71]
	v_fma_f64 v[68:69], v[168:169], v[178:179], -v[68:69]
	v_mul_f64 v[168:169], v[168:169], v[70:71]
	v_fmac_f64_e32 v[184:185], v[186:187], v[178:179]
	v_fmac_f64_e32 v[168:169], v[170:171], v[178:179]
	v_add_f64 v[2:3], v[2:3], -v[184:185]
	s_waitcnt vmcnt(0)
	v_add_f64 v[164:165], v[164:165], -v[68:69]
	v_add_f64 v[166:167], v[166:167], -v[168:169]
	v_mov_b64_e32 v[68:69], v[178:179]
.LBB82_503:
	s_or_b64 exec, exec, s[0:1]
	v_lshl_add_u32 v168, v181, 4, v180
	s_barrier
	s_waitcnt vmcnt(17)
	ds_write2_b64 v168, v[64:65], v[66:67] offset1:1
	s_waitcnt lgkmcnt(0)
	s_barrier
	ds_read2_b64 v[168:171], v180 offset0:48 offset1:49
	s_cmp_lt_i32 s20, 26
	v_mov_b32_e32 v178, 24
	s_cbranch_scc1 .LBB82_506
; %bb.504:
	v_add_u32_e32 v179, 0x190, v180
	s_mov_b32 s16, 25
	v_mov_b32_e32 v178, 24
.LBB82_505:                             ; =>This Inner Loop Header: Depth=1
	ds_read2_b64 v[184:187], v179 offset1:1
	s_waitcnt lgkmcnt(1)
	v_xor_b32_e32 v189, 0x80000000, v169
	v_xor_b32_e32 v191, 0x80000000, v171
	v_cmp_gt_f64_e32 vcc, 0, v[170:171]
	v_cmp_gt_f64_e64 s[0:1], 0, v[168:169]
	v_mov_b32_e32 v188, v168
	v_mov_b32_e32 v190, v170
	v_cndmask_b32_e64 v189, v169, v189, s[0:1]
	v_cndmask_b32_e32 v191, v171, v191, vcc
	v_add_f64 v[188:189], v[188:189], v[190:191]
	s_waitcnt lgkmcnt(0)
	v_xor_b32_e32 v191, 0x80000000, v185
	v_xor_b32_e32 v193, 0x80000000, v187
	v_cmp_gt_f64_e32 vcc, 0, v[186:187]
	v_cmp_gt_f64_e64 s[0:1], 0, v[184:185]
	v_mov_b32_e32 v190, v184
	v_mov_b32_e32 v192, v186
	v_cndmask_b32_e64 v191, v185, v191, s[0:1]
	v_cndmask_b32_e32 v193, v187, v193, vcc
	v_add_f64 v[190:191], v[190:191], v[192:193]
	v_mov_b32_e32 v194, s16
	s_add_i32 s16, s16, 1
	v_cmp_lt_f64_e32 vcc, v[188:189], v[190:191]
	v_add_u32_e32 v179, 16, v179
	s_cmp_lg_u32 s20, s16
	v_cndmask_b32_e32 v169, v169, v185, vcc
	v_cndmask_b32_e32 v168, v168, v184, vcc
	;; [unrolled: 1-line block ×5, first 2 shown]
	s_cbranch_scc1 .LBB82_505
.LBB82_506:
	s_waitcnt lgkmcnt(0)
	v_cmp_eq_f64_e32 vcc, 0, v[168:169]
	v_cmp_eq_f64_e64 s[0:1], 0, v[170:171]
	s_and_b64 s[0:1], vcc, s[0:1]
	s_and_saveexec_b64 s[16:17], s[0:1]
	s_xor_b64 s[0:1], exec, s[16:17]
; %bb.507:
	v_cmp_ne_u32_e32 vcc, 0, v182
	s_nop 1
	v_cndmask_b32_e32 v182, 25, v182, vcc
; %bb.508:
	s_andn2_saveexec_b64 s[0:1], s[0:1]
	s_cbranch_execz .LBB82_514
; %bb.509:
	v_cmp_ngt_f64_e64 s[16:17], |v[168:169]|, |v[170:171]|
	s_and_saveexec_b64 s[18:19], s[16:17]
	s_xor_b64 s[16:17], exec, s[18:19]
	s_cbranch_execz .LBB82_511
; %bb.510:
	v_div_scale_f64 v[184:185], s[18:19], v[170:171], v[170:171], v[168:169]
	v_rcp_f64_e32 v[186:187], v[184:185]
	v_div_scale_f64 v[188:189], vcc, v[168:169], v[170:171], v[168:169]
	v_fma_f64 v[190:191], -v[184:185], v[186:187], 1.0
	v_fmac_f64_e32 v[186:187], v[186:187], v[190:191]
	v_fma_f64 v[190:191], -v[184:185], v[186:187], 1.0
	v_fmac_f64_e32 v[186:187], v[186:187], v[190:191]
	v_mul_f64 v[190:191], v[188:189], v[186:187]
	v_fma_f64 v[184:185], -v[184:185], v[190:191], v[188:189]
	v_div_fmas_f64 v[184:185], v[184:185], v[186:187], v[190:191]
	v_div_fixup_f64 v[184:185], v[184:185], v[170:171], v[168:169]
	v_fmac_f64_e32 v[170:171], v[168:169], v[184:185]
	v_div_scale_f64 v[168:169], s[18:19], v[170:171], v[170:171], 1.0
	v_rcp_f64_e32 v[186:187], v[168:169]
	s_nop 0
	v_fma_f64 v[188:189], -v[168:169], v[186:187], 1.0
	v_fmac_f64_e32 v[186:187], v[186:187], v[188:189]
	v_fma_f64 v[188:189], -v[168:169], v[186:187], 1.0
	v_fmac_f64_e32 v[186:187], v[186:187], v[188:189]
	v_div_scale_f64 v[188:189], vcc, 1.0, v[170:171], 1.0
	v_mul_f64 v[190:191], v[188:189], v[186:187]
	v_fma_f64 v[168:169], -v[168:169], v[190:191], v[188:189]
	s_nop 1
	v_div_fmas_f64 v[168:169], v[168:169], v[186:187], v[190:191]
	v_div_fixup_f64 v[170:171], v[168:169], v[170:171], 1.0
	v_mul_f64 v[168:169], v[184:185], v[170:171]
	v_xor_b32_e32 v171, 0x80000000, v171
.LBB82_511:
	s_andn2_saveexec_b64 s[16:17], s[16:17]
	s_cbranch_execz .LBB82_513
; %bb.512:
	v_div_scale_f64 v[184:185], s[18:19], v[168:169], v[168:169], v[170:171]
	v_rcp_f64_e32 v[186:187], v[184:185]
	v_div_scale_f64 v[188:189], vcc, v[170:171], v[168:169], v[170:171]
	v_fma_f64 v[190:191], -v[184:185], v[186:187], 1.0
	v_fmac_f64_e32 v[186:187], v[186:187], v[190:191]
	v_fma_f64 v[190:191], -v[184:185], v[186:187], 1.0
	v_fmac_f64_e32 v[186:187], v[186:187], v[190:191]
	v_mul_f64 v[190:191], v[188:189], v[186:187]
	v_fma_f64 v[184:185], -v[184:185], v[190:191], v[188:189]
	v_div_fmas_f64 v[184:185], v[184:185], v[186:187], v[190:191]
	v_div_fixup_f64 v[184:185], v[184:185], v[168:169], v[170:171]
	v_fmac_f64_e32 v[168:169], v[170:171], v[184:185]
	v_div_scale_f64 v[170:171], s[18:19], v[168:169], v[168:169], 1.0
	v_rcp_f64_e32 v[186:187], v[170:171]
	s_nop 0
	v_fma_f64 v[188:189], -v[170:171], v[186:187], 1.0
	v_fmac_f64_e32 v[186:187], v[186:187], v[188:189]
	v_fma_f64 v[188:189], -v[170:171], v[186:187], 1.0
	v_fmac_f64_e32 v[186:187], v[186:187], v[188:189]
	v_div_scale_f64 v[188:189], vcc, 1.0, v[168:169], 1.0
	v_mul_f64 v[190:191], v[188:189], v[186:187]
	v_fma_f64 v[170:171], -v[170:171], v[190:191], v[188:189]
	s_nop 1
	v_div_fmas_f64 v[170:171], v[170:171], v[186:187], v[190:191]
	v_div_fixup_f64 v[168:169], v[170:171], v[168:169], 1.0
	v_mul_f64 v[170:171], v[184:185], -v[168:169]
.LBB82_513:
	s_or_b64 exec, exec, s[16:17]
.LBB82_514:
	s_or_b64 exec, exec, s[0:1]
	v_cmp_ne_u32_e32 vcc, v181, v178
	s_and_saveexec_b64 s[0:1], vcc
	s_xor_b64 s[0:1], exec, s[0:1]
	s_cbranch_execz .LBB82_520
; %bb.515:
	v_cmp_eq_u32_e32 vcc, 24, v181
	s_and_saveexec_b64 s[16:17], vcc
	s_cbranch_execz .LBB82_519
; %bb.516:
	v_cmp_ne_u32_e32 vcc, 24, v178
	s_xor_b64 s[18:19], s[14:15], -1
	s_and_b64 s[22:23], s[18:19], vcc
	s_and_saveexec_b64 s[18:19], s[22:23]
	s_cbranch_execz .LBB82_518
; %bb.517:
	v_ashrrev_i32_e32 v179, 31, v178
	v_lshl_add_u64 v[184:185], v[178:179], 2, v[176:177]
	global_load_dword v179, v[184:185], off
	global_load_dword v181, v[176:177], off offset:96
	s_waitcnt vmcnt(1)
	global_store_dword v[176:177], v179, off offset:96
	s_waitcnt vmcnt(1)
	global_store_dword v[184:185], v181, off
.LBB82_518:
	s_or_b64 exec, exec, s[18:19]
	v_mov_b32_e32 v181, v178
	v_mov_b32_e32 v183, v178
.LBB82_519:
	s_or_b64 exec, exec, s[16:17]
.LBB82_520:
	s_andn2_saveexec_b64 s[0:1], s[0:1]
	s_cbranch_execz .LBB82_522
; %bb.521:
	v_mov_b32_e32 v181, 24
	s_waitcnt vmcnt(16)
	ds_write2_b64 v180, v[60:61], v[62:63] offset0:50 offset1:51
	s_waitcnt vmcnt(15)
	ds_write2_b64 v180, v[56:57], v[58:59] offset0:52 offset1:53
	;; [unrolled: 2-line block ×17, first 2 shown]
.LBB82_522:
	s_or_b64 exec, exec, s[0:1]
	v_cmp_lt_i32_e32 vcc, 24, v181
	s_waitcnt lgkmcnt(0)
	s_barrier
	s_and_saveexec_b64 s[0:1], vcc
	s_cbranch_execz .LBB82_524
; %bb.523:
	ds_read2_b64 v[184:187], v180 offset0:50 offset1:51
	v_mul_f64 v[178:179], v[170:171], v[66:67]
	v_mul_f64 v[66:67], v[168:169], v[66:67]
	v_fmac_f64_e32 v[66:67], v[170:171], v[64:65]
	v_fma_f64 v[178:179], v[168:169], v[64:65], -v[178:179]
	ds_read2_b64 v[168:171], v180 offset0:52 offset1:53
	s_waitcnt lgkmcnt(1)
	v_mul_f64 v[64:65], v[186:187], v[66:67]
	v_fma_f64 v[64:65], v[184:185], v[178:179], -v[64:65]
	v_mul_f64 v[184:185], v[184:185], v[66:67]
	v_fmac_f64_e32 v[184:185], v[186:187], v[178:179]
	s_waitcnt vmcnt(16)
	v_add_f64 v[62:63], v[62:63], -v[184:185]
	ds_read2_b64 v[184:187], v180 offset0:54 offset1:55
	v_add_f64 v[60:61], v[60:61], -v[64:65]
	s_waitcnt lgkmcnt(1)
	v_mul_f64 v[64:65], v[170:171], v[66:67]
	v_fma_f64 v[64:65], v[168:169], v[178:179], -v[64:65]
	v_mul_f64 v[168:169], v[168:169], v[66:67]
	v_fmac_f64_e32 v[168:169], v[170:171], v[178:179]
	s_waitcnt vmcnt(15)
	v_add_f64 v[56:57], v[56:57], -v[64:65]
	v_add_f64 v[58:59], v[58:59], -v[168:169]
	ds_read2_b64 v[168:171], v180 offset0:56 offset1:57
	s_waitcnt lgkmcnt(1)
	v_mul_f64 v[64:65], v[186:187], v[66:67]
	v_fma_f64 v[64:65], v[184:185], v[178:179], -v[64:65]
	v_mul_f64 v[184:185], v[184:185], v[66:67]
	v_fmac_f64_e32 v[184:185], v[186:187], v[178:179]
	s_waitcnt vmcnt(14)
	v_add_f64 v[54:55], v[54:55], -v[184:185]
	ds_read2_b64 v[184:187], v180 offset0:58 offset1:59
	v_add_f64 v[52:53], v[52:53], -v[64:65]
	s_waitcnt lgkmcnt(1)
	v_mul_f64 v[64:65], v[170:171], v[66:67]
	v_fma_f64 v[64:65], v[168:169], v[178:179], -v[64:65]
	v_mul_f64 v[168:169], v[168:169], v[66:67]
	v_fmac_f64_e32 v[168:169], v[170:171], v[178:179]
	s_waitcnt vmcnt(13)
	v_add_f64 v[48:49], v[48:49], -v[64:65]
	v_add_f64 v[50:51], v[50:51], -v[168:169]
	;; [unrolled: 18-line block ×8, first 2 shown]
	s_waitcnt lgkmcnt(0)
	v_mul_f64 v[64:65], v[186:187], v[66:67]
	v_mul_f64 v[168:169], v[184:185], v[66:67]
	v_fma_f64 v[64:65], v[184:185], v[178:179], -v[64:65]
	v_fmac_f64_e32 v[168:169], v[186:187], v[178:179]
	s_waitcnt vmcnt(0)
	v_add_f64 v[164:165], v[164:165], -v[64:65]
	v_add_f64 v[166:167], v[166:167], -v[168:169]
	v_mov_b64_e32 v[64:65], v[178:179]
.LBB82_524:
	s_or_b64 exec, exec, s[0:1]
	v_lshl_add_u32 v168, v181, 4, v180
	s_barrier
	s_waitcnt vmcnt(16)
	ds_write2_b64 v168, v[60:61], v[62:63] offset1:1
	s_waitcnt lgkmcnt(0)
	s_barrier
	ds_read2_b64 v[168:171], v180 offset0:50 offset1:51
	s_cmp_lt_i32 s20, 27
	v_mov_b32_e32 v178, 25
	s_cbranch_scc1 .LBB82_527
; %bb.525:
	v_add_u32_e32 v179, 0x1a0, v180
	s_mov_b32 s16, 26
	v_mov_b32_e32 v178, 25
.LBB82_526:                             ; =>This Inner Loop Header: Depth=1
	ds_read2_b64 v[184:187], v179 offset1:1
	s_waitcnt lgkmcnt(1)
	v_xor_b32_e32 v189, 0x80000000, v169
	v_xor_b32_e32 v191, 0x80000000, v171
	v_cmp_gt_f64_e32 vcc, 0, v[170:171]
	v_cmp_gt_f64_e64 s[0:1], 0, v[168:169]
	v_mov_b32_e32 v188, v168
	v_mov_b32_e32 v190, v170
	v_cndmask_b32_e64 v189, v169, v189, s[0:1]
	v_cndmask_b32_e32 v191, v171, v191, vcc
	v_add_f64 v[188:189], v[188:189], v[190:191]
	s_waitcnt lgkmcnt(0)
	v_xor_b32_e32 v191, 0x80000000, v185
	v_xor_b32_e32 v193, 0x80000000, v187
	v_cmp_gt_f64_e32 vcc, 0, v[186:187]
	v_cmp_gt_f64_e64 s[0:1], 0, v[184:185]
	v_mov_b32_e32 v190, v184
	v_mov_b32_e32 v192, v186
	v_cndmask_b32_e64 v191, v185, v191, s[0:1]
	v_cndmask_b32_e32 v193, v187, v193, vcc
	v_add_f64 v[190:191], v[190:191], v[192:193]
	v_mov_b32_e32 v194, s16
	s_add_i32 s16, s16, 1
	v_cmp_lt_f64_e32 vcc, v[188:189], v[190:191]
	v_add_u32_e32 v179, 16, v179
	s_cmp_lg_u32 s20, s16
	v_cndmask_b32_e32 v169, v169, v185, vcc
	v_cndmask_b32_e32 v168, v168, v184, vcc
	;; [unrolled: 1-line block ×5, first 2 shown]
	s_cbranch_scc1 .LBB82_526
.LBB82_527:
	s_waitcnt lgkmcnt(0)
	v_cmp_eq_f64_e32 vcc, 0, v[168:169]
	v_cmp_eq_f64_e64 s[0:1], 0, v[170:171]
	s_and_b64 s[0:1], vcc, s[0:1]
	s_and_saveexec_b64 s[16:17], s[0:1]
	s_xor_b64 s[0:1], exec, s[16:17]
; %bb.528:
	v_cmp_ne_u32_e32 vcc, 0, v182
	s_nop 1
	v_cndmask_b32_e32 v182, 26, v182, vcc
; %bb.529:
	s_andn2_saveexec_b64 s[0:1], s[0:1]
	s_cbranch_execz .LBB82_535
; %bb.530:
	v_cmp_ngt_f64_e64 s[16:17], |v[168:169]|, |v[170:171]|
	s_and_saveexec_b64 s[18:19], s[16:17]
	s_xor_b64 s[16:17], exec, s[18:19]
	s_cbranch_execz .LBB82_532
; %bb.531:
	v_div_scale_f64 v[184:185], s[18:19], v[170:171], v[170:171], v[168:169]
	v_rcp_f64_e32 v[186:187], v[184:185]
	v_div_scale_f64 v[188:189], vcc, v[168:169], v[170:171], v[168:169]
	v_fma_f64 v[190:191], -v[184:185], v[186:187], 1.0
	v_fmac_f64_e32 v[186:187], v[186:187], v[190:191]
	v_fma_f64 v[190:191], -v[184:185], v[186:187], 1.0
	v_fmac_f64_e32 v[186:187], v[186:187], v[190:191]
	v_mul_f64 v[190:191], v[188:189], v[186:187]
	v_fma_f64 v[184:185], -v[184:185], v[190:191], v[188:189]
	v_div_fmas_f64 v[184:185], v[184:185], v[186:187], v[190:191]
	v_div_fixup_f64 v[184:185], v[184:185], v[170:171], v[168:169]
	v_fmac_f64_e32 v[170:171], v[168:169], v[184:185]
	v_div_scale_f64 v[168:169], s[18:19], v[170:171], v[170:171], 1.0
	v_rcp_f64_e32 v[186:187], v[168:169]
	s_nop 0
	v_fma_f64 v[188:189], -v[168:169], v[186:187], 1.0
	v_fmac_f64_e32 v[186:187], v[186:187], v[188:189]
	v_fma_f64 v[188:189], -v[168:169], v[186:187], 1.0
	v_fmac_f64_e32 v[186:187], v[186:187], v[188:189]
	v_div_scale_f64 v[188:189], vcc, 1.0, v[170:171], 1.0
	v_mul_f64 v[190:191], v[188:189], v[186:187]
	v_fma_f64 v[168:169], -v[168:169], v[190:191], v[188:189]
	s_nop 1
	v_div_fmas_f64 v[168:169], v[168:169], v[186:187], v[190:191]
	v_div_fixup_f64 v[170:171], v[168:169], v[170:171], 1.0
	v_mul_f64 v[168:169], v[184:185], v[170:171]
	v_xor_b32_e32 v171, 0x80000000, v171
.LBB82_532:
	s_andn2_saveexec_b64 s[16:17], s[16:17]
	s_cbranch_execz .LBB82_534
; %bb.533:
	v_div_scale_f64 v[184:185], s[18:19], v[168:169], v[168:169], v[170:171]
	v_rcp_f64_e32 v[186:187], v[184:185]
	v_div_scale_f64 v[188:189], vcc, v[170:171], v[168:169], v[170:171]
	v_fma_f64 v[190:191], -v[184:185], v[186:187], 1.0
	v_fmac_f64_e32 v[186:187], v[186:187], v[190:191]
	v_fma_f64 v[190:191], -v[184:185], v[186:187], 1.0
	v_fmac_f64_e32 v[186:187], v[186:187], v[190:191]
	v_mul_f64 v[190:191], v[188:189], v[186:187]
	v_fma_f64 v[184:185], -v[184:185], v[190:191], v[188:189]
	v_div_fmas_f64 v[184:185], v[184:185], v[186:187], v[190:191]
	v_div_fixup_f64 v[184:185], v[184:185], v[168:169], v[170:171]
	v_fmac_f64_e32 v[168:169], v[170:171], v[184:185]
	v_div_scale_f64 v[170:171], s[18:19], v[168:169], v[168:169], 1.0
	v_rcp_f64_e32 v[186:187], v[170:171]
	s_nop 0
	v_fma_f64 v[188:189], -v[170:171], v[186:187], 1.0
	v_fmac_f64_e32 v[186:187], v[186:187], v[188:189]
	v_fma_f64 v[188:189], -v[170:171], v[186:187], 1.0
	v_fmac_f64_e32 v[186:187], v[186:187], v[188:189]
	v_div_scale_f64 v[188:189], vcc, 1.0, v[168:169], 1.0
	v_mul_f64 v[190:191], v[188:189], v[186:187]
	v_fma_f64 v[170:171], -v[170:171], v[190:191], v[188:189]
	s_nop 1
	v_div_fmas_f64 v[170:171], v[170:171], v[186:187], v[190:191]
	v_div_fixup_f64 v[168:169], v[170:171], v[168:169], 1.0
	v_mul_f64 v[170:171], v[184:185], -v[168:169]
.LBB82_534:
	s_or_b64 exec, exec, s[16:17]
.LBB82_535:
	s_or_b64 exec, exec, s[0:1]
	v_cmp_ne_u32_e32 vcc, v181, v178
	s_and_saveexec_b64 s[0:1], vcc
	s_xor_b64 s[0:1], exec, s[0:1]
	s_cbranch_execz .LBB82_541
; %bb.536:
	v_cmp_eq_u32_e32 vcc, 25, v181
	s_and_saveexec_b64 s[16:17], vcc
	s_cbranch_execz .LBB82_540
; %bb.537:
	v_cmp_ne_u32_e32 vcc, 25, v178
	s_xor_b64 s[18:19], s[14:15], -1
	s_and_b64 s[22:23], s[18:19], vcc
	s_and_saveexec_b64 s[18:19], s[22:23]
	s_cbranch_execz .LBB82_539
; %bb.538:
	v_ashrrev_i32_e32 v179, 31, v178
	v_lshl_add_u64 v[184:185], v[178:179], 2, v[176:177]
	global_load_dword v179, v[184:185], off
	global_load_dword v181, v[176:177], off offset:100
	s_waitcnt vmcnt(1)
	global_store_dword v[176:177], v179, off offset:100
	s_waitcnt vmcnt(1)
	global_store_dword v[184:185], v181, off
.LBB82_539:
	s_or_b64 exec, exec, s[18:19]
	v_mov_b32_e32 v181, v178
	v_mov_b32_e32 v183, v178
.LBB82_540:
	s_or_b64 exec, exec, s[16:17]
.LBB82_541:
	s_andn2_saveexec_b64 s[0:1], s[0:1]
	s_cbranch_execz .LBB82_543
; %bb.542:
	v_mov_b32_e32 v181, 25
	s_waitcnt vmcnt(15)
	ds_write2_b64 v180, v[56:57], v[58:59] offset0:52 offset1:53
	s_waitcnt vmcnt(14)
	ds_write2_b64 v180, v[52:53], v[54:55] offset0:54 offset1:55
	;; [unrolled: 2-line block ×16, first 2 shown]
.LBB82_543:
	s_or_b64 exec, exec, s[0:1]
	v_cmp_lt_i32_e32 vcc, 25, v181
	s_waitcnt lgkmcnt(0)
	s_barrier
	s_and_saveexec_b64 s[0:1], vcc
	s_cbranch_execz .LBB82_545
; %bb.544:
	ds_read2_b64 v[184:187], v180 offset0:52 offset1:53
	v_mul_f64 v[178:179], v[168:169], v[62:63]
	v_mul_f64 v[62:63], v[170:171], v[62:63]
	v_fmac_f64_e32 v[178:179], v[170:171], v[60:61]
	v_fma_f64 v[60:61], v[168:169], v[60:61], -v[62:63]
	ds_read2_b64 v[168:171], v180 offset0:54 offset1:55
	s_waitcnt lgkmcnt(1)
	v_mul_f64 v[62:63], v[186:187], v[178:179]
	v_fma_f64 v[62:63], v[184:185], v[60:61], -v[62:63]
	v_mul_f64 v[184:185], v[184:185], v[178:179]
	v_fmac_f64_e32 v[184:185], v[186:187], v[60:61]
	s_waitcnt vmcnt(15)
	v_add_f64 v[56:57], v[56:57], -v[62:63]
	s_waitcnt lgkmcnt(0)
	v_mul_f64 v[62:63], v[170:171], v[178:179]
	v_add_f64 v[58:59], v[58:59], -v[184:185]
	v_fma_f64 v[62:63], v[168:169], v[60:61], -v[62:63]
	v_mul_f64 v[168:169], v[168:169], v[178:179]
	ds_read2_b64 v[184:187], v180 offset0:56 offset1:57
	v_fmac_f64_e32 v[168:169], v[170:171], v[60:61]
	s_waitcnt vmcnt(14)
	v_add_f64 v[54:55], v[54:55], -v[168:169]
	ds_read2_b64 v[168:171], v180 offset0:58 offset1:59
	v_add_f64 v[52:53], v[52:53], -v[62:63]
	s_waitcnt lgkmcnt(1)
	v_mul_f64 v[62:63], v[186:187], v[178:179]
	v_fma_f64 v[62:63], v[184:185], v[60:61], -v[62:63]
	v_mul_f64 v[184:185], v[184:185], v[178:179]
	v_fmac_f64_e32 v[184:185], v[186:187], v[60:61]
	s_waitcnt vmcnt(13)
	v_add_f64 v[48:49], v[48:49], -v[62:63]
	s_waitcnt lgkmcnt(0)
	v_mul_f64 v[62:63], v[170:171], v[178:179]
	v_add_f64 v[50:51], v[50:51], -v[184:185]
	v_fma_f64 v[62:63], v[168:169], v[60:61], -v[62:63]
	v_mul_f64 v[168:169], v[168:169], v[178:179]
	ds_read2_b64 v[184:187], v180 offset0:60 offset1:61
	v_fmac_f64_e32 v[168:169], v[170:171], v[60:61]
	s_waitcnt vmcnt(12)
	v_add_f64 v[46:47], v[46:47], -v[168:169]
	ds_read2_b64 v[168:171], v180 offset0:62 offset1:63
	v_add_f64 v[44:45], v[44:45], -v[62:63]
	;; [unrolled: 18-line block ×7, first 2 shown]
	s_waitcnt lgkmcnt(1)
	v_mul_f64 v[62:63], v[186:187], v[178:179]
	v_fma_f64 v[62:63], v[184:185], v[60:61], -v[62:63]
	s_waitcnt vmcnt(1)
	v_add_f64 v[0:1], v[0:1], -v[62:63]
	s_waitcnt lgkmcnt(0)
	v_mul_f64 v[62:63], v[170:171], v[178:179]
	v_mul_f64 v[184:185], v[184:185], v[178:179]
	v_fma_f64 v[62:63], v[168:169], v[60:61], -v[62:63]
	v_mul_f64 v[168:169], v[168:169], v[178:179]
	v_fmac_f64_e32 v[184:185], v[186:187], v[60:61]
	v_fmac_f64_e32 v[168:169], v[170:171], v[60:61]
	v_add_f64 v[2:3], v[2:3], -v[184:185]
	s_waitcnt vmcnt(0)
	v_add_f64 v[164:165], v[164:165], -v[62:63]
	v_add_f64 v[166:167], v[166:167], -v[168:169]
	v_mov_b64_e32 v[62:63], v[178:179]
.LBB82_545:
	s_or_b64 exec, exec, s[0:1]
	v_lshl_add_u32 v168, v181, 4, v180
	s_barrier
	s_waitcnt vmcnt(15)
	ds_write2_b64 v168, v[56:57], v[58:59] offset1:1
	s_waitcnt lgkmcnt(0)
	s_barrier
	ds_read2_b64 v[168:171], v180 offset0:52 offset1:53
	s_cmp_lt_i32 s20, 28
	v_mov_b32_e32 v178, 26
	s_cbranch_scc1 .LBB82_548
; %bb.546:
	v_add_u32_e32 v179, 0x1b0, v180
	s_mov_b32 s16, 27
	v_mov_b32_e32 v178, 26
.LBB82_547:                             ; =>This Inner Loop Header: Depth=1
	ds_read2_b64 v[184:187], v179 offset1:1
	s_waitcnt lgkmcnt(1)
	v_xor_b32_e32 v189, 0x80000000, v169
	v_xor_b32_e32 v191, 0x80000000, v171
	v_cmp_gt_f64_e32 vcc, 0, v[170:171]
	v_cmp_gt_f64_e64 s[0:1], 0, v[168:169]
	v_mov_b32_e32 v188, v168
	v_mov_b32_e32 v190, v170
	v_cndmask_b32_e64 v189, v169, v189, s[0:1]
	v_cndmask_b32_e32 v191, v171, v191, vcc
	v_add_f64 v[188:189], v[188:189], v[190:191]
	s_waitcnt lgkmcnt(0)
	v_xor_b32_e32 v191, 0x80000000, v185
	v_xor_b32_e32 v193, 0x80000000, v187
	v_cmp_gt_f64_e32 vcc, 0, v[186:187]
	v_cmp_gt_f64_e64 s[0:1], 0, v[184:185]
	v_mov_b32_e32 v190, v184
	v_mov_b32_e32 v192, v186
	v_cndmask_b32_e64 v191, v185, v191, s[0:1]
	v_cndmask_b32_e32 v193, v187, v193, vcc
	v_add_f64 v[190:191], v[190:191], v[192:193]
	v_mov_b32_e32 v194, s16
	s_add_i32 s16, s16, 1
	v_cmp_lt_f64_e32 vcc, v[188:189], v[190:191]
	v_add_u32_e32 v179, 16, v179
	s_cmp_lg_u32 s20, s16
	v_cndmask_b32_e32 v169, v169, v185, vcc
	v_cndmask_b32_e32 v168, v168, v184, vcc
	v_cndmask_b32_e32 v171, v171, v187, vcc
	v_cndmask_b32_e32 v170, v170, v186, vcc
	v_cndmask_b32_e32 v178, v178, v194, vcc
	s_cbranch_scc1 .LBB82_547
.LBB82_548:
	s_waitcnt lgkmcnt(0)
	v_cmp_eq_f64_e32 vcc, 0, v[168:169]
	v_cmp_eq_f64_e64 s[0:1], 0, v[170:171]
	s_and_b64 s[0:1], vcc, s[0:1]
	s_and_saveexec_b64 s[16:17], s[0:1]
	s_xor_b64 s[0:1], exec, s[16:17]
; %bb.549:
	v_cmp_ne_u32_e32 vcc, 0, v182
	s_nop 1
	v_cndmask_b32_e32 v182, 27, v182, vcc
; %bb.550:
	s_andn2_saveexec_b64 s[0:1], s[0:1]
	s_cbranch_execz .LBB82_556
; %bb.551:
	v_cmp_ngt_f64_e64 s[16:17], |v[168:169]|, |v[170:171]|
	s_and_saveexec_b64 s[18:19], s[16:17]
	s_xor_b64 s[16:17], exec, s[18:19]
	s_cbranch_execz .LBB82_553
; %bb.552:
	v_div_scale_f64 v[184:185], s[18:19], v[170:171], v[170:171], v[168:169]
	v_rcp_f64_e32 v[186:187], v[184:185]
	v_div_scale_f64 v[188:189], vcc, v[168:169], v[170:171], v[168:169]
	v_fma_f64 v[190:191], -v[184:185], v[186:187], 1.0
	v_fmac_f64_e32 v[186:187], v[186:187], v[190:191]
	v_fma_f64 v[190:191], -v[184:185], v[186:187], 1.0
	v_fmac_f64_e32 v[186:187], v[186:187], v[190:191]
	v_mul_f64 v[190:191], v[188:189], v[186:187]
	v_fma_f64 v[184:185], -v[184:185], v[190:191], v[188:189]
	v_div_fmas_f64 v[184:185], v[184:185], v[186:187], v[190:191]
	v_div_fixup_f64 v[184:185], v[184:185], v[170:171], v[168:169]
	v_fmac_f64_e32 v[170:171], v[168:169], v[184:185]
	v_div_scale_f64 v[168:169], s[18:19], v[170:171], v[170:171], 1.0
	v_rcp_f64_e32 v[186:187], v[168:169]
	s_nop 0
	v_fma_f64 v[188:189], -v[168:169], v[186:187], 1.0
	v_fmac_f64_e32 v[186:187], v[186:187], v[188:189]
	v_fma_f64 v[188:189], -v[168:169], v[186:187], 1.0
	v_fmac_f64_e32 v[186:187], v[186:187], v[188:189]
	v_div_scale_f64 v[188:189], vcc, 1.0, v[170:171], 1.0
	v_mul_f64 v[190:191], v[188:189], v[186:187]
	v_fma_f64 v[168:169], -v[168:169], v[190:191], v[188:189]
	s_nop 1
	v_div_fmas_f64 v[168:169], v[168:169], v[186:187], v[190:191]
	v_div_fixup_f64 v[170:171], v[168:169], v[170:171], 1.0
	v_mul_f64 v[168:169], v[184:185], v[170:171]
	v_xor_b32_e32 v171, 0x80000000, v171
.LBB82_553:
	s_andn2_saveexec_b64 s[16:17], s[16:17]
	s_cbranch_execz .LBB82_555
; %bb.554:
	v_div_scale_f64 v[184:185], s[18:19], v[168:169], v[168:169], v[170:171]
	v_rcp_f64_e32 v[186:187], v[184:185]
	v_div_scale_f64 v[188:189], vcc, v[170:171], v[168:169], v[170:171]
	v_fma_f64 v[190:191], -v[184:185], v[186:187], 1.0
	v_fmac_f64_e32 v[186:187], v[186:187], v[190:191]
	v_fma_f64 v[190:191], -v[184:185], v[186:187], 1.0
	v_fmac_f64_e32 v[186:187], v[186:187], v[190:191]
	v_mul_f64 v[190:191], v[188:189], v[186:187]
	v_fma_f64 v[184:185], -v[184:185], v[190:191], v[188:189]
	v_div_fmas_f64 v[184:185], v[184:185], v[186:187], v[190:191]
	v_div_fixup_f64 v[184:185], v[184:185], v[168:169], v[170:171]
	v_fmac_f64_e32 v[168:169], v[170:171], v[184:185]
	v_div_scale_f64 v[170:171], s[18:19], v[168:169], v[168:169], 1.0
	v_rcp_f64_e32 v[186:187], v[170:171]
	s_nop 0
	v_fma_f64 v[188:189], -v[170:171], v[186:187], 1.0
	v_fmac_f64_e32 v[186:187], v[186:187], v[188:189]
	v_fma_f64 v[188:189], -v[170:171], v[186:187], 1.0
	v_fmac_f64_e32 v[186:187], v[186:187], v[188:189]
	v_div_scale_f64 v[188:189], vcc, 1.0, v[168:169], 1.0
	v_mul_f64 v[190:191], v[188:189], v[186:187]
	v_fma_f64 v[170:171], -v[170:171], v[190:191], v[188:189]
	s_nop 1
	v_div_fmas_f64 v[170:171], v[170:171], v[186:187], v[190:191]
	v_div_fixup_f64 v[168:169], v[170:171], v[168:169], 1.0
	v_mul_f64 v[170:171], v[184:185], -v[168:169]
.LBB82_555:
	s_or_b64 exec, exec, s[16:17]
.LBB82_556:
	s_or_b64 exec, exec, s[0:1]
	v_cmp_ne_u32_e32 vcc, v181, v178
	s_and_saveexec_b64 s[0:1], vcc
	s_xor_b64 s[0:1], exec, s[0:1]
	s_cbranch_execz .LBB82_562
; %bb.557:
	v_cmp_eq_u32_e32 vcc, 26, v181
	s_and_saveexec_b64 s[16:17], vcc
	s_cbranch_execz .LBB82_561
; %bb.558:
	v_cmp_ne_u32_e32 vcc, 26, v178
	s_xor_b64 s[18:19], s[14:15], -1
	s_and_b64 s[22:23], s[18:19], vcc
	s_and_saveexec_b64 s[18:19], s[22:23]
	s_cbranch_execz .LBB82_560
; %bb.559:
	v_ashrrev_i32_e32 v179, 31, v178
	v_lshl_add_u64 v[184:185], v[178:179], 2, v[176:177]
	global_load_dword v179, v[184:185], off
	global_load_dword v181, v[176:177], off offset:104
	s_waitcnt vmcnt(1)
	global_store_dword v[176:177], v179, off offset:104
	s_waitcnt vmcnt(1)
	global_store_dword v[184:185], v181, off
.LBB82_560:
	s_or_b64 exec, exec, s[18:19]
	v_mov_b32_e32 v181, v178
	v_mov_b32_e32 v183, v178
.LBB82_561:
	s_or_b64 exec, exec, s[16:17]
.LBB82_562:
	s_andn2_saveexec_b64 s[0:1], s[0:1]
	s_cbranch_execz .LBB82_564
; %bb.563:
	v_mov_b32_e32 v181, 26
	s_waitcnt vmcnt(14)
	ds_write2_b64 v180, v[52:53], v[54:55] offset0:54 offset1:55
	s_waitcnt vmcnt(13)
	ds_write2_b64 v180, v[48:49], v[50:51] offset0:56 offset1:57
	;; [unrolled: 2-line block ×15, first 2 shown]
.LBB82_564:
	s_or_b64 exec, exec, s[0:1]
	v_cmp_lt_i32_e32 vcc, 26, v181
	s_waitcnt lgkmcnt(0)
	s_barrier
	s_and_saveexec_b64 s[0:1], vcc
	s_cbranch_execz .LBB82_566
; %bb.565:
	ds_read2_b64 v[184:187], v180 offset0:54 offset1:55
	v_mul_f64 v[178:179], v[168:169], v[58:59]
	v_fmac_f64_e32 v[178:179], v[170:171], v[56:57]
	v_mul_f64 v[58:59], v[170:171], v[58:59]
	v_fma_f64 v[56:57], v[168:169], v[56:57], -v[58:59]
	ds_read2_b64 v[168:171], v180 offset0:56 offset1:57
	s_waitcnt lgkmcnt(1)
	v_mul_f64 v[58:59], v[186:187], v[178:179]
	v_fma_f64 v[58:59], v[184:185], v[56:57], -v[58:59]
	v_mul_f64 v[184:185], v[184:185], v[178:179]
	v_fmac_f64_e32 v[184:185], v[186:187], v[56:57]
	s_waitcnt vmcnt(14)
	v_add_f64 v[54:55], v[54:55], -v[184:185]
	ds_read2_b64 v[184:187], v180 offset0:58 offset1:59
	v_add_f64 v[52:53], v[52:53], -v[58:59]
	s_waitcnt lgkmcnt(1)
	v_mul_f64 v[58:59], v[170:171], v[178:179]
	v_fma_f64 v[58:59], v[168:169], v[56:57], -v[58:59]
	v_mul_f64 v[168:169], v[168:169], v[178:179]
	v_fmac_f64_e32 v[168:169], v[170:171], v[56:57]
	s_waitcnt vmcnt(13)
	v_add_f64 v[48:49], v[48:49], -v[58:59]
	v_add_f64 v[50:51], v[50:51], -v[168:169]
	ds_read2_b64 v[168:171], v180 offset0:60 offset1:61
	s_waitcnt lgkmcnt(1)
	v_mul_f64 v[58:59], v[186:187], v[178:179]
	v_fma_f64 v[58:59], v[184:185], v[56:57], -v[58:59]
	v_mul_f64 v[184:185], v[184:185], v[178:179]
	v_fmac_f64_e32 v[184:185], v[186:187], v[56:57]
	s_waitcnt vmcnt(12)
	v_add_f64 v[46:47], v[46:47], -v[184:185]
	ds_read2_b64 v[184:187], v180 offset0:62 offset1:63
	v_add_f64 v[44:45], v[44:45], -v[58:59]
	s_waitcnt lgkmcnt(1)
	v_mul_f64 v[58:59], v[170:171], v[178:179]
	v_fma_f64 v[58:59], v[168:169], v[56:57], -v[58:59]
	v_mul_f64 v[168:169], v[168:169], v[178:179]
	v_fmac_f64_e32 v[168:169], v[170:171], v[56:57]
	s_waitcnt vmcnt(11)
	v_add_f64 v[40:41], v[40:41], -v[58:59]
	v_add_f64 v[42:43], v[42:43], -v[168:169]
	;; [unrolled: 18-line block ×7, first 2 shown]
	s_waitcnt lgkmcnt(0)
	v_mul_f64 v[58:59], v[186:187], v[178:179]
	v_mul_f64 v[168:169], v[184:185], v[178:179]
	v_fma_f64 v[58:59], v[184:185], v[56:57], -v[58:59]
	v_fmac_f64_e32 v[168:169], v[186:187], v[56:57]
	s_waitcnt vmcnt(0)
	v_add_f64 v[164:165], v[164:165], -v[58:59]
	v_add_f64 v[166:167], v[166:167], -v[168:169]
	v_mov_b64_e32 v[58:59], v[178:179]
.LBB82_566:
	s_or_b64 exec, exec, s[0:1]
	v_lshl_add_u32 v168, v181, 4, v180
	s_barrier
	s_waitcnt vmcnt(14)
	ds_write2_b64 v168, v[52:53], v[54:55] offset1:1
	s_waitcnt lgkmcnt(0)
	s_barrier
	ds_read2_b64 v[168:171], v180 offset0:54 offset1:55
	s_cmp_lt_i32 s20, 29
	v_mov_b32_e32 v178, 27
	s_cbranch_scc1 .LBB82_569
; %bb.567:
	v_add_u32_e32 v179, 0x1c0, v180
	s_mov_b32 s16, 28
	v_mov_b32_e32 v178, 27
.LBB82_568:                             ; =>This Inner Loop Header: Depth=1
	ds_read2_b64 v[184:187], v179 offset1:1
	s_waitcnt lgkmcnt(1)
	v_xor_b32_e32 v189, 0x80000000, v169
	v_xor_b32_e32 v191, 0x80000000, v171
	v_cmp_gt_f64_e32 vcc, 0, v[170:171]
	v_cmp_gt_f64_e64 s[0:1], 0, v[168:169]
	v_mov_b32_e32 v188, v168
	v_mov_b32_e32 v190, v170
	v_cndmask_b32_e64 v189, v169, v189, s[0:1]
	v_cndmask_b32_e32 v191, v171, v191, vcc
	v_add_f64 v[188:189], v[188:189], v[190:191]
	s_waitcnt lgkmcnt(0)
	v_xor_b32_e32 v191, 0x80000000, v185
	v_xor_b32_e32 v193, 0x80000000, v187
	v_cmp_gt_f64_e32 vcc, 0, v[186:187]
	v_cmp_gt_f64_e64 s[0:1], 0, v[184:185]
	v_mov_b32_e32 v190, v184
	v_mov_b32_e32 v192, v186
	v_cndmask_b32_e64 v191, v185, v191, s[0:1]
	v_cndmask_b32_e32 v193, v187, v193, vcc
	v_add_f64 v[190:191], v[190:191], v[192:193]
	v_mov_b32_e32 v194, s16
	s_add_i32 s16, s16, 1
	v_cmp_lt_f64_e32 vcc, v[188:189], v[190:191]
	v_add_u32_e32 v179, 16, v179
	s_cmp_lg_u32 s20, s16
	v_cndmask_b32_e32 v169, v169, v185, vcc
	v_cndmask_b32_e32 v168, v168, v184, vcc
	;; [unrolled: 1-line block ×5, first 2 shown]
	s_cbranch_scc1 .LBB82_568
.LBB82_569:
	s_waitcnt lgkmcnt(0)
	v_cmp_eq_f64_e32 vcc, 0, v[168:169]
	v_cmp_eq_f64_e64 s[0:1], 0, v[170:171]
	s_and_b64 s[0:1], vcc, s[0:1]
	s_and_saveexec_b64 s[16:17], s[0:1]
	s_xor_b64 s[0:1], exec, s[16:17]
; %bb.570:
	v_cmp_ne_u32_e32 vcc, 0, v182
	s_nop 1
	v_cndmask_b32_e32 v182, 28, v182, vcc
; %bb.571:
	s_andn2_saveexec_b64 s[0:1], s[0:1]
	s_cbranch_execz .LBB82_577
; %bb.572:
	v_cmp_ngt_f64_e64 s[16:17], |v[168:169]|, |v[170:171]|
	s_and_saveexec_b64 s[18:19], s[16:17]
	s_xor_b64 s[16:17], exec, s[18:19]
	s_cbranch_execz .LBB82_574
; %bb.573:
	v_div_scale_f64 v[184:185], s[18:19], v[170:171], v[170:171], v[168:169]
	v_rcp_f64_e32 v[186:187], v[184:185]
	v_div_scale_f64 v[188:189], vcc, v[168:169], v[170:171], v[168:169]
	v_fma_f64 v[190:191], -v[184:185], v[186:187], 1.0
	v_fmac_f64_e32 v[186:187], v[186:187], v[190:191]
	v_fma_f64 v[190:191], -v[184:185], v[186:187], 1.0
	v_fmac_f64_e32 v[186:187], v[186:187], v[190:191]
	v_mul_f64 v[190:191], v[188:189], v[186:187]
	v_fma_f64 v[184:185], -v[184:185], v[190:191], v[188:189]
	v_div_fmas_f64 v[184:185], v[184:185], v[186:187], v[190:191]
	v_div_fixup_f64 v[184:185], v[184:185], v[170:171], v[168:169]
	v_fmac_f64_e32 v[170:171], v[168:169], v[184:185]
	v_div_scale_f64 v[168:169], s[18:19], v[170:171], v[170:171], 1.0
	v_rcp_f64_e32 v[186:187], v[168:169]
	s_nop 0
	v_fma_f64 v[188:189], -v[168:169], v[186:187], 1.0
	v_fmac_f64_e32 v[186:187], v[186:187], v[188:189]
	v_fma_f64 v[188:189], -v[168:169], v[186:187], 1.0
	v_fmac_f64_e32 v[186:187], v[186:187], v[188:189]
	v_div_scale_f64 v[188:189], vcc, 1.0, v[170:171], 1.0
	v_mul_f64 v[190:191], v[188:189], v[186:187]
	v_fma_f64 v[168:169], -v[168:169], v[190:191], v[188:189]
	s_nop 1
	v_div_fmas_f64 v[168:169], v[168:169], v[186:187], v[190:191]
	v_div_fixup_f64 v[170:171], v[168:169], v[170:171], 1.0
	v_mul_f64 v[168:169], v[184:185], v[170:171]
	v_xor_b32_e32 v171, 0x80000000, v171
.LBB82_574:
	s_andn2_saveexec_b64 s[16:17], s[16:17]
	s_cbranch_execz .LBB82_576
; %bb.575:
	v_div_scale_f64 v[184:185], s[18:19], v[168:169], v[168:169], v[170:171]
	v_rcp_f64_e32 v[186:187], v[184:185]
	v_div_scale_f64 v[188:189], vcc, v[170:171], v[168:169], v[170:171]
	v_fma_f64 v[190:191], -v[184:185], v[186:187], 1.0
	v_fmac_f64_e32 v[186:187], v[186:187], v[190:191]
	v_fma_f64 v[190:191], -v[184:185], v[186:187], 1.0
	v_fmac_f64_e32 v[186:187], v[186:187], v[190:191]
	v_mul_f64 v[190:191], v[188:189], v[186:187]
	v_fma_f64 v[184:185], -v[184:185], v[190:191], v[188:189]
	v_div_fmas_f64 v[184:185], v[184:185], v[186:187], v[190:191]
	v_div_fixup_f64 v[184:185], v[184:185], v[168:169], v[170:171]
	v_fmac_f64_e32 v[168:169], v[170:171], v[184:185]
	v_div_scale_f64 v[170:171], s[18:19], v[168:169], v[168:169], 1.0
	v_rcp_f64_e32 v[186:187], v[170:171]
	s_nop 0
	v_fma_f64 v[188:189], -v[170:171], v[186:187], 1.0
	v_fmac_f64_e32 v[186:187], v[186:187], v[188:189]
	v_fma_f64 v[188:189], -v[170:171], v[186:187], 1.0
	v_fmac_f64_e32 v[186:187], v[186:187], v[188:189]
	v_div_scale_f64 v[188:189], vcc, 1.0, v[168:169], 1.0
	v_mul_f64 v[190:191], v[188:189], v[186:187]
	v_fma_f64 v[170:171], -v[170:171], v[190:191], v[188:189]
	s_nop 1
	v_div_fmas_f64 v[170:171], v[170:171], v[186:187], v[190:191]
	v_div_fixup_f64 v[168:169], v[170:171], v[168:169], 1.0
	v_mul_f64 v[170:171], v[184:185], -v[168:169]
.LBB82_576:
	s_or_b64 exec, exec, s[16:17]
.LBB82_577:
	s_or_b64 exec, exec, s[0:1]
	v_cmp_ne_u32_e32 vcc, v181, v178
	s_and_saveexec_b64 s[0:1], vcc
	s_xor_b64 s[0:1], exec, s[0:1]
	s_cbranch_execz .LBB82_583
; %bb.578:
	v_cmp_eq_u32_e32 vcc, 27, v181
	s_and_saveexec_b64 s[16:17], vcc
	s_cbranch_execz .LBB82_582
; %bb.579:
	v_cmp_ne_u32_e32 vcc, 27, v178
	s_xor_b64 s[18:19], s[14:15], -1
	s_and_b64 s[22:23], s[18:19], vcc
	s_and_saveexec_b64 s[18:19], s[22:23]
	s_cbranch_execz .LBB82_581
; %bb.580:
	v_ashrrev_i32_e32 v179, 31, v178
	v_lshl_add_u64 v[184:185], v[178:179], 2, v[176:177]
	global_load_dword v179, v[184:185], off
	global_load_dword v181, v[176:177], off offset:108
	s_waitcnt vmcnt(1)
	global_store_dword v[176:177], v179, off offset:108
	s_waitcnt vmcnt(1)
	global_store_dword v[184:185], v181, off
.LBB82_581:
	s_or_b64 exec, exec, s[18:19]
	v_mov_b32_e32 v181, v178
	v_mov_b32_e32 v183, v178
.LBB82_582:
	s_or_b64 exec, exec, s[16:17]
.LBB82_583:
	s_andn2_saveexec_b64 s[0:1], s[0:1]
	s_cbranch_execz .LBB82_585
; %bb.584:
	v_mov_b32_e32 v181, 27
	s_waitcnt vmcnt(13)
	ds_write2_b64 v180, v[48:49], v[50:51] offset0:56 offset1:57
	s_waitcnt vmcnt(12)
	ds_write2_b64 v180, v[44:45], v[46:47] offset0:58 offset1:59
	;; [unrolled: 2-line block ×14, first 2 shown]
.LBB82_585:
	s_or_b64 exec, exec, s[0:1]
	v_cmp_lt_i32_e32 vcc, 27, v181
	s_waitcnt lgkmcnt(0)
	s_barrier
	s_and_saveexec_b64 s[0:1], vcc
	s_cbranch_execz .LBB82_587
; %bb.586:
	ds_read2_b64 v[184:187], v180 offset0:56 offset1:57
	v_mul_f64 v[178:179], v[168:169], v[54:55]
	v_mul_f64 v[54:55], v[170:171], v[54:55]
	v_fmac_f64_e32 v[178:179], v[170:171], v[52:53]
	v_fma_f64 v[52:53], v[168:169], v[52:53], -v[54:55]
	ds_read2_b64 v[168:171], v180 offset0:58 offset1:59
	s_waitcnt lgkmcnt(1)
	v_mul_f64 v[54:55], v[186:187], v[178:179]
	v_fma_f64 v[54:55], v[184:185], v[52:53], -v[54:55]
	v_mul_f64 v[184:185], v[184:185], v[178:179]
	v_fmac_f64_e32 v[184:185], v[186:187], v[52:53]
	s_waitcnt vmcnt(13)
	v_add_f64 v[48:49], v[48:49], -v[54:55]
	s_waitcnt lgkmcnt(0)
	v_mul_f64 v[54:55], v[170:171], v[178:179]
	v_add_f64 v[50:51], v[50:51], -v[184:185]
	v_fma_f64 v[54:55], v[168:169], v[52:53], -v[54:55]
	v_mul_f64 v[168:169], v[168:169], v[178:179]
	ds_read2_b64 v[184:187], v180 offset0:60 offset1:61
	v_fmac_f64_e32 v[168:169], v[170:171], v[52:53]
	s_waitcnt vmcnt(12)
	v_add_f64 v[46:47], v[46:47], -v[168:169]
	ds_read2_b64 v[168:171], v180 offset0:62 offset1:63
	v_add_f64 v[44:45], v[44:45], -v[54:55]
	s_waitcnt lgkmcnt(1)
	v_mul_f64 v[54:55], v[186:187], v[178:179]
	v_fma_f64 v[54:55], v[184:185], v[52:53], -v[54:55]
	v_mul_f64 v[184:185], v[184:185], v[178:179]
	v_fmac_f64_e32 v[184:185], v[186:187], v[52:53]
	s_waitcnt vmcnt(11)
	v_add_f64 v[40:41], v[40:41], -v[54:55]
	s_waitcnt lgkmcnt(0)
	v_mul_f64 v[54:55], v[170:171], v[178:179]
	v_add_f64 v[42:43], v[42:43], -v[184:185]
	v_fma_f64 v[54:55], v[168:169], v[52:53], -v[54:55]
	v_mul_f64 v[168:169], v[168:169], v[178:179]
	ds_read2_b64 v[184:187], v180 offset0:64 offset1:65
	v_fmac_f64_e32 v[168:169], v[170:171], v[52:53]
	s_waitcnt vmcnt(10)
	v_add_f64 v[38:39], v[38:39], -v[168:169]
	ds_read2_b64 v[168:171], v180 offset0:66 offset1:67
	v_add_f64 v[36:37], v[36:37], -v[54:55]
	;; [unrolled: 18-line block ×6, first 2 shown]
	s_waitcnt lgkmcnt(1)
	v_mul_f64 v[54:55], v[186:187], v[178:179]
	v_fma_f64 v[54:55], v[184:185], v[52:53], -v[54:55]
	s_waitcnt vmcnt(1)
	v_add_f64 v[0:1], v[0:1], -v[54:55]
	s_waitcnt lgkmcnt(0)
	v_mul_f64 v[54:55], v[170:171], v[178:179]
	v_mul_f64 v[184:185], v[184:185], v[178:179]
	v_fma_f64 v[54:55], v[168:169], v[52:53], -v[54:55]
	v_mul_f64 v[168:169], v[168:169], v[178:179]
	v_fmac_f64_e32 v[184:185], v[186:187], v[52:53]
	v_fmac_f64_e32 v[168:169], v[170:171], v[52:53]
	v_add_f64 v[2:3], v[2:3], -v[184:185]
	s_waitcnt vmcnt(0)
	v_add_f64 v[164:165], v[164:165], -v[54:55]
	v_add_f64 v[166:167], v[166:167], -v[168:169]
	v_mov_b64_e32 v[54:55], v[178:179]
.LBB82_587:
	s_or_b64 exec, exec, s[0:1]
	v_lshl_add_u32 v168, v181, 4, v180
	s_barrier
	s_waitcnt vmcnt(13)
	ds_write2_b64 v168, v[48:49], v[50:51] offset1:1
	s_waitcnt lgkmcnt(0)
	s_barrier
	ds_read2_b64 v[168:171], v180 offset0:56 offset1:57
	s_cmp_lt_i32 s20, 30
	v_mov_b32_e32 v178, 28
	s_cbranch_scc1 .LBB82_590
; %bb.588:
	v_add_u32_e32 v179, 0x1d0, v180
	s_mov_b32 s16, 29
	v_mov_b32_e32 v178, 28
.LBB82_589:                             ; =>This Inner Loop Header: Depth=1
	ds_read2_b64 v[184:187], v179 offset1:1
	s_waitcnt lgkmcnt(1)
	v_xor_b32_e32 v189, 0x80000000, v169
	v_xor_b32_e32 v191, 0x80000000, v171
	v_cmp_gt_f64_e32 vcc, 0, v[170:171]
	v_cmp_gt_f64_e64 s[0:1], 0, v[168:169]
	v_mov_b32_e32 v188, v168
	v_mov_b32_e32 v190, v170
	v_cndmask_b32_e64 v189, v169, v189, s[0:1]
	v_cndmask_b32_e32 v191, v171, v191, vcc
	v_add_f64 v[188:189], v[188:189], v[190:191]
	s_waitcnt lgkmcnt(0)
	v_xor_b32_e32 v191, 0x80000000, v185
	v_xor_b32_e32 v193, 0x80000000, v187
	v_cmp_gt_f64_e32 vcc, 0, v[186:187]
	v_cmp_gt_f64_e64 s[0:1], 0, v[184:185]
	v_mov_b32_e32 v190, v184
	v_mov_b32_e32 v192, v186
	v_cndmask_b32_e64 v191, v185, v191, s[0:1]
	v_cndmask_b32_e32 v193, v187, v193, vcc
	v_add_f64 v[190:191], v[190:191], v[192:193]
	v_mov_b32_e32 v194, s16
	s_add_i32 s16, s16, 1
	v_cmp_lt_f64_e32 vcc, v[188:189], v[190:191]
	v_add_u32_e32 v179, 16, v179
	s_cmp_lg_u32 s20, s16
	v_cndmask_b32_e32 v169, v169, v185, vcc
	v_cndmask_b32_e32 v168, v168, v184, vcc
	;; [unrolled: 1-line block ×5, first 2 shown]
	s_cbranch_scc1 .LBB82_589
.LBB82_590:
	s_waitcnt lgkmcnt(0)
	v_cmp_eq_f64_e32 vcc, 0, v[168:169]
	v_cmp_eq_f64_e64 s[0:1], 0, v[170:171]
	s_and_b64 s[0:1], vcc, s[0:1]
	s_and_saveexec_b64 s[16:17], s[0:1]
	s_xor_b64 s[0:1], exec, s[16:17]
; %bb.591:
	v_cmp_ne_u32_e32 vcc, 0, v182
	s_nop 1
	v_cndmask_b32_e32 v182, 29, v182, vcc
; %bb.592:
	s_andn2_saveexec_b64 s[0:1], s[0:1]
	s_cbranch_execz .LBB82_598
; %bb.593:
	v_cmp_ngt_f64_e64 s[16:17], |v[168:169]|, |v[170:171]|
	s_and_saveexec_b64 s[18:19], s[16:17]
	s_xor_b64 s[16:17], exec, s[18:19]
	s_cbranch_execz .LBB82_595
; %bb.594:
	v_div_scale_f64 v[184:185], s[18:19], v[170:171], v[170:171], v[168:169]
	v_rcp_f64_e32 v[186:187], v[184:185]
	v_div_scale_f64 v[188:189], vcc, v[168:169], v[170:171], v[168:169]
	v_fma_f64 v[190:191], -v[184:185], v[186:187], 1.0
	v_fmac_f64_e32 v[186:187], v[186:187], v[190:191]
	v_fma_f64 v[190:191], -v[184:185], v[186:187], 1.0
	v_fmac_f64_e32 v[186:187], v[186:187], v[190:191]
	v_mul_f64 v[190:191], v[188:189], v[186:187]
	v_fma_f64 v[184:185], -v[184:185], v[190:191], v[188:189]
	v_div_fmas_f64 v[184:185], v[184:185], v[186:187], v[190:191]
	v_div_fixup_f64 v[184:185], v[184:185], v[170:171], v[168:169]
	v_fmac_f64_e32 v[170:171], v[168:169], v[184:185]
	v_div_scale_f64 v[168:169], s[18:19], v[170:171], v[170:171], 1.0
	v_rcp_f64_e32 v[186:187], v[168:169]
	s_nop 0
	v_fma_f64 v[188:189], -v[168:169], v[186:187], 1.0
	v_fmac_f64_e32 v[186:187], v[186:187], v[188:189]
	v_fma_f64 v[188:189], -v[168:169], v[186:187], 1.0
	v_fmac_f64_e32 v[186:187], v[186:187], v[188:189]
	v_div_scale_f64 v[188:189], vcc, 1.0, v[170:171], 1.0
	v_mul_f64 v[190:191], v[188:189], v[186:187]
	v_fma_f64 v[168:169], -v[168:169], v[190:191], v[188:189]
	s_nop 1
	v_div_fmas_f64 v[168:169], v[168:169], v[186:187], v[190:191]
	v_div_fixup_f64 v[170:171], v[168:169], v[170:171], 1.0
	v_mul_f64 v[168:169], v[184:185], v[170:171]
	v_xor_b32_e32 v171, 0x80000000, v171
.LBB82_595:
	s_andn2_saveexec_b64 s[16:17], s[16:17]
	s_cbranch_execz .LBB82_597
; %bb.596:
	v_div_scale_f64 v[184:185], s[18:19], v[168:169], v[168:169], v[170:171]
	v_rcp_f64_e32 v[186:187], v[184:185]
	v_div_scale_f64 v[188:189], vcc, v[170:171], v[168:169], v[170:171]
	v_fma_f64 v[190:191], -v[184:185], v[186:187], 1.0
	v_fmac_f64_e32 v[186:187], v[186:187], v[190:191]
	v_fma_f64 v[190:191], -v[184:185], v[186:187], 1.0
	v_fmac_f64_e32 v[186:187], v[186:187], v[190:191]
	v_mul_f64 v[190:191], v[188:189], v[186:187]
	v_fma_f64 v[184:185], -v[184:185], v[190:191], v[188:189]
	v_div_fmas_f64 v[184:185], v[184:185], v[186:187], v[190:191]
	v_div_fixup_f64 v[184:185], v[184:185], v[168:169], v[170:171]
	v_fmac_f64_e32 v[168:169], v[170:171], v[184:185]
	v_div_scale_f64 v[170:171], s[18:19], v[168:169], v[168:169], 1.0
	v_rcp_f64_e32 v[186:187], v[170:171]
	s_nop 0
	v_fma_f64 v[188:189], -v[170:171], v[186:187], 1.0
	v_fmac_f64_e32 v[186:187], v[186:187], v[188:189]
	v_fma_f64 v[188:189], -v[170:171], v[186:187], 1.0
	v_fmac_f64_e32 v[186:187], v[186:187], v[188:189]
	v_div_scale_f64 v[188:189], vcc, 1.0, v[168:169], 1.0
	v_mul_f64 v[190:191], v[188:189], v[186:187]
	v_fma_f64 v[170:171], -v[170:171], v[190:191], v[188:189]
	s_nop 1
	v_div_fmas_f64 v[170:171], v[170:171], v[186:187], v[190:191]
	v_div_fixup_f64 v[168:169], v[170:171], v[168:169], 1.0
	v_mul_f64 v[170:171], v[184:185], -v[168:169]
.LBB82_597:
	s_or_b64 exec, exec, s[16:17]
.LBB82_598:
	s_or_b64 exec, exec, s[0:1]
	v_cmp_ne_u32_e32 vcc, v181, v178
	s_and_saveexec_b64 s[0:1], vcc
	s_xor_b64 s[0:1], exec, s[0:1]
	s_cbranch_execz .LBB82_604
; %bb.599:
	v_cmp_eq_u32_e32 vcc, 28, v181
	s_and_saveexec_b64 s[16:17], vcc
	s_cbranch_execz .LBB82_603
; %bb.600:
	v_cmp_ne_u32_e32 vcc, 28, v178
	s_xor_b64 s[18:19], s[14:15], -1
	s_and_b64 s[22:23], s[18:19], vcc
	s_and_saveexec_b64 s[18:19], s[22:23]
	s_cbranch_execz .LBB82_602
; %bb.601:
	v_ashrrev_i32_e32 v179, 31, v178
	v_lshl_add_u64 v[184:185], v[178:179], 2, v[176:177]
	global_load_dword v179, v[184:185], off
	global_load_dword v181, v[176:177], off offset:112
	s_waitcnt vmcnt(1)
	global_store_dword v[176:177], v179, off offset:112
	s_waitcnt vmcnt(1)
	global_store_dword v[184:185], v181, off
.LBB82_602:
	s_or_b64 exec, exec, s[18:19]
	v_mov_b32_e32 v181, v178
	v_mov_b32_e32 v183, v178
.LBB82_603:
	s_or_b64 exec, exec, s[16:17]
.LBB82_604:
	s_andn2_saveexec_b64 s[0:1], s[0:1]
	s_cbranch_execz .LBB82_606
; %bb.605:
	v_mov_b32_e32 v181, 28
	s_waitcnt vmcnt(12)
	ds_write2_b64 v180, v[44:45], v[46:47] offset0:58 offset1:59
	s_waitcnt vmcnt(11)
	ds_write2_b64 v180, v[40:41], v[42:43] offset0:60 offset1:61
	;; [unrolled: 2-line block ×13, first 2 shown]
.LBB82_606:
	s_or_b64 exec, exec, s[0:1]
	v_cmp_lt_i32_e32 vcc, 28, v181
	s_waitcnt lgkmcnt(0)
	s_barrier
	s_and_saveexec_b64 s[0:1], vcc
	s_cbranch_execz .LBB82_608
; %bb.607:
	ds_read2_b64 v[184:187], v180 offset0:58 offset1:59
	v_mul_f64 v[178:179], v[168:169], v[50:51]
	v_fmac_f64_e32 v[178:179], v[170:171], v[48:49]
	v_mul_f64 v[50:51], v[170:171], v[50:51]
	v_fma_f64 v[48:49], v[168:169], v[48:49], -v[50:51]
	ds_read2_b64 v[168:171], v180 offset0:60 offset1:61
	s_waitcnt lgkmcnt(1)
	v_mul_f64 v[50:51], v[186:187], v[178:179]
	v_fma_f64 v[50:51], v[184:185], v[48:49], -v[50:51]
	v_mul_f64 v[184:185], v[184:185], v[178:179]
	v_fmac_f64_e32 v[184:185], v[186:187], v[48:49]
	s_waitcnt vmcnt(12)
	v_add_f64 v[46:47], v[46:47], -v[184:185]
	ds_read2_b64 v[184:187], v180 offset0:62 offset1:63
	v_add_f64 v[44:45], v[44:45], -v[50:51]
	s_waitcnt lgkmcnt(1)
	v_mul_f64 v[50:51], v[170:171], v[178:179]
	v_fma_f64 v[50:51], v[168:169], v[48:49], -v[50:51]
	v_mul_f64 v[168:169], v[168:169], v[178:179]
	v_fmac_f64_e32 v[168:169], v[170:171], v[48:49]
	s_waitcnt vmcnt(11)
	v_add_f64 v[40:41], v[40:41], -v[50:51]
	v_add_f64 v[42:43], v[42:43], -v[168:169]
	ds_read2_b64 v[168:171], v180 offset0:64 offset1:65
	s_waitcnt lgkmcnt(1)
	v_mul_f64 v[50:51], v[186:187], v[178:179]
	v_fma_f64 v[50:51], v[184:185], v[48:49], -v[50:51]
	v_mul_f64 v[184:185], v[184:185], v[178:179]
	v_fmac_f64_e32 v[184:185], v[186:187], v[48:49]
	s_waitcnt vmcnt(10)
	v_add_f64 v[38:39], v[38:39], -v[184:185]
	ds_read2_b64 v[184:187], v180 offset0:66 offset1:67
	v_add_f64 v[36:37], v[36:37], -v[50:51]
	s_waitcnt lgkmcnt(1)
	v_mul_f64 v[50:51], v[170:171], v[178:179]
	v_fma_f64 v[50:51], v[168:169], v[48:49], -v[50:51]
	v_mul_f64 v[168:169], v[168:169], v[178:179]
	v_fmac_f64_e32 v[168:169], v[170:171], v[48:49]
	s_waitcnt vmcnt(9)
	v_add_f64 v[32:33], v[32:33], -v[50:51]
	v_add_f64 v[34:35], v[34:35], -v[168:169]
	;; [unrolled: 18-line block ×6, first 2 shown]
	s_waitcnt lgkmcnt(0)
	v_mul_f64 v[50:51], v[186:187], v[178:179]
	v_mul_f64 v[168:169], v[184:185], v[178:179]
	v_fma_f64 v[50:51], v[184:185], v[48:49], -v[50:51]
	v_fmac_f64_e32 v[168:169], v[186:187], v[48:49]
	s_waitcnt vmcnt(0)
	v_add_f64 v[164:165], v[164:165], -v[50:51]
	v_add_f64 v[166:167], v[166:167], -v[168:169]
	v_mov_b64_e32 v[50:51], v[178:179]
.LBB82_608:
	s_or_b64 exec, exec, s[0:1]
	v_lshl_add_u32 v168, v181, 4, v180
	s_barrier
	s_waitcnt vmcnt(12)
	ds_write2_b64 v168, v[44:45], v[46:47] offset1:1
	s_waitcnt lgkmcnt(0)
	s_barrier
	ds_read2_b64 v[168:171], v180 offset0:58 offset1:59
	s_cmp_lt_i32 s20, 31
	v_mov_b32_e32 v178, 29
	s_cbranch_scc1 .LBB82_611
; %bb.609:
	v_add_u32_e32 v179, 0x1e0, v180
	s_mov_b32 s16, 30
	v_mov_b32_e32 v178, 29
.LBB82_610:                             ; =>This Inner Loop Header: Depth=1
	ds_read2_b64 v[184:187], v179 offset1:1
	s_waitcnt lgkmcnt(1)
	v_xor_b32_e32 v189, 0x80000000, v169
	v_xor_b32_e32 v191, 0x80000000, v171
	v_cmp_gt_f64_e32 vcc, 0, v[170:171]
	v_cmp_gt_f64_e64 s[0:1], 0, v[168:169]
	v_mov_b32_e32 v188, v168
	v_mov_b32_e32 v190, v170
	v_cndmask_b32_e64 v189, v169, v189, s[0:1]
	v_cndmask_b32_e32 v191, v171, v191, vcc
	v_add_f64 v[188:189], v[188:189], v[190:191]
	s_waitcnt lgkmcnt(0)
	v_xor_b32_e32 v191, 0x80000000, v185
	v_xor_b32_e32 v193, 0x80000000, v187
	v_cmp_gt_f64_e32 vcc, 0, v[186:187]
	v_cmp_gt_f64_e64 s[0:1], 0, v[184:185]
	v_mov_b32_e32 v190, v184
	v_mov_b32_e32 v192, v186
	v_cndmask_b32_e64 v191, v185, v191, s[0:1]
	v_cndmask_b32_e32 v193, v187, v193, vcc
	v_add_f64 v[190:191], v[190:191], v[192:193]
	v_mov_b32_e32 v194, s16
	s_add_i32 s16, s16, 1
	v_cmp_lt_f64_e32 vcc, v[188:189], v[190:191]
	v_add_u32_e32 v179, 16, v179
	s_cmp_lg_u32 s20, s16
	v_cndmask_b32_e32 v169, v169, v185, vcc
	v_cndmask_b32_e32 v168, v168, v184, vcc
	;; [unrolled: 1-line block ×5, first 2 shown]
	s_cbranch_scc1 .LBB82_610
.LBB82_611:
	s_waitcnt lgkmcnt(0)
	v_cmp_eq_f64_e32 vcc, 0, v[168:169]
	v_cmp_eq_f64_e64 s[0:1], 0, v[170:171]
	s_and_b64 s[0:1], vcc, s[0:1]
	s_and_saveexec_b64 s[16:17], s[0:1]
	s_xor_b64 s[0:1], exec, s[16:17]
; %bb.612:
	v_cmp_ne_u32_e32 vcc, 0, v182
	s_nop 1
	v_cndmask_b32_e32 v182, 30, v182, vcc
; %bb.613:
	s_andn2_saveexec_b64 s[0:1], s[0:1]
	s_cbranch_execz .LBB82_619
; %bb.614:
	v_cmp_ngt_f64_e64 s[16:17], |v[168:169]|, |v[170:171]|
	s_and_saveexec_b64 s[18:19], s[16:17]
	s_xor_b64 s[16:17], exec, s[18:19]
	s_cbranch_execz .LBB82_616
; %bb.615:
	v_div_scale_f64 v[184:185], s[18:19], v[170:171], v[170:171], v[168:169]
	v_rcp_f64_e32 v[186:187], v[184:185]
	v_div_scale_f64 v[188:189], vcc, v[168:169], v[170:171], v[168:169]
	v_fma_f64 v[190:191], -v[184:185], v[186:187], 1.0
	v_fmac_f64_e32 v[186:187], v[186:187], v[190:191]
	v_fma_f64 v[190:191], -v[184:185], v[186:187], 1.0
	v_fmac_f64_e32 v[186:187], v[186:187], v[190:191]
	v_mul_f64 v[190:191], v[188:189], v[186:187]
	v_fma_f64 v[184:185], -v[184:185], v[190:191], v[188:189]
	v_div_fmas_f64 v[184:185], v[184:185], v[186:187], v[190:191]
	v_div_fixup_f64 v[184:185], v[184:185], v[170:171], v[168:169]
	v_fmac_f64_e32 v[170:171], v[168:169], v[184:185]
	v_div_scale_f64 v[168:169], s[18:19], v[170:171], v[170:171], 1.0
	v_rcp_f64_e32 v[186:187], v[168:169]
	s_nop 0
	v_fma_f64 v[188:189], -v[168:169], v[186:187], 1.0
	v_fmac_f64_e32 v[186:187], v[186:187], v[188:189]
	v_fma_f64 v[188:189], -v[168:169], v[186:187], 1.0
	v_fmac_f64_e32 v[186:187], v[186:187], v[188:189]
	v_div_scale_f64 v[188:189], vcc, 1.0, v[170:171], 1.0
	v_mul_f64 v[190:191], v[188:189], v[186:187]
	v_fma_f64 v[168:169], -v[168:169], v[190:191], v[188:189]
	s_nop 1
	v_div_fmas_f64 v[168:169], v[168:169], v[186:187], v[190:191]
	v_div_fixup_f64 v[170:171], v[168:169], v[170:171], 1.0
	v_mul_f64 v[168:169], v[184:185], v[170:171]
	v_xor_b32_e32 v171, 0x80000000, v171
.LBB82_616:
	s_andn2_saveexec_b64 s[16:17], s[16:17]
	s_cbranch_execz .LBB82_618
; %bb.617:
	v_div_scale_f64 v[184:185], s[18:19], v[168:169], v[168:169], v[170:171]
	v_rcp_f64_e32 v[186:187], v[184:185]
	v_div_scale_f64 v[188:189], vcc, v[170:171], v[168:169], v[170:171]
	v_fma_f64 v[190:191], -v[184:185], v[186:187], 1.0
	v_fmac_f64_e32 v[186:187], v[186:187], v[190:191]
	v_fma_f64 v[190:191], -v[184:185], v[186:187], 1.0
	v_fmac_f64_e32 v[186:187], v[186:187], v[190:191]
	v_mul_f64 v[190:191], v[188:189], v[186:187]
	v_fma_f64 v[184:185], -v[184:185], v[190:191], v[188:189]
	v_div_fmas_f64 v[184:185], v[184:185], v[186:187], v[190:191]
	v_div_fixup_f64 v[184:185], v[184:185], v[168:169], v[170:171]
	v_fmac_f64_e32 v[168:169], v[170:171], v[184:185]
	v_div_scale_f64 v[170:171], s[18:19], v[168:169], v[168:169], 1.0
	v_rcp_f64_e32 v[186:187], v[170:171]
	s_nop 0
	v_fma_f64 v[188:189], -v[170:171], v[186:187], 1.0
	v_fmac_f64_e32 v[186:187], v[186:187], v[188:189]
	v_fma_f64 v[188:189], -v[170:171], v[186:187], 1.0
	v_fmac_f64_e32 v[186:187], v[186:187], v[188:189]
	v_div_scale_f64 v[188:189], vcc, 1.0, v[168:169], 1.0
	v_mul_f64 v[190:191], v[188:189], v[186:187]
	v_fma_f64 v[170:171], -v[170:171], v[190:191], v[188:189]
	s_nop 1
	v_div_fmas_f64 v[170:171], v[170:171], v[186:187], v[190:191]
	v_div_fixup_f64 v[168:169], v[170:171], v[168:169], 1.0
	v_mul_f64 v[170:171], v[184:185], -v[168:169]
.LBB82_618:
	s_or_b64 exec, exec, s[16:17]
.LBB82_619:
	s_or_b64 exec, exec, s[0:1]
	v_cmp_ne_u32_e32 vcc, v181, v178
	s_and_saveexec_b64 s[0:1], vcc
	s_xor_b64 s[0:1], exec, s[0:1]
	s_cbranch_execz .LBB82_625
; %bb.620:
	v_cmp_eq_u32_e32 vcc, 29, v181
	s_and_saveexec_b64 s[16:17], vcc
	s_cbranch_execz .LBB82_624
; %bb.621:
	v_cmp_ne_u32_e32 vcc, 29, v178
	s_xor_b64 s[18:19], s[14:15], -1
	s_and_b64 s[22:23], s[18:19], vcc
	s_and_saveexec_b64 s[18:19], s[22:23]
	s_cbranch_execz .LBB82_623
; %bb.622:
	v_ashrrev_i32_e32 v179, 31, v178
	v_lshl_add_u64 v[184:185], v[178:179], 2, v[176:177]
	global_load_dword v179, v[184:185], off
	global_load_dword v181, v[176:177], off offset:116
	s_waitcnt vmcnt(1)
	global_store_dword v[176:177], v179, off offset:116
	s_waitcnt vmcnt(1)
	global_store_dword v[184:185], v181, off
.LBB82_623:
	s_or_b64 exec, exec, s[18:19]
	v_mov_b32_e32 v181, v178
	v_mov_b32_e32 v183, v178
.LBB82_624:
	s_or_b64 exec, exec, s[16:17]
.LBB82_625:
	s_andn2_saveexec_b64 s[0:1], s[0:1]
	s_cbranch_execz .LBB82_627
; %bb.626:
	v_mov_b32_e32 v181, 29
	s_waitcnt vmcnt(11)
	ds_write2_b64 v180, v[40:41], v[42:43] offset0:60 offset1:61
	s_waitcnt vmcnt(10)
	ds_write2_b64 v180, v[36:37], v[38:39] offset0:62 offset1:63
	;; [unrolled: 2-line block ×12, first 2 shown]
.LBB82_627:
	s_or_b64 exec, exec, s[0:1]
	v_cmp_lt_i32_e32 vcc, 29, v181
	s_waitcnt lgkmcnt(0)
	s_barrier
	s_and_saveexec_b64 s[0:1], vcc
	s_cbranch_execz .LBB82_629
; %bb.628:
	ds_read2_b64 v[184:187], v180 offset0:60 offset1:61
	v_mul_f64 v[178:179], v[168:169], v[46:47]
	v_mul_f64 v[46:47], v[170:171], v[46:47]
	v_fmac_f64_e32 v[178:179], v[170:171], v[44:45]
	v_fma_f64 v[44:45], v[168:169], v[44:45], -v[46:47]
	ds_read2_b64 v[168:171], v180 offset0:62 offset1:63
	s_waitcnt lgkmcnt(1)
	v_mul_f64 v[46:47], v[186:187], v[178:179]
	v_fma_f64 v[46:47], v[184:185], v[44:45], -v[46:47]
	v_mul_f64 v[184:185], v[184:185], v[178:179]
	v_fmac_f64_e32 v[184:185], v[186:187], v[44:45]
	s_waitcnt vmcnt(11)
	v_add_f64 v[40:41], v[40:41], -v[46:47]
	s_waitcnt lgkmcnt(0)
	v_mul_f64 v[46:47], v[170:171], v[178:179]
	v_add_f64 v[42:43], v[42:43], -v[184:185]
	v_fma_f64 v[46:47], v[168:169], v[44:45], -v[46:47]
	v_mul_f64 v[168:169], v[168:169], v[178:179]
	ds_read2_b64 v[184:187], v180 offset0:64 offset1:65
	v_fmac_f64_e32 v[168:169], v[170:171], v[44:45]
	s_waitcnt vmcnt(10)
	v_add_f64 v[38:39], v[38:39], -v[168:169]
	ds_read2_b64 v[168:171], v180 offset0:66 offset1:67
	v_add_f64 v[36:37], v[36:37], -v[46:47]
	s_waitcnt lgkmcnt(1)
	v_mul_f64 v[46:47], v[186:187], v[178:179]
	v_fma_f64 v[46:47], v[184:185], v[44:45], -v[46:47]
	v_mul_f64 v[184:185], v[184:185], v[178:179]
	v_fmac_f64_e32 v[184:185], v[186:187], v[44:45]
	s_waitcnt vmcnt(9)
	v_add_f64 v[32:33], v[32:33], -v[46:47]
	s_waitcnt lgkmcnt(0)
	v_mul_f64 v[46:47], v[170:171], v[178:179]
	v_add_f64 v[34:35], v[34:35], -v[184:185]
	v_fma_f64 v[46:47], v[168:169], v[44:45], -v[46:47]
	v_mul_f64 v[168:169], v[168:169], v[178:179]
	ds_read2_b64 v[184:187], v180 offset0:68 offset1:69
	v_fmac_f64_e32 v[168:169], v[170:171], v[44:45]
	s_waitcnt vmcnt(8)
	v_add_f64 v[30:31], v[30:31], -v[168:169]
	ds_read2_b64 v[168:171], v180 offset0:70 offset1:71
	v_add_f64 v[28:29], v[28:29], -v[46:47]
	;; [unrolled: 18-line block ×5, first 2 shown]
	s_waitcnt lgkmcnt(1)
	v_mul_f64 v[46:47], v[186:187], v[178:179]
	v_fma_f64 v[46:47], v[184:185], v[44:45], -v[46:47]
	s_waitcnt vmcnt(1)
	v_add_f64 v[0:1], v[0:1], -v[46:47]
	s_waitcnt lgkmcnt(0)
	v_mul_f64 v[46:47], v[170:171], v[178:179]
	v_mul_f64 v[184:185], v[184:185], v[178:179]
	v_fma_f64 v[46:47], v[168:169], v[44:45], -v[46:47]
	v_mul_f64 v[168:169], v[168:169], v[178:179]
	v_fmac_f64_e32 v[184:185], v[186:187], v[44:45]
	v_fmac_f64_e32 v[168:169], v[170:171], v[44:45]
	v_add_f64 v[2:3], v[2:3], -v[184:185]
	s_waitcnt vmcnt(0)
	v_add_f64 v[164:165], v[164:165], -v[46:47]
	v_add_f64 v[166:167], v[166:167], -v[168:169]
	v_mov_b64_e32 v[46:47], v[178:179]
.LBB82_629:
	s_or_b64 exec, exec, s[0:1]
	v_lshl_add_u32 v168, v181, 4, v180
	s_barrier
	s_waitcnt vmcnt(11)
	ds_write2_b64 v168, v[40:41], v[42:43] offset1:1
	s_waitcnt lgkmcnt(0)
	s_barrier
	ds_read2_b64 v[168:171], v180 offset0:60 offset1:61
	s_cmp_lt_i32 s20, 32
	v_mov_b32_e32 v178, 30
	s_cbranch_scc1 .LBB82_632
; %bb.630:
	v_add_u32_e32 v179, 0x1f0, v180
	s_mov_b32 s16, 31
	v_mov_b32_e32 v178, 30
.LBB82_631:                             ; =>This Inner Loop Header: Depth=1
	ds_read2_b64 v[184:187], v179 offset1:1
	s_waitcnt lgkmcnt(1)
	v_xor_b32_e32 v189, 0x80000000, v169
	v_xor_b32_e32 v191, 0x80000000, v171
	v_cmp_gt_f64_e32 vcc, 0, v[170:171]
	v_cmp_gt_f64_e64 s[0:1], 0, v[168:169]
	v_mov_b32_e32 v188, v168
	v_mov_b32_e32 v190, v170
	v_cndmask_b32_e64 v189, v169, v189, s[0:1]
	v_cndmask_b32_e32 v191, v171, v191, vcc
	v_add_f64 v[188:189], v[188:189], v[190:191]
	s_waitcnt lgkmcnt(0)
	v_xor_b32_e32 v191, 0x80000000, v185
	v_xor_b32_e32 v193, 0x80000000, v187
	v_cmp_gt_f64_e32 vcc, 0, v[186:187]
	v_cmp_gt_f64_e64 s[0:1], 0, v[184:185]
	v_mov_b32_e32 v190, v184
	v_mov_b32_e32 v192, v186
	v_cndmask_b32_e64 v191, v185, v191, s[0:1]
	v_cndmask_b32_e32 v193, v187, v193, vcc
	v_add_f64 v[190:191], v[190:191], v[192:193]
	v_mov_b32_e32 v194, s16
	s_add_i32 s16, s16, 1
	v_cmp_lt_f64_e32 vcc, v[188:189], v[190:191]
	v_add_u32_e32 v179, 16, v179
	s_cmp_lg_u32 s20, s16
	v_cndmask_b32_e32 v169, v169, v185, vcc
	v_cndmask_b32_e32 v168, v168, v184, vcc
	;; [unrolled: 1-line block ×5, first 2 shown]
	s_cbranch_scc1 .LBB82_631
.LBB82_632:
	s_waitcnt lgkmcnt(0)
	v_cmp_eq_f64_e32 vcc, 0, v[168:169]
	v_cmp_eq_f64_e64 s[0:1], 0, v[170:171]
	s_and_b64 s[0:1], vcc, s[0:1]
	s_and_saveexec_b64 s[16:17], s[0:1]
	s_xor_b64 s[0:1], exec, s[16:17]
; %bb.633:
	v_cmp_ne_u32_e32 vcc, 0, v182
	s_nop 1
	v_cndmask_b32_e32 v182, 31, v182, vcc
; %bb.634:
	s_andn2_saveexec_b64 s[0:1], s[0:1]
	s_cbranch_execz .LBB82_640
; %bb.635:
	v_cmp_ngt_f64_e64 s[16:17], |v[168:169]|, |v[170:171]|
	s_and_saveexec_b64 s[18:19], s[16:17]
	s_xor_b64 s[16:17], exec, s[18:19]
	s_cbranch_execz .LBB82_637
; %bb.636:
	v_div_scale_f64 v[184:185], s[18:19], v[170:171], v[170:171], v[168:169]
	v_rcp_f64_e32 v[186:187], v[184:185]
	v_div_scale_f64 v[188:189], vcc, v[168:169], v[170:171], v[168:169]
	v_fma_f64 v[190:191], -v[184:185], v[186:187], 1.0
	v_fmac_f64_e32 v[186:187], v[186:187], v[190:191]
	v_fma_f64 v[190:191], -v[184:185], v[186:187], 1.0
	v_fmac_f64_e32 v[186:187], v[186:187], v[190:191]
	v_mul_f64 v[190:191], v[188:189], v[186:187]
	v_fma_f64 v[184:185], -v[184:185], v[190:191], v[188:189]
	v_div_fmas_f64 v[184:185], v[184:185], v[186:187], v[190:191]
	v_div_fixup_f64 v[184:185], v[184:185], v[170:171], v[168:169]
	v_fmac_f64_e32 v[170:171], v[168:169], v[184:185]
	v_div_scale_f64 v[168:169], s[18:19], v[170:171], v[170:171], 1.0
	v_rcp_f64_e32 v[186:187], v[168:169]
	s_nop 0
	v_fma_f64 v[188:189], -v[168:169], v[186:187], 1.0
	v_fmac_f64_e32 v[186:187], v[186:187], v[188:189]
	v_fma_f64 v[188:189], -v[168:169], v[186:187], 1.0
	v_fmac_f64_e32 v[186:187], v[186:187], v[188:189]
	v_div_scale_f64 v[188:189], vcc, 1.0, v[170:171], 1.0
	v_mul_f64 v[190:191], v[188:189], v[186:187]
	v_fma_f64 v[168:169], -v[168:169], v[190:191], v[188:189]
	s_nop 1
	v_div_fmas_f64 v[168:169], v[168:169], v[186:187], v[190:191]
	v_div_fixup_f64 v[170:171], v[168:169], v[170:171], 1.0
	v_mul_f64 v[168:169], v[184:185], v[170:171]
	v_xor_b32_e32 v171, 0x80000000, v171
.LBB82_637:
	s_andn2_saveexec_b64 s[16:17], s[16:17]
	s_cbranch_execz .LBB82_639
; %bb.638:
	v_div_scale_f64 v[184:185], s[18:19], v[168:169], v[168:169], v[170:171]
	v_rcp_f64_e32 v[186:187], v[184:185]
	v_div_scale_f64 v[188:189], vcc, v[170:171], v[168:169], v[170:171]
	v_fma_f64 v[190:191], -v[184:185], v[186:187], 1.0
	v_fmac_f64_e32 v[186:187], v[186:187], v[190:191]
	v_fma_f64 v[190:191], -v[184:185], v[186:187], 1.0
	v_fmac_f64_e32 v[186:187], v[186:187], v[190:191]
	v_mul_f64 v[190:191], v[188:189], v[186:187]
	v_fma_f64 v[184:185], -v[184:185], v[190:191], v[188:189]
	v_div_fmas_f64 v[184:185], v[184:185], v[186:187], v[190:191]
	v_div_fixup_f64 v[184:185], v[184:185], v[168:169], v[170:171]
	v_fmac_f64_e32 v[168:169], v[170:171], v[184:185]
	v_div_scale_f64 v[170:171], s[18:19], v[168:169], v[168:169], 1.0
	v_rcp_f64_e32 v[186:187], v[170:171]
	s_nop 0
	v_fma_f64 v[188:189], -v[170:171], v[186:187], 1.0
	v_fmac_f64_e32 v[186:187], v[186:187], v[188:189]
	v_fma_f64 v[188:189], -v[170:171], v[186:187], 1.0
	v_fmac_f64_e32 v[186:187], v[186:187], v[188:189]
	v_div_scale_f64 v[188:189], vcc, 1.0, v[168:169], 1.0
	v_mul_f64 v[190:191], v[188:189], v[186:187]
	v_fma_f64 v[170:171], -v[170:171], v[190:191], v[188:189]
	s_nop 1
	v_div_fmas_f64 v[170:171], v[170:171], v[186:187], v[190:191]
	v_div_fixup_f64 v[168:169], v[170:171], v[168:169], 1.0
	v_mul_f64 v[170:171], v[184:185], -v[168:169]
.LBB82_639:
	s_or_b64 exec, exec, s[16:17]
.LBB82_640:
	s_or_b64 exec, exec, s[0:1]
	v_cmp_ne_u32_e32 vcc, v181, v178
	s_and_saveexec_b64 s[0:1], vcc
	s_xor_b64 s[0:1], exec, s[0:1]
	s_cbranch_execz .LBB82_646
; %bb.641:
	v_cmp_eq_u32_e32 vcc, 30, v181
	s_and_saveexec_b64 s[16:17], vcc
	s_cbranch_execz .LBB82_645
; %bb.642:
	v_cmp_ne_u32_e32 vcc, 30, v178
	s_xor_b64 s[18:19], s[14:15], -1
	s_and_b64 s[22:23], s[18:19], vcc
	s_and_saveexec_b64 s[18:19], s[22:23]
	s_cbranch_execz .LBB82_644
; %bb.643:
	v_ashrrev_i32_e32 v179, 31, v178
	v_lshl_add_u64 v[184:185], v[178:179], 2, v[176:177]
	global_load_dword v179, v[184:185], off
	global_load_dword v181, v[176:177], off offset:120
	s_waitcnt vmcnt(1)
	global_store_dword v[176:177], v179, off offset:120
	s_waitcnt vmcnt(1)
	global_store_dword v[184:185], v181, off
.LBB82_644:
	s_or_b64 exec, exec, s[18:19]
	v_mov_b32_e32 v181, v178
	v_mov_b32_e32 v183, v178
.LBB82_645:
	s_or_b64 exec, exec, s[16:17]
.LBB82_646:
	s_andn2_saveexec_b64 s[0:1], s[0:1]
	s_cbranch_execz .LBB82_648
; %bb.647:
	v_mov_b32_e32 v181, 30
	s_waitcnt vmcnt(10)
	ds_write2_b64 v180, v[36:37], v[38:39] offset0:62 offset1:63
	s_waitcnt vmcnt(9)
	ds_write2_b64 v180, v[32:33], v[34:35] offset0:64 offset1:65
	;; [unrolled: 2-line block ×11, first 2 shown]
.LBB82_648:
	s_or_b64 exec, exec, s[0:1]
	v_cmp_lt_i32_e32 vcc, 30, v181
	s_waitcnt lgkmcnt(0)
	s_barrier
	s_and_saveexec_b64 s[0:1], vcc
	s_cbranch_execz .LBB82_650
; %bb.649:
	ds_read2_b64 v[184:187], v180 offset0:62 offset1:63
	v_mul_f64 v[178:179], v[168:169], v[42:43]
	v_fmac_f64_e32 v[178:179], v[170:171], v[40:41]
	v_mul_f64 v[42:43], v[170:171], v[42:43]
	v_fma_f64 v[40:41], v[168:169], v[40:41], -v[42:43]
	ds_read2_b64 v[168:171], v180 offset0:64 offset1:65
	s_waitcnt lgkmcnt(1)
	v_mul_f64 v[42:43], v[186:187], v[178:179]
	v_fma_f64 v[42:43], v[184:185], v[40:41], -v[42:43]
	v_mul_f64 v[184:185], v[184:185], v[178:179]
	v_fmac_f64_e32 v[184:185], v[186:187], v[40:41]
	s_waitcnt vmcnt(10)
	v_add_f64 v[38:39], v[38:39], -v[184:185]
	ds_read2_b64 v[184:187], v180 offset0:66 offset1:67
	v_add_f64 v[36:37], v[36:37], -v[42:43]
	s_waitcnt lgkmcnt(1)
	v_mul_f64 v[42:43], v[170:171], v[178:179]
	v_fma_f64 v[42:43], v[168:169], v[40:41], -v[42:43]
	v_mul_f64 v[168:169], v[168:169], v[178:179]
	v_fmac_f64_e32 v[168:169], v[170:171], v[40:41]
	s_waitcnt vmcnt(9)
	v_add_f64 v[32:33], v[32:33], -v[42:43]
	v_add_f64 v[34:35], v[34:35], -v[168:169]
	ds_read2_b64 v[168:171], v180 offset0:68 offset1:69
	s_waitcnt lgkmcnt(1)
	v_mul_f64 v[42:43], v[186:187], v[178:179]
	v_fma_f64 v[42:43], v[184:185], v[40:41], -v[42:43]
	v_mul_f64 v[184:185], v[184:185], v[178:179]
	v_fmac_f64_e32 v[184:185], v[186:187], v[40:41]
	s_waitcnt vmcnt(8)
	v_add_f64 v[30:31], v[30:31], -v[184:185]
	ds_read2_b64 v[184:187], v180 offset0:70 offset1:71
	v_add_f64 v[28:29], v[28:29], -v[42:43]
	s_waitcnt lgkmcnt(1)
	v_mul_f64 v[42:43], v[170:171], v[178:179]
	v_fma_f64 v[42:43], v[168:169], v[40:41], -v[42:43]
	v_mul_f64 v[168:169], v[168:169], v[178:179]
	v_fmac_f64_e32 v[168:169], v[170:171], v[40:41]
	s_waitcnt vmcnt(7)
	v_add_f64 v[24:25], v[24:25], -v[42:43]
	v_add_f64 v[26:27], v[26:27], -v[168:169]
	;; [unrolled: 18-line block ×5, first 2 shown]
	s_waitcnt lgkmcnt(0)
	v_mul_f64 v[42:43], v[186:187], v[178:179]
	v_mul_f64 v[168:169], v[184:185], v[178:179]
	v_fma_f64 v[42:43], v[184:185], v[40:41], -v[42:43]
	v_fmac_f64_e32 v[168:169], v[186:187], v[40:41]
	s_waitcnt vmcnt(0)
	v_add_f64 v[164:165], v[164:165], -v[42:43]
	v_add_f64 v[166:167], v[166:167], -v[168:169]
	v_mov_b64_e32 v[42:43], v[178:179]
.LBB82_650:
	s_or_b64 exec, exec, s[0:1]
	v_lshl_add_u32 v168, v181, 4, v180
	s_barrier
	s_waitcnt vmcnt(10)
	ds_write2_b64 v168, v[36:37], v[38:39] offset1:1
	s_waitcnt lgkmcnt(0)
	s_barrier
	ds_read2_b64 v[168:171], v180 offset0:62 offset1:63
	s_cmp_lt_i32 s20, 33
	v_mov_b32_e32 v178, 31
	s_cbranch_scc1 .LBB82_653
; %bb.651:
	v_add_u32_e32 v179, 0x200, v180
	s_mov_b32 s16, 32
	v_mov_b32_e32 v178, 31
.LBB82_652:                             ; =>This Inner Loop Header: Depth=1
	ds_read2_b64 v[184:187], v179 offset1:1
	s_waitcnt lgkmcnt(1)
	v_xor_b32_e32 v189, 0x80000000, v169
	v_xor_b32_e32 v191, 0x80000000, v171
	v_cmp_gt_f64_e32 vcc, 0, v[170:171]
	v_cmp_gt_f64_e64 s[0:1], 0, v[168:169]
	v_mov_b32_e32 v188, v168
	v_mov_b32_e32 v190, v170
	v_cndmask_b32_e64 v189, v169, v189, s[0:1]
	v_cndmask_b32_e32 v191, v171, v191, vcc
	v_add_f64 v[188:189], v[188:189], v[190:191]
	s_waitcnt lgkmcnt(0)
	v_xor_b32_e32 v191, 0x80000000, v185
	v_xor_b32_e32 v193, 0x80000000, v187
	v_cmp_gt_f64_e32 vcc, 0, v[186:187]
	v_cmp_gt_f64_e64 s[0:1], 0, v[184:185]
	v_mov_b32_e32 v190, v184
	v_mov_b32_e32 v192, v186
	v_cndmask_b32_e64 v191, v185, v191, s[0:1]
	v_cndmask_b32_e32 v193, v187, v193, vcc
	v_add_f64 v[190:191], v[190:191], v[192:193]
	v_mov_b32_e32 v194, s16
	s_add_i32 s16, s16, 1
	v_cmp_lt_f64_e32 vcc, v[188:189], v[190:191]
	v_add_u32_e32 v179, 16, v179
	s_cmp_lg_u32 s20, s16
	v_cndmask_b32_e32 v169, v169, v185, vcc
	v_cndmask_b32_e32 v168, v168, v184, vcc
	;; [unrolled: 1-line block ×5, first 2 shown]
	s_cbranch_scc1 .LBB82_652
.LBB82_653:
	s_waitcnt lgkmcnt(0)
	v_cmp_eq_f64_e32 vcc, 0, v[168:169]
	v_cmp_eq_f64_e64 s[0:1], 0, v[170:171]
	s_and_b64 s[0:1], vcc, s[0:1]
	s_and_saveexec_b64 s[16:17], s[0:1]
	s_xor_b64 s[0:1], exec, s[16:17]
; %bb.654:
	v_cmp_ne_u32_e32 vcc, 0, v182
	s_nop 1
	v_cndmask_b32_e32 v182, 32, v182, vcc
; %bb.655:
	s_andn2_saveexec_b64 s[0:1], s[0:1]
	s_cbranch_execz .LBB82_661
; %bb.656:
	v_cmp_ngt_f64_e64 s[16:17], |v[168:169]|, |v[170:171]|
	s_and_saveexec_b64 s[18:19], s[16:17]
	s_xor_b64 s[16:17], exec, s[18:19]
	s_cbranch_execz .LBB82_658
; %bb.657:
	v_div_scale_f64 v[184:185], s[18:19], v[170:171], v[170:171], v[168:169]
	v_rcp_f64_e32 v[186:187], v[184:185]
	v_div_scale_f64 v[188:189], vcc, v[168:169], v[170:171], v[168:169]
	v_fma_f64 v[190:191], -v[184:185], v[186:187], 1.0
	v_fmac_f64_e32 v[186:187], v[186:187], v[190:191]
	v_fma_f64 v[190:191], -v[184:185], v[186:187], 1.0
	v_fmac_f64_e32 v[186:187], v[186:187], v[190:191]
	v_mul_f64 v[190:191], v[188:189], v[186:187]
	v_fma_f64 v[184:185], -v[184:185], v[190:191], v[188:189]
	v_div_fmas_f64 v[184:185], v[184:185], v[186:187], v[190:191]
	v_div_fixup_f64 v[184:185], v[184:185], v[170:171], v[168:169]
	v_fmac_f64_e32 v[170:171], v[168:169], v[184:185]
	v_div_scale_f64 v[168:169], s[18:19], v[170:171], v[170:171], 1.0
	v_rcp_f64_e32 v[186:187], v[168:169]
	s_nop 0
	v_fma_f64 v[188:189], -v[168:169], v[186:187], 1.0
	v_fmac_f64_e32 v[186:187], v[186:187], v[188:189]
	v_fma_f64 v[188:189], -v[168:169], v[186:187], 1.0
	v_fmac_f64_e32 v[186:187], v[186:187], v[188:189]
	v_div_scale_f64 v[188:189], vcc, 1.0, v[170:171], 1.0
	v_mul_f64 v[190:191], v[188:189], v[186:187]
	v_fma_f64 v[168:169], -v[168:169], v[190:191], v[188:189]
	s_nop 1
	v_div_fmas_f64 v[168:169], v[168:169], v[186:187], v[190:191]
	v_div_fixup_f64 v[170:171], v[168:169], v[170:171], 1.0
	v_mul_f64 v[168:169], v[184:185], v[170:171]
	v_xor_b32_e32 v171, 0x80000000, v171
.LBB82_658:
	s_andn2_saveexec_b64 s[16:17], s[16:17]
	s_cbranch_execz .LBB82_660
; %bb.659:
	v_div_scale_f64 v[184:185], s[18:19], v[168:169], v[168:169], v[170:171]
	v_rcp_f64_e32 v[186:187], v[184:185]
	v_div_scale_f64 v[188:189], vcc, v[170:171], v[168:169], v[170:171]
	v_fma_f64 v[190:191], -v[184:185], v[186:187], 1.0
	v_fmac_f64_e32 v[186:187], v[186:187], v[190:191]
	v_fma_f64 v[190:191], -v[184:185], v[186:187], 1.0
	v_fmac_f64_e32 v[186:187], v[186:187], v[190:191]
	v_mul_f64 v[190:191], v[188:189], v[186:187]
	v_fma_f64 v[184:185], -v[184:185], v[190:191], v[188:189]
	v_div_fmas_f64 v[184:185], v[184:185], v[186:187], v[190:191]
	v_div_fixup_f64 v[184:185], v[184:185], v[168:169], v[170:171]
	v_fmac_f64_e32 v[168:169], v[170:171], v[184:185]
	v_div_scale_f64 v[170:171], s[18:19], v[168:169], v[168:169], 1.0
	v_rcp_f64_e32 v[186:187], v[170:171]
	s_nop 0
	v_fma_f64 v[188:189], -v[170:171], v[186:187], 1.0
	v_fmac_f64_e32 v[186:187], v[186:187], v[188:189]
	v_fma_f64 v[188:189], -v[170:171], v[186:187], 1.0
	v_fmac_f64_e32 v[186:187], v[186:187], v[188:189]
	v_div_scale_f64 v[188:189], vcc, 1.0, v[168:169], 1.0
	v_mul_f64 v[190:191], v[188:189], v[186:187]
	v_fma_f64 v[170:171], -v[170:171], v[190:191], v[188:189]
	s_nop 1
	v_div_fmas_f64 v[170:171], v[170:171], v[186:187], v[190:191]
	v_div_fixup_f64 v[168:169], v[170:171], v[168:169], 1.0
	v_mul_f64 v[170:171], v[184:185], -v[168:169]
.LBB82_660:
	s_or_b64 exec, exec, s[16:17]
.LBB82_661:
	s_or_b64 exec, exec, s[0:1]
	v_cmp_ne_u32_e32 vcc, v181, v178
	s_and_saveexec_b64 s[0:1], vcc
	s_xor_b64 s[0:1], exec, s[0:1]
	s_cbranch_execz .LBB82_667
; %bb.662:
	v_cmp_eq_u32_e32 vcc, 31, v181
	s_and_saveexec_b64 s[16:17], vcc
	s_cbranch_execz .LBB82_666
; %bb.663:
	v_cmp_ne_u32_e32 vcc, 31, v178
	s_xor_b64 s[18:19], s[14:15], -1
	s_and_b64 s[22:23], s[18:19], vcc
	s_and_saveexec_b64 s[18:19], s[22:23]
	s_cbranch_execz .LBB82_665
; %bb.664:
	v_ashrrev_i32_e32 v179, 31, v178
	v_lshl_add_u64 v[184:185], v[178:179], 2, v[176:177]
	global_load_dword v179, v[184:185], off
	global_load_dword v181, v[176:177], off offset:124
	s_waitcnt vmcnt(1)
	global_store_dword v[176:177], v179, off offset:124
	s_waitcnt vmcnt(1)
	global_store_dword v[184:185], v181, off
.LBB82_665:
	s_or_b64 exec, exec, s[18:19]
	v_mov_b32_e32 v181, v178
	v_mov_b32_e32 v183, v178
.LBB82_666:
	s_or_b64 exec, exec, s[16:17]
.LBB82_667:
	s_andn2_saveexec_b64 s[0:1], s[0:1]
	s_cbranch_execz .LBB82_669
; %bb.668:
	v_mov_b32_e32 v181, 31
	s_waitcnt vmcnt(9)
	ds_write2_b64 v180, v[32:33], v[34:35] offset0:64 offset1:65
	s_waitcnt vmcnt(8)
	ds_write2_b64 v180, v[28:29], v[30:31] offset0:66 offset1:67
	;; [unrolled: 2-line block ×10, first 2 shown]
.LBB82_669:
	s_or_b64 exec, exec, s[0:1]
	v_cmp_lt_i32_e32 vcc, 31, v181
	s_waitcnt lgkmcnt(0)
	s_barrier
	s_and_saveexec_b64 s[0:1], vcc
	s_cbranch_execz .LBB82_671
; %bb.670:
	ds_read2_b64 v[184:187], v180 offset0:64 offset1:65
	v_mul_f64 v[178:179], v[168:169], v[38:39]
	v_mul_f64 v[38:39], v[170:171], v[38:39]
	v_fmac_f64_e32 v[178:179], v[170:171], v[36:37]
	v_fma_f64 v[36:37], v[168:169], v[36:37], -v[38:39]
	ds_read2_b64 v[168:171], v180 offset0:66 offset1:67
	s_waitcnt lgkmcnt(1)
	v_mul_f64 v[38:39], v[186:187], v[178:179]
	v_fma_f64 v[38:39], v[184:185], v[36:37], -v[38:39]
	v_mul_f64 v[184:185], v[184:185], v[178:179]
	v_fmac_f64_e32 v[184:185], v[186:187], v[36:37]
	s_waitcnt vmcnt(9)
	v_add_f64 v[32:33], v[32:33], -v[38:39]
	s_waitcnt lgkmcnt(0)
	v_mul_f64 v[38:39], v[170:171], v[178:179]
	v_add_f64 v[34:35], v[34:35], -v[184:185]
	v_fma_f64 v[38:39], v[168:169], v[36:37], -v[38:39]
	v_mul_f64 v[168:169], v[168:169], v[178:179]
	ds_read2_b64 v[184:187], v180 offset0:68 offset1:69
	v_fmac_f64_e32 v[168:169], v[170:171], v[36:37]
	s_waitcnt vmcnt(8)
	v_add_f64 v[30:31], v[30:31], -v[168:169]
	ds_read2_b64 v[168:171], v180 offset0:70 offset1:71
	v_add_f64 v[28:29], v[28:29], -v[38:39]
	s_waitcnt lgkmcnt(1)
	v_mul_f64 v[38:39], v[186:187], v[178:179]
	v_fma_f64 v[38:39], v[184:185], v[36:37], -v[38:39]
	v_mul_f64 v[184:185], v[184:185], v[178:179]
	v_fmac_f64_e32 v[184:185], v[186:187], v[36:37]
	s_waitcnt vmcnt(7)
	v_add_f64 v[24:25], v[24:25], -v[38:39]
	s_waitcnt lgkmcnt(0)
	v_mul_f64 v[38:39], v[170:171], v[178:179]
	v_add_f64 v[26:27], v[26:27], -v[184:185]
	v_fma_f64 v[38:39], v[168:169], v[36:37], -v[38:39]
	v_mul_f64 v[168:169], v[168:169], v[178:179]
	ds_read2_b64 v[184:187], v180 offset0:72 offset1:73
	v_fmac_f64_e32 v[168:169], v[170:171], v[36:37]
	s_waitcnt vmcnt(6)
	v_add_f64 v[22:23], v[22:23], -v[168:169]
	ds_read2_b64 v[168:171], v180 offset0:74 offset1:75
	v_add_f64 v[20:21], v[20:21], -v[38:39]
	;; [unrolled: 18-line block ×4, first 2 shown]
	s_waitcnt lgkmcnt(1)
	v_mul_f64 v[38:39], v[186:187], v[178:179]
	v_fma_f64 v[38:39], v[184:185], v[36:37], -v[38:39]
	s_waitcnt vmcnt(1)
	v_add_f64 v[0:1], v[0:1], -v[38:39]
	s_waitcnt lgkmcnt(0)
	v_mul_f64 v[38:39], v[170:171], v[178:179]
	v_mul_f64 v[184:185], v[184:185], v[178:179]
	v_fma_f64 v[38:39], v[168:169], v[36:37], -v[38:39]
	v_mul_f64 v[168:169], v[168:169], v[178:179]
	v_fmac_f64_e32 v[184:185], v[186:187], v[36:37]
	v_fmac_f64_e32 v[168:169], v[170:171], v[36:37]
	v_add_f64 v[2:3], v[2:3], -v[184:185]
	s_waitcnt vmcnt(0)
	v_add_f64 v[164:165], v[164:165], -v[38:39]
	v_add_f64 v[166:167], v[166:167], -v[168:169]
	v_mov_b64_e32 v[38:39], v[178:179]
.LBB82_671:
	s_or_b64 exec, exec, s[0:1]
	v_lshl_add_u32 v168, v181, 4, v180
	s_barrier
	s_waitcnt vmcnt(9)
	ds_write2_b64 v168, v[32:33], v[34:35] offset1:1
	s_waitcnt lgkmcnt(0)
	s_barrier
	ds_read2_b64 v[168:171], v180 offset0:64 offset1:65
	s_cmp_lt_i32 s20, 34
	v_mov_b32_e32 v178, 32
	s_cbranch_scc1 .LBB82_674
; %bb.672:
	v_add_u32_e32 v179, 0x210, v180
	s_mov_b32 s16, 33
	v_mov_b32_e32 v178, 32
.LBB82_673:                             ; =>This Inner Loop Header: Depth=1
	ds_read2_b64 v[184:187], v179 offset1:1
	s_waitcnt lgkmcnt(1)
	v_xor_b32_e32 v189, 0x80000000, v169
	v_xor_b32_e32 v191, 0x80000000, v171
	v_cmp_gt_f64_e32 vcc, 0, v[170:171]
	v_cmp_gt_f64_e64 s[0:1], 0, v[168:169]
	v_mov_b32_e32 v188, v168
	v_mov_b32_e32 v190, v170
	v_cndmask_b32_e64 v189, v169, v189, s[0:1]
	v_cndmask_b32_e32 v191, v171, v191, vcc
	v_add_f64 v[188:189], v[188:189], v[190:191]
	s_waitcnt lgkmcnt(0)
	v_xor_b32_e32 v191, 0x80000000, v185
	v_xor_b32_e32 v193, 0x80000000, v187
	v_cmp_gt_f64_e32 vcc, 0, v[186:187]
	v_cmp_gt_f64_e64 s[0:1], 0, v[184:185]
	v_mov_b32_e32 v190, v184
	v_mov_b32_e32 v192, v186
	v_cndmask_b32_e64 v191, v185, v191, s[0:1]
	v_cndmask_b32_e32 v193, v187, v193, vcc
	v_add_f64 v[190:191], v[190:191], v[192:193]
	v_mov_b32_e32 v194, s16
	s_add_i32 s16, s16, 1
	v_cmp_lt_f64_e32 vcc, v[188:189], v[190:191]
	v_add_u32_e32 v179, 16, v179
	s_cmp_lg_u32 s20, s16
	v_cndmask_b32_e32 v169, v169, v185, vcc
	v_cndmask_b32_e32 v168, v168, v184, vcc
	;; [unrolled: 1-line block ×5, first 2 shown]
	s_cbranch_scc1 .LBB82_673
.LBB82_674:
	s_waitcnt lgkmcnt(0)
	v_cmp_eq_f64_e32 vcc, 0, v[168:169]
	v_cmp_eq_f64_e64 s[0:1], 0, v[170:171]
	s_and_b64 s[0:1], vcc, s[0:1]
	s_and_saveexec_b64 s[16:17], s[0:1]
	s_xor_b64 s[0:1], exec, s[16:17]
; %bb.675:
	v_cmp_ne_u32_e32 vcc, 0, v182
	s_nop 1
	v_cndmask_b32_e32 v182, 33, v182, vcc
; %bb.676:
	s_andn2_saveexec_b64 s[0:1], s[0:1]
	s_cbranch_execz .LBB82_682
; %bb.677:
	v_cmp_ngt_f64_e64 s[16:17], |v[168:169]|, |v[170:171]|
	s_and_saveexec_b64 s[18:19], s[16:17]
	s_xor_b64 s[16:17], exec, s[18:19]
	s_cbranch_execz .LBB82_679
; %bb.678:
	v_div_scale_f64 v[184:185], s[18:19], v[170:171], v[170:171], v[168:169]
	v_rcp_f64_e32 v[186:187], v[184:185]
	v_div_scale_f64 v[188:189], vcc, v[168:169], v[170:171], v[168:169]
	v_fma_f64 v[190:191], -v[184:185], v[186:187], 1.0
	v_fmac_f64_e32 v[186:187], v[186:187], v[190:191]
	v_fma_f64 v[190:191], -v[184:185], v[186:187], 1.0
	v_fmac_f64_e32 v[186:187], v[186:187], v[190:191]
	v_mul_f64 v[190:191], v[188:189], v[186:187]
	v_fma_f64 v[184:185], -v[184:185], v[190:191], v[188:189]
	v_div_fmas_f64 v[184:185], v[184:185], v[186:187], v[190:191]
	v_div_fixup_f64 v[184:185], v[184:185], v[170:171], v[168:169]
	v_fmac_f64_e32 v[170:171], v[168:169], v[184:185]
	v_div_scale_f64 v[168:169], s[18:19], v[170:171], v[170:171], 1.0
	v_rcp_f64_e32 v[186:187], v[168:169]
	s_nop 0
	v_fma_f64 v[188:189], -v[168:169], v[186:187], 1.0
	v_fmac_f64_e32 v[186:187], v[186:187], v[188:189]
	v_fma_f64 v[188:189], -v[168:169], v[186:187], 1.0
	v_fmac_f64_e32 v[186:187], v[186:187], v[188:189]
	v_div_scale_f64 v[188:189], vcc, 1.0, v[170:171], 1.0
	v_mul_f64 v[190:191], v[188:189], v[186:187]
	v_fma_f64 v[168:169], -v[168:169], v[190:191], v[188:189]
	s_nop 1
	v_div_fmas_f64 v[168:169], v[168:169], v[186:187], v[190:191]
	v_div_fixup_f64 v[170:171], v[168:169], v[170:171], 1.0
	v_mul_f64 v[168:169], v[184:185], v[170:171]
	v_xor_b32_e32 v171, 0x80000000, v171
.LBB82_679:
	s_andn2_saveexec_b64 s[16:17], s[16:17]
	s_cbranch_execz .LBB82_681
; %bb.680:
	v_div_scale_f64 v[184:185], s[18:19], v[168:169], v[168:169], v[170:171]
	v_rcp_f64_e32 v[186:187], v[184:185]
	v_div_scale_f64 v[188:189], vcc, v[170:171], v[168:169], v[170:171]
	v_fma_f64 v[190:191], -v[184:185], v[186:187], 1.0
	v_fmac_f64_e32 v[186:187], v[186:187], v[190:191]
	v_fma_f64 v[190:191], -v[184:185], v[186:187], 1.0
	v_fmac_f64_e32 v[186:187], v[186:187], v[190:191]
	v_mul_f64 v[190:191], v[188:189], v[186:187]
	v_fma_f64 v[184:185], -v[184:185], v[190:191], v[188:189]
	v_div_fmas_f64 v[184:185], v[184:185], v[186:187], v[190:191]
	v_div_fixup_f64 v[184:185], v[184:185], v[168:169], v[170:171]
	v_fmac_f64_e32 v[168:169], v[170:171], v[184:185]
	v_div_scale_f64 v[170:171], s[18:19], v[168:169], v[168:169], 1.0
	v_rcp_f64_e32 v[186:187], v[170:171]
	s_nop 0
	v_fma_f64 v[188:189], -v[170:171], v[186:187], 1.0
	v_fmac_f64_e32 v[186:187], v[186:187], v[188:189]
	v_fma_f64 v[188:189], -v[170:171], v[186:187], 1.0
	v_fmac_f64_e32 v[186:187], v[186:187], v[188:189]
	v_div_scale_f64 v[188:189], vcc, 1.0, v[168:169], 1.0
	v_mul_f64 v[190:191], v[188:189], v[186:187]
	v_fma_f64 v[170:171], -v[170:171], v[190:191], v[188:189]
	s_nop 1
	v_div_fmas_f64 v[170:171], v[170:171], v[186:187], v[190:191]
	v_div_fixup_f64 v[168:169], v[170:171], v[168:169], 1.0
	v_mul_f64 v[170:171], v[184:185], -v[168:169]
.LBB82_681:
	s_or_b64 exec, exec, s[16:17]
.LBB82_682:
	s_or_b64 exec, exec, s[0:1]
	v_cmp_ne_u32_e32 vcc, v181, v178
	s_and_saveexec_b64 s[0:1], vcc
	s_xor_b64 s[0:1], exec, s[0:1]
	s_cbranch_execz .LBB82_688
; %bb.683:
	v_cmp_eq_u32_e32 vcc, 32, v181
	s_and_saveexec_b64 s[16:17], vcc
	s_cbranch_execz .LBB82_687
; %bb.684:
	v_cmp_ne_u32_e32 vcc, 32, v178
	s_xor_b64 s[18:19], s[14:15], -1
	s_and_b64 s[22:23], s[18:19], vcc
	s_and_saveexec_b64 s[18:19], s[22:23]
	s_cbranch_execz .LBB82_686
; %bb.685:
	v_ashrrev_i32_e32 v179, 31, v178
	v_lshl_add_u64 v[184:185], v[178:179], 2, v[176:177]
	global_load_dword v179, v[184:185], off
	global_load_dword v181, v[176:177], off offset:128
	s_waitcnt vmcnt(1)
	global_store_dword v[176:177], v179, off offset:128
	s_waitcnt vmcnt(1)
	global_store_dword v[184:185], v181, off
.LBB82_686:
	s_or_b64 exec, exec, s[18:19]
	v_mov_b32_e32 v181, v178
	v_mov_b32_e32 v183, v178
.LBB82_687:
	s_or_b64 exec, exec, s[16:17]
.LBB82_688:
	s_andn2_saveexec_b64 s[0:1], s[0:1]
	s_cbranch_execz .LBB82_690
; %bb.689:
	v_mov_b32_e32 v181, 32
	s_waitcnt vmcnt(8)
	ds_write2_b64 v180, v[28:29], v[30:31] offset0:66 offset1:67
	s_waitcnt vmcnt(7)
	ds_write2_b64 v180, v[24:25], v[26:27] offset0:68 offset1:69
	;; [unrolled: 2-line block ×9, first 2 shown]
.LBB82_690:
	s_or_b64 exec, exec, s[0:1]
	v_cmp_lt_i32_e32 vcc, 32, v181
	s_waitcnt lgkmcnt(0)
	s_barrier
	s_and_saveexec_b64 s[0:1], vcc
	s_cbranch_execz .LBB82_692
; %bb.691:
	ds_read2_b64 v[184:187], v180 offset0:66 offset1:67
	v_mul_f64 v[178:179], v[168:169], v[34:35]
	v_fmac_f64_e32 v[178:179], v[170:171], v[32:33]
	v_mul_f64 v[34:35], v[170:171], v[34:35]
	v_fma_f64 v[32:33], v[168:169], v[32:33], -v[34:35]
	ds_read2_b64 v[168:171], v180 offset0:68 offset1:69
	s_waitcnt lgkmcnt(1)
	v_mul_f64 v[34:35], v[186:187], v[178:179]
	v_fma_f64 v[34:35], v[184:185], v[32:33], -v[34:35]
	v_mul_f64 v[184:185], v[184:185], v[178:179]
	v_fmac_f64_e32 v[184:185], v[186:187], v[32:33]
	s_waitcnt vmcnt(8)
	v_add_f64 v[30:31], v[30:31], -v[184:185]
	ds_read2_b64 v[184:187], v180 offset0:70 offset1:71
	v_add_f64 v[28:29], v[28:29], -v[34:35]
	s_waitcnt lgkmcnt(1)
	v_mul_f64 v[34:35], v[170:171], v[178:179]
	v_fma_f64 v[34:35], v[168:169], v[32:33], -v[34:35]
	v_mul_f64 v[168:169], v[168:169], v[178:179]
	v_fmac_f64_e32 v[168:169], v[170:171], v[32:33]
	s_waitcnt vmcnt(7)
	v_add_f64 v[24:25], v[24:25], -v[34:35]
	v_add_f64 v[26:27], v[26:27], -v[168:169]
	ds_read2_b64 v[168:171], v180 offset0:72 offset1:73
	s_waitcnt lgkmcnt(1)
	v_mul_f64 v[34:35], v[186:187], v[178:179]
	v_fma_f64 v[34:35], v[184:185], v[32:33], -v[34:35]
	v_mul_f64 v[184:185], v[184:185], v[178:179]
	v_fmac_f64_e32 v[184:185], v[186:187], v[32:33]
	s_waitcnt vmcnt(6)
	v_add_f64 v[22:23], v[22:23], -v[184:185]
	ds_read2_b64 v[184:187], v180 offset0:74 offset1:75
	v_add_f64 v[20:21], v[20:21], -v[34:35]
	s_waitcnt lgkmcnt(1)
	v_mul_f64 v[34:35], v[170:171], v[178:179]
	v_fma_f64 v[34:35], v[168:169], v[32:33], -v[34:35]
	v_mul_f64 v[168:169], v[168:169], v[178:179]
	v_fmac_f64_e32 v[168:169], v[170:171], v[32:33]
	s_waitcnt vmcnt(5)
	v_add_f64 v[16:17], v[16:17], -v[34:35]
	v_add_f64 v[18:19], v[18:19], -v[168:169]
	;; [unrolled: 18-line block ×4, first 2 shown]
	s_waitcnt lgkmcnt(0)
	v_mul_f64 v[34:35], v[186:187], v[178:179]
	v_mul_f64 v[168:169], v[184:185], v[178:179]
	v_fma_f64 v[34:35], v[184:185], v[32:33], -v[34:35]
	v_fmac_f64_e32 v[168:169], v[186:187], v[32:33]
	s_waitcnt vmcnt(0)
	v_add_f64 v[164:165], v[164:165], -v[34:35]
	v_add_f64 v[166:167], v[166:167], -v[168:169]
	v_mov_b64_e32 v[34:35], v[178:179]
.LBB82_692:
	s_or_b64 exec, exec, s[0:1]
	v_lshl_add_u32 v168, v181, 4, v180
	s_barrier
	s_waitcnt vmcnt(8)
	ds_write2_b64 v168, v[28:29], v[30:31] offset1:1
	s_waitcnt lgkmcnt(0)
	s_barrier
	ds_read2_b64 v[168:171], v180 offset0:66 offset1:67
	s_cmp_lt_i32 s20, 35
	v_mov_b32_e32 v178, 33
	s_cbranch_scc1 .LBB82_695
; %bb.693:
	v_add_u32_e32 v179, 0x220, v180
	s_mov_b32 s16, 34
	v_mov_b32_e32 v178, 33
.LBB82_694:                             ; =>This Inner Loop Header: Depth=1
	ds_read2_b64 v[184:187], v179 offset1:1
	s_waitcnt lgkmcnt(1)
	v_xor_b32_e32 v189, 0x80000000, v169
	v_xor_b32_e32 v191, 0x80000000, v171
	v_cmp_gt_f64_e32 vcc, 0, v[170:171]
	v_cmp_gt_f64_e64 s[0:1], 0, v[168:169]
	v_mov_b32_e32 v188, v168
	v_mov_b32_e32 v190, v170
	v_cndmask_b32_e64 v189, v169, v189, s[0:1]
	v_cndmask_b32_e32 v191, v171, v191, vcc
	v_add_f64 v[188:189], v[188:189], v[190:191]
	s_waitcnt lgkmcnt(0)
	v_xor_b32_e32 v191, 0x80000000, v185
	v_xor_b32_e32 v193, 0x80000000, v187
	v_cmp_gt_f64_e32 vcc, 0, v[186:187]
	v_cmp_gt_f64_e64 s[0:1], 0, v[184:185]
	v_mov_b32_e32 v190, v184
	v_mov_b32_e32 v192, v186
	v_cndmask_b32_e64 v191, v185, v191, s[0:1]
	v_cndmask_b32_e32 v193, v187, v193, vcc
	v_add_f64 v[190:191], v[190:191], v[192:193]
	v_mov_b32_e32 v194, s16
	s_add_i32 s16, s16, 1
	v_cmp_lt_f64_e32 vcc, v[188:189], v[190:191]
	v_add_u32_e32 v179, 16, v179
	s_cmp_lg_u32 s20, s16
	v_cndmask_b32_e32 v169, v169, v185, vcc
	v_cndmask_b32_e32 v168, v168, v184, vcc
	;; [unrolled: 1-line block ×5, first 2 shown]
	s_cbranch_scc1 .LBB82_694
.LBB82_695:
	s_waitcnt lgkmcnt(0)
	v_cmp_eq_f64_e32 vcc, 0, v[168:169]
	v_cmp_eq_f64_e64 s[0:1], 0, v[170:171]
	s_and_b64 s[0:1], vcc, s[0:1]
	s_and_saveexec_b64 s[16:17], s[0:1]
	s_xor_b64 s[0:1], exec, s[16:17]
; %bb.696:
	v_cmp_ne_u32_e32 vcc, 0, v182
	s_nop 1
	v_cndmask_b32_e32 v182, 34, v182, vcc
; %bb.697:
	s_andn2_saveexec_b64 s[0:1], s[0:1]
	s_cbranch_execz .LBB82_703
; %bb.698:
	v_cmp_ngt_f64_e64 s[16:17], |v[168:169]|, |v[170:171]|
	s_and_saveexec_b64 s[18:19], s[16:17]
	s_xor_b64 s[16:17], exec, s[18:19]
	s_cbranch_execz .LBB82_700
; %bb.699:
	v_div_scale_f64 v[184:185], s[18:19], v[170:171], v[170:171], v[168:169]
	v_rcp_f64_e32 v[186:187], v[184:185]
	v_div_scale_f64 v[188:189], vcc, v[168:169], v[170:171], v[168:169]
	v_fma_f64 v[190:191], -v[184:185], v[186:187], 1.0
	v_fmac_f64_e32 v[186:187], v[186:187], v[190:191]
	v_fma_f64 v[190:191], -v[184:185], v[186:187], 1.0
	v_fmac_f64_e32 v[186:187], v[186:187], v[190:191]
	v_mul_f64 v[190:191], v[188:189], v[186:187]
	v_fma_f64 v[184:185], -v[184:185], v[190:191], v[188:189]
	v_div_fmas_f64 v[184:185], v[184:185], v[186:187], v[190:191]
	v_div_fixup_f64 v[184:185], v[184:185], v[170:171], v[168:169]
	v_fmac_f64_e32 v[170:171], v[168:169], v[184:185]
	v_div_scale_f64 v[168:169], s[18:19], v[170:171], v[170:171], 1.0
	v_rcp_f64_e32 v[186:187], v[168:169]
	s_nop 0
	v_fma_f64 v[188:189], -v[168:169], v[186:187], 1.0
	v_fmac_f64_e32 v[186:187], v[186:187], v[188:189]
	v_fma_f64 v[188:189], -v[168:169], v[186:187], 1.0
	v_fmac_f64_e32 v[186:187], v[186:187], v[188:189]
	v_div_scale_f64 v[188:189], vcc, 1.0, v[170:171], 1.0
	v_mul_f64 v[190:191], v[188:189], v[186:187]
	v_fma_f64 v[168:169], -v[168:169], v[190:191], v[188:189]
	s_nop 1
	v_div_fmas_f64 v[168:169], v[168:169], v[186:187], v[190:191]
	v_div_fixup_f64 v[170:171], v[168:169], v[170:171], 1.0
	v_mul_f64 v[168:169], v[184:185], v[170:171]
	v_xor_b32_e32 v171, 0x80000000, v171
.LBB82_700:
	s_andn2_saveexec_b64 s[16:17], s[16:17]
	s_cbranch_execz .LBB82_702
; %bb.701:
	v_div_scale_f64 v[184:185], s[18:19], v[168:169], v[168:169], v[170:171]
	v_rcp_f64_e32 v[186:187], v[184:185]
	v_div_scale_f64 v[188:189], vcc, v[170:171], v[168:169], v[170:171]
	v_fma_f64 v[190:191], -v[184:185], v[186:187], 1.0
	v_fmac_f64_e32 v[186:187], v[186:187], v[190:191]
	v_fma_f64 v[190:191], -v[184:185], v[186:187], 1.0
	v_fmac_f64_e32 v[186:187], v[186:187], v[190:191]
	v_mul_f64 v[190:191], v[188:189], v[186:187]
	v_fma_f64 v[184:185], -v[184:185], v[190:191], v[188:189]
	v_div_fmas_f64 v[184:185], v[184:185], v[186:187], v[190:191]
	v_div_fixup_f64 v[184:185], v[184:185], v[168:169], v[170:171]
	v_fmac_f64_e32 v[168:169], v[170:171], v[184:185]
	v_div_scale_f64 v[170:171], s[18:19], v[168:169], v[168:169], 1.0
	v_rcp_f64_e32 v[186:187], v[170:171]
	s_nop 0
	v_fma_f64 v[188:189], -v[170:171], v[186:187], 1.0
	v_fmac_f64_e32 v[186:187], v[186:187], v[188:189]
	v_fma_f64 v[188:189], -v[170:171], v[186:187], 1.0
	v_fmac_f64_e32 v[186:187], v[186:187], v[188:189]
	v_div_scale_f64 v[188:189], vcc, 1.0, v[168:169], 1.0
	v_mul_f64 v[190:191], v[188:189], v[186:187]
	v_fma_f64 v[170:171], -v[170:171], v[190:191], v[188:189]
	s_nop 1
	v_div_fmas_f64 v[170:171], v[170:171], v[186:187], v[190:191]
	v_div_fixup_f64 v[168:169], v[170:171], v[168:169], 1.0
	v_mul_f64 v[170:171], v[184:185], -v[168:169]
.LBB82_702:
	s_or_b64 exec, exec, s[16:17]
.LBB82_703:
	s_or_b64 exec, exec, s[0:1]
	v_cmp_ne_u32_e32 vcc, v181, v178
	s_and_saveexec_b64 s[0:1], vcc
	s_xor_b64 s[0:1], exec, s[0:1]
	s_cbranch_execz .LBB82_709
; %bb.704:
	v_cmp_eq_u32_e32 vcc, 33, v181
	s_and_saveexec_b64 s[16:17], vcc
	s_cbranch_execz .LBB82_708
; %bb.705:
	v_cmp_ne_u32_e32 vcc, 33, v178
	s_xor_b64 s[18:19], s[14:15], -1
	s_and_b64 s[22:23], s[18:19], vcc
	s_and_saveexec_b64 s[18:19], s[22:23]
	s_cbranch_execz .LBB82_707
; %bb.706:
	v_ashrrev_i32_e32 v179, 31, v178
	v_lshl_add_u64 v[184:185], v[178:179], 2, v[176:177]
	global_load_dword v179, v[184:185], off
	global_load_dword v181, v[176:177], off offset:132
	s_waitcnt vmcnt(1)
	global_store_dword v[176:177], v179, off offset:132
	s_waitcnt vmcnt(1)
	global_store_dword v[184:185], v181, off
.LBB82_707:
	s_or_b64 exec, exec, s[18:19]
	v_mov_b32_e32 v181, v178
	v_mov_b32_e32 v183, v178
.LBB82_708:
	s_or_b64 exec, exec, s[16:17]
.LBB82_709:
	s_andn2_saveexec_b64 s[0:1], s[0:1]
	s_cbranch_execz .LBB82_711
; %bb.710:
	v_mov_b32_e32 v181, 33
	s_waitcnt vmcnt(7)
	ds_write2_b64 v180, v[24:25], v[26:27] offset0:68 offset1:69
	s_waitcnt vmcnt(6)
	ds_write2_b64 v180, v[20:21], v[22:23] offset0:70 offset1:71
	;; [unrolled: 2-line block ×8, first 2 shown]
.LBB82_711:
	s_or_b64 exec, exec, s[0:1]
	v_cmp_lt_i32_e32 vcc, 33, v181
	s_waitcnt lgkmcnt(0)
	s_barrier
	s_and_saveexec_b64 s[0:1], vcc
	s_cbranch_execz .LBB82_713
; %bb.712:
	ds_read2_b64 v[184:187], v180 offset0:68 offset1:69
	v_mul_f64 v[178:179], v[168:169], v[30:31]
	v_mul_f64 v[30:31], v[170:171], v[30:31]
	v_fmac_f64_e32 v[178:179], v[170:171], v[28:29]
	v_fma_f64 v[28:29], v[168:169], v[28:29], -v[30:31]
	ds_read2_b64 v[168:171], v180 offset0:70 offset1:71
	s_waitcnt lgkmcnt(1)
	v_mul_f64 v[30:31], v[186:187], v[178:179]
	v_fma_f64 v[30:31], v[184:185], v[28:29], -v[30:31]
	v_mul_f64 v[184:185], v[184:185], v[178:179]
	v_fmac_f64_e32 v[184:185], v[186:187], v[28:29]
	s_waitcnt vmcnt(7)
	v_add_f64 v[24:25], v[24:25], -v[30:31]
	s_waitcnt lgkmcnt(0)
	v_mul_f64 v[30:31], v[170:171], v[178:179]
	v_add_f64 v[26:27], v[26:27], -v[184:185]
	v_fma_f64 v[30:31], v[168:169], v[28:29], -v[30:31]
	v_mul_f64 v[168:169], v[168:169], v[178:179]
	ds_read2_b64 v[184:187], v180 offset0:72 offset1:73
	v_fmac_f64_e32 v[168:169], v[170:171], v[28:29]
	s_waitcnt vmcnt(6)
	v_add_f64 v[22:23], v[22:23], -v[168:169]
	ds_read2_b64 v[168:171], v180 offset0:74 offset1:75
	v_add_f64 v[20:21], v[20:21], -v[30:31]
	s_waitcnt lgkmcnt(1)
	v_mul_f64 v[30:31], v[186:187], v[178:179]
	v_fma_f64 v[30:31], v[184:185], v[28:29], -v[30:31]
	v_mul_f64 v[184:185], v[184:185], v[178:179]
	v_fmac_f64_e32 v[184:185], v[186:187], v[28:29]
	s_waitcnt vmcnt(5)
	v_add_f64 v[16:17], v[16:17], -v[30:31]
	s_waitcnt lgkmcnt(0)
	v_mul_f64 v[30:31], v[170:171], v[178:179]
	v_add_f64 v[18:19], v[18:19], -v[184:185]
	v_fma_f64 v[30:31], v[168:169], v[28:29], -v[30:31]
	v_mul_f64 v[168:169], v[168:169], v[178:179]
	ds_read2_b64 v[184:187], v180 offset0:76 offset1:77
	v_fmac_f64_e32 v[168:169], v[170:171], v[28:29]
	s_waitcnt vmcnt(4)
	v_add_f64 v[14:15], v[14:15], -v[168:169]
	ds_read2_b64 v[168:171], v180 offset0:78 offset1:79
	v_add_f64 v[12:13], v[12:13], -v[30:31]
	s_waitcnt lgkmcnt(1)
	v_mul_f64 v[30:31], v[186:187], v[178:179]
	v_fma_f64 v[30:31], v[184:185], v[28:29], -v[30:31]
	v_mul_f64 v[184:185], v[184:185], v[178:179]
	v_fmac_f64_e32 v[184:185], v[186:187], v[28:29]
	s_waitcnt vmcnt(3)
	v_add_f64 v[8:9], v[8:9], -v[30:31]
	s_waitcnt lgkmcnt(0)
	v_mul_f64 v[30:31], v[170:171], v[178:179]
	v_add_f64 v[10:11], v[10:11], -v[184:185]
	v_fma_f64 v[30:31], v[168:169], v[28:29], -v[30:31]
	v_mul_f64 v[168:169], v[168:169], v[178:179]
	ds_read2_b64 v[184:187], v180 offset0:80 offset1:81
	v_fmac_f64_e32 v[168:169], v[170:171], v[28:29]
	s_waitcnt vmcnt(2)
	v_add_f64 v[6:7], v[6:7], -v[168:169]
	ds_read2_b64 v[168:171], v180 offset0:82 offset1:83
	v_add_f64 v[4:5], v[4:5], -v[30:31]
	s_waitcnt lgkmcnt(1)
	v_mul_f64 v[30:31], v[186:187], v[178:179]
	v_fma_f64 v[30:31], v[184:185], v[28:29], -v[30:31]
	s_waitcnt vmcnt(1)
	v_add_f64 v[0:1], v[0:1], -v[30:31]
	s_waitcnt lgkmcnt(0)
	v_mul_f64 v[30:31], v[170:171], v[178:179]
	v_mul_f64 v[184:185], v[184:185], v[178:179]
	v_fma_f64 v[30:31], v[168:169], v[28:29], -v[30:31]
	v_mul_f64 v[168:169], v[168:169], v[178:179]
	v_fmac_f64_e32 v[184:185], v[186:187], v[28:29]
	v_fmac_f64_e32 v[168:169], v[170:171], v[28:29]
	v_add_f64 v[2:3], v[2:3], -v[184:185]
	s_waitcnt vmcnt(0)
	v_add_f64 v[164:165], v[164:165], -v[30:31]
	v_add_f64 v[166:167], v[166:167], -v[168:169]
	v_mov_b64_e32 v[30:31], v[178:179]
.LBB82_713:
	s_or_b64 exec, exec, s[0:1]
	v_lshl_add_u32 v168, v181, 4, v180
	s_barrier
	s_waitcnt vmcnt(7)
	ds_write2_b64 v168, v[24:25], v[26:27] offset1:1
	s_waitcnt lgkmcnt(0)
	s_barrier
	ds_read2_b64 v[168:171], v180 offset0:68 offset1:69
	s_cmp_lt_i32 s20, 36
	v_mov_b32_e32 v178, 34
	s_cbranch_scc1 .LBB82_716
; %bb.714:
	v_add_u32_e32 v179, 0x230, v180
	s_mov_b32 s16, 35
	v_mov_b32_e32 v178, 34
.LBB82_715:                             ; =>This Inner Loop Header: Depth=1
	ds_read2_b64 v[184:187], v179 offset1:1
	s_waitcnt lgkmcnt(1)
	v_xor_b32_e32 v189, 0x80000000, v169
	v_xor_b32_e32 v191, 0x80000000, v171
	v_cmp_gt_f64_e32 vcc, 0, v[170:171]
	v_cmp_gt_f64_e64 s[0:1], 0, v[168:169]
	v_mov_b32_e32 v188, v168
	v_mov_b32_e32 v190, v170
	v_cndmask_b32_e64 v189, v169, v189, s[0:1]
	v_cndmask_b32_e32 v191, v171, v191, vcc
	v_add_f64 v[188:189], v[188:189], v[190:191]
	s_waitcnt lgkmcnt(0)
	v_xor_b32_e32 v191, 0x80000000, v185
	v_xor_b32_e32 v193, 0x80000000, v187
	v_cmp_gt_f64_e32 vcc, 0, v[186:187]
	v_cmp_gt_f64_e64 s[0:1], 0, v[184:185]
	v_mov_b32_e32 v190, v184
	v_mov_b32_e32 v192, v186
	v_cndmask_b32_e64 v191, v185, v191, s[0:1]
	v_cndmask_b32_e32 v193, v187, v193, vcc
	v_add_f64 v[190:191], v[190:191], v[192:193]
	v_mov_b32_e32 v194, s16
	s_add_i32 s16, s16, 1
	v_cmp_lt_f64_e32 vcc, v[188:189], v[190:191]
	v_add_u32_e32 v179, 16, v179
	s_cmp_lg_u32 s20, s16
	v_cndmask_b32_e32 v169, v169, v185, vcc
	v_cndmask_b32_e32 v168, v168, v184, vcc
	;; [unrolled: 1-line block ×5, first 2 shown]
	s_cbranch_scc1 .LBB82_715
.LBB82_716:
	s_waitcnt lgkmcnt(0)
	v_cmp_eq_f64_e32 vcc, 0, v[168:169]
	v_cmp_eq_f64_e64 s[0:1], 0, v[170:171]
	s_and_b64 s[0:1], vcc, s[0:1]
	s_and_saveexec_b64 s[16:17], s[0:1]
	s_xor_b64 s[0:1], exec, s[16:17]
; %bb.717:
	v_cmp_ne_u32_e32 vcc, 0, v182
	s_nop 1
	v_cndmask_b32_e32 v182, 35, v182, vcc
; %bb.718:
	s_andn2_saveexec_b64 s[0:1], s[0:1]
	s_cbranch_execz .LBB82_724
; %bb.719:
	v_cmp_ngt_f64_e64 s[16:17], |v[168:169]|, |v[170:171]|
	s_and_saveexec_b64 s[18:19], s[16:17]
	s_xor_b64 s[16:17], exec, s[18:19]
	s_cbranch_execz .LBB82_721
; %bb.720:
	v_div_scale_f64 v[184:185], s[18:19], v[170:171], v[170:171], v[168:169]
	v_rcp_f64_e32 v[186:187], v[184:185]
	v_div_scale_f64 v[188:189], vcc, v[168:169], v[170:171], v[168:169]
	v_fma_f64 v[190:191], -v[184:185], v[186:187], 1.0
	v_fmac_f64_e32 v[186:187], v[186:187], v[190:191]
	v_fma_f64 v[190:191], -v[184:185], v[186:187], 1.0
	v_fmac_f64_e32 v[186:187], v[186:187], v[190:191]
	v_mul_f64 v[190:191], v[188:189], v[186:187]
	v_fma_f64 v[184:185], -v[184:185], v[190:191], v[188:189]
	v_div_fmas_f64 v[184:185], v[184:185], v[186:187], v[190:191]
	v_div_fixup_f64 v[184:185], v[184:185], v[170:171], v[168:169]
	v_fmac_f64_e32 v[170:171], v[168:169], v[184:185]
	v_div_scale_f64 v[168:169], s[18:19], v[170:171], v[170:171], 1.0
	v_rcp_f64_e32 v[186:187], v[168:169]
	s_nop 0
	v_fma_f64 v[188:189], -v[168:169], v[186:187], 1.0
	v_fmac_f64_e32 v[186:187], v[186:187], v[188:189]
	v_fma_f64 v[188:189], -v[168:169], v[186:187], 1.0
	v_fmac_f64_e32 v[186:187], v[186:187], v[188:189]
	v_div_scale_f64 v[188:189], vcc, 1.0, v[170:171], 1.0
	v_mul_f64 v[190:191], v[188:189], v[186:187]
	v_fma_f64 v[168:169], -v[168:169], v[190:191], v[188:189]
	s_nop 1
	v_div_fmas_f64 v[168:169], v[168:169], v[186:187], v[190:191]
	v_div_fixup_f64 v[170:171], v[168:169], v[170:171], 1.0
	v_mul_f64 v[168:169], v[184:185], v[170:171]
	v_xor_b32_e32 v171, 0x80000000, v171
.LBB82_721:
	s_andn2_saveexec_b64 s[16:17], s[16:17]
	s_cbranch_execz .LBB82_723
; %bb.722:
	v_div_scale_f64 v[184:185], s[18:19], v[168:169], v[168:169], v[170:171]
	v_rcp_f64_e32 v[186:187], v[184:185]
	v_div_scale_f64 v[188:189], vcc, v[170:171], v[168:169], v[170:171]
	v_fma_f64 v[190:191], -v[184:185], v[186:187], 1.0
	v_fmac_f64_e32 v[186:187], v[186:187], v[190:191]
	v_fma_f64 v[190:191], -v[184:185], v[186:187], 1.0
	v_fmac_f64_e32 v[186:187], v[186:187], v[190:191]
	v_mul_f64 v[190:191], v[188:189], v[186:187]
	v_fma_f64 v[184:185], -v[184:185], v[190:191], v[188:189]
	v_div_fmas_f64 v[184:185], v[184:185], v[186:187], v[190:191]
	v_div_fixup_f64 v[184:185], v[184:185], v[168:169], v[170:171]
	v_fmac_f64_e32 v[168:169], v[170:171], v[184:185]
	v_div_scale_f64 v[170:171], s[18:19], v[168:169], v[168:169], 1.0
	v_rcp_f64_e32 v[186:187], v[170:171]
	s_nop 0
	v_fma_f64 v[188:189], -v[170:171], v[186:187], 1.0
	v_fmac_f64_e32 v[186:187], v[186:187], v[188:189]
	v_fma_f64 v[188:189], -v[170:171], v[186:187], 1.0
	v_fmac_f64_e32 v[186:187], v[186:187], v[188:189]
	v_div_scale_f64 v[188:189], vcc, 1.0, v[168:169], 1.0
	v_mul_f64 v[190:191], v[188:189], v[186:187]
	v_fma_f64 v[170:171], -v[170:171], v[190:191], v[188:189]
	s_nop 1
	v_div_fmas_f64 v[170:171], v[170:171], v[186:187], v[190:191]
	v_div_fixup_f64 v[168:169], v[170:171], v[168:169], 1.0
	v_mul_f64 v[170:171], v[184:185], -v[168:169]
.LBB82_723:
	s_or_b64 exec, exec, s[16:17]
.LBB82_724:
	s_or_b64 exec, exec, s[0:1]
	v_cmp_ne_u32_e32 vcc, v181, v178
	s_and_saveexec_b64 s[0:1], vcc
	s_xor_b64 s[0:1], exec, s[0:1]
	s_cbranch_execz .LBB82_730
; %bb.725:
	v_cmp_eq_u32_e32 vcc, 34, v181
	s_and_saveexec_b64 s[16:17], vcc
	s_cbranch_execz .LBB82_729
; %bb.726:
	v_cmp_ne_u32_e32 vcc, 34, v178
	s_xor_b64 s[18:19], s[14:15], -1
	s_and_b64 s[22:23], s[18:19], vcc
	s_and_saveexec_b64 s[18:19], s[22:23]
	s_cbranch_execz .LBB82_728
; %bb.727:
	v_ashrrev_i32_e32 v179, 31, v178
	v_lshl_add_u64 v[184:185], v[178:179], 2, v[176:177]
	global_load_dword v179, v[184:185], off
	global_load_dword v181, v[176:177], off offset:136
	s_waitcnt vmcnt(1)
	global_store_dword v[176:177], v179, off offset:136
	s_waitcnt vmcnt(1)
	global_store_dword v[184:185], v181, off
.LBB82_728:
	s_or_b64 exec, exec, s[18:19]
	v_mov_b32_e32 v181, v178
	v_mov_b32_e32 v183, v178
.LBB82_729:
	s_or_b64 exec, exec, s[16:17]
.LBB82_730:
	s_andn2_saveexec_b64 s[0:1], s[0:1]
	s_cbranch_execz .LBB82_732
; %bb.731:
	v_mov_b32_e32 v181, 34
	s_waitcnt vmcnt(6)
	ds_write2_b64 v180, v[20:21], v[22:23] offset0:70 offset1:71
	s_waitcnt vmcnt(5)
	ds_write2_b64 v180, v[16:17], v[18:19] offset0:72 offset1:73
	;; [unrolled: 2-line block ×7, first 2 shown]
.LBB82_732:
	s_or_b64 exec, exec, s[0:1]
	v_cmp_lt_i32_e32 vcc, 34, v181
	s_waitcnt lgkmcnt(0)
	s_barrier
	s_and_saveexec_b64 s[0:1], vcc
	s_cbranch_execz .LBB82_734
; %bb.733:
	ds_read2_b64 v[184:187], v180 offset0:70 offset1:71
	v_mul_f64 v[178:179], v[168:169], v[26:27]
	v_fmac_f64_e32 v[178:179], v[170:171], v[24:25]
	v_mul_f64 v[26:27], v[170:171], v[26:27]
	v_fma_f64 v[24:25], v[168:169], v[24:25], -v[26:27]
	ds_read2_b64 v[168:171], v180 offset0:72 offset1:73
	s_waitcnt lgkmcnt(1)
	v_mul_f64 v[26:27], v[186:187], v[178:179]
	v_fma_f64 v[26:27], v[184:185], v[24:25], -v[26:27]
	v_mul_f64 v[184:185], v[184:185], v[178:179]
	v_fmac_f64_e32 v[184:185], v[186:187], v[24:25]
	s_waitcnt vmcnt(6)
	v_add_f64 v[22:23], v[22:23], -v[184:185]
	ds_read2_b64 v[184:187], v180 offset0:74 offset1:75
	v_add_f64 v[20:21], v[20:21], -v[26:27]
	s_waitcnt lgkmcnt(1)
	v_mul_f64 v[26:27], v[170:171], v[178:179]
	v_fma_f64 v[26:27], v[168:169], v[24:25], -v[26:27]
	v_mul_f64 v[168:169], v[168:169], v[178:179]
	v_fmac_f64_e32 v[168:169], v[170:171], v[24:25]
	s_waitcnt vmcnt(5)
	v_add_f64 v[16:17], v[16:17], -v[26:27]
	v_add_f64 v[18:19], v[18:19], -v[168:169]
	ds_read2_b64 v[168:171], v180 offset0:76 offset1:77
	s_waitcnt lgkmcnt(1)
	v_mul_f64 v[26:27], v[186:187], v[178:179]
	v_fma_f64 v[26:27], v[184:185], v[24:25], -v[26:27]
	v_mul_f64 v[184:185], v[184:185], v[178:179]
	v_fmac_f64_e32 v[184:185], v[186:187], v[24:25]
	s_waitcnt vmcnt(4)
	v_add_f64 v[14:15], v[14:15], -v[184:185]
	ds_read2_b64 v[184:187], v180 offset0:78 offset1:79
	v_add_f64 v[12:13], v[12:13], -v[26:27]
	s_waitcnt lgkmcnt(1)
	v_mul_f64 v[26:27], v[170:171], v[178:179]
	v_fma_f64 v[26:27], v[168:169], v[24:25], -v[26:27]
	v_mul_f64 v[168:169], v[168:169], v[178:179]
	v_fmac_f64_e32 v[168:169], v[170:171], v[24:25]
	s_waitcnt vmcnt(3)
	v_add_f64 v[8:9], v[8:9], -v[26:27]
	v_add_f64 v[10:11], v[10:11], -v[168:169]
	ds_read2_b64 v[168:171], v180 offset0:80 offset1:81
	s_waitcnt lgkmcnt(1)
	v_mul_f64 v[26:27], v[186:187], v[178:179]
	v_fma_f64 v[26:27], v[184:185], v[24:25], -v[26:27]
	v_mul_f64 v[184:185], v[184:185], v[178:179]
	v_fmac_f64_e32 v[184:185], v[186:187], v[24:25]
	s_waitcnt vmcnt(2)
	v_add_f64 v[6:7], v[6:7], -v[184:185]
	ds_read2_b64 v[184:187], v180 offset0:82 offset1:83
	v_add_f64 v[4:5], v[4:5], -v[26:27]
	s_waitcnt lgkmcnt(1)
	v_mul_f64 v[26:27], v[170:171], v[178:179]
	v_fma_f64 v[26:27], v[168:169], v[24:25], -v[26:27]
	v_mul_f64 v[168:169], v[168:169], v[178:179]
	v_fmac_f64_e32 v[168:169], v[170:171], v[24:25]
	s_waitcnt vmcnt(1)
	v_add_f64 v[0:1], v[0:1], -v[26:27]
	v_add_f64 v[2:3], v[2:3], -v[168:169]
	s_waitcnt lgkmcnt(0)
	v_mul_f64 v[26:27], v[186:187], v[178:179]
	v_mul_f64 v[168:169], v[184:185], v[178:179]
	v_fma_f64 v[26:27], v[184:185], v[24:25], -v[26:27]
	v_fmac_f64_e32 v[168:169], v[186:187], v[24:25]
	s_waitcnt vmcnt(0)
	v_add_f64 v[164:165], v[164:165], -v[26:27]
	v_add_f64 v[166:167], v[166:167], -v[168:169]
	v_mov_b64_e32 v[26:27], v[178:179]
.LBB82_734:
	s_or_b64 exec, exec, s[0:1]
	v_lshl_add_u32 v168, v181, 4, v180
	s_barrier
	s_waitcnt vmcnt(6)
	ds_write2_b64 v168, v[20:21], v[22:23] offset1:1
	s_waitcnt lgkmcnt(0)
	s_barrier
	ds_read2_b64 v[168:171], v180 offset0:70 offset1:71
	s_cmp_lt_i32 s20, 37
	v_mov_b32_e32 v178, 35
	s_cbranch_scc1 .LBB82_737
; %bb.735:
	v_add_u32_e32 v179, 0x240, v180
	s_mov_b32 s16, 36
	v_mov_b32_e32 v178, 35
.LBB82_736:                             ; =>This Inner Loop Header: Depth=1
	ds_read2_b64 v[184:187], v179 offset1:1
	s_waitcnt lgkmcnt(1)
	v_xor_b32_e32 v189, 0x80000000, v169
	v_xor_b32_e32 v191, 0x80000000, v171
	v_cmp_gt_f64_e32 vcc, 0, v[170:171]
	v_cmp_gt_f64_e64 s[0:1], 0, v[168:169]
	v_mov_b32_e32 v188, v168
	v_mov_b32_e32 v190, v170
	v_cndmask_b32_e64 v189, v169, v189, s[0:1]
	v_cndmask_b32_e32 v191, v171, v191, vcc
	v_add_f64 v[188:189], v[188:189], v[190:191]
	s_waitcnt lgkmcnt(0)
	v_xor_b32_e32 v191, 0x80000000, v185
	v_xor_b32_e32 v193, 0x80000000, v187
	v_cmp_gt_f64_e32 vcc, 0, v[186:187]
	v_cmp_gt_f64_e64 s[0:1], 0, v[184:185]
	v_mov_b32_e32 v190, v184
	v_mov_b32_e32 v192, v186
	v_cndmask_b32_e64 v191, v185, v191, s[0:1]
	v_cndmask_b32_e32 v193, v187, v193, vcc
	v_add_f64 v[190:191], v[190:191], v[192:193]
	v_mov_b32_e32 v194, s16
	s_add_i32 s16, s16, 1
	v_cmp_lt_f64_e32 vcc, v[188:189], v[190:191]
	v_add_u32_e32 v179, 16, v179
	s_cmp_lg_u32 s20, s16
	v_cndmask_b32_e32 v169, v169, v185, vcc
	v_cndmask_b32_e32 v168, v168, v184, vcc
	;; [unrolled: 1-line block ×5, first 2 shown]
	s_cbranch_scc1 .LBB82_736
.LBB82_737:
	s_waitcnt lgkmcnt(0)
	v_cmp_eq_f64_e32 vcc, 0, v[168:169]
	v_cmp_eq_f64_e64 s[0:1], 0, v[170:171]
	s_and_b64 s[0:1], vcc, s[0:1]
	s_and_saveexec_b64 s[16:17], s[0:1]
	s_xor_b64 s[0:1], exec, s[16:17]
; %bb.738:
	v_cmp_ne_u32_e32 vcc, 0, v182
	s_nop 1
	v_cndmask_b32_e32 v182, 36, v182, vcc
; %bb.739:
	s_andn2_saveexec_b64 s[0:1], s[0:1]
	s_cbranch_execz .LBB82_745
; %bb.740:
	v_cmp_ngt_f64_e64 s[16:17], |v[168:169]|, |v[170:171]|
	s_and_saveexec_b64 s[18:19], s[16:17]
	s_xor_b64 s[16:17], exec, s[18:19]
	s_cbranch_execz .LBB82_742
; %bb.741:
	v_div_scale_f64 v[184:185], s[18:19], v[170:171], v[170:171], v[168:169]
	v_rcp_f64_e32 v[186:187], v[184:185]
	v_div_scale_f64 v[188:189], vcc, v[168:169], v[170:171], v[168:169]
	v_fma_f64 v[190:191], -v[184:185], v[186:187], 1.0
	v_fmac_f64_e32 v[186:187], v[186:187], v[190:191]
	v_fma_f64 v[190:191], -v[184:185], v[186:187], 1.0
	v_fmac_f64_e32 v[186:187], v[186:187], v[190:191]
	v_mul_f64 v[190:191], v[188:189], v[186:187]
	v_fma_f64 v[184:185], -v[184:185], v[190:191], v[188:189]
	v_div_fmas_f64 v[184:185], v[184:185], v[186:187], v[190:191]
	v_div_fixup_f64 v[184:185], v[184:185], v[170:171], v[168:169]
	v_fmac_f64_e32 v[170:171], v[168:169], v[184:185]
	v_div_scale_f64 v[168:169], s[18:19], v[170:171], v[170:171], 1.0
	v_rcp_f64_e32 v[186:187], v[168:169]
	s_nop 0
	v_fma_f64 v[188:189], -v[168:169], v[186:187], 1.0
	v_fmac_f64_e32 v[186:187], v[186:187], v[188:189]
	v_fma_f64 v[188:189], -v[168:169], v[186:187], 1.0
	v_fmac_f64_e32 v[186:187], v[186:187], v[188:189]
	v_div_scale_f64 v[188:189], vcc, 1.0, v[170:171], 1.0
	v_mul_f64 v[190:191], v[188:189], v[186:187]
	v_fma_f64 v[168:169], -v[168:169], v[190:191], v[188:189]
	s_nop 1
	v_div_fmas_f64 v[168:169], v[168:169], v[186:187], v[190:191]
	v_div_fixup_f64 v[170:171], v[168:169], v[170:171], 1.0
	v_mul_f64 v[168:169], v[184:185], v[170:171]
	v_xor_b32_e32 v171, 0x80000000, v171
.LBB82_742:
	s_andn2_saveexec_b64 s[16:17], s[16:17]
	s_cbranch_execz .LBB82_744
; %bb.743:
	v_div_scale_f64 v[184:185], s[18:19], v[168:169], v[168:169], v[170:171]
	v_rcp_f64_e32 v[186:187], v[184:185]
	v_div_scale_f64 v[188:189], vcc, v[170:171], v[168:169], v[170:171]
	v_fma_f64 v[190:191], -v[184:185], v[186:187], 1.0
	v_fmac_f64_e32 v[186:187], v[186:187], v[190:191]
	v_fma_f64 v[190:191], -v[184:185], v[186:187], 1.0
	v_fmac_f64_e32 v[186:187], v[186:187], v[190:191]
	v_mul_f64 v[190:191], v[188:189], v[186:187]
	v_fma_f64 v[184:185], -v[184:185], v[190:191], v[188:189]
	v_div_fmas_f64 v[184:185], v[184:185], v[186:187], v[190:191]
	v_div_fixup_f64 v[184:185], v[184:185], v[168:169], v[170:171]
	v_fmac_f64_e32 v[168:169], v[170:171], v[184:185]
	v_div_scale_f64 v[170:171], s[18:19], v[168:169], v[168:169], 1.0
	v_rcp_f64_e32 v[186:187], v[170:171]
	s_nop 0
	v_fma_f64 v[188:189], -v[170:171], v[186:187], 1.0
	v_fmac_f64_e32 v[186:187], v[186:187], v[188:189]
	v_fma_f64 v[188:189], -v[170:171], v[186:187], 1.0
	v_fmac_f64_e32 v[186:187], v[186:187], v[188:189]
	v_div_scale_f64 v[188:189], vcc, 1.0, v[168:169], 1.0
	v_mul_f64 v[190:191], v[188:189], v[186:187]
	v_fma_f64 v[170:171], -v[170:171], v[190:191], v[188:189]
	s_nop 1
	v_div_fmas_f64 v[170:171], v[170:171], v[186:187], v[190:191]
	v_div_fixup_f64 v[168:169], v[170:171], v[168:169], 1.0
	v_mul_f64 v[170:171], v[184:185], -v[168:169]
.LBB82_744:
	s_or_b64 exec, exec, s[16:17]
.LBB82_745:
	s_or_b64 exec, exec, s[0:1]
	v_cmp_ne_u32_e32 vcc, v181, v178
	s_and_saveexec_b64 s[0:1], vcc
	s_xor_b64 s[0:1], exec, s[0:1]
	s_cbranch_execz .LBB82_751
; %bb.746:
	v_cmp_eq_u32_e32 vcc, 35, v181
	s_and_saveexec_b64 s[16:17], vcc
	s_cbranch_execz .LBB82_750
; %bb.747:
	v_cmp_ne_u32_e32 vcc, 35, v178
	s_xor_b64 s[18:19], s[14:15], -1
	s_and_b64 s[22:23], s[18:19], vcc
	s_and_saveexec_b64 s[18:19], s[22:23]
	s_cbranch_execz .LBB82_749
; %bb.748:
	v_ashrrev_i32_e32 v179, 31, v178
	v_lshl_add_u64 v[184:185], v[178:179], 2, v[176:177]
	global_load_dword v179, v[184:185], off
	global_load_dword v181, v[176:177], off offset:140
	s_waitcnt vmcnt(1)
	global_store_dword v[176:177], v179, off offset:140
	s_waitcnt vmcnt(1)
	global_store_dword v[184:185], v181, off
.LBB82_749:
	s_or_b64 exec, exec, s[18:19]
	v_mov_b32_e32 v181, v178
	v_mov_b32_e32 v183, v178
.LBB82_750:
	s_or_b64 exec, exec, s[16:17]
.LBB82_751:
	s_andn2_saveexec_b64 s[0:1], s[0:1]
	s_cbranch_execz .LBB82_753
; %bb.752:
	v_mov_b32_e32 v181, 35
	s_waitcnt vmcnt(5)
	ds_write2_b64 v180, v[16:17], v[18:19] offset0:72 offset1:73
	s_waitcnt vmcnt(4)
	ds_write2_b64 v180, v[12:13], v[14:15] offset0:74 offset1:75
	;; [unrolled: 2-line block ×6, first 2 shown]
.LBB82_753:
	s_or_b64 exec, exec, s[0:1]
	v_cmp_lt_i32_e32 vcc, 35, v181
	s_waitcnt lgkmcnt(0)
	s_barrier
	s_and_saveexec_b64 s[0:1], vcc
	s_cbranch_execz .LBB82_755
; %bb.754:
	ds_read2_b64 v[184:187], v180 offset0:72 offset1:73
	v_mul_f64 v[178:179], v[168:169], v[22:23]
	v_mul_f64 v[22:23], v[170:171], v[22:23]
	v_fmac_f64_e32 v[178:179], v[170:171], v[20:21]
	v_fma_f64 v[20:21], v[168:169], v[20:21], -v[22:23]
	ds_read2_b64 v[168:171], v180 offset0:74 offset1:75
	s_waitcnt lgkmcnt(1)
	v_mul_f64 v[22:23], v[186:187], v[178:179]
	v_fma_f64 v[22:23], v[184:185], v[20:21], -v[22:23]
	v_mul_f64 v[184:185], v[184:185], v[178:179]
	v_fmac_f64_e32 v[184:185], v[186:187], v[20:21]
	s_waitcnt vmcnt(5)
	v_add_f64 v[16:17], v[16:17], -v[22:23]
	s_waitcnt lgkmcnt(0)
	v_mul_f64 v[22:23], v[170:171], v[178:179]
	v_add_f64 v[18:19], v[18:19], -v[184:185]
	v_fma_f64 v[22:23], v[168:169], v[20:21], -v[22:23]
	v_mul_f64 v[168:169], v[168:169], v[178:179]
	ds_read2_b64 v[184:187], v180 offset0:76 offset1:77
	v_fmac_f64_e32 v[168:169], v[170:171], v[20:21]
	s_waitcnt vmcnt(4)
	v_add_f64 v[14:15], v[14:15], -v[168:169]
	ds_read2_b64 v[168:171], v180 offset0:78 offset1:79
	v_add_f64 v[12:13], v[12:13], -v[22:23]
	s_waitcnt lgkmcnt(1)
	v_mul_f64 v[22:23], v[186:187], v[178:179]
	v_fma_f64 v[22:23], v[184:185], v[20:21], -v[22:23]
	v_mul_f64 v[184:185], v[184:185], v[178:179]
	v_fmac_f64_e32 v[184:185], v[186:187], v[20:21]
	s_waitcnt vmcnt(3)
	v_add_f64 v[8:9], v[8:9], -v[22:23]
	s_waitcnt lgkmcnt(0)
	v_mul_f64 v[22:23], v[170:171], v[178:179]
	v_add_f64 v[10:11], v[10:11], -v[184:185]
	v_fma_f64 v[22:23], v[168:169], v[20:21], -v[22:23]
	v_mul_f64 v[168:169], v[168:169], v[178:179]
	ds_read2_b64 v[184:187], v180 offset0:80 offset1:81
	v_fmac_f64_e32 v[168:169], v[170:171], v[20:21]
	s_waitcnt vmcnt(2)
	v_add_f64 v[6:7], v[6:7], -v[168:169]
	ds_read2_b64 v[168:171], v180 offset0:82 offset1:83
	v_add_f64 v[4:5], v[4:5], -v[22:23]
	s_waitcnt lgkmcnt(1)
	v_mul_f64 v[22:23], v[186:187], v[178:179]
	v_fma_f64 v[22:23], v[184:185], v[20:21], -v[22:23]
	s_waitcnt vmcnt(1)
	v_add_f64 v[0:1], v[0:1], -v[22:23]
	s_waitcnt lgkmcnt(0)
	v_mul_f64 v[22:23], v[170:171], v[178:179]
	v_mul_f64 v[184:185], v[184:185], v[178:179]
	v_fma_f64 v[22:23], v[168:169], v[20:21], -v[22:23]
	v_mul_f64 v[168:169], v[168:169], v[178:179]
	v_fmac_f64_e32 v[184:185], v[186:187], v[20:21]
	v_fmac_f64_e32 v[168:169], v[170:171], v[20:21]
	v_add_f64 v[2:3], v[2:3], -v[184:185]
	s_waitcnt vmcnt(0)
	v_add_f64 v[164:165], v[164:165], -v[22:23]
	v_add_f64 v[166:167], v[166:167], -v[168:169]
	v_mov_b64_e32 v[22:23], v[178:179]
.LBB82_755:
	s_or_b64 exec, exec, s[0:1]
	v_lshl_add_u32 v168, v181, 4, v180
	s_barrier
	s_waitcnt vmcnt(5)
	ds_write2_b64 v168, v[16:17], v[18:19] offset1:1
	s_waitcnt lgkmcnt(0)
	s_barrier
	ds_read2_b64 v[168:171], v180 offset0:72 offset1:73
	s_cmp_lt_i32 s20, 38
	v_mov_b32_e32 v178, 36
	s_cbranch_scc1 .LBB82_758
; %bb.756:
	v_add_u32_e32 v179, 0x250, v180
	s_mov_b32 s16, 37
	v_mov_b32_e32 v178, 36
.LBB82_757:                             ; =>This Inner Loop Header: Depth=1
	ds_read2_b64 v[184:187], v179 offset1:1
	s_waitcnt lgkmcnt(1)
	v_xor_b32_e32 v189, 0x80000000, v169
	v_xor_b32_e32 v191, 0x80000000, v171
	v_cmp_gt_f64_e32 vcc, 0, v[170:171]
	v_cmp_gt_f64_e64 s[0:1], 0, v[168:169]
	v_mov_b32_e32 v188, v168
	v_mov_b32_e32 v190, v170
	v_cndmask_b32_e64 v189, v169, v189, s[0:1]
	v_cndmask_b32_e32 v191, v171, v191, vcc
	v_add_f64 v[188:189], v[188:189], v[190:191]
	s_waitcnt lgkmcnt(0)
	v_xor_b32_e32 v191, 0x80000000, v185
	v_xor_b32_e32 v193, 0x80000000, v187
	v_cmp_gt_f64_e32 vcc, 0, v[186:187]
	v_cmp_gt_f64_e64 s[0:1], 0, v[184:185]
	v_mov_b32_e32 v190, v184
	v_mov_b32_e32 v192, v186
	v_cndmask_b32_e64 v191, v185, v191, s[0:1]
	v_cndmask_b32_e32 v193, v187, v193, vcc
	v_add_f64 v[190:191], v[190:191], v[192:193]
	v_mov_b32_e32 v194, s16
	s_add_i32 s16, s16, 1
	v_cmp_lt_f64_e32 vcc, v[188:189], v[190:191]
	v_add_u32_e32 v179, 16, v179
	s_cmp_lg_u32 s20, s16
	v_cndmask_b32_e32 v169, v169, v185, vcc
	v_cndmask_b32_e32 v168, v168, v184, vcc
	;; [unrolled: 1-line block ×5, first 2 shown]
	s_cbranch_scc1 .LBB82_757
.LBB82_758:
	s_waitcnt lgkmcnt(0)
	v_cmp_eq_f64_e32 vcc, 0, v[168:169]
	v_cmp_eq_f64_e64 s[0:1], 0, v[170:171]
	s_and_b64 s[0:1], vcc, s[0:1]
	s_and_saveexec_b64 s[16:17], s[0:1]
	s_xor_b64 s[0:1], exec, s[16:17]
; %bb.759:
	v_cmp_ne_u32_e32 vcc, 0, v182
	s_nop 1
	v_cndmask_b32_e32 v182, 37, v182, vcc
; %bb.760:
	s_andn2_saveexec_b64 s[0:1], s[0:1]
	s_cbranch_execz .LBB82_766
; %bb.761:
	v_cmp_ngt_f64_e64 s[16:17], |v[168:169]|, |v[170:171]|
	s_and_saveexec_b64 s[18:19], s[16:17]
	s_xor_b64 s[16:17], exec, s[18:19]
	s_cbranch_execz .LBB82_763
; %bb.762:
	v_div_scale_f64 v[184:185], s[18:19], v[170:171], v[170:171], v[168:169]
	v_rcp_f64_e32 v[186:187], v[184:185]
	v_div_scale_f64 v[188:189], vcc, v[168:169], v[170:171], v[168:169]
	v_fma_f64 v[190:191], -v[184:185], v[186:187], 1.0
	v_fmac_f64_e32 v[186:187], v[186:187], v[190:191]
	v_fma_f64 v[190:191], -v[184:185], v[186:187], 1.0
	v_fmac_f64_e32 v[186:187], v[186:187], v[190:191]
	v_mul_f64 v[190:191], v[188:189], v[186:187]
	v_fma_f64 v[184:185], -v[184:185], v[190:191], v[188:189]
	v_div_fmas_f64 v[184:185], v[184:185], v[186:187], v[190:191]
	v_div_fixup_f64 v[184:185], v[184:185], v[170:171], v[168:169]
	v_fmac_f64_e32 v[170:171], v[168:169], v[184:185]
	v_div_scale_f64 v[168:169], s[18:19], v[170:171], v[170:171], 1.0
	v_rcp_f64_e32 v[186:187], v[168:169]
	s_nop 0
	v_fma_f64 v[188:189], -v[168:169], v[186:187], 1.0
	v_fmac_f64_e32 v[186:187], v[186:187], v[188:189]
	v_fma_f64 v[188:189], -v[168:169], v[186:187], 1.0
	v_fmac_f64_e32 v[186:187], v[186:187], v[188:189]
	v_div_scale_f64 v[188:189], vcc, 1.0, v[170:171], 1.0
	v_mul_f64 v[190:191], v[188:189], v[186:187]
	v_fma_f64 v[168:169], -v[168:169], v[190:191], v[188:189]
	s_nop 1
	v_div_fmas_f64 v[168:169], v[168:169], v[186:187], v[190:191]
	v_div_fixup_f64 v[170:171], v[168:169], v[170:171], 1.0
	v_mul_f64 v[168:169], v[184:185], v[170:171]
	v_xor_b32_e32 v171, 0x80000000, v171
.LBB82_763:
	s_andn2_saveexec_b64 s[16:17], s[16:17]
	s_cbranch_execz .LBB82_765
; %bb.764:
	v_div_scale_f64 v[184:185], s[18:19], v[168:169], v[168:169], v[170:171]
	v_rcp_f64_e32 v[186:187], v[184:185]
	v_div_scale_f64 v[188:189], vcc, v[170:171], v[168:169], v[170:171]
	v_fma_f64 v[190:191], -v[184:185], v[186:187], 1.0
	v_fmac_f64_e32 v[186:187], v[186:187], v[190:191]
	v_fma_f64 v[190:191], -v[184:185], v[186:187], 1.0
	v_fmac_f64_e32 v[186:187], v[186:187], v[190:191]
	v_mul_f64 v[190:191], v[188:189], v[186:187]
	v_fma_f64 v[184:185], -v[184:185], v[190:191], v[188:189]
	v_div_fmas_f64 v[184:185], v[184:185], v[186:187], v[190:191]
	v_div_fixup_f64 v[184:185], v[184:185], v[168:169], v[170:171]
	v_fmac_f64_e32 v[168:169], v[170:171], v[184:185]
	v_div_scale_f64 v[170:171], s[18:19], v[168:169], v[168:169], 1.0
	v_rcp_f64_e32 v[186:187], v[170:171]
	s_nop 0
	v_fma_f64 v[188:189], -v[170:171], v[186:187], 1.0
	v_fmac_f64_e32 v[186:187], v[186:187], v[188:189]
	v_fma_f64 v[188:189], -v[170:171], v[186:187], 1.0
	v_fmac_f64_e32 v[186:187], v[186:187], v[188:189]
	v_div_scale_f64 v[188:189], vcc, 1.0, v[168:169], 1.0
	v_mul_f64 v[190:191], v[188:189], v[186:187]
	v_fma_f64 v[170:171], -v[170:171], v[190:191], v[188:189]
	s_nop 1
	v_div_fmas_f64 v[170:171], v[170:171], v[186:187], v[190:191]
	v_div_fixup_f64 v[168:169], v[170:171], v[168:169], 1.0
	v_mul_f64 v[170:171], v[184:185], -v[168:169]
.LBB82_765:
	s_or_b64 exec, exec, s[16:17]
.LBB82_766:
	s_or_b64 exec, exec, s[0:1]
	v_cmp_ne_u32_e32 vcc, v181, v178
	s_and_saveexec_b64 s[0:1], vcc
	s_xor_b64 s[0:1], exec, s[0:1]
	s_cbranch_execz .LBB82_772
; %bb.767:
	v_cmp_eq_u32_e32 vcc, 36, v181
	s_and_saveexec_b64 s[16:17], vcc
	s_cbranch_execz .LBB82_771
; %bb.768:
	v_cmp_ne_u32_e32 vcc, 36, v178
	s_xor_b64 s[18:19], s[14:15], -1
	s_and_b64 s[22:23], s[18:19], vcc
	s_and_saveexec_b64 s[18:19], s[22:23]
	s_cbranch_execz .LBB82_770
; %bb.769:
	v_ashrrev_i32_e32 v179, 31, v178
	v_lshl_add_u64 v[184:185], v[178:179], 2, v[176:177]
	global_load_dword v179, v[184:185], off
	global_load_dword v181, v[176:177], off offset:144
	s_waitcnt vmcnt(1)
	global_store_dword v[176:177], v179, off offset:144
	s_waitcnt vmcnt(1)
	global_store_dword v[184:185], v181, off
.LBB82_770:
	s_or_b64 exec, exec, s[18:19]
	v_mov_b32_e32 v181, v178
	v_mov_b32_e32 v183, v178
.LBB82_771:
	s_or_b64 exec, exec, s[16:17]
.LBB82_772:
	s_andn2_saveexec_b64 s[0:1], s[0:1]
	s_cbranch_execz .LBB82_774
; %bb.773:
	v_mov_b32_e32 v181, 36
	s_waitcnt vmcnt(4)
	ds_write2_b64 v180, v[12:13], v[14:15] offset0:74 offset1:75
	s_waitcnt vmcnt(3)
	ds_write2_b64 v180, v[8:9], v[10:11] offset0:76 offset1:77
	;; [unrolled: 2-line block ×5, first 2 shown]
.LBB82_774:
	s_or_b64 exec, exec, s[0:1]
	v_cmp_lt_i32_e32 vcc, 36, v181
	s_waitcnt lgkmcnt(0)
	s_barrier
	s_and_saveexec_b64 s[0:1], vcc
	s_cbranch_execz .LBB82_776
; %bb.775:
	ds_read2_b64 v[184:187], v180 offset0:74 offset1:75
	v_mul_f64 v[178:179], v[168:169], v[18:19]
	v_fmac_f64_e32 v[178:179], v[170:171], v[16:17]
	v_mul_f64 v[18:19], v[170:171], v[18:19]
	v_fma_f64 v[16:17], v[168:169], v[16:17], -v[18:19]
	ds_read2_b64 v[168:171], v180 offset0:76 offset1:77
	s_waitcnt lgkmcnt(1)
	v_mul_f64 v[18:19], v[186:187], v[178:179]
	v_fma_f64 v[18:19], v[184:185], v[16:17], -v[18:19]
	v_mul_f64 v[184:185], v[184:185], v[178:179]
	v_fmac_f64_e32 v[184:185], v[186:187], v[16:17]
	s_waitcnt vmcnt(4)
	v_add_f64 v[14:15], v[14:15], -v[184:185]
	ds_read2_b64 v[184:187], v180 offset0:78 offset1:79
	v_add_f64 v[12:13], v[12:13], -v[18:19]
	s_waitcnt lgkmcnt(1)
	v_mul_f64 v[18:19], v[170:171], v[178:179]
	v_fma_f64 v[18:19], v[168:169], v[16:17], -v[18:19]
	v_mul_f64 v[168:169], v[168:169], v[178:179]
	v_fmac_f64_e32 v[168:169], v[170:171], v[16:17]
	s_waitcnt vmcnt(3)
	v_add_f64 v[8:9], v[8:9], -v[18:19]
	v_add_f64 v[10:11], v[10:11], -v[168:169]
	ds_read2_b64 v[168:171], v180 offset0:80 offset1:81
	s_waitcnt lgkmcnt(1)
	v_mul_f64 v[18:19], v[186:187], v[178:179]
	v_fma_f64 v[18:19], v[184:185], v[16:17], -v[18:19]
	v_mul_f64 v[184:185], v[184:185], v[178:179]
	v_fmac_f64_e32 v[184:185], v[186:187], v[16:17]
	s_waitcnt vmcnt(2)
	v_add_f64 v[6:7], v[6:7], -v[184:185]
	ds_read2_b64 v[184:187], v180 offset0:82 offset1:83
	v_add_f64 v[4:5], v[4:5], -v[18:19]
	s_waitcnt lgkmcnt(1)
	v_mul_f64 v[18:19], v[170:171], v[178:179]
	v_fma_f64 v[18:19], v[168:169], v[16:17], -v[18:19]
	v_mul_f64 v[168:169], v[168:169], v[178:179]
	v_fmac_f64_e32 v[168:169], v[170:171], v[16:17]
	s_waitcnt vmcnt(1)
	v_add_f64 v[0:1], v[0:1], -v[18:19]
	v_add_f64 v[2:3], v[2:3], -v[168:169]
	s_waitcnt lgkmcnt(0)
	v_mul_f64 v[18:19], v[186:187], v[178:179]
	v_mul_f64 v[168:169], v[184:185], v[178:179]
	v_fma_f64 v[18:19], v[184:185], v[16:17], -v[18:19]
	v_fmac_f64_e32 v[168:169], v[186:187], v[16:17]
	s_waitcnt vmcnt(0)
	v_add_f64 v[164:165], v[164:165], -v[18:19]
	v_add_f64 v[166:167], v[166:167], -v[168:169]
	v_mov_b64_e32 v[18:19], v[178:179]
.LBB82_776:
	s_or_b64 exec, exec, s[0:1]
	v_lshl_add_u32 v168, v181, 4, v180
	s_barrier
	s_waitcnt vmcnt(4)
	ds_write2_b64 v168, v[12:13], v[14:15] offset1:1
	s_waitcnt lgkmcnt(0)
	s_barrier
	ds_read2_b64 v[168:171], v180 offset0:74 offset1:75
	s_cmp_lt_i32 s20, 39
	v_mov_b32_e32 v178, 37
	s_cbranch_scc1 .LBB82_779
; %bb.777:
	v_add_u32_e32 v179, 0x260, v180
	s_mov_b32 s16, 38
	v_mov_b32_e32 v178, 37
.LBB82_778:                             ; =>This Inner Loop Header: Depth=1
	ds_read2_b64 v[184:187], v179 offset1:1
	s_waitcnt lgkmcnt(1)
	v_xor_b32_e32 v189, 0x80000000, v169
	v_xor_b32_e32 v191, 0x80000000, v171
	v_cmp_gt_f64_e32 vcc, 0, v[170:171]
	v_cmp_gt_f64_e64 s[0:1], 0, v[168:169]
	v_mov_b32_e32 v188, v168
	v_mov_b32_e32 v190, v170
	v_cndmask_b32_e64 v189, v169, v189, s[0:1]
	v_cndmask_b32_e32 v191, v171, v191, vcc
	v_add_f64 v[188:189], v[188:189], v[190:191]
	s_waitcnt lgkmcnt(0)
	v_xor_b32_e32 v191, 0x80000000, v185
	v_xor_b32_e32 v193, 0x80000000, v187
	v_cmp_gt_f64_e32 vcc, 0, v[186:187]
	v_cmp_gt_f64_e64 s[0:1], 0, v[184:185]
	v_mov_b32_e32 v190, v184
	v_mov_b32_e32 v192, v186
	v_cndmask_b32_e64 v191, v185, v191, s[0:1]
	v_cndmask_b32_e32 v193, v187, v193, vcc
	v_add_f64 v[190:191], v[190:191], v[192:193]
	v_mov_b32_e32 v194, s16
	s_add_i32 s16, s16, 1
	v_cmp_lt_f64_e32 vcc, v[188:189], v[190:191]
	v_add_u32_e32 v179, 16, v179
	s_cmp_lg_u32 s20, s16
	v_cndmask_b32_e32 v169, v169, v185, vcc
	v_cndmask_b32_e32 v168, v168, v184, vcc
	;; [unrolled: 1-line block ×5, first 2 shown]
	s_cbranch_scc1 .LBB82_778
.LBB82_779:
	s_waitcnt lgkmcnt(0)
	v_cmp_eq_f64_e32 vcc, 0, v[168:169]
	v_cmp_eq_f64_e64 s[0:1], 0, v[170:171]
	s_and_b64 s[0:1], vcc, s[0:1]
	s_and_saveexec_b64 s[16:17], s[0:1]
	s_xor_b64 s[0:1], exec, s[16:17]
; %bb.780:
	v_cmp_ne_u32_e32 vcc, 0, v182
	s_nop 1
	v_cndmask_b32_e32 v182, 38, v182, vcc
; %bb.781:
	s_andn2_saveexec_b64 s[0:1], s[0:1]
	s_cbranch_execz .LBB82_787
; %bb.782:
	v_cmp_ngt_f64_e64 s[16:17], |v[168:169]|, |v[170:171]|
	s_and_saveexec_b64 s[18:19], s[16:17]
	s_xor_b64 s[16:17], exec, s[18:19]
	s_cbranch_execz .LBB82_784
; %bb.783:
	v_div_scale_f64 v[184:185], s[18:19], v[170:171], v[170:171], v[168:169]
	v_rcp_f64_e32 v[186:187], v[184:185]
	v_div_scale_f64 v[188:189], vcc, v[168:169], v[170:171], v[168:169]
	v_fma_f64 v[190:191], -v[184:185], v[186:187], 1.0
	v_fmac_f64_e32 v[186:187], v[186:187], v[190:191]
	v_fma_f64 v[190:191], -v[184:185], v[186:187], 1.0
	v_fmac_f64_e32 v[186:187], v[186:187], v[190:191]
	v_mul_f64 v[190:191], v[188:189], v[186:187]
	v_fma_f64 v[184:185], -v[184:185], v[190:191], v[188:189]
	v_div_fmas_f64 v[184:185], v[184:185], v[186:187], v[190:191]
	v_div_fixup_f64 v[184:185], v[184:185], v[170:171], v[168:169]
	v_fmac_f64_e32 v[170:171], v[168:169], v[184:185]
	v_div_scale_f64 v[168:169], s[18:19], v[170:171], v[170:171], 1.0
	v_rcp_f64_e32 v[186:187], v[168:169]
	s_nop 0
	v_fma_f64 v[188:189], -v[168:169], v[186:187], 1.0
	v_fmac_f64_e32 v[186:187], v[186:187], v[188:189]
	v_fma_f64 v[188:189], -v[168:169], v[186:187], 1.0
	v_fmac_f64_e32 v[186:187], v[186:187], v[188:189]
	v_div_scale_f64 v[188:189], vcc, 1.0, v[170:171], 1.0
	v_mul_f64 v[190:191], v[188:189], v[186:187]
	v_fma_f64 v[168:169], -v[168:169], v[190:191], v[188:189]
	s_nop 1
	v_div_fmas_f64 v[168:169], v[168:169], v[186:187], v[190:191]
	v_div_fixup_f64 v[170:171], v[168:169], v[170:171], 1.0
	v_mul_f64 v[168:169], v[184:185], v[170:171]
	v_xor_b32_e32 v171, 0x80000000, v171
.LBB82_784:
	s_andn2_saveexec_b64 s[16:17], s[16:17]
	s_cbranch_execz .LBB82_786
; %bb.785:
	v_div_scale_f64 v[184:185], s[18:19], v[168:169], v[168:169], v[170:171]
	v_rcp_f64_e32 v[186:187], v[184:185]
	v_div_scale_f64 v[188:189], vcc, v[170:171], v[168:169], v[170:171]
	v_fma_f64 v[190:191], -v[184:185], v[186:187], 1.0
	v_fmac_f64_e32 v[186:187], v[186:187], v[190:191]
	v_fma_f64 v[190:191], -v[184:185], v[186:187], 1.0
	v_fmac_f64_e32 v[186:187], v[186:187], v[190:191]
	v_mul_f64 v[190:191], v[188:189], v[186:187]
	v_fma_f64 v[184:185], -v[184:185], v[190:191], v[188:189]
	v_div_fmas_f64 v[184:185], v[184:185], v[186:187], v[190:191]
	v_div_fixup_f64 v[184:185], v[184:185], v[168:169], v[170:171]
	v_fmac_f64_e32 v[168:169], v[170:171], v[184:185]
	v_div_scale_f64 v[170:171], s[18:19], v[168:169], v[168:169], 1.0
	v_rcp_f64_e32 v[186:187], v[170:171]
	s_nop 0
	v_fma_f64 v[188:189], -v[170:171], v[186:187], 1.0
	v_fmac_f64_e32 v[186:187], v[186:187], v[188:189]
	v_fma_f64 v[188:189], -v[170:171], v[186:187], 1.0
	v_fmac_f64_e32 v[186:187], v[186:187], v[188:189]
	v_div_scale_f64 v[188:189], vcc, 1.0, v[168:169], 1.0
	v_mul_f64 v[190:191], v[188:189], v[186:187]
	v_fma_f64 v[170:171], -v[170:171], v[190:191], v[188:189]
	s_nop 1
	v_div_fmas_f64 v[170:171], v[170:171], v[186:187], v[190:191]
	v_div_fixup_f64 v[168:169], v[170:171], v[168:169], 1.0
	v_mul_f64 v[170:171], v[184:185], -v[168:169]
.LBB82_786:
	s_or_b64 exec, exec, s[16:17]
.LBB82_787:
	s_or_b64 exec, exec, s[0:1]
	v_cmp_ne_u32_e32 vcc, v181, v178
	s_and_saveexec_b64 s[0:1], vcc
	s_xor_b64 s[0:1], exec, s[0:1]
	s_cbranch_execz .LBB82_793
; %bb.788:
	v_cmp_eq_u32_e32 vcc, 37, v181
	s_and_saveexec_b64 s[16:17], vcc
	s_cbranch_execz .LBB82_792
; %bb.789:
	v_cmp_ne_u32_e32 vcc, 37, v178
	s_xor_b64 s[18:19], s[14:15], -1
	s_and_b64 s[22:23], s[18:19], vcc
	s_and_saveexec_b64 s[18:19], s[22:23]
	s_cbranch_execz .LBB82_791
; %bb.790:
	v_ashrrev_i32_e32 v179, 31, v178
	v_lshl_add_u64 v[184:185], v[178:179], 2, v[176:177]
	global_load_dword v179, v[184:185], off
	global_load_dword v181, v[176:177], off offset:148
	s_waitcnt vmcnt(1)
	global_store_dword v[176:177], v179, off offset:148
	s_waitcnt vmcnt(1)
	global_store_dword v[184:185], v181, off
.LBB82_791:
	s_or_b64 exec, exec, s[18:19]
	v_mov_b32_e32 v181, v178
	v_mov_b32_e32 v183, v178
.LBB82_792:
	s_or_b64 exec, exec, s[16:17]
.LBB82_793:
	s_andn2_saveexec_b64 s[0:1], s[0:1]
	s_cbranch_execz .LBB82_795
; %bb.794:
	v_mov_b32_e32 v181, 37
	s_waitcnt vmcnt(3)
	ds_write2_b64 v180, v[8:9], v[10:11] offset0:76 offset1:77
	s_waitcnt vmcnt(2)
	ds_write2_b64 v180, v[4:5], v[6:7] offset0:78 offset1:79
	;; [unrolled: 2-line block ×4, first 2 shown]
.LBB82_795:
	s_or_b64 exec, exec, s[0:1]
	v_cmp_lt_i32_e32 vcc, 37, v181
	s_waitcnt lgkmcnt(0)
	s_barrier
	s_and_saveexec_b64 s[0:1], vcc
	s_cbranch_execz .LBB82_797
; %bb.796:
	ds_read2_b64 v[184:187], v180 offset0:76 offset1:77
	v_mul_f64 v[178:179], v[168:169], v[14:15]
	v_mul_f64 v[14:15], v[170:171], v[14:15]
	v_fmac_f64_e32 v[178:179], v[170:171], v[12:13]
	v_fma_f64 v[12:13], v[168:169], v[12:13], -v[14:15]
	ds_read2_b64 v[168:171], v180 offset0:78 offset1:79
	s_waitcnt lgkmcnt(1)
	v_mul_f64 v[14:15], v[186:187], v[178:179]
	v_fma_f64 v[14:15], v[184:185], v[12:13], -v[14:15]
	v_mul_f64 v[184:185], v[184:185], v[178:179]
	v_fmac_f64_e32 v[184:185], v[186:187], v[12:13]
	s_waitcnt vmcnt(3)
	v_add_f64 v[8:9], v[8:9], -v[14:15]
	s_waitcnt lgkmcnt(0)
	v_mul_f64 v[14:15], v[170:171], v[178:179]
	v_add_f64 v[10:11], v[10:11], -v[184:185]
	v_fma_f64 v[14:15], v[168:169], v[12:13], -v[14:15]
	v_mul_f64 v[168:169], v[168:169], v[178:179]
	ds_read2_b64 v[184:187], v180 offset0:80 offset1:81
	v_fmac_f64_e32 v[168:169], v[170:171], v[12:13]
	s_waitcnt vmcnt(2)
	v_add_f64 v[6:7], v[6:7], -v[168:169]
	ds_read2_b64 v[168:171], v180 offset0:82 offset1:83
	v_add_f64 v[4:5], v[4:5], -v[14:15]
	s_waitcnt lgkmcnt(1)
	v_mul_f64 v[14:15], v[186:187], v[178:179]
	v_fma_f64 v[14:15], v[184:185], v[12:13], -v[14:15]
	s_waitcnt vmcnt(1)
	v_add_f64 v[0:1], v[0:1], -v[14:15]
	s_waitcnt lgkmcnt(0)
	v_mul_f64 v[14:15], v[170:171], v[178:179]
	v_mul_f64 v[184:185], v[184:185], v[178:179]
	v_fma_f64 v[14:15], v[168:169], v[12:13], -v[14:15]
	v_mul_f64 v[168:169], v[168:169], v[178:179]
	v_fmac_f64_e32 v[184:185], v[186:187], v[12:13]
	v_fmac_f64_e32 v[168:169], v[170:171], v[12:13]
	v_add_f64 v[2:3], v[2:3], -v[184:185]
	s_waitcnt vmcnt(0)
	v_add_f64 v[164:165], v[164:165], -v[14:15]
	v_add_f64 v[166:167], v[166:167], -v[168:169]
	v_mov_b64_e32 v[14:15], v[178:179]
.LBB82_797:
	s_or_b64 exec, exec, s[0:1]
	v_lshl_add_u32 v168, v181, 4, v180
	s_barrier
	s_waitcnt vmcnt(3)
	ds_write2_b64 v168, v[8:9], v[10:11] offset1:1
	s_waitcnt lgkmcnt(0)
	s_barrier
	ds_read2_b64 v[168:171], v180 offset0:76 offset1:77
	s_cmp_lt_i32 s20, 40
	v_mov_b32_e32 v178, 38
	s_cbranch_scc1 .LBB82_800
; %bb.798:
	v_add_u32_e32 v179, 0x270, v180
	s_mov_b32 s16, 39
	v_mov_b32_e32 v178, 38
.LBB82_799:                             ; =>This Inner Loop Header: Depth=1
	ds_read2_b64 v[184:187], v179 offset1:1
	s_waitcnt lgkmcnt(1)
	v_xor_b32_e32 v189, 0x80000000, v169
	v_xor_b32_e32 v191, 0x80000000, v171
	v_cmp_gt_f64_e32 vcc, 0, v[170:171]
	v_cmp_gt_f64_e64 s[0:1], 0, v[168:169]
	v_mov_b32_e32 v188, v168
	v_mov_b32_e32 v190, v170
	v_cndmask_b32_e64 v189, v169, v189, s[0:1]
	v_cndmask_b32_e32 v191, v171, v191, vcc
	v_add_f64 v[188:189], v[188:189], v[190:191]
	s_waitcnt lgkmcnt(0)
	v_xor_b32_e32 v191, 0x80000000, v185
	v_xor_b32_e32 v193, 0x80000000, v187
	v_cmp_gt_f64_e32 vcc, 0, v[186:187]
	v_cmp_gt_f64_e64 s[0:1], 0, v[184:185]
	v_mov_b32_e32 v190, v184
	v_mov_b32_e32 v192, v186
	v_cndmask_b32_e64 v191, v185, v191, s[0:1]
	v_cndmask_b32_e32 v193, v187, v193, vcc
	v_add_f64 v[190:191], v[190:191], v[192:193]
	v_mov_b32_e32 v194, s16
	s_add_i32 s16, s16, 1
	v_cmp_lt_f64_e32 vcc, v[188:189], v[190:191]
	v_add_u32_e32 v179, 16, v179
	s_cmp_lg_u32 s20, s16
	v_cndmask_b32_e32 v169, v169, v185, vcc
	v_cndmask_b32_e32 v168, v168, v184, vcc
	;; [unrolled: 1-line block ×5, first 2 shown]
	s_cbranch_scc1 .LBB82_799
.LBB82_800:
	s_waitcnt lgkmcnt(0)
	v_cmp_eq_f64_e32 vcc, 0, v[168:169]
	v_cmp_eq_f64_e64 s[0:1], 0, v[170:171]
	s_and_b64 s[0:1], vcc, s[0:1]
	s_and_saveexec_b64 s[16:17], s[0:1]
	s_xor_b64 s[0:1], exec, s[16:17]
; %bb.801:
	v_cmp_ne_u32_e32 vcc, 0, v182
	s_nop 1
	v_cndmask_b32_e32 v182, 39, v182, vcc
; %bb.802:
	s_andn2_saveexec_b64 s[0:1], s[0:1]
	s_cbranch_execz .LBB82_808
; %bb.803:
	v_cmp_ngt_f64_e64 s[16:17], |v[168:169]|, |v[170:171]|
	s_and_saveexec_b64 s[18:19], s[16:17]
	s_xor_b64 s[16:17], exec, s[18:19]
	s_cbranch_execz .LBB82_805
; %bb.804:
	v_div_scale_f64 v[184:185], s[18:19], v[170:171], v[170:171], v[168:169]
	v_rcp_f64_e32 v[186:187], v[184:185]
	v_div_scale_f64 v[188:189], vcc, v[168:169], v[170:171], v[168:169]
	v_fma_f64 v[190:191], -v[184:185], v[186:187], 1.0
	v_fmac_f64_e32 v[186:187], v[186:187], v[190:191]
	v_fma_f64 v[190:191], -v[184:185], v[186:187], 1.0
	v_fmac_f64_e32 v[186:187], v[186:187], v[190:191]
	v_mul_f64 v[190:191], v[188:189], v[186:187]
	v_fma_f64 v[184:185], -v[184:185], v[190:191], v[188:189]
	v_div_fmas_f64 v[184:185], v[184:185], v[186:187], v[190:191]
	v_div_fixup_f64 v[184:185], v[184:185], v[170:171], v[168:169]
	v_fmac_f64_e32 v[170:171], v[168:169], v[184:185]
	v_div_scale_f64 v[168:169], s[18:19], v[170:171], v[170:171], 1.0
	v_rcp_f64_e32 v[186:187], v[168:169]
	s_nop 0
	v_fma_f64 v[188:189], -v[168:169], v[186:187], 1.0
	v_fmac_f64_e32 v[186:187], v[186:187], v[188:189]
	v_fma_f64 v[188:189], -v[168:169], v[186:187], 1.0
	v_fmac_f64_e32 v[186:187], v[186:187], v[188:189]
	v_div_scale_f64 v[188:189], vcc, 1.0, v[170:171], 1.0
	v_mul_f64 v[190:191], v[188:189], v[186:187]
	v_fma_f64 v[168:169], -v[168:169], v[190:191], v[188:189]
	s_nop 1
	v_div_fmas_f64 v[168:169], v[168:169], v[186:187], v[190:191]
	v_div_fixup_f64 v[170:171], v[168:169], v[170:171], 1.0
	v_mul_f64 v[168:169], v[184:185], v[170:171]
	v_xor_b32_e32 v171, 0x80000000, v171
.LBB82_805:
	s_andn2_saveexec_b64 s[16:17], s[16:17]
	s_cbranch_execz .LBB82_807
; %bb.806:
	v_div_scale_f64 v[184:185], s[18:19], v[168:169], v[168:169], v[170:171]
	v_rcp_f64_e32 v[186:187], v[184:185]
	v_div_scale_f64 v[188:189], vcc, v[170:171], v[168:169], v[170:171]
	v_fma_f64 v[190:191], -v[184:185], v[186:187], 1.0
	v_fmac_f64_e32 v[186:187], v[186:187], v[190:191]
	v_fma_f64 v[190:191], -v[184:185], v[186:187], 1.0
	v_fmac_f64_e32 v[186:187], v[186:187], v[190:191]
	v_mul_f64 v[190:191], v[188:189], v[186:187]
	v_fma_f64 v[184:185], -v[184:185], v[190:191], v[188:189]
	v_div_fmas_f64 v[184:185], v[184:185], v[186:187], v[190:191]
	v_div_fixup_f64 v[184:185], v[184:185], v[168:169], v[170:171]
	v_fmac_f64_e32 v[168:169], v[170:171], v[184:185]
	v_div_scale_f64 v[170:171], s[18:19], v[168:169], v[168:169], 1.0
	v_rcp_f64_e32 v[186:187], v[170:171]
	s_nop 0
	v_fma_f64 v[188:189], -v[170:171], v[186:187], 1.0
	v_fmac_f64_e32 v[186:187], v[186:187], v[188:189]
	v_fma_f64 v[188:189], -v[170:171], v[186:187], 1.0
	v_fmac_f64_e32 v[186:187], v[186:187], v[188:189]
	v_div_scale_f64 v[188:189], vcc, 1.0, v[168:169], 1.0
	v_mul_f64 v[190:191], v[188:189], v[186:187]
	v_fma_f64 v[170:171], -v[170:171], v[190:191], v[188:189]
	s_nop 1
	v_div_fmas_f64 v[170:171], v[170:171], v[186:187], v[190:191]
	v_div_fixup_f64 v[168:169], v[170:171], v[168:169], 1.0
	v_mul_f64 v[170:171], v[184:185], -v[168:169]
.LBB82_807:
	s_or_b64 exec, exec, s[16:17]
.LBB82_808:
	s_or_b64 exec, exec, s[0:1]
	v_cmp_ne_u32_e32 vcc, v181, v178
	s_and_saveexec_b64 s[0:1], vcc
	s_xor_b64 s[0:1], exec, s[0:1]
	s_cbranch_execz .LBB82_814
; %bb.809:
	v_cmp_eq_u32_e32 vcc, 38, v181
	s_and_saveexec_b64 s[16:17], vcc
	s_cbranch_execz .LBB82_813
; %bb.810:
	v_cmp_ne_u32_e32 vcc, 38, v178
	s_xor_b64 s[18:19], s[14:15], -1
	s_and_b64 s[22:23], s[18:19], vcc
	s_and_saveexec_b64 s[18:19], s[22:23]
	s_cbranch_execz .LBB82_812
; %bb.811:
	v_ashrrev_i32_e32 v179, 31, v178
	v_lshl_add_u64 v[184:185], v[178:179], 2, v[176:177]
	global_load_dword v179, v[184:185], off
	global_load_dword v181, v[176:177], off offset:152
	s_waitcnt vmcnt(1)
	global_store_dword v[176:177], v179, off offset:152
	s_waitcnt vmcnt(1)
	global_store_dword v[184:185], v181, off
.LBB82_812:
	s_or_b64 exec, exec, s[18:19]
	v_mov_b32_e32 v181, v178
	v_mov_b32_e32 v183, v178
.LBB82_813:
	s_or_b64 exec, exec, s[16:17]
.LBB82_814:
	s_andn2_saveexec_b64 s[0:1], s[0:1]
	s_cbranch_execz .LBB82_816
; %bb.815:
	v_mov_b32_e32 v181, 38
	s_waitcnt vmcnt(2)
	ds_write2_b64 v180, v[4:5], v[6:7] offset0:78 offset1:79
	s_waitcnt vmcnt(1)
	ds_write2_b64 v180, v[0:1], v[2:3] offset0:80 offset1:81
	;; [unrolled: 2-line block ×3, first 2 shown]
.LBB82_816:
	s_or_b64 exec, exec, s[0:1]
	v_cmp_lt_i32_e32 vcc, 38, v181
	s_waitcnt lgkmcnt(0)
	s_barrier
	s_and_saveexec_b64 s[0:1], vcc
	s_cbranch_execz .LBB82_818
; %bb.817:
	ds_read2_b64 v[184:187], v180 offset0:78 offset1:79
	v_mul_f64 v[178:179], v[168:169], v[10:11]
	v_fmac_f64_e32 v[178:179], v[170:171], v[8:9]
	v_mul_f64 v[10:11], v[170:171], v[10:11]
	v_fma_f64 v[8:9], v[168:169], v[8:9], -v[10:11]
	ds_read2_b64 v[168:171], v180 offset0:80 offset1:81
	s_waitcnt lgkmcnt(1)
	v_mul_f64 v[10:11], v[186:187], v[178:179]
	v_fma_f64 v[10:11], v[184:185], v[8:9], -v[10:11]
	v_mul_f64 v[184:185], v[184:185], v[178:179]
	v_fmac_f64_e32 v[184:185], v[186:187], v[8:9]
	s_waitcnt vmcnt(2)
	v_add_f64 v[6:7], v[6:7], -v[184:185]
	ds_read2_b64 v[184:187], v180 offset0:82 offset1:83
	v_add_f64 v[4:5], v[4:5], -v[10:11]
	s_waitcnt lgkmcnt(1)
	v_mul_f64 v[10:11], v[170:171], v[178:179]
	v_fma_f64 v[10:11], v[168:169], v[8:9], -v[10:11]
	v_mul_f64 v[168:169], v[168:169], v[178:179]
	v_fmac_f64_e32 v[168:169], v[170:171], v[8:9]
	s_waitcnt vmcnt(1)
	v_add_f64 v[0:1], v[0:1], -v[10:11]
	v_add_f64 v[2:3], v[2:3], -v[168:169]
	s_waitcnt lgkmcnt(0)
	v_mul_f64 v[10:11], v[186:187], v[178:179]
	v_mul_f64 v[168:169], v[184:185], v[178:179]
	v_fma_f64 v[10:11], v[184:185], v[8:9], -v[10:11]
	v_fmac_f64_e32 v[168:169], v[186:187], v[8:9]
	s_waitcnt vmcnt(0)
	v_add_f64 v[164:165], v[164:165], -v[10:11]
	v_add_f64 v[166:167], v[166:167], -v[168:169]
	v_mov_b64_e32 v[10:11], v[178:179]
.LBB82_818:
	s_or_b64 exec, exec, s[0:1]
	v_lshl_add_u32 v168, v181, 4, v180
	s_barrier
	s_waitcnt vmcnt(2)
	ds_write2_b64 v168, v[4:5], v[6:7] offset1:1
	s_waitcnt lgkmcnt(0)
	s_barrier
	ds_read2_b64 v[168:171], v180 offset0:78 offset1:79
	s_cmp_lt_i32 s20, 41
	v_mov_b32_e32 v178, 39
	s_cbranch_scc1 .LBB82_821
; %bb.819:
	v_add_u32_e32 v179, 0x280, v180
	s_mov_b32 s16, 40
	v_mov_b32_e32 v178, 39
.LBB82_820:                             ; =>This Inner Loop Header: Depth=1
	ds_read2_b64 v[184:187], v179 offset1:1
	s_waitcnt lgkmcnt(1)
	v_xor_b32_e32 v189, 0x80000000, v169
	v_xor_b32_e32 v191, 0x80000000, v171
	v_cmp_gt_f64_e32 vcc, 0, v[170:171]
	v_cmp_gt_f64_e64 s[0:1], 0, v[168:169]
	v_mov_b32_e32 v188, v168
	v_mov_b32_e32 v190, v170
	v_cndmask_b32_e64 v189, v169, v189, s[0:1]
	v_cndmask_b32_e32 v191, v171, v191, vcc
	v_add_f64 v[188:189], v[188:189], v[190:191]
	s_waitcnt lgkmcnt(0)
	v_xor_b32_e32 v191, 0x80000000, v185
	v_xor_b32_e32 v193, 0x80000000, v187
	v_cmp_gt_f64_e32 vcc, 0, v[186:187]
	v_cmp_gt_f64_e64 s[0:1], 0, v[184:185]
	v_mov_b32_e32 v190, v184
	v_mov_b32_e32 v192, v186
	v_cndmask_b32_e64 v191, v185, v191, s[0:1]
	v_cndmask_b32_e32 v193, v187, v193, vcc
	v_add_f64 v[190:191], v[190:191], v[192:193]
	v_mov_b32_e32 v194, s16
	s_add_i32 s16, s16, 1
	v_cmp_lt_f64_e32 vcc, v[188:189], v[190:191]
	v_add_u32_e32 v179, 16, v179
	s_cmp_lg_u32 s20, s16
	v_cndmask_b32_e32 v169, v169, v185, vcc
	v_cndmask_b32_e32 v168, v168, v184, vcc
	;; [unrolled: 1-line block ×5, first 2 shown]
	s_cbranch_scc1 .LBB82_820
.LBB82_821:
	s_waitcnt lgkmcnt(0)
	v_cmp_eq_f64_e32 vcc, 0, v[168:169]
	v_cmp_eq_f64_e64 s[0:1], 0, v[170:171]
	s_and_b64 s[0:1], vcc, s[0:1]
	s_and_saveexec_b64 s[16:17], s[0:1]
	s_xor_b64 s[0:1], exec, s[16:17]
; %bb.822:
	v_cmp_ne_u32_e32 vcc, 0, v182
	s_nop 1
	v_cndmask_b32_e32 v182, 40, v182, vcc
; %bb.823:
	s_andn2_saveexec_b64 s[0:1], s[0:1]
	s_cbranch_execz .LBB82_829
; %bb.824:
	v_cmp_ngt_f64_e64 s[16:17], |v[168:169]|, |v[170:171]|
	s_and_saveexec_b64 s[18:19], s[16:17]
	s_xor_b64 s[16:17], exec, s[18:19]
	s_cbranch_execz .LBB82_826
; %bb.825:
	v_div_scale_f64 v[184:185], s[18:19], v[170:171], v[170:171], v[168:169]
	v_rcp_f64_e32 v[186:187], v[184:185]
	v_div_scale_f64 v[188:189], vcc, v[168:169], v[170:171], v[168:169]
	v_fma_f64 v[190:191], -v[184:185], v[186:187], 1.0
	v_fmac_f64_e32 v[186:187], v[186:187], v[190:191]
	v_fma_f64 v[190:191], -v[184:185], v[186:187], 1.0
	v_fmac_f64_e32 v[186:187], v[186:187], v[190:191]
	v_mul_f64 v[190:191], v[188:189], v[186:187]
	v_fma_f64 v[184:185], -v[184:185], v[190:191], v[188:189]
	v_div_fmas_f64 v[184:185], v[184:185], v[186:187], v[190:191]
	v_div_fixup_f64 v[184:185], v[184:185], v[170:171], v[168:169]
	v_fmac_f64_e32 v[170:171], v[168:169], v[184:185]
	v_div_scale_f64 v[168:169], s[18:19], v[170:171], v[170:171], 1.0
	v_rcp_f64_e32 v[186:187], v[168:169]
	s_nop 0
	v_fma_f64 v[188:189], -v[168:169], v[186:187], 1.0
	v_fmac_f64_e32 v[186:187], v[186:187], v[188:189]
	v_fma_f64 v[188:189], -v[168:169], v[186:187], 1.0
	v_fmac_f64_e32 v[186:187], v[186:187], v[188:189]
	v_div_scale_f64 v[188:189], vcc, 1.0, v[170:171], 1.0
	v_mul_f64 v[190:191], v[188:189], v[186:187]
	v_fma_f64 v[168:169], -v[168:169], v[190:191], v[188:189]
	s_nop 1
	v_div_fmas_f64 v[168:169], v[168:169], v[186:187], v[190:191]
	v_div_fixup_f64 v[170:171], v[168:169], v[170:171], 1.0
	v_mul_f64 v[168:169], v[184:185], v[170:171]
	v_xor_b32_e32 v171, 0x80000000, v171
.LBB82_826:
	s_andn2_saveexec_b64 s[16:17], s[16:17]
	s_cbranch_execz .LBB82_828
; %bb.827:
	v_div_scale_f64 v[184:185], s[18:19], v[168:169], v[168:169], v[170:171]
	v_rcp_f64_e32 v[186:187], v[184:185]
	v_div_scale_f64 v[188:189], vcc, v[170:171], v[168:169], v[170:171]
	v_fma_f64 v[190:191], -v[184:185], v[186:187], 1.0
	v_fmac_f64_e32 v[186:187], v[186:187], v[190:191]
	v_fma_f64 v[190:191], -v[184:185], v[186:187], 1.0
	v_fmac_f64_e32 v[186:187], v[186:187], v[190:191]
	v_mul_f64 v[190:191], v[188:189], v[186:187]
	v_fma_f64 v[184:185], -v[184:185], v[190:191], v[188:189]
	v_div_fmas_f64 v[184:185], v[184:185], v[186:187], v[190:191]
	v_div_fixup_f64 v[184:185], v[184:185], v[168:169], v[170:171]
	v_fmac_f64_e32 v[168:169], v[170:171], v[184:185]
	v_div_scale_f64 v[170:171], s[18:19], v[168:169], v[168:169], 1.0
	v_rcp_f64_e32 v[186:187], v[170:171]
	s_nop 0
	v_fma_f64 v[188:189], -v[170:171], v[186:187], 1.0
	v_fmac_f64_e32 v[186:187], v[186:187], v[188:189]
	v_fma_f64 v[188:189], -v[170:171], v[186:187], 1.0
	v_fmac_f64_e32 v[186:187], v[186:187], v[188:189]
	v_div_scale_f64 v[188:189], vcc, 1.0, v[168:169], 1.0
	v_mul_f64 v[190:191], v[188:189], v[186:187]
	v_fma_f64 v[170:171], -v[170:171], v[190:191], v[188:189]
	s_nop 1
	v_div_fmas_f64 v[170:171], v[170:171], v[186:187], v[190:191]
	v_div_fixup_f64 v[168:169], v[170:171], v[168:169], 1.0
	v_mul_f64 v[170:171], v[184:185], -v[168:169]
.LBB82_828:
	s_or_b64 exec, exec, s[16:17]
.LBB82_829:
	s_or_b64 exec, exec, s[0:1]
	v_cmp_ne_u32_e32 vcc, v181, v178
	s_and_saveexec_b64 s[0:1], vcc
	s_xor_b64 s[0:1], exec, s[0:1]
	s_cbranch_execz .LBB82_835
; %bb.830:
	v_cmp_eq_u32_e32 vcc, 39, v181
	s_and_saveexec_b64 s[16:17], vcc
	s_cbranch_execz .LBB82_834
; %bb.831:
	v_cmp_ne_u32_e32 vcc, 39, v178
	s_xor_b64 s[18:19], s[14:15], -1
	s_and_b64 s[22:23], s[18:19], vcc
	s_and_saveexec_b64 s[18:19], s[22:23]
	s_cbranch_execz .LBB82_833
; %bb.832:
	v_ashrrev_i32_e32 v179, 31, v178
	v_lshl_add_u64 v[184:185], v[178:179], 2, v[176:177]
	global_load_dword v179, v[184:185], off
	global_load_dword v181, v[176:177], off offset:156
	s_waitcnt vmcnt(1)
	global_store_dword v[176:177], v179, off offset:156
	s_waitcnt vmcnt(1)
	global_store_dword v[184:185], v181, off
.LBB82_833:
	s_or_b64 exec, exec, s[18:19]
	v_mov_b32_e32 v181, v178
	v_mov_b32_e32 v183, v178
.LBB82_834:
	s_or_b64 exec, exec, s[16:17]
.LBB82_835:
	s_andn2_saveexec_b64 s[0:1], s[0:1]
	s_cbranch_execz .LBB82_837
; %bb.836:
	v_mov_b32_e32 v181, 39
	s_waitcnt vmcnt(1)
	ds_write2_b64 v180, v[0:1], v[2:3] offset0:80 offset1:81
	s_waitcnt vmcnt(0)
	ds_write2_b64 v180, v[164:165], v[166:167] offset0:82 offset1:83
.LBB82_837:
	s_or_b64 exec, exec, s[0:1]
	v_cmp_lt_i32_e32 vcc, 39, v181
	s_waitcnt lgkmcnt(0)
	s_barrier
	s_and_saveexec_b64 s[0:1], vcc
	s_cbranch_execz .LBB82_839
; %bb.838:
	ds_read2_b64 v[184:187], v180 offset0:80 offset1:81
	v_mul_f64 v[178:179], v[168:169], v[6:7]
	v_mul_f64 v[6:7], v[170:171], v[6:7]
	v_fmac_f64_e32 v[178:179], v[170:171], v[4:5]
	v_fma_f64 v[4:5], v[168:169], v[4:5], -v[6:7]
	ds_read2_b64 v[168:171], v180 offset0:82 offset1:83
	s_waitcnt lgkmcnt(1)
	v_mul_f64 v[6:7], v[186:187], v[178:179]
	v_fma_f64 v[6:7], v[184:185], v[4:5], -v[6:7]
	s_waitcnt vmcnt(1)
	v_add_f64 v[0:1], v[0:1], -v[6:7]
	v_mul_f64 v[184:185], v[184:185], v[178:179]
	s_waitcnt lgkmcnt(0)
	v_mul_f64 v[6:7], v[170:171], v[178:179]
	v_fma_f64 v[6:7], v[168:169], v[4:5], -v[6:7]
	v_mul_f64 v[168:169], v[168:169], v[178:179]
	v_fmac_f64_e32 v[184:185], v[186:187], v[4:5]
	v_fmac_f64_e32 v[168:169], v[170:171], v[4:5]
	v_add_f64 v[2:3], v[2:3], -v[184:185]
	s_waitcnt vmcnt(0)
	v_add_f64 v[164:165], v[164:165], -v[6:7]
	v_add_f64 v[166:167], v[166:167], -v[168:169]
	v_mov_b64_e32 v[6:7], v[178:179]
.LBB82_839:
	s_or_b64 exec, exec, s[0:1]
	v_lshl_add_u32 v168, v181, 4, v180
	s_barrier
	s_waitcnt vmcnt(1)
	ds_write2_b64 v168, v[0:1], v[2:3] offset1:1
	s_waitcnt lgkmcnt(0)
	s_barrier
	ds_read2_b64 v[168:171], v180 offset0:80 offset1:81
	s_cmp_lt_i32 s20, 42
	v_mov_b32_e32 v178, 40
	s_cbranch_scc1 .LBB82_842
; %bb.840:
	v_add_u32_e32 v179, 0x290, v180
	s_mov_b32 s16, 41
	v_mov_b32_e32 v178, 40
.LBB82_841:                             ; =>This Inner Loop Header: Depth=1
	ds_read2_b64 v[184:187], v179 offset1:1
	s_waitcnt lgkmcnt(1)
	v_xor_b32_e32 v189, 0x80000000, v169
	v_xor_b32_e32 v191, 0x80000000, v171
	v_cmp_gt_f64_e32 vcc, 0, v[170:171]
	v_cmp_gt_f64_e64 s[0:1], 0, v[168:169]
	v_mov_b32_e32 v188, v168
	v_mov_b32_e32 v190, v170
	v_cndmask_b32_e64 v189, v169, v189, s[0:1]
	v_cndmask_b32_e32 v191, v171, v191, vcc
	v_add_f64 v[188:189], v[188:189], v[190:191]
	s_waitcnt lgkmcnt(0)
	v_xor_b32_e32 v191, 0x80000000, v185
	v_xor_b32_e32 v193, 0x80000000, v187
	v_cmp_gt_f64_e32 vcc, 0, v[186:187]
	v_cmp_gt_f64_e64 s[0:1], 0, v[184:185]
	v_mov_b32_e32 v190, v184
	v_mov_b32_e32 v192, v186
	v_cndmask_b32_e64 v191, v185, v191, s[0:1]
	v_cndmask_b32_e32 v193, v187, v193, vcc
	v_add_f64 v[190:191], v[190:191], v[192:193]
	v_mov_b32_e32 v194, s16
	s_add_i32 s16, s16, 1
	v_cmp_lt_f64_e32 vcc, v[188:189], v[190:191]
	v_add_u32_e32 v179, 16, v179
	s_cmp_lg_u32 s20, s16
	v_cndmask_b32_e32 v169, v169, v185, vcc
	v_cndmask_b32_e32 v168, v168, v184, vcc
	v_cndmask_b32_e32 v171, v171, v187, vcc
	v_cndmask_b32_e32 v170, v170, v186, vcc
	v_cndmask_b32_e32 v178, v178, v194, vcc
	s_cbranch_scc1 .LBB82_841
.LBB82_842:
	s_waitcnt lgkmcnt(0)
	v_cmp_eq_f64_e32 vcc, 0, v[168:169]
	v_cmp_eq_f64_e64 s[0:1], 0, v[170:171]
	s_and_b64 s[0:1], vcc, s[0:1]
	s_and_saveexec_b64 s[16:17], s[0:1]
	s_xor_b64 s[0:1], exec, s[16:17]
; %bb.843:
	v_cmp_ne_u32_e32 vcc, 0, v182
	s_nop 1
	v_cndmask_b32_e32 v182, 41, v182, vcc
; %bb.844:
	s_andn2_saveexec_b64 s[0:1], s[0:1]
	s_cbranch_execz .LBB82_850
; %bb.845:
	v_cmp_ngt_f64_e64 s[16:17], |v[168:169]|, |v[170:171]|
	s_and_saveexec_b64 s[18:19], s[16:17]
	s_xor_b64 s[16:17], exec, s[18:19]
	s_cbranch_execz .LBB82_847
; %bb.846:
	v_div_scale_f64 v[184:185], s[18:19], v[170:171], v[170:171], v[168:169]
	v_rcp_f64_e32 v[186:187], v[184:185]
	v_div_scale_f64 v[188:189], vcc, v[168:169], v[170:171], v[168:169]
	v_fma_f64 v[190:191], -v[184:185], v[186:187], 1.0
	v_fmac_f64_e32 v[186:187], v[186:187], v[190:191]
	v_fma_f64 v[190:191], -v[184:185], v[186:187], 1.0
	v_fmac_f64_e32 v[186:187], v[186:187], v[190:191]
	v_mul_f64 v[190:191], v[188:189], v[186:187]
	v_fma_f64 v[184:185], -v[184:185], v[190:191], v[188:189]
	v_div_fmas_f64 v[184:185], v[184:185], v[186:187], v[190:191]
	v_div_fixup_f64 v[184:185], v[184:185], v[170:171], v[168:169]
	v_fmac_f64_e32 v[170:171], v[168:169], v[184:185]
	v_div_scale_f64 v[168:169], s[18:19], v[170:171], v[170:171], 1.0
	v_rcp_f64_e32 v[186:187], v[168:169]
	s_nop 0
	v_fma_f64 v[188:189], -v[168:169], v[186:187], 1.0
	v_fmac_f64_e32 v[186:187], v[186:187], v[188:189]
	v_fma_f64 v[188:189], -v[168:169], v[186:187], 1.0
	v_fmac_f64_e32 v[186:187], v[186:187], v[188:189]
	v_div_scale_f64 v[188:189], vcc, 1.0, v[170:171], 1.0
	v_mul_f64 v[190:191], v[188:189], v[186:187]
	v_fma_f64 v[168:169], -v[168:169], v[190:191], v[188:189]
	s_nop 1
	v_div_fmas_f64 v[168:169], v[168:169], v[186:187], v[190:191]
	v_div_fixup_f64 v[170:171], v[168:169], v[170:171], 1.0
	v_mul_f64 v[168:169], v[184:185], v[170:171]
	v_xor_b32_e32 v171, 0x80000000, v171
.LBB82_847:
	s_andn2_saveexec_b64 s[16:17], s[16:17]
	s_cbranch_execz .LBB82_849
; %bb.848:
	v_div_scale_f64 v[184:185], s[18:19], v[168:169], v[168:169], v[170:171]
	v_rcp_f64_e32 v[186:187], v[184:185]
	v_div_scale_f64 v[188:189], vcc, v[170:171], v[168:169], v[170:171]
	v_fma_f64 v[190:191], -v[184:185], v[186:187], 1.0
	v_fmac_f64_e32 v[186:187], v[186:187], v[190:191]
	v_fma_f64 v[190:191], -v[184:185], v[186:187], 1.0
	v_fmac_f64_e32 v[186:187], v[186:187], v[190:191]
	v_mul_f64 v[190:191], v[188:189], v[186:187]
	v_fma_f64 v[184:185], -v[184:185], v[190:191], v[188:189]
	v_div_fmas_f64 v[184:185], v[184:185], v[186:187], v[190:191]
	v_div_fixup_f64 v[184:185], v[184:185], v[168:169], v[170:171]
	v_fmac_f64_e32 v[168:169], v[170:171], v[184:185]
	v_div_scale_f64 v[170:171], s[18:19], v[168:169], v[168:169], 1.0
	v_rcp_f64_e32 v[186:187], v[170:171]
	s_nop 0
	v_fma_f64 v[188:189], -v[170:171], v[186:187], 1.0
	v_fmac_f64_e32 v[186:187], v[186:187], v[188:189]
	v_fma_f64 v[188:189], -v[170:171], v[186:187], 1.0
	v_fmac_f64_e32 v[186:187], v[186:187], v[188:189]
	v_div_scale_f64 v[188:189], vcc, 1.0, v[168:169], 1.0
	v_mul_f64 v[190:191], v[188:189], v[186:187]
	v_fma_f64 v[170:171], -v[170:171], v[190:191], v[188:189]
	s_nop 1
	v_div_fmas_f64 v[170:171], v[170:171], v[186:187], v[190:191]
	v_div_fixup_f64 v[168:169], v[170:171], v[168:169], 1.0
	v_mul_f64 v[170:171], v[184:185], -v[168:169]
.LBB82_849:
	s_or_b64 exec, exec, s[16:17]
.LBB82_850:
	s_or_b64 exec, exec, s[0:1]
	v_cmp_ne_u32_e32 vcc, v181, v178
	s_and_saveexec_b64 s[0:1], vcc
	s_xor_b64 s[0:1], exec, s[0:1]
	s_cbranch_execz .LBB82_856
; %bb.851:
	v_cmp_eq_u32_e32 vcc, 40, v181
	s_and_saveexec_b64 s[16:17], vcc
	s_cbranch_execz .LBB82_855
; %bb.852:
	v_cmp_ne_u32_e32 vcc, 40, v178
	s_xor_b64 s[18:19], s[14:15], -1
	s_and_b64 s[22:23], s[18:19], vcc
	s_and_saveexec_b64 s[18:19], s[22:23]
	s_cbranch_execz .LBB82_854
; %bb.853:
	v_ashrrev_i32_e32 v179, 31, v178
	v_lshl_add_u64 v[184:185], v[178:179], 2, v[176:177]
	global_load_dword v179, v[184:185], off
	global_load_dword v181, v[176:177], off offset:160
	s_waitcnt vmcnt(1)
	global_store_dword v[176:177], v179, off offset:160
	s_waitcnt vmcnt(1)
	global_store_dword v[184:185], v181, off
.LBB82_854:
	s_or_b64 exec, exec, s[18:19]
	v_mov_b32_e32 v181, v178
	v_mov_b32_e32 v183, v178
.LBB82_855:
	s_or_b64 exec, exec, s[16:17]
.LBB82_856:
	s_andn2_saveexec_b64 s[0:1], s[0:1]
	s_cbranch_execz .LBB82_858
; %bb.857:
	v_mov_b32_e32 v181, 40
	s_waitcnt vmcnt(0)
	ds_write2_b64 v180, v[164:165], v[166:167] offset0:82 offset1:83
.LBB82_858:
	s_or_b64 exec, exec, s[0:1]
	v_cmp_lt_i32_e32 vcc, 40, v181
	s_waitcnt lgkmcnt(0)
	s_barrier
	s_and_saveexec_b64 s[0:1], vcc
	s_cbranch_execz .LBB82_860
; %bb.859:
	ds_read2_b64 v[184:187], v180 offset0:82 offset1:83
	v_mul_f64 v[178:179], v[168:169], v[2:3]
	v_mul_f64 v[2:3], v[170:171], v[2:3]
	v_fmac_f64_e32 v[178:179], v[170:171], v[0:1]
	v_fma_f64 v[0:1], v[168:169], v[0:1], -v[2:3]
	s_waitcnt lgkmcnt(0)
	v_mul_f64 v[2:3], v[186:187], v[178:179]
	v_mul_f64 v[168:169], v[184:185], v[178:179]
	v_fma_f64 v[2:3], v[184:185], v[0:1], -v[2:3]
	v_fmac_f64_e32 v[168:169], v[186:187], v[0:1]
	s_waitcnt vmcnt(0)
	v_add_f64 v[164:165], v[164:165], -v[2:3]
	v_add_f64 v[166:167], v[166:167], -v[168:169]
	v_mov_b64_e32 v[2:3], v[178:179]
.LBB82_860:
	s_or_b64 exec, exec, s[0:1]
	v_lshl_add_u32 v168, v181, 4, v180
	s_barrier
	s_waitcnt vmcnt(0)
	ds_write2_b64 v168, v[164:165], v[166:167] offset1:1
	s_waitcnt lgkmcnt(0)
	s_barrier
	ds_read2_b64 v[168:171], v180 offset0:82 offset1:83
	s_cmp_lt_i32 s20, 43
	v_mov_b32_e32 v178, 41
	s_cbranch_scc1 .LBB82_863
; %bb.861:
	v_add_u32_e32 v179, 0x2a0, v180
	s_mov_b32 s16, 42
	v_mov_b32_e32 v178, 41
.LBB82_862:                             ; =>This Inner Loop Header: Depth=1
	ds_read2_b64 v[184:187], v179 offset1:1
	s_waitcnt lgkmcnt(1)
	v_xor_b32_e32 v180, 0x80000000, v169
	v_xor_b32_e32 v191, 0x80000000, v171
	v_cmp_gt_f64_e32 vcc, 0, v[170:171]
	v_cmp_gt_f64_e64 s[0:1], 0, v[168:169]
	v_mov_b32_e32 v188, v168
	v_mov_b32_e32 v190, v170
	v_cndmask_b32_e64 v189, v169, v180, s[0:1]
	v_cndmask_b32_e32 v191, v171, v191, vcc
	s_waitcnt lgkmcnt(0)
	v_xor_b32_e32 v180, 0x80000000, v185
	v_xor_b32_e32 v193, 0x80000000, v187
	v_cmp_gt_f64_e32 vcc, 0, v[186:187]
	v_cmp_gt_f64_e64 s[0:1], 0, v[184:185]
	v_add_f64 v[188:189], v[188:189], v[190:191]
	v_mov_b32_e32 v190, v184
	v_mov_b32_e32 v192, v186
	v_cndmask_b32_e64 v191, v185, v180, s[0:1]
	v_cndmask_b32_e32 v193, v187, v193, vcc
	v_add_f64 v[190:191], v[190:191], v[192:193]
	v_mov_b32_e32 v194, s16
	s_add_i32 s16, s16, 1
	v_cmp_lt_f64_e32 vcc, v[188:189], v[190:191]
	v_add_u32_e32 v179, 16, v179
	s_cmp_lg_u32 s20, s16
	v_cndmask_b32_e32 v169, v169, v185, vcc
	v_cndmask_b32_e32 v168, v168, v184, vcc
	v_cndmask_b32_e32 v171, v171, v187, vcc
	v_cndmask_b32_e32 v170, v170, v186, vcc
	v_cndmask_b32_e32 v178, v178, v194, vcc
	s_cbranch_scc1 .LBB82_862
.LBB82_863:
	s_waitcnt lgkmcnt(0)
	v_cmp_eq_f64_e32 vcc, 0, v[168:169]
	v_cmp_eq_f64_e64 s[0:1], 0, v[170:171]
	s_and_b64 s[0:1], vcc, s[0:1]
	s_and_saveexec_b64 s[16:17], s[0:1]
	s_xor_b64 s[0:1], exec, s[16:17]
; %bb.864:
	v_cmp_ne_u32_e32 vcc, 0, v182
	s_nop 1
	v_cndmask_b32_e32 v182, 42, v182, vcc
; %bb.865:
	s_andn2_saveexec_b64 s[0:1], s[0:1]
	s_cbranch_execz .LBB82_871
; %bb.866:
	v_cmp_ngt_f64_e64 s[16:17], |v[168:169]|, |v[170:171]|
	s_and_saveexec_b64 s[18:19], s[16:17]
	s_xor_b64 s[16:17], exec, s[18:19]
	s_cbranch_execz .LBB82_868
; %bb.867:
	v_div_scale_f64 v[184:185], s[18:19], v[170:171], v[170:171], v[168:169]
	v_rcp_f64_e32 v[186:187], v[184:185]
	v_div_scale_f64 v[188:189], vcc, v[168:169], v[170:171], v[168:169]
	v_fma_f64 v[190:191], -v[184:185], v[186:187], 1.0
	v_fmac_f64_e32 v[186:187], v[186:187], v[190:191]
	v_fma_f64 v[190:191], -v[184:185], v[186:187], 1.0
	v_fmac_f64_e32 v[186:187], v[186:187], v[190:191]
	v_mul_f64 v[190:191], v[188:189], v[186:187]
	v_fma_f64 v[184:185], -v[184:185], v[190:191], v[188:189]
	v_div_fmas_f64 v[184:185], v[184:185], v[186:187], v[190:191]
	v_div_fixup_f64 v[184:185], v[184:185], v[170:171], v[168:169]
	v_fmac_f64_e32 v[170:171], v[168:169], v[184:185]
	v_div_scale_f64 v[168:169], s[18:19], v[170:171], v[170:171], 1.0
	v_rcp_f64_e32 v[186:187], v[168:169]
	s_nop 0
	v_fma_f64 v[188:189], -v[168:169], v[186:187], 1.0
	v_fmac_f64_e32 v[186:187], v[186:187], v[188:189]
	v_fma_f64 v[188:189], -v[168:169], v[186:187], 1.0
	v_fmac_f64_e32 v[186:187], v[186:187], v[188:189]
	v_div_scale_f64 v[188:189], vcc, 1.0, v[170:171], 1.0
	v_mul_f64 v[190:191], v[188:189], v[186:187]
	v_fma_f64 v[168:169], -v[168:169], v[190:191], v[188:189]
	s_nop 1
	v_div_fmas_f64 v[168:169], v[168:169], v[186:187], v[190:191]
	v_div_fixup_f64 v[170:171], v[168:169], v[170:171], 1.0
	v_mul_f64 v[168:169], v[184:185], v[170:171]
	v_xor_b32_e32 v171, 0x80000000, v171
.LBB82_868:
	s_andn2_saveexec_b64 s[16:17], s[16:17]
	s_cbranch_execz .LBB82_870
; %bb.869:
	v_div_scale_f64 v[184:185], s[18:19], v[168:169], v[168:169], v[170:171]
	v_rcp_f64_e32 v[186:187], v[184:185]
	v_div_scale_f64 v[188:189], vcc, v[170:171], v[168:169], v[170:171]
	v_fma_f64 v[190:191], -v[184:185], v[186:187], 1.0
	v_fmac_f64_e32 v[186:187], v[186:187], v[190:191]
	v_fma_f64 v[190:191], -v[184:185], v[186:187], 1.0
	v_fmac_f64_e32 v[186:187], v[186:187], v[190:191]
	v_mul_f64 v[190:191], v[188:189], v[186:187]
	v_fma_f64 v[184:185], -v[184:185], v[190:191], v[188:189]
	v_div_fmas_f64 v[184:185], v[184:185], v[186:187], v[190:191]
	v_div_fixup_f64 v[184:185], v[184:185], v[168:169], v[170:171]
	v_fmac_f64_e32 v[168:169], v[170:171], v[184:185]
	v_div_scale_f64 v[170:171], s[18:19], v[168:169], v[168:169], 1.0
	v_rcp_f64_e32 v[186:187], v[170:171]
	s_nop 0
	v_fma_f64 v[188:189], -v[170:171], v[186:187], 1.0
	v_fmac_f64_e32 v[186:187], v[186:187], v[188:189]
	v_fma_f64 v[188:189], -v[170:171], v[186:187], 1.0
	v_fmac_f64_e32 v[186:187], v[186:187], v[188:189]
	v_div_scale_f64 v[188:189], vcc, 1.0, v[168:169], 1.0
	v_mul_f64 v[190:191], v[188:189], v[186:187]
	v_fma_f64 v[170:171], -v[170:171], v[190:191], v[188:189]
	s_nop 1
	v_div_fmas_f64 v[170:171], v[170:171], v[186:187], v[190:191]
	v_div_fixup_f64 v[168:169], v[170:171], v[168:169], 1.0
	v_mul_f64 v[170:171], v[184:185], -v[168:169]
.LBB82_870:
	s_or_b64 exec, exec, s[16:17]
.LBB82_871:
	s_or_b64 exec, exec, s[0:1]
	v_cmp_ne_u32_e32 vcc, v181, v178
	v_mov_b32_e32 v180, 41
	s_and_saveexec_b64 s[0:1], vcc
	s_cbranch_execz .LBB82_877
; %bb.872:
	v_cmp_eq_u32_e32 vcc, 41, v181
	s_and_saveexec_b64 s[16:17], vcc
	s_cbranch_execz .LBB82_876
; %bb.873:
	v_cmp_ne_u32_e32 vcc, 41, v178
	s_xor_b64 s[14:15], s[14:15], -1
	s_and_b64 s[18:19], s[14:15], vcc
	s_and_saveexec_b64 s[14:15], s[18:19]
	s_cbranch_execz .LBB82_875
; %bb.874:
	v_ashrrev_i32_e32 v179, 31, v178
	v_lshl_add_u64 v[180:181], v[178:179], 2, v[176:177]
	global_load_dword v179, v[180:181], off
	global_load_dword v183, v[176:177], off offset:164
	s_waitcnt vmcnt(1)
	global_store_dword v[176:177], v179, off offset:164
	s_waitcnt vmcnt(1)
	global_store_dword v[180:181], v183, off
.LBB82_875:
	s_or_b64 exec, exec, s[14:15]
	v_mov_b32_e32 v181, v178
	v_mov_b32_e32 v183, v178
.LBB82_876:
	s_or_b64 exec, exec, s[16:17]
	v_mov_b32_e32 v180, v181
.LBB82_877:
	s_or_b64 exec, exec, s[0:1]
	v_cmp_gt_i32_e32 vcc, 42, v180
	v_ashrrev_i32_e32 v181, 31, v180
	s_barrier
	s_barrier
	s_and_saveexec_b64 s[0:1], vcc
	s_cbranch_execz .LBB82_879
; %bb.878:
	v_mov_b32_e32 v176, s6
	v_mov_b32_e32 v177, s7
	v_mul_lo_u32 v184, s11, v174
	v_mul_lo_u32 v185, s10, v175
	v_mad_u64_u32 v[178:179], s[6:7], s10, v174, 0
	v_add3_u32 v179, v179, v185, v184
	v_lshl_add_u64 v[176:177], v[178:179], 2, v[176:177]
	v_lshl_add_u64 v[176:177], s[8:9], 2, v[176:177]
	;; [unrolled: 1-line block ×3, first 2 shown]
	v_add3_u32 v178, v183, s13, 1
	global_store_dword v[176:177], v178, off
.LBB82_879:
	s_or_b64 exec, exec, s[0:1]
	v_cmp_eq_u32_e32 vcc, 0, v180
	s_and_saveexec_b64 s[6:7], vcc
	s_cbranch_execz .LBB82_882
; %bb.880:
	v_mov_b32_e32 v176, s4
	v_mov_b32_e32 v177, s5
	v_lshl_add_u64 v[174:175], v[174:175], 2, v[176:177]
	global_load_dword v176, v[174:175], off
	v_cmp_ne_u32_e64 s[0:1], 0, v182
	s_waitcnt vmcnt(0)
	v_cmp_eq_u32_e32 vcc, 0, v176
	s_and_b64 s[0:1], vcc, s[0:1]
	s_and_b64 exec, exec, s[0:1]
	s_cbranch_execz .LBB82_882
; %bb.881:
	v_add_u32_e32 v176, s13, v182
	global_store_dword v[174:175], v176, off
.LBB82_882:
	s_or_b64 exec, exec, s[6:7]
	v_mul_f64 v[174:175], v[170:171], v[166:167]
	v_fma_f64 v[174:175], v[168:169], v[164:165], -v[174:175]
	v_mul_f64 v[168:169], v[168:169], v[166:167]
	v_fmac_f64_e32 v[168:169], v[170:171], v[164:165]
	v_cmp_lt_i32_e32 vcc, 41, v180
	s_nop 1
	v_cndmask_b32_e32 v167, v167, v169, vcc
	v_cndmask_b32_e32 v166, v166, v168, vcc
	v_lshl_add_u64 v[168:169], v[180:181], 4, v[172:173]
	global_store_dwordx4 v[168:169], v[108:111], off
	v_cndmask_b32_e32 v165, v165, v175, vcc
	v_cndmask_b32_e32 v164, v164, v174, vcc
	v_lshl_add_u64 v[108:109], s[2:3], 4, v[168:169]
	global_store_dwordx4 v[108:109], v[104:107], off
	s_nop 1
	v_add_u32_e32 v104, s12, v180
	v_ashrrev_i32_e32 v105, 31, v104
	v_lshl_add_u64 v[106:107], v[104:105], 4, v[172:173]
	v_add_u32_e32 v104, s2, v104
	v_ashrrev_i32_e32 v105, 31, v104
	global_store_dwordx4 v[106:107], v[160:163], off
	v_lshl_add_u64 v[106:107], v[104:105], 4, v[172:173]
	v_add_u32_e32 v104, s2, v104
	v_ashrrev_i32_e32 v105, 31, v104
	global_store_dwordx4 v[106:107], v[156:159], off
	;; [unrolled: 4-line block ×13, first 2 shown]
	v_lshl_add_u64 v[106:107], v[104:105], 4, v[172:173]
	global_store_dwordx4 v[106:107], v[100:103], off
	s_nop 1
	v_add_u32_e32 v100, s2, v104
	v_ashrrev_i32_e32 v101, 31, v100
	v_lshl_add_u64 v[102:103], v[100:101], 4, v[172:173]
	global_store_dwordx4 v[102:103], v[96:99], off
	s_nop 1
	v_add_u32_e32 v96, s2, v100
	v_ashrrev_i32_e32 v97, 31, v96
	;; [unrolled: 5-line block ×26, first 2 shown]
	v_lshl_add_u64 v[0:1], v[0:1], 4, v[172:173]
	global_store_dwordx4 v[0:1], v[164:167], off
.LBB82_883:
	s_endpgm
	.section	.rodata,"a",@progbits
	.p2align	6, 0x0
	.amdhsa_kernel _ZN9rocsolver6v33100L18getf2_small_kernelILi42E19rocblas_complex_numIdEiiPS3_EEvT1_T3_lS5_lPS5_llPT2_S5_S5_S7_l
		.amdhsa_group_segment_fixed_size 0
		.amdhsa_private_segment_fixed_size 0
		.amdhsa_kernarg_size 352
		.amdhsa_user_sgpr_count 2
		.amdhsa_user_sgpr_dispatch_ptr 0
		.amdhsa_user_sgpr_queue_ptr 0
		.amdhsa_user_sgpr_kernarg_segment_ptr 1
		.amdhsa_user_sgpr_dispatch_id 0
		.amdhsa_user_sgpr_kernarg_preload_length 0
		.amdhsa_user_sgpr_kernarg_preload_offset 0
		.amdhsa_user_sgpr_private_segment_size 0
		.amdhsa_uses_dynamic_stack 0
		.amdhsa_enable_private_segment 0
		.amdhsa_system_sgpr_workgroup_id_x 1
		.amdhsa_system_sgpr_workgroup_id_y 1
		.amdhsa_system_sgpr_workgroup_id_z 0
		.amdhsa_system_sgpr_workgroup_info 0
		.amdhsa_system_vgpr_workitem_id 1
		.amdhsa_next_free_vgpr 204
		.amdhsa_next_free_sgpr 24
		.amdhsa_accum_offset 204
		.amdhsa_reserve_vcc 1
		.amdhsa_float_round_mode_32 0
		.amdhsa_float_round_mode_16_64 0
		.amdhsa_float_denorm_mode_32 3
		.amdhsa_float_denorm_mode_16_64 3
		.amdhsa_dx10_clamp 1
		.amdhsa_ieee_mode 1
		.amdhsa_fp16_overflow 0
		.amdhsa_tg_split 0
		.amdhsa_exception_fp_ieee_invalid_op 0
		.amdhsa_exception_fp_denorm_src 0
		.amdhsa_exception_fp_ieee_div_zero 0
		.amdhsa_exception_fp_ieee_overflow 0
		.amdhsa_exception_fp_ieee_underflow 0
		.amdhsa_exception_fp_ieee_inexact 0
		.amdhsa_exception_int_div_zero 0
	.end_amdhsa_kernel
	.section	.text._ZN9rocsolver6v33100L18getf2_small_kernelILi42E19rocblas_complex_numIdEiiPS3_EEvT1_T3_lS5_lPS5_llPT2_S5_S5_S7_l,"axG",@progbits,_ZN9rocsolver6v33100L18getf2_small_kernelILi42E19rocblas_complex_numIdEiiPS3_EEvT1_T3_lS5_lPS5_llPT2_S5_S5_S7_l,comdat
.Lfunc_end82:
	.size	_ZN9rocsolver6v33100L18getf2_small_kernelILi42E19rocblas_complex_numIdEiiPS3_EEvT1_T3_lS5_lPS5_llPT2_S5_S5_S7_l, .Lfunc_end82-_ZN9rocsolver6v33100L18getf2_small_kernelILi42E19rocblas_complex_numIdEiiPS3_EEvT1_T3_lS5_lPS5_llPT2_S5_S5_S7_l
                                        ; -- End function
	.set _ZN9rocsolver6v33100L18getf2_small_kernelILi42E19rocblas_complex_numIdEiiPS3_EEvT1_T3_lS5_lPS5_llPT2_S5_S5_S7_l.num_vgpr, 204
	.set _ZN9rocsolver6v33100L18getf2_small_kernelILi42E19rocblas_complex_numIdEiiPS3_EEvT1_T3_lS5_lPS5_llPT2_S5_S5_S7_l.num_agpr, 0
	.set _ZN9rocsolver6v33100L18getf2_small_kernelILi42E19rocblas_complex_numIdEiiPS3_EEvT1_T3_lS5_lPS5_llPT2_S5_S5_S7_l.numbered_sgpr, 24
	.set _ZN9rocsolver6v33100L18getf2_small_kernelILi42E19rocblas_complex_numIdEiiPS3_EEvT1_T3_lS5_lPS5_llPT2_S5_S5_S7_l.num_named_barrier, 0
	.set _ZN9rocsolver6v33100L18getf2_small_kernelILi42E19rocblas_complex_numIdEiiPS3_EEvT1_T3_lS5_lPS5_llPT2_S5_S5_S7_l.private_seg_size, 0
	.set _ZN9rocsolver6v33100L18getf2_small_kernelILi42E19rocblas_complex_numIdEiiPS3_EEvT1_T3_lS5_lPS5_llPT2_S5_S5_S7_l.uses_vcc, 1
	.set _ZN9rocsolver6v33100L18getf2_small_kernelILi42E19rocblas_complex_numIdEiiPS3_EEvT1_T3_lS5_lPS5_llPT2_S5_S5_S7_l.uses_flat_scratch, 0
	.set _ZN9rocsolver6v33100L18getf2_small_kernelILi42E19rocblas_complex_numIdEiiPS3_EEvT1_T3_lS5_lPS5_llPT2_S5_S5_S7_l.has_dyn_sized_stack, 0
	.set _ZN9rocsolver6v33100L18getf2_small_kernelILi42E19rocblas_complex_numIdEiiPS3_EEvT1_T3_lS5_lPS5_llPT2_S5_S5_S7_l.has_recursion, 0
	.set _ZN9rocsolver6v33100L18getf2_small_kernelILi42E19rocblas_complex_numIdEiiPS3_EEvT1_T3_lS5_lPS5_llPT2_S5_S5_S7_l.has_indirect_call, 0
	.section	.AMDGPU.csdata,"",@progbits
; Kernel info:
; codeLenInByte = 100812
; TotalNumSgprs: 30
; NumVgprs: 204
; NumAgprs: 0
; TotalNumVgprs: 204
; ScratchSize: 0
; MemoryBound: 0
; FloatMode: 240
; IeeeMode: 1
; LDSByteSize: 0 bytes/workgroup (compile time only)
; SGPRBlocks: 3
; VGPRBlocks: 25
; NumSGPRsForWavesPerEU: 30
; NumVGPRsForWavesPerEU: 204
; AccumOffset: 204
; Occupancy: 2
; WaveLimiterHint : 0
; COMPUTE_PGM_RSRC2:SCRATCH_EN: 0
; COMPUTE_PGM_RSRC2:USER_SGPR: 2
; COMPUTE_PGM_RSRC2:TRAP_HANDLER: 0
; COMPUTE_PGM_RSRC2:TGID_X_EN: 1
; COMPUTE_PGM_RSRC2:TGID_Y_EN: 1
; COMPUTE_PGM_RSRC2:TGID_Z_EN: 0
; COMPUTE_PGM_RSRC2:TIDIG_COMP_CNT: 1
; COMPUTE_PGM_RSRC3_GFX90A:ACCUM_OFFSET: 50
; COMPUTE_PGM_RSRC3_GFX90A:TG_SPLIT: 0
	.section	.text._ZN9rocsolver6v33100L23getf2_npvt_small_kernelILi42E19rocblas_complex_numIdEiiPS3_EEvT1_T3_lS5_lPT2_S5_S5_,"axG",@progbits,_ZN9rocsolver6v33100L23getf2_npvt_small_kernelILi42E19rocblas_complex_numIdEiiPS3_EEvT1_T3_lS5_lPT2_S5_S5_,comdat
	.globl	_ZN9rocsolver6v33100L23getf2_npvt_small_kernelILi42E19rocblas_complex_numIdEiiPS3_EEvT1_T3_lS5_lPT2_S5_S5_ ; -- Begin function _ZN9rocsolver6v33100L23getf2_npvt_small_kernelILi42E19rocblas_complex_numIdEiiPS3_EEvT1_T3_lS5_lPT2_S5_S5_
	.p2align	8
	.type	_ZN9rocsolver6v33100L23getf2_npvt_small_kernelILi42E19rocblas_complex_numIdEiiPS3_EEvT1_T3_lS5_lPT2_S5_S5_,@function
_ZN9rocsolver6v33100L23getf2_npvt_small_kernelILi42E19rocblas_complex_numIdEiiPS3_EEvT1_T3_lS5_lPT2_S5_S5_: ; @_ZN9rocsolver6v33100L23getf2_npvt_small_kernelILi42E19rocblas_complex_numIdEiiPS3_EEvT1_T3_lS5_lPT2_S5_S5_
; %bb.0:
	s_load_dword s2, s[0:1], 0x44
	s_load_dwordx2 s[8:9], s[0:1], 0x30
	v_bfe_u32 v2, v0, 10, 10
	s_waitcnt lgkmcnt(0)
	s_lshr_b32 s2, s2, 16
	s_mul_i32 s3, s3, s2
	v_add_u32_e32 v4, s3, v2
	v_cmp_gt_i32_e32 vcc, s8, v4
	s_and_saveexec_b64 s[4:5], vcc
	s_cbranch_execz .LBB83_381
; %bb.1:
	s_load_dwordx4 s[12:15], s[0:1], 0x8
	s_load_dword s10, s[0:1], 0x18
	s_load_dwordx4 s[4:7], s[0:1], 0x20
	v_ashrrev_i32_e32 v5, 31, v4
	scratch_store_dwordx2 off, v[4:5], off offset:696 ; 8-byte Folded Spill
	v_and_b32_e32 v248, 0x3ff, v0
	s_waitcnt lgkmcnt(0)
	v_mov_b32_e32 v0, s12
	v_mul_lo_u32 v3, s5, v4
	v_mul_lo_u32 v6, s4, v5
	v_mad_u64_u32 v[4:5], s[0:1], s4, v4, 0
	v_mov_b32_e32 v1, s13
	v_add3_u32 v5, v5, v6, v3
	v_lshl_add_u64 v[0:1], v[4:5], 4, v[0:1]
	v_lshl_add_u64 v[0:1], s[14:15], 4, v[0:1]
	v_lshlrev_b32_e32 v4, 4, v248
	v_mov_b32_e32 v5, 0
	s_add_i32 s0, s10, s10
	v_lshl_add_u64 v[254:255], v[0:1], 0, v[4:5]
	v_add_u32_e32 v4, s0, v248
	v_ashrrev_i32_e32 v5, 31, v4
	v_lshl_add_u64 v[56:57], v[4:5], 4, v[0:1]
	v_add_u32_e32 v4, s10, v4
	v_ashrrev_i32_e32 v5, 31, v4
	;; [unrolled: 3-line block ×40, first 2 shown]
	s_ashr_i32 s11, s10, 31
	s_mulk_i32 s2, 0x2a0
	v_lshl_add_u64 v[190:191], v[4:5], 4, v[0:1]
	s_movk_i32 s0, 0x2a0
	s_add_i32 s1, s2, 0
	v_lshl_add_u64 v[0:1], s[10:11], 4, v[254:255]
	v_mad_u32_u24 v250, v2, s0, 0
	v_lshl_add_u32 v249, v2, 4, s1
	global_load_dwordx4 v[160:163], v[254:255], off
	global_load_dwordx4 v[156:159], v[0:1], off
	;; [unrolled: 1-line block ×26, first 2 shown]
	v_cmp_ne_u32_e64 s[2:3], 0, v248
	scratch_store_dwordx2 off, v[0:1], off offset:312 ; 8-byte Folded Spill
	scratch_store_dwordx2 off, v[56:57], off offset:688 ; 8-byte Folded Spill
	scratch_store_dwordx2 off, v[6:7], off  ; 8-byte Folded Spill
	scratch_store_dwordx2 off, v[8:9], off offset:8 ; 8-byte Folded Spill
	scratch_store_dwordx2 off, v[10:11], off offset:16 ; 8-byte Folded Spill
	scratch_store_dwordx2 off, v[12:13], off offset:24 ; 8-byte Folded Spill
	scratch_store_dwordx2 off, v[14:15], off offset:32 ; 8-byte Folded Spill
	scratch_store_dwordx2 off, v[16:17], off offset:40 ; 8-byte Folded Spill
	scratch_store_dwordx2 off, v[18:19], off offset:48 ; 8-byte Folded Spill
	scratch_store_dwordx2 off, v[20:21], off offset:56 ; 8-byte Folded Spill
	scratch_store_dwordx2 off, v[22:23], off offset:64 ; 8-byte Folded Spill
	scratch_store_dwordx2 off, v[24:25], off offset:72 ; 8-byte Folded Spill
	scratch_store_dwordx2 off, v[26:27], off offset:80 ; 8-byte Folded Spill
	scratch_store_dwordx2 off, v[28:29], off offset:88 ; 8-byte Folded Spill
	scratch_store_dwordx2 off, v[30:31], off offset:96 ; 8-byte Folded Spill
	scratch_store_dwordx2 off, v[32:33], off offset:104 ; 8-byte Folded Spill
	scratch_store_dwordx2 off, v[34:35], off offset:112 ; 8-byte Folded Spill
	scratch_store_dwordx2 off, v[36:37], off offset:120 ; 8-byte Folded Spill
	scratch_store_dwordx2 off, v[38:39], off offset:128 ; 8-byte Folded Spill
	scratch_store_dwordx2 off, v[40:41], off offset:136 ; 8-byte Folded Spill
	scratch_store_dwordx2 off, v[42:43], off offset:144 ; 8-byte Folded Spill
	scratch_store_dwordx2 off, v[44:45], off offset:152 ; 8-byte Folded Spill
	scratch_store_dwordx2 off, v[46:47], off offset:160 ; 8-byte Folded Spill
	scratch_store_dwordx2 off, v[48:49], off offset:168 ; 8-byte Folded Spill
	scratch_store_dwordx2 off, v[50:51], off offset:176 ; 8-byte Folded Spill
	scratch_store_dwordx2 off, v[52:53], off offset:184 ; 8-byte Folded Spill
	scratch_store_dwordx2 off, v[54:55], off offset:192 ; 8-byte Folded Spill
	scratch_store_dwordx2 off, v[164:165], off offset:200 ; 8-byte Folded Spill
	global_load_dwordx4 v[48:51], v[164:165], off
	v_cmp_eq_u32_e64 s[0:1], 0, v248
	scratch_store_dwordx2 off, v[166:167], off offset:208 ; 8-byte Folded Spill
	global_load_dwordx4 v[44:47], v[166:167], off
	global_load_dwordx4 v[40:43], v[168:169], off
	;; [unrolled: 1-line block ×14, first 2 shown]
	s_nop 0
	global_load_dwordx4 v[52:55], v[54:55], off
	s_nop 0
	scratch_store_dwordx2 off, v[168:169], off offset:216 ; 8-byte Folded Spill
	scratch_store_dwordx2 off, v[170:171], off offset:224 ; 8-byte Folded Spill
	;; [unrolled: 1-line block ×12, first 2 shown]
	s_and_saveexec_b64 s[10:11], s[0:1]
	s_cbranch_execz .LBB83_8
; %bb.2:
	s_waitcnt vmcnt(62)
	ds_write2_b64 v249, v[160:161], v[162:163] offset1:1
	ds_write2_b64 v250, v[156:157], v[158:159] offset0:2 offset1:3
	ds_write2_b64 v250, v[152:153], v[154:155] offset0:4 offset1:5
	;; [unrolled: 1-line block ×20, first 2 shown]
	s_waitcnt vmcnt(61)
	ds_write2_b64 v250, v[76:77], v[78:79] offset0:42 offset1:43
	s_waitcnt vmcnt(60)
	ds_write2_b64 v250, v[72:73], v[74:75] offset0:44 offset1:45
	;; [unrolled: 2-line block ×7, first 2 shown]
	ds_write2_b64 v250, v[48:49], v[50:51] offset0:56 offset1:57
	ds_write2_b64 v250, v[44:45], v[46:47] offset0:58 offset1:59
	;; [unrolled: 1-line block ×14, first 2 shown]
	ds_read2_b64 v[168:171], v249 offset1:1
	s_waitcnt lgkmcnt(0)
	v_cmp_neq_f64_e32 vcc, 0, v[168:169]
	v_cmp_neq_f64_e64 s[4:5], 0, v[170:171]
	s_or_b64 s[4:5], vcc, s[4:5]
	s_and_b64 exec, exec, s[4:5]
	s_cbranch_execz .LBB83_8
; %bb.3:
	v_cmp_ngt_f64_e64 s[4:5], |v[168:169]|, |v[170:171]|
                                        ; implicit-def: $vgpr172_vgpr173
	s_and_saveexec_b64 s[12:13], s[4:5]
	s_xor_b64 s[4:5], exec, s[12:13]
                                        ; implicit-def: $vgpr174_vgpr175
	s_cbranch_execz .LBB83_5
; %bb.4:
	v_div_scale_f64 v[172:173], s[12:13], v[170:171], v[170:171], v[168:169]
	v_rcp_f64_e32 v[174:175], v[172:173]
	v_div_scale_f64 v[176:177], vcc, v[168:169], v[170:171], v[168:169]
	v_fma_f64 v[178:179], -v[172:173], v[174:175], 1.0
	v_fmac_f64_e32 v[174:175], v[174:175], v[178:179]
	v_fma_f64 v[178:179], -v[172:173], v[174:175], 1.0
	v_fmac_f64_e32 v[174:175], v[174:175], v[178:179]
	v_mul_f64 v[178:179], v[176:177], v[174:175]
	v_fma_f64 v[172:173], -v[172:173], v[178:179], v[176:177]
	v_div_fmas_f64 v[172:173], v[172:173], v[174:175], v[178:179]
	v_div_fixup_f64 v[172:173], v[172:173], v[170:171], v[168:169]
	v_fmac_f64_e32 v[170:171], v[168:169], v[172:173]
	v_div_scale_f64 v[168:169], s[12:13], v[170:171], v[170:171], 1.0
	v_rcp_f64_e32 v[174:175], v[168:169]
	s_nop 0
	v_fma_f64 v[176:177], -v[168:169], v[174:175], 1.0
	v_fmac_f64_e32 v[174:175], v[174:175], v[176:177]
	v_fma_f64 v[176:177], -v[168:169], v[174:175], 1.0
	v_fmac_f64_e32 v[174:175], v[174:175], v[176:177]
	v_div_scale_f64 v[176:177], vcc, 1.0, v[170:171], 1.0
	v_mul_f64 v[178:179], v[176:177], v[174:175]
	v_fma_f64 v[168:169], -v[168:169], v[178:179], v[176:177]
	s_nop 1
	v_div_fmas_f64 v[168:169], v[168:169], v[174:175], v[178:179]
	v_div_fixup_f64 v[174:175], v[168:169], v[170:171], 1.0
	v_mul_f64 v[172:173], v[172:173], v[174:175]
	v_xor_b32_e32 v175, 0x80000000, v175
                                        ; implicit-def: $vgpr168_vgpr169
.LBB83_5:
	s_andn2_saveexec_b64 s[4:5], s[4:5]
	s_cbranch_execz .LBB83_7
; %bb.6:
	v_div_scale_f64 v[172:173], s[12:13], v[168:169], v[168:169], v[170:171]
	v_rcp_f64_e32 v[174:175], v[172:173]
	v_div_scale_f64 v[176:177], vcc, v[170:171], v[168:169], v[170:171]
	v_fma_f64 v[178:179], -v[172:173], v[174:175], 1.0
	v_fmac_f64_e32 v[174:175], v[174:175], v[178:179]
	v_fma_f64 v[178:179], -v[172:173], v[174:175], 1.0
	v_fmac_f64_e32 v[174:175], v[174:175], v[178:179]
	v_mul_f64 v[178:179], v[176:177], v[174:175]
	v_fma_f64 v[172:173], -v[172:173], v[178:179], v[176:177]
	v_div_fmas_f64 v[172:173], v[172:173], v[174:175], v[178:179]
	v_div_fixup_f64 v[174:175], v[172:173], v[168:169], v[170:171]
	v_fmac_f64_e32 v[168:169], v[170:171], v[174:175]
	v_div_scale_f64 v[170:171], s[12:13], v[168:169], v[168:169], 1.0
	v_rcp_f64_e32 v[172:173], v[170:171]
	s_nop 0
	v_fma_f64 v[176:177], -v[170:171], v[172:173], 1.0
	v_fmac_f64_e32 v[172:173], v[172:173], v[176:177]
	v_fma_f64 v[176:177], -v[170:171], v[172:173], 1.0
	v_fmac_f64_e32 v[172:173], v[172:173], v[176:177]
	v_div_scale_f64 v[176:177], vcc, 1.0, v[168:169], 1.0
	v_mul_f64 v[178:179], v[176:177], v[172:173]
	v_fma_f64 v[170:171], -v[170:171], v[178:179], v[176:177]
	s_nop 1
	v_div_fmas_f64 v[170:171], v[170:171], v[172:173], v[178:179]
	v_div_fixup_f64 v[172:173], v[170:171], v[168:169], 1.0
	v_mul_f64 v[174:175], v[174:175], -v[172:173]
.LBB83_7:
	s_or_b64 exec, exec, s[4:5]
	ds_write2_b64 v249, v[172:173], v[174:175] offset1:1
.LBB83_8:
	s_or_b64 exec, exec, s[10:11]
	s_waitcnt lgkmcnt(0)
	s_barrier
	ds_read2_b64 v[168:171], v249 offset1:1
	s_waitcnt lgkmcnt(0)
	scratch_store_dwordx4 off, v[168:171], off offset:320 ; 16-byte Folded Spill
	s_and_saveexec_b64 s[4:5], s[2:3]
	s_cbranch_execz .LBB83_10
; %bb.9:
	scratch_load_dwordx4 v[170:173], off, off offset:320 ; 16-byte Folded Reload
	s_waitcnt vmcnt(0)
	v_mul_f64 v[168:169], v[172:173], v[162:163]
	v_mul_f64 v[162:163], v[170:171], v[162:163]
	v_fma_f64 v[168:169], v[170:171], v[160:161], -v[168:169]
	v_fmac_f64_e32 v[162:163], v[172:173], v[160:161]
	ds_read2_b64 v[170:173], v250 offset0:2 offset1:3
	s_waitcnt lgkmcnt(0)
	v_mul_f64 v[160:161], v[172:173], v[162:163]
	v_fma_f64 v[160:161], v[170:171], v[168:169], -v[160:161]
	v_mul_f64 v[170:171], v[170:171], v[162:163]
	v_fmac_f64_e32 v[170:171], v[172:173], v[168:169]
	v_add_f64 v[158:159], v[158:159], -v[170:171]
	ds_read2_b64 v[170:173], v250 offset0:4 offset1:5
	v_add_f64 v[156:157], v[156:157], -v[160:161]
	s_waitcnt lgkmcnt(0)
	v_mul_f64 v[160:161], v[172:173], v[162:163]
	v_fma_f64 v[160:161], v[170:171], v[168:169], -v[160:161]
	v_mul_f64 v[170:171], v[170:171], v[162:163]
	v_fmac_f64_e32 v[170:171], v[172:173], v[168:169]
	v_add_f64 v[154:155], v[154:155], -v[170:171]
	ds_read2_b64 v[170:173], v250 offset0:6 offset1:7
	v_add_f64 v[152:153], v[152:153], -v[160:161]
	;; [unrolled: 8-line block ×40, first 2 shown]
	s_waitcnt lgkmcnt(0)
	v_mul_f64 v[160:161], v[172:173], v[162:163]
	v_fma_f64 v[160:161], v[170:171], v[168:169], -v[160:161]
	v_mul_f64 v[170:171], v[170:171], v[162:163]
	v_fmac_f64_e32 v[170:171], v[172:173], v[168:169]
	v_add_f64 v[164:165], v[164:165], -v[160:161]
	v_add_f64 v[166:167], v[166:167], -v[170:171]
	v_mov_b64_e32 v[160:161], v[168:169]
.LBB83_10:
	s_or_b64 exec, exec, s[4:5]
	v_cmp_eq_u32_e32 vcc, 1, v248
	s_waitcnt vmcnt(63) expcnt(7) lgkmcnt(15)
	s_barrier
	s_and_saveexec_b64 s[4:5], vcc
	s_cbranch_execz .LBB83_17
; %bb.11:
	ds_write2_b64 v249, v[156:157], v[158:159] offset1:1
	ds_write2_b64 v250, v[152:153], v[154:155] offset0:4 offset1:5
	ds_write2_b64 v250, v[148:149], v[150:151] offset0:6 offset1:7
	;; [unrolled: 1-line block ×19, first 2 shown]
	s_waitcnt vmcnt(62)
	ds_write2_b64 v250, v[76:77], v[78:79] offset0:42 offset1:43
	s_waitcnt vmcnt(61)
	ds_write2_b64 v250, v[72:73], v[74:75] offset0:44 offset1:45
	;; [unrolled: 2-line block ×7, first 2 shown]
	ds_write2_b64 v250, v[48:49], v[50:51] offset0:56 offset1:57
	ds_write2_b64 v250, v[44:45], v[46:47] offset0:58 offset1:59
	;; [unrolled: 1-line block ×14, first 2 shown]
	ds_read2_b64 v[168:171], v249 offset1:1
	s_waitcnt lgkmcnt(0)
	v_cmp_neq_f64_e32 vcc, 0, v[168:169]
	v_cmp_neq_f64_e64 s[2:3], 0, v[170:171]
	s_or_b64 s[2:3], vcc, s[2:3]
	s_and_b64 exec, exec, s[2:3]
	s_cbranch_execz .LBB83_17
; %bb.12:
	v_cmp_ngt_f64_e64 s[2:3], |v[168:169]|, |v[170:171]|
                                        ; implicit-def: $vgpr172_vgpr173
	s_and_saveexec_b64 s[10:11], s[2:3]
	s_xor_b64 s[2:3], exec, s[10:11]
                                        ; implicit-def: $vgpr174_vgpr175
	s_cbranch_execz .LBB83_14
; %bb.13:
	v_div_scale_f64 v[172:173], s[10:11], v[170:171], v[170:171], v[168:169]
	v_rcp_f64_e32 v[174:175], v[172:173]
	v_div_scale_f64 v[176:177], vcc, v[168:169], v[170:171], v[168:169]
	v_fma_f64 v[178:179], -v[172:173], v[174:175], 1.0
	v_fmac_f64_e32 v[174:175], v[174:175], v[178:179]
	v_fma_f64 v[178:179], -v[172:173], v[174:175], 1.0
	v_fmac_f64_e32 v[174:175], v[174:175], v[178:179]
	v_mul_f64 v[178:179], v[176:177], v[174:175]
	v_fma_f64 v[172:173], -v[172:173], v[178:179], v[176:177]
	v_div_fmas_f64 v[172:173], v[172:173], v[174:175], v[178:179]
	v_div_fixup_f64 v[172:173], v[172:173], v[170:171], v[168:169]
	v_fmac_f64_e32 v[170:171], v[168:169], v[172:173]
	v_div_scale_f64 v[168:169], s[10:11], v[170:171], v[170:171], 1.0
	v_rcp_f64_e32 v[174:175], v[168:169]
	s_nop 0
	v_fma_f64 v[176:177], -v[168:169], v[174:175], 1.0
	v_fmac_f64_e32 v[174:175], v[174:175], v[176:177]
	v_fma_f64 v[176:177], -v[168:169], v[174:175], 1.0
	v_fmac_f64_e32 v[174:175], v[174:175], v[176:177]
	v_div_scale_f64 v[176:177], vcc, 1.0, v[170:171], 1.0
	v_mul_f64 v[178:179], v[176:177], v[174:175]
	v_fma_f64 v[168:169], -v[168:169], v[178:179], v[176:177]
	s_nop 1
	v_div_fmas_f64 v[168:169], v[168:169], v[174:175], v[178:179]
	v_div_fixup_f64 v[174:175], v[168:169], v[170:171], 1.0
	v_mul_f64 v[172:173], v[172:173], v[174:175]
	v_xor_b32_e32 v175, 0x80000000, v175
                                        ; implicit-def: $vgpr168_vgpr169
.LBB83_14:
	s_andn2_saveexec_b64 s[2:3], s[2:3]
	s_cbranch_execz .LBB83_16
; %bb.15:
	v_div_scale_f64 v[172:173], s[10:11], v[168:169], v[168:169], v[170:171]
	v_rcp_f64_e32 v[174:175], v[172:173]
	v_div_scale_f64 v[176:177], vcc, v[170:171], v[168:169], v[170:171]
	v_fma_f64 v[178:179], -v[172:173], v[174:175], 1.0
	v_fmac_f64_e32 v[174:175], v[174:175], v[178:179]
	v_fma_f64 v[178:179], -v[172:173], v[174:175], 1.0
	v_fmac_f64_e32 v[174:175], v[174:175], v[178:179]
	v_mul_f64 v[178:179], v[176:177], v[174:175]
	v_fma_f64 v[172:173], -v[172:173], v[178:179], v[176:177]
	v_div_fmas_f64 v[172:173], v[172:173], v[174:175], v[178:179]
	v_div_fixup_f64 v[174:175], v[172:173], v[168:169], v[170:171]
	v_fmac_f64_e32 v[168:169], v[170:171], v[174:175]
	v_div_scale_f64 v[170:171], s[10:11], v[168:169], v[168:169], 1.0
	v_rcp_f64_e32 v[172:173], v[170:171]
	s_nop 0
	v_fma_f64 v[176:177], -v[170:171], v[172:173], 1.0
	v_fmac_f64_e32 v[172:173], v[172:173], v[176:177]
	v_fma_f64 v[176:177], -v[170:171], v[172:173], 1.0
	v_fmac_f64_e32 v[172:173], v[172:173], v[176:177]
	v_div_scale_f64 v[176:177], vcc, 1.0, v[168:169], 1.0
	v_mul_f64 v[178:179], v[176:177], v[172:173]
	v_fma_f64 v[170:171], -v[170:171], v[178:179], v[176:177]
	s_nop 1
	v_div_fmas_f64 v[170:171], v[170:171], v[172:173], v[178:179]
	v_div_fixup_f64 v[172:173], v[170:171], v[168:169], 1.0
	v_mul_f64 v[174:175], v[174:175], -v[172:173]
.LBB83_16:
	s_or_b64 exec, exec, s[2:3]
	ds_write2_b64 v249, v[172:173], v[174:175] offset1:1
.LBB83_17:
	s_or_b64 exec, exec, s[4:5]
	s_waitcnt lgkmcnt(0)
	s_barrier
	ds_read2_b64 v[168:171], v249 offset1:1
	v_cmp_lt_u32_e32 vcc, 1, v248
	s_waitcnt lgkmcnt(0)
	scratch_store_dwordx4 off, v[168:171], off offset:336 ; 16-byte Folded Spill
	s_and_saveexec_b64 s[2:3], vcc
	s_cbranch_execz .LBB83_19
; %bb.18:
	scratch_load_dwordx4 v[170:173], off, off offset:336 ; 16-byte Folded Reload
	s_waitcnt vmcnt(0)
	v_mul_f64 v[168:169], v[172:173], v[158:159]
	v_mul_f64 v[158:159], v[170:171], v[158:159]
	v_fma_f64 v[168:169], v[170:171], v[156:157], -v[168:169]
	v_fmac_f64_e32 v[158:159], v[172:173], v[156:157]
	ds_read2_b64 v[170:173], v250 offset0:4 offset1:5
	s_waitcnt lgkmcnt(0)
	v_mul_f64 v[156:157], v[172:173], v[158:159]
	v_fma_f64 v[156:157], v[170:171], v[168:169], -v[156:157]
	v_mul_f64 v[170:171], v[170:171], v[158:159]
	v_fmac_f64_e32 v[170:171], v[172:173], v[168:169]
	v_add_f64 v[154:155], v[154:155], -v[170:171]
	ds_read2_b64 v[170:173], v250 offset0:6 offset1:7
	v_add_f64 v[152:153], v[152:153], -v[156:157]
	s_waitcnt lgkmcnt(0)
	v_mul_f64 v[156:157], v[172:173], v[158:159]
	v_fma_f64 v[156:157], v[170:171], v[168:169], -v[156:157]
	v_mul_f64 v[170:171], v[170:171], v[158:159]
	v_fmac_f64_e32 v[170:171], v[172:173], v[168:169]
	v_add_f64 v[150:151], v[150:151], -v[170:171]
	ds_read2_b64 v[170:173], v250 offset0:8 offset1:9
	v_add_f64 v[148:149], v[148:149], -v[156:157]
	;; [unrolled: 8-line block ×39, first 2 shown]
	s_waitcnt lgkmcnt(0)
	v_mul_f64 v[156:157], v[172:173], v[158:159]
	v_fma_f64 v[156:157], v[170:171], v[168:169], -v[156:157]
	v_mul_f64 v[170:171], v[170:171], v[158:159]
	v_fmac_f64_e32 v[170:171], v[172:173], v[168:169]
	v_add_f64 v[164:165], v[164:165], -v[156:157]
	v_add_f64 v[166:167], v[166:167], -v[170:171]
	v_mov_b64_e32 v[156:157], v[168:169]
.LBB83_19:
	s_or_b64 exec, exec, s[2:3]
	v_cmp_eq_u32_e32 vcc, 2, v248
	s_waitcnt vmcnt(63) expcnt(7) lgkmcnt(15)
	s_barrier
	s_and_saveexec_b64 s[4:5], vcc
	s_cbranch_execz .LBB83_26
; %bb.20:
	ds_write2_b64 v249, v[152:153], v[154:155] offset1:1
	ds_write2_b64 v250, v[148:149], v[150:151] offset0:6 offset1:7
	ds_write2_b64 v250, v[144:145], v[146:147] offset0:8 offset1:9
	;; [unrolled: 1-line block ×19, first 2 shown]
	s_waitcnt vmcnt(62)
	ds_write2_b64 v250, v[72:73], v[74:75] offset0:44 offset1:45
	s_waitcnt vmcnt(61)
	ds_write2_b64 v250, v[68:69], v[70:71] offset0:46 offset1:47
	;; [unrolled: 2-line block ×6, first 2 shown]
	ds_write2_b64 v250, v[48:49], v[50:51] offset0:56 offset1:57
	ds_write2_b64 v250, v[44:45], v[46:47] offset0:58 offset1:59
	;; [unrolled: 1-line block ×14, first 2 shown]
	ds_read2_b64 v[168:171], v249 offset1:1
	s_waitcnt lgkmcnt(0)
	v_cmp_neq_f64_e32 vcc, 0, v[168:169]
	v_cmp_neq_f64_e64 s[2:3], 0, v[170:171]
	s_or_b64 s[2:3], vcc, s[2:3]
	s_and_b64 exec, exec, s[2:3]
	s_cbranch_execz .LBB83_26
; %bb.21:
	v_cmp_ngt_f64_e64 s[2:3], |v[168:169]|, |v[170:171]|
                                        ; implicit-def: $vgpr172_vgpr173
	s_and_saveexec_b64 s[10:11], s[2:3]
	s_xor_b64 s[2:3], exec, s[10:11]
                                        ; implicit-def: $vgpr174_vgpr175
	s_cbranch_execz .LBB83_23
; %bb.22:
	v_div_scale_f64 v[172:173], s[10:11], v[170:171], v[170:171], v[168:169]
	v_rcp_f64_e32 v[174:175], v[172:173]
	v_div_scale_f64 v[176:177], vcc, v[168:169], v[170:171], v[168:169]
	v_fma_f64 v[178:179], -v[172:173], v[174:175], 1.0
	v_fmac_f64_e32 v[174:175], v[174:175], v[178:179]
	v_fma_f64 v[178:179], -v[172:173], v[174:175], 1.0
	v_fmac_f64_e32 v[174:175], v[174:175], v[178:179]
	v_mul_f64 v[178:179], v[176:177], v[174:175]
	v_fma_f64 v[172:173], -v[172:173], v[178:179], v[176:177]
	v_div_fmas_f64 v[172:173], v[172:173], v[174:175], v[178:179]
	v_div_fixup_f64 v[172:173], v[172:173], v[170:171], v[168:169]
	v_fmac_f64_e32 v[170:171], v[168:169], v[172:173]
	v_div_scale_f64 v[168:169], s[10:11], v[170:171], v[170:171], 1.0
	v_rcp_f64_e32 v[174:175], v[168:169]
	s_nop 0
	v_fma_f64 v[176:177], -v[168:169], v[174:175], 1.0
	v_fmac_f64_e32 v[174:175], v[174:175], v[176:177]
	v_fma_f64 v[176:177], -v[168:169], v[174:175], 1.0
	v_fmac_f64_e32 v[174:175], v[174:175], v[176:177]
	v_div_scale_f64 v[176:177], vcc, 1.0, v[170:171], 1.0
	v_mul_f64 v[178:179], v[176:177], v[174:175]
	v_fma_f64 v[168:169], -v[168:169], v[178:179], v[176:177]
	s_nop 1
	v_div_fmas_f64 v[168:169], v[168:169], v[174:175], v[178:179]
	v_div_fixup_f64 v[174:175], v[168:169], v[170:171], 1.0
	v_mul_f64 v[172:173], v[172:173], v[174:175]
	v_xor_b32_e32 v175, 0x80000000, v175
                                        ; implicit-def: $vgpr168_vgpr169
.LBB83_23:
	s_andn2_saveexec_b64 s[2:3], s[2:3]
	s_cbranch_execz .LBB83_25
; %bb.24:
	v_div_scale_f64 v[172:173], s[10:11], v[168:169], v[168:169], v[170:171]
	v_rcp_f64_e32 v[174:175], v[172:173]
	v_div_scale_f64 v[176:177], vcc, v[170:171], v[168:169], v[170:171]
	v_fma_f64 v[178:179], -v[172:173], v[174:175], 1.0
	v_fmac_f64_e32 v[174:175], v[174:175], v[178:179]
	v_fma_f64 v[178:179], -v[172:173], v[174:175], 1.0
	v_fmac_f64_e32 v[174:175], v[174:175], v[178:179]
	v_mul_f64 v[178:179], v[176:177], v[174:175]
	v_fma_f64 v[172:173], -v[172:173], v[178:179], v[176:177]
	v_div_fmas_f64 v[172:173], v[172:173], v[174:175], v[178:179]
	v_div_fixup_f64 v[174:175], v[172:173], v[168:169], v[170:171]
	v_fmac_f64_e32 v[168:169], v[170:171], v[174:175]
	v_div_scale_f64 v[170:171], s[10:11], v[168:169], v[168:169], 1.0
	v_rcp_f64_e32 v[172:173], v[170:171]
	s_nop 0
	v_fma_f64 v[176:177], -v[170:171], v[172:173], 1.0
	v_fmac_f64_e32 v[172:173], v[172:173], v[176:177]
	v_fma_f64 v[176:177], -v[170:171], v[172:173], 1.0
	v_fmac_f64_e32 v[172:173], v[172:173], v[176:177]
	v_div_scale_f64 v[176:177], vcc, 1.0, v[168:169], 1.0
	v_mul_f64 v[178:179], v[176:177], v[172:173]
	v_fma_f64 v[170:171], -v[170:171], v[178:179], v[176:177]
	s_nop 1
	v_div_fmas_f64 v[170:171], v[170:171], v[172:173], v[178:179]
	v_div_fixup_f64 v[172:173], v[170:171], v[168:169], 1.0
	v_mul_f64 v[174:175], v[174:175], -v[172:173]
.LBB83_25:
	s_or_b64 exec, exec, s[2:3]
	ds_write2_b64 v249, v[172:173], v[174:175] offset1:1
.LBB83_26:
	s_or_b64 exec, exec, s[4:5]
	s_waitcnt lgkmcnt(0)
	s_barrier
	ds_read2_b64 v[168:171], v249 offset1:1
	v_cmp_lt_u32_e32 vcc, 2, v248
	s_waitcnt lgkmcnt(0)
	scratch_store_dwordx4 off, v[168:171], off offset:352 ; 16-byte Folded Spill
	s_and_saveexec_b64 s[2:3], vcc
	s_cbranch_execz .LBB83_28
; %bb.27:
	scratch_load_dwordx4 v[170:173], off, off offset:352 ; 16-byte Folded Reload
	s_waitcnt vmcnt(0)
	v_mul_f64 v[168:169], v[172:173], v[154:155]
	v_mul_f64 v[154:155], v[170:171], v[154:155]
	v_fma_f64 v[168:169], v[170:171], v[152:153], -v[168:169]
	v_fmac_f64_e32 v[154:155], v[172:173], v[152:153]
	ds_read2_b64 v[170:173], v250 offset0:6 offset1:7
	s_waitcnt lgkmcnt(0)
	v_mul_f64 v[152:153], v[172:173], v[154:155]
	v_fma_f64 v[152:153], v[170:171], v[168:169], -v[152:153]
	v_mul_f64 v[170:171], v[170:171], v[154:155]
	v_fmac_f64_e32 v[170:171], v[172:173], v[168:169]
	v_add_f64 v[150:151], v[150:151], -v[170:171]
	ds_read2_b64 v[170:173], v250 offset0:8 offset1:9
	v_add_f64 v[148:149], v[148:149], -v[152:153]
	s_waitcnt lgkmcnt(0)
	v_mul_f64 v[152:153], v[172:173], v[154:155]
	v_fma_f64 v[152:153], v[170:171], v[168:169], -v[152:153]
	v_mul_f64 v[170:171], v[170:171], v[154:155]
	v_fmac_f64_e32 v[170:171], v[172:173], v[168:169]
	v_add_f64 v[146:147], v[146:147], -v[170:171]
	ds_read2_b64 v[170:173], v250 offset0:10 offset1:11
	v_add_f64 v[144:145], v[144:145], -v[152:153]
	;; [unrolled: 8-line block ×38, first 2 shown]
	s_waitcnt lgkmcnt(0)
	v_mul_f64 v[152:153], v[172:173], v[154:155]
	v_fma_f64 v[152:153], v[170:171], v[168:169], -v[152:153]
	v_mul_f64 v[170:171], v[170:171], v[154:155]
	v_fmac_f64_e32 v[170:171], v[172:173], v[168:169]
	v_add_f64 v[164:165], v[164:165], -v[152:153]
	v_add_f64 v[166:167], v[166:167], -v[170:171]
	v_mov_b64_e32 v[152:153], v[168:169]
.LBB83_28:
	s_or_b64 exec, exec, s[2:3]
	v_cmp_eq_u32_e32 vcc, 3, v248
	s_waitcnt vmcnt(63) expcnt(7) lgkmcnt(15)
	s_barrier
	s_and_saveexec_b64 s[4:5], vcc
	s_cbranch_execz .LBB83_35
; %bb.29:
	ds_write2_b64 v249, v[148:149], v[150:151] offset1:1
	ds_write2_b64 v250, v[144:145], v[146:147] offset0:8 offset1:9
	ds_write2_b64 v250, v[140:141], v[142:143] offset0:10 offset1:11
	ds_write2_b64 v250, v[136:137], v[138:139] offset0:12 offset1:13
	ds_write2_b64 v250, v[132:133], v[134:135] offset0:14 offset1:15
	ds_write2_b64 v250, v[128:129], v[130:131] offset0:16 offset1:17
	ds_write2_b64 v250, v[124:125], v[126:127] offset0:18 offset1:19
	ds_write2_b64 v250, v[120:121], v[122:123] offset0:20 offset1:21
	ds_write2_b64 v250, v[116:117], v[118:119] offset0:22 offset1:23
	ds_write2_b64 v250, v[112:113], v[114:115] offset0:24 offset1:25
	ds_write2_b64 v250, v[108:109], v[110:111] offset0:26 offset1:27
	ds_write2_b64 v250, v[104:105], v[106:107] offset0:28 offset1:29
	ds_write2_b64 v250, v[100:101], v[102:103] offset0:30 offset1:31
	ds_write2_b64 v250, v[96:97], v[98:99] offset0:32 offset1:33
	ds_write2_b64 v250, v[92:93], v[94:95] offset0:34 offset1:35
	ds_write2_b64 v250, v[88:89], v[90:91] offset0:36 offset1:37
	ds_write2_b64 v250, v[84:85], v[86:87] offset0:38 offset1:39
	ds_write2_b64 v250, v[80:81], v[82:83] offset0:40 offset1:41
	ds_write2_b64 v250, v[76:77], v[78:79] offset0:42 offset1:43
	ds_write2_b64 v250, v[72:73], v[74:75] offset0:44 offset1:45
	s_waitcnt vmcnt(62)
	ds_write2_b64 v250, v[68:69], v[70:71] offset0:46 offset1:47
	s_waitcnt vmcnt(61)
	ds_write2_b64 v250, v[64:65], v[66:67] offset0:48 offset1:49
	;; [unrolled: 2-line block ×5, first 2 shown]
	ds_write2_b64 v250, v[48:49], v[50:51] offset0:56 offset1:57
	ds_write2_b64 v250, v[44:45], v[46:47] offset0:58 offset1:59
	;; [unrolled: 1-line block ×14, first 2 shown]
	ds_read2_b64 v[168:171], v249 offset1:1
	s_waitcnt lgkmcnt(0)
	v_cmp_neq_f64_e32 vcc, 0, v[168:169]
	v_cmp_neq_f64_e64 s[2:3], 0, v[170:171]
	s_or_b64 s[2:3], vcc, s[2:3]
	s_and_b64 exec, exec, s[2:3]
	s_cbranch_execz .LBB83_35
; %bb.30:
	v_cmp_ngt_f64_e64 s[2:3], |v[168:169]|, |v[170:171]|
                                        ; implicit-def: $vgpr172_vgpr173
	s_and_saveexec_b64 s[10:11], s[2:3]
	s_xor_b64 s[2:3], exec, s[10:11]
                                        ; implicit-def: $vgpr174_vgpr175
	s_cbranch_execz .LBB83_32
; %bb.31:
	v_div_scale_f64 v[172:173], s[10:11], v[170:171], v[170:171], v[168:169]
	v_rcp_f64_e32 v[174:175], v[172:173]
	v_div_scale_f64 v[176:177], vcc, v[168:169], v[170:171], v[168:169]
	v_fma_f64 v[178:179], -v[172:173], v[174:175], 1.0
	v_fmac_f64_e32 v[174:175], v[174:175], v[178:179]
	v_fma_f64 v[178:179], -v[172:173], v[174:175], 1.0
	v_fmac_f64_e32 v[174:175], v[174:175], v[178:179]
	v_mul_f64 v[178:179], v[176:177], v[174:175]
	v_fma_f64 v[172:173], -v[172:173], v[178:179], v[176:177]
	v_div_fmas_f64 v[172:173], v[172:173], v[174:175], v[178:179]
	v_div_fixup_f64 v[172:173], v[172:173], v[170:171], v[168:169]
	v_fmac_f64_e32 v[170:171], v[168:169], v[172:173]
	v_div_scale_f64 v[168:169], s[10:11], v[170:171], v[170:171], 1.0
	v_rcp_f64_e32 v[174:175], v[168:169]
	s_nop 0
	v_fma_f64 v[176:177], -v[168:169], v[174:175], 1.0
	v_fmac_f64_e32 v[174:175], v[174:175], v[176:177]
	v_fma_f64 v[176:177], -v[168:169], v[174:175], 1.0
	v_fmac_f64_e32 v[174:175], v[174:175], v[176:177]
	v_div_scale_f64 v[176:177], vcc, 1.0, v[170:171], 1.0
	v_mul_f64 v[178:179], v[176:177], v[174:175]
	v_fma_f64 v[168:169], -v[168:169], v[178:179], v[176:177]
	s_nop 1
	v_div_fmas_f64 v[168:169], v[168:169], v[174:175], v[178:179]
	v_div_fixup_f64 v[174:175], v[168:169], v[170:171], 1.0
	v_mul_f64 v[172:173], v[172:173], v[174:175]
	v_xor_b32_e32 v175, 0x80000000, v175
                                        ; implicit-def: $vgpr168_vgpr169
.LBB83_32:
	s_andn2_saveexec_b64 s[2:3], s[2:3]
	s_cbranch_execz .LBB83_34
; %bb.33:
	v_div_scale_f64 v[172:173], s[10:11], v[168:169], v[168:169], v[170:171]
	v_rcp_f64_e32 v[174:175], v[172:173]
	v_div_scale_f64 v[176:177], vcc, v[170:171], v[168:169], v[170:171]
	v_fma_f64 v[178:179], -v[172:173], v[174:175], 1.0
	v_fmac_f64_e32 v[174:175], v[174:175], v[178:179]
	v_fma_f64 v[178:179], -v[172:173], v[174:175], 1.0
	v_fmac_f64_e32 v[174:175], v[174:175], v[178:179]
	v_mul_f64 v[178:179], v[176:177], v[174:175]
	v_fma_f64 v[172:173], -v[172:173], v[178:179], v[176:177]
	v_div_fmas_f64 v[172:173], v[172:173], v[174:175], v[178:179]
	v_div_fixup_f64 v[174:175], v[172:173], v[168:169], v[170:171]
	v_fmac_f64_e32 v[168:169], v[170:171], v[174:175]
	v_div_scale_f64 v[170:171], s[10:11], v[168:169], v[168:169], 1.0
	v_rcp_f64_e32 v[172:173], v[170:171]
	s_nop 0
	v_fma_f64 v[176:177], -v[170:171], v[172:173], 1.0
	v_fmac_f64_e32 v[172:173], v[172:173], v[176:177]
	v_fma_f64 v[176:177], -v[170:171], v[172:173], 1.0
	v_fmac_f64_e32 v[172:173], v[172:173], v[176:177]
	v_div_scale_f64 v[176:177], vcc, 1.0, v[168:169], 1.0
	v_mul_f64 v[178:179], v[176:177], v[172:173]
	v_fma_f64 v[170:171], -v[170:171], v[178:179], v[176:177]
	s_nop 1
	v_div_fmas_f64 v[170:171], v[170:171], v[172:173], v[178:179]
	v_div_fixup_f64 v[172:173], v[170:171], v[168:169], 1.0
	v_mul_f64 v[174:175], v[174:175], -v[172:173]
.LBB83_34:
	s_or_b64 exec, exec, s[2:3]
	ds_write2_b64 v249, v[172:173], v[174:175] offset1:1
.LBB83_35:
	s_or_b64 exec, exec, s[4:5]
	s_waitcnt lgkmcnt(0)
	s_barrier
	ds_read2_b64 v[168:171], v249 offset1:1
	v_cmp_lt_u32_e32 vcc, 3, v248
	s_waitcnt lgkmcnt(0)
	scratch_store_dwordx4 off, v[168:171], off offset:368 ; 16-byte Folded Spill
	s_and_saveexec_b64 s[2:3], vcc
	s_cbranch_execz .LBB83_37
; %bb.36:
	scratch_load_dwordx4 v[170:173], off, off offset:368 ; 16-byte Folded Reload
	s_waitcnt vmcnt(0)
	v_mul_f64 v[168:169], v[172:173], v[150:151]
	v_mul_f64 v[150:151], v[170:171], v[150:151]
	v_fma_f64 v[168:169], v[170:171], v[148:149], -v[168:169]
	v_fmac_f64_e32 v[150:151], v[172:173], v[148:149]
	ds_read2_b64 v[170:173], v250 offset0:8 offset1:9
	s_waitcnt lgkmcnt(0)
	v_mul_f64 v[148:149], v[172:173], v[150:151]
	v_fma_f64 v[148:149], v[170:171], v[168:169], -v[148:149]
	v_mul_f64 v[170:171], v[170:171], v[150:151]
	v_fmac_f64_e32 v[170:171], v[172:173], v[168:169]
	v_add_f64 v[146:147], v[146:147], -v[170:171]
	ds_read2_b64 v[170:173], v250 offset0:10 offset1:11
	v_add_f64 v[144:145], v[144:145], -v[148:149]
	s_waitcnt lgkmcnt(0)
	v_mul_f64 v[148:149], v[172:173], v[150:151]
	v_fma_f64 v[148:149], v[170:171], v[168:169], -v[148:149]
	v_mul_f64 v[170:171], v[170:171], v[150:151]
	v_fmac_f64_e32 v[170:171], v[172:173], v[168:169]
	v_add_f64 v[142:143], v[142:143], -v[170:171]
	ds_read2_b64 v[170:173], v250 offset0:12 offset1:13
	v_add_f64 v[140:141], v[140:141], -v[148:149]
	;; [unrolled: 8-line block ×37, first 2 shown]
	s_waitcnt lgkmcnt(0)
	v_mul_f64 v[148:149], v[172:173], v[150:151]
	v_fma_f64 v[148:149], v[170:171], v[168:169], -v[148:149]
	v_mul_f64 v[170:171], v[170:171], v[150:151]
	v_fmac_f64_e32 v[170:171], v[172:173], v[168:169]
	v_add_f64 v[164:165], v[164:165], -v[148:149]
	v_add_f64 v[166:167], v[166:167], -v[170:171]
	v_mov_b64_e32 v[148:149], v[168:169]
.LBB83_37:
	s_or_b64 exec, exec, s[2:3]
	v_cmp_eq_u32_e32 vcc, 4, v248
	s_waitcnt vmcnt(63) expcnt(7) lgkmcnt(15)
	s_barrier
	s_and_saveexec_b64 s[4:5], vcc
	s_cbranch_execz .LBB83_44
; %bb.38:
	ds_write2_b64 v249, v[144:145], v[146:147] offset1:1
	ds_write2_b64 v250, v[140:141], v[142:143] offset0:10 offset1:11
	ds_write2_b64 v250, v[136:137], v[138:139] offset0:12 offset1:13
	;; [unrolled: 1-line block ×19, first 2 shown]
	s_waitcnt vmcnt(62)
	ds_write2_b64 v250, v[64:65], v[66:67] offset0:48 offset1:49
	s_waitcnt vmcnt(61)
	ds_write2_b64 v250, v[60:61], v[62:63] offset0:50 offset1:51
	;; [unrolled: 2-line block ×4, first 2 shown]
	ds_write2_b64 v250, v[48:49], v[50:51] offset0:56 offset1:57
	ds_write2_b64 v250, v[44:45], v[46:47] offset0:58 offset1:59
	;; [unrolled: 1-line block ×14, first 2 shown]
	ds_read2_b64 v[168:171], v249 offset1:1
	s_waitcnt lgkmcnt(0)
	v_cmp_neq_f64_e32 vcc, 0, v[168:169]
	v_cmp_neq_f64_e64 s[2:3], 0, v[170:171]
	s_or_b64 s[2:3], vcc, s[2:3]
	s_and_b64 exec, exec, s[2:3]
	s_cbranch_execz .LBB83_44
; %bb.39:
	v_cmp_ngt_f64_e64 s[2:3], |v[168:169]|, |v[170:171]|
                                        ; implicit-def: $vgpr172_vgpr173
	s_and_saveexec_b64 s[10:11], s[2:3]
	s_xor_b64 s[2:3], exec, s[10:11]
                                        ; implicit-def: $vgpr174_vgpr175
	s_cbranch_execz .LBB83_41
; %bb.40:
	v_div_scale_f64 v[172:173], s[10:11], v[170:171], v[170:171], v[168:169]
	v_rcp_f64_e32 v[174:175], v[172:173]
	v_div_scale_f64 v[176:177], vcc, v[168:169], v[170:171], v[168:169]
	v_fma_f64 v[178:179], -v[172:173], v[174:175], 1.0
	v_fmac_f64_e32 v[174:175], v[174:175], v[178:179]
	v_fma_f64 v[178:179], -v[172:173], v[174:175], 1.0
	v_fmac_f64_e32 v[174:175], v[174:175], v[178:179]
	v_mul_f64 v[178:179], v[176:177], v[174:175]
	v_fma_f64 v[172:173], -v[172:173], v[178:179], v[176:177]
	v_div_fmas_f64 v[172:173], v[172:173], v[174:175], v[178:179]
	v_div_fixup_f64 v[172:173], v[172:173], v[170:171], v[168:169]
	v_fmac_f64_e32 v[170:171], v[168:169], v[172:173]
	v_div_scale_f64 v[168:169], s[10:11], v[170:171], v[170:171], 1.0
	v_rcp_f64_e32 v[174:175], v[168:169]
	s_nop 0
	v_fma_f64 v[176:177], -v[168:169], v[174:175], 1.0
	v_fmac_f64_e32 v[174:175], v[174:175], v[176:177]
	v_fma_f64 v[176:177], -v[168:169], v[174:175], 1.0
	v_fmac_f64_e32 v[174:175], v[174:175], v[176:177]
	v_div_scale_f64 v[176:177], vcc, 1.0, v[170:171], 1.0
	v_mul_f64 v[178:179], v[176:177], v[174:175]
	v_fma_f64 v[168:169], -v[168:169], v[178:179], v[176:177]
	s_nop 1
	v_div_fmas_f64 v[168:169], v[168:169], v[174:175], v[178:179]
	v_div_fixup_f64 v[174:175], v[168:169], v[170:171], 1.0
	v_mul_f64 v[172:173], v[172:173], v[174:175]
	v_xor_b32_e32 v175, 0x80000000, v175
                                        ; implicit-def: $vgpr168_vgpr169
.LBB83_41:
	s_andn2_saveexec_b64 s[2:3], s[2:3]
	s_cbranch_execz .LBB83_43
; %bb.42:
	v_div_scale_f64 v[172:173], s[10:11], v[168:169], v[168:169], v[170:171]
	v_rcp_f64_e32 v[174:175], v[172:173]
	v_div_scale_f64 v[176:177], vcc, v[170:171], v[168:169], v[170:171]
	v_fma_f64 v[178:179], -v[172:173], v[174:175], 1.0
	v_fmac_f64_e32 v[174:175], v[174:175], v[178:179]
	v_fma_f64 v[178:179], -v[172:173], v[174:175], 1.0
	v_fmac_f64_e32 v[174:175], v[174:175], v[178:179]
	v_mul_f64 v[178:179], v[176:177], v[174:175]
	v_fma_f64 v[172:173], -v[172:173], v[178:179], v[176:177]
	v_div_fmas_f64 v[172:173], v[172:173], v[174:175], v[178:179]
	v_div_fixup_f64 v[174:175], v[172:173], v[168:169], v[170:171]
	v_fmac_f64_e32 v[168:169], v[170:171], v[174:175]
	v_div_scale_f64 v[170:171], s[10:11], v[168:169], v[168:169], 1.0
	v_rcp_f64_e32 v[172:173], v[170:171]
	s_nop 0
	v_fma_f64 v[176:177], -v[170:171], v[172:173], 1.0
	v_fmac_f64_e32 v[172:173], v[172:173], v[176:177]
	v_fma_f64 v[176:177], -v[170:171], v[172:173], 1.0
	v_fmac_f64_e32 v[172:173], v[172:173], v[176:177]
	v_div_scale_f64 v[176:177], vcc, 1.0, v[168:169], 1.0
	v_mul_f64 v[178:179], v[176:177], v[172:173]
	v_fma_f64 v[170:171], -v[170:171], v[178:179], v[176:177]
	s_nop 1
	v_div_fmas_f64 v[170:171], v[170:171], v[172:173], v[178:179]
	v_div_fixup_f64 v[172:173], v[170:171], v[168:169], 1.0
	v_mul_f64 v[174:175], v[174:175], -v[172:173]
.LBB83_43:
	s_or_b64 exec, exec, s[2:3]
	ds_write2_b64 v249, v[172:173], v[174:175] offset1:1
.LBB83_44:
	s_or_b64 exec, exec, s[4:5]
	s_waitcnt lgkmcnt(0)
	s_barrier
	ds_read2_b64 v[168:171], v249 offset1:1
	v_cmp_lt_u32_e32 vcc, 4, v248
	s_waitcnt lgkmcnt(0)
	scratch_store_dwordx4 off, v[168:171], off offset:384 ; 16-byte Folded Spill
	s_and_saveexec_b64 s[2:3], vcc
	s_cbranch_execz .LBB83_46
; %bb.45:
	scratch_load_dwordx4 v[170:173], off, off offset:384 ; 16-byte Folded Reload
	s_waitcnt vmcnt(0)
	v_mul_f64 v[168:169], v[172:173], v[146:147]
	v_mul_f64 v[146:147], v[170:171], v[146:147]
	v_fma_f64 v[168:169], v[170:171], v[144:145], -v[168:169]
	v_fmac_f64_e32 v[146:147], v[172:173], v[144:145]
	ds_read2_b64 v[170:173], v250 offset0:10 offset1:11
	s_waitcnt lgkmcnt(0)
	v_mul_f64 v[144:145], v[172:173], v[146:147]
	v_fma_f64 v[144:145], v[170:171], v[168:169], -v[144:145]
	v_mul_f64 v[170:171], v[170:171], v[146:147]
	v_fmac_f64_e32 v[170:171], v[172:173], v[168:169]
	v_add_f64 v[142:143], v[142:143], -v[170:171]
	ds_read2_b64 v[170:173], v250 offset0:12 offset1:13
	v_add_f64 v[140:141], v[140:141], -v[144:145]
	s_waitcnt lgkmcnt(0)
	v_mul_f64 v[144:145], v[172:173], v[146:147]
	v_fma_f64 v[144:145], v[170:171], v[168:169], -v[144:145]
	v_mul_f64 v[170:171], v[170:171], v[146:147]
	v_fmac_f64_e32 v[170:171], v[172:173], v[168:169]
	v_add_f64 v[138:139], v[138:139], -v[170:171]
	ds_read2_b64 v[170:173], v250 offset0:14 offset1:15
	v_add_f64 v[136:137], v[136:137], -v[144:145]
	;; [unrolled: 8-line block ×36, first 2 shown]
	s_waitcnt lgkmcnt(0)
	v_mul_f64 v[144:145], v[172:173], v[146:147]
	v_fma_f64 v[144:145], v[170:171], v[168:169], -v[144:145]
	v_mul_f64 v[170:171], v[170:171], v[146:147]
	v_fmac_f64_e32 v[170:171], v[172:173], v[168:169]
	v_add_f64 v[164:165], v[164:165], -v[144:145]
	v_add_f64 v[166:167], v[166:167], -v[170:171]
	v_mov_b64_e32 v[144:145], v[168:169]
.LBB83_46:
	s_or_b64 exec, exec, s[2:3]
	v_cmp_eq_u32_e32 vcc, 5, v248
	s_waitcnt vmcnt(63) expcnt(7) lgkmcnt(15)
	s_barrier
	s_and_saveexec_b64 s[4:5], vcc
	s_cbranch_execz .LBB83_53
; %bb.47:
	ds_write2_b64 v249, v[140:141], v[142:143] offset1:1
	ds_write2_b64 v250, v[136:137], v[138:139] offset0:12 offset1:13
	ds_write2_b64 v250, v[132:133], v[134:135] offset0:14 offset1:15
	;; [unrolled: 1-line block ×19, first 2 shown]
	s_waitcnt vmcnt(62)
	ds_write2_b64 v250, v[60:61], v[62:63] offset0:50 offset1:51
	s_waitcnt vmcnt(29)
	ds_write2_b64 v250, v[56:57], v[58:59] offset0:52 offset1:53
	;; [unrolled: 2-line block ×3, first 2 shown]
	ds_write2_b64 v250, v[48:49], v[50:51] offset0:56 offset1:57
	ds_write2_b64 v250, v[44:45], v[46:47] offset0:58 offset1:59
	;; [unrolled: 1-line block ×14, first 2 shown]
	ds_read2_b64 v[168:171], v249 offset1:1
	s_waitcnt lgkmcnt(0)
	v_cmp_neq_f64_e32 vcc, 0, v[168:169]
	v_cmp_neq_f64_e64 s[2:3], 0, v[170:171]
	s_or_b64 s[2:3], vcc, s[2:3]
	s_and_b64 exec, exec, s[2:3]
	s_cbranch_execz .LBB83_53
; %bb.48:
	v_cmp_ngt_f64_e64 s[2:3], |v[168:169]|, |v[170:171]|
                                        ; implicit-def: $vgpr172_vgpr173
	s_and_saveexec_b64 s[10:11], s[2:3]
	s_xor_b64 s[2:3], exec, s[10:11]
                                        ; implicit-def: $vgpr174_vgpr175
	s_cbranch_execz .LBB83_50
; %bb.49:
	v_div_scale_f64 v[172:173], s[10:11], v[170:171], v[170:171], v[168:169]
	v_rcp_f64_e32 v[174:175], v[172:173]
	v_div_scale_f64 v[176:177], vcc, v[168:169], v[170:171], v[168:169]
	v_fma_f64 v[178:179], -v[172:173], v[174:175], 1.0
	v_fmac_f64_e32 v[174:175], v[174:175], v[178:179]
	v_fma_f64 v[178:179], -v[172:173], v[174:175], 1.0
	v_fmac_f64_e32 v[174:175], v[174:175], v[178:179]
	v_mul_f64 v[178:179], v[176:177], v[174:175]
	v_fma_f64 v[172:173], -v[172:173], v[178:179], v[176:177]
	v_div_fmas_f64 v[172:173], v[172:173], v[174:175], v[178:179]
	v_div_fixup_f64 v[172:173], v[172:173], v[170:171], v[168:169]
	v_fmac_f64_e32 v[170:171], v[168:169], v[172:173]
	v_div_scale_f64 v[168:169], s[10:11], v[170:171], v[170:171], 1.0
	v_rcp_f64_e32 v[174:175], v[168:169]
	s_nop 0
	v_fma_f64 v[176:177], -v[168:169], v[174:175], 1.0
	v_fmac_f64_e32 v[174:175], v[174:175], v[176:177]
	v_fma_f64 v[176:177], -v[168:169], v[174:175], 1.0
	v_fmac_f64_e32 v[174:175], v[174:175], v[176:177]
	v_div_scale_f64 v[176:177], vcc, 1.0, v[170:171], 1.0
	v_mul_f64 v[178:179], v[176:177], v[174:175]
	v_fma_f64 v[168:169], -v[168:169], v[178:179], v[176:177]
	s_nop 1
	v_div_fmas_f64 v[168:169], v[168:169], v[174:175], v[178:179]
	v_div_fixup_f64 v[174:175], v[168:169], v[170:171], 1.0
	v_mul_f64 v[172:173], v[172:173], v[174:175]
	v_xor_b32_e32 v175, 0x80000000, v175
                                        ; implicit-def: $vgpr168_vgpr169
.LBB83_50:
	s_andn2_saveexec_b64 s[2:3], s[2:3]
	s_cbranch_execz .LBB83_52
; %bb.51:
	v_div_scale_f64 v[172:173], s[10:11], v[168:169], v[168:169], v[170:171]
	v_rcp_f64_e32 v[174:175], v[172:173]
	v_div_scale_f64 v[176:177], vcc, v[170:171], v[168:169], v[170:171]
	v_fma_f64 v[178:179], -v[172:173], v[174:175], 1.0
	v_fmac_f64_e32 v[174:175], v[174:175], v[178:179]
	v_fma_f64 v[178:179], -v[172:173], v[174:175], 1.0
	v_fmac_f64_e32 v[174:175], v[174:175], v[178:179]
	v_mul_f64 v[178:179], v[176:177], v[174:175]
	v_fma_f64 v[172:173], -v[172:173], v[178:179], v[176:177]
	v_div_fmas_f64 v[172:173], v[172:173], v[174:175], v[178:179]
	v_div_fixup_f64 v[174:175], v[172:173], v[168:169], v[170:171]
	v_fmac_f64_e32 v[168:169], v[170:171], v[174:175]
	v_div_scale_f64 v[170:171], s[10:11], v[168:169], v[168:169], 1.0
	v_rcp_f64_e32 v[172:173], v[170:171]
	s_nop 0
	v_fma_f64 v[176:177], -v[170:171], v[172:173], 1.0
	v_fmac_f64_e32 v[172:173], v[172:173], v[176:177]
	v_fma_f64 v[176:177], -v[170:171], v[172:173], 1.0
	v_fmac_f64_e32 v[172:173], v[172:173], v[176:177]
	v_div_scale_f64 v[176:177], vcc, 1.0, v[168:169], 1.0
	v_mul_f64 v[178:179], v[176:177], v[172:173]
	v_fma_f64 v[170:171], -v[170:171], v[178:179], v[176:177]
	s_nop 1
	v_div_fmas_f64 v[170:171], v[170:171], v[172:173], v[178:179]
	v_div_fixup_f64 v[172:173], v[170:171], v[168:169], 1.0
	v_mul_f64 v[174:175], v[174:175], -v[172:173]
.LBB83_52:
	s_or_b64 exec, exec, s[2:3]
	ds_write2_b64 v249, v[172:173], v[174:175] offset1:1
.LBB83_53:
	s_or_b64 exec, exec, s[4:5]
	s_waitcnt lgkmcnt(0)
	s_barrier
	ds_read2_b64 v[168:171], v249 offset1:1
	v_cmp_lt_u32_e32 vcc, 5, v248
	s_waitcnt lgkmcnt(0)
	scratch_store_dwordx4 off, v[168:171], off offset:400 ; 16-byte Folded Spill
	s_and_saveexec_b64 s[2:3], vcc
	s_cbranch_execz .LBB83_55
; %bb.54:
	scratch_load_dwordx4 v[170:173], off, off offset:400 ; 16-byte Folded Reload
	s_waitcnt vmcnt(0)
	v_mul_f64 v[168:169], v[172:173], v[142:143]
	v_mul_f64 v[142:143], v[170:171], v[142:143]
	v_fma_f64 v[168:169], v[170:171], v[140:141], -v[168:169]
	v_fmac_f64_e32 v[142:143], v[172:173], v[140:141]
	ds_read2_b64 v[170:173], v250 offset0:12 offset1:13
	s_waitcnt lgkmcnt(0)
	v_mul_f64 v[140:141], v[172:173], v[142:143]
	v_fma_f64 v[140:141], v[170:171], v[168:169], -v[140:141]
	v_mul_f64 v[170:171], v[170:171], v[142:143]
	v_fmac_f64_e32 v[170:171], v[172:173], v[168:169]
	v_add_f64 v[138:139], v[138:139], -v[170:171]
	ds_read2_b64 v[170:173], v250 offset0:14 offset1:15
	v_add_f64 v[136:137], v[136:137], -v[140:141]
	s_waitcnt lgkmcnt(0)
	v_mul_f64 v[140:141], v[172:173], v[142:143]
	v_fma_f64 v[140:141], v[170:171], v[168:169], -v[140:141]
	v_mul_f64 v[170:171], v[170:171], v[142:143]
	v_fmac_f64_e32 v[170:171], v[172:173], v[168:169]
	v_add_f64 v[134:135], v[134:135], -v[170:171]
	ds_read2_b64 v[170:173], v250 offset0:16 offset1:17
	v_add_f64 v[132:133], v[132:133], -v[140:141]
	;; [unrolled: 8-line block ×35, first 2 shown]
	s_waitcnt lgkmcnt(0)
	v_mul_f64 v[140:141], v[172:173], v[142:143]
	v_fma_f64 v[140:141], v[170:171], v[168:169], -v[140:141]
	v_mul_f64 v[170:171], v[170:171], v[142:143]
	v_fmac_f64_e32 v[170:171], v[172:173], v[168:169]
	v_add_f64 v[164:165], v[164:165], -v[140:141]
	v_add_f64 v[166:167], v[166:167], -v[170:171]
	v_mov_b64_e32 v[140:141], v[168:169]
.LBB83_55:
	s_or_b64 exec, exec, s[2:3]
	v_cmp_eq_u32_e32 vcc, 6, v248
	s_waitcnt vmcnt(63) expcnt(7) lgkmcnt(15)
	s_barrier
	s_and_saveexec_b64 s[4:5], vcc
	s_cbranch_execz .LBB83_62
; %bb.56:
	ds_write2_b64 v249, v[136:137], v[138:139] offset1:1
	ds_write2_b64 v250, v[132:133], v[134:135] offset0:14 offset1:15
	ds_write2_b64 v250, v[128:129], v[130:131] offset0:16 offset1:17
	;; [unrolled: 1-line block ×19, first 2 shown]
	s_waitcnt vmcnt(30)
	ds_write2_b64 v250, v[56:57], v[58:59] offset0:52 offset1:53
	s_waitcnt vmcnt(18)
	ds_write2_b64 v250, v[52:53], v[54:55] offset0:54 offset1:55
	ds_write2_b64 v250, v[48:49], v[50:51] offset0:56 offset1:57
	;; [unrolled: 1-line block ×15, first 2 shown]
	ds_read2_b64 v[168:171], v249 offset1:1
	s_waitcnt lgkmcnt(0)
	v_cmp_neq_f64_e32 vcc, 0, v[168:169]
	v_cmp_neq_f64_e64 s[2:3], 0, v[170:171]
	s_or_b64 s[2:3], vcc, s[2:3]
	s_and_b64 exec, exec, s[2:3]
	s_cbranch_execz .LBB83_62
; %bb.57:
	v_cmp_ngt_f64_e64 s[2:3], |v[168:169]|, |v[170:171]|
                                        ; implicit-def: $vgpr172_vgpr173
	s_and_saveexec_b64 s[10:11], s[2:3]
	s_xor_b64 s[2:3], exec, s[10:11]
                                        ; implicit-def: $vgpr174_vgpr175
	s_cbranch_execz .LBB83_59
; %bb.58:
	v_div_scale_f64 v[172:173], s[10:11], v[170:171], v[170:171], v[168:169]
	v_rcp_f64_e32 v[174:175], v[172:173]
	v_div_scale_f64 v[176:177], vcc, v[168:169], v[170:171], v[168:169]
	v_fma_f64 v[178:179], -v[172:173], v[174:175], 1.0
	v_fmac_f64_e32 v[174:175], v[174:175], v[178:179]
	v_fma_f64 v[178:179], -v[172:173], v[174:175], 1.0
	v_fmac_f64_e32 v[174:175], v[174:175], v[178:179]
	v_mul_f64 v[178:179], v[176:177], v[174:175]
	v_fma_f64 v[172:173], -v[172:173], v[178:179], v[176:177]
	v_div_fmas_f64 v[172:173], v[172:173], v[174:175], v[178:179]
	v_div_fixup_f64 v[172:173], v[172:173], v[170:171], v[168:169]
	v_fmac_f64_e32 v[170:171], v[168:169], v[172:173]
	v_div_scale_f64 v[168:169], s[10:11], v[170:171], v[170:171], 1.0
	v_rcp_f64_e32 v[174:175], v[168:169]
	s_nop 0
	v_fma_f64 v[176:177], -v[168:169], v[174:175], 1.0
	v_fmac_f64_e32 v[174:175], v[174:175], v[176:177]
	v_fma_f64 v[176:177], -v[168:169], v[174:175], 1.0
	v_fmac_f64_e32 v[174:175], v[174:175], v[176:177]
	v_div_scale_f64 v[176:177], vcc, 1.0, v[170:171], 1.0
	v_mul_f64 v[178:179], v[176:177], v[174:175]
	v_fma_f64 v[168:169], -v[168:169], v[178:179], v[176:177]
	s_nop 1
	v_div_fmas_f64 v[168:169], v[168:169], v[174:175], v[178:179]
	v_div_fixup_f64 v[174:175], v[168:169], v[170:171], 1.0
	v_mul_f64 v[172:173], v[172:173], v[174:175]
	v_xor_b32_e32 v175, 0x80000000, v175
                                        ; implicit-def: $vgpr168_vgpr169
.LBB83_59:
	s_andn2_saveexec_b64 s[2:3], s[2:3]
	s_cbranch_execz .LBB83_61
; %bb.60:
	v_div_scale_f64 v[172:173], s[10:11], v[168:169], v[168:169], v[170:171]
	v_rcp_f64_e32 v[174:175], v[172:173]
	v_div_scale_f64 v[176:177], vcc, v[170:171], v[168:169], v[170:171]
	v_fma_f64 v[178:179], -v[172:173], v[174:175], 1.0
	v_fmac_f64_e32 v[174:175], v[174:175], v[178:179]
	v_fma_f64 v[178:179], -v[172:173], v[174:175], 1.0
	v_fmac_f64_e32 v[174:175], v[174:175], v[178:179]
	v_mul_f64 v[178:179], v[176:177], v[174:175]
	v_fma_f64 v[172:173], -v[172:173], v[178:179], v[176:177]
	v_div_fmas_f64 v[172:173], v[172:173], v[174:175], v[178:179]
	v_div_fixup_f64 v[174:175], v[172:173], v[168:169], v[170:171]
	v_fmac_f64_e32 v[168:169], v[170:171], v[174:175]
	v_div_scale_f64 v[170:171], s[10:11], v[168:169], v[168:169], 1.0
	v_rcp_f64_e32 v[172:173], v[170:171]
	s_nop 0
	v_fma_f64 v[176:177], -v[170:171], v[172:173], 1.0
	v_fmac_f64_e32 v[172:173], v[172:173], v[176:177]
	v_fma_f64 v[176:177], -v[170:171], v[172:173], 1.0
	v_fmac_f64_e32 v[172:173], v[172:173], v[176:177]
	v_div_scale_f64 v[176:177], vcc, 1.0, v[168:169], 1.0
	v_mul_f64 v[178:179], v[176:177], v[172:173]
	v_fma_f64 v[170:171], -v[170:171], v[178:179], v[176:177]
	s_nop 1
	v_div_fmas_f64 v[170:171], v[170:171], v[172:173], v[178:179]
	v_div_fixup_f64 v[172:173], v[170:171], v[168:169], 1.0
	v_mul_f64 v[174:175], v[174:175], -v[172:173]
.LBB83_61:
	s_or_b64 exec, exec, s[2:3]
	ds_write2_b64 v249, v[172:173], v[174:175] offset1:1
.LBB83_62:
	s_or_b64 exec, exec, s[4:5]
	s_waitcnt lgkmcnt(0)
	s_barrier
	ds_read2_b64 v[168:171], v249 offset1:1
	v_cmp_lt_u32_e32 vcc, 6, v248
	s_waitcnt lgkmcnt(0)
	scratch_store_dwordx4 off, v[168:171], off offset:416 ; 16-byte Folded Spill
	s_and_saveexec_b64 s[2:3], vcc
	s_cbranch_execz .LBB83_64
; %bb.63:
	scratch_load_dwordx4 v[170:173], off, off offset:416 ; 16-byte Folded Reload
	s_waitcnt vmcnt(0)
	v_mul_f64 v[168:169], v[172:173], v[138:139]
	v_mul_f64 v[138:139], v[170:171], v[138:139]
	v_fma_f64 v[168:169], v[170:171], v[136:137], -v[168:169]
	v_fmac_f64_e32 v[138:139], v[172:173], v[136:137]
	ds_read2_b64 v[170:173], v250 offset0:14 offset1:15
	s_waitcnt lgkmcnt(0)
	v_mul_f64 v[136:137], v[172:173], v[138:139]
	v_fma_f64 v[136:137], v[170:171], v[168:169], -v[136:137]
	v_mul_f64 v[170:171], v[170:171], v[138:139]
	v_fmac_f64_e32 v[170:171], v[172:173], v[168:169]
	v_add_f64 v[134:135], v[134:135], -v[170:171]
	ds_read2_b64 v[170:173], v250 offset0:16 offset1:17
	v_add_f64 v[132:133], v[132:133], -v[136:137]
	s_waitcnt lgkmcnt(0)
	v_mul_f64 v[136:137], v[172:173], v[138:139]
	v_fma_f64 v[136:137], v[170:171], v[168:169], -v[136:137]
	v_mul_f64 v[170:171], v[170:171], v[138:139]
	v_fmac_f64_e32 v[170:171], v[172:173], v[168:169]
	v_add_f64 v[130:131], v[130:131], -v[170:171]
	ds_read2_b64 v[170:173], v250 offset0:18 offset1:19
	v_add_f64 v[128:129], v[128:129], -v[136:137]
	;; [unrolled: 8-line block ×34, first 2 shown]
	s_waitcnt lgkmcnt(0)
	v_mul_f64 v[136:137], v[172:173], v[138:139]
	v_fma_f64 v[136:137], v[170:171], v[168:169], -v[136:137]
	v_mul_f64 v[170:171], v[170:171], v[138:139]
	v_fmac_f64_e32 v[170:171], v[172:173], v[168:169]
	v_add_f64 v[164:165], v[164:165], -v[136:137]
	v_add_f64 v[166:167], v[166:167], -v[170:171]
	v_mov_b64_e32 v[136:137], v[168:169]
.LBB83_64:
	s_or_b64 exec, exec, s[2:3]
	v_cmp_eq_u32_e32 vcc, 7, v248
	s_waitcnt vmcnt(63) expcnt(7) lgkmcnt(15)
	s_barrier
	s_and_saveexec_b64 s[4:5], vcc
	s_cbranch_execz .LBB83_71
; %bb.65:
	ds_write2_b64 v249, v[132:133], v[134:135] offset1:1
	ds_write2_b64 v250, v[128:129], v[130:131] offset0:16 offset1:17
	ds_write2_b64 v250, v[124:125], v[126:127] offset0:18 offset1:19
	;; [unrolled: 1-line block ×18, first 2 shown]
	s_waitcnt vmcnt(31)
	ds_write2_b64 v250, v[56:57], v[58:59] offset0:52 offset1:53
	s_waitcnt vmcnt(19)
	ds_write2_b64 v250, v[52:53], v[54:55] offset0:54 offset1:55
	ds_write2_b64 v250, v[48:49], v[50:51] offset0:56 offset1:57
	;; [unrolled: 1-line block ×15, first 2 shown]
	ds_read2_b64 v[168:171], v249 offset1:1
	s_waitcnt lgkmcnt(0)
	v_cmp_neq_f64_e32 vcc, 0, v[168:169]
	v_cmp_neq_f64_e64 s[2:3], 0, v[170:171]
	s_or_b64 s[2:3], vcc, s[2:3]
	s_and_b64 exec, exec, s[2:3]
	s_cbranch_execz .LBB83_71
; %bb.66:
	v_cmp_ngt_f64_e64 s[2:3], |v[168:169]|, |v[170:171]|
                                        ; implicit-def: $vgpr172_vgpr173
	s_and_saveexec_b64 s[10:11], s[2:3]
	s_xor_b64 s[2:3], exec, s[10:11]
                                        ; implicit-def: $vgpr174_vgpr175
	s_cbranch_execz .LBB83_68
; %bb.67:
	v_div_scale_f64 v[172:173], s[10:11], v[170:171], v[170:171], v[168:169]
	v_rcp_f64_e32 v[174:175], v[172:173]
	v_div_scale_f64 v[176:177], vcc, v[168:169], v[170:171], v[168:169]
	v_fma_f64 v[178:179], -v[172:173], v[174:175], 1.0
	v_fmac_f64_e32 v[174:175], v[174:175], v[178:179]
	v_fma_f64 v[178:179], -v[172:173], v[174:175], 1.0
	v_fmac_f64_e32 v[174:175], v[174:175], v[178:179]
	v_mul_f64 v[178:179], v[176:177], v[174:175]
	v_fma_f64 v[172:173], -v[172:173], v[178:179], v[176:177]
	v_div_fmas_f64 v[172:173], v[172:173], v[174:175], v[178:179]
	v_div_fixup_f64 v[172:173], v[172:173], v[170:171], v[168:169]
	v_fmac_f64_e32 v[170:171], v[168:169], v[172:173]
	v_div_scale_f64 v[168:169], s[10:11], v[170:171], v[170:171], 1.0
	v_rcp_f64_e32 v[174:175], v[168:169]
	s_nop 0
	v_fma_f64 v[176:177], -v[168:169], v[174:175], 1.0
	v_fmac_f64_e32 v[174:175], v[174:175], v[176:177]
	v_fma_f64 v[176:177], -v[168:169], v[174:175], 1.0
	v_fmac_f64_e32 v[174:175], v[174:175], v[176:177]
	v_div_scale_f64 v[176:177], vcc, 1.0, v[170:171], 1.0
	v_mul_f64 v[178:179], v[176:177], v[174:175]
	v_fma_f64 v[168:169], -v[168:169], v[178:179], v[176:177]
	s_nop 1
	v_div_fmas_f64 v[168:169], v[168:169], v[174:175], v[178:179]
	v_div_fixup_f64 v[174:175], v[168:169], v[170:171], 1.0
	v_mul_f64 v[172:173], v[172:173], v[174:175]
	v_xor_b32_e32 v175, 0x80000000, v175
                                        ; implicit-def: $vgpr168_vgpr169
.LBB83_68:
	s_andn2_saveexec_b64 s[2:3], s[2:3]
	s_cbranch_execz .LBB83_70
; %bb.69:
	v_div_scale_f64 v[172:173], s[10:11], v[168:169], v[168:169], v[170:171]
	v_rcp_f64_e32 v[174:175], v[172:173]
	v_div_scale_f64 v[176:177], vcc, v[170:171], v[168:169], v[170:171]
	v_fma_f64 v[178:179], -v[172:173], v[174:175], 1.0
	v_fmac_f64_e32 v[174:175], v[174:175], v[178:179]
	v_fma_f64 v[178:179], -v[172:173], v[174:175], 1.0
	v_fmac_f64_e32 v[174:175], v[174:175], v[178:179]
	v_mul_f64 v[178:179], v[176:177], v[174:175]
	v_fma_f64 v[172:173], -v[172:173], v[178:179], v[176:177]
	v_div_fmas_f64 v[172:173], v[172:173], v[174:175], v[178:179]
	v_div_fixup_f64 v[174:175], v[172:173], v[168:169], v[170:171]
	v_fmac_f64_e32 v[168:169], v[170:171], v[174:175]
	v_div_scale_f64 v[170:171], s[10:11], v[168:169], v[168:169], 1.0
	v_rcp_f64_e32 v[172:173], v[170:171]
	s_nop 0
	v_fma_f64 v[176:177], -v[170:171], v[172:173], 1.0
	v_fmac_f64_e32 v[172:173], v[172:173], v[176:177]
	v_fma_f64 v[176:177], -v[170:171], v[172:173], 1.0
	v_fmac_f64_e32 v[172:173], v[172:173], v[176:177]
	v_div_scale_f64 v[176:177], vcc, 1.0, v[168:169], 1.0
	v_mul_f64 v[178:179], v[176:177], v[172:173]
	v_fma_f64 v[170:171], -v[170:171], v[178:179], v[176:177]
	s_nop 1
	v_div_fmas_f64 v[170:171], v[170:171], v[172:173], v[178:179]
	v_div_fixup_f64 v[172:173], v[170:171], v[168:169], 1.0
	v_mul_f64 v[174:175], v[174:175], -v[172:173]
.LBB83_70:
	s_or_b64 exec, exec, s[2:3]
	ds_write2_b64 v249, v[172:173], v[174:175] offset1:1
.LBB83_71:
	s_or_b64 exec, exec, s[4:5]
	s_waitcnt lgkmcnt(0)
	s_barrier
	ds_read2_b64 v[168:171], v249 offset1:1
	v_cmp_lt_u32_e32 vcc, 7, v248
	s_waitcnt lgkmcnt(0)
	scratch_store_dwordx4 off, v[168:171], off offset:432 ; 16-byte Folded Spill
	s_and_saveexec_b64 s[2:3], vcc
	s_cbranch_execz .LBB83_73
; %bb.72:
	scratch_load_dwordx4 v[170:173], off, off offset:432 ; 16-byte Folded Reload
	s_waitcnt vmcnt(0)
	v_mul_f64 v[168:169], v[172:173], v[134:135]
	v_mul_f64 v[134:135], v[170:171], v[134:135]
	v_fma_f64 v[168:169], v[170:171], v[132:133], -v[168:169]
	v_fmac_f64_e32 v[134:135], v[172:173], v[132:133]
	ds_read2_b64 v[170:173], v250 offset0:16 offset1:17
	s_waitcnt lgkmcnt(0)
	v_mul_f64 v[132:133], v[172:173], v[134:135]
	v_fma_f64 v[132:133], v[170:171], v[168:169], -v[132:133]
	v_mul_f64 v[170:171], v[170:171], v[134:135]
	v_fmac_f64_e32 v[170:171], v[172:173], v[168:169]
	v_add_f64 v[130:131], v[130:131], -v[170:171]
	ds_read2_b64 v[170:173], v250 offset0:18 offset1:19
	v_add_f64 v[128:129], v[128:129], -v[132:133]
	s_waitcnt lgkmcnt(0)
	v_mul_f64 v[132:133], v[172:173], v[134:135]
	v_fma_f64 v[132:133], v[170:171], v[168:169], -v[132:133]
	v_mul_f64 v[170:171], v[170:171], v[134:135]
	v_fmac_f64_e32 v[170:171], v[172:173], v[168:169]
	v_add_f64 v[126:127], v[126:127], -v[170:171]
	ds_read2_b64 v[170:173], v250 offset0:20 offset1:21
	v_add_f64 v[124:125], v[124:125], -v[132:133]
	;; [unrolled: 8-line block ×33, first 2 shown]
	s_waitcnt lgkmcnt(0)
	v_mul_f64 v[132:133], v[172:173], v[134:135]
	v_fma_f64 v[132:133], v[170:171], v[168:169], -v[132:133]
	v_mul_f64 v[170:171], v[170:171], v[134:135]
	v_fmac_f64_e32 v[170:171], v[172:173], v[168:169]
	v_add_f64 v[164:165], v[164:165], -v[132:133]
	v_add_f64 v[166:167], v[166:167], -v[170:171]
	v_mov_b64_e32 v[132:133], v[168:169]
.LBB83_73:
	s_or_b64 exec, exec, s[2:3]
	v_cmp_eq_u32_e32 vcc, 8, v248
	s_waitcnt vmcnt(63) expcnt(7) lgkmcnt(15)
	s_barrier
	s_and_saveexec_b64 s[4:5], vcc
	s_cbranch_execz .LBB83_80
; %bb.74:
	ds_write2_b64 v249, v[128:129], v[130:131] offset1:1
	ds_write2_b64 v250, v[124:125], v[126:127] offset0:18 offset1:19
	ds_write2_b64 v250, v[120:121], v[122:123] offset0:20 offset1:21
	;; [unrolled: 1-line block ×17, first 2 shown]
	s_waitcnt vmcnt(32)
	ds_write2_b64 v250, v[56:57], v[58:59] offset0:52 offset1:53
	s_waitcnt vmcnt(20)
	ds_write2_b64 v250, v[52:53], v[54:55] offset0:54 offset1:55
	ds_write2_b64 v250, v[48:49], v[50:51] offset0:56 offset1:57
	ds_write2_b64 v250, v[44:45], v[46:47] offset0:58 offset1:59
	ds_write2_b64 v250, v[40:41], v[42:43] offset0:60 offset1:61
	ds_write2_b64 v250, v[36:37], v[38:39] offset0:62 offset1:63
	ds_write2_b64 v250, v[32:33], v[34:35] offset0:64 offset1:65
	ds_write2_b64 v250, v[28:29], v[30:31] offset0:66 offset1:67
	ds_write2_b64 v250, v[24:25], v[26:27] offset0:68 offset1:69
	ds_write2_b64 v250, v[20:21], v[22:23] offset0:70 offset1:71
	ds_write2_b64 v250, v[16:17], v[18:19] offset0:72 offset1:73
	ds_write2_b64 v250, v[12:13], v[14:15] offset0:74 offset1:75
	ds_write2_b64 v250, v[8:9], v[10:11] offset0:76 offset1:77
	ds_write2_b64 v250, v[4:5], v[6:7] offset0:78 offset1:79
	ds_write2_b64 v250, v[0:1], v[2:3] offset0:80 offset1:81
	ds_write2_b64 v250, v[164:165], v[166:167] offset0:82 offset1:83
	ds_read2_b64 v[168:171], v249 offset1:1
	s_waitcnt lgkmcnt(0)
	v_cmp_neq_f64_e32 vcc, 0, v[168:169]
	v_cmp_neq_f64_e64 s[2:3], 0, v[170:171]
	s_or_b64 s[2:3], vcc, s[2:3]
	s_and_b64 exec, exec, s[2:3]
	s_cbranch_execz .LBB83_80
; %bb.75:
	v_cmp_ngt_f64_e64 s[2:3], |v[168:169]|, |v[170:171]|
                                        ; implicit-def: $vgpr172_vgpr173
	s_and_saveexec_b64 s[10:11], s[2:3]
	s_xor_b64 s[2:3], exec, s[10:11]
                                        ; implicit-def: $vgpr174_vgpr175
	s_cbranch_execz .LBB83_77
; %bb.76:
	v_div_scale_f64 v[172:173], s[10:11], v[170:171], v[170:171], v[168:169]
	v_rcp_f64_e32 v[174:175], v[172:173]
	v_div_scale_f64 v[176:177], vcc, v[168:169], v[170:171], v[168:169]
	v_fma_f64 v[178:179], -v[172:173], v[174:175], 1.0
	v_fmac_f64_e32 v[174:175], v[174:175], v[178:179]
	v_fma_f64 v[178:179], -v[172:173], v[174:175], 1.0
	v_fmac_f64_e32 v[174:175], v[174:175], v[178:179]
	v_mul_f64 v[178:179], v[176:177], v[174:175]
	v_fma_f64 v[172:173], -v[172:173], v[178:179], v[176:177]
	v_div_fmas_f64 v[172:173], v[172:173], v[174:175], v[178:179]
	v_div_fixup_f64 v[172:173], v[172:173], v[170:171], v[168:169]
	v_fmac_f64_e32 v[170:171], v[168:169], v[172:173]
	v_div_scale_f64 v[168:169], s[10:11], v[170:171], v[170:171], 1.0
	v_rcp_f64_e32 v[174:175], v[168:169]
	s_nop 0
	v_fma_f64 v[176:177], -v[168:169], v[174:175], 1.0
	v_fmac_f64_e32 v[174:175], v[174:175], v[176:177]
	v_fma_f64 v[176:177], -v[168:169], v[174:175], 1.0
	v_fmac_f64_e32 v[174:175], v[174:175], v[176:177]
	v_div_scale_f64 v[176:177], vcc, 1.0, v[170:171], 1.0
	v_mul_f64 v[178:179], v[176:177], v[174:175]
	v_fma_f64 v[168:169], -v[168:169], v[178:179], v[176:177]
	s_nop 1
	v_div_fmas_f64 v[168:169], v[168:169], v[174:175], v[178:179]
	v_div_fixup_f64 v[174:175], v[168:169], v[170:171], 1.0
	v_mul_f64 v[172:173], v[172:173], v[174:175]
	v_xor_b32_e32 v175, 0x80000000, v175
                                        ; implicit-def: $vgpr168_vgpr169
.LBB83_77:
	s_andn2_saveexec_b64 s[2:3], s[2:3]
	s_cbranch_execz .LBB83_79
; %bb.78:
	v_div_scale_f64 v[172:173], s[10:11], v[168:169], v[168:169], v[170:171]
	v_rcp_f64_e32 v[174:175], v[172:173]
	v_div_scale_f64 v[176:177], vcc, v[170:171], v[168:169], v[170:171]
	v_fma_f64 v[178:179], -v[172:173], v[174:175], 1.0
	v_fmac_f64_e32 v[174:175], v[174:175], v[178:179]
	v_fma_f64 v[178:179], -v[172:173], v[174:175], 1.0
	v_fmac_f64_e32 v[174:175], v[174:175], v[178:179]
	v_mul_f64 v[178:179], v[176:177], v[174:175]
	v_fma_f64 v[172:173], -v[172:173], v[178:179], v[176:177]
	v_div_fmas_f64 v[172:173], v[172:173], v[174:175], v[178:179]
	v_div_fixup_f64 v[174:175], v[172:173], v[168:169], v[170:171]
	v_fmac_f64_e32 v[168:169], v[170:171], v[174:175]
	v_div_scale_f64 v[170:171], s[10:11], v[168:169], v[168:169], 1.0
	v_rcp_f64_e32 v[172:173], v[170:171]
	s_nop 0
	v_fma_f64 v[176:177], -v[170:171], v[172:173], 1.0
	v_fmac_f64_e32 v[172:173], v[172:173], v[176:177]
	v_fma_f64 v[176:177], -v[170:171], v[172:173], 1.0
	v_fmac_f64_e32 v[172:173], v[172:173], v[176:177]
	v_div_scale_f64 v[176:177], vcc, 1.0, v[168:169], 1.0
	v_mul_f64 v[178:179], v[176:177], v[172:173]
	v_fma_f64 v[170:171], -v[170:171], v[178:179], v[176:177]
	s_nop 1
	v_div_fmas_f64 v[170:171], v[170:171], v[172:173], v[178:179]
	v_div_fixup_f64 v[172:173], v[170:171], v[168:169], 1.0
	v_mul_f64 v[174:175], v[174:175], -v[172:173]
.LBB83_79:
	s_or_b64 exec, exec, s[2:3]
	ds_write2_b64 v249, v[172:173], v[174:175] offset1:1
.LBB83_80:
	s_or_b64 exec, exec, s[4:5]
	s_waitcnt lgkmcnt(0)
	s_barrier
	ds_read2_b64 v[168:171], v249 offset1:1
	v_cmp_lt_u32_e32 vcc, 8, v248
	s_waitcnt lgkmcnt(0)
	scratch_store_dwordx4 off, v[168:171], off offset:448 ; 16-byte Folded Spill
	s_and_saveexec_b64 s[2:3], vcc
	s_cbranch_execz .LBB83_82
; %bb.81:
	scratch_load_dwordx4 v[170:173], off, off offset:448 ; 16-byte Folded Reload
	s_waitcnt vmcnt(0)
	v_mul_f64 v[168:169], v[172:173], v[130:131]
	v_mul_f64 v[130:131], v[170:171], v[130:131]
	v_fma_f64 v[168:169], v[170:171], v[128:129], -v[168:169]
	v_fmac_f64_e32 v[130:131], v[172:173], v[128:129]
	ds_read2_b64 v[170:173], v250 offset0:18 offset1:19
	s_waitcnt lgkmcnt(0)
	v_mul_f64 v[128:129], v[172:173], v[130:131]
	v_fma_f64 v[128:129], v[170:171], v[168:169], -v[128:129]
	v_mul_f64 v[170:171], v[170:171], v[130:131]
	v_fmac_f64_e32 v[170:171], v[172:173], v[168:169]
	v_add_f64 v[126:127], v[126:127], -v[170:171]
	ds_read2_b64 v[170:173], v250 offset0:20 offset1:21
	v_add_f64 v[124:125], v[124:125], -v[128:129]
	s_waitcnt lgkmcnt(0)
	v_mul_f64 v[128:129], v[172:173], v[130:131]
	v_fma_f64 v[128:129], v[170:171], v[168:169], -v[128:129]
	v_mul_f64 v[170:171], v[170:171], v[130:131]
	v_fmac_f64_e32 v[170:171], v[172:173], v[168:169]
	v_add_f64 v[122:123], v[122:123], -v[170:171]
	ds_read2_b64 v[170:173], v250 offset0:22 offset1:23
	v_add_f64 v[120:121], v[120:121], -v[128:129]
	s_waitcnt lgkmcnt(0)
	v_mul_f64 v[128:129], v[172:173], v[130:131]
	v_fma_f64 v[128:129], v[170:171], v[168:169], -v[128:129]
	v_mul_f64 v[170:171], v[170:171], v[130:131]
	v_fmac_f64_e32 v[170:171], v[172:173], v[168:169]
	v_add_f64 v[118:119], v[118:119], -v[170:171]
	ds_read2_b64 v[170:173], v250 offset0:24 offset1:25
	v_add_f64 v[116:117], v[116:117], -v[128:129]
	s_waitcnt lgkmcnt(0)
	v_mul_f64 v[128:129], v[172:173], v[130:131]
	v_fma_f64 v[128:129], v[170:171], v[168:169], -v[128:129]
	v_mul_f64 v[170:171], v[170:171], v[130:131]
	v_fmac_f64_e32 v[170:171], v[172:173], v[168:169]
	v_add_f64 v[114:115], v[114:115], -v[170:171]
	ds_read2_b64 v[170:173], v250 offset0:26 offset1:27
	v_add_f64 v[112:113], v[112:113], -v[128:129]
	s_waitcnt lgkmcnt(0)
	v_mul_f64 v[128:129], v[172:173], v[130:131]
	v_fma_f64 v[128:129], v[170:171], v[168:169], -v[128:129]
	v_mul_f64 v[170:171], v[170:171], v[130:131]
	v_fmac_f64_e32 v[170:171], v[172:173], v[168:169]
	v_add_f64 v[110:111], v[110:111], -v[170:171]
	ds_read2_b64 v[170:173], v250 offset0:28 offset1:29
	v_add_f64 v[108:109], v[108:109], -v[128:129]
	s_waitcnt lgkmcnt(0)
	v_mul_f64 v[128:129], v[172:173], v[130:131]
	v_fma_f64 v[128:129], v[170:171], v[168:169], -v[128:129]
	v_mul_f64 v[170:171], v[170:171], v[130:131]
	v_fmac_f64_e32 v[170:171], v[172:173], v[168:169]
	v_add_f64 v[106:107], v[106:107], -v[170:171]
	ds_read2_b64 v[170:173], v250 offset0:30 offset1:31
	v_add_f64 v[104:105], v[104:105], -v[128:129]
	s_waitcnt lgkmcnt(0)
	v_mul_f64 v[128:129], v[172:173], v[130:131]
	v_fma_f64 v[128:129], v[170:171], v[168:169], -v[128:129]
	v_mul_f64 v[170:171], v[170:171], v[130:131]
	v_fmac_f64_e32 v[170:171], v[172:173], v[168:169]
	v_add_f64 v[102:103], v[102:103], -v[170:171]
	ds_read2_b64 v[170:173], v250 offset0:32 offset1:33
	v_add_f64 v[100:101], v[100:101], -v[128:129]
	s_waitcnt lgkmcnt(0)
	v_mul_f64 v[128:129], v[172:173], v[130:131]
	v_fma_f64 v[128:129], v[170:171], v[168:169], -v[128:129]
	v_mul_f64 v[170:171], v[170:171], v[130:131]
	v_fmac_f64_e32 v[170:171], v[172:173], v[168:169]
	v_add_f64 v[98:99], v[98:99], -v[170:171]
	ds_read2_b64 v[170:173], v250 offset0:34 offset1:35
	v_add_f64 v[96:97], v[96:97], -v[128:129]
	s_waitcnt lgkmcnt(0)
	v_mul_f64 v[128:129], v[172:173], v[130:131]
	v_fma_f64 v[128:129], v[170:171], v[168:169], -v[128:129]
	v_mul_f64 v[170:171], v[170:171], v[130:131]
	v_fmac_f64_e32 v[170:171], v[172:173], v[168:169]
	v_add_f64 v[94:95], v[94:95], -v[170:171]
	ds_read2_b64 v[170:173], v250 offset0:36 offset1:37
	v_add_f64 v[92:93], v[92:93], -v[128:129]
	s_waitcnt lgkmcnt(0)
	v_mul_f64 v[128:129], v[172:173], v[130:131]
	v_fma_f64 v[128:129], v[170:171], v[168:169], -v[128:129]
	v_mul_f64 v[170:171], v[170:171], v[130:131]
	v_fmac_f64_e32 v[170:171], v[172:173], v[168:169]
	v_add_f64 v[90:91], v[90:91], -v[170:171]
	ds_read2_b64 v[170:173], v250 offset0:38 offset1:39
	v_add_f64 v[88:89], v[88:89], -v[128:129]
	s_waitcnt lgkmcnt(0)
	v_mul_f64 v[128:129], v[172:173], v[130:131]
	v_fma_f64 v[128:129], v[170:171], v[168:169], -v[128:129]
	v_mul_f64 v[170:171], v[170:171], v[130:131]
	v_fmac_f64_e32 v[170:171], v[172:173], v[168:169]
	v_add_f64 v[86:87], v[86:87], -v[170:171]
	ds_read2_b64 v[170:173], v250 offset0:40 offset1:41
	v_add_f64 v[84:85], v[84:85], -v[128:129]
	s_waitcnt lgkmcnt(0)
	v_mul_f64 v[128:129], v[172:173], v[130:131]
	v_fma_f64 v[128:129], v[170:171], v[168:169], -v[128:129]
	v_mul_f64 v[170:171], v[170:171], v[130:131]
	v_fmac_f64_e32 v[170:171], v[172:173], v[168:169]
	v_add_f64 v[82:83], v[82:83], -v[170:171]
	ds_read2_b64 v[170:173], v250 offset0:42 offset1:43
	v_add_f64 v[80:81], v[80:81], -v[128:129]
	s_waitcnt lgkmcnt(0)
	v_mul_f64 v[128:129], v[172:173], v[130:131]
	v_fma_f64 v[128:129], v[170:171], v[168:169], -v[128:129]
	v_mul_f64 v[170:171], v[170:171], v[130:131]
	v_fmac_f64_e32 v[170:171], v[172:173], v[168:169]
	v_add_f64 v[78:79], v[78:79], -v[170:171]
	ds_read2_b64 v[170:173], v250 offset0:44 offset1:45
	v_add_f64 v[76:77], v[76:77], -v[128:129]
	s_waitcnt lgkmcnt(0)
	v_mul_f64 v[128:129], v[172:173], v[130:131]
	v_fma_f64 v[128:129], v[170:171], v[168:169], -v[128:129]
	v_mul_f64 v[170:171], v[170:171], v[130:131]
	v_fmac_f64_e32 v[170:171], v[172:173], v[168:169]
	v_add_f64 v[74:75], v[74:75], -v[170:171]
	ds_read2_b64 v[170:173], v250 offset0:46 offset1:47
	v_add_f64 v[72:73], v[72:73], -v[128:129]
	s_waitcnt lgkmcnt(0)
	v_mul_f64 v[128:129], v[172:173], v[130:131]
	v_fma_f64 v[128:129], v[170:171], v[168:169], -v[128:129]
	v_mul_f64 v[170:171], v[170:171], v[130:131]
	v_fmac_f64_e32 v[170:171], v[172:173], v[168:169]
	v_add_f64 v[70:71], v[70:71], -v[170:171]
	ds_read2_b64 v[170:173], v250 offset0:48 offset1:49
	v_add_f64 v[68:69], v[68:69], -v[128:129]
	s_waitcnt lgkmcnt(0)
	v_mul_f64 v[128:129], v[172:173], v[130:131]
	v_fma_f64 v[128:129], v[170:171], v[168:169], -v[128:129]
	v_mul_f64 v[170:171], v[170:171], v[130:131]
	v_fmac_f64_e32 v[170:171], v[172:173], v[168:169]
	v_add_f64 v[66:67], v[66:67], -v[170:171]
	ds_read2_b64 v[170:173], v250 offset0:50 offset1:51
	v_add_f64 v[64:65], v[64:65], -v[128:129]
	s_waitcnt lgkmcnt(0)
	v_mul_f64 v[128:129], v[172:173], v[130:131]
	v_fma_f64 v[128:129], v[170:171], v[168:169], -v[128:129]
	v_mul_f64 v[170:171], v[170:171], v[130:131]
	v_fmac_f64_e32 v[170:171], v[172:173], v[168:169]
	v_add_f64 v[62:63], v[62:63], -v[170:171]
	ds_read2_b64 v[170:173], v250 offset0:52 offset1:53
	v_add_f64 v[60:61], v[60:61], -v[128:129]
	s_waitcnt lgkmcnt(0)
	v_mul_f64 v[128:129], v[172:173], v[130:131]
	v_fma_f64 v[128:129], v[170:171], v[168:169], -v[128:129]
	v_mul_f64 v[170:171], v[170:171], v[130:131]
	v_fmac_f64_e32 v[170:171], v[172:173], v[168:169]
	v_add_f64 v[58:59], v[58:59], -v[170:171]
	ds_read2_b64 v[170:173], v250 offset0:54 offset1:55
	v_add_f64 v[56:57], v[56:57], -v[128:129]
	s_waitcnt lgkmcnt(0)
	v_mul_f64 v[128:129], v[172:173], v[130:131]
	v_fma_f64 v[128:129], v[170:171], v[168:169], -v[128:129]
	v_mul_f64 v[170:171], v[170:171], v[130:131]
	v_fmac_f64_e32 v[170:171], v[172:173], v[168:169]
	v_add_f64 v[54:55], v[54:55], -v[170:171]
	ds_read2_b64 v[170:173], v250 offset0:56 offset1:57
	v_add_f64 v[52:53], v[52:53], -v[128:129]
	s_waitcnt lgkmcnt(0)
	v_mul_f64 v[128:129], v[172:173], v[130:131]
	v_fma_f64 v[128:129], v[170:171], v[168:169], -v[128:129]
	v_mul_f64 v[170:171], v[170:171], v[130:131]
	v_fmac_f64_e32 v[170:171], v[172:173], v[168:169]
	v_add_f64 v[50:51], v[50:51], -v[170:171]
	ds_read2_b64 v[170:173], v250 offset0:58 offset1:59
	v_add_f64 v[48:49], v[48:49], -v[128:129]
	s_waitcnt lgkmcnt(0)
	v_mul_f64 v[128:129], v[172:173], v[130:131]
	v_fma_f64 v[128:129], v[170:171], v[168:169], -v[128:129]
	v_mul_f64 v[170:171], v[170:171], v[130:131]
	v_fmac_f64_e32 v[170:171], v[172:173], v[168:169]
	v_add_f64 v[46:47], v[46:47], -v[170:171]
	ds_read2_b64 v[170:173], v250 offset0:60 offset1:61
	v_add_f64 v[44:45], v[44:45], -v[128:129]
	s_waitcnt lgkmcnt(0)
	v_mul_f64 v[128:129], v[172:173], v[130:131]
	v_fma_f64 v[128:129], v[170:171], v[168:169], -v[128:129]
	v_mul_f64 v[170:171], v[170:171], v[130:131]
	v_fmac_f64_e32 v[170:171], v[172:173], v[168:169]
	v_add_f64 v[42:43], v[42:43], -v[170:171]
	ds_read2_b64 v[170:173], v250 offset0:62 offset1:63
	v_add_f64 v[40:41], v[40:41], -v[128:129]
	s_waitcnt lgkmcnt(0)
	v_mul_f64 v[128:129], v[172:173], v[130:131]
	v_fma_f64 v[128:129], v[170:171], v[168:169], -v[128:129]
	v_mul_f64 v[170:171], v[170:171], v[130:131]
	v_fmac_f64_e32 v[170:171], v[172:173], v[168:169]
	v_add_f64 v[38:39], v[38:39], -v[170:171]
	ds_read2_b64 v[170:173], v250 offset0:64 offset1:65
	v_add_f64 v[36:37], v[36:37], -v[128:129]
	s_waitcnt lgkmcnt(0)
	v_mul_f64 v[128:129], v[172:173], v[130:131]
	v_fma_f64 v[128:129], v[170:171], v[168:169], -v[128:129]
	v_mul_f64 v[170:171], v[170:171], v[130:131]
	v_fmac_f64_e32 v[170:171], v[172:173], v[168:169]
	v_add_f64 v[34:35], v[34:35], -v[170:171]
	ds_read2_b64 v[170:173], v250 offset0:66 offset1:67
	v_add_f64 v[32:33], v[32:33], -v[128:129]
	s_waitcnt lgkmcnt(0)
	v_mul_f64 v[128:129], v[172:173], v[130:131]
	v_fma_f64 v[128:129], v[170:171], v[168:169], -v[128:129]
	v_mul_f64 v[170:171], v[170:171], v[130:131]
	v_fmac_f64_e32 v[170:171], v[172:173], v[168:169]
	v_add_f64 v[30:31], v[30:31], -v[170:171]
	ds_read2_b64 v[170:173], v250 offset0:68 offset1:69
	v_add_f64 v[28:29], v[28:29], -v[128:129]
	s_waitcnt lgkmcnt(0)
	v_mul_f64 v[128:129], v[172:173], v[130:131]
	v_fma_f64 v[128:129], v[170:171], v[168:169], -v[128:129]
	v_mul_f64 v[170:171], v[170:171], v[130:131]
	v_fmac_f64_e32 v[170:171], v[172:173], v[168:169]
	v_add_f64 v[26:27], v[26:27], -v[170:171]
	ds_read2_b64 v[170:173], v250 offset0:70 offset1:71
	v_add_f64 v[24:25], v[24:25], -v[128:129]
	s_waitcnt lgkmcnt(0)
	v_mul_f64 v[128:129], v[172:173], v[130:131]
	v_fma_f64 v[128:129], v[170:171], v[168:169], -v[128:129]
	v_mul_f64 v[170:171], v[170:171], v[130:131]
	v_fmac_f64_e32 v[170:171], v[172:173], v[168:169]
	v_add_f64 v[22:23], v[22:23], -v[170:171]
	ds_read2_b64 v[170:173], v250 offset0:72 offset1:73
	v_add_f64 v[20:21], v[20:21], -v[128:129]
	s_waitcnt lgkmcnt(0)
	v_mul_f64 v[128:129], v[172:173], v[130:131]
	v_fma_f64 v[128:129], v[170:171], v[168:169], -v[128:129]
	v_mul_f64 v[170:171], v[170:171], v[130:131]
	v_fmac_f64_e32 v[170:171], v[172:173], v[168:169]
	v_add_f64 v[18:19], v[18:19], -v[170:171]
	ds_read2_b64 v[170:173], v250 offset0:74 offset1:75
	v_add_f64 v[16:17], v[16:17], -v[128:129]
	s_waitcnt lgkmcnt(0)
	v_mul_f64 v[128:129], v[172:173], v[130:131]
	v_fma_f64 v[128:129], v[170:171], v[168:169], -v[128:129]
	v_mul_f64 v[170:171], v[170:171], v[130:131]
	v_fmac_f64_e32 v[170:171], v[172:173], v[168:169]
	v_add_f64 v[14:15], v[14:15], -v[170:171]
	ds_read2_b64 v[170:173], v250 offset0:76 offset1:77
	v_add_f64 v[12:13], v[12:13], -v[128:129]
	s_waitcnt lgkmcnt(0)
	v_mul_f64 v[128:129], v[172:173], v[130:131]
	v_fma_f64 v[128:129], v[170:171], v[168:169], -v[128:129]
	v_mul_f64 v[170:171], v[170:171], v[130:131]
	v_fmac_f64_e32 v[170:171], v[172:173], v[168:169]
	v_add_f64 v[10:11], v[10:11], -v[170:171]
	ds_read2_b64 v[170:173], v250 offset0:78 offset1:79
	v_add_f64 v[8:9], v[8:9], -v[128:129]
	s_waitcnt lgkmcnt(0)
	v_mul_f64 v[128:129], v[172:173], v[130:131]
	v_fma_f64 v[128:129], v[170:171], v[168:169], -v[128:129]
	v_mul_f64 v[170:171], v[170:171], v[130:131]
	v_fmac_f64_e32 v[170:171], v[172:173], v[168:169]
	v_add_f64 v[6:7], v[6:7], -v[170:171]
	ds_read2_b64 v[170:173], v250 offset0:80 offset1:81
	v_add_f64 v[4:5], v[4:5], -v[128:129]
	s_waitcnt lgkmcnt(0)
	v_mul_f64 v[128:129], v[172:173], v[130:131]
	v_fma_f64 v[128:129], v[170:171], v[168:169], -v[128:129]
	v_mul_f64 v[170:171], v[170:171], v[130:131]
	v_fmac_f64_e32 v[170:171], v[172:173], v[168:169]
	v_add_f64 v[2:3], v[2:3], -v[170:171]
	ds_read2_b64 v[170:173], v250 offset0:82 offset1:83
	v_add_f64 v[0:1], v[0:1], -v[128:129]
	s_waitcnt lgkmcnt(0)
	v_mul_f64 v[128:129], v[172:173], v[130:131]
	v_fma_f64 v[128:129], v[170:171], v[168:169], -v[128:129]
	v_mul_f64 v[170:171], v[170:171], v[130:131]
	v_fmac_f64_e32 v[170:171], v[172:173], v[168:169]
	v_add_f64 v[164:165], v[164:165], -v[128:129]
	v_add_f64 v[166:167], v[166:167], -v[170:171]
	v_mov_b64_e32 v[128:129], v[168:169]
.LBB83_82:
	s_or_b64 exec, exec, s[2:3]
	v_cmp_eq_u32_e32 vcc, 9, v248
	s_waitcnt vmcnt(63) expcnt(7) lgkmcnt(15)
	s_barrier
	s_and_saveexec_b64 s[4:5], vcc
	s_cbranch_execz .LBB83_89
; %bb.83:
	ds_write2_b64 v249, v[124:125], v[126:127] offset1:1
	ds_write2_b64 v250, v[120:121], v[122:123] offset0:20 offset1:21
	ds_write2_b64 v250, v[116:117], v[118:119] offset0:22 offset1:23
	;; [unrolled: 1-line block ×16, first 2 shown]
	s_waitcnt vmcnt(33)
	ds_write2_b64 v250, v[56:57], v[58:59] offset0:52 offset1:53
	s_waitcnt vmcnt(21)
	ds_write2_b64 v250, v[52:53], v[54:55] offset0:54 offset1:55
	ds_write2_b64 v250, v[48:49], v[50:51] offset0:56 offset1:57
	ds_write2_b64 v250, v[44:45], v[46:47] offset0:58 offset1:59
	ds_write2_b64 v250, v[40:41], v[42:43] offset0:60 offset1:61
	ds_write2_b64 v250, v[36:37], v[38:39] offset0:62 offset1:63
	ds_write2_b64 v250, v[32:33], v[34:35] offset0:64 offset1:65
	ds_write2_b64 v250, v[28:29], v[30:31] offset0:66 offset1:67
	ds_write2_b64 v250, v[24:25], v[26:27] offset0:68 offset1:69
	ds_write2_b64 v250, v[20:21], v[22:23] offset0:70 offset1:71
	ds_write2_b64 v250, v[16:17], v[18:19] offset0:72 offset1:73
	ds_write2_b64 v250, v[12:13], v[14:15] offset0:74 offset1:75
	ds_write2_b64 v250, v[8:9], v[10:11] offset0:76 offset1:77
	ds_write2_b64 v250, v[4:5], v[6:7] offset0:78 offset1:79
	ds_write2_b64 v250, v[0:1], v[2:3] offset0:80 offset1:81
	ds_write2_b64 v250, v[164:165], v[166:167] offset0:82 offset1:83
	ds_read2_b64 v[168:171], v249 offset1:1
	s_waitcnt lgkmcnt(0)
	v_cmp_neq_f64_e32 vcc, 0, v[168:169]
	v_cmp_neq_f64_e64 s[2:3], 0, v[170:171]
	s_or_b64 s[2:3], vcc, s[2:3]
	s_and_b64 exec, exec, s[2:3]
	s_cbranch_execz .LBB83_89
; %bb.84:
	v_cmp_ngt_f64_e64 s[2:3], |v[168:169]|, |v[170:171]|
                                        ; implicit-def: $vgpr172_vgpr173
	s_and_saveexec_b64 s[10:11], s[2:3]
	s_xor_b64 s[2:3], exec, s[10:11]
                                        ; implicit-def: $vgpr174_vgpr175
	s_cbranch_execz .LBB83_86
; %bb.85:
	v_div_scale_f64 v[172:173], s[10:11], v[170:171], v[170:171], v[168:169]
	v_rcp_f64_e32 v[174:175], v[172:173]
	v_div_scale_f64 v[176:177], vcc, v[168:169], v[170:171], v[168:169]
	v_fma_f64 v[178:179], -v[172:173], v[174:175], 1.0
	v_fmac_f64_e32 v[174:175], v[174:175], v[178:179]
	v_fma_f64 v[178:179], -v[172:173], v[174:175], 1.0
	v_fmac_f64_e32 v[174:175], v[174:175], v[178:179]
	v_mul_f64 v[178:179], v[176:177], v[174:175]
	v_fma_f64 v[172:173], -v[172:173], v[178:179], v[176:177]
	v_div_fmas_f64 v[172:173], v[172:173], v[174:175], v[178:179]
	v_div_fixup_f64 v[172:173], v[172:173], v[170:171], v[168:169]
	v_fmac_f64_e32 v[170:171], v[168:169], v[172:173]
	v_div_scale_f64 v[168:169], s[10:11], v[170:171], v[170:171], 1.0
	v_rcp_f64_e32 v[174:175], v[168:169]
	s_nop 0
	v_fma_f64 v[176:177], -v[168:169], v[174:175], 1.0
	v_fmac_f64_e32 v[174:175], v[174:175], v[176:177]
	v_fma_f64 v[176:177], -v[168:169], v[174:175], 1.0
	v_fmac_f64_e32 v[174:175], v[174:175], v[176:177]
	v_div_scale_f64 v[176:177], vcc, 1.0, v[170:171], 1.0
	v_mul_f64 v[178:179], v[176:177], v[174:175]
	v_fma_f64 v[168:169], -v[168:169], v[178:179], v[176:177]
	s_nop 1
	v_div_fmas_f64 v[168:169], v[168:169], v[174:175], v[178:179]
	v_div_fixup_f64 v[174:175], v[168:169], v[170:171], 1.0
	v_mul_f64 v[172:173], v[172:173], v[174:175]
	v_xor_b32_e32 v175, 0x80000000, v175
                                        ; implicit-def: $vgpr168_vgpr169
.LBB83_86:
	s_andn2_saveexec_b64 s[2:3], s[2:3]
	s_cbranch_execz .LBB83_88
; %bb.87:
	v_div_scale_f64 v[172:173], s[10:11], v[168:169], v[168:169], v[170:171]
	v_rcp_f64_e32 v[174:175], v[172:173]
	v_div_scale_f64 v[176:177], vcc, v[170:171], v[168:169], v[170:171]
	v_fma_f64 v[178:179], -v[172:173], v[174:175], 1.0
	v_fmac_f64_e32 v[174:175], v[174:175], v[178:179]
	v_fma_f64 v[178:179], -v[172:173], v[174:175], 1.0
	v_fmac_f64_e32 v[174:175], v[174:175], v[178:179]
	v_mul_f64 v[178:179], v[176:177], v[174:175]
	v_fma_f64 v[172:173], -v[172:173], v[178:179], v[176:177]
	v_div_fmas_f64 v[172:173], v[172:173], v[174:175], v[178:179]
	v_div_fixup_f64 v[174:175], v[172:173], v[168:169], v[170:171]
	v_fmac_f64_e32 v[168:169], v[170:171], v[174:175]
	v_div_scale_f64 v[170:171], s[10:11], v[168:169], v[168:169], 1.0
	v_rcp_f64_e32 v[172:173], v[170:171]
	s_nop 0
	v_fma_f64 v[176:177], -v[170:171], v[172:173], 1.0
	v_fmac_f64_e32 v[172:173], v[172:173], v[176:177]
	v_fma_f64 v[176:177], -v[170:171], v[172:173], 1.0
	v_fmac_f64_e32 v[172:173], v[172:173], v[176:177]
	v_div_scale_f64 v[176:177], vcc, 1.0, v[168:169], 1.0
	v_mul_f64 v[178:179], v[176:177], v[172:173]
	v_fma_f64 v[170:171], -v[170:171], v[178:179], v[176:177]
	s_nop 1
	v_div_fmas_f64 v[170:171], v[170:171], v[172:173], v[178:179]
	v_div_fixup_f64 v[172:173], v[170:171], v[168:169], 1.0
	v_mul_f64 v[174:175], v[174:175], -v[172:173]
.LBB83_88:
	s_or_b64 exec, exec, s[2:3]
	ds_write2_b64 v249, v[172:173], v[174:175] offset1:1
.LBB83_89:
	s_or_b64 exec, exec, s[4:5]
	s_waitcnt lgkmcnt(0)
	s_barrier
	ds_read2_b64 v[168:171], v249 offset1:1
	v_cmp_lt_u32_e32 vcc, 9, v248
	s_waitcnt lgkmcnt(0)
	scratch_store_dwordx4 off, v[168:171], off offset:464 ; 16-byte Folded Spill
	s_and_saveexec_b64 s[2:3], vcc
	s_cbranch_execz .LBB83_91
; %bb.90:
	scratch_load_dwordx4 v[170:173], off, off offset:464 ; 16-byte Folded Reload
	s_waitcnt vmcnt(0)
	v_mul_f64 v[168:169], v[172:173], v[126:127]
	v_mul_f64 v[126:127], v[170:171], v[126:127]
	v_fma_f64 v[168:169], v[170:171], v[124:125], -v[168:169]
	v_fmac_f64_e32 v[126:127], v[172:173], v[124:125]
	ds_read2_b64 v[170:173], v250 offset0:20 offset1:21
	s_waitcnt lgkmcnt(0)
	v_mul_f64 v[124:125], v[172:173], v[126:127]
	v_fma_f64 v[124:125], v[170:171], v[168:169], -v[124:125]
	v_mul_f64 v[170:171], v[170:171], v[126:127]
	v_fmac_f64_e32 v[170:171], v[172:173], v[168:169]
	v_add_f64 v[122:123], v[122:123], -v[170:171]
	ds_read2_b64 v[170:173], v250 offset0:22 offset1:23
	v_add_f64 v[120:121], v[120:121], -v[124:125]
	s_waitcnt lgkmcnt(0)
	v_mul_f64 v[124:125], v[172:173], v[126:127]
	v_fma_f64 v[124:125], v[170:171], v[168:169], -v[124:125]
	v_mul_f64 v[170:171], v[170:171], v[126:127]
	v_fmac_f64_e32 v[170:171], v[172:173], v[168:169]
	v_add_f64 v[118:119], v[118:119], -v[170:171]
	ds_read2_b64 v[170:173], v250 offset0:24 offset1:25
	v_add_f64 v[116:117], v[116:117], -v[124:125]
	;; [unrolled: 8-line block ×31, first 2 shown]
	s_waitcnt lgkmcnt(0)
	v_mul_f64 v[124:125], v[172:173], v[126:127]
	v_fma_f64 v[124:125], v[170:171], v[168:169], -v[124:125]
	v_mul_f64 v[170:171], v[170:171], v[126:127]
	v_fmac_f64_e32 v[170:171], v[172:173], v[168:169]
	v_add_f64 v[164:165], v[164:165], -v[124:125]
	v_add_f64 v[166:167], v[166:167], -v[170:171]
	v_mov_b64_e32 v[124:125], v[168:169]
.LBB83_91:
	s_or_b64 exec, exec, s[2:3]
	v_cmp_eq_u32_e32 vcc, 10, v248
	s_waitcnt vmcnt(63) expcnt(7) lgkmcnt(15)
	s_barrier
	s_and_saveexec_b64 s[4:5], vcc
	s_cbranch_execz .LBB83_98
; %bb.92:
	ds_write2_b64 v249, v[120:121], v[122:123] offset1:1
	ds_write2_b64 v250, v[116:117], v[118:119] offset0:22 offset1:23
	ds_write2_b64 v250, v[112:113], v[114:115] offset0:24 offset1:25
	;; [unrolled: 1-line block ×15, first 2 shown]
	s_waitcnt vmcnt(34)
	ds_write2_b64 v250, v[56:57], v[58:59] offset0:52 offset1:53
	s_waitcnt vmcnt(22)
	ds_write2_b64 v250, v[52:53], v[54:55] offset0:54 offset1:55
	ds_write2_b64 v250, v[48:49], v[50:51] offset0:56 offset1:57
	;; [unrolled: 1-line block ×15, first 2 shown]
	ds_read2_b64 v[168:171], v249 offset1:1
	s_waitcnt lgkmcnt(0)
	v_cmp_neq_f64_e32 vcc, 0, v[168:169]
	v_cmp_neq_f64_e64 s[2:3], 0, v[170:171]
	s_or_b64 s[2:3], vcc, s[2:3]
	s_and_b64 exec, exec, s[2:3]
	s_cbranch_execz .LBB83_98
; %bb.93:
	v_cmp_ngt_f64_e64 s[2:3], |v[168:169]|, |v[170:171]|
                                        ; implicit-def: $vgpr172_vgpr173
	s_and_saveexec_b64 s[10:11], s[2:3]
	s_xor_b64 s[2:3], exec, s[10:11]
                                        ; implicit-def: $vgpr174_vgpr175
	s_cbranch_execz .LBB83_95
; %bb.94:
	v_div_scale_f64 v[172:173], s[10:11], v[170:171], v[170:171], v[168:169]
	v_rcp_f64_e32 v[174:175], v[172:173]
	v_div_scale_f64 v[176:177], vcc, v[168:169], v[170:171], v[168:169]
	v_fma_f64 v[178:179], -v[172:173], v[174:175], 1.0
	v_fmac_f64_e32 v[174:175], v[174:175], v[178:179]
	v_fma_f64 v[178:179], -v[172:173], v[174:175], 1.0
	v_fmac_f64_e32 v[174:175], v[174:175], v[178:179]
	v_mul_f64 v[178:179], v[176:177], v[174:175]
	v_fma_f64 v[172:173], -v[172:173], v[178:179], v[176:177]
	v_div_fmas_f64 v[172:173], v[172:173], v[174:175], v[178:179]
	v_div_fixup_f64 v[172:173], v[172:173], v[170:171], v[168:169]
	v_fmac_f64_e32 v[170:171], v[168:169], v[172:173]
	v_div_scale_f64 v[168:169], s[10:11], v[170:171], v[170:171], 1.0
	v_rcp_f64_e32 v[174:175], v[168:169]
	s_nop 0
	v_fma_f64 v[176:177], -v[168:169], v[174:175], 1.0
	v_fmac_f64_e32 v[174:175], v[174:175], v[176:177]
	v_fma_f64 v[176:177], -v[168:169], v[174:175], 1.0
	v_fmac_f64_e32 v[174:175], v[174:175], v[176:177]
	v_div_scale_f64 v[176:177], vcc, 1.0, v[170:171], 1.0
	v_mul_f64 v[178:179], v[176:177], v[174:175]
	v_fma_f64 v[168:169], -v[168:169], v[178:179], v[176:177]
	s_nop 1
	v_div_fmas_f64 v[168:169], v[168:169], v[174:175], v[178:179]
	v_div_fixup_f64 v[174:175], v[168:169], v[170:171], 1.0
	v_mul_f64 v[172:173], v[172:173], v[174:175]
	v_xor_b32_e32 v175, 0x80000000, v175
                                        ; implicit-def: $vgpr168_vgpr169
.LBB83_95:
	s_andn2_saveexec_b64 s[2:3], s[2:3]
	s_cbranch_execz .LBB83_97
; %bb.96:
	v_div_scale_f64 v[172:173], s[10:11], v[168:169], v[168:169], v[170:171]
	v_rcp_f64_e32 v[174:175], v[172:173]
	v_div_scale_f64 v[176:177], vcc, v[170:171], v[168:169], v[170:171]
	v_fma_f64 v[178:179], -v[172:173], v[174:175], 1.0
	v_fmac_f64_e32 v[174:175], v[174:175], v[178:179]
	v_fma_f64 v[178:179], -v[172:173], v[174:175], 1.0
	v_fmac_f64_e32 v[174:175], v[174:175], v[178:179]
	v_mul_f64 v[178:179], v[176:177], v[174:175]
	v_fma_f64 v[172:173], -v[172:173], v[178:179], v[176:177]
	v_div_fmas_f64 v[172:173], v[172:173], v[174:175], v[178:179]
	v_div_fixup_f64 v[174:175], v[172:173], v[168:169], v[170:171]
	v_fmac_f64_e32 v[168:169], v[170:171], v[174:175]
	v_div_scale_f64 v[170:171], s[10:11], v[168:169], v[168:169], 1.0
	v_rcp_f64_e32 v[172:173], v[170:171]
	s_nop 0
	v_fma_f64 v[176:177], -v[170:171], v[172:173], 1.0
	v_fmac_f64_e32 v[172:173], v[172:173], v[176:177]
	v_fma_f64 v[176:177], -v[170:171], v[172:173], 1.0
	v_fmac_f64_e32 v[172:173], v[172:173], v[176:177]
	v_div_scale_f64 v[176:177], vcc, 1.0, v[168:169], 1.0
	v_mul_f64 v[178:179], v[176:177], v[172:173]
	v_fma_f64 v[170:171], -v[170:171], v[178:179], v[176:177]
	s_nop 1
	v_div_fmas_f64 v[170:171], v[170:171], v[172:173], v[178:179]
	v_div_fixup_f64 v[172:173], v[170:171], v[168:169], 1.0
	v_mul_f64 v[174:175], v[174:175], -v[172:173]
.LBB83_97:
	s_or_b64 exec, exec, s[2:3]
	ds_write2_b64 v249, v[172:173], v[174:175] offset1:1
.LBB83_98:
	s_or_b64 exec, exec, s[4:5]
	s_waitcnt lgkmcnt(0)
	s_barrier
	ds_read2_b64 v[168:171], v249 offset1:1
	v_cmp_lt_u32_e32 vcc, 10, v248
	s_waitcnt lgkmcnt(0)
	scratch_store_dwordx4 off, v[168:171], off offset:480 ; 16-byte Folded Spill
	s_and_saveexec_b64 s[2:3], vcc
	s_cbranch_execz .LBB83_100
; %bb.99:
	scratch_load_dwordx4 v[170:173], off, off offset:480 ; 16-byte Folded Reload
	s_waitcnt vmcnt(0)
	v_mul_f64 v[168:169], v[172:173], v[122:123]
	v_mul_f64 v[122:123], v[170:171], v[122:123]
	v_fma_f64 v[168:169], v[170:171], v[120:121], -v[168:169]
	v_fmac_f64_e32 v[122:123], v[172:173], v[120:121]
	ds_read2_b64 v[170:173], v250 offset0:22 offset1:23
	s_waitcnt lgkmcnt(0)
	v_mul_f64 v[120:121], v[172:173], v[122:123]
	v_fma_f64 v[120:121], v[170:171], v[168:169], -v[120:121]
	v_mul_f64 v[170:171], v[170:171], v[122:123]
	v_fmac_f64_e32 v[170:171], v[172:173], v[168:169]
	v_add_f64 v[118:119], v[118:119], -v[170:171]
	ds_read2_b64 v[170:173], v250 offset0:24 offset1:25
	v_add_f64 v[116:117], v[116:117], -v[120:121]
	s_waitcnt lgkmcnt(0)
	v_mul_f64 v[120:121], v[172:173], v[122:123]
	v_fma_f64 v[120:121], v[170:171], v[168:169], -v[120:121]
	v_mul_f64 v[170:171], v[170:171], v[122:123]
	v_fmac_f64_e32 v[170:171], v[172:173], v[168:169]
	v_add_f64 v[114:115], v[114:115], -v[170:171]
	ds_read2_b64 v[170:173], v250 offset0:26 offset1:27
	v_add_f64 v[112:113], v[112:113], -v[120:121]
	;; [unrolled: 8-line block ×30, first 2 shown]
	s_waitcnt lgkmcnt(0)
	v_mul_f64 v[120:121], v[172:173], v[122:123]
	v_fma_f64 v[120:121], v[170:171], v[168:169], -v[120:121]
	v_mul_f64 v[170:171], v[170:171], v[122:123]
	v_fmac_f64_e32 v[170:171], v[172:173], v[168:169]
	v_add_f64 v[164:165], v[164:165], -v[120:121]
	v_add_f64 v[166:167], v[166:167], -v[170:171]
	v_mov_b64_e32 v[120:121], v[168:169]
.LBB83_100:
	s_or_b64 exec, exec, s[2:3]
	v_cmp_eq_u32_e32 vcc, 11, v248
	s_waitcnt vmcnt(63) expcnt(7) lgkmcnt(15)
	s_barrier
	s_and_saveexec_b64 s[4:5], vcc
	s_cbranch_execz .LBB83_107
; %bb.101:
	ds_write2_b64 v249, v[116:117], v[118:119] offset1:1
	ds_write2_b64 v250, v[112:113], v[114:115] offset0:24 offset1:25
	ds_write2_b64 v250, v[108:109], v[110:111] offset0:26 offset1:27
	;; [unrolled: 1-line block ×14, first 2 shown]
	s_waitcnt vmcnt(35)
	ds_write2_b64 v250, v[56:57], v[58:59] offset0:52 offset1:53
	s_waitcnt vmcnt(23)
	ds_write2_b64 v250, v[52:53], v[54:55] offset0:54 offset1:55
	ds_write2_b64 v250, v[48:49], v[50:51] offset0:56 offset1:57
	;; [unrolled: 1-line block ×15, first 2 shown]
	ds_read2_b64 v[168:171], v249 offset1:1
	s_waitcnt lgkmcnt(0)
	v_cmp_neq_f64_e32 vcc, 0, v[168:169]
	v_cmp_neq_f64_e64 s[2:3], 0, v[170:171]
	s_or_b64 s[2:3], vcc, s[2:3]
	s_and_b64 exec, exec, s[2:3]
	s_cbranch_execz .LBB83_107
; %bb.102:
	v_cmp_ngt_f64_e64 s[2:3], |v[168:169]|, |v[170:171]|
                                        ; implicit-def: $vgpr172_vgpr173
	s_and_saveexec_b64 s[10:11], s[2:3]
	s_xor_b64 s[2:3], exec, s[10:11]
                                        ; implicit-def: $vgpr174_vgpr175
	s_cbranch_execz .LBB83_104
; %bb.103:
	v_div_scale_f64 v[172:173], s[10:11], v[170:171], v[170:171], v[168:169]
	v_rcp_f64_e32 v[174:175], v[172:173]
	v_div_scale_f64 v[176:177], vcc, v[168:169], v[170:171], v[168:169]
	v_fma_f64 v[178:179], -v[172:173], v[174:175], 1.0
	v_fmac_f64_e32 v[174:175], v[174:175], v[178:179]
	v_fma_f64 v[178:179], -v[172:173], v[174:175], 1.0
	v_fmac_f64_e32 v[174:175], v[174:175], v[178:179]
	v_mul_f64 v[178:179], v[176:177], v[174:175]
	v_fma_f64 v[172:173], -v[172:173], v[178:179], v[176:177]
	v_div_fmas_f64 v[172:173], v[172:173], v[174:175], v[178:179]
	v_div_fixup_f64 v[172:173], v[172:173], v[170:171], v[168:169]
	v_fmac_f64_e32 v[170:171], v[168:169], v[172:173]
	v_div_scale_f64 v[168:169], s[10:11], v[170:171], v[170:171], 1.0
	v_rcp_f64_e32 v[174:175], v[168:169]
	s_nop 0
	v_fma_f64 v[176:177], -v[168:169], v[174:175], 1.0
	v_fmac_f64_e32 v[174:175], v[174:175], v[176:177]
	v_fma_f64 v[176:177], -v[168:169], v[174:175], 1.0
	v_fmac_f64_e32 v[174:175], v[174:175], v[176:177]
	v_div_scale_f64 v[176:177], vcc, 1.0, v[170:171], 1.0
	v_mul_f64 v[178:179], v[176:177], v[174:175]
	v_fma_f64 v[168:169], -v[168:169], v[178:179], v[176:177]
	s_nop 1
	v_div_fmas_f64 v[168:169], v[168:169], v[174:175], v[178:179]
	v_div_fixup_f64 v[174:175], v[168:169], v[170:171], 1.0
	v_mul_f64 v[172:173], v[172:173], v[174:175]
	v_xor_b32_e32 v175, 0x80000000, v175
                                        ; implicit-def: $vgpr168_vgpr169
.LBB83_104:
	s_andn2_saveexec_b64 s[2:3], s[2:3]
	s_cbranch_execz .LBB83_106
; %bb.105:
	v_div_scale_f64 v[172:173], s[10:11], v[168:169], v[168:169], v[170:171]
	v_rcp_f64_e32 v[174:175], v[172:173]
	v_div_scale_f64 v[176:177], vcc, v[170:171], v[168:169], v[170:171]
	v_fma_f64 v[178:179], -v[172:173], v[174:175], 1.0
	v_fmac_f64_e32 v[174:175], v[174:175], v[178:179]
	v_fma_f64 v[178:179], -v[172:173], v[174:175], 1.0
	v_fmac_f64_e32 v[174:175], v[174:175], v[178:179]
	v_mul_f64 v[178:179], v[176:177], v[174:175]
	v_fma_f64 v[172:173], -v[172:173], v[178:179], v[176:177]
	v_div_fmas_f64 v[172:173], v[172:173], v[174:175], v[178:179]
	v_div_fixup_f64 v[174:175], v[172:173], v[168:169], v[170:171]
	v_fmac_f64_e32 v[168:169], v[170:171], v[174:175]
	v_div_scale_f64 v[170:171], s[10:11], v[168:169], v[168:169], 1.0
	v_rcp_f64_e32 v[172:173], v[170:171]
	s_nop 0
	v_fma_f64 v[176:177], -v[170:171], v[172:173], 1.0
	v_fmac_f64_e32 v[172:173], v[172:173], v[176:177]
	v_fma_f64 v[176:177], -v[170:171], v[172:173], 1.0
	v_fmac_f64_e32 v[172:173], v[172:173], v[176:177]
	v_div_scale_f64 v[176:177], vcc, 1.0, v[168:169], 1.0
	v_mul_f64 v[178:179], v[176:177], v[172:173]
	v_fma_f64 v[170:171], -v[170:171], v[178:179], v[176:177]
	s_nop 1
	v_div_fmas_f64 v[170:171], v[170:171], v[172:173], v[178:179]
	v_div_fixup_f64 v[172:173], v[170:171], v[168:169], 1.0
	v_mul_f64 v[174:175], v[174:175], -v[172:173]
.LBB83_106:
	s_or_b64 exec, exec, s[2:3]
	ds_write2_b64 v249, v[172:173], v[174:175] offset1:1
.LBB83_107:
	s_or_b64 exec, exec, s[4:5]
	s_waitcnt lgkmcnt(0)
	s_barrier
	ds_read2_b64 v[168:171], v249 offset1:1
	v_cmp_lt_u32_e32 vcc, 11, v248
	s_waitcnt lgkmcnt(0)
	scratch_store_dwordx4 off, v[168:171], off offset:496 ; 16-byte Folded Spill
	s_and_saveexec_b64 s[2:3], vcc
	s_cbranch_execz .LBB83_109
; %bb.108:
	scratch_load_dwordx4 v[170:173], off, off offset:496 ; 16-byte Folded Reload
	s_waitcnt vmcnt(0)
	v_mul_f64 v[168:169], v[172:173], v[118:119]
	v_mul_f64 v[118:119], v[170:171], v[118:119]
	v_fma_f64 v[168:169], v[170:171], v[116:117], -v[168:169]
	v_fmac_f64_e32 v[118:119], v[172:173], v[116:117]
	ds_read2_b64 v[170:173], v250 offset0:24 offset1:25
	s_waitcnt lgkmcnt(0)
	v_mul_f64 v[116:117], v[172:173], v[118:119]
	v_fma_f64 v[116:117], v[170:171], v[168:169], -v[116:117]
	v_mul_f64 v[170:171], v[170:171], v[118:119]
	v_fmac_f64_e32 v[170:171], v[172:173], v[168:169]
	v_add_f64 v[114:115], v[114:115], -v[170:171]
	ds_read2_b64 v[170:173], v250 offset0:26 offset1:27
	v_add_f64 v[112:113], v[112:113], -v[116:117]
	s_waitcnt lgkmcnt(0)
	v_mul_f64 v[116:117], v[172:173], v[118:119]
	v_fma_f64 v[116:117], v[170:171], v[168:169], -v[116:117]
	v_mul_f64 v[170:171], v[170:171], v[118:119]
	v_fmac_f64_e32 v[170:171], v[172:173], v[168:169]
	v_add_f64 v[110:111], v[110:111], -v[170:171]
	ds_read2_b64 v[170:173], v250 offset0:28 offset1:29
	v_add_f64 v[108:109], v[108:109], -v[116:117]
	s_waitcnt lgkmcnt(0)
	v_mul_f64 v[116:117], v[172:173], v[118:119]
	v_fma_f64 v[116:117], v[170:171], v[168:169], -v[116:117]
	v_mul_f64 v[170:171], v[170:171], v[118:119]
	v_fmac_f64_e32 v[170:171], v[172:173], v[168:169]
	v_add_f64 v[106:107], v[106:107], -v[170:171]
	ds_read2_b64 v[170:173], v250 offset0:30 offset1:31
	v_add_f64 v[104:105], v[104:105], -v[116:117]
	s_waitcnt lgkmcnt(0)
	v_mul_f64 v[116:117], v[172:173], v[118:119]
	v_fma_f64 v[116:117], v[170:171], v[168:169], -v[116:117]
	v_mul_f64 v[170:171], v[170:171], v[118:119]
	v_fmac_f64_e32 v[170:171], v[172:173], v[168:169]
	v_add_f64 v[102:103], v[102:103], -v[170:171]
	ds_read2_b64 v[170:173], v250 offset0:32 offset1:33
	v_add_f64 v[100:101], v[100:101], -v[116:117]
	s_waitcnt lgkmcnt(0)
	v_mul_f64 v[116:117], v[172:173], v[118:119]
	v_fma_f64 v[116:117], v[170:171], v[168:169], -v[116:117]
	v_mul_f64 v[170:171], v[170:171], v[118:119]
	v_fmac_f64_e32 v[170:171], v[172:173], v[168:169]
	v_add_f64 v[98:99], v[98:99], -v[170:171]
	ds_read2_b64 v[170:173], v250 offset0:34 offset1:35
	v_add_f64 v[96:97], v[96:97], -v[116:117]
	s_waitcnt lgkmcnt(0)
	v_mul_f64 v[116:117], v[172:173], v[118:119]
	v_fma_f64 v[116:117], v[170:171], v[168:169], -v[116:117]
	v_mul_f64 v[170:171], v[170:171], v[118:119]
	v_fmac_f64_e32 v[170:171], v[172:173], v[168:169]
	v_add_f64 v[94:95], v[94:95], -v[170:171]
	ds_read2_b64 v[170:173], v250 offset0:36 offset1:37
	v_add_f64 v[92:93], v[92:93], -v[116:117]
	s_waitcnt lgkmcnt(0)
	v_mul_f64 v[116:117], v[172:173], v[118:119]
	v_fma_f64 v[116:117], v[170:171], v[168:169], -v[116:117]
	v_mul_f64 v[170:171], v[170:171], v[118:119]
	v_fmac_f64_e32 v[170:171], v[172:173], v[168:169]
	v_add_f64 v[90:91], v[90:91], -v[170:171]
	ds_read2_b64 v[170:173], v250 offset0:38 offset1:39
	v_add_f64 v[88:89], v[88:89], -v[116:117]
	s_waitcnt lgkmcnt(0)
	v_mul_f64 v[116:117], v[172:173], v[118:119]
	v_fma_f64 v[116:117], v[170:171], v[168:169], -v[116:117]
	v_mul_f64 v[170:171], v[170:171], v[118:119]
	v_fmac_f64_e32 v[170:171], v[172:173], v[168:169]
	v_add_f64 v[86:87], v[86:87], -v[170:171]
	ds_read2_b64 v[170:173], v250 offset0:40 offset1:41
	v_add_f64 v[84:85], v[84:85], -v[116:117]
	s_waitcnt lgkmcnt(0)
	v_mul_f64 v[116:117], v[172:173], v[118:119]
	v_fma_f64 v[116:117], v[170:171], v[168:169], -v[116:117]
	v_mul_f64 v[170:171], v[170:171], v[118:119]
	v_fmac_f64_e32 v[170:171], v[172:173], v[168:169]
	v_add_f64 v[82:83], v[82:83], -v[170:171]
	ds_read2_b64 v[170:173], v250 offset0:42 offset1:43
	v_add_f64 v[80:81], v[80:81], -v[116:117]
	s_waitcnt lgkmcnt(0)
	v_mul_f64 v[116:117], v[172:173], v[118:119]
	v_fma_f64 v[116:117], v[170:171], v[168:169], -v[116:117]
	v_mul_f64 v[170:171], v[170:171], v[118:119]
	v_fmac_f64_e32 v[170:171], v[172:173], v[168:169]
	v_add_f64 v[78:79], v[78:79], -v[170:171]
	ds_read2_b64 v[170:173], v250 offset0:44 offset1:45
	v_add_f64 v[76:77], v[76:77], -v[116:117]
	s_waitcnt lgkmcnt(0)
	v_mul_f64 v[116:117], v[172:173], v[118:119]
	v_fma_f64 v[116:117], v[170:171], v[168:169], -v[116:117]
	v_mul_f64 v[170:171], v[170:171], v[118:119]
	v_fmac_f64_e32 v[170:171], v[172:173], v[168:169]
	v_add_f64 v[74:75], v[74:75], -v[170:171]
	ds_read2_b64 v[170:173], v250 offset0:46 offset1:47
	v_add_f64 v[72:73], v[72:73], -v[116:117]
	s_waitcnt lgkmcnt(0)
	v_mul_f64 v[116:117], v[172:173], v[118:119]
	v_fma_f64 v[116:117], v[170:171], v[168:169], -v[116:117]
	v_mul_f64 v[170:171], v[170:171], v[118:119]
	v_fmac_f64_e32 v[170:171], v[172:173], v[168:169]
	v_add_f64 v[70:71], v[70:71], -v[170:171]
	ds_read2_b64 v[170:173], v250 offset0:48 offset1:49
	v_add_f64 v[68:69], v[68:69], -v[116:117]
	s_waitcnt lgkmcnt(0)
	v_mul_f64 v[116:117], v[172:173], v[118:119]
	v_fma_f64 v[116:117], v[170:171], v[168:169], -v[116:117]
	v_mul_f64 v[170:171], v[170:171], v[118:119]
	v_fmac_f64_e32 v[170:171], v[172:173], v[168:169]
	v_add_f64 v[66:67], v[66:67], -v[170:171]
	ds_read2_b64 v[170:173], v250 offset0:50 offset1:51
	v_add_f64 v[64:65], v[64:65], -v[116:117]
	s_waitcnt lgkmcnt(0)
	v_mul_f64 v[116:117], v[172:173], v[118:119]
	v_fma_f64 v[116:117], v[170:171], v[168:169], -v[116:117]
	v_mul_f64 v[170:171], v[170:171], v[118:119]
	v_fmac_f64_e32 v[170:171], v[172:173], v[168:169]
	v_add_f64 v[62:63], v[62:63], -v[170:171]
	ds_read2_b64 v[170:173], v250 offset0:52 offset1:53
	v_add_f64 v[60:61], v[60:61], -v[116:117]
	s_waitcnt lgkmcnt(0)
	v_mul_f64 v[116:117], v[172:173], v[118:119]
	v_fma_f64 v[116:117], v[170:171], v[168:169], -v[116:117]
	v_mul_f64 v[170:171], v[170:171], v[118:119]
	v_fmac_f64_e32 v[170:171], v[172:173], v[168:169]
	v_add_f64 v[58:59], v[58:59], -v[170:171]
	ds_read2_b64 v[170:173], v250 offset0:54 offset1:55
	v_add_f64 v[56:57], v[56:57], -v[116:117]
	s_waitcnt lgkmcnt(0)
	v_mul_f64 v[116:117], v[172:173], v[118:119]
	v_fma_f64 v[116:117], v[170:171], v[168:169], -v[116:117]
	v_mul_f64 v[170:171], v[170:171], v[118:119]
	v_fmac_f64_e32 v[170:171], v[172:173], v[168:169]
	v_add_f64 v[54:55], v[54:55], -v[170:171]
	ds_read2_b64 v[170:173], v250 offset0:56 offset1:57
	v_add_f64 v[52:53], v[52:53], -v[116:117]
	s_waitcnt lgkmcnt(0)
	v_mul_f64 v[116:117], v[172:173], v[118:119]
	v_fma_f64 v[116:117], v[170:171], v[168:169], -v[116:117]
	v_mul_f64 v[170:171], v[170:171], v[118:119]
	v_fmac_f64_e32 v[170:171], v[172:173], v[168:169]
	v_add_f64 v[50:51], v[50:51], -v[170:171]
	ds_read2_b64 v[170:173], v250 offset0:58 offset1:59
	v_add_f64 v[48:49], v[48:49], -v[116:117]
	s_waitcnt lgkmcnt(0)
	v_mul_f64 v[116:117], v[172:173], v[118:119]
	v_fma_f64 v[116:117], v[170:171], v[168:169], -v[116:117]
	v_mul_f64 v[170:171], v[170:171], v[118:119]
	v_fmac_f64_e32 v[170:171], v[172:173], v[168:169]
	v_add_f64 v[46:47], v[46:47], -v[170:171]
	ds_read2_b64 v[170:173], v250 offset0:60 offset1:61
	v_add_f64 v[44:45], v[44:45], -v[116:117]
	s_waitcnt lgkmcnt(0)
	v_mul_f64 v[116:117], v[172:173], v[118:119]
	v_fma_f64 v[116:117], v[170:171], v[168:169], -v[116:117]
	v_mul_f64 v[170:171], v[170:171], v[118:119]
	v_fmac_f64_e32 v[170:171], v[172:173], v[168:169]
	v_add_f64 v[42:43], v[42:43], -v[170:171]
	ds_read2_b64 v[170:173], v250 offset0:62 offset1:63
	v_add_f64 v[40:41], v[40:41], -v[116:117]
	s_waitcnt lgkmcnt(0)
	v_mul_f64 v[116:117], v[172:173], v[118:119]
	v_fma_f64 v[116:117], v[170:171], v[168:169], -v[116:117]
	v_mul_f64 v[170:171], v[170:171], v[118:119]
	v_fmac_f64_e32 v[170:171], v[172:173], v[168:169]
	v_add_f64 v[38:39], v[38:39], -v[170:171]
	ds_read2_b64 v[170:173], v250 offset0:64 offset1:65
	v_add_f64 v[36:37], v[36:37], -v[116:117]
	s_waitcnt lgkmcnt(0)
	v_mul_f64 v[116:117], v[172:173], v[118:119]
	v_fma_f64 v[116:117], v[170:171], v[168:169], -v[116:117]
	v_mul_f64 v[170:171], v[170:171], v[118:119]
	v_fmac_f64_e32 v[170:171], v[172:173], v[168:169]
	v_add_f64 v[34:35], v[34:35], -v[170:171]
	ds_read2_b64 v[170:173], v250 offset0:66 offset1:67
	v_add_f64 v[32:33], v[32:33], -v[116:117]
	s_waitcnt lgkmcnt(0)
	v_mul_f64 v[116:117], v[172:173], v[118:119]
	v_fma_f64 v[116:117], v[170:171], v[168:169], -v[116:117]
	v_mul_f64 v[170:171], v[170:171], v[118:119]
	v_fmac_f64_e32 v[170:171], v[172:173], v[168:169]
	v_add_f64 v[30:31], v[30:31], -v[170:171]
	ds_read2_b64 v[170:173], v250 offset0:68 offset1:69
	v_add_f64 v[28:29], v[28:29], -v[116:117]
	s_waitcnt lgkmcnt(0)
	v_mul_f64 v[116:117], v[172:173], v[118:119]
	v_fma_f64 v[116:117], v[170:171], v[168:169], -v[116:117]
	v_mul_f64 v[170:171], v[170:171], v[118:119]
	v_fmac_f64_e32 v[170:171], v[172:173], v[168:169]
	v_add_f64 v[26:27], v[26:27], -v[170:171]
	ds_read2_b64 v[170:173], v250 offset0:70 offset1:71
	v_add_f64 v[24:25], v[24:25], -v[116:117]
	s_waitcnt lgkmcnt(0)
	v_mul_f64 v[116:117], v[172:173], v[118:119]
	v_fma_f64 v[116:117], v[170:171], v[168:169], -v[116:117]
	v_mul_f64 v[170:171], v[170:171], v[118:119]
	v_fmac_f64_e32 v[170:171], v[172:173], v[168:169]
	v_add_f64 v[22:23], v[22:23], -v[170:171]
	ds_read2_b64 v[170:173], v250 offset0:72 offset1:73
	v_add_f64 v[20:21], v[20:21], -v[116:117]
	s_waitcnt lgkmcnt(0)
	v_mul_f64 v[116:117], v[172:173], v[118:119]
	v_fma_f64 v[116:117], v[170:171], v[168:169], -v[116:117]
	v_mul_f64 v[170:171], v[170:171], v[118:119]
	v_fmac_f64_e32 v[170:171], v[172:173], v[168:169]
	v_add_f64 v[18:19], v[18:19], -v[170:171]
	ds_read2_b64 v[170:173], v250 offset0:74 offset1:75
	v_add_f64 v[16:17], v[16:17], -v[116:117]
	s_waitcnt lgkmcnt(0)
	v_mul_f64 v[116:117], v[172:173], v[118:119]
	v_fma_f64 v[116:117], v[170:171], v[168:169], -v[116:117]
	v_mul_f64 v[170:171], v[170:171], v[118:119]
	v_fmac_f64_e32 v[170:171], v[172:173], v[168:169]
	v_add_f64 v[14:15], v[14:15], -v[170:171]
	ds_read2_b64 v[170:173], v250 offset0:76 offset1:77
	v_add_f64 v[12:13], v[12:13], -v[116:117]
	s_waitcnt lgkmcnt(0)
	v_mul_f64 v[116:117], v[172:173], v[118:119]
	v_fma_f64 v[116:117], v[170:171], v[168:169], -v[116:117]
	v_mul_f64 v[170:171], v[170:171], v[118:119]
	v_fmac_f64_e32 v[170:171], v[172:173], v[168:169]
	v_add_f64 v[10:11], v[10:11], -v[170:171]
	ds_read2_b64 v[170:173], v250 offset0:78 offset1:79
	v_add_f64 v[8:9], v[8:9], -v[116:117]
	s_waitcnt lgkmcnt(0)
	v_mul_f64 v[116:117], v[172:173], v[118:119]
	v_fma_f64 v[116:117], v[170:171], v[168:169], -v[116:117]
	v_mul_f64 v[170:171], v[170:171], v[118:119]
	v_fmac_f64_e32 v[170:171], v[172:173], v[168:169]
	v_add_f64 v[6:7], v[6:7], -v[170:171]
	ds_read2_b64 v[170:173], v250 offset0:80 offset1:81
	v_add_f64 v[4:5], v[4:5], -v[116:117]
	s_waitcnt lgkmcnt(0)
	v_mul_f64 v[116:117], v[172:173], v[118:119]
	v_fma_f64 v[116:117], v[170:171], v[168:169], -v[116:117]
	v_mul_f64 v[170:171], v[170:171], v[118:119]
	v_fmac_f64_e32 v[170:171], v[172:173], v[168:169]
	v_add_f64 v[2:3], v[2:3], -v[170:171]
	ds_read2_b64 v[170:173], v250 offset0:82 offset1:83
	v_add_f64 v[0:1], v[0:1], -v[116:117]
	s_waitcnt lgkmcnt(0)
	v_mul_f64 v[116:117], v[172:173], v[118:119]
	v_fma_f64 v[116:117], v[170:171], v[168:169], -v[116:117]
	v_mul_f64 v[170:171], v[170:171], v[118:119]
	v_fmac_f64_e32 v[170:171], v[172:173], v[168:169]
	v_add_f64 v[164:165], v[164:165], -v[116:117]
	v_add_f64 v[166:167], v[166:167], -v[170:171]
	v_mov_b64_e32 v[116:117], v[168:169]
.LBB83_109:
	s_or_b64 exec, exec, s[2:3]
	v_cmp_eq_u32_e32 vcc, 12, v248
	s_waitcnt vmcnt(63) expcnt(7) lgkmcnt(15)
	s_barrier
	s_and_saveexec_b64 s[4:5], vcc
	s_cbranch_execz .LBB83_116
; %bb.110:
	ds_write2_b64 v249, v[112:113], v[114:115] offset1:1
	ds_write2_b64 v250, v[108:109], v[110:111] offset0:26 offset1:27
	ds_write2_b64 v250, v[104:105], v[106:107] offset0:28 offset1:29
	;; [unrolled: 1-line block ×13, first 2 shown]
	s_waitcnt vmcnt(36)
	ds_write2_b64 v250, v[56:57], v[58:59] offset0:52 offset1:53
	s_waitcnt vmcnt(24)
	ds_write2_b64 v250, v[52:53], v[54:55] offset0:54 offset1:55
	ds_write2_b64 v250, v[48:49], v[50:51] offset0:56 offset1:57
	;; [unrolled: 1-line block ×15, first 2 shown]
	ds_read2_b64 v[168:171], v249 offset1:1
	s_waitcnt lgkmcnt(0)
	v_cmp_neq_f64_e32 vcc, 0, v[168:169]
	v_cmp_neq_f64_e64 s[2:3], 0, v[170:171]
	s_or_b64 s[2:3], vcc, s[2:3]
	s_and_b64 exec, exec, s[2:3]
	s_cbranch_execz .LBB83_116
; %bb.111:
	v_cmp_ngt_f64_e64 s[2:3], |v[168:169]|, |v[170:171]|
                                        ; implicit-def: $vgpr172_vgpr173
	s_and_saveexec_b64 s[10:11], s[2:3]
	s_xor_b64 s[2:3], exec, s[10:11]
                                        ; implicit-def: $vgpr174_vgpr175
	s_cbranch_execz .LBB83_113
; %bb.112:
	v_div_scale_f64 v[172:173], s[10:11], v[170:171], v[170:171], v[168:169]
	v_rcp_f64_e32 v[174:175], v[172:173]
	v_div_scale_f64 v[176:177], vcc, v[168:169], v[170:171], v[168:169]
	v_fma_f64 v[178:179], -v[172:173], v[174:175], 1.0
	v_fmac_f64_e32 v[174:175], v[174:175], v[178:179]
	v_fma_f64 v[178:179], -v[172:173], v[174:175], 1.0
	v_fmac_f64_e32 v[174:175], v[174:175], v[178:179]
	v_mul_f64 v[178:179], v[176:177], v[174:175]
	v_fma_f64 v[172:173], -v[172:173], v[178:179], v[176:177]
	v_div_fmas_f64 v[172:173], v[172:173], v[174:175], v[178:179]
	v_div_fixup_f64 v[172:173], v[172:173], v[170:171], v[168:169]
	v_fmac_f64_e32 v[170:171], v[168:169], v[172:173]
	v_div_scale_f64 v[168:169], s[10:11], v[170:171], v[170:171], 1.0
	v_rcp_f64_e32 v[174:175], v[168:169]
	s_nop 0
	v_fma_f64 v[176:177], -v[168:169], v[174:175], 1.0
	v_fmac_f64_e32 v[174:175], v[174:175], v[176:177]
	v_fma_f64 v[176:177], -v[168:169], v[174:175], 1.0
	v_fmac_f64_e32 v[174:175], v[174:175], v[176:177]
	v_div_scale_f64 v[176:177], vcc, 1.0, v[170:171], 1.0
	v_mul_f64 v[178:179], v[176:177], v[174:175]
	v_fma_f64 v[168:169], -v[168:169], v[178:179], v[176:177]
	s_nop 1
	v_div_fmas_f64 v[168:169], v[168:169], v[174:175], v[178:179]
	v_div_fixup_f64 v[174:175], v[168:169], v[170:171], 1.0
	v_mul_f64 v[172:173], v[172:173], v[174:175]
	v_xor_b32_e32 v175, 0x80000000, v175
                                        ; implicit-def: $vgpr168_vgpr169
.LBB83_113:
	s_andn2_saveexec_b64 s[2:3], s[2:3]
	s_cbranch_execz .LBB83_115
; %bb.114:
	v_div_scale_f64 v[172:173], s[10:11], v[168:169], v[168:169], v[170:171]
	v_rcp_f64_e32 v[174:175], v[172:173]
	v_div_scale_f64 v[176:177], vcc, v[170:171], v[168:169], v[170:171]
	v_fma_f64 v[178:179], -v[172:173], v[174:175], 1.0
	v_fmac_f64_e32 v[174:175], v[174:175], v[178:179]
	v_fma_f64 v[178:179], -v[172:173], v[174:175], 1.0
	v_fmac_f64_e32 v[174:175], v[174:175], v[178:179]
	v_mul_f64 v[178:179], v[176:177], v[174:175]
	v_fma_f64 v[172:173], -v[172:173], v[178:179], v[176:177]
	v_div_fmas_f64 v[172:173], v[172:173], v[174:175], v[178:179]
	v_div_fixup_f64 v[174:175], v[172:173], v[168:169], v[170:171]
	v_fmac_f64_e32 v[168:169], v[170:171], v[174:175]
	v_div_scale_f64 v[170:171], s[10:11], v[168:169], v[168:169], 1.0
	v_rcp_f64_e32 v[172:173], v[170:171]
	s_nop 0
	v_fma_f64 v[176:177], -v[170:171], v[172:173], 1.0
	v_fmac_f64_e32 v[172:173], v[172:173], v[176:177]
	v_fma_f64 v[176:177], -v[170:171], v[172:173], 1.0
	v_fmac_f64_e32 v[172:173], v[172:173], v[176:177]
	v_div_scale_f64 v[176:177], vcc, 1.0, v[168:169], 1.0
	v_mul_f64 v[178:179], v[176:177], v[172:173]
	v_fma_f64 v[170:171], -v[170:171], v[178:179], v[176:177]
	s_nop 1
	v_div_fmas_f64 v[170:171], v[170:171], v[172:173], v[178:179]
	v_div_fixup_f64 v[172:173], v[170:171], v[168:169], 1.0
	v_mul_f64 v[174:175], v[174:175], -v[172:173]
.LBB83_115:
	s_or_b64 exec, exec, s[2:3]
	ds_write2_b64 v249, v[172:173], v[174:175] offset1:1
.LBB83_116:
	s_or_b64 exec, exec, s[4:5]
	s_waitcnt lgkmcnt(0)
	s_barrier
	ds_read2_b64 v[168:171], v249 offset1:1
	v_cmp_lt_u32_e32 vcc, 12, v248
	s_waitcnt lgkmcnt(0)
	scratch_store_dwordx4 off, v[168:171], off offset:512 ; 16-byte Folded Spill
	s_and_saveexec_b64 s[2:3], vcc
	s_cbranch_execz .LBB83_118
; %bb.117:
	scratch_load_dwordx4 v[170:173], off, off offset:512 ; 16-byte Folded Reload
	s_waitcnt vmcnt(0)
	v_mul_f64 v[168:169], v[172:173], v[114:115]
	v_mul_f64 v[114:115], v[170:171], v[114:115]
	v_fma_f64 v[168:169], v[170:171], v[112:113], -v[168:169]
	v_fmac_f64_e32 v[114:115], v[172:173], v[112:113]
	ds_read2_b64 v[170:173], v250 offset0:26 offset1:27
	s_waitcnt lgkmcnt(0)
	v_mul_f64 v[112:113], v[172:173], v[114:115]
	v_fma_f64 v[112:113], v[170:171], v[168:169], -v[112:113]
	v_mul_f64 v[170:171], v[170:171], v[114:115]
	v_fmac_f64_e32 v[170:171], v[172:173], v[168:169]
	v_add_f64 v[110:111], v[110:111], -v[170:171]
	ds_read2_b64 v[170:173], v250 offset0:28 offset1:29
	v_add_f64 v[108:109], v[108:109], -v[112:113]
	s_waitcnt lgkmcnt(0)
	v_mul_f64 v[112:113], v[172:173], v[114:115]
	v_fma_f64 v[112:113], v[170:171], v[168:169], -v[112:113]
	v_mul_f64 v[170:171], v[170:171], v[114:115]
	v_fmac_f64_e32 v[170:171], v[172:173], v[168:169]
	v_add_f64 v[106:107], v[106:107], -v[170:171]
	ds_read2_b64 v[170:173], v250 offset0:30 offset1:31
	v_add_f64 v[104:105], v[104:105], -v[112:113]
	s_waitcnt lgkmcnt(0)
	v_mul_f64 v[112:113], v[172:173], v[114:115]
	v_fma_f64 v[112:113], v[170:171], v[168:169], -v[112:113]
	v_mul_f64 v[170:171], v[170:171], v[114:115]
	v_fmac_f64_e32 v[170:171], v[172:173], v[168:169]
	v_add_f64 v[102:103], v[102:103], -v[170:171]
	ds_read2_b64 v[170:173], v250 offset0:32 offset1:33
	v_add_f64 v[100:101], v[100:101], -v[112:113]
	s_waitcnt lgkmcnt(0)
	v_mul_f64 v[112:113], v[172:173], v[114:115]
	v_fma_f64 v[112:113], v[170:171], v[168:169], -v[112:113]
	v_mul_f64 v[170:171], v[170:171], v[114:115]
	v_fmac_f64_e32 v[170:171], v[172:173], v[168:169]
	v_add_f64 v[98:99], v[98:99], -v[170:171]
	ds_read2_b64 v[170:173], v250 offset0:34 offset1:35
	v_add_f64 v[96:97], v[96:97], -v[112:113]
	s_waitcnt lgkmcnt(0)
	v_mul_f64 v[112:113], v[172:173], v[114:115]
	v_fma_f64 v[112:113], v[170:171], v[168:169], -v[112:113]
	v_mul_f64 v[170:171], v[170:171], v[114:115]
	v_fmac_f64_e32 v[170:171], v[172:173], v[168:169]
	v_add_f64 v[94:95], v[94:95], -v[170:171]
	ds_read2_b64 v[170:173], v250 offset0:36 offset1:37
	v_add_f64 v[92:93], v[92:93], -v[112:113]
	s_waitcnt lgkmcnt(0)
	v_mul_f64 v[112:113], v[172:173], v[114:115]
	v_fma_f64 v[112:113], v[170:171], v[168:169], -v[112:113]
	v_mul_f64 v[170:171], v[170:171], v[114:115]
	v_fmac_f64_e32 v[170:171], v[172:173], v[168:169]
	v_add_f64 v[90:91], v[90:91], -v[170:171]
	ds_read2_b64 v[170:173], v250 offset0:38 offset1:39
	v_add_f64 v[88:89], v[88:89], -v[112:113]
	s_waitcnt lgkmcnt(0)
	v_mul_f64 v[112:113], v[172:173], v[114:115]
	v_fma_f64 v[112:113], v[170:171], v[168:169], -v[112:113]
	v_mul_f64 v[170:171], v[170:171], v[114:115]
	v_fmac_f64_e32 v[170:171], v[172:173], v[168:169]
	v_add_f64 v[86:87], v[86:87], -v[170:171]
	ds_read2_b64 v[170:173], v250 offset0:40 offset1:41
	v_add_f64 v[84:85], v[84:85], -v[112:113]
	s_waitcnt lgkmcnt(0)
	v_mul_f64 v[112:113], v[172:173], v[114:115]
	v_fma_f64 v[112:113], v[170:171], v[168:169], -v[112:113]
	v_mul_f64 v[170:171], v[170:171], v[114:115]
	v_fmac_f64_e32 v[170:171], v[172:173], v[168:169]
	v_add_f64 v[82:83], v[82:83], -v[170:171]
	ds_read2_b64 v[170:173], v250 offset0:42 offset1:43
	v_add_f64 v[80:81], v[80:81], -v[112:113]
	s_waitcnt lgkmcnt(0)
	v_mul_f64 v[112:113], v[172:173], v[114:115]
	v_fma_f64 v[112:113], v[170:171], v[168:169], -v[112:113]
	v_mul_f64 v[170:171], v[170:171], v[114:115]
	v_fmac_f64_e32 v[170:171], v[172:173], v[168:169]
	v_add_f64 v[78:79], v[78:79], -v[170:171]
	ds_read2_b64 v[170:173], v250 offset0:44 offset1:45
	v_add_f64 v[76:77], v[76:77], -v[112:113]
	s_waitcnt lgkmcnt(0)
	v_mul_f64 v[112:113], v[172:173], v[114:115]
	v_fma_f64 v[112:113], v[170:171], v[168:169], -v[112:113]
	v_mul_f64 v[170:171], v[170:171], v[114:115]
	v_fmac_f64_e32 v[170:171], v[172:173], v[168:169]
	v_add_f64 v[74:75], v[74:75], -v[170:171]
	ds_read2_b64 v[170:173], v250 offset0:46 offset1:47
	v_add_f64 v[72:73], v[72:73], -v[112:113]
	s_waitcnt lgkmcnt(0)
	v_mul_f64 v[112:113], v[172:173], v[114:115]
	v_fma_f64 v[112:113], v[170:171], v[168:169], -v[112:113]
	v_mul_f64 v[170:171], v[170:171], v[114:115]
	v_fmac_f64_e32 v[170:171], v[172:173], v[168:169]
	v_add_f64 v[70:71], v[70:71], -v[170:171]
	ds_read2_b64 v[170:173], v250 offset0:48 offset1:49
	v_add_f64 v[68:69], v[68:69], -v[112:113]
	s_waitcnt lgkmcnt(0)
	v_mul_f64 v[112:113], v[172:173], v[114:115]
	v_fma_f64 v[112:113], v[170:171], v[168:169], -v[112:113]
	v_mul_f64 v[170:171], v[170:171], v[114:115]
	v_fmac_f64_e32 v[170:171], v[172:173], v[168:169]
	v_add_f64 v[66:67], v[66:67], -v[170:171]
	ds_read2_b64 v[170:173], v250 offset0:50 offset1:51
	v_add_f64 v[64:65], v[64:65], -v[112:113]
	s_waitcnt lgkmcnt(0)
	v_mul_f64 v[112:113], v[172:173], v[114:115]
	v_fma_f64 v[112:113], v[170:171], v[168:169], -v[112:113]
	v_mul_f64 v[170:171], v[170:171], v[114:115]
	v_fmac_f64_e32 v[170:171], v[172:173], v[168:169]
	v_add_f64 v[62:63], v[62:63], -v[170:171]
	ds_read2_b64 v[170:173], v250 offset0:52 offset1:53
	v_add_f64 v[60:61], v[60:61], -v[112:113]
	s_waitcnt lgkmcnt(0)
	v_mul_f64 v[112:113], v[172:173], v[114:115]
	v_fma_f64 v[112:113], v[170:171], v[168:169], -v[112:113]
	v_mul_f64 v[170:171], v[170:171], v[114:115]
	v_fmac_f64_e32 v[170:171], v[172:173], v[168:169]
	v_add_f64 v[58:59], v[58:59], -v[170:171]
	ds_read2_b64 v[170:173], v250 offset0:54 offset1:55
	v_add_f64 v[56:57], v[56:57], -v[112:113]
	s_waitcnt lgkmcnt(0)
	v_mul_f64 v[112:113], v[172:173], v[114:115]
	v_fma_f64 v[112:113], v[170:171], v[168:169], -v[112:113]
	v_mul_f64 v[170:171], v[170:171], v[114:115]
	v_fmac_f64_e32 v[170:171], v[172:173], v[168:169]
	v_add_f64 v[54:55], v[54:55], -v[170:171]
	ds_read2_b64 v[170:173], v250 offset0:56 offset1:57
	v_add_f64 v[52:53], v[52:53], -v[112:113]
	s_waitcnt lgkmcnt(0)
	v_mul_f64 v[112:113], v[172:173], v[114:115]
	v_fma_f64 v[112:113], v[170:171], v[168:169], -v[112:113]
	v_mul_f64 v[170:171], v[170:171], v[114:115]
	v_fmac_f64_e32 v[170:171], v[172:173], v[168:169]
	v_add_f64 v[50:51], v[50:51], -v[170:171]
	ds_read2_b64 v[170:173], v250 offset0:58 offset1:59
	v_add_f64 v[48:49], v[48:49], -v[112:113]
	s_waitcnt lgkmcnt(0)
	v_mul_f64 v[112:113], v[172:173], v[114:115]
	v_fma_f64 v[112:113], v[170:171], v[168:169], -v[112:113]
	v_mul_f64 v[170:171], v[170:171], v[114:115]
	v_fmac_f64_e32 v[170:171], v[172:173], v[168:169]
	v_add_f64 v[46:47], v[46:47], -v[170:171]
	ds_read2_b64 v[170:173], v250 offset0:60 offset1:61
	v_add_f64 v[44:45], v[44:45], -v[112:113]
	s_waitcnt lgkmcnt(0)
	v_mul_f64 v[112:113], v[172:173], v[114:115]
	v_fma_f64 v[112:113], v[170:171], v[168:169], -v[112:113]
	v_mul_f64 v[170:171], v[170:171], v[114:115]
	v_fmac_f64_e32 v[170:171], v[172:173], v[168:169]
	v_add_f64 v[42:43], v[42:43], -v[170:171]
	ds_read2_b64 v[170:173], v250 offset0:62 offset1:63
	v_add_f64 v[40:41], v[40:41], -v[112:113]
	s_waitcnt lgkmcnt(0)
	v_mul_f64 v[112:113], v[172:173], v[114:115]
	v_fma_f64 v[112:113], v[170:171], v[168:169], -v[112:113]
	v_mul_f64 v[170:171], v[170:171], v[114:115]
	v_fmac_f64_e32 v[170:171], v[172:173], v[168:169]
	v_add_f64 v[38:39], v[38:39], -v[170:171]
	ds_read2_b64 v[170:173], v250 offset0:64 offset1:65
	v_add_f64 v[36:37], v[36:37], -v[112:113]
	s_waitcnt lgkmcnt(0)
	v_mul_f64 v[112:113], v[172:173], v[114:115]
	v_fma_f64 v[112:113], v[170:171], v[168:169], -v[112:113]
	v_mul_f64 v[170:171], v[170:171], v[114:115]
	v_fmac_f64_e32 v[170:171], v[172:173], v[168:169]
	v_add_f64 v[34:35], v[34:35], -v[170:171]
	ds_read2_b64 v[170:173], v250 offset0:66 offset1:67
	v_add_f64 v[32:33], v[32:33], -v[112:113]
	s_waitcnt lgkmcnt(0)
	v_mul_f64 v[112:113], v[172:173], v[114:115]
	v_fma_f64 v[112:113], v[170:171], v[168:169], -v[112:113]
	v_mul_f64 v[170:171], v[170:171], v[114:115]
	v_fmac_f64_e32 v[170:171], v[172:173], v[168:169]
	v_add_f64 v[30:31], v[30:31], -v[170:171]
	ds_read2_b64 v[170:173], v250 offset0:68 offset1:69
	v_add_f64 v[28:29], v[28:29], -v[112:113]
	s_waitcnt lgkmcnt(0)
	v_mul_f64 v[112:113], v[172:173], v[114:115]
	v_fma_f64 v[112:113], v[170:171], v[168:169], -v[112:113]
	v_mul_f64 v[170:171], v[170:171], v[114:115]
	v_fmac_f64_e32 v[170:171], v[172:173], v[168:169]
	v_add_f64 v[26:27], v[26:27], -v[170:171]
	ds_read2_b64 v[170:173], v250 offset0:70 offset1:71
	v_add_f64 v[24:25], v[24:25], -v[112:113]
	s_waitcnt lgkmcnt(0)
	v_mul_f64 v[112:113], v[172:173], v[114:115]
	v_fma_f64 v[112:113], v[170:171], v[168:169], -v[112:113]
	v_mul_f64 v[170:171], v[170:171], v[114:115]
	v_fmac_f64_e32 v[170:171], v[172:173], v[168:169]
	v_add_f64 v[22:23], v[22:23], -v[170:171]
	ds_read2_b64 v[170:173], v250 offset0:72 offset1:73
	v_add_f64 v[20:21], v[20:21], -v[112:113]
	s_waitcnt lgkmcnt(0)
	v_mul_f64 v[112:113], v[172:173], v[114:115]
	v_fma_f64 v[112:113], v[170:171], v[168:169], -v[112:113]
	v_mul_f64 v[170:171], v[170:171], v[114:115]
	v_fmac_f64_e32 v[170:171], v[172:173], v[168:169]
	v_add_f64 v[18:19], v[18:19], -v[170:171]
	ds_read2_b64 v[170:173], v250 offset0:74 offset1:75
	v_add_f64 v[16:17], v[16:17], -v[112:113]
	s_waitcnt lgkmcnt(0)
	v_mul_f64 v[112:113], v[172:173], v[114:115]
	v_fma_f64 v[112:113], v[170:171], v[168:169], -v[112:113]
	v_mul_f64 v[170:171], v[170:171], v[114:115]
	v_fmac_f64_e32 v[170:171], v[172:173], v[168:169]
	v_add_f64 v[14:15], v[14:15], -v[170:171]
	ds_read2_b64 v[170:173], v250 offset0:76 offset1:77
	v_add_f64 v[12:13], v[12:13], -v[112:113]
	s_waitcnt lgkmcnt(0)
	v_mul_f64 v[112:113], v[172:173], v[114:115]
	v_fma_f64 v[112:113], v[170:171], v[168:169], -v[112:113]
	v_mul_f64 v[170:171], v[170:171], v[114:115]
	v_fmac_f64_e32 v[170:171], v[172:173], v[168:169]
	v_add_f64 v[10:11], v[10:11], -v[170:171]
	ds_read2_b64 v[170:173], v250 offset0:78 offset1:79
	v_add_f64 v[8:9], v[8:9], -v[112:113]
	s_waitcnt lgkmcnt(0)
	v_mul_f64 v[112:113], v[172:173], v[114:115]
	v_fma_f64 v[112:113], v[170:171], v[168:169], -v[112:113]
	v_mul_f64 v[170:171], v[170:171], v[114:115]
	v_fmac_f64_e32 v[170:171], v[172:173], v[168:169]
	v_add_f64 v[6:7], v[6:7], -v[170:171]
	ds_read2_b64 v[170:173], v250 offset0:80 offset1:81
	v_add_f64 v[4:5], v[4:5], -v[112:113]
	s_waitcnt lgkmcnt(0)
	v_mul_f64 v[112:113], v[172:173], v[114:115]
	v_fma_f64 v[112:113], v[170:171], v[168:169], -v[112:113]
	v_mul_f64 v[170:171], v[170:171], v[114:115]
	v_fmac_f64_e32 v[170:171], v[172:173], v[168:169]
	v_add_f64 v[2:3], v[2:3], -v[170:171]
	ds_read2_b64 v[170:173], v250 offset0:82 offset1:83
	v_add_f64 v[0:1], v[0:1], -v[112:113]
	s_waitcnt lgkmcnt(0)
	v_mul_f64 v[112:113], v[172:173], v[114:115]
	v_fma_f64 v[112:113], v[170:171], v[168:169], -v[112:113]
	v_mul_f64 v[170:171], v[170:171], v[114:115]
	v_fmac_f64_e32 v[170:171], v[172:173], v[168:169]
	v_add_f64 v[164:165], v[164:165], -v[112:113]
	v_add_f64 v[166:167], v[166:167], -v[170:171]
	v_mov_b64_e32 v[112:113], v[168:169]
.LBB83_118:
	s_or_b64 exec, exec, s[2:3]
	v_cmp_eq_u32_e32 vcc, 13, v248
	s_waitcnt vmcnt(63) expcnt(7) lgkmcnt(15)
	s_barrier
	s_and_saveexec_b64 s[4:5], vcc
	s_cbranch_execz .LBB83_125
; %bb.119:
	ds_write2_b64 v249, v[108:109], v[110:111] offset1:1
	ds_write2_b64 v250, v[104:105], v[106:107] offset0:28 offset1:29
	ds_write2_b64 v250, v[100:101], v[102:103] offset0:30 offset1:31
	;; [unrolled: 1-line block ×12, first 2 shown]
	s_waitcnt vmcnt(37)
	ds_write2_b64 v250, v[56:57], v[58:59] offset0:52 offset1:53
	s_waitcnt vmcnt(25)
	ds_write2_b64 v250, v[52:53], v[54:55] offset0:54 offset1:55
	ds_write2_b64 v250, v[48:49], v[50:51] offset0:56 offset1:57
	;; [unrolled: 1-line block ×15, first 2 shown]
	ds_read2_b64 v[168:171], v249 offset1:1
	s_waitcnt lgkmcnt(0)
	v_cmp_neq_f64_e32 vcc, 0, v[168:169]
	v_cmp_neq_f64_e64 s[2:3], 0, v[170:171]
	s_or_b64 s[2:3], vcc, s[2:3]
	s_and_b64 exec, exec, s[2:3]
	s_cbranch_execz .LBB83_125
; %bb.120:
	v_cmp_ngt_f64_e64 s[2:3], |v[168:169]|, |v[170:171]|
                                        ; implicit-def: $vgpr172_vgpr173
	s_and_saveexec_b64 s[10:11], s[2:3]
	s_xor_b64 s[2:3], exec, s[10:11]
                                        ; implicit-def: $vgpr174_vgpr175
	s_cbranch_execz .LBB83_122
; %bb.121:
	v_div_scale_f64 v[172:173], s[10:11], v[170:171], v[170:171], v[168:169]
	v_rcp_f64_e32 v[174:175], v[172:173]
	v_div_scale_f64 v[176:177], vcc, v[168:169], v[170:171], v[168:169]
	v_fma_f64 v[178:179], -v[172:173], v[174:175], 1.0
	v_fmac_f64_e32 v[174:175], v[174:175], v[178:179]
	v_fma_f64 v[178:179], -v[172:173], v[174:175], 1.0
	v_fmac_f64_e32 v[174:175], v[174:175], v[178:179]
	v_mul_f64 v[178:179], v[176:177], v[174:175]
	v_fma_f64 v[172:173], -v[172:173], v[178:179], v[176:177]
	v_div_fmas_f64 v[172:173], v[172:173], v[174:175], v[178:179]
	v_div_fixup_f64 v[172:173], v[172:173], v[170:171], v[168:169]
	v_fmac_f64_e32 v[170:171], v[168:169], v[172:173]
	v_div_scale_f64 v[168:169], s[10:11], v[170:171], v[170:171], 1.0
	v_rcp_f64_e32 v[174:175], v[168:169]
	s_nop 0
	v_fma_f64 v[176:177], -v[168:169], v[174:175], 1.0
	v_fmac_f64_e32 v[174:175], v[174:175], v[176:177]
	v_fma_f64 v[176:177], -v[168:169], v[174:175], 1.0
	v_fmac_f64_e32 v[174:175], v[174:175], v[176:177]
	v_div_scale_f64 v[176:177], vcc, 1.0, v[170:171], 1.0
	v_mul_f64 v[178:179], v[176:177], v[174:175]
	v_fma_f64 v[168:169], -v[168:169], v[178:179], v[176:177]
	s_nop 1
	v_div_fmas_f64 v[168:169], v[168:169], v[174:175], v[178:179]
	v_div_fixup_f64 v[174:175], v[168:169], v[170:171], 1.0
	v_mul_f64 v[172:173], v[172:173], v[174:175]
	v_xor_b32_e32 v175, 0x80000000, v175
                                        ; implicit-def: $vgpr168_vgpr169
.LBB83_122:
	s_andn2_saveexec_b64 s[2:3], s[2:3]
	s_cbranch_execz .LBB83_124
; %bb.123:
	v_div_scale_f64 v[172:173], s[10:11], v[168:169], v[168:169], v[170:171]
	v_rcp_f64_e32 v[174:175], v[172:173]
	v_div_scale_f64 v[176:177], vcc, v[170:171], v[168:169], v[170:171]
	v_fma_f64 v[178:179], -v[172:173], v[174:175], 1.0
	v_fmac_f64_e32 v[174:175], v[174:175], v[178:179]
	v_fma_f64 v[178:179], -v[172:173], v[174:175], 1.0
	v_fmac_f64_e32 v[174:175], v[174:175], v[178:179]
	v_mul_f64 v[178:179], v[176:177], v[174:175]
	v_fma_f64 v[172:173], -v[172:173], v[178:179], v[176:177]
	v_div_fmas_f64 v[172:173], v[172:173], v[174:175], v[178:179]
	v_div_fixup_f64 v[174:175], v[172:173], v[168:169], v[170:171]
	v_fmac_f64_e32 v[168:169], v[170:171], v[174:175]
	v_div_scale_f64 v[170:171], s[10:11], v[168:169], v[168:169], 1.0
	v_rcp_f64_e32 v[172:173], v[170:171]
	s_nop 0
	v_fma_f64 v[176:177], -v[170:171], v[172:173], 1.0
	v_fmac_f64_e32 v[172:173], v[172:173], v[176:177]
	v_fma_f64 v[176:177], -v[170:171], v[172:173], 1.0
	v_fmac_f64_e32 v[172:173], v[172:173], v[176:177]
	v_div_scale_f64 v[176:177], vcc, 1.0, v[168:169], 1.0
	v_mul_f64 v[178:179], v[176:177], v[172:173]
	v_fma_f64 v[170:171], -v[170:171], v[178:179], v[176:177]
	s_nop 1
	v_div_fmas_f64 v[170:171], v[170:171], v[172:173], v[178:179]
	v_div_fixup_f64 v[172:173], v[170:171], v[168:169], 1.0
	v_mul_f64 v[174:175], v[174:175], -v[172:173]
.LBB83_124:
	s_or_b64 exec, exec, s[2:3]
	ds_write2_b64 v249, v[172:173], v[174:175] offset1:1
.LBB83_125:
	s_or_b64 exec, exec, s[4:5]
	s_waitcnt lgkmcnt(0)
	s_barrier
	ds_read2_b64 v[168:171], v249 offset1:1
	v_cmp_lt_u32_e32 vcc, 13, v248
	s_waitcnt lgkmcnt(0)
	scratch_store_dwordx4 off, v[168:171], off offset:528 ; 16-byte Folded Spill
	s_and_saveexec_b64 s[2:3], vcc
	s_cbranch_execz .LBB83_127
; %bb.126:
	scratch_load_dwordx4 v[170:173], off, off offset:528 ; 16-byte Folded Reload
	s_waitcnt vmcnt(0)
	v_mul_f64 v[168:169], v[172:173], v[110:111]
	v_mul_f64 v[110:111], v[170:171], v[110:111]
	v_fma_f64 v[168:169], v[170:171], v[108:109], -v[168:169]
	v_fmac_f64_e32 v[110:111], v[172:173], v[108:109]
	ds_read2_b64 v[170:173], v250 offset0:28 offset1:29
	s_waitcnt lgkmcnt(0)
	v_mul_f64 v[108:109], v[172:173], v[110:111]
	v_fma_f64 v[108:109], v[170:171], v[168:169], -v[108:109]
	v_mul_f64 v[170:171], v[170:171], v[110:111]
	v_fmac_f64_e32 v[170:171], v[172:173], v[168:169]
	v_add_f64 v[106:107], v[106:107], -v[170:171]
	ds_read2_b64 v[170:173], v250 offset0:30 offset1:31
	v_add_f64 v[104:105], v[104:105], -v[108:109]
	s_waitcnt lgkmcnt(0)
	v_mul_f64 v[108:109], v[172:173], v[110:111]
	v_fma_f64 v[108:109], v[170:171], v[168:169], -v[108:109]
	v_mul_f64 v[170:171], v[170:171], v[110:111]
	v_fmac_f64_e32 v[170:171], v[172:173], v[168:169]
	v_add_f64 v[102:103], v[102:103], -v[170:171]
	ds_read2_b64 v[170:173], v250 offset0:32 offset1:33
	v_add_f64 v[100:101], v[100:101], -v[108:109]
	;; [unrolled: 8-line block ×27, first 2 shown]
	s_waitcnt lgkmcnt(0)
	v_mul_f64 v[108:109], v[172:173], v[110:111]
	v_fma_f64 v[108:109], v[170:171], v[168:169], -v[108:109]
	v_mul_f64 v[170:171], v[170:171], v[110:111]
	v_fmac_f64_e32 v[170:171], v[172:173], v[168:169]
	v_add_f64 v[164:165], v[164:165], -v[108:109]
	v_add_f64 v[166:167], v[166:167], -v[170:171]
	v_mov_b64_e32 v[108:109], v[168:169]
.LBB83_127:
	s_or_b64 exec, exec, s[2:3]
	v_cmp_eq_u32_e32 vcc, 14, v248
	s_waitcnt vmcnt(63) expcnt(7) lgkmcnt(15)
	s_barrier
	s_and_saveexec_b64 s[4:5], vcc
	s_cbranch_execz .LBB83_134
; %bb.128:
	ds_write2_b64 v249, v[104:105], v[106:107] offset1:1
	ds_write2_b64 v250, v[100:101], v[102:103] offset0:30 offset1:31
	ds_write2_b64 v250, v[96:97], v[98:99] offset0:32 offset1:33
	ds_write2_b64 v250, v[92:93], v[94:95] offset0:34 offset1:35
	ds_write2_b64 v250, v[88:89], v[90:91] offset0:36 offset1:37
	ds_write2_b64 v250, v[84:85], v[86:87] offset0:38 offset1:39
	ds_write2_b64 v250, v[80:81], v[82:83] offset0:40 offset1:41
	ds_write2_b64 v250, v[76:77], v[78:79] offset0:42 offset1:43
	ds_write2_b64 v250, v[72:73], v[74:75] offset0:44 offset1:45
	ds_write2_b64 v250, v[68:69], v[70:71] offset0:46 offset1:47
	ds_write2_b64 v250, v[64:65], v[66:67] offset0:48 offset1:49
	ds_write2_b64 v250, v[60:61], v[62:63] offset0:50 offset1:51
	s_waitcnt vmcnt(38)
	ds_write2_b64 v250, v[56:57], v[58:59] offset0:52 offset1:53
	s_waitcnt vmcnt(26)
	ds_write2_b64 v250, v[52:53], v[54:55] offset0:54 offset1:55
	ds_write2_b64 v250, v[48:49], v[50:51] offset0:56 offset1:57
	;; [unrolled: 1-line block ×15, first 2 shown]
	ds_read2_b64 v[168:171], v249 offset1:1
	s_waitcnt lgkmcnt(0)
	v_cmp_neq_f64_e32 vcc, 0, v[168:169]
	v_cmp_neq_f64_e64 s[2:3], 0, v[170:171]
	s_or_b64 s[2:3], vcc, s[2:3]
	s_and_b64 exec, exec, s[2:3]
	s_cbranch_execz .LBB83_134
; %bb.129:
	v_cmp_ngt_f64_e64 s[2:3], |v[168:169]|, |v[170:171]|
                                        ; implicit-def: $vgpr172_vgpr173
	s_and_saveexec_b64 s[10:11], s[2:3]
	s_xor_b64 s[2:3], exec, s[10:11]
                                        ; implicit-def: $vgpr174_vgpr175
	s_cbranch_execz .LBB83_131
; %bb.130:
	v_div_scale_f64 v[172:173], s[10:11], v[170:171], v[170:171], v[168:169]
	v_rcp_f64_e32 v[174:175], v[172:173]
	v_div_scale_f64 v[176:177], vcc, v[168:169], v[170:171], v[168:169]
	v_fma_f64 v[178:179], -v[172:173], v[174:175], 1.0
	v_fmac_f64_e32 v[174:175], v[174:175], v[178:179]
	v_fma_f64 v[178:179], -v[172:173], v[174:175], 1.0
	v_fmac_f64_e32 v[174:175], v[174:175], v[178:179]
	v_mul_f64 v[178:179], v[176:177], v[174:175]
	v_fma_f64 v[172:173], -v[172:173], v[178:179], v[176:177]
	v_div_fmas_f64 v[172:173], v[172:173], v[174:175], v[178:179]
	v_div_fixup_f64 v[172:173], v[172:173], v[170:171], v[168:169]
	v_fmac_f64_e32 v[170:171], v[168:169], v[172:173]
	v_div_scale_f64 v[168:169], s[10:11], v[170:171], v[170:171], 1.0
	v_rcp_f64_e32 v[174:175], v[168:169]
	s_nop 0
	v_fma_f64 v[176:177], -v[168:169], v[174:175], 1.0
	v_fmac_f64_e32 v[174:175], v[174:175], v[176:177]
	v_fma_f64 v[176:177], -v[168:169], v[174:175], 1.0
	v_fmac_f64_e32 v[174:175], v[174:175], v[176:177]
	v_div_scale_f64 v[176:177], vcc, 1.0, v[170:171], 1.0
	v_mul_f64 v[178:179], v[176:177], v[174:175]
	v_fma_f64 v[168:169], -v[168:169], v[178:179], v[176:177]
	s_nop 1
	v_div_fmas_f64 v[168:169], v[168:169], v[174:175], v[178:179]
	v_div_fixup_f64 v[174:175], v[168:169], v[170:171], 1.0
	v_mul_f64 v[172:173], v[172:173], v[174:175]
	v_xor_b32_e32 v175, 0x80000000, v175
                                        ; implicit-def: $vgpr168_vgpr169
.LBB83_131:
	s_andn2_saveexec_b64 s[2:3], s[2:3]
	s_cbranch_execz .LBB83_133
; %bb.132:
	v_div_scale_f64 v[172:173], s[10:11], v[168:169], v[168:169], v[170:171]
	v_rcp_f64_e32 v[174:175], v[172:173]
	v_div_scale_f64 v[176:177], vcc, v[170:171], v[168:169], v[170:171]
	v_fma_f64 v[178:179], -v[172:173], v[174:175], 1.0
	v_fmac_f64_e32 v[174:175], v[174:175], v[178:179]
	v_fma_f64 v[178:179], -v[172:173], v[174:175], 1.0
	v_fmac_f64_e32 v[174:175], v[174:175], v[178:179]
	v_mul_f64 v[178:179], v[176:177], v[174:175]
	v_fma_f64 v[172:173], -v[172:173], v[178:179], v[176:177]
	v_div_fmas_f64 v[172:173], v[172:173], v[174:175], v[178:179]
	v_div_fixup_f64 v[174:175], v[172:173], v[168:169], v[170:171]
	v_fmac_f64_e32 v[168:169], v[170:171], v[174:175]
	v_div_scale_f64 v[170:171], s[10:11], v[168:169], v[168:169], 1.0
	v_rcp_f64_e32 v[172:173], v[170:171]
	s_nop 0
	v_fma_f64 v[176:177], -v[170:171], v[172:173], 1.0
	v_fmac_f64_e32 v[172:173], v[172:173], v[176:177]
	v_fma_f64 v[176:177], -v[170:171], v[172:173], 1.0
	v_fmac_f64_e32 v[172:173], v[172:173], v[176:177]
	v_div_scale_f64 v[176:177], vcc, 1.0, v[168:169], 1.0
	v_mul_f64 v[178:179], v[176:177], v[172:173]
	v_fma_f64 v[170:171], -v[170:171], v[178:179], v[176:177]
	s_nop 1
	v_div_fmas_f64 v[170:171], v[170:171], v[172:173], v[178:179]
	v_div_fixup_f64 v[172:173], v[170:171], v[168:169], 1.0
	v_mul_f64 v[174:175], v[174:175], -v[172:173]
.LBB83_133:
	s_or_b64 exec, exec, s[2:3]
	ds_write2_b64 v249, v[172:173], v[174:175] offset1:1
.LBB83_134:
	s_or_b64 exec, exec, s[4:5]
	s_waitcnt lgkmcnt(0)
	s_barrier
	ds_read2_b64 v[168:171], v249 offset1:1
	v_cmp_lt_u32_e32 vcc, 14, v248
	s_waitcnt lgkmcnt(0)
	scratch_store_dwordx4 off, v[168:171], off offset:544 ; 16-byte Folded Spill
	s_and_saveexec_b64 s[2:3], vcc
	s_cbranch_execz .LBB83_136
; %bb.135:
	scratch_load_dwordx4 v[170:173], off, off offset:544 ; 16-byte Folded Reload
	s_waitcnt vmcnt(0)
	v_mul_f64 v[168:169], v[172:173], v[106:107]
	v_mul_f64 v[106:107], v[170:171], v[106:107]
	v_fma_f64 v[168:169], v[170:171], v[104:105], -v[168:169]
	v_fmac_f64_e32 v[106:107], v[172:173], v[104:105]
	ds_read2_b64 v[170:173], v250 offset0:30 offset1:31
	s_waitcnt lgkmcnt(0)
	v_mul_f64 v[104:105], v[172:173], v[106:107]
	v_fma_f64 v[104:105], v[170:171], v[168:169], -v[104:105]
	v_mul_f64 v[170:171], v[170:171], v[106:107]
	v_fmac_f64_e32 v[170:171], v[172:173], v[168:169]
	v_add_f64 v[102:103], v[102:103], -v[170:171]
	ds_read2_b64 v[170:173], v250 offset0:32 offset1:33
	v_add_f64 v[100:101], v[100:101], -v[104:105]
	s_waitcnt lgkmcnt(0)
	v_mul_f64 v[104:105], v[172:173], v[106:107]
	v_fma_f64 v[104:105], v[170:171], v[168:169], -v[104:105]
	v_mul_f64 v[170:171], v[170:171], v[106:107]
	v_fmac_f64_e32 v[170:171], v[172:173], v[168:169]
	v_add_f64 v[98:99], v[98:99], -v[170:171]
	ds_read2_b64 v[170:173], v250 offset0:34 offset1:35
	v_add_f64 v[96:97], v[96:97], -v[104:105]
	;; [unrolled: 8-line block ×26, first 2 shown]
	s_waitcnt lgkmcnt(0)
	v_mul_f64 v[104:105], v[172:173], v[106:107]
	v_fma_f64 v[104:105], v[170:171], v[168:169], -v[104:105]
	v_mul_f64 v[170:171], v[170:171], v[106:107]
	v_fmac_f64_e32 v[170:171], v[172:173], v[168:169]
	v_add_f64 v[164:165], v[164:165], -v[104:105]
	v_add_f64 v[166:167], v[166:167], -v[170:171]
	v_mov_b64_e32 v[104:105], v[168:169]
.LBB83_136:
	s_or_b64 exec, exec, s[2:3]
	v_cmp_eq_u32_e32 vcc, 15, v248
	s_waitcnt vmcnt(63) expcnt(7) lgkmcnt(15)
	s_barrier
	s_and_saveexec_b64 s[4:5], vcc
	s_cbranch_execz .LBB83_143
; %bb.137:
	ds_write2_b64 v249, v[100:101], v[102:103] offset1:1
	ds_write2_b64 v250, v[96:97], v[98:99] offset0:32 offset1:33
	ds_write2_b64 v250, v[92:93], v[94:95] offset0:34 offset1:35
	;; [unrolled: 1-line block ×10, first 2 shown]
	s_waitcnt vmcnt(39)
	ds_write2_b64 v250, v[56:57], v[58:59] offset0:52 offset1:53
	s_waitcnt vmcnt(27)
	ds_write2_b64 v250, v[52:53], v[54:55] offset0:54 offset1:55
	ds_write2_b64 v250, v[48:49], v[50:51] offset0:56 offset1:57
	;; [unrolled: 1-line block ×15, first 2 shown]
	ds_read2_b64 v[168:171], v249 offset1:1
	s_waitcnt lgkmcnt(0)
	v_cmp_neq_f64_e32 vcc, 0, v[168:169]
	v_cmp_neq_f64_e64 s[2:3], 0, v[170:171]
	s_or_b64 s[2:3], vcc, s[2:3]
	s_and_b64 exec, exec, s[2:3]
	s_cbranch_execz .LBB83_143
; %bb.138:
	v_cmp_ngt_f64_e64 s[2:3], |v[168:169]|, |v[170:171]|
                                        ; implicit-def: $vgpr172_vgpr173
	s_and_saveexec_b64 s[10:11], s[2:3]
	s_xor_b64 s[2:3], exec, s[10:11]
                                        ; implicit-def: $vgpr174_vgpr175
	s_cbranch_execz .LBB83_140
; %bb.139:
	v_div_scale_f64 v[172:173], s[10:11], v[170:171], v[170:171], v[168:169]
	v_rcp_f64_e32 v[174:175], v[172:173]
	v_div_scale_f64 v[176:177], vcc, v[168:169], v[170:171], v[168:169]
	v_fma_f64 v[178:179], -v[172:173], v[174:175], 1.0
	v_fmac_f64_e32 v[174:175], v[174:175], v[178:179]
	v_fma_f64 v[178:179], -v[172:173], v[174:175], 1.0
	v_fmac_f64_e32 v[174:175], v[174:175], v[178:179]
	v_mul_f64 v[178:179], v[176:177], v[174:175]
	v_fma_f64 v[172:173], -v[172:173], v[178:179], v[176:177]
	v_div_fmas_f64 v[172:173], v[172:173], v[174:175], v[178:179]
	v_div_fixup_f64 v[172:173], v[172:173], v[170:171], v[168:169]
	v_fmac_f64_e32 v[170:171], v[168:169], v[172:173]
	v_div_scale_f64 v[168:169], s[10:11], v[170:171], v[170:171], 1.0
	v_rcp_f64_e32 v[174:175], v[168:169]
	s_nop 0
	v_fma_f64 v[176:177], -v[168:169], v[174:175], 1.0
	v_fmac_f64_e32 v[174:175], v[174:175], v[176:177]
	v_fma_f64 v[176:177], -v[168:169], v[174:175], 1.0
	v_fmac_f64_e32 v[174:175], v[174:175], v[176:177]
	v_div_scale_f64 v[176:177], vcc, 1.0, v[170:171], 1.0
	v_mul_f64 v[178:179], v[176:177], v[174:175]
	v_fma_f64 v[168:169], -v[168:169], v[178:179], v[176:177]
	s_nop 1
	v_div_fmas_f64 v[168:169], v[168:169], v[174:175], v[178:179]
	v_div_fixup_f64 v[174:175], v[168:169], v[170:171], 1.0
	v_mul_f64 v[172:173], v[172:173], v[174:175]
	v_xor_b32_e32 v175, 0x80000000, v175
                                        ; implicit-def: $vgpr168_vgpr169
.LBB83_140:
	s_andn2_saveexec_b64 s[2:3], s[2:3]
	s_cbranch_execz .LBB83_142
; %bb.141:
	v_div_scale_f64 v[172:173], s[10:11], v[168:169], v[168:169], v[170:171]
	v_rcp_f64_e32 v[174:175], v[172:173]
	v_div_scale_f64 v[176:177], vcc, v[170:171], v[168:169], v[170:171]
	v_fma_f64 v[178:179], -v[172:173], v[174:175], 1.0
	v_fmac_f64_e32 v[174:175], v[174:175], v[178:179]
	v_fma_f64 v[178:179], -v[172:173], v[174:175], 1.0
	v_fmac_f64_e32 v[174:175], v[174:175], v[178:179]
	v_mul_f64 v[178:179], v[176:177], v[174:175]
	v_fma_f64 v[172:173], -v[172:173], v[178:179], v[176:177]
	v_div_fmas_f64 v[172:173], v[172:173], v[174:175], v[178:179]
	v_div_fixup_f64 v[174:175], v[172:173], v[168:169], v[170:171]
	v_fmac_f64_e32 v[168:169], v[170:171], v[174:175]
	v_div_scale_f64 v[170:171], s[10:11], v[168:169], v[168:169], 1.0
	v_rcp_f64_e32 v[172:173], v[170:171]
	s_nop 0
	v_fma_f64 v[176:177], -v[170:171], v[172:173], 1.0
	v_fmac_f64_e32 v[172:173], v[172:173], v[176:177]
	v_fma_f64 v[176:177], -v[170:171], v[172:173], 1.0
	v_fmac_f64_e32 v[172:173], v[172:173], v[176:177]
	v_div_scale_f64 v[176:177], vcc, 1.0, v[168:169], 1.0
	v_mul_f64 v[178:179], v[176:177], v[172:173]
	v_fma_f64 v[170:171], -v[170:171], v[178:179], v[176:177]
	s_nop 1
	v_div_fmas_f64 v[170:171], v[170:171], v[172:173], v[178:179]
	v_div_fixup_f64 v[172:173], v[170:171], v[168:169], 1.0
	v_mul_f64 v[174:175], v[174:175], -v[172:173]
.LBB83_142:
	s_or_b64 exec, exec, s[2:3]
	ds_write2_b64 v249, v[172:173], v[174:175] offset1:1
.LBB83_143:
	s_or_b64 exec, exec, s[4:5]
	s_waitcnt lgkmcnt(0)
	s_barrier
	ds_read2_b64 v[168:171], v249 offset1:1
	v_cmp_lt_u32_e32 vcc, 15, v248
	s_waitcnt lgkmcnt(0)
	scratch_store_dwordx4 off, v[168:171], off offset:560 ; 16-byte Folded Spill
	s_and_saveexec_b64 s[2:3], vcc
	s_cbranch_execz .LBB83_145
; %bb.144:
	scratch_load_dwordx4 v[170:173], off, off offset:560 ; 16-byte Folded Reload
	s_waitcnt vmcnt(0)
	v_mul_f64 v[168:169], v[172:173], v[102:103]
	v_mul_f64 v[102:103], v[170:171], v[102:103]
	v_fma_f64 v[168:169], v[170:171], v[100:101], -v[168:169]
	v_fmac_f64_e32 v[102:103], v[172:173], v[100:101]
	ds_read2_b64 v[170:173], v250 offset0:32 offset1:33
	s_waitcnt lgkmcnt(0)
	v_mul_f64 v[100:101], v[172:173], v[102:103]
	v_fma_f64 v[100:101], v[170:171], v[168:169], -v[100:101]
	v_mul_f64 v[170:171], v[170:171], v[102:103]
	v_fmac_f64_e32 v[170:171], v[172:173], v[168:169]
	v_add_f64 v[98:99], v[98:99], -v[170:171]
	ds_read2_b64 v[170:173], v250 offset0:34 offset1:35
	v_add_f64 v[96:97], v[96:97], -v[100:101]
	s_waitcnt lgkmcnt(0)
	v_mul_f64 v[100:101], v[172:173], v[102:103]
	v_fma_f64 v[100:101], v[170:171], v[168:169], -v[100:101]
	v_mul_f64 v[170:171], v[170:171], v[102:103]
	v_fmac_f64_e32 v[170:171], v[172:173], v[168:169]
	v_add_f64 v[94:95], v[94:95], -v[170:171]
	ds_read2_b64 v[170:173], v250 offset0:36 offset1:37
	v_add_f64 v[92:93], v[92:93], -v[100:101]
	;; [unrolled: 8-line block ×25, first 2 shown]
	s_waitcnt lgkmcnt(0)
	v_mul_f64 v[100:101], v[172:173], v[102:103]
	v_fma_f64 v[100:101], v[170:171], v[168:169], -v[100:101]
	v_mul_f64 v[170:171], v[170:171], v[102:103]
	v_fmac_f64_e32 v[170:171], v[172:173], v[168:169]
	v_add_f64 v[164:165], v[164:165], -v[100:101]
	v_add_f64 v[166:167], v[166:167], -v[170:171]
	v_mov_b64_e32 v[100:101], v[168:169]
.LBB83_145:
	s_or_b64 exec, exec, s[2:3]
	v_cmp_eq_u32_e32 vcc, 16, v248
	s_waitcnt vmcnt(63) expcnt(7) lgkmcnt(15)
	s_barrier
	s_and_saveexec_b64 s[4:5], vcc
	s_cbranch_execz .LBB83_152
; %bb.146:
	ds_write2_b64 v249, v[96:97], v[98:99] offset1:1
	ds_write2_b64 v250, v[92:93], v[94:95] offset0:34 offset1:35
	ds_write2_b64 v250, v[88:89], v[90:91] offset0:36 offset1:37
	;; [unrolled: 1-line block ×9, first 2 shown]
	s_waitcnt vmcnt(40)
	ds_write2_b64 v250, v[56:57], v[58:59] offset0:52 offset1:53
	s_waitcnt vmcnt(28)
	ds_write2_b64 v250, v[52:53], v[54:55] offset0:54 offset1:55
	ds_write2_b64 v250, v[48:49], v[50:51] offset0:56 offset1:57
	;; [unrolled: 1-line block ×15, first 2 shown]
	ds_read2_b64 v[168:171], v249 offset1:1
	s_waitcnt lgkmcnt(0)
	v_cmp_neq_f64_e32 vcc, 0, v[168:169]
	v_cmp_neq_f64_e64 s[2:3], 0, v[170:171]
	s_or_b64 s[2:3], vcc, s[2:3]
	s_and_b64 exec, exec, s[2:3]
	s_cbranch_execz .LBB83_152
; %bb.147:
	v_cmp_ngt_f64_e64 s[2:3], |v[168:169]|, |v[170:171]|
                                        ; implicit-def: $vgpr172_vgpr173
	s_and_saveexec_b64 s[10:11], s[2:3]
	s_xor_b64 s[2:3], exec, s[10:11]
                                        ; implicit-def: $vgpr174_vgpr175
	s_cbranch_execz .LBB83_149
; %bb.148:
	v_div_scale_f64 v[172:173], s[10:11], v[170:171], v[170:171], v[168:169]
	v_rcp_f64_e32 v[174:175], v[172:173]
	v_div_scale_f64 v[176:177], vcc, v[168:169], v[170:171], v[168:169]
	v_fma_f64 v[178:179], -v[172:173], v[174:175], 1.0
	v_fmac_f64_e32 v[174:175], v[174:175], v[178:179]
	v_fma_f64 v[178:179], -v[172:173], v[174:175], 1.0
	v_fmac_f64_e32 v[174:175], v[174:175], v[178:179]
	v_mul_f64 v[178:179], v[176:177], v[174:175]
	v_fma_f64 v[172:173], -v[172:173], v[178:179], v[176:177]
	v_div_fmas_f64 v[172:173], v[172:173], v[174:175], v[178:179]
	v_div_fixup_f64 v[172:173], v[172:173], v[170:171], v[168:169]
	v_fmac_f64_e32 v[170:171], v[168:169], v[172:173]
	v_div_scale_f64 v[168:169], s[10:11], v[170:171], v[170:171], 1.0
	v_rcp_f64_e32 v[174:175], v[168:169]
	s_nop 0
	v_fma_f64 v[176:177], -v[168:169], v[174:175], 1.0
	v_fmac_f64_e32 v[174:175], v[174:175], v[176:177]
	v_fma_f64 v[176:177], -v[168:169], v[174:175], 1.0
	v_fmac_f64_e32 v[174:175], v[174:175], v[176:177]
	v_div_scale_f64 v[176:177], vcc, 1.0, v[170:171], 1.0
	v_mul_f64 v[178:179], v[176:177], v[174:175]
	v_fma_f64 v[168:169], -v[168:169], v[178:179], v[176:177]
	s_nop 1
	v_div_fmas_f64 v[168:169], v[168:169], v[174:175], v[178:179]
	v_div_fixup_f64 v[174:175], v[168:169], v[170:171], 1.0
	v_mul_f64 v[172:173], v[172:173], v[174:175]
	v_xor_b32_e32 v175, 0x80000000, v175
                                        ; implicit-def: $vgpr168_vgpr169
.LBB83_149:
	s_andn2_saveexec_b64 s[2:3], s[2:3]
	s_cbranch_execz .LBB83_151
; %bb.150:
	v_div_scale_f64 v[172:173], s[10:11], v[168:169], v[168:169], v[170:171]
	v_rcp_f64_e32 v[174:175], v[172:173]
	v_div_scale_f64 v[176:177], vcc, v[170:171], v[168:169], v[170:171]
	v_fma_f64 v[178:179], -v[172:173], v[174:175], 1.0
	v_fmac_f64_e32 v[174:175], v[174:175], v[178:179]
	v_fma_f64 v[178:179], -v[172:173], v[174:175], 1.0
	v_fmac_f64_e32 v[174:175], v[174:175], v[178:179]
	v_mul_f64 v[178:179], v[176:177], v[174:175]
	v_fma_f64 v[172:173], -v[172:173], v[178:179], v[176:177]
	v_div_fmas_f64 v[172:173], v[172:173], v[174:175], v[178:179]
	v_div_fixup_f64 v[174:175], v[172:173], v[168:169], v[170:171]
	v_fmac_f64_e32 v[168:169], v[170:171], v[174:175]
	v_div_scale_f64 v[170:171], s[10:11], v[168:169], v[168:169], 1.0
	v_rcp_f64_e32 v[172:173], v[170:171]
	s_nop 0
	v_fma_f64 v[176:177], -v[170:171], v[172:173], 1.0
	v_fmac_f64_e32 v[172:173], v[172:173], v[176:177]
	v_fma_f64 v[176:177], -v[170:171], v[172:173], 1.0
	v_fmac_f64_e32 v[172:173], v[172:173], v[176:177]
	v_div_scale_f64 v[176:177], vcc, 1.0, v[168:169], 1.0
	v_mul_f64 v[178:179], v[176:177], v[172:173]
	v_fma_f64 v[170:171], -v[170:171], v[178:179], v[176:177]
	s_nop 1
	v_div_fmas_f64 v[170:171], v[170:171], v[172:173], v[178:179]
	v_div_fixup_f64 v[172:173], v[170:171], v[168:169], 1.0
	v_mul_f64 v[174:175], v[174:175], -v[172:173]
.LBB83_151:
	s_or_b64 exec, exec, s[2:3]
	ds_write2_b64 v249, v[172:173], v[174:175] offset1:1
.LBB83_152:
	s_or_b64 exec, exec, s[4:5]
	s_waitcnt lgkmcnt(0)
	s_barrier
	ds_read2_b64 v[168:171], v249 offset1:1
	v_cmp_lt_u32_e32 vcc, 16, v248
	s_waitcnt lgkmcnt(0)
	scratch_store_dwordx4 off, v[168:171], off offset:576 ; 16-byte Folded Spill
	s_and_saveexec_b64 s[2:3], vcc
	s_cbranch_execz .LBB83_154
; %bb.153:
	scratch_load_dwordx4 v[170:173], off, off offset:576 ; 16-byte Folded Reload
	s_waitcnt vmcnt(0)
	v_mul_f64 v[168:169], v[172:173], v[98:99]
	v_mul_f64 v[98:99], v[170:171], v[98:99]
	v_fma_f64 v[168:169], v[170:171], v[96:97], -v[168:169]
	v_fmac_f64_e32 v[98:99], v[172:173], v[96:97]
	ds_read2_b64 v[170:173], v250 offset0:34 offset1:35
	s_waitcnt lgkmcnt(0)
	v_mul_f64 v[96:97], v[172:173], v[98:99]
	v_fma_f64 v[96:97], v[170:171], v[168:169], -v[96:97]
	v_mul_f64 v[170:171], v[170:171], v[98:99]
	v_fmac_f64_e32 v[170:171], v[172:173], v[168:169]
	v_add_f64 v[94:95], v[94:95], -v[170:171]
	ds_read2_b64 v[170:173], v250 offset0:36 offset1:37
	v_add_f64 v[92:93], v[92:93], -v[96:97]
	s_waitcnt lgkmcnt(0)
	v_mul_f64 v[96:97], v[172:173], v[98:99]
	v_fma_f64 v[96:97], v[170:171], v[168:169], -v[96:97]
	v_mul_f64 v[170:171], v[170:171], v[98:99]
	v_fmac_f64_e32 v[170:171], v[172:173], v[168:169]
	v_add_f64 v[90:91], v[90:91], -v[170:171]
	ds_read2_b64 v[170:173], v250 offset0:38 offset1:39
	v_add_f64 v[88:89], v[88:89], -v[96:97]
	;; [unrolled: 8-line block ×24, first 2 shown]
	s_waitcnt lgkmcnt(0)
	v_mul_f64 v[96:97], v[172:173], v[98:99]
	v_fma_f64 v[96:97], v[170:171], v[168:169], -v[96:97]
	v_mul_f64 v[170:171], v[170:171], v[98:99]
	v_fmac_f64_e32 v[170:171], v[172:173], v[168:169]
	v_add_f64 v[164:165], v[164:165], -v[96:97]
	v_add_f64 v[166:167], v[166:167], -v[170:171]
	v_mov_b64_e32 v[96:97], v[168:169]
.LBB83_154:
	s_or_b64 exec, exec, s[2:3]
	v_cmp_eq_u32_e32 vcc, 17, v248
	s_waitcnt vmcnt(63) expcnt(7) lgkmcnt(15)
	s_barrier
	s_and_saveexec_b64 s[4:5], vcc
	s_cbranch_execz .LBB83_161
; %bb.155:
	ds_write2_b64 v249, v[92:93], v[94:95] offset1:1
	ds_write2_b64 v250, v[88:89], v[90:91] offset0:36 offset1:37
	ds_write2_b64 v250, v[84:85], v[86:87] offset0:38 offset1:39
	ds_write2_b64 v250, v[80:81], v[82:83] offset0:40 offset1:41
	ds_write2_b64 v250, v[76:77], v[78:79] offset0:42 offset1:43
	ds_write2_b64 v250, v[72:73], v[74:75] offset0:44 offset1:45
	ds_write2_b64 v250, v[68:69], v[70:71] offset0:46 offset1:47
	ds_write2_b64 v250, v[64:65], v[66:67] offset0:48 offset1:49
	ds_write2_b64 v250, v[60:61], v[62:63] offset0:50 offset1:51
	s_waitcnt vmcnt(41)
	ds_write2_b64 v250, v[56:57], v[58:59] offset0:52 offset1:53
	s_waitcnt vmcnt(29)
	ds_write2_b64 v250, v[52:53], v[54:55] offset0:54 offset1:55
	ds_write2_b64 v250, v[48:49], v[50:51] offset0:56 offset1:57
	;; [unrolled: 1-line block ×15, first 2 shown]
	ds_read2_b64 v[168:171], v249 offset1:1
	s_waitcnt lgkmcnt(0)
	v_cmp_neq_f64_e32 vcc, 0, v[168:169]
	v_cmp_neq_f64_e64 s[2:3], 0, v[170:171]
	s_or_b64 s[2:3], vcc, s[2:3]
	s_and_b64 exec, exec, s[2:3]
	s_cbranch_execz .LBB83_161
; %bb.156:
	v_cmp_ngt_f64_e64 s[2:3], |v[168:169]|, |v[170:171]|
                                        ; implicit-def: $vgpr172_vgpr173
	s_and_saveexec_b64 s[10:11], s[2:3]
	s_xor_b64 s[2:3], exec, s[10:11]
                                        ; implicit-def: $vgpr174_vgpr175
	s_cbranch_execz .LBB83_158
; %bb.157:
	v_div_scale_f64 v[172:173], s[10:11], v[170:171], v[170:171], v[168:169]
	v_rcp_f64_e32 v[174:175], v[172:173]
	v_div_scale_f64 v[176:177], vcc, v[168:169], v[170:171], v[168:169]
	v_fma_f64 v[178:179], -v[172:173], v[174:175], 1.0
	v_fmac_f64_e32 v[174:175], v[174:175], v[178:179]
	v_fma_f64 v[178:179], -v[172:173], v[174:175], 1.0
	v_fmac_f64_e32 v[174:175], v[174:175], v[178:179]
	v_mul_f64 v[178:179], v[176:177], v[174:175]
	v_fma_f64 v[172:173], -v[172:173], v[178:179], v[176:177]
	v_div_fmas_f64 v[172:173], v[172:173], v[174:175], v[178:179]
	v_div_fixup_f64 v[172:173], v[172:173], v[170:171], v[168:169]
	v_fmac_f64_e32 v[170:171], v[168:169], v[172:173]
	v_div_scale_f64 v[168:169], s[10:11], v[170:171], v[170:171], 1.0
	v_rcp_f64_e32 v[174:175], v[168:169]
	s_nop 0
	v_fma_f64 v[176:177], -v[168:169], v[174:175], 1.0
	v_fmac_f64_e32 v[174:175], v[174:175], v[176:177]
	v_fma_f64 v[176:177], -v[168:169], v[174:175], 1.0
	v_fmac_f64_e32 v[174:175], v[174:175], v[176:177]
	v_div_scale_f64 v[176:177], vcc, 1.0, v[170:171], 1.0
	v_mul_f64 v[178:179], v[176:177], v[174:175]
	v_fma_f64 v[168:169], -v[168:169], v[178:179], v[176:177]
	s_nop 1
	v_div_fmas_f64 v[168:169], v[168:169], v[174:175], v[178:179]
	v_div_fixup_f64 v[174:175], v[168:169], v[170:171], 1.0
	v_mul_f64 v[172:173], v[172:173], v[174:175]
	v_xor_b32_e32 v175, 0x80000000, v175
                                        ; implicit-def: $vgpr168_vgpr169
.LBB83_158:
	s_andn2_saveexec_b64 s[2:3], s[2:3]
	s_cbranch_execz .LBB83_160
; %bb.159:
	v_div_scale_f64 v[172:173], s[10:11], v[168:169], v[168:169], v[170:171]
	v_rcp_f64_e32 v[174:175], v[172:173]
	v_div_scale_f64 v[176:177], vcc, v[170:171], v[168:169], v[170:171]
	v_fma_f64 v[178:179], -v[172:173], v[174:175], 1.0
	v_fmac_f64_e32 v[174:175], v[174:175], v[178:179]
	v_fma_f64 v[178:179], -v[172:173], v[174:175], 1.0
	v_fmac_f64_e32 v[174:175], v[174:175], v[178:179]
	v_mul_f64 v[178:179], v[176:177], v[174:175]
	v_fma_f64 v[172:173], -v[172:173], v[178:179], v[176:177]
	v_div_fmas_f64 v[172:173], v[172:173], v[174:175], v[178:179]
	v_div_fixup_f64 v[174:175], v[172:173], v[168:169], v[170:171]
	v_fmac_f64_e32 v[168:169], v[170:171], v[174:175]
	v_div_scale_f64 v[170:171], s[10:11], v[168:169], v[168:169], 1.0
	v_rcp_f64_e32 v[172:173], v[170:171]
	s_nop 0
	v_fma_f64 v[176:177], -v[170:171], v[172:173], 1.0
	v_fmac_f64_e32 v[172:173], v[172:173], v[176:177]
	v_fma_f64 v[176:177], -v[170:171], v[172:173], 1.0
	v_fmac_f64_e32 v[172:173], v[172:173], v[176:177]
	v_div_scale_f64 v[176:177], vcc, 1.0, v[168:169], 1.0
	v_mul_f64 v[178:179], v[176:177], v[172:173]
	v_fma_f64 v[170:171], -v[170:171], v[178:179], v[176:177]
	s_nop 1
	v_div_fmas_f64 v[170:171], v[170:171], v[172:173], v[178:179]
	v_div_fixup_f64 v[172:173], v[170:171], v[168:169], 1.0
	v_mul_f64 v[174:175], v[174:175], -v[172:173]
.LBB83_160:
	s_or_b64 exec, exec, s[2:3]
	ds_write2_b64 v249, v[172:173], v[174:175] offset1:1
.LBB83_161:
	s_or_b64 exec, exec, s[4:5]
	s_waitcnt lgkmcnt(0)
	s_barrier
	ds_read2_b64 v[168:171], v249 offset1:1
	v_cmp_lt_u32_e32 vcc, 17, v248
	s_waitcnt lgkmcnt(0)
	scratch_store_dwordx4 off, v[168:171], off offset:592 ; 16-byte Folded Spill
	s_and_saveexec_b64 s[2:3], vcc
	s_cbranch_execz .LBB83_163
; %bb.162:
	scratch_load_dwordx4 v[170:173], off, off offset:592 ; 16-byte Folded Reload
	s_waitcnt vmcnt(0)
	v_mul_f64 v[168:169], v[172:173], v[94:95]
	v_mul_f64 v[94:95], v[170:171], v[94:95]
	v_fma_f64 v[168:169], v[170:171], v[92:93], -v[168:169]
	v_fmac_f64_e32 v[94:95], v[172:173], v[92:93]
	ds_read2_b64 v[170:173], v250 offset0:36 offset1:37
	s_waitcnt lgkmcnt(0)
	v_mul_f64 v[92:93], v[172:173], v[94:95]
	v_fma_f64 v[92:93], v[170:171], v[168:169], -v[92:93]
	v_mul_f64 v[170:171], v[170:171], v[94:95]
	v_fmac_f64_e32 v[170:171], v[172:173], v[168:169]
	v_add_f64 v[90:91], v[90:91], -v[170:171]
	ds_read2_b64 v[170:173], v250 offset0:38 offset1:39
	v_add_f64 v[88:89], v[88:89], -v[92:93]
	s_waitcnt lgkmcnt(0)
	v_mul_f64 v[92:93], v[172:173], v[94:95]
	v_fma_f64 v[92:93], v[170:171], v[168:169], -v[92:93]
	v_mul_f64 v[170:171], v[170:171], v[94:95]
	v_fmac_f64_e32 v[170:171], v[172:173], v[168:169]
	v_add_f64 v[86:87], v[86:87], -v[170:171]
	ds_read2_b64 v[170:173], v250 offset0:40 offset1:41
	v_add_f64 v[84:85], v[84:85], -v[92:93]
	;; [unrolled: 8-line block ×23, first 2 shown]
	s_waitcnt lgkmcnt(0)
	v_mul_f64 v[92:93], v[172:173], v[94:95]
	v_fma_f64 v[92:93], v[170:171], v[168:169], -v[92:93]
	v_mul_f64 v[170:171], v[170:171], v[94:95]
	v_fmac_f64_e32 v[170:171], v[172:173], v[168:169]
	v_add_f64 v[164:165], v[164:165], -v[92:93]
	v_add_f64 v[166:167], v[166:167], -v[170:171]
	v_mov_b64_e32 v[92:93], v[168:169]
.LBB83_163:
	s_or_b64 exec, exec, s[2:3]
	v_cmp_eq_u32_e32 vcc, 18, v248
	s_waitcnt vmcnt(63) expcnt(7) lgkmcnt(15)
	s_barrier
	s_and_saveexec_b64 s[4:5], vcc
	s_cbranch_execz .LBB83_170
; %bb.164:
	ds_write2_b64 v249, v[88:89], v[90:91] offset1:1
	ds_write2_b64 v250, v[84:85], v[86:87] offset0:38 offset1:39
	ds_write2_b64 v250, v[80:81], v[82:83] offset0:40 offset1:41
	;; [unrolled: 1-line block ×7, first 2 shown]
	s_waitcnt vmcnt(42)
	ds_write2_b64 v250, v[56:57], v[58:59] offset0:52 offset1:53
	s_waitcnt vmcnt(30)
	ds_write2_b64 v250, v[52:53], v[54:55] offset0:54 offset1:55
	ds_write2_b64 v250, v[48:49], v[50:51] offset0:56 offset1:57
	;; [unrolled: 1-line block ×15, first 2 shown]
	ds_read2_b64 v[168:171], v249 offset1:1
	s_waitcnt lgkmcnt(0)
	v_cmp_neq_f64_e32 vcc, 0, v[168:169]
	v_cmp_neq_f64_e64 s[2:3], 0, v[170:171]
	s_or_b64 s[2:3], vcc, s[2:3]
	s_and_b64 exec, exec, s[2:3]
	s_cbranch_execz .LBB83_170
; %bb.165:
	v_cmp_ngt_f64_e64 s[2:3], |v[168:169]|, |v[170:171]|
                                        ; implicit-def: $vgpr172_vgpr173
	s_and_saveexec_b64 s[10:11], s[2:3]
	s_xor_b64 s[2:3], exec, s[10:11]
                                        ; implicit-def: $vgpr174_vgpr175
	s_cbranch_execz .LBB83_167
; %bb.166:
	v_div_scale_f64 v[172:173], s[10:11], v[170:171], v[170:171], v[168:169]
	v_rcp_f64_e32 v[174:175], v[172:173]
	v_div_scale_f64 v[176:177], vcc, v[168:169], v[170:171], v[168:169]
	v_fma_f64 v[178:179], -v[172:173], v[174:175], 1.0
	v_fmac_f64_e32 v[174:175], v[174:175], v[178:179]
	v_fma_f64 v[178:179], -v[172:173], v[174:175], 1.0
	v_fmac_f64_e32 v[174:175], v[174:175], v[178:179]
	v_mul_f64 v[178:179], v[176:177], v[174:175]
	v_fma_f64 v[172:173], -v[172:173], v[178:179], v[176:177]
	v_div_fmas_f64 v[172:173], v[172:173], v[174:175], v[178:179]
	v_div_fixup_f64 v[172:173], v[172:173], v[170:171], v[168:169]
	v_fmac_f64_e32 v[170:171], v[168:169], v[172:173]
	v_div_scale_f64 v[168:169], s[10:11], v[170:171], v[170:171], 1.0
	v_rcp_f64_e32 v[174:175], v[168:169]
	s_nop 0
	v_fma_f64 v[176:177], -v[168:169], v[174:175], 1.0
	v_fmac_f64_e32 v[174:175], v[174:175], v[176:177]
	v_fma_f64 v[176:177], -v[168:169], v[174:175], 1.0
	v_fmac_f64_e32 v[174:175], v[174:175], v[176:177]
	v_div_scale_f64 v[176:177], vcc, 1.0, v[170:171], 1.0
	v_mul_f64 v[178:179], v[176:177], v[174:175]
	v_fma_f64 v[168:169], -v[168:169], v[178:179], v[176:177]
	s_nop 1
	v_div_fmas_f64 v[168:169], v[168:169], v[174:175], v[178:179]
	v_div_fixup_f64 v[174:175], v[168:169], v[170:171], 1.0
	v_mul_f64 v[172:173], v[172:173], v[174:175]
	v_xor_b32_e32 v175, 0x80000000, v175
                                        ; implicit-def: $vgpr168_vgpr169
.LBB83_167:
	s_andn2_saveexec_b64 s[2:3], s[2:3]
	s_cbranch_execz .LBB83_169
; %bb.168:
	v_div_scale_f64 v[172:173], s[10:11], v[168:169], v[168:169], v[170:171]
	v_rcp_f64_e32 v[174:175], v[172:173]
	v_div_scale_f64 v[176:177], vcc, v[170:171], v[168:169], v[170:171]
	v_fma_f64 v[178:179], -v[172:173], v[174:175], 1.0
	v_fmac_f64_e32 v[174:175], v[174:175], v[178:179]
	v_fma_f64 v[178:179], -v[172:173], v[174:175], 1.0
	v_fmac_f64_e32 v[174:175], v[174:175], v[178:179]
	v_mul_f64 v[178:179], v[176:177], v[174:175]
	v_fma_f64 v[172:173], -v[172:173], v[178:179], v[176:177]
	v_div_fmas_f64 v[172:173], v[172:173], v[174:175], v[178:179]
	v_div_fixup_f64 v[174:175], v[172:173], v[168:169], v[170:171]
	v_fmac_f64_e32 v[168:169], v[170:171], v[174:175]
	v_div_scale_f64 v[170:171], s[10:11], v[168:169], v[168:169], 1.0
	v_rcp_f64_e32 v[172:173], v[170:171]
	s_nop 0
	v_fma_f64 v[176:177], -v[170:171], v[172:173], 1.0
	v_fmac_f64_e32 v[172:173], v[172:173], v[176:177]
	v_fma_f64 v[176:177], -v[170:171], v[172:173], 1.0
	v_fmac_f64_e32 v[172:173], v[172:173], v[176:177]
	v_div_scale_f64 v[176:177], vcc, 1.0, v[168:169], 1.0
	v_mul_f64 v[178:179], v[176:177], v[172:173]
	v_fma_f64 v[170:171], -v[170:171], v[178:179], v[176:177]
	s_nop 1
	v_div_fmas_f64 v[170:171], v[170:171], v[172:173], v[178:179]
	v_div_fixup_f64 v[172:173], v[170:171], v[168:169], 1.0
	v_mul_f64 v[174:175], v[174:175], -v[172:173]
.LBB83_169:
	s_or_b64 exec, exec, s[2:3]
	ds_write2_b64 v249, v[172:173], v[174:175] offset1:1
.LBB83_170:
	s_or_b64 exec, exec, s[4:5]
	s_waitcnt lgkmcnt(0)
	s_barrier
	ds_read2_b64 v[168:171], v249 offset1:1
	v_cmp_lt_u32_e32 vcc, 18, v248
	s_waitcnt lgkmcnt(0)
	scratch_store_dwordx4 off, v[168:171], off offset:608 ; 16-byte Folded Spill
	s_and_saveexec_b64 s[2:3], vcc
	s_cbranch_execz .LBB83_172
; %bb.171:
	scratch_load_dwordx4 v[170:173], off, off offset:608 ; 16-byte Folded Reload
	s_waitcnt vmcnt(0)
	v_mul_f64 v[168:169], v[172:173], v[90:91]
	v_mul_f64 v[90:91], v[170:171], v[90:91]
	v_fma_f64 v[168:169], v[170:171], v[88:89], -v[168:169]
	v_fmac_f64_e32 v[90:91], v[172:173], v[88:89]
	ds_read2_b64 v[170:173], v250 offset0:38 offset1:39
	s_waitcnt lgkmcnt(0)
	v_mul_f64 v[88:89], v[172:173], v[90:91]
	v_fma_f64 v[88:89], v[170:171], v[168:169], -v[88:89]
	v_mul_f64 v[170:171], v[170:171], v[90:91]
	v_fmac_f64_e32 v[170:171], v[172:173], v[168:169]
	v_add_f64 v[86:87], v[86:87], -v[170:171]
	ds_read2_b64 v[170:173], v250 offset0:40 offset1:41
	v_add_f64 v[84:85], v[84:85], -v[88:89]
	s_waitcnt lgkmcnt(0)
	v_mul_f64 v[88:89], v[172:173], v[90:91]
	v_fma_f64 v[88:89], v[170:171], v[168:169], -v[88:89]
	v_mul_f64 v[170:171], v[170:171], v[90:91]
	v_fmac_f64_e32 v[170:171], v[172:173], v[168:169]
	v_add_f64 v[82:83], v[82:83], -v[170:171]
	ds_read2_b64 v[170:173], v250 offset0:42 offset1:43
	v_add_f64 v[80:81], v[80:81], -v[88:89]
	;; [unrolled: 8-line block ×22, first 2 shown]
	s_waitcnt lgkmcnt(0)
	v_mul_f64 v[88:89], v[172:173], v[90:91]
	v_fma_f64 v[88:89], v[170:171], v[168:169], -v[88:89]
	v_mul_f64 v[170:171], v[170:171], v[90:91]
	v_fmac_f64_e32 v[170:171], v[172:173], v[168:169]
	v_add_f64 v[164:165], v[164:165], -v[88:89]
	v_add_f64 v[166:167], v[166:167], -v[170:171]
	v_mov_b64_e32 v[88:89], v[168:169]
.LBB83_172:
	s_or_b64 exec, exec, s[2:3]
	v_cmp_eq_u32_e32 vcc, 19, v248
	s_waitcnt vmcnt(63) expcnt(7) lgkmcnt(15)
	s_barrier
	s_and_saveexec_b64 s[4:5], vcc
	s_cbranch_execz .LBB83_179
; %bb.173:
	ds_write2_b64 v249, v[84:85], v[86:87] offset1:1
	ds_write2_b64 v250, v[80:81], v[82:83] offset0:40 offset1:41
	ds_write2_b64 v250, v[76:77], v[78:79] offset0:42 offset1:43
	;; [unrolled: 1-line block ×6, first 2 shown]
	s_waitcnt vmcnt(43)
	ds_write2_b64 v250, v[56:57], v[58:59] offset0:52 offset1:53
	s_waitcnt vmcnt(31)
	ds_write2_b64 v250, v[52:53], v[54:55] offset0:54 offset1:55
	ds_write2_b64 v250, v[48:49], v[50:51] offset0:56 offset1:57
	;; [unrolled: 1-line block ×15, first 2 shown]
	ds_read2_b64 v[168:171], v249 offset1:1
	s_waitcnt lgkmcnt(0)
	v_cmp_neq_f64_e32 vcc, 0, v[168:169]
	v_cmp_neq_f64_e64 s[2:3], 0, v[170:171]
	s_or_b64 s[2:3], vcc, s[2:3]
	s_and_b64 exec, exec, s[2:3]
	s_cbranch_execz .LBB83_179
; %bb.174:
	v_cmp_ngt_f64_e64 s[2:3], |v[168:169]|, |v[170:171]|
                                        ; implicit-def: $vgpr172_vgpr173
	s_and_saveexec_b64 s[10:11], s[2:3]
	s_xor_b64 s[2:3], exec, s[10:11]
                                        ; implicit-def: $vgpr174_vgpr175
	s_cbranch_execz .LBB83_176
; %bb.175:
	v_div_scale_f64 v[172:173], s[10:11], v[170:171], v[170:171], v[168:169]
	v_rcp_f64_e32 v[174:175], v[172:173]
	v_div_scale_f64 v[176:177], vcc, v[168:169], v[170:171], v[168:169]
	v_fma_f64 v[178:179], -v[172:173], v[174:175], 1.0
	v_fmac_f64_e32 v[174:175], v[174:175], v[178:179]
	v_fma_f64 v[178:179], -v[172:173], v[174:175], 1.0
	v_fmac_f64_e32 v[174:175], v[174:175], v[178:179]
	v_mul_f64 v[178:179], v[176:177], v[174:175]
	v_fma_f64 v[172:173], -v[172:173], v[178:179], v[176:177]
	v_div_fmas_f64 v[172:173], v[172:173], v[174:175], v[178:179]
	v_div_fixup_f64 v[172:173], v[172:173], v[170:171], v[168:169]
	v_fmac_f64_e32 v[170:171], v[168:169], v[172:173]
	v_div_scale_f64 v[168:169], s[10:11], v[170:171], v[170:171], 1.0
	v_rcp_f64_e32 v[174:175], v[168:169]
	s_nop 0
	v_fma_f64 v[176:177], -v[168:169], v[174:175], 1.0
	v_fmac_f64_e32 v[174:175], v[174:175], v[176:177]
	v_fma_f64 v[176:177], -v[168:169], v[174:175], 1.0
	v_fmac_f64_e32 v[174:175], v[174:175], v[176:177]
	v_div_scale_f64 v[176:177], vcc, 1.0, v[170:171], 1.0
	v_mul_f64 v[178:179], v[176:177], v[174:175]
	v_fma_f64 v[168:169], -v[168:169], v[178:179], v[176:177]
	s_nop 1
	v_div_fmas_f64 v[168:169], v[168:169], v[174:175], v[178:179]
	v_div_fixup_f64 v[174:175], v[168:169], v[170:171], 1.0
	v_mul_f64 v[172:173], v[172:173], v[174:175]
	v_xor_b32_e32 v175, 0x80000000, v175
                                        ; implicit-def: $vgpr168_vgpr169
.LBB83_176:
	s_andn2_saveexec_b64 s[2:3], s[2:3]
	s_cbranch_execz .LBB83_178
; %bb.177:
	v_div_scale_f64 v[172:173], s[10:11], v[168:169], v[168:169], v[170:171]
	v_rcp_f64_e32 v[174:175], v[172:173]
	v_div_scale_f64 v[176:177], vcc, v[170:171], v[168:169], v[170:171]
	v_fma_f64 v[178:179], -v[172:173], v[174:175], 1.0
	v_fmac_f64_e32 v[174:175], v[174:175], v[178:179]
	v_fma_f64 v[178:179], -v[172:173], v[174:175], 1.0
	v_fmac_f64_e32 v[174:175], v[174:175], v[178:179]
	v_mul_f64 v[178:179], v[176:177], v[174:175]
	v_fma_f64 v[172:173], -v[172:173], v[178:179], v[176:177]
	v_div_fmas_f64 v[172:173], v[172:173], v[174:175], v[178:179]
	v_div_fixup_f64 v[174:175], v[172:173], v[168:169], v[170:171]
	v_fmac_f64_e32 v[168:169], v[170:171], v[174:175]
	v_div_scale_f64 v[170:171], s[10:11], v[168:169], v[168:169], 1.0
	v_rcp_f64_e32 v[172:173], v[170:171]
	s_nop 0
	v_fma_f64 v[176:177], -v[170:171], v[172:173], 1.0
	v_fmac_f64_e32 v[172:173], v[172:173], v[176:177]
	v_fma_f64 v[176:177], -v[170:171], v[172:173], 1.0
	v_fmac_f64_e32 v[172:173], v[172:173], v[176:177]
	v_div_scale_f64 v[176:177], vcc, 1.0, v[168:169], 1.0
	v_mul_f64 v[178:179], v[176:177], v[172:173]
	v_fma_f64 v[170:171], -v[170:171], v[178:179], v[176:177]
	s_nop 1
	v_div_fmas_f64 v[170:171], v[170:171], v[172:173], v[178:179]
	v_div_fixup_f64 v[172:173], v[170:171], v[168:169], 1.0
	v_mul_f64 v[174:175], v[174:175], -v[172:173]
.LBB83_178:
	s_or_b64 exec, exec, s[2:3]
	ds_write2_b64 v249, v[172:173], v[174:175] offset1:1
.LBB83_179:
	s_or_b64 exec, exec, s[4:5]
	s_waitcnt lgkmcnt(0)
	s_barrier
	ds_read2_b64 v[168:171], v249 offset1:1
	v_cmp_lt_u32_e32 vcc, 19, v248
	s_waitcnt lgkmcnt(0)
	scratch_store_dwordx4 off, v[168:171], off offset:624 ; 16-byte Folded Spill
	s_and_saveexec_b64 s[2:3], vcc
	s_cbranch_execz .LBB83_181
; %bb.180:
	scratch_load_dwordx4 v[170:173], off, off offset:624 ; 16-byte Folded Reload
	s_waitcnt vmcnt(0)
	v_mul_f64 v[168:169], v[172:173], v[86:87]
	v_mul_f64 v[86:87], v[170:171], v[86:87]
	v_fma_f64 v[168:169], v[170:171], v[84:85], -v[168:169]
	v_fmac_f64_e32 v[86:87], v[172:173], v[84:85]
	ds_read2_b64 v[170:173], v250 offset0:40 offset1:41
	s_waitcnt lgkmcnt(0)
	v_mul_f64 v[84:85], v[172:173], v[86:87]
	v_fma_f64 v[84:85], v[170:171], v[168:169], -v[84:85]
	v_mul_f64 v[170:171], v[170:171], v[86:87]
	v_fmac_f64_e32 v[170:171], v[172:173], v[168:169]
	v_add_f64 v[82:83], v[82:83], -v[170:171]
	ds_read2_b64 v[170:173], v250 offset0:42 offset1:43
	v_add_f64 v[80:81], v[80:81], -v[84:85]
	s_waitcnt lgkmcnt(0)
	v_mul_f64 v[84:85], v[172:173], v[86:87]
	v_fma_f64 v[84:85], v[170:171], v[168:169], -v[84:85]
	v_mul_f64 v[170:171], v[170:171], v[86:87]
	v_fmac_f64_e32 v[170:171], v[172:173], v[168:169]
	v_add_f64 v[78:79], v[78:79], -v[170:171]
	ds_read2_b64 v[170:173], v250 offset0:44 offset1:45
	v_add_f64 v[76:77], v[76:77], -v[84:85]
	;; [unrolled: 8-line block ×21, first 2 shown]
	s_waitcnt lgkmcnt(0)
	v_mul_f64 v[84:85], v[172:173], v[86:87]
	v_fma_f64 v[84:85], v[170:171], v[168:169], -v[84:85]
	v_mul_f64 v[170:171], v[170:171], v[86:87]
	v_fmac_f64_e32 v[170:171], v[172:173], v[168:169]
	v_add_f64 v[164:165], v[164:165], -v[84:85]
	v_add_f64 v[166:167], v[166:167], -v[170:171]
	v_mov_b64_e32 v[84:85], v[168:169]
.LBB83_181:
	s_or_b64 exec, exec, s[2:3]
	v_cmp_eq_u32_e32 vcc, 20, v248
	s_waitcnt vmcnt(63) expcnt(7) lgkmcnt(15)
	s_barrier
	s_and_saveexec_b64 s[4:5], vcc
	s_cbranch_execz .LBB83_188
; %bb.182:
	ds_write2_b64 v249, v[80:81], v[82:83] offset1:1
	ds_write2_b64 v250, v[76:77], v[78:79] offset0:42 offset1:43
	ds_write2_b64 v250, v[72:73], v[74:75] offset0:44 offset1:45
	;; [unrolled: 1-line block ×5, first 2 shown]
	s_waitcnt vmcnt(44)
	ds_write2_b64 v250, v[56:57], v[58:59] offset0:52 offset1:53
	s_waitcnt vmcnt(32)
	ds_write2_b64 v250, v[52:53], v[54:55] offset0:54 offset1:55
	ds_write2_b64 v250, v[48:49], v[50:51] offset0:56 offset1:57
	;; [unrolled: 1-line block ×15, first 2 shown]
	ds_read2_b64 v[168:171], v249 offset1:1
	s_waitcnt lgkmcnt(0)
	v_cmp_neq_f64_e32 vcc, 0, v[168:169]
	v_cmp_neq_f64_e64 s[2:3], 0, v[170:171]
	s_or_b64 s[2:3], vcc, s[2:3]
	s_and_b64 exec, exec, s[2:3]
	s_cbranch_execz .LBB83_188
; %bb.183:
	v_cmp_ngt_f64_e64 s[2:3], |v[168:169]|, |v[170:171]|
                                        ; implicit-def: $vgpr172_vgpr173
	s_and_saveexec_b64 s[10:11], s[2:3]
	s_xor_b64 s[2:3], exec, s[10:11]
                                        ; implicit-def: $vgpr174_vgpr175
	s_cbranch_execz .LBB83_185
; %bb.184:
	v_div_scale_f64 v[172:173], s[10:11], v[170:171], v[170:171], v[168:169]
	v_rcp_f64_e32 v[174:175], v[172:173]
	v_div_scale_f64 v[176:177], vcc, v[168:169], v[170:171], v[168:169]
	v_fma_f64 v[178:179], -v[172:173], v[174:175], 1.0
	v_fmac_f64_e32 v[174:175], v[174:175], v[178:179]
	v_fma_f64 v[178:179], -v[172:173], v[174:175], 1.0
	v_fmac_f64_e32 v[174:175], v[174:175], v[178:179]
	v_mul_f64 v[178:179], v[176:177], v[174:175]
	v_fma_f64 v[172:173], -v[172:173], v[178:179], v[176:177]
	v_div_fmas_f64 v[172:173], v[172:173], v[174:175], v[178:179]
	v_div_fixup_f64 v[172:173], v[172:173], v[170:171], v[168:169]
	v_fmac_f64_e32 v[170:171], v[168:169], v[172:173]
	v_div_scale_f64 v[168:169], s[10:11], v[170:171], v[170:171], 1.0
	v_rcp_f64_e32 v[174:175], v[168:169]
	s_nop 0
	v_fma_f64 v[176:177], -v[168:169], v[174:175], 1.0
	v_fmac_f64_e32 v[174:175], v[174:175], v[176:177]
	v_fma_f64 v[176:177], -v[168:169], v[174:175], 1.0
	v_fmac_f64_e32 v[174:175], v[174:175], v[176:177]
	v_div_scale_f64 v[176:177], vcc, 1.0, v[170:171], 1.0
	v_mul_f64 v[178:179], v[176:177], v[174:175]
	v_fma_f64 v[168:169], -v[168:169], v[178:179], v[176:177]
	s_nop 1
	v_div_fmas_f64 v[168:169], v[168:169], v[174:175], v[178:179]
	v_div_fixup_f64 v[174:175], v[168:169], v[170:171], 1.0
	v_mul_f64 v[172:173], v[172:173], v[174:175]
	v_xor_b32_e32 v175, 0x80000000, v175
                                        ; implicit-def: $vgpr168_vgpr169
.LBB83_185:
	s_andn2_saveexec_b64 s[2:3], s[2:3]
	s_cbranch_execz .LBB83_187
; %bb.186:
	v_div_scale_f64 v[172:173], s[10:11], v[168:169], v[168:169], v[170:171]
	v_rcp_f64_e32 v[174:175], v[172:173]
	v_div_scale_f64 v[176:177], vcc, v[170:171], v[168:169], v[170:171]
	v_fma_f64 v[178:179], -v[172:173], v[174:175], 1.0
	v_fmac_f64_e32 v[174:175], v[174:175], v[178:179]
	v_fma_f64 v[178:179], -v[172:173], v[174:175], 1.0
	v_fmac_f64_e32 v[174:175], v[174:175], v[178:179]
	v_mul_f64 v[178:179], v[176:177], v[174:175]
	v_fma_f64 v[172:173], -v[172:173], v[178:179], v[176:177]
	v_div_fmas_f64 v[172:173], v[172:173], v[174:175], v[178:179]
	v_div_fixup_f64 v[174:175], v[172:173], v[168:169], v[170:171]
	v_fmac_f64_e32 v[168:169], v[170:171], v[174:175]
	v_div_scale_f64 v[170:171], s[10:11], v[168:169], v[168:169], 1.0
	v_rcp_f64_e32 v[172:173], v[170:171]
	s_nop 0
	v_fma_f64 v[176:177], -v[170:171], v[172:173], 1.0
	v_fmac_f64_e32 v[172:173], v[172:173], v[176:177]
	v_fma_f64 v[176:177], -v[170:171], v[172:173], 1.0
	v_fmac_f64_e32 v[172:173], v[172:173], v[176:177]
	v_div_scale_f64 v[176:177], vcc, 1.0, v[168:169], 1.0
	v_mul_f64 v[178:179], v[176:177], v[172:173]
	v_fma_f64 v[170:171], -v[170:171], v[178:179], v[176:177]
	s_nop 1
	v_div_fmas_f64 v[170:171], v[170:171], v[172:173], v[178:179]
	v_div_fixup_f64 v[172:173], v[170:171], v[168:169], 1.0
	v_mul_f64 v[174:175], v[174:175], -v[172:173]
.LBB83_187:
	s_or_b64 exec, exec, s[2:3]
	ds_write2_b64 v249, v[172:173], v[174:175] offset1:1
.LBB83_188:
	s_or_b64 exec, exec, s[4:5]
	s_waitcnt lgkmcnt(0)
	s_barrier
	ds_read2_b64 v[168:171], v249 offset1:1
	v_cmp_lt_u32_e32 vcc, 20, v248
	s_waitcnt lgkmcnt(0)
	scratch_store_dwordx4 off, v[168:171], off offset:640 ; 16-byte Folded Spill
	s_and_saveexec_b64 s[2:3], vcc
	s_cbranch_execz .LBB83_190
; %bb.189:
	scratch_load_dwordx4 v[170:173], off, off offset:640 ; 16-byte Folded Reload
	s_waitcnt vmcnt(0)
	v_mul_f64 v[168:169], v[172:173], v[82:83]
	v_mul_f64 v[82:83], v[170:171], v[82:83]
	v_fma_f64 v[168:169], v[170:171], v[80:81], -v[168:169]
	v_fmac_f64_e32 v[82:83], v[172:173], v[80:81]
	ds_read2_b64 v[170:173], v250 offset0:42 offset1:43
	s_waitcnt lgkmcnt(0)
	v_mul_f64 v[80:81], v[172:173], v[82:83]
	v_fma_f64 v[80:81], v[170:171], v[168:169], -v[80:81]
	v_mul_f64 v[170:171], v[170:171], v[82:83]
	v_fmac_f64_e32 v[170:171], v[172:173], v[168:169]
	v_add_f64 v[78:79], v[78:79], -v[170:171]
	ds_read2_b64 v[170:173], v250 offset0:44 offset1:45
	v_add_f64 v[76:77], v[76:77], -v[80:81]
	s_waitcnt lgkmcnt(0)
	v_mul_f64 v[80:81], v[172:173], v[82:83]
	v_fma_f64 v[80:81], v[170:171], v[168:169], -v[80:81]
	v_mul_f64 v[170:171], v[170:171], v[82:83]
	v_fmac_f64_e32 v[170:171], v[172:173], v[168:169]
	v_add_f64 v[74:75], v[74:75], -v[170:171]
	ds_read2_b64 v[170:173], v250 offset0:46 offset1:47
	v_add_f64 v[72:73], v[72:73], -v[80:81]
	;; [unrolled: 8-line block ×20, first 2 shown]
	s_waitcnt lgkmcnt(0)
	v_mul_f64 v[80:81], v[172:173], v[82:83]
	v_fma_f64 v[80:81], v[170:171], v[168:169], -v[80:81]
	v_mul_f64 v[170:171], v[170:171], v[82:83]
	v_fmac_f64_e32 v[170:171], v[172:173], v[168:169]
	v_add_f64 v[164:165], v[164:165], -v[80:81]
	v_add_f64 v[166:167], v[166:167], -v[170:171]
	v_mov_b64_e32 v[80:81], v[168:169]
.LBB83_190:
	s_or_b64 exec, exec, s[2:3]
	v_cmp_eq_u32_e32 vcc, 21, v248
	s_waitcnt vmcnt(63) expcnt(7) lgkmcnt(15)
	s_barrier
	s_and_saveexec_b64 s[4:5], vcc
	s_cbranch_execz .LBB83_197
; %bb.191:
	ds_write2_b64 v249, v[76:77], v[78:79] offset1:1
	ds_write2_b64 v250, v[72:73], v[74:75] offset0:44 offset1:45
	ds_write2_b64 v250, v[68:69], v[70:71] offset0:46 offset1:47
	;; [unrolled: 1-line block ×4, first 2 shown]
	s_waitcnt vmcnt(45)
	ds_write2_b64 v250, v[56:57], v[58:59] offset0:52 offset1:53
	s_waitcnt vmcnt(33)
	ds_write2_b64 v250, v[52:53], v[54:55] offset0:54 offset1:55
	ds_write2_b64 v250, v[48:49], v[50:51] offset0:56 offset1:57
	;; [unrolled: 1-line block ×15, first 2 shown]
	ds_read2_b64 v[168:171], v249 offset1:1
	s_waitcnt lgkmcnt(0)
	v_cmp_neq_f64_e32 vcc, 0, v[168:169]
	v_cmp_neq_f64_e64 s[2:3], 0, v[170:171]
	s_or_b64 s[2:3], vcc, s[2:3]
	s_and_b64 exec, exec, s[2:3]
	s_cbranch_execz .LBB83_197
; %bb.192:
	v_cmp_ngt_f64_e64 s[2:3], |v[168:169]|, |v[170:171]|
                                        ; implicit-def: $vgpr172_vgpr173
	s_and_saveexec_b64 s[10:11], s[2:3]
	s_xor_b64 s[2:3], exec, s[10:11]
                                        ; implicit-def: $vgpr174_vgpr175
	s_cbranch_execz .LBB83_194
; %bb.193:
	v_div_scale_f64 v[172:173], s[10:11], v[170:171], v[170:171], v[168:169]
	v_rcp_f64_e32 v[174:175], v[172:173]
	v_div_scale_f64 v[176:177], vcc, v[168:169], v[170:171], v[168:169]
	v_fma_f64 v[178:179], -v[172:173], v[174:175], 1.0
	v_fmac_f64_e32 v[174:175], v[174:175], v[178:179]
	v_fma_f64 v[178:179], -v[172:173], v[174:175], 1.0
	v_fmac_f64_e32 v[174:175], v[174:175], v[178:179]
	v_mul_f64 v[178:179], v[176:177], v[174:175]
	v_fma_f64 v[172:173], -v[172:173], v[178:179], v[176:177]
	v_div_fmas_f64 v[172:173], v[172:173], v[174:175], v[178:179]
	v_div_fixup_f64 v[172:173], v[172:173], v[170:171], v[168:169]
	v_fmac_f64_e32 v[170:171], v[168:169], v[172:173]
	v_div_scale_f64 v[168:169], s[10:11], v[170:171], v[170:171], 1.0
	v_rcp_f64_e32 v[174:175], v[168:169]
	s_nop 0
	v_fma_f64 v[176:177], -v[168:169], v[174:175], 1.0
	v_fmac_f64_e32 v[174:175], v[174:175], v[176:177]
	v_fma_f64 v[176:177], -v[168:169], v[174:175], 1.0
	v_fmac_f64_e32 v[174:175], v[174:175], v[176:177]
	v_div_scale_f64 v[176:177], vcc, 1.0, v[170:171], 1.0
	v_mul_f64 v[178:179], v[176:177], v[174:175]
	v_fma_f64 v[168:169], -v[168:169], v[178:179], v[176:177]
	s_nop 1
	v_div_fmas_f64 v[168:169], v[168:169], v[174:175], v[178:179]
	v_div_fixup_f64 v[174:175], v[168:169], v[170:171], 1.0
	v_mul_f64 v[172:173], v[172:173], v[174:175]
	v_xor_b32_e32 v175, 0x80000000, v175
                                        ; implicit-def: $vgpr168_vgpr169
.LBB83_194:
	s_andn2_saveexec_b64 s[2:3], s[2:3]
	s_cbranch_execz .LBB83_196
; %bb.195:
	v_div_scale_f64 v[172:173], s[10:11], v[168:169], v[168:169], v[170:171]
	v_rcp_f64_e32 v[174:175], v[172:173]
	v_div_scale_f64 v[176:177], vcc, v[170:171], v[168:169], v[170:171]
	v_fma_f64 v[178:179], -v[172:173], v[174:175], 1.0
	v_fmac_f64_e32 v[174:175], v[174:175], v[178:179]
	v_fma_f64 v[178:179], -v[172:173], v[174:175], 1.0
	v_fmac_f64_e32 v[174:175], v[174:175], v[178:179]
	v_mul_f64 v[178:179], v[176:177], v[174:175]
	v_fma_f64 v[172:173], -v[172:173], v[178:179], v[176:177]
	v_div_fmas_f64 v[172:173], v[172:173], v[174:175], v[178:179]
	v_div_fixup_f64 v[174:175], v[172:173], v[168:169], v[170:171]
	v_fmac_f64_e32 v[168:169], v[170:171], v[174:175]
	v_div_scale_f64 v[170:171], s[10:11], v[168:169], v[168:169], 1.0
	v_rcp_f64_e32 v[172:173], v[170:171]
	s_nop 0
	v_fma_f64 v[176:177], -v[170:171], v[172:173], 1.0
	v_fmac_f64_e32 v[172:173], v[172:173], v[176:177]
	v_fma_f64 v[176:177], -v[170:171], v[172:173], 1.0
	v_fmac_f64_e32 v[172:173], v[172:173], v[176:177]
	v_div_scale_f64 v[176:177], vcc, 1.0, v[168:169], 1.0
	v_mul_f64 v[178:179], v[176:177], v[172:173]
	v_fma_f64 v[170:171], -v[170:171], v[178:179], v[176:177]
	s_nop 1
	v_div_fmas_f64 v[170:171], v[170:171], v[172:173], v[178:179]
	v_div_fixup_f64 v[172:173], v[170:171], v[168:169], 1.0
	v_mul_f64 v[174:175], v[174:175], -v[172:173]
.LBB83_196:
	s_or_b64 exec, exec, s[2:3]
	ds_write2_b64 v249, v[172:173], v[174:175] offset1:1
.LBB83_197:
	s_or_b64 exec, exec, s[4:5]
	s_waitcnt lgkmcnt(0)
	s_barrier
	ds_read2_b64 v[168:171], v249 offset1:1
	v_cmp_lt_u32_e32 vcc, 21, v248
	s_waitcnt lgkmcnt(0)
	scratch_store_dwordx4 off, v[168:171], off offset:656 ; 16-byte Folded Spill
	s_and_saveexec_b64 s[2:3], vcc
	s_cbranch_execz .LBB83_199
; %bb.198:
	scratch_load_dwordx4 v[170:173], off, off offset:656 ; 16-byte Folded Reload
	s_waitcnt vmcnt(0)
	v_mul_f64 v[168:169], v[172:173], v[78:79]
	v_mul_f64 v[78:79], v[170:171], v[78:79]
	v_fma_f64 v[168:169], v[170:171], v[76:77], -v[168:169]
	v_fmac_f64_e32 v[78:79], v[172:173], v[76:77]
	ds_read2_b64 v[170:173], v250 offset0:44 offset1:45
	s_waitcnt lgkmcnt(0)
	v_mul_f64 v[76:77], v[172:173], v[78:79]
	v_fma_f64 v[76:77], v[170:171], v[168:169], -v[76:77]
	v_mul_f64 v[170:171], v[170:171], v[78:79]
	v_fmac_f64_e32 v[170:171], v[172:173], v[168:169]
	v_add_f64 v[74:75], v[74:75], -v[170:171]
	ds_read2_b64 v[170:173], v250 offset0:46 offset1:47
	v_add_f64 v[72:73], v[72:73], -v[76:77]
	s_waitcnt lgkmcnt(0)
	v_mul_f64 v[76:77], v[172:173], v[78:79]
	v_fma_f64 v[76:77], v[170:171], v[168:169], -v[76:77]
	v_mul_f64 v[170:171], v[170:171], v[78:79]
	v_fmac_f64_e32 v[170:171], v[172:173], v[168:169]
	v_add_f64 v[70:71], v[70:71], -v[170:171]
	ds_read2_b64 v[170:173], v250 offset0:48 offset1:49
	v_add_f64 v[68:69], v[68:69], -v[76:77]
	;; [unrolled: 8-line block ×19, first 2 shown]
	s_waitcnt lgkmcnt(0)
	v_mul_f64 v[76:77], v[172:173], v[78:79]
	v_fma_f64 v[76:77], v[170:171], v[168:169], -v[76:77]
	v_mul_f64 v[170:171], v[170:171], v[78:79]
	v_fmac_f64_e32 v[170:171], v[172:173], v[168:169]
	v_add_f64 v[164:165], v[164:165], -v[76:77]
	v_add_f64 v[166:167], v[166:167], -v[170:171]
	v_mov_b64_e32 v[76:77], v[168:169]
.LBB83_199:
	s_or_b64 exec, exec, s[2:3]
	v_cmp_eq_u32_e32 vcc, 22, v248
	s_waitcnt vmcnt(63) expcnt(7) lgkmcnt(15)
	s_barrier
	s_and_saveexec_b64 s[4:5], vcc
	s_cbranch_execz .LBB83_206
; %bb.200:
	ds_write2_b64 v249, v[72:73], v[74:75] offset1:1
	ds_write2_b64 v250, v[68:69], v[70:71] offset0:46 offset1:47
	ds_write2_b64 v250, v[64:65], v[66:67] offset0:48 offset1:49
	;; [unrolled: 1-line block ×3, first 2 shown]
	s_waitcnt vmcnt(46)
	ds_write2_b64 v250, v[56:57], v[58:59] offset0:52 offset1:53
	s_waitcnt vmcnt(34)
	ds_write2_b64 v250, v[52:53], v[54:55] offset0:54 offset1:55
	ds_write2_b64 v250, v[48:49], v[50:51] offset0:56 offset1:57
	;; [unrolled: 1-line block ×15, first 2 shown]
	ds_read2_b64 v[168:171], v249 offset1:1
	s_waitcnt lgkmcnt(0)
	v_cmp_neq_f64_e32 vcc, 0, v[168:169]
	v_cmp_neq_f64_e64 s[2:3], 0, v[170:171]
	s_or_b64 s[2:3], vcc, s[2:3]
	s_and_b64 exec, exec, s[2:3]
	s_cbranch_execz .LBB83_206
; %bb.201:
	v_cmp_ngt_f64_e64 s[2:3], |v[168:169]|, |v[170:171]|
                                        ; implicit-def: $vgpr172_vgpr173
	s_and_saveexec_b64 s[10:11], s[2:3]
	s_xor_b64 s[2:3], exec, s[10:11]
                                        ; implicit-def: $vgpr174_vgpr175
	s_cbranch_execz .LBB83_203
; %bb.202:
	v_div_scale_f64 v[172:173], s[10:11], v[170:171], v[170:171], v[168:169]
	v_rcp_f64_e32 v[174:175], v[172:173]
	v_div_scale_f64 v[176:177], vcc, v[168:169], v[170:171], v[168:169]
	v_fma_f64 v[178:179], -v[172:173], v[174:175], 1.0
	v_fmac_f64_e32 v[174:175], v[174:175], v[178:179]
	v_fma_f64 v[178:179], -v[172:173], v[174:175], 1.0
	v_fmac_f64_e32 v[174:175], v[174:175], v[178:179]
	v_mul_f64 v[178:179], v[176:177], v[174:175]
	v_fma_f64 v[172:173], -v[172:173], v[178:179], v[176:177]
	v_div_fmas_f64 v[172:173], v[172:173], v[174:175], v[178:179]
	v_div_fixup_f64 v[172:173], v[172:173], v[170:171], v[168:169]
	v_fmac_f64_e32 v[170:171], v[168:169], v[172:173]
	v_div_scale_f64 v[168:169], s[10:11], v[170:171], v[170:171], 1.0
	v_rcp_f64_e32 v[174:175], v[168:169]
	s_nop 0
	v_fma_f64 v[176:177], -v[168:169], v[174:175], 1.0
	v_fmac_f64_e32 v[174:175], v[174:175], v[176:177]
	v_fma_f64 v[176:177], -v[168:169], v[174:175], 1.0
	v_fmac_f64_e32 v[174:175], v[174:175], v[176:177]
	v_div_scale_f64 v[176:177], vcc, 1.0, v[170:171], 1.0
	v_mul_f64 v[178:179], v[176:177], v[174:175]
	v_fma_f64 v[168:169], -v[168:169], v[178:179], v[176:177]
	s_nop 1
	v_div_fmas_f64 v[168:169], v[168:169], v[174:175], v[178:179]
	v_div_fixup_f64 v[174:175], v[168:169], v[170:171], 1.0
	v_mul_f64 v[172:173], v[172:173], v[174:175]
	v_xor_b32_e32 v175, 0x80000000, v175
                                        ; implicit-def: $vgpr168_vgpr169
.LBB83_203:
	s_andn2_saveexec_b64 s[2:3], s[2:3]
	s_cbranch_execz .LBB83_205
; %bb.204:
	v_div_scale_f64 v[172:173], s[10:11], v[168:169], v[168:169], v[170:171]
	v_rcp_f64_e32 v[174:175], v[172:173]
	v_div_scale_f64 v[176:177], vcc, v[170:171], v[168:169], v[170:171]
	v_fma_f64 v[178:179], -v[172:173], v[174:175], 1.0
	v_fmac_f64_e32 v[174:175], v[174:175], v[178:179]
	v_fma_f64 v[178:179], -v[172:173], v[174:175], 1.0
	v_fmac_f64_e32 v[174:175], v[174:175], v[178:179]
	v_mul_f64 v[178:179], v[176:177], v[174:175]
	v_fma_f64 v[172:173], -v[172:173], v[178:179], v[176:177]
	v_div_fmas_f64 v[172:173], v[172:173], v[174:175], v[178:179]
	v_div_fixup_f64 v[174:175], v[172:173], v[168:169], v[170:171]
	v_fmac_f64_e32 v[168:169], v[170:171], v[174:175]
	v_div_scale_f64 v[170:171], s[10:11], v[168:169], v[168:169], 1.0
	v_rcp_f64_e32 v[172:173], v[170:171]
	s_nop 0
	v_fma_f64 v[176:177], -v[170:171], v[172:173], 1.0
	v_fmac_f64_e32 v[172:173], v[172:173], v[176:177]
	v_fma_f64 v[176:177], -v[170:171], v[172:173], 1.0
	v_fmac_f64_e32 v[172:173], v[172:173], v[176:177]
	v_div_scale_f64 v[176:177], vcc, 1.0, v[168:169], 1.0
	v_mul_f64 v[178:179], v[176:177], v[172:173]
	v_fma_f64 v[170:171], -v[170:171], v[178:179], v[176:177]
	s_nop 1
	v_div_fmas_f64 v[170:171], v[170:171], v[172:173], v[178:179]
	v_div_fixup_f64 v[172:173], v[170:171], v[168:169], 1.0
	v_mul_f64 v[174:175], v[174:175], -v[172:173]
.LBB83_205:
	s_or_b64 exec, exec, s[2:3]
	ds_write2_b64 v249, v[172:173], v[174:175] offset1:1
.LBB83_206:
	s_or_b64 exec, exec, s[4:5]
	s_waitcnt lgkmcnt(0)
	s_barrier
	ds_read2_b64 v[168:171], v249 offset1:1
	v_cmp_lt_u32_e32 vcc, 22, v248
	s_waitcnt lgkmcnt(0)
	scratch_store_dwordx4 off, v[168:171], off offset:672 ; 16-byte Folded Spill
	s_and_saveexec_b64 s[2:3], vcc
	s_cbranch_execz .LBB83_208
; %bb.207:
	scratch_load_dwordx4 v[168:171], off, off offset:672 ; 16-byte Folded Reload
	ds_read2_b64 v[174:177], v250 offset0:46 offset1:47
	s_waitcnt vmcnt(0)
	v_mul_f64 v[172:173], v[170:171], v[74:75]
	v_mul_f64 v[74:75], v[168:169], v[74:75]
	v_fmac_f64_e32 v[74:75], v[170:171], v[72:73]
	v_fma_f64 v[172:173], v[168:169], v[72:73], -v[172:173]
	s_waitcnt lgkmcnt(0)
	v_mul_f64 v[72:73], v[176:177], v[74:75]
	v_fma_f64 v[72:73], v[174:175], v[172:173], -v[72:73]
	v_mul_f64 v[174:175], v[174:175], v[74:75]
	v_fmac_f64_e32 v[174:175], v[176:177], v[172:173]
	v_add_f64 v[70:71], v[70:71], -v[174:175]
	ds_read2_b64 v[174:177], v250 offset0:48 offset1:49
	v_add_f64 v[68:69], v[68:69], -v[72:73]
	s_waitcnt lgkmcnt(0)
	v_mul_f64 v[72:73], v[176:177], v[74:75]
	v_fma_f64 v[72:73], v[174:175], v[172:173], -v[72:73]
	v_mul_f64 v[174:175], v[174:175], v[74:75]
	v_fmac_f64_e32 v[174:175], v[176:177], v[172:173]
	v_add_f64 v[66:67], v[66:67], -v[174:175]
	ds_read2_b64 v[174:177], v250 offset0:50 offset1:51
	v_add_f64 v[64:65], v[64:65], -v[72:73]
	;; [unrolled: 8-line block ×18, first 2 shown]
	s_waitcnt lgkmcnt(0)
	v_mul_f64 v[72:73], v[176:177], v[74:75]
	v_fma_f64 v[72:73], v[174:175], v[172:173], -v[72:73]
	v_mul_f64 v[174:175], v[174:175], v[74:75]
	v_fmac_f64_e32 v[174:175], v[176:177], v[172:173]
	v_add_f64 v[164:165], v[164:165], -v[72:73]
	v_add_f64 v[166:167], v[166:167], -v[174:175]
	v_mov_b64_e32 v[72:73], v[172:173]
.LBB83_208:
	s_or_b64 exec, exec, s[2:3]
	v_cmp_eq_u32_e32 vcc, 23, v248
	s_waitcnt vmcnt(63) expcnt(7) lgkmcnt(15)
	s_barrier
	s_and_saveexec_b64 s[4:5], vcc
	s_cbranch_execz .LBB83_215
; %bb.209:
	ds_write2_b64 v249, v[68:69], v[70:71] offset1:1
	ds_write2_b64 v250, v[64:65], v[66:67] offset0:48 offset1:49
	ds_write2_b64 v250, v[60:61], v[62:63] offset0:50 offset1:51
	s_waitcnt vmcnt(47)
	ds_write2_b64 v250, v[56:57], v[58:59] offset0:52 offset1:53
	s_waitcnt vmcnt(35)
	ds_write2_b64 v250, v[52:53], v[54:55] offset0:54 offset1:55
	ds_write2_b64 v250, v[48:49], v[50:51] offset0:56 offset1:57
	;; [unrolled: 1-line block ×15, first 2 shown]
	ds_read2_b64 v[172:175], v249 offset1:1
	s_waitcnt lgkmcnt(0)
	v_cmp_neq_f64_e32 vcc, 0, v[172:173]
	v_cmp_neq_f64_e64 s[2:3], 0, v[174:175]
	s_or_b64 s[2:3], vcc, s[2:3]
	s_and_b64 exec, exec, s[2:3]
	s_cbranch_execz .LBB83_215
; %bb.210:
	v_cmp_ngt_f64_e64 s[2:3], |v[172:173]|, |v[174:175]|
                                        ; implicit-def: $vgpr176_vgpr177
	s_and_saveexec_b64 s[10:11], s[2:3]
	s_xor_b64 s[2:3], exec, s[10:11]
                                        ; implicit-def: $vgpr178_vgpr179
	s_cbranch_execz .LBB83_212
; %bb.211:
	v_div_scale_f64 v[176:177], s[10:11], v[174:175], v[174:175], v[172:173]
	v_rcp_f64_e32 v[178:179], v[176:177]
	v_div_scale_f64 v[180:181], vcc, v[172:173], v[174:175], v[172:173]
	v_fma_f64 v[182:183], -v[176:177], v[178:179], 1.0
	v_fmac_f64_e32 v[178:179], v[178:179], v[182:183]
	v_fma_f64 v[182:183], -v[176:177], v[178:179], 1.0
	v_fmac_f64_e32 v[178:179], v[178:179], v[182:183]
	v_mul_f64 v[182:183], v[180:181], v[178:179]
	v_fma_f64 v[176:177], -v[176:177], v[182:183], v[180:181]
	v_div_fmas_f64 v[176:177], v[176:177], v[178:179], v[182:183]
	v_div_fixup_f64 v[176:177], v[176:177], v[174:175], v[172:173]
	v_fmac_f64_e32 v[174:175], v[172:173], v[176:177]
	v_div_scale_f64 v[172:173], s[10:11], v[174:175], v[174:175], 1.0
	v_rcp_f64_e32 v[178:179], v[172:173]
	s_nop 0
	v_fma_f64 v[180:181], -v[172:173], v[178:179], 1.0
	v_fmac_f64_e32 v[178:179], v[178:179], v[180:181]
	v_fma_f64 v[180:181], -v[172:173], v[178:179], 1.0
	v_fmac_f64_e32 v[178:179], v[178:179], v[180:181]
	v_div_scale_f64 v[180:181], vcc, 1.0, v[174:175], 1.0
	v_mul_f64 v[182:183], v[180:181], v[178:179]
	v_fma_f64 v[172:173], -v[172:173], v[182:183], v[180:181]
	s_nop 1
	v_div_fmas_f64 v[172:173], v[172:173], v[178:179], v[182:183]
	v_div_fixup_f64 v[178:179], v[172:173], v[174:175], 1.0
	v_mul_f64 v[176:177], v[176:177], v[178:179]
	v_xor_b32_e32 v179, 0x80000000, v179
                                        ; implicit-def: $vgpr172_vgpr173
.LBB83_212:
	s_andn2_saveexec_b64 s[2:3], s[2:3]
	s_cbranch_execz .LBB83_214
; %bb.213:
	v_div_scale_f64 v[176:177], s[10:11], v[172:173], v[172:173], v[174:175]
	v_rcp_f64_e32 v[178:179], v[176:177]
	v_div_scale_f64 v[180:181], vcc, v[174:175], v[172:173], v[174:175]
	v_fma_f64 v[182:183], -v[176:177], v[178:179], 1.0
	v_fmac_f64_e32 v[178:179], v[178:179], v[182:183]
	v_fma_f64 v[182:183], -v[176:177], v[178:179], 1.0
	v_fmac_f64_e32 v[178:179], v[178:179], v[182:183]
	v_mul_f64 v[182:183], v[180:181], v[178:179]
	v_fma_f64 v[176:177], -v[176:177], v[182:183], v[180:181]
	v_div_fmas_f64 v[176:177], v[176:177], v[178:179], v[182:183]
	v_div_fixup_f64 v[178:179], v[176:177], v[172:173], v[174:175]
	v_fmac_f64_e32 v[172:173], v[174:175], v[178:179]
	v_div_scale_f64 v[174:175], s[10:11], v[172:173], v[172:173], 1.0
	v_rcp_f64_e32 v[176:177], v[174:175]
	s_nop 0
	v_fma_f64 v[180:181], -v[174:175], v[176:177], 1.0
	v_fmac_f64_e32 v[176:177], v[176:177], v[180:181]
	v_fma_f64 v[180:181], -v[174:175], v[176:177], 1.0
	v_fmac_f64_e32 v[176:177], v[176:177], v[180:181]
	v_div_scale_f64 v[180:181], vcc, 1.0, v[172:173], 1.0
	v_mul_f64 v[182:183], v[180:181], v[176:177]
	v_fma_f64 v[174:175], -v[174:175], v[182:183], v[180:181]
	s_nop 1
	v_div_fmas_f64 v[174:175], v[174:175], v[176:177], v[182:183]
	v_div_fixup_f64 v[176:177], v[174:175], v[172:173], 1.0
	v_mul_f64 v[178:179], v[178:179], -v[176:177]
.LBB83_214:
	s_or_b64 exec, exec, s[2:3]
	ds_write2_b64 v249, v[176:177], v[178:179] offset1:1
.LBB83_215:
	s_or_b64 exec, exec, s[4:5]
	s_waitcnt lgkmcnt(0)
	s_barrier
	ds_read2_b64 v[172:175], v249 offset1:1
	v_cmp_lt_u32_e32 vcc, 23, v248
	s_and_saveexec_b64 s[2:3], vcc
	s_cbranch_execz .LBB83_217
; %bb.216:
	ds_read2_b64 v[178:181], v250 offset0:48 offset1:49
	s_waitcnt lgkmcnt(1)
	v_mul_f64 v[176:177], v[174:175], v[70:71]
	v_mul_f64 v[70:71], v[172:173], v[70:71]
	v_fmac_f64_e32 v[70:71], v[174:175], v[68:69]
	v_fma_f64 v[176:177], v[172:173], v[68:69], -v[176:177]
	s_waitcnt lgkmcnt(0)
	v_mul_f64 v[68:69], v[180:181], v[70:71]
	v_fma_f64 v[68:69], v[178:179], v[176:177], -v[68:69]
	v_mul_f64 v[178:179], v[178:179], v[70:71]
	v_fmac_f64_e32 v[178:179], v[180:181], v[176:177]
	v_add_f64 v[66:67], v[66:67], -v[178:179]
	ds_read2_b64 v[178:181], v250 offset0:50 offset1:51
	v_add_f64 v[64:65], v[64:65], -v[68:69]
	s_waitcnt lgkmcnt(0)
	v_mul_f64 v[68:69], v[180:181], v[70:71]
	v_fma_f64 v[68:69], v[178:179], v[176:177], -v[68:69]
	v_mul_f64 v[178:179], v[178:179], v[70:71]
	v_fmac_f64_e32 v[178:179], v[180:181], v[176:177]
	v_add_f64 v[62:63], v[62:63], -v[178:179]
	ds_read2_b64 v[178:181], v250 offset0:52 offset1:53
	v_add_f64 v[60:61], v[60:61], -v[68:69]
	s_waitcnt lgkmcnt(0)
	v_mul_f64 v[68:69], v[180:181], v[70:71]
	v_fma_f64 v[68:69], v[178:179], v[176:177], -v[68:69]
	v_mul_f64 v[178:179], v[178:179], v[70:71]
	v_fmac_f64_e32 v[178:179], v[180:181], v[176:177]
	s_waitcnt vmcnt(47)
	v_add_f64 v[58:59], v[58:59], -v[178:179]
	ds_read2_b64 v[178:181], v250 offset0:54 offset1:55
	v_add_f64 v[56:57], v[56:57], -v[68:69]
	s_waitcnt lgkmcnt(0)
	v_mul_f64 v[68:69], v[180:181], v[70:71]
	v_fma_f64 v[68:69], v[178:179], v[176:177], -v[68:69]
	v_mul_f64 v[178:179], v[178:179], v[70:71]
	v_fmac_f64_e32 v[178:179], v[180:181], v[176:177]
	s_waitcnt vmcnt(35)
	v_add_f64 v[54:55], v[54:55], -v[178:179]
	ds_read2_b64 v[178:181], v250 offset0:56 offset1:57
	v_add_f64 v[52:53], v[52:53], -v[68:69]
	s_waitcnt lgkmcnt(0)
	v_mul_f64 v[68:69], v[180:181], v[70:71]
	v_fma_f64 v[68:69], v[178:179], v[176:177], -v[68:69]
	v_mul_f64 v[178:179], v[178:179], v[70:71]
	v_fmac_f64_e32 v[178:179], v[180:181], v[176:177]
	v_add_f64 v[50:51], v[50:51], -v[178:179]
	ds_read2_b64 v[178:181], v250 offset0:58 offset1:59
	v_add_f64 v[48:49], v[48:49], -v[68:69]
	s_waitcnt lgkmcnt(0)
	v_mul_f64 v[68:69], v[180:181], v[70:71]
	v_fma_f64 v[68:69], v[178:179], v[176:177], -v[68:69]
	v_mul_f64 v[178:179], v[178:179], v[70:71]
	v_fmac_f64_e32 v[178:179], v[180:181], v[176:177]
	;; [unrolled: 8-line block ×14, first 2 shown]
	v_add_f64 v[164:165], v[164:165], -v[68:69]
	v_add_f64 v[166:167], v[166:167], -v[178:179]
	v_mov_b64_e32 v[68:69], v[176:177]
.LBB83_217:
	s_or_b64 exec, exec, s[2:3]
	v_cmp_eq_u32_e32 vcc, 24, v248
	s_waitcnt lgkmcnt(0)
	s_barrier
	s_and_saveexec_b64 s[4:5], vcc
	s_cbranch_execz .LBB83_224
; %bb.218:
	ds_write2_b64 v249, v[64:65], v[66:67] offset1:1
	ds_write2_b64 v250, v[60:61], v[62:63] offset0:50 offset1:51
	s_waitcnt vmcnt(47)
	ds_write2_b64 v250, v[56:57], v[58:59] offset0:52 offset1:53
	s_waitcnt vmcnt(35)
	ds_write2_b64 v250, v[52:53], v[54:55] offset0:54 offset1:55
	ds_write2_b64 v250, v[48:49], v[50:51] offset0:56 offset1:57
	;; [unrolled: 1-line block ×15, first 2 shown]
	ds_read2_b64 v[176:179], v249 offset1:1
	s_waitcnt lgkmcnt(0)
	v_cmp_neq_f64_e32 vcc, 0, v[176:177]
	v_cmp_neq_f64_e64 s[2:3], 0, v[178:179]
	s_or_b64 s[2:3], vcc, s[2:3]
	s_and_b64 exec, exec, s[2:3]
	s_cbranch_execz .LBB83_224
; %bb.219:
	v_cmp_ngt_f64_e64 s[2:3], |v[176:177]|, |v[178:179]|
                                        ; implicit-def: $vgpr180_vgpr181
	s_and_saveexec_b64 s[10:11], s[2:3]
	s_xor_b64 s[2:3], exec, s[10:11]
                                        ; implicit-def: $vgpr182_vgpr183
	s_cbranch_execz .LBB83_221
; %bb.220:
	v_div_scale_f64 v[180:181], s[10:11], v[178:179], v[178:179], v[176:177]
	v_rcp_f64_e32 v[182:183], v[180:181]
	v_div_scale_f64 v[184:185], vcc, v[176:177], v[178:179], v[176:177]
	v_fma_f64 v[186:187], -v[180:181], v[182:183], 1.0
	v_fmac_f64_e32 v[182:183], v[182:183], v[186:187]
	v_fma_f64 v[186:187], -v[180:181], v[182:183], 1.0
	v_fmac_f64_e32 v[182:183], v[182:183], v[186:187]
	v_mul_f64 v[186:187], v[184:185], v[182:183]
	v_fma_f64 v[180:181], -v[180:181], v[186:187], v[184:185]
	v_div_fmas_f64 v[180:181], v[180:181], v[182:183], v[186:187]
	v_div_fixup_f64 v[180:181], v[180:181], v[178:179], v[176:177]
	v_fmac_f64_e32 v[178:179], v[176:177], v[180:181]
	v_div_scale_f64 v[176:177], s[10:11], v[178:179], v[178:179], 1.0
	v_rcp_f64_e32 v[182:183], v[176:177]
	s_nop 0
	v_fma_f64 v[184:185], -v[176:177], v[182:183], 1.0
	v_fmac_f64_e32 v[182:183], v[182:183], v[184:185]
	v_fma_f64 v[184:185], -v[176:177], v[182:183], 1.0
	v_fmac_f64_e32 v[182:183], v[182:183], v[184:185]
	v_div_scale_f64 v[184:185], vcc, 1.0, v[178:179], 1.0
	v_mul_f64 v[186:187], v[184:185], v[182:183]
	v_fma_f64 v[176:177], -v[176:177], v[186:187], v[184:185]
	s_nop 1
	v_div_fmas_f64 v[176:177], v[176:177], v[182:183], v[186:187]
	v_div_fixup_f64 v[182:183], v[176:177], v[178:179], 1.0
	v_mul_f64 v[180:181], v[180:181], v[182:183]
	v_xor_b32_e32 v183, 0x80000000, v183
                                        ; implicit-def: $vgpr176_vgpr177
.LBB83_221:
	s_andn2_saveexec_b64 s[2:3], s[2:3]
	s_cbranch_execz .LBB83_223
; %bb.222:
	v_div_scale_f64 v[180:181], s[10:11], v[176:177], v[176:177], v[178:179]
	v_rcp_f64_e32 v[182:183], v[180:181]
	v_div_scale_f64 v[184:185], vcc, v[178:179], v[176:177], v[178:179]
	v_fma_f64 v[186:187], -v[180:181], v[182:183], 1.0
	v_fmac_f64_e32 v[182:183], v[182:183], v[186:187]
	v_fma_f64 v[186:187], -v[180:181], v[182:183], 1.0
	v_fmac_f64_e32 v[182:183], v[182:183], v[186:187]
	v_mul_f64 v[186:187], v[184:185], v[182:183]
	v_fma_f64 v[180:181], -v[180:181], v[186:187], v[184:185]
	v_div_fmas_f64 v[180:181], v[180:181], v[182:183], v[186:187]
	v_div_fixup_f64 v[182:183], v[180:181], v[176:177], v[178:179]
	v_fmac_f64_e32 v[176:177], v[178:179], v[182:183]
	v_div_scale_f64 v[178:179], s[10:11], v[176:177], v[176:177], 1.0
	v_rcp_f64_e32 v[180:181], v[178:179]
	s_nop 0
	v_fma_f64 v[184:185], -v[178:179], v[180:181], 1.0
	v_fmac_f64_e32 v[180:181], v[180:181], v[184:185]
	v_fma_f64 v[184:185], -v[178:179], v[180:181], 1.0
	v_fmac_f64_e32 v[180:181], v[180:181], v[184:185]
	v_div_scale_f64 v[184:185], vcc, 1.0, v[176:177], 1.0
	v_mul_f64 v[186:187], v[184:185], v[180:181]
	v_fma_f64 v[178:179], -v[178:179], v[186:187], v[184:185]
	s_nop 1
	v_div_fmas_f64 v[178:179], v[178:179], v[180:181], v[186:187]
	v_div_fixup_f64 v[180:181], v[178:179], v[176:177], 1.0
	v_mul_f64 v[182:183], v[182:183], -v[180:181]
.LBB83_223:
	s_or_b64 exec, exec, s[2:3]
	ds_write2_b64 v249, v[180:181], v[182:183] offset1:1
.LBB83_224:
	s_or_b64 exec, exec, s[4:5]
	s_waitcnt lgkmcnt(0)
	s_barrier
	ds_read2_b64 v[176:179], v249 offset1:1
	v_cmp_lt_u32_e32 vcc, 24, v248
	s_and_saveexec_b64 s[2:3], vcc
	s_cbranch_execz .LBB83_226
; %bb.225:
	ds_read2_b64 v[182:185], v250 offset0:50 offset1:51
	s_waitcnt lgkmcnt(1)
	v_mul_f64 v[180:181], v[178:179], v[66:67]
	v_mul_f64 v[66:67], v[176:177], v[66:67]
	v_fmac_f64_e32 v[66:67], v[178:179], v[64:65]
	v_fma_f64 v[180:181], v[176:177], v[64:65], -v[180:181]
	s_waitcnt lgkmcnt(0)
	v_mul_f64 v[64:65], v[184:185], v[66:67]
	v_fma_f64 v[64:65], v[182:183], v[180:181], -v[64:65]
	v_mul_f64 v[182:183], v[182:183], v[66:67]
	v_fmac_f64_e32 v[182:183], v[184:185], v[180:181]
	v_add_f64 v[62:63], v[62:63], -v[182:183]
	ds_read2_b64 v[182:185], v250 offset0:52 offset1:53
	v_add_f64 v[60:61], v[60:61], -v[64:65]
	s_waitcnt lgkmcnt(0)
	v_mul_f64 v[64:65], v[184:185], v[66:67]
	v_fma_f64 v[64:65], v[182:183], v[180:181], -v[64:65]
	v_mul_f64 v[182:183], v[182:183], v[66:67]
	v_fmac_f64_e32 v[182:183], v[184:185], v[180:181]
	s_waitcnt vmcnt(47)
	v_add_f64 v[58:59], v[58:59], -v[182:183]
	ds_read2_b64 v[182:185], v250 offset0:54 offset1:55
	v_add_f64 v[56:57], v[56:57], -v[64:65]
	s_waitcnt lgkmcnt(0)
	v_mul_f64 v[64:65], v[184:185], v[66:67]
	v_fma_f64 v[64:65], v[182:183], v[180:181], -v[64:65]
	v_mul_f64 v[182:183], v[182:183], v[66:67]
	v_fmac_f64_e32 v[182:183], v[184:185], v[180:181]
	s_waitcnt vmcnt(35)
	v_add_f64 v[54:55], v[54:55], -v[182:183]
	ds_read2_b64 v[182:185], v250 offset0:56 offset1:57
	v_add_f64 v[52:53], v[52:53], -v[64:65]
	s_waitcnt lgkmcnt(0)
	v_mul_f64 v[64:65], v[184:185], v[66:67]
	v_fma_f64 v[64:65], v[182:183], v[180:181], -v[64:65]
	v_mul_f64 v[182:183], v[182:183], v[66:67]
	v_fmac_f64_e32 v[182:183], v[184:185], v[180:181]
	v_add_f64 v[50:51], v[50:51], -v[182:183]
	ds_read2_b64 v[182:185], v250 offset0:58 offset1:59
	v_add_f64 v[48:49], v[48:49], -v[64:65]
	s_waitcnt lgkmcnt(0)
	v_mul_f64 v[64:65], v[184:185], v[66:67]
	v_fma_f64 v[64:65], v[182:183], v[180:181], -v[64:65]
	v_mul_f64 v[182:183], v[182:183], v[66:67]
	v_fmac_f64_e32 v[182:183], v[184:185], v[180:181]
	;; [unrolled: 8-line block ×14, first 2 shown]
	v_add_f64 v[164:165], v[164:165], -v[64:65]
	v_add_f64 v[166:167], v[166:167], -v[182:183]
	v_mov_b64_e32 v[64:65], v[180:181]
.LBB83_226:
	s_or_b64 exec, exec, s[2:3]
	v_cmp_eq_u32_e32 vcc, 25, v248
	s_waitcnt lgkmcnt(0)
	s_barrier
	s_and_saveexec_b64 s[4:5], vcc
	s_cbranch_execz .LBB83_233
; %bb.227:
	ds_write2_b64 v249, v[60:61], v[62:63] offset1:1
	s_waitcnt vmcnt(47)
	ds_write2_b64 v250, v[56:57], v[58:59] offset0:52 offset1:53
	s_waitcnt vmcnt(35)
	ds_write2_b64 v250, v[52:53], v[54:55] offset0:54 offset1:55
	ds_write2_b64 v250, v[48:49], v[50:51] offset0:56 offset1:57
	;; [unrolled: 1-line block ×15, first 2 shown]
	ds_read2_b64 v[180:183], v249 offset1:1
	s_waitcnt lgkmcnt(0)
	v_cmp_neq_f64_e32 vcc, 0, v[180:181]
	v_cmp_neq_f64_e64 s[2:3], 0, v[182:183]
	s_or_b64 s[2:3], vcc, s[2:3]
	s_and_b64 exec, exec, s[2:3]
	s_cbranch_execz .LBB83_233
; %bb.228:
	v_cmp_ngt_f64_e64 s[2:3], |v[180:181]|, |v[182:183]|
                                        ; implicit-def: $vgpr184_vgpr185
	s_and_saveexec_b64 s[10:11], s[2:3]
	s_xor_b64 s[2:3], exec, s[10:11]
                                        ; implicit-def: $vgpr186_vgpr187
	s_cbranch_execz .LBB83_230
; %bb.229:
	v_div_scale_f64 v[184:185], s[10:11], v[182:183], v[182:183], v[180:181]
	v_rcp_f64_e32 v[186:187], v[184:185]
	v_div_scale_f64 v[188:189], vcc, v[180:181], v[182:183], v[180:181]
	v_fma_f64 v[190:191], -v[184:185], v[186:187], 1.0
	v_fmac_f64_e32 v[186:187], v[186:187], v[190:191]
	v_fma_f64 v[190:191], -v[184:185], v[186:187], 1.0
	v_fmac_f64_e32 v[186:187], v[186:187], v[190:191]
	v_mul_f64 v[190:191], v[188:189], v[186:187]
	v_fma_f64 v[184:185], -v[184:185], v[190:191], v[188:189]
	v_div_fmas_f64 v[184:185], v[184:185], v[186:187], v[190:191]
	v_div_fixup_f64 v[184:185], v[184:185], v[182:183], v[180:181]
	v_fmac_f64_e32 v[182:183], v[180:181], v[184:185]
	v_div_scale_f64 v[180:181], s[10:11], v[182:183], v[182:183], 1.0
	v_rcp_f64_e32 v[186:187], v[180:181]
	s_nop 0
	v_fma_f64 v[188:189], -v[180:181], v[186:187], 1.0
	v_fmac_f64_e32 v[186:187], v[186:187], v[188:189]
	v_fma_f64 v[188:189], -v[180:181], v[186:187], 1.0
	v_fmac_f64_e32 v[186:187], v[186:187], v[188:189]
	v_div_scale_f64 v[188:189], vcc, 1.0, v[182:183], 1.0
	v_mul_f64 v[190:191], v[188:189], v[186:187]
	v_fma_f64 v[180:181], -v[180:181], v[190:191], v[188:189]
	s_nop 1
	v_div_fmas_f64 v[180:181], v[180:181], v[186:187], v[190:191]
	v_div_fixup_f64 v[186:187], v[180:181], v[182:183], 1.0
	v_mul_f64 v[184:185], v[184:185], v[186:187]
	v_xor_b32_e32 v187, 0x80000000, v187
                                        ; implicit-def: $vgpr180_vgpr181
.LBB83_230:
	s_andn2_saveexec_b64 s[2:3], s[2:3]
	s_cbranch_execz .LBB83_232
; %bb.231:
	v_div_scale_f64 v[184:185], s[10:11], v[180:181], v[180:181], v[182:183]
	v_rcp_f64_e32 v[186:187], v[184:185]
	v_div_scale_f64 v[188:189], vcc, v[182:183], v[180:181], v[182:183]
	v_fma_f64 v[190:191], -v[184:185], v[186:187], 1.0
	v_fmac_f64_e32 v[186:187], v[186:187], v[190:191]
	v_fma_f64 v[190:191], -v[184:185], v[186:187], 1.0
	v_fmac_f64_e32 v[186:187], v[186:187], v[190:191]
	v_mul_f64 v[190:191], v[188:189], v[186:187]
	v_fma_f64 v[184:185], -v[184:185], v[190:191], v[188:189]
	v_div_fmas_f64 v[184:185], v[184:185], v[186:187], v[190:191]
	v_div_fixup_f64 v[186:187], v[184:185], v[180:181], v[182:183]
	v_fmac_f64_e32 v[180:181], v[182:183], v[186:187]
	v_div_scale_f64 v[182:183], s[10:11], v[180:181], v[180:181], 1.0
	v_rcp_f64_e32 v[184:185], v[182:183]
	s_nop 0
	v_fma_f64 v[188:189], -v[182:183], v[184:185], 1.0
	v_fmac_f64_e32 v[184:185], v[184:185], v[188:189]
	v_fma_f64 v[188:189], -v[182:183], v[184:185], 1.0
	v_fmac_f64_e32 v[184:185], v[184:185], v[188:189]
	v_div_scale_f64 v[188:189], vcc, 1.0, v[180:181], 1.0
	v_mul_f64 v[190:191], v[188:189], v[184:185]
	v_fma_f64 v[182:183], -v[182:183], v[190:191], v[188:189]
	s_nop 1
	v_div_fmas_f64 v[182:183], v[182:183], v[184:185], v[190:191]
	v_div_fixup_f64 v[184:185], v[182:183], v[180:181], 1.0
	v_mul_f64 v[186:187], v[186:187], -v[184:185]
.LBB83_232:
	s_or_b64 exec, exec, s[2:3]
	ds_write2_b64 v249, v[184:185], v[186:187] offset1:1
.LBB83_233:
	s_or_b64 exec, exec, s[4:5]
	s_waitcnt lgkmcnt(0)
	s_barrier
	ds_read2_b64 v[180:183], v249 offset1:1
	v_cmp_lt_u32_e32 vcc, 25, v248
	s_and_saveexec_b64 s[2:3], vcc
	s_cbranch_execz .LBB83_235
; %bb.234:
	ds_read2_b64 v[186:189], v250 offset0:52 offset1:53
	s_waitcnt lgkmcnt(1)
	v_mul_f64 v[184:185], v[180:181], v[62:63]
	v_fmac_f64_e32 v[184:185], v[182:183], v[60:61]
	v_mul_f64 v[62:63], v[182:183], v[62:63]
	v_fma_f64 v[60:61], v[180:181], v[60:61], -v[62:63]
	s_waitcnt lgkmcnt(0)
	v_mul_f64 v[62:63], v[188:189], v[184:185]
	v_fma_f64 v[62:63], v[186:187], v[60:61], -v[62:63]
	v_mul_f64 v[186:187], v[186:187], v[184:185]
	v_fmac_f64_e32 v[186:187], v[188:189], v[60:61]
	s_waitcnt vmcnt(47)
	v_add_f64 v[58:59], v[58:59], -v[186:187]
	ds_read2_b64 v[186:189], v250 offset0:54 offset1:55
	v_add_f64 v[56:57], v[56:57], -v[62:63]
	s_waitcnt lgkmcnt(0)
	v_mul_f64 v[62:63], v[188:189], v[184:185]
	v_fma_f64 v[62:63], v[186:187], v[60:61], -v[62:63]
	v_mul_f64 v[186:187], v[186:187], v[184:185]
	v_fmac_f64_e32 v[186:187], v[188:189], v[60:61]
	s_waitcnt vmcnt(35)
	v_add_f64 v[54:55], v[54:55], -v[186:187]
	ds_read2_b64 v[186:189], v250 offset0:56 offset1:57
	v_add_f64 v[52:53], v[52:53], -v[62:63]
	s_waitcnt lgkmcnt(0)
	v_mul_f64 v[62:63], v[188:189], v[184:185]
	v_fma_f64 v[62:63], v[186:187], v[60:61], -v[62:63]
	v_mul_f64 v[186:187], v[186:187], v[184:185]
	v_fmac_f64_e32 v[186:187], v[188:189], v[60:61]
	v_add_f64 v[50:51], v[50:51], -v[186:187]
	ds_read2_b64 v[186:189], v250 offset0:58 offset1:59
	v_add_f64 v[48:49], v[48:49], -v[62:63]
	s_waitcnt lgkmcnt(0)
	v_mul_f64 v[62:63], v[188:189], v[184:185]
	v_fma_f64 v[62:63], v[186:187], v[60:61], -v[62:63]
	v_mul_f64 v[186:187], v[186:187], v[184:185]
	v_fmac_f64_e32 v[186:187], v[188:189], v[60:61]
	;; [unrolled: 8-line block ×14, first 2 shown]
	v_add_f64 v[164:165], v[164:165], -v[62:63]
	v_add_f64 v[166:167], v[166:167], -v[186:187]
	v_mov_b64_e32 v[62:63], v[184:185]
.LBB83_235:
	s_or_b64 exec, exec, s[2:3]
	v_cmp_eq_u32_e32 vcc, 26, v248
	s_waitcnt lgkmcnt(0)
	s_barrier
	s_and_saveexec_b64 s[4:5], vcc
	s_cbranch_execz .LBB83_242
; %bb.236:
	s_waitcnt vmcnt(47)
	ds_write2_b64 v249, v[56:57], v[58:59] offset1:1
	s_waitcnt vmcnt(35)
	ds_write2_b64 v250, v[52:53], v[54:55] offset0:54 offset1:55
	ds_write2_b64 v250, v[48:49], v[50:51] offset0:56 offset1:57
	;; [unrolled: 1-line block ×15, first 2 shown]
	ds_read2_b64 v[184:187], v249 offset1:1
	s_waitcnt lgkmcnt(0)
	v_cmp_neq_f64_e32 vcc, 0, v[184:185]
	v_cmp_neq_f64_e64 s[2:3], 0, v[186:187]
	s_or_b64 s[2:3], vcc, s[2:3]
	s_and_b64 exec, exec, s[2:3]
	s_cbranch_execz .LBB83_242
; %bb.237:
	v_cmp_ngt_f64_e64 s[2:3], |v[184:185]|, |v[186:187]|
                                        ; implicit-def: $vgpr188_vgpr189
	s_and_saveexec_b64 s[10:11], s[2:3]
	s_xor_b64 s[2:3], exec, s[10:11]
                                        ; implicit-def: $vgpr190_vgpr191
	s_cbranch_execz .LBB83_239
; %bb.238:
	v_div_scale_f64 v[188:189], s[10:11], v[186:187], v[186:187], v[184:185]
	v_rcp_f64_e32 v[190:191], v[188:189]
	v_div_scale_f64 v[192:193], vcc, v[184:185], v[186:187], v[184:185]
	v_fma_f64 v[194:195], -v[188:189], v[190:191], 1.0
	v_fmac_f64_e32 v[190:191], v[190:191], v[194:195]
	v_fma_f64 v[194:195], -v[188:189], v[190:191], 1.0
	v_fmac_f64_e32 v[190:191], v[190:191], v[194:195]
	v_mul_f64 v[194:195], v[192:193], v[190:191]
	v_fma_f64 v[188:189], -v[188:189], v[194:195], v[192:193]
	v_div_fmas_f64 v[188:189], v[188:189], v[190:191], v[194:195]
	v_div_fixup_f64 v[188:189], v[188:189], v[186:187], v[184:185]
	v_fmac_f64_e32 v[186:187], v[184:185], v[188:189]
	v_div_scale_f64 v[184:185], s[10:11], v[186:187], v[186:187], 1.0
	v_rcp_f64_e32 v[190:191], v[184:185]
	s_nop 0
	v_fma_f64 v[192:193], -v[184:185], v[190:191], 1.0
	v_fmac_f64_e32 v[190:191], v[190:191], v[192:193]
	v_fma_f64 v[192:193], -v[184:185], v[190:191], 1.0
	v_fmac_f64_e32 v[190:191], v[190:191], v[192:193]
	v_div_scale_f64 v[192:193], vcc, 1.0, v[186:187], 1.0
	v_mul_f64 v[194:195], v[192:193], v[190:191]
	v_fma_f64 v[184:185], -v[184:185], v[194:195], v[192:193]
	s_nop 1
	v_div_fmas_f64 v[184:185], v[184:185], v[190:191], v[194:195]
	v_div_fixup_f64 v[190:191], v[184:185], v[186:187], 1.0
	v_mul_f64 v[188:189], v[188:189], v[190:191]
	v_xor_b32_e32 v191, 0x80000000, v191
                                        ; implicit-def: $vgpr184_vgpr185
.LBB83_239:
	s_andn2_saveexec_b64 s[2:3], s[2:3]
	s_cbranch_execz .LBB83_241
; %bb.240:
	v_div_scale_f64 v[188:189], s[10:11], v[184:185], v[184:185], v[186:187]
	v_rcp_f64_e32 v[190:191], v[188:189]
	v_div_scale_f64 v[192:193], vcc, v[186:187], v[184:185], v[186:187]
	v_fma_f64 v[194:195], -v[188:189], v[190:191], 1.0
	v_fmac_f64_e32 v[190:191], v[190:191], v[194:195]
	v_fma_f64 v[194:195], -v[188:189], v[190:191], 1.0
	v_fmac_f64_e32 v[190:191], v[190:191], v[194:195]
	v_mul_f64 v[194:195], v[192:193], v[190:191]
	v_fma_f64 v[188:189], -v[188:189], v[194:195], v[192:193]
	v_div_fmas_f64 v[188:189], v[188:189], v[190:191], v[194:195]
	v_div_fixup_f64 v[190:191], v[188:189], v[184:185], v[186:187]
	v_fmac_f64_e32 v[184:185], v[186:187], v[190:191]
	v_div_scale_f64 v[186:187], s[10:11], v[184:185], v[184:185], 1.0
	v_rcp_f64_e32 v[188:189], v[186:187]
	s_nop 0
	v_fma_f64 v[192:193], -v[186:187], v[188:189], 1.0
	v_fmac_f64_e32 v[188:189], v[188:189], v[192:193]
	v_fma_f64 v[192:193], -v[186:187], v[188:189], 1.0
	v_fmac_f64_e32 v[188:189], v[188:189], v[192:193]
	v_div_scale_f64 v[192:193], vcc, 1.0, v[184:185], 1.0
	v_mul_f64 v[194:195], v[192:193], v[188:189]
	v_fma_f64 v[186:187], -v[186:187], v[194:195], v[192:193]
	s_nop 1
	v_div_fmas_f64 v[186:187], v[186:187], v[188:189], v[194:195]
	v_div_fixup_f64 v[188:189], v[186:187], v[184:185], 1.0
	v_mul_f64 v[190:191], v[190:191], -v[188:189]
.LBB83_241:
	s_or_b64 exec, exec, s[2:3]
	ds_write2_b64 v249, v[188:189], v[190:191] offset1:1
.LBB83_242:
	s_or_b64 exec, exec, s[4:5]
	s_waitcnt lgkmcnt(0)
	s_barrier
	ds_read2_b64 v[184:187], v249 offset1:1
	v_cmp_lt_u32_e32 vcc, 26, v248
	s_and_saveexec_b64 s[2:3], vcc
	s_cbranch_execz .LBB83_244
; %bb.243:
	ds_read2_b64 v[190:193], v250 offset0:54 offset1:55
	s_waitcnt vmcnt(47) lgkmcnt(1)
	v_mul_f64 v[188:189], v[184:185], v[58:59]
	v_fmac_f64_e32 v[188:189], v[186:187], v[56:57]
	v_mul_f64 v[58:59], v[186:187], v[58:59]
	v_fma_f64 v[56:57], v[184:185], v[56:57], -v[58:59]
	s_waitcnt lgkmcnt(0)
	v_mul_f64 v[58:59], v[192:193], v[188:189]
	v_fma_f64 v[58:59], v[190:191], v[56:57], -v[58:59]
	v_mul_f64 v[190:191], v[190:191], v[188:189]
	v_fmac_f64_e32 v[190:191], v[192:193], v[56:57]
	s_waitcnt vmcnt(35)
	v_add_f64 v[54:55], v[54:55], -v[190:191]
	ds_read2_b64 v[190:193], v250 offset0:56 offset1:57
	v_add_f64 v[52:53], v[52:53], -v[58:59]
	s_waitcnt lgkmcnt(0)
	v_mul_f64 v[58:59], v[192:193], v[188:189]
	v_fma_f64 v[58:59], v[190:191], v[56:57], -v[58:59]
	v_mul_f64 v[190:191], v[190:191], v[188:189]
	v_fmac_f64_e32 v[190:191], v[192:193], v[56:57]
	v_add_f64 v[50:51], v[50:51], -v[190:191]
	ds_read2_b64 v[190:193], v250 offset0:58 offset1:59
	v_add_f64 v[48:49], v[48:49], -v[58:59]
	s_waitcnt lgkmcnt(0)
	v_mul_f64 v[58:59], v[192:193], v[188:189]
	v_fma_f64 v[58:59], v[190:191], v[56:57], -v[58:59]
	v_mul_f64 v[190:191], v[190:191], v[188:189]
	v_fmac_f64_e32 v[190:191], v[192:193], v[56:57]
	v_add_f64 v[46:47], v[46:47], -v[190:191]
	ds_read2_b64 v[190:193], v250 offset0:60 offset1:61
	v_add_f64 v[44:45], v[44:45], -v[58:59]
	s_waitcnt lgkmcnt(0)
	v_mul_f64 v[58:59], v[192:193], v[188:189]
	v_fma_f64 v[58:59], v[190:191], v[56:57], -v[58:59]
	v_mul_f64 v[190:191], v[190:191], v[188:189]
	v_fmac_f64_e32 v[190:191], v[192:193], v[56:57]
	v_add_f64 v[42:43], v[42:43], -v[190:191]
	ds_read2_b64 v[190:193], v250 offset0:62 offset1:63
	v_add_f64 v[40:41], v[40:41], -v[58:59]
	s_waitcnt lgkmcnt(0)
	v_mul_f64 v[58:59], v[192:193], v[188:189]
	v_fma_f64 v[58:59], v[190:191], v[56:57], -v[58:59]
	v_mul_f64 v[190:191], v[190:191], v[188:189]
	v_fmac_f64_e32 v[190:191], v[192:193], v[56:57]
	v_add_f64 v[38:39], v[38:39], -v[190:191]
	ds_read2_b64 v[190:193], v250 offset0:64 offset1:65
	v_add_f64 v[36:37], v[36:37], -v[58:59]
	s_waitcnt lgkmcnt(0)
	v_mul_f64 v[58:59], v[192:193], v[188:189]
	v_fma_f64 v[58:59], v[190:191], v[56:57], -v[58:59]
	v_mul_f64 v[190:191], v[190:191], v[188:189]
	v_fmac_f64_e32 v[190:191], v[192:193], v[56:57]
	v_add_f64 v[34:35], v[34:35], -v[190:191]
	ds_read2_b64 v[190:193], v250 offset0:66 offset1:67
	v_add_f64 v[32:33], v[32:33], -v[58:59]
	s_waitcnt lgkmcnt(0)
	v_mul_f64 v[58:59], v[192:193], v[188:189]
	v_fma_f64 v[58:59], v[190:191], v[56:57], -v[58:59]
	v_mul_f64 v[190:191], v[190:191], v[188:189]
	v_fmac_f64_e32 v[190:191], v[192:193], v[56:57]
	v_add_f64 v[30:31], v[30:31], -v[190:191]
	ds_read2_b64 v[190:193], v250 offset0:68 offset1:69
	v_add_f64 v[28:29], v[28:29], -v[58:59]
	s_waitcnt lgkmcnt(0)
	v_mul_f64 v[58:59], v[192:193], v[188:189]
	v_fma_f64 v[58:59], v[190:191], v[56:57], -v[58:59]
	v_mul_f64 v[190:191], v[190:191], v[188:189]
	v_fmac_f64_e32 v[190:191], v[192:193], v[56:57]
	v_add_f64 v[26:27], v[26:27], -v[190:191]
	ds_read2_b64 v[190:193], v250 offset0:70 offset1:71
	v_add_f64 v[24:25], v[24:25], -v[58:59]
	s_waitcnt lgkmcnt(0)
	v_mul_f64 v[58:59], v[192:193], v[188:189]
	v_fma_f64 v[58:59], v[190:191], v[56:57], -v[58:59]
	v_mul_f64 v[190:191], v[190:191], v[188:189]
	v_fmac_f64_e32 v[190:191], v[192:193], v[56:57]
	v_add_f64 v[22:23], v[22:23], -v[190:191]
	ds_read2_b64 v[190:193], v250 offset0:72 offset1:73
	v_add_f64 v[20:21], v[20:21], -v[58:59]
	s_waitcnt lgkmcnt(0)
	v_mul_f64 v[58:59], v[192:193], v[188:189]
	v_fma_f64 v[58:59], v[190:191], v[56:57], -v[58:59]
	v_mul_f64 v[190:191], v[190:191], v[188:189]
	v_fmac_f64_e32 v[190:191], v[192:193], v[56:57]
	v_add_f64 v[18:19], v[18:19], -v[190:191]
	ds_read2_b64 v[190:193], v250 offset0:74 offset1:75
	v_add_f64 v[16:17], v[16:17], -v[58:59]
	s_waitcnt lgkmcnt(0)
	v_mul_f64 v[58:59], v[192:193], v[188:189]
	v_fma_f64 v[58:59], v[190:191], v[56:57], -v[58:59]
	v_mul_f64 v[190:191], v[190:191], v[188:189]
	v_fmac_f64_e32 v[190:191], v[192:193], v[56:57]
	v_add_f64 v[14:15], v[14:15], -v[190:191]
	ds_read2_b64 v[190:193], v250 offset0:76 offset1:77
	v_add_f64 v[12:13], v[12:13], -v[58:59]
	s_waitcnt lgkmcnt(0)
	v_mul_f64 v[58:59], v[192:193], v[188:189]
	v_fma_f64 v[58:59], v[190:191], v[56:57], -v[58:59]
	v_mul_f64 v[190:191], v[190:191], v[188:189]
	v_fmac_f64_e32 v[190:191], v[192:193], v[56:57]
	v_add_f64 v[10:11], v[10:11], -v[190:191]
	ds_read2_b64 v[190:193], v250 offset0:78 offset1:79
	v_add_f64 v[8:9], v[8:9], -v[58:59]
	s_waitcnt lgkmcnt(0)
	v_mul_f64 v[58:59], v[192:193], v[188:189]
	v_fma_f64 v[58:59], v[190:191], v[56:57], -v[58:59]
	v_mul_f64 v[190:191], v[190:191], v[188:189]
	v_fmac_f64_e32 v[190:191], v[192:193], v[56:57]
	v_add_f64 v[6:7], v[6:7], -v[190:191]
	ds_read2_b64 v[190:193], v250 offset0:80 offset1:81
	v_add_f64 v[4:5], v[4:5], -v[58:59]
	s_waitcnt lgkmcnt(0)
	v_mul_f64 v[58:59], v[192:193], v[188:189]
	v_fma_f64 v[58:59], v[190:191], v[56:57], -v[58:59]
	v_mul_f64 v[190:191], v[190:191], v[188:189]
	v_fmac_f64_e32 v[190:191], v[192:193], v[56:57]
	v_add_f64 v[2:3], v[2:3], -v[190:191]
	ds_read2_b64 v[190:193], v250 offset0:82 offset1:83
	v_add_f64 v[0:1], v[0:1], -v[58:59]
	s_waitcnt lgkmcnt(0)
	v_mul_f64 v[58:59], v[192:193], v[188:189]
	v_fma_f64 v[58:59], v[190:191], v[56:57], -v[58:59]
	v_mul_f64 v[190:191], v[190:191], v[188:189]
	v_fmac_f64_e32 v[190:191], v[192:193], v[56:57]
	v_add_f64 v[164:165], v[164:165], -v[58:59]
	v_add_f64 v[166:167], v[166:167], -v[190:191]
	v_mov_b64_e32 v[58:59], v[188:189]
.LBB83_244:
	s_or_b64 exec, exec, s[2:3]
	v_cmp_eq_u32_e32 vcc, 27, v248
	s_waitcnt lgkmcnt(0)
	s_barrier
	s_and_saveexec_b64 s[4:5], vcc
	s_cbranch_execz .LBB83_251
; %bb.245:
	s_waitcnt vmcnt(35)
	ds_write2_b64 v249, v[52:53], v[54:55] offset1:1
	ds_write2_b64 v250, v[48:49], v[50:51] offset0:56 offset1:57
	ds_write2_b64 v250, v[44:45], v[46:47] offset0:58 offset1:59
	;; [unrolled: 1-line block ×14, first 2 shown]
	ds_read2_b64 v[188:191], v249 offset1:1
	s_waitcnt lgkmcnt(0)
	v_cmp_neq_f64_e32 vcc, 0, v[188:189]
	v_cmp_neq_f64_e64 s[2:3], 0, v[190:191]
	s_or_b64 s[2:3], vcc, s[2:3]
	s_and_b64 exec, exec, s[2:3]
	s_cbranch_execz .LBB83_251
; %bb.246:
	v_cmp_ngt_f64_e64 s[2:3], |v[188:189]|, |v[190:191]|
                                        ; implicit-def: $vgpr192_vgpr193
	s_and_saveexec_b64 s[10:11], s[2:3]
	s_xor_b64 s[2:3], exec, s[10:11]
                                        ; implicit-def: $vgpr194_vgpr195
	s_cbranch_execz .LBB83_248
; %bb.247:
	v_div_scale_f64 v[192:193], s[10:11], v[190:191], v[190:191], v[188:189]
	v_rcp_f64_e32 v[194:195], v[192:193]
	v_div_scale_f64 v[196:197], vcc, v[188:189], v[190:191], v[188:189]
	v_fma_f64 v[198:199], -v[192:193], v[194:195], 1.0
	v_fmac_f64_e32 v[194:195], v[194:195], v[198:199]
	v_fma_f64 v[198:199], -v[192:193], v[194:195], 1.0
	v_fmac_f64_e32 v[194:195], v[194:195], v[198:199]
	v_mul_f64 v[198:199], v[196:197], v[194:195]
	v_fma_f64 v[192:193], -v[192:193], v[198:199], v[196:197]
	v_div_fmas_f64 v[192:193], v[192:193], v[194:195], v[198:199]
	v_div_fixup_f64 v[192:193], v[192:193], v[190:191], v[188:189]
	v_fmac_f64_e32 v[190:191], v[188:189], v[192:193]
	v_div_scale_f64 v[188:189], s[10:11], v[190:191], v[190:191], 1.0
	v_rcp_f64_e32 v[194:195], v[188:189]
	s_nop 0
	v_fma_f64 v[196:197], -v[188:189], v[194:195], 1.0
	v_fmac_f64_e32 v[194:195], v[194:195], v[196:197]
	v_fma_f64 v[196:197], -v[188:189], v[194:195], 1.0
	v_fmac_f64_e32 v[194:195], v[194:195], v[196:197]
	v_div_scale_f64 v[196:197], vcc, 1.0, v[190:191], 1.0
	v_mul_f64 v[198:199], v[196:197], v[194:195]
	v_fma_f64 v[188:189], -v[188:189], v[198:199], v[196:197]
	s_nop 1
	v_div_fmas_f64 v[188:189], v[188:189], v[194:195], v[198:199]
	v_div_fixup_f64 v[194:195], v[188:189], v[190:191], 1.0
	v_mul_f64 v[192:193], v[192:193], v[194:195]
	v_xor_b32_e32 v195, 0x80000000, v195
                                        ; implicit-def: $vgpr188_vgpr189
.LBB83_248:
	s_andn2_saveexec_b64 s[2:3], s[2:3]
	s_cbranch_execz .LBB83_250
; %bb.249:
	v_div_scale_f64 v[192:193], s[10:11], v[188:189], v[188:189], v[190:191]
	v_rcp_f64_e32 v[194:195], v[192:193]
	v_div_scale_f64 v[196:197], vcc, v[190:191], v[188:189], v[190:191]
	v_fma_f64 v[198:199], -v[192:193], v[194:195], 1.0
	v_fmac_f64_e32 v[194:195], v[194:195], v[198:199]
	v_fma_f64 v[198:199], -v[192:193], v[194:195], 1.0
	v_fmac_f64_e32 v[194:195], v[194:195], v[198:199]
	v_mul_f64 v[198:199], v[196:197], v[194:195]
	v_fma_f64 v[192:193], -v[192:193], v[198:199], v[196:197]
	v_div_fmas_f64 v[192:193], v[192:193], v[194:195], v[198:199]
	v_div_fixup_f64 v[194:195], v[192:193], v[188:189], v[190:191]
	v_fmac_f64_e32 v[188:189], v[190:191], v[194:195]
	v_div_scale_f64 v[190:191], s[10:11], v[188:189], v[188:189], 1.0
	v_rcp_f64_e32 v[192:193], v[190:191]
	s_nop 0
	v_fma_f64 v[196:197], -v[190:191], v[192:193], 1.0
	v_fmac_f64_e32 v[192:193], v[192:193], v[196:197]
	v_fma_f64 v[196:197], -v[190:191], v[192:193], 1.0
	v_fmac_f64_e32 v[192:193], v[192:193], v[196:197]
	v_div_scale_f64 v[196:197], vcc, 1.0, v[188:189], 1.0
	v_mul_f64 v[198:199], v[196:197], v[192:193]
	v_fma_f64 v[190:191], -v[190:191], v[198:199], v[196:197]
	s_nop 1
	v_div_fmas_f64 v[190:191], v[190:191], v[192:193], v[198:199]
	v_div_fixup_f64 v[192:193], v[190:191], v[188:189], 1.0
	v_mul_f64 v[194:195], v[194:195], -v[192:193]
.LBB83_250:
	s_or_b64 exec, exec, s[2:3]
	ds_write2_b64 v249, v[192:193], v[194:195] offset1:1
.LBB83_251:
	s_or_b64 exec, exec, s[4:5]
	s_waitcnt lgkmcnt(0)
	s_barrier
	ds_read2_b64 v[188:191], v249 offset1:1
	v_cmp_lt_u32_e32 vcc, 27, v248
	s_and_saveexec_b64 s[2:3], vcc
	s_cbranch_execz .LBB83_253
; %bb.252:
	ds_read2_b64 v[194:197], v250 offset0:56 offset1:57
	s_waitcnt vmcnt(35) lgkmcnt(1)
	v_mul_f64 v[192:193], v[188:189], v[54:55]
	v_fmac_f64_e32 v[192:193], v[190:191], v[52:53]
	v_mul_f64 v[54:55], v[190:191], v[54:55]
	v_fma_f64 v[52:53], v[188:189], v[52:53], -v[54:55]
	s_waitcnt lgkmcnt(0)
	v_mul_f64 v[54:55], v[196:197], v[192:193]
	v_fma_f64 v[54:55], v[194:195], v[52:53], -v[54:55]
	v_mul_f64 v[194:195], v[194:195], v[192:193]
	v_fmac_f64_e32 v[194:195], v[196:197], v[52:53]
	v_add_f64 v[50:51], v[50:51], -v[194:195]
	ds_read2_b64 v[194:197], v250 offset0:58 offset1:59
	v_add_f64 v[48:49], v[48:49], -v[54:55]
	s_waitcnt lgkmcnt(0)
	v_mul_f64 v[54:55], v[196:197], v[192:193]
	v_fma_f64 v[54:55], v[194:195], v[52:53], -v[54:55]
	v_mul_f64 v[194:195], v[194:195], v[192:193]
	v_fmac_f64_e32 v[194:195], v[196:197], v[52:53]
	v_add_f64 v[46:47], v[46:47], -v[194:195]
	ds_read2_b64 v[194:197], v250 offset0:60 offset1:61
	v_add_f64 v[44:45], v[44:45], -v[54:55]
	;; [unrolled: 8-line block ×13, first 2 shown]
	s_waitcnt lgkmcnt(0)
	v_mul_f64 v[54:55], v[196:197], v[192:193]
	v_fma_f64 v[54:55], v[194:195], v[52:53], -v[54:55]
	v_mul_f64 v[194:195], v[194:195], v[192:193]
	v_fmac_f64_e32 v[194:195], v[196:197], v[52:53]
	v_add_f64 v[164:165], v[164:165], -v[54:55]
	v_add_f64 v[166:167], v[166:167], -v[194:195]
	v_mov_b64_e32 v[54:55], v[192:193]
.LBB83_253:
	s_or_b64 exec, exec, s[2:3]
	v_cmp_eq_u32_e32 vcc, 28, v248
	s_waitcnt lgkmcnt(0)
	s_barrier
	s_and_saveexec_b64 s[4:5], vcc
	s_cbranch_execz .LBB83_260
; %bb.254:
	s_waitcnt vmcnt(51)
	ds_write2_b64 v249, v[48:49], v[50:51] offset1:1
	s_waitcnt vmcnt(49)
	ds_write2_b64 v250, v[44:45], v[46:47] offset0:58 offset1:59
	s_waitcnt vmcnt(48)
	ds_write2_b64 v250, v[40:41], v[42:43] offset0:60 offset1:61
	s_waitcnt vmcnt(46)
	ds_write2_b64 v250, v[36:37], v[38:39] offset0:62 offset1:63
	s_waitcnt vmcnt(45)
	ds_write2_b64 v250, v[32:33], v[34:35] offset0:64 offset1:65
	s_waitcnt vmcnt(44)
	ds_write2_b64 v250, v[28:29], v[30:31] offset0:66 offset1:67
	s_waitcnt vmcnt(43)
	ds_write2_b64 v250, v[24:25], v[26:27] offset0:68 offset1:69
	s_waitcnt vmcnt(42)
	ds_write2_b64 v250, v[20:21], v[22:23] offset0:70 offset1:71
	s_waitcnt vmcnt(41)
	ds_write2_b64 v250, v[16:17], v[18:19] offset0:72 offset1:73
	s_waitcnt vmcnt(40)
	ds_write2_b64 v250, v[12:13], v[14:15] offset0:74 offset1:75
	s_waitcnt vmcnt(39)
	ds_write2_b64 v250, v[8:9], v[10:11] offset0:76 offset1:77
	s_waitcnt vmcnt(38)
	ds_write2_b64 v250, v[4:5], v[6:7] offset0:78 offset1:79
	s_waitcnt vmcnt(37)
	ds_write2_b64 v250, v[0:1], v[2:3] offset0:80 offset1:81
	s_waitcnt vmcnt(36)
	ds_write2_b64 v250, v[164:165], v[166:167] offset0:82 offset1:83
	ds_read2_b64 v[192:195], v249 offset1:1
	s_waitcnt lgkmcnt(0)
	v_cmp_neq_f64_e32 vcc, 0, v[192:193]
	v_cmp_neq_f64_e64 s[2:3], 0, v[194:195]
	s_or_b64 s[2:3], vcc, s[2:3]
	s_and_b64 exec, exec, s[2:3]
	s_cbranch_execz .LBB83_260
; %bb.255:
	v_cmp_ngt_f64_e64 s[2:3], |v[192:193]|, |v[194:195]|
                                        ; implicit-def: $vgpr196_vgpr197
	s_and_saveexec_b64 s[10:11], s[2:3]
	s_xor_b64 s[2:3], exec, s[10:11]
                                        ; implicit-def: $vgpr198_vgpr199
	s_cbranch_execz .LBB83_257
; %bb.256:
	v_div_scale_f64 v[196:197], s[10:11], v[194:195], v[194:195], v[192:193]
	v_rcp_f64_e32 v[198:199], v[196:197]
	v_div_scale_f64 v[200:201], vcc, v[192:193], v[194:195], v[192:193]
	v_fma_f64 v[202:203], -v[196:197], v[198:199], 1.0
	v_fmac_f64_e32 v[198:199], v[198:199], v[202:203]
	v_fma_f64 v[202:203], -v[196:197], v[198:199], 1.0
	v_fmac_f64_e32 v[198:199], v[198:199], v[202:203]
	v_mul_f64 v[202:203], v[200:201], v[198:199]
	v_fma_f64 v[196:197], -v[196:197], v[202:203], v[200:201]
	v_div_fmas_f64 v[196:197], v[196:197], v[198:199], v[202:203]
	v_div_fixup_f64 v[196:197], v[196:197], v[194:195], v[192:193]
	v_fmac_f64_e32 v[194:195], v[192:193], v[196:197]
	v_div_scale_f64 v[192:193], s[10:11], v[194:195], v[194:195], 1.0
	v_rcp_f64_e32 v[198:199], v[192:193]
	s_nop 0
	v_fma_f64 v[200:201], -v[192:193], v[198:199], 1.0
	v_fmac_f64_e32 v[198:199], v[198:199], v[200:201]
	v_fma_f64 v[200:201], -v[192:193], v[198:199], 1.0
	v_fmac_f64_e32 v[198:199], v[198:199], v[200:201]
	v_div_scale_f64 v[200:201], vcc, 1.0, v[194:195], 1.0
	v_mul_f64 v[202:203], v[200:201], v[198:199]
	v_fma_f64 v[192:193], -v[192:193], v[202:203], v[200:201]
	s_nop 1
	v_div_fmas_f64 v[192:193], v[192:193], v[198:199], v[202:203]
	v_div_fixup_f64 v[198:199], v[192:193], v[194:195], 1.0
	v_mul_f64 v[196:197], v[196:197], v[198:199]
	v_xor_b32_e32 v199, 0x80000000, v199
                                        ; implicit-def: $vgpr192_vgpr193
.LBB83_257:
	s_andn2_saveexec_b64 s[2:3], s[2:3]
	s_cbranch_execz .LBB83_259
; %bb.258:
	v_div_scale_f64 v[196:197], s[10:11], v[192:193], v[192:193], v[194:195]
	v_rcp_f64_e32 v[198:199], v[196:197]
	v_div_scale_f64 v[200:201], vcc, v[194:195], v[192:193], v[194:195]
	v_fma_f64 v[202:203], -v[196:197], v[198:199], 1.0
	v_fmac_f64_e32 v[198:199], v[198:199], v[202:203]
	v_fma_f64 v[202:203], -v[196:197], v[198:199], 1.0
	v_fmac_f64_e32 v[198:199], v[198:199], v[202:203]
	v_mul_f64 v[202:203], v[200:201], v[198:199]
	v_fma_f64 v[196:197], -v[196:197], v[202:203], v[200:201]
	v_div_fmas_f64 v[196:197], v[196:197], v[198:199], v[202:203]
	v_div_fixup_f64 v[198:199], v[196:197], v[192:193], v[194:195]
	v_fmac_f64_e32 v[192:193], v[194:195], v[198:199]
	v_div_scale_f64 v[194:195], s[10:11], v[192:193], v[192:193], 1.0
	v_rcp_f64_e32 v[196:197], v[194:195]
	s_nop 0
	v_fma_f64 v[200:201], -v[194:195], v[196:197], 1.0
	v_fmac_f64_e32 v[196:197], v[196:197], v[200:201]
	v_fma_f64 v[200:201], -v[194:195], v[196:197], 1.0
	v_fmac_f64_e32 v[196:197], v[196:197], v[200:201]
	v_div_scale_f64 v[200:201], vcc, 1.0, v[192:193], 1.0
	v_mul_f64 v[202:203], v[200:201], v[196:197]
	v_fma_f64 v[194:195], -v[194:195], v[202:203], v[200:201]
	s_nop 1
	v_div_fmas_f64 v[194:195], v[194:195], v[196:197], v[202:203]
	v_div_fixup_f64 v[196:197], v[194:195], v[192:193], 1.0
	v_mul_f64 v[198:199], v[198:199], -v[196:197]
.LBB83_259:
	s_or_b64 exec, exec, s[2:3]
	ds_write2_b64 v249, v[196:197], v[198:199] offset1:1
.LBB83_260:
	s_or_b64 exec, exec, s[4:5]
	s_waitcnt lgkmcnt(0)
	s_barrier
	ds_read2_b64 v[192:195], v249 offset1:1
	v_cmp_lt_u32_e32 vcc, 28, v248
	s_and_saveexec_b64 s[2:3], vcc
	s_cbranch_execz .LBB83_262
; %bb.261:
	ds_read2_b64 v[198:201], v250 offset0:58 offset1:59
	s_waitcnt vmcnt(51) lgkmcnt(1)
	v_mul_f64 v[196:197], v[192:193], v[50:51]
	v_fmac_f64_e32 v[196:197], v[194:195], v[48:49]
	v_mul_f64 v[50:51], v[194:195], v[50:51]
	v_fma_f64 v[48:49], v[192:193], v[48:49], -v[50:51]
	s_waitcnt lgkmcnt(0)
	v_mul_f64 v[50:51], v[200:201], v[196:197]
	v_fma_f64 v[50:51], v[198:199], v[48:49], -v[50:51]
	v_mul_f64 v[198:199], v[198:199], v[196:197]
	v_fmac_f64_e32 v[198:199], v[200:201], v[48:49]
	s_waitcnt vmcnt(49)
	v_add_f64 v[46:47], v[46:47], -v[198:199]
	ds_read2_b64 v[198:201], v250 offset0:60 offset1:61
	v_add_f64 v[44:45], v[44:45], -v[50:51]
	s_waitcnt lgkmcnt(0)
	v_mul_f64 v[50:51], v[200:201], v[196:197]
	v_fma_f64 v[50:51], v[198:199], v[48:49], -v[50:51]
	v_mul_f64 v[198:199], v[198:199], v[196:197]
	v_fmac_f64_e32 v[198:199], v[200:201], v[48:49]
	s_waitcnt vmcnt(48)
	v_add_f64 v[42:43], v[42:43], -v[198:199]
	ds_read2_b64 v[198:201], v250 offset0:62 offset1:63
	v_add_f64 v[40:41], v[40:41], -v[50:51]
	;; [unrolled: 9-line block ×12, first 2 shown]
	s_waitcnt lgkmcnt(0)
	v_mul_f64 v[50:51], v[200:201], v[196:197]
	v_fma_f64 v[50:51], v[198:199], v[48:49], -v[50:51]
	v_mul_f64 v[198:199], v[198:199], v[196:197]
	v_fmac_f64_e32 v[198:199], v[200:201], v[48:49]
	s_waitcnt vmcnt(36)
	v_add_f64 v[164:165], v[164:165], -v[50:51]
	v_add_f64 v[166:167], v[166:167], -v[198:199]
	v_mov_b64_e32 v[50:51], v[196:197]
.LBB83_262:
	s_or_b64 exec, exec, s[2:3]
	v_cmp_eq_u32_e32 vcc, 29, v248
	s_waitcnt lgkmcnt(0)
	s_barrier
	s_and_saveexec_b64 s[4:5], vcc
	s_cbranch_execz .LBB83_269
; %bb.263:
	s_waitcnt vmcnt(49)
	ds_write2_b64 v249, v[44:45], v[46:47] offset1:1
	s_waitcnt vmcnt(48)
	ds_write2_b64 v250, v[40:41], v[42:43] offset0:60 offset1:61
	s_waitcnt vmcnt(46)
	ds_write2_b64 v250, v[36:37], v[38:39] offset0:62 offset1:63
	;; [unrolled: 2-line block ×12, first 2 shown]
	ds_read2_b64 v[196:199], v249 offset1:1
	s_waitcnt lgkmcnt(0)
	v_cmp_neq_f64_e32 vcc, 0, v[196:197]
	v_cmp_neq_f64_e64 s[2:3], 0, v[198:199]
	s_or_b64 s[2:3], vcc, s[2:3]
	s_and_b64 exec, exec, s[2:3]
	s_cbranch_execz .LBB83_269
; %bb.264:
	v_cmp_ngt_f64_e64 s[2:3], |v[196:197]|, |v[198:199]|
                                        ; implicit-def: $vgpr200_vgpr201
	s_and_saveexec_b64 s[10:11], s[2:3]
	s_xor_b64 s[2:3], exec, s[10:11]
                                        ; implicit-def: $vgpr202_vgpr203
	s_cbranch_execz .LBB83_266
; %bb.265:
	v_div_scale_f64 v[200:201], s[10:11], v[198:199], v[198:199], v[196:197]
	v_rcp_f64_e32 v[202:203], v[200:201]
	v_div_scale_f64 v[204:205], vcc, v[196:197], v[198:199], v[196:197]
	v_fma_f64 v[206:207], -v[200:201], v[202:203], 1.0
	v_fmac_f64_e32 v[202:203], v[202:203], v[206:207]
	v_fma_f64 v[206:207], -v[200:201], v[202:203], 1.0
	v_fmac_f64_e32 v[202:203], v[202:203], v[206:207]
	v_mul_f64 v[206:207], v[204:205], v[202:203]
	v_fma_f64 v[200:201], -v[200:201], v[206:207], v[204:205]
	v_div_fmas_f64 v[200:201], v[200:201], v[202:203], v[206:207]
	v_div_fixup_f64 v[200:201], v[200:201], v[198:199], v[196:197]
	v_fmac_f64_e32 v[198:199], v[196:197], v[200:201]
	v_div_scale_f64 v[196:197], s[10:11], v[198:199], v[198:199], 1.0
	v_rcp_f64_e32 v[202:203], v[196:197]
	s_nop 0
	v_fma_f64 v[204:205], -v[196:197], v[202:203], 1.0
	v_fmac_f64_e32 v[202:203], v[202:203], v[204:205]
	v_fma_f64 v[204:205], -v[196:197], v[202:203], 1.0
	v_fmac_f64_e32 v[202:203], v[202:203], v[204:205]
	v_div_scale_f64 v[204:205], vcc, 1.0, v[198:199], 1.0
	v_mul_f64 v[206:207], v[204:205], v[202:203]
	v_fma_f64 v[196:197], -v[196:197], v[206:207], v[204:205]
	s_nop 1
	v_div_fmas_f64 v[196:197], v[196:197], v[202:203], v[206:207]
	v_div_fixup_f64 v[202:203], v[196:197], v[198:199], 1.0
	v_mul_f64 v[200:201], v[200:201], v[202:203]
	v_xor_b32_e32 v203, 0x80000000, v203
                                        ; implicit-def: $vgpr196_vgpr197
.LBB83_266:
	s_andn2_saveexec_b64 s[2:3], s[2:3]
	s_cbranch_execz .LBB83_268
; %bb.267:
	v_div_scale_f64 v[200:201], s[10:11], v[196:197], v[196:197], v[198:199]
	v_rcp_f64_e32 v[202:203], v[200:201]
	v_div_scale_f64 v[204:205], vcc, v[198:199], v[196:197], v[198:199]
	v_fma_f64 v[206:207], -v[200:201], v[202:203], 1.0
	v_fmac_f64_e32 v[202:203], v[202:203], v[206:207]
	v_fma_f64 v[206:207], -v[200:201], v[202:203], 1.0
	v_fmac_f64_e32 v[202:203], v[202:203], v[206:207]
	v_mul_f64 v[206:207], v[204:205], v[202:203]
	v_fma_f64 v[200:201], -v[200:201], v[206:207], v[204:205]
	v_div_fmas_f64 v[200:201], v[200:201], v[202:203], v[206:207]
	v_div_fixup_f64 v[202:203], v[200:201], v[196:197], v[198:199]
	v_fmac_f64_e32 v[196:197], v[198:199], v[202:203]
	v_div_scale_f64 v[198:199], s[10:11], v[196:197], v[196:197], 1.0
	v_rcp_f64_e32 v[200:201], v[198:199]
	s_nop 0
	v_fma_f64 v[204:205], -v[198:199], v[200:201], 1.0
	v_fmac_f64_e32 v[200:201], v[200:201], v[204:205]
	v_fma_f64 v[204:205], -v[198:199], v[200:201], 1.0
	v_fmac_f64_e32 v[200:201], v[200:201], v[204:205]
	v_div_scale_f64 v[204:205], vcc, 1.0, v[196:197], 1.0
	v_mul_f64 v[206:207], v[204:205], v[200:201]
	v_fma_f64 v[198:199], -v[198:199], v[206:207], v[204:205]
	s_nop 1
	v_div_fmas_f64 v[198:199], v[198:199], v[200:201], v[206:207]
	v_div_fixup_f64 v[200:201], v[198:199], v[196:197], 1.0
	v_mul_f64 v[202:203], v[202:203], -v[200:201]
.LBB83_268:
	s_or_b64 exec, exec, s[2:3]
	ds_write2_b64 v249, v[200:201], v[202:203] offset1:1
.LBB83_269:
	s_or_b64 exec, exec, s[4:5]
	s_waitcnt lgkmcnt(0)
	s_barrier
	ds_read2_b64 v[196:199], v249 offset1:1
	v_cmp_lt_u32_e32 vcc, 29, v248
	s_and_saveexec_b64 s[2:3], vcc
	s_cbranch_execz .LBB83_271
; %bb.270:
	ds_read2_b64 v[202:205], v250 offset0:60 offset1:61
	s_waitcnt vmcnt(49) lgkmcnt(1)
	v_mul_f64 v[200:201], v[196:197], v[46:47]
	v_fmac_f64_e32 v[200:201], v[198:199], v[44:45]
	v_mul_f64 v[46:47], v[198:199], v[46:47]
	v_fma_f64 v[44:45], v[196:197], v[44:45], -v[46:47]
	s_waitcnt lgkmcnt(0)
	v_mul_f64 v[46:47], v[204:205], v[200:201]
	v_fma_f64 v[46:47], v[202:203], v[44:45], -v[46:47]
	v_mul_f64 v[202:203], v[202:203], v[200:201]
	v_fmac_f64_e32 v[202:203], v[204:205], v[44:45]
	s_waitcnt vmcnt(48)
	v_add_f64 v[42:43], v[42:43], -v[202:203]
	ds_read2_b64 v[202:205], v250 offset0:62 offset1:63
	v_add_f64 v[40:41], v[40:41], -v[46:47]
	s_waitcnt lgkmcnt(0)
	v_mul_f64 v[46:47], v[204:205], v[200:201]
	v_fma_f64 v[46:47], v[202:203], v[44:45], -v[46:47]
	v_mul_f64 v[202:203], v[202:203], v[200:201]
	v_fmac_f64_e32 v[202:203], v[204:205], v[44:45]
	s_waitcnt vmcnt(46)
	v_add_f64 v[38:39], v[38:39], -v[202:203]
	ds_read2_b64 v[202:205], v250 offset0:64 offset1:65
	v_add_f64 v[36:37], v[36:37], -v[46:47]
	;; [unrolled: 9-line block ×11, first 2 shown]
	s_waitcnt lgkmcnt(0)
	v_mul_f64 v[46:47], v[204:205], v[200:201]
	v_fma_f64 v[46:47], v[202:203], v[44:45], -v[46:47]
	v_mul_f64 v[202:203], v[202:203], v[200:201]
	v_fmac_f64_e32 v[202:203], v[204:205], v[44:45]
	s_waitcnt vmcnt(36)
	v_add_f64 v[164:165], v[164:165], -v[46:47]
	v_add_f64 v[166:167], v[166:167], -v[202:203]
	v_mov_b64_e32 v[46:47], v[200:201]
.LBB83_271:
	s_or_b64 exec, exec, s[2:3]
	v_cmp_eq_u32_e32 vcc, 30, v248
	s_waitcnt lgkmcnt(0)
	s_barrier
	s_and_saveexec_b64 s[4:5], vcc
	s_cbranch_execz .LBB83_278
; %bb.272:
	s_waitcnt vmcnt(48)
	ds_write2_b64 v249, v[40:41], v[42:43] offset1:1
	s_waitcnt vmcnt(46)
	ds_write2_b64 v250, v[36:37], v[38:39] offset0:62 offset1:63
	s_waitcnt vmcnt(45)
	ds_write2_b64 v250, v[32:33], v[34:35] offset0:64 offset1:65
	;; [unrolled: 2-line block ×11, first 2 shown]
	ds_read2_b64 v[200:203], v249 offset1:1
	s_waitcnt lgkmcnt(0)
	v_cmp_neq_f64_e32 vcc, 0, v[200:201]
	v_cmp_neq_f64_e64 s[2:3], 0, v[202:203]
	s_or_b64 s[2:3], vcc, s[2:3]
	s_and_b64 exec, exec, s[2:3]
	s_cbranch_execz .LBB83_278
; %bb.273:
	v_cmp_ngt_f64_e64 s[2:3], |v[200:201]|, |v[202:203]|
                                        ; implicit-def: $vgpr204_vgpr205
	s_and_saveexec_b64 s[10:11], s[2:3]
	s_xor_b64 s[2:3], exec, s[10:11]
                                        ; implicit-def: $vgpr206_vgpr207
	s_cbranch_execz .LBB83_275
; %bb.274:
	v_div_scale_f64 v[204:205], s[10:11], v[202:203], v[202:203], v[200:201]
	v_rcp_f64_e32 v[206:207], v[204:205]
	v_div_scale_f64 v[208:209], vcc, v[200:201], v[202:203], v[200:201]
	v_fma_f64 v[210:211], -v[204:205], v[206:207], 1.0
	v_fmac_f64_e32 v[206:207], v[206:207], v[210:211]
	v_fma_f64 v[210:211], -v[204:205], v[206:207], 1.0
	v_fmac_f64_e32 v[206:207], v[206:207], v[210:211]
	v_mul_f64 v[210:211], v[208:209], v[206:207]
	v_fma_f64 v[204:205], -v[204:205], v[210:211], v[208:209]
	v_div_fmas_f64 v[204:205], v[204:205], v[206:207], v[210:211]
	v_div_fixup_f64 v[204:205], v[204:205], v[202:203], v[200:201]
	v_fmac_f64_e32 v[202:203], v[200:201], v[204:205]
	v_div_scale_f64 v[200:201], s[10:11], v[202:203], v[202:203], 1.0
	v_rcp_f64_e32 v[206:207], v[200:201]
	s_nop 0
	v_fma_f64 v[208:209], -v[200:201], v[206:207], 1.0
	v_fmac_f64_e32 v[206:207], v[206:207], v[208:209]
	v_fma_f64 v[208:209], -v[200:201], v[206:207], 1.0
	v_fmac_f64_e32 v[206:207], v[206:207], v[208:209]
	v_div_scale_f64 v[208:209], vcc, 1.0, v[202:203], 1.0
	v_mul_f64 v[210:211], v[208:209], v[206:207]
	v_fma_f64 v[200:201], -v[200:201], v[210:211], v[208:209]
	s_nop 1
	v_div_fmas_f64 v[200:201], v[200:201], v[206:207], v[210:211]
	v_div_fixup_f64 v[206:207], v[200:201], v[202:203], 1.0
	v_mul_f64 v[204:205], v[204:205], v[206:207]
	v_xor_b32_e32 v207, 0x80000000, v207
                                        ; implicit-def: $vgpr200_vgpr201
.LBB83_275:
	s_andn2_saveexec_b64 s[2:3], s[2:3]
	s_cbranch_execz .LBB83_277
; %bb.276:
	v_div_scale_f64 v[204:205], s[10:11], v[200:201], v[200:201], v[202:203]
	v_rcp_f64_e32 v[206:207], v[204:205]
	v_div_scale_f64 v[208:209], vcc, v[202:203], v[200:201], v[202:203]
	v_fma_f64 v[210:211], -v[204:205], v[206:207], 1.0
	v_fmac_f64_e32 v[206:207], v[206:207], v[210:211]
	v_fma_f64 v[210:211], -v[204:205], v[206:207], 1.0
	v_fmac_f64_e32 v[206:207], v[206:207], v[210:211]
	v_mul_f64 v[210:211], v[208:209], v[206:207]
	v_fma_f64 v[204:205], -v[204:205], v[210:211], v[208:209]
	v_div_fmas_f64 v[204:205], v[204:205], v[206:207], v[210:211]
	v_div_fixup_f64 v[206:207], v[204:205], v[200:201], v[202:203]
	v_fmac_f64_e32 v[200:201], v[202:203], v[206:207]
	v_div_scale_f64 v[202:203], s[10:11], v[200:201], v[200:201], 1.0
	v_rcp_f64_e32 v[204:205], v[202:203]
	s_nop 0
	v_fma_f64 v[208:209], -v[202:203], v[204:205], 1.0
	v_fmac_f64_e32 v[204:205], v[204:205], v[208:209]
	v_fma_f64 v[208:209], -v[202:203], v[204:205], 1.0
	v_fmac_f64_e32 v[204:205], v[204:205], v[208:209]
	v_div_scale_f64 v[208:209], vcc, 1.0, v[200:201], 1.0
	v_mul_f64 v[210:211], v[208:209], v[204:205]
	v_fma_f64 v[202:203], -v[202:203], v[210:211], v[208:209]
	s_nop 1
	v_div_fmas_f64 v[202:203], v[202:203], v[204:205], v[210:211]
	v_div_fixup_f64 v[204:205], v[202:203], v[200:201], 1.0
	v_mul_f64 v[206:207], v[206:207], -v[204:205]
.LBB83_277:
	s_or_b64 exec, exec, s[2:3]
	ds_write2_b64 v249, v[204:205], v[206:207] offset1:1
.LBB83_278:
	s_or_b64 exec, exec, s[4:5]
	s_waitcnt lgkmcnt(0)
	s_barrier
	ds_read2_b64 v[200:203], v249 offset1:1
	v_cmp_lt_u32_e32 vcc, 30, v248
	s_and_saveexec_b64 s[2:3], vcc
	s_cbranch_execz .LBB83_280
; %bb.279:
	ds_read2_b64 v[206:209], v250 offset0:62 offset1:63
	s_waitcnt vmcnt(48) lgkmcnt(1)
	v_mul_f64 v[204:205], v[200:201], v[42:43]
	v_fmac_f64_e32 v[204:205], v[202:203], v[40:41]
	v_mul_f64 v[42:43], v[202:203], v[42:43]
	v_fma_f64 v[40:41], v[200:201], v[40:41], -v[42:43]
	s_waitcnt lgkmcnt(0)
	v_mul_f64 v[42:43], v[208:209], v[204:205]
	v_fma_f64 v[42:43], v[206:207], v[40:41], -v[42:43]
	v_mul_f64 v[206:207], v[206:207], v[204:205]
	v_fmac_f64_e32 v[206:207], v[208:209], v[40:41]
	s_waitcnt vmcnt(46)
	v_add_f64 v[38:39], v[38:39], -v[206:207]
	ds_read2_b64 v[206:209], v250 offset0:64 offset1:65
	v_add_f64 v[36:37], v[36:37], -v[42:43]
	s_waitcnt lgkmcnt(0)
	v_mul_f64 v[42:43], v[208:209], v[204:205]
	v_fma_f64 v[42:43], v[206:207], v[40:41], -v[42:43]
	v_mul_f64 v[206:207], v[206:207], v[204:205]
	v_fmac_f64_e32 v[206:207], v[208:209], v[40:41]
	s_waitcnt vmcnt(45)
	v_add_f64 v[34:35], v[34:35], -v[206:207]
	ds_read2_b64 v[206:209], v250 offset0:66 offset1:67
	v_add_f64 v[32:33], v[32:33], -v[42:43]
	s_waitcnt lgkmcnt(0)
	v_mul_f64 v[42:43], v[208:209], v[204:205]
	v_fma_f64 v[42:43], v[206:207], v[40:41], -v[42:43]
	v_mul_f64 v[206:207], v[206:207], v[204:205]
	v_fmac_f64_e32 v[206:207], v[208:209], v[40:41]
	s_waitcnt vmcnt(44)
	v_add_f64 v[30:31], v[30:31], -v[206:207]
	ds_read2_b64 v[206:209], v250 offset0:68 offset1:69
	v_add_f64 v[28:29], v[28:29], -v[42:43]
	s_waitcnt lgkmcnt(0)
	v_mul_f64 v[42:43], v[208:209], v[204:205]
	v_fma_f64 v[42:43], v[206:207], v[40:41], -v[42:43]
	v_mul_f64 v[206:207], v[206:207], v[204:205]
	v_fmac_f64_e32 v[206:207], v[208:209], v[40:41]
	s_waitcnt vmcnt(43)
	v_add_f64 v[26:27], v[26:27], -v[206:207]
	ds_read2_b64 v[206:209], v250 offset0:70 offset1:71
	v_add_f64 v[24:25], v[24:25], -v[42:43]
	s_waitcnt lgkmcnt(0)
	v_mul_f64 v[42:43], v[208:209], v[204:205]
	v_fma_f64 v[42:43], v[206:207], v[40:41], -v[42:43]
	v_mul_f64 v[206:207], v[206:207], v[204:205]
	v_fmac_f64_e32 v[206:207], v[208:209], v[40:41]
	s_waitcnt vmcnt(42)
	v_add_f64 v[22:23], v[22:23], -v[206:207]
	ds_read2_b64 v[206:209], v250 offset0:72 offset1:73
	v_add_f64 v[20:21], v[20:21], -v[42:43]
	s_waitcnt lgkmcnt(0)
	v_mul_f64 v[42:43], v[208:209], v[204:205]
	v_fma_f64 v[42:43], v[206:207], v[40:41], -v[42:43]
	v_mul_f64 v[206:207], v[206:207], v[204:205]
	v_fmac_f64_e32 v[206:207], v[208:209], v[40:41]
	s_waitcnt vmcnt(41)
	v_add_f64 v[18:19], v[18:19], -v[206:207]
	ds_read2_b64 v[206:209], v250 offset0:74 offset1:75
	v_add_f64 v[16:17], v[16:17], -v[42:43]
	s_waitcnt lgkmcnt(0)
	v_mul_f64 v[42:43], v[208:209], v[204:205]
	v_fma_f64 v[42:43], v[206:207], v[40:41], -v[42:43]
	v_mul_f64 v[206:207], v[206:207], v[204:205]
	v_fmac_f64_e32 v[206:207], v[208:209], v[40:41]
	s_waitcnt vmcnt(40)
	v_add_f64 v[14:15], v[14:15], -v[206:207]
	ds_read2_b64 v[206:209], v250 offset0:76 offset1:77
	v_add_f64 v[12:13], v[12:13], -v[42:43]
	s_waitcnt lgkmcnt(0)
	v_mul_f64 v[42:43], v[208:209], v[204:205]
	v_fma_f64 v[42:43], v[206:207], v[40:41], -v[42:43]
	v_mul_f64 v[206:207], v[206:207], v[204:205]
	v_fmac_f64_e32 v[206:207], v[208:209], v[40:41]
	s_waitcnt vmcnt(39)
	v_add_f64 v[10:11], v[10:11], -v[206:207]
	ds_read2_b64 v[206:209], v250 offset0:78 offset1:79
	v_add_f64 v[8:9], v[8:9], -v[42:43]
	s_waitcnt lgkmcnt(0)
	v_mul_f64 v[42:43], v[208:209], v[204:205]
	v_fma_f64 v[42:43], v[206:207], v[40:41], -v[42:43]
	v_mul_f64 v[206:207], v[206:207], v[204:205]
	v_fmac_f64_e32 v[206:207], v[208:209], v[40:41]
	s_waitcnt vmcnt(38)
	v_add_f64 v[6:7], v[6:7], -v[206:207]
	ds_read2_b64 v[206:209], v250 offset0:80 offset1:81
	v_add_f64 v[4:5], v[4:5], -v[42:43]
	s_waitcnt lgkmcnt(0)
	v_mul_f64 v[42:43], v[208:209], v[204:205]
	v_fma_f64 v[42:43], v[206:207], v[40:41], -v[42:43]
	v_mul_f64 v[206:207], v[206:207], v[204:205]
	v_fmac_f64_e32 v[206:207], v[208:209], v[40:41]
	s_waitcnt vmcnt(37)
	v_add_f64 v[2:3], v[2:3], -v[206:207]
	ds_read2_b64 v[206:209], v250 offset0:82 offset1:83
	v_add_f64 v[0:1], v[0:1], -v[42:43]
	s_waitcnt lgkmcnt(0)
	v_mul_f64 v[42:43], v[208:209], v[204:205]
	v_fma_f64 v[42:43], v[206:207], v[40:41], -v[42:43]
	v_mul_f64 v[206:207], v[206:207], v[204:205]
	v_fmac_f64_e32 v[206:207], v[208:209], v[40:41]
	s_waitcnt vmcnt(36)
	v_add_f64 v[164:165], v[164:165], -v[42:43]
	v_add_f64 v[166:167], v[166:167], -v[206:207]
	v_mov_b64_e32 v[42:43], v[204:205]
.LBB83_280:
	s_or_b64 exec, exec, s[2:3]
	v_cmp_eq_u32_e32 vcc, 31, v248
	s_waitcnt lgkmcnt(0)
	s_barrier
	s_and_saveexec_b64 s[4:5], vcc
	s_cbranch_execz .LBB83_287
; %bb.281:
	s_waitcnt vmcnt(46)
	ds_write2_b64 v249, v[36:37], v[38:39] offset1:1
	s_waitcnt vmcnt(45)
	ds_write2_b64 v250, v[32:33], v[34:35] offset0:64 offset1:65
	s_waitcnt vmcnt(44)
	ds_write2_b64 v250, v[28:29], v[30:31] offset0:66 offset1:67
	;; [unrolled: 2-line block ×10, first 2 shown]
	ds_read2_b64 v[204:207], v249 offset1:1
	s_waitcnt lgkmcnt(0)
	v_cmp_neq_f64_e32 vcc, 0, v[204:205]
	v_cmp_neq_f64_e64 s[2:3], 0, v[206:207]
	s_or_b64 s[2:3], vcc, s[2:3]
	s_and_b64 exec, exec, s[2:3]
	s_cbranch_execz .LBB83_287
; %bb.282:
	v_cmp_ngt_f64_e64 s[2:3], |v[204:205]|, |v[206:207]|
                                        ; implicit-def: $vgpr208_vgpr209
	s_and_saveexec_b64 s[10:11], s[2:3]
	s_xor_b64 s[2:3], exec, s[10:11]
                                        ; implicit-def: $vgpr210_vgpr211
	s_cbranch_execz .LBB83_284
; %bb.283:
	v_div_scale_f64 v[208:209], s[10:11], v[206:207], v[206:207], v[204:205]
	v_rcp_f64_e32 v[210:211], v[208:209]
	v_div_scale_f64 v[212:213], vcc, v[204:205], v[206:207], v[204:205]
	v_fma_f64 v[214:215], -v[208:209], v[210:211], 1.0
	v_fmac_f64_e32 v[210:211], v[210:211], v[214:215]
	v_fma_f64 v[214:215], -v[208:209], v[210:211], 1.0
	v_fmac_f64_e32 v[210:211], v[210:211], v[214:215]
	v_mul_f64 v[214:215], v[212:213], v[210:211]
	v_fma_f64 v[208:209], -v[208:209], v[214:215], v[212:213]
	v_div_fmas_f64 v[208:209], v[208:209], v[210:211], v[214:215]
	v_div_fixup_f64 v[208:209], v[208:209], v[206:207], v[204:205]
	v_fmac_f64_e32 v[206:207], v[204:205], v[208:209]
	v_div_scale_f64 v[204:205], s[10:11], v[206:207], v[206:207], 1.0
	v_rcp_f64_e32 v[210:211], v[204:205]
	s_nop 0
	v_fma_f64 v[212:213], -v[204:205], v[210:211], 1.0
	v_fmac_f64_e32 v[210:211], v[210:211], v[212:213]
	v_fma_f64 v[212:213], -v[204:205], v[210:211], 1.0
	v_fmac_f64_e32 v[210:211], v[210:211], v[212:213]
	v_div_scale_f64 v[212:213], vcc, 1.0, v[206:207], 1.0
	v_mul_f64 v[214:215], v[212:213], v[210:211]
	v_fma_f64 v[204:205], -v[204:205], v[214:215], v[212:213]
	s_nop 1
	v_div_fmas_f64 v[204:205], v[204:205], v[210:211], v[214:215]
	v_div_fixup_f64 v[210:211], v[204:205], v[206:207], 1.0
	v_mul_f64 v[208:209], v[208:209], v[210:211]
	v_xor_b32_e32 v211, 0x80000000, v211
                                        ; implicit-def: $vgpr204_vgpr205
.LBB83_284:
	s_andn2_saveexec_b64 s[2:3], s[2:3]
	s_cbranch_execz .LBB83_286
; %bb.285:
	v_div_scale_f64 v[208:209], s[10:11], v[204:205], v[204:205], v[206:207]
	v_rcp_f64_e32 v[210:211], v[208:209]
	v_div_scale_f64 v[212:213], vcc, v[206:207], v[204:205], v[206:207]
	v_fma_f64 v[214:215], -v[208:209], v[210:211], 1.0
	v_fmac_f64_e32 v[210:211], v[210:211], v[214:215]
	v_fma_f64 v[214:215], -v[208:209], v[210:211], 1.0
	v_fmac_f64_e32 v[210:211], v[210:211], v[214:215]
	v_mul_f64 v[214:215], v[212:213], v[210:211]
	v_fma_f64 v[208:209], -v[208:209], v[214:215], v[212:213]
	v_div_fmas_f64 v[208:209], v[208:209], v[210:211], v[214:215]
	v_div_fixup_f64 v[210:211], v[208:209], v[204:205], v[206:207]
	v_fmac_f64_e32 v[204:205], v[206:207], v[210:211]
	v_div_scale_f64 v[206:207], s[10:11], v[204:205], v[204:205], 1.0
	v_rcp_f64_e32 v[208:209], v[206:207]
	s_nop 0
	v_fma_f64 v[212:213], -v[206:207], v[208:209], 1.0
	v_fmac_f64_e32 v[208:209], v[208:209], v[212:213]
	v_fma_f64 v[212:213], -v[206:207], v[208:209], 1.0
	v_fmac_f64_e32 v[208:209], v[208:209], v[212:213]
	v_div_scale_f64 v[212:213], vcc, 1.0, v[204:205], 1.0
	v_mul_f64 v[214:215], v[212:213], v[208:209]
	v_fma_f64 v[206:207], -v[206:207], v[214:215], v[212:213]
	s_nop 1
	v_div_fmas_f64 v[206:207], v[206:207], v[208:209], v[214:215]
	v_div_fixup_f64 v[208:209], v[206:207], v[204:205], 1.0
	v_mul_f64 v[210:211], v[210:211], -v[208:209]
.LBB83_286:
	s_or_b64 exec, exec, s[2:3]
	ds_write2_b64 v249, v[208:209], v[210:211] offset1:1
.LBB83_287:
	s_or_b64 exec, exec, s[4:5]
	s_waitcnt lgkmcnt(0)
	s_barrier
	ds_read2_b64 v[204:207], v249 offset1:1
	v_cmp_lt_u32_e32 vcc, 31, v248
	s_and_saveexec_b64 s[2:3], vcc
	s_cbranch_execz .LBB83_289
; %bb.288:
	ds_read2_b64 v[210:213], v250 offset0:64 offset1:65
	s_waitcnt vmcnt(46) lgkmcnt(1)
	v_mul_f64 v[208:209], v[204:205], v[38:39]
	v_fmac_f64_e32 v[208:209], v[206:207], v[36:37]
	v_mul_f64 v[38:39], v[206:207], v[38:39]
	v_fma_f64 v[36:37], v[204:205], v[36:37], -v[38:39]
	s_waitcnt lgkmcnt(0)
	v_mul_f64 v[38:39], v[212:213], v[208:209]
	v_fma_f64 v[38:39], v[210:211], v[36:37], -v[38:39]
	v_mul_f64 v[210:211], v[210:211], v[208:209]
	v_fmac_f64_e32 v[210:211], v[212:213], v[36:37]
	s_waitcnt vmcnt(45)
	v_add_f64 v[34:35], v[34:35], -v[210:211]
	ds_read2_b64 v[210:213], v250 offset0:66 offset1:67
	v_add_f64 v[32:33], v[32:33], -v[38:39]
	s_waitcnt lgkmcnt(0)
	v_mul_f64 v[38:39], v[212:213], v[208:209]
	v_fma_f64 v[38:39], v[210:211], v[36:37], -v[38:39]
	v_mul_f64 v[210:211], v[210:211], v[208:209]
	v_fmac_f64_e32 v[210:211], v[212:213], v[36:37]
	s_waitcnt vmcnt(44)
	v_add_f64 v[30:31], v[30:31], -v[210:211]
	ds_read2_b64 v[210:213], v250 offset0:68 offset1:69
	v_add_f64 v[28:29], v[28:29], -v[38:39]
	;; [unrolled: 9-line block ×9, first 2 shown]
	s_waitcnt lgkmcnt(0)
	v_mul_f64 v[38:39], v[212:213], v[208:209]
	v_fma_f64 v[38:39], v[210:211], v[36:37], -v[38:39]
	v_mul_f64 v[210:211], v[210:211], v[208:209]
	v_fmac_f64_e32 v[210:211], v[212:213], v[36:37]
	s_waitcnt vmcnt(36)
	v_add_f64 v[164:165], v[164:165], -v[38:39]
	v_add_f64 v[166:167], v[166:167], -v[210:211]
	v_mov_b64_e32 v[38:39], v[208:209]
.LBB83_289:
	s_or_b64 exec, exec, s[2:3]
	v_cmp_eq_u32_e32 vcc, 32, v248
	s_waitcnt lgkmcnt(0)
	s_barrier
	s_and_saveexec_b64 s[4:5], vcc
	s_cbranch_execz .LBB83_296
; %bb.290:
	s_waitcnt vmcnt(45)
	ds_write2_b64 v249, v[32:33], v[34:35] offset1:1
	s_waitcnt vmcnt(44)
	ds_write2_b64 v250, v[28:29], v[30:31] offset0:66 offset1:67
	s_waitcnt vmcnt(43)
	ds_write2_b64 v250, v[24:25], v[26:27] offset0:68 offset1:69
	;; [unrolled: 2-line block ×9, first 2 shown]
	ds_read2_b64 v[208:211], v249 offset1:1
	s_waitcnt lgkmcnt(0)
	v_cmp_neq_f64_e32 vcc, 0, v[208:209]
	v_cmp_neq_f64_e64 s[2:3], 0, v[210:211]
	s_or_b64 s[2:3], vcc, s[2:3]
	s_and_b64 exec, exec, s[2:3]
	s_cbranch_execz .LBB83_296
; %bb.291:
	v_cmp_ngt_f64_e64 s[2:3], |v[208:209]|, |v[210:211]|
                                        ; implicit-def: $vgpr212_vgpr213
	s_and_saveexec_b64 s[10:11], s[2:3]
	s_xor_b64 s[2:3], exec, s[10:11]
                                        ; implicit-def: $vgpr214_vgpr215
	s_cbranch_execz .LBB83_293
; %bb.292:
	v_div_scale_f64 v[212:213], s[10:11], v[210:211], v[210:211], v[208:209]
	v_rcp_f64_e32 v[214:215], v[212:213]
	v_div_scale_f64 v[216:217], vcc, v[208:209], v[210:211], v[208:209]
	v_fma_f64 v[218:219], -v[212:213], v[214:215], 1.0
	v_fmac_f64_e32 v[214:215], v[214:215], v[218:219]
	v_fma_f64 v[218:219], -v[212:213], v[214:215], 1.0
	v_fmac_f64_e32 v[214:215], v[214:215], v[218:219]
	v_mul_f64 v[218:219], v[216:217], v[214:215]
	v_fma_f64 v[212:213], -v[212:213], v[218:219], v[216:217]
	v_div_fmas_f64 v[212:213], v[212:213], v[214:215], v[218:219]
	v_div_fixup_f64 v[212:213], v[212:213], v[210:211], v[208:209]
	v_fmac_f64_e32 v[210:211], v[208:209], v[212:213]
	v_div_scale_f64 v[208:209], s[10:11], v[210:211], v[210:211], 1.0
	v_rcp_f64_e32 v[214:215], v[208:209]
	s_nop 0
	v_fma_f64 v[216:217], -v[208:209], v[214:215], 1.0
	v_fmac_f64_e32 v[214:215], v[214:215], v[216:217]
	v_fma_f64 v[216:217], -v[208:209], v[214:215], 1.0
	v_fmac_f64_e32 v[214:215], v[214:215], v[216:217]
	v_div_scale_f64 v[216:217], vcc, 1.0, v[210:211], 1.0
	v_mul_f64 v[218:219], v[216:217], v[214:215]
	v_fma_f64 v[208:209], -v[208:209], v[218:219], v[216:217]
	s_nop 1
	v_div_fmas_f64 v[208:209], v[208:209], v[214:215], v[218:219]
	v_div_fixup_f64 v[214:215], v[208:209], v[210:211], 1.0
	v_mul_f64 v[212:213], v[212:213], v[214:215]
	v_xor_b32_e32 v215, 0x80000000, v215
                                        ; implicit-def: $vgpr208_vgpr209
.LBB83_293:
	s_andn2_saveexec_b64 s[2:3], s[2:3]
	s_cbranch_execz .LBB83_295
; %bb.294:
	v_div_scale_f64 v[212:213], s[10:11], v[208:209], v[208:209], v[210:211]
	v_rcp_f64_e32 v[214:215], v[212:213]
	v_div_scale_f64 v[216:217], vcc, v[210:211], v[208:209], v[210:211]
	v_fma_f64 v[218:219], -v[212:213], v[214:215], 1.0
	v_fmac_f64_e32 v[214:215], v[214:215], v[218:219]
	v_fma_f64 v[218:219], -v[212:213], v[214:215], 1.0
	v_fmac_f64_e32 v[214:215], v[214:215], v[218:219]
	v_mul_f64 v[218:219], v[216:217], v[214:215]
	v_fma_f64 v[212:213], -v[212:213], v[218:219], v[216:217]
	v_div_fmas_f64 v[212:213], v[212:213], v[214:215], v[218:219]
	v_div_fixup_f64 v[214:215], v[212:213], v[208:209], v[210:211]
	v_fmac_f64_e32 v[208:209], v[210:211], v[214:215]
	v_div_scale_f64 v[210:211], s[10:11], v[208:209], v[208:209], 1.0
	v_rcp_f64_e32 v[212:213], v[210:211]
	s_nop 0
	v_fma_f64 v[216:217], -v[210:211], v[212:213], 1.0
	v_fmac_f64_e32 v[212:213], v[212:213], v[216:217]
	v_fma_f64 v[216:217], -v[210:211], v[212:213], 1.0
	v_fmac_f64_e32 v[212:213], v[212:213], v[216:217]
	v_div_scale_f64 v[216:217], vcc, 1.0, v[208:209], 1.0
	v_mul_f64 v[218:219], v[216:217], v[212:213]
	v_fma_f64 v[210:211], -v[210:211], v[218:219], v[216:217]
	s_nop 1
	v_div_fmas_f64 v[210:211], v[210:211], v[212:213], v[218:219]
	v_div_fixup_f64 v[212:213], v[210:211], v[208:209], 1.0
	v_mul_f64 v[214:215], v[214:215], -v[212:213]
.LBB83_295:
	s_or_b64 exec, exec, s[2:3]
	ds_write2_b64 v249, v[212:213], v[214:215] offset1:1
.LBB83_296:
	s_or_b64 exec, exec, s[4:5]
	s_waitcnt lgkmcnt(0)
	s_barrier
	ds_read2_b64 v[208:211], v249 offset1:1
	v_cmp_lt_u32_e32 vcc, 32, v248
	s_and_saveexec_b64 s[2:3], vcc
	s_cbranch_execz .LBB83_298
; %bb.297:
	ds_read2_b64 v[214:217], v250 offset0:66 offset1:67
	s_waitcnt vmcnt(45) lgkmcnt(1)
	v_mul_f64 v[212:213], v[208:209], v[34:35]
	v_fmac_f64_e32 v[212:213], v[210:211], v[32:33]
	v_mul_f64 v[34:35], v[210:211], v[34:35]
	v_fma_f64 v[32:33], v[208:209], v[32:33], -v[34:35]
	s_waitcnt lgkmcnt(0)
	v_mul_f64 v[34:35], v[216:217], v[212:213]
	v_fma_f64 v[34:35], v[214:215], v[32:33], -v[34:35]
	v_mul_f64 v[214:215], v[214:215], v[212:213]
	v_fmac_f64_e32 v[214:215], v[216:217], v[32:33]
	s_waitcnt vmcnt(44)
	v_add_f64 v[30:31], v[30:31], -v[214:215]
	ds_read2_b64 v[214:217], v250 offset0:68 offset1:69
	v_add_f64 v[28:29], v[28:29], -v[34:35]
	s_waitcnt lgkmcnt(0)
	v_mul_f64 v[34:35], v[216:217], v[212:213]
	v_fma_f64 v[34:35], v[214:215], v[32:33], -v[34:35]
	v_mul_f64 v[214:215], v[214:215], v[212:213]
	v_fmac_f64_e32 v[214:215], v[216:217], v[32:33]
	s_waitcnt vmcnt(43)
	v_add_f64 v[26:27], v[26:27], -v[214:215]
	ds_read2_b64 v[214:217], v250 offset0:70 offset1:71
	v_add_f64 v[24:25], v[24:25], -v[34:35]
	s_waitcnt lgkmcnt(0)
	v_mul_f64 v[34:35], v[216:217], v[212:213]
	v_fma_f64 v[34:35], v[214:215], v[32:33], -v[34:35]
	v_mul_f64 v[214:215], v[214:215], v[212:213]
	v_fmac_f64_e32 v[214:215], v[216:217], v[32:33]
	s_waitcnt vmcnt(42)
	v_add_f64 v[22:23], v[22:23], -v[214:215]
	ds_read2_b64 v[214:217], v250 offset0:72 offset1:73
	v_add_f64 v[20:21], v[20:21], -v[34:35]
	s_waitcnt lgkmcnt(0)
	v_mul_f64 v[34:35], v[216:217], v[212:213]
	v_fma_f64 v[34:35], v[214:215], v[32:33], -v[34:35]
	v_mul_f64 v[214:215], v[214:215], v[212:213]
	v_fmac_f64_e32 v[214:215], v[216:217], v[32:33]
	s_waitcnt vmcnt(41)
	v_add_f64 v[18:19], v[18:19], -v[214:215]
	ds_read2_b64 v[214:217], v250 offset0:74 offset1:75
	v_add_f64 v[16:17], v[16:17], -v[34:35]
	s_waitcnt lgkmcnt(0)
	v_mul_f64 v[34:35], v[216:217], v[212:213]
	v_fma_f64 v[34:35], v[214:215], v[32:33], -v[34:35]
	v_mul_f64 v[214:215], v[214:215], v[212:213]
	v_fmac_f64_e32 v[214:215], v[216:217], v[32:33]
	s_waitcnt vmcnt(40)
	v_add_f64 v[14:15], v[14:15], -v[214:215]
	ds_read2_b64 v[214:217], v250 offset0:76 offset1:77
	v_add_f64 v[12:13], v[12:13], -v[34:35]
	s_waitcnt lgkmcnt(0)
	v_mul_f64 v[34:35], v[216:217], v[212:213]
	v_fma_f64 v[34:35], v[214:215], v[32:33], -v[34:35]
	v_mul_f64 v[214:215], v[214:215], v[212:213]
	v_fmac_f64_e32 v[214:215], v[216:217], v[32:33]
	s_waitcnt vmcnt(39)
	v_add_f64 v[10:11], v[10:11], -v[214:215]
	ds_read2_b64 v[214:217], v250 offset0:78 offset1:79
	v_add_f64 v[8:9], v[8:9], -v[34:35]
	s_waitcnt lgkmcnt(0)
	v_mul_f64 v[34:35], v[216:217], v[212:213]
	v_fma_f64 v[34:35], v[214:215], v[32:33], -v[34:35]
	v_mul_f64 v[214:215], v[214:215], v[212:213]
	v_fmac_f64_e32 v[214:215], v[216:217], v[32:33]
	s_waitcnt vmcnt(38)
	v_add_f64 v[6:7], v[6:7], -v[214:215]
	ds_read2_b64 v[214:217], v250 offset0:80 offset1:81
	v_add_f64 v[4:5], v[4:5], -v[34:35]
	s_waitcnt lgkmcnt(0)
	v_mul_f64 v[34:35], v[216:217], v[212:213]
	v_fma_f64 v[34:35], v[214:215], v[32:33], -v[34:35]
	v_mul_f64 v[214:215], v[214:215], v[212:213]
	v_fmac_f64_e32 v[214:215], v[216:217], v[32:33]
	s_waitcnt vmcnt(37)
	v_add_f64 v[2:3], v[2:3], -v[214:215]
	ds_read2_b64 v[214:217], v250 offset0:82 offset1:83
	v_add_f64 v[0:1], v[0:1], -v[34:35]
	s_waitcnt lgkmcnt(0)
	v_mul_f64 v[34:35], v[216:217], v[212:213]
	v_fma_f64 v[34:35], v[214:215], v[32:33], -v[34:35]
	v_mul_f64 v[214:215], v[214:215], v[212:213]
	v_fmac_f64_e32 v[214:215], v[216:217], v[32:33]
	s_waitcnt vmcnt(36)
	v_add_f64 v[164:165], v[164:165], -v[34:35]
	v_add_f64 v[166:167], v[166:167], -v[214:215]
	v_mov_b64_e32 v[34:35], v[212:213]
.LBB83_298:
	s_or_b64 exec, exec, s[2:3]
	v_cmp_eq_u32_e32 vcc, 33, v248
	s_waitcnt lgkmcnt(0)
	s_barrier
	s_and_saveexec_b64 s[4:5], vcc
	s_cbranch_execz .LBB83_305
; %bb.299:
	s_waitcnt vmcnt(44)
	ds_write2_b64 v249, v[28:29], v[30:31] offset1:1
	s_waitcnt vmcnt(43)
	ds_write2_b64 v250, v[24:25], v[26:27] offset0:68 offset1:69
	s_waitcnt vmcnt(42)
	ds_write2_b64 v250, v[20:21], v[22:23] offset0:70 offset1:71
	;; [unrolled: 2-line block ×8, first 2 shown]
	ds_read2_b64 v[212:215], v249 offset1:1
	s_waitcnt lgkmcnt(0)
	v_cmp_neq_f64_e32 vcc, 0, v[212:213]
	v_cmp_neq_f64_e64 s[2:3], 0, v[214:215]
	s_or_b64 s[2:3], vcc, s[2:3]
	s_and_b64 exec, exec, s[2:3]
	s_cbranch_execz .LBB83_305
; %bb.300:
	v_cmp_ngt_f64_e64 s[2:3], |v[212:213]|, |v[214:215]|
                                        ; implicit-def: $vgpr216_vgpr217
	s_and_saveexec_b64 s[10:11], s[2:3]
	s_xor_b64 s[2:3], exec, s[10:11]
                                        ; implicit-def: $vgpr218_vgpr219
	s_cbranch_execz .LBB83_302
; %bb.301:
	v_div_scale_f64 v[216:217], s[10:11], v[214:215], v[214:215], v[212:213]
	v_rcp_f64_e32 v[218:219], v[216:217]
	v_div_scale_f64 v[220:221], vcc, v[212:213], v[214:215], v[212:213]
	v_fma_f64 v[222:223], -v[216:217], v[218:219], 1.0
	v_fmac_f64_e32 v[218:219], v[218:219], v[222:223]
	v_fma_f64 v[222:223], -v[216:217], v[218:219], 1.0
	v_fmac_f64_e32 v[218:219], v[218:219], v[222:223]
	v_mul_f64 v[222:223], v[220:221], v[218:219]
	v_fma_f64 v[216:217], -v[216:217], v[222:223], v[220:221]
	v_div_fmas_f64 v[216:217], v[216:217], v[218:219], v[222:223]
	v_div_fixup_f64 v[216:217], v[216:217], v[214:215], v[212:213]
	v_fmac_f64_e32 v[214:215], v[212:213], v[216:217]
	v_div_scale_f64 v[212:213], s[10:11], v[214:215], v[214:215], 1.0
	v_rcp_f64_e32 v[218:219], v[212:213]
	s_nop 0
	v_fma_f64 v[220:221], -v[212:213], v[218:219], 1.0
	v_fmac_f64_e32 v[218:219], v[218:219], v[220:221]
	v_fma_f64 v[220:221], -v[212:213], v[218:219], 1.0
	v_fmac_f64_e32 v[218:219], v[218:219], v[220:221]
	v_div_scale_f64 v[220:221], vcc, 1.0, v[214:215], 1.0
	v_mul_f64 v[222:223], v[220:221], v[218:219]
	v_fma_f64 v[212:213], -v[212:213], v[222:223], v[220:221]
	s_nop 1
	v_div_fmas_f64 v[212:213], v[212:213], v[218:219], v[222:223]
	v_div_fixup_f64 v[218:219], v[212:213], v[214:215], 1.0
	v_mul_f64 v[216:217], v[216:217], v[218:219]
	v_xor_b32_e32 v219, 0x80000000, v219
                                        ; implicit-def: $vgpr212_vgpr213
.LBB83_302:
	s_andn2_saveexec_b64 s[2:3], s[2:3]
	s_cbranch_execz .LBB83_304
; %bb.303:
	v_div_scale_f64 v[216:217], s[10:11], v[212:213], v[212:213], v[214:215]
	v_rcp_f64_e32 v[218:219], v[216:217]
	v_div_scale_f64 v[220:221], vcc, v[214:215], v[212:213], v[214:215]
	v_fma_f64 v[222:223], -v[216:217], v[218:219], 1.0
	v_fmac_f64_e32 v[218:219], v[218:219], v[222:223]
	v_fma_f64 v[222:223], -v[216:217], v[218:219], 1.0
	v_fmac_f64_e32 v[218:219], v[218:219], v[222:223]
	v_mul_f64 v[222:223], v[220:221], v[218:219]
	v_fma_f64 v[216:217], -v[216:217], v[222:223], v[220:221]
	v_div_fmas_f64 v[216:217], v[216:217], v[218:219], v[222:223]
	v_div_fixup_f64 v[218:219], v[216:217], v[212:213], v[214:215]
	v_fmac_f64_e32 v[212:213], v[214:215], v[218:219]
	v_div_scale_f64 v[214:215], s[10:11], v[212:213], v[212:213], 1.0
	v_rcp_f64_e32 v[216:217], v[214:215]
	s_nop 0
	v_fma_f64 v[220:221], -v[214:215], v[216:217], 1.0
	v_fmac_f64_e32 v[216:217], v[216:217], v[220:221]
	v_fma_f64 v[220:221], -v[214:215], v[216:217], 1.0
	v_fmac_f64_e32 v[216:217], v[216:217], v[220:221]
	v_div_scale_f64 v[220:221], vcc, 1.0, v[212:213], 1.0
	v_mul_f64 v[222:223], v[220:221], v[216:217]
	v_fma_f64 v[214:215], -v[214:215], v[222:223], v[220:221]
	s_nop 1
	v_div_fmas_f64 v[214:215], v[214:215], v[216:217], v[222:223]
	v_div_fixup_f64 v[216:217], v[214:215], v[212:213], 1.0
	v_mul_f64 v[218:219], v[218:219], -v[216:217]
.LBB83_304:
	s_or_b64 exec, exec, s[2:3]
	ds_write2_b64 v249, v[216:217], v[218:219] offset1:1
.LBB83_305:
	s_or_b64 exec, exec, s[4:5]
	s_waitcnt lgkmcnt(0)
	s_barrier
	ds_read2_b64 v[212:215], v249 offset1:1
	v_cmp_lt_u32_e32 vcc, 33, v248
	s_and_saveexec_b64 s[2:3], vcc
	s_cbranch_execz .LBB83_307
; %bb.306:
	ds_read2_b64 v[218:221], v250 offset0:68 offset1:69
	s_waitcnt vmcnt(44) lgkmcnt(1)
	v_mul_f64 v[216:217], v[212:213], v[30:31]
	v_fmac_f64_e32 v[216:217], v[214:215], v[28:29]
	v_mul_f64 v[30:31], v[214:215], v[30:31]
	v_fma_f64 v[28:29], v[212:213], v[28:29], -v[30:31]
	s_waitcnt lgkmcnt(0)
	v_mul_f64 v[30:31], v[220:221], v[216:217]
	v_fma_f64 v[30:31], v[218:219], v[28:29], -v[30:31]
	v_mul_f64 v[218:219], v[218:219], v[216:217]
	v_fmac_f64_e32 v[218:219], v[220:221], v[28:29]
	s_waitcnt vmcnt(43)
	v_add_f64 v[26:27], v[26:27], -v[218:219]
	ds_read2_b64 v[218:221], v250 offset0:70 offset1:71
	v_add_f64 v[24:25], v[24:25], -v[30:31]
	s_waitcnt lgkmcnt(0)
	v_mul_f64 v[30:31], v[220:221], v[216:217]
	v_fma_f64 v[30:31], v[218:219], v[28:29], -v[30:31]
	v_mul_f64 v[218:219], v[218:219], v[216:217]
	v_fmac_f64_e32 v[218:219], v[220:221], v[28:29]
	s_waitcnt vmcnt(42)
	v_add_f64 v[22:23], v[22:23], -v[218:219]
	ds_read2_b64 v[218:221], v250 offset0:72 offset1:73
	v_add_f64 v[20:21], v[20:21], -v[30:31]
	;; [unrolled: 9-line block ×7, first 2 shown]
	s_waitcnt lgkmcnt(0)
	v_mul_f64 v[30:31], v[220:221], v[216:217]
	v_fma_f64 v[30:31], v[218:219], v[28:29], -v[30:31]
	v_mul_f64 v[218:219], v[218:219], v[216:217]
	v_fmac_f64_e32 v[218:219], v[220:221], v[28:29]
	s_waitcnt vmcnt(36)
	v_add_f64 v[164:165], v[164:165], -v[30:31]
	v_add_f64 v[166:167], v[166:167], -v[218:219]
	v_mov_b64_e32 v[30:31], v[216:217]
.LBB83_307:
	s_or_b64 exec, exec, s[2:3]
	v_cmp_eq_u32_e32 vcc, 34, v248
	s_waitcnt lgkmcnt(0)
	s_barrier
	s_and_saveexec_b64 s[4:5], vcc
	s_cbranch_execz .LBB83_314
; %bb.308:
	s_waitcnt vmcnt(43)
	ds_write2_b64 v249, v[24:25], v[26:27] offset1:1
	s_waitcnt vmcnt(42)
	ds_write2_b64 v250, v[20:21], v[22:23] offset0:70 offset1:71
	s_waitcnt vmcnt(41)
	ds_write2_b64 v250, v[16:17], v[18:19] offset0:72 offset1:73
	;; [unrolled: 2-line block ×7, first 2 shown]
	ds_read2_b64 v[216:219], v249 offset1:1
	s_waitcnt lgkmcnt(0)
	v_cmp_neq_f64_e32 vcc, 0, v[216:217]
	v_cmp_neq_f64_e64 s[2:3], 0, v[218:219]
	s_or_b64 s[2:3], vcc, s[2:3]
	s_and_b64 exec, exec, s[2:3]
	s_cbranch_execz .LBB83_314
; %bb.309:
	v_cmp_ngt_f64_e64 s[2:3], |v[216:217]|, |v[218:219]|
                                        ; implicit-def: $vgpr220_vgpr221
	s_and_saveexec_b64 s[10:11], s[2:3]
	s_xor_b64 s[2:3], exec, s[10:11]
                                        ; implicit-def: $vgpr222_vgpr223
	s_cbranch_execz .LBB83_311
; %bb.310:
	v_div_scale_f64 v[220:221], s[10:11], v[218:219], v[218:219], v[216:217]
	v_rcp_f64_e32 v[222:223], v[220:221]
	v_div_scale_f64 v[224:225], vcc, v[216:217], v[218:219], v[216:217]
	v_fma_f64 v[226:227], -v[220:221], v[222:223], 1.0
	v_fmac_f64_e32 v[222:223], v[222:223], v[226:227]
	v_fma_f64 v[226:227], -v[220:221], v[222:223], 1.0
	v_fmac_f64_e32 v[222:223], v[222:223], v[226:227]
	v_mul_f64 v[226:227], v[224:225], v[222:223]
	v_fma_f64 v[220:221], -v[220:221], v[226:227], v[224:225]
	v_div_fmas_f64 v[220:221], v[220:221], v[222:223], v[226:227]
	v_div_fixup_f64 v[220:221], v[220:221], v[218:219], v[216:217]
	v_fmac_f64_e32 v[218:219], v[216:217], v[220:221]
	v_div_scale_f64 v[216:217], s[10:11], v[218:219], v[218:219], 1.0
	v_rcp_f64_e32 v[222:223], v[216:217]
	s_nop 0
	v_fma_f64 v[224:225], -v[216:217], v[222:223], 1.0
	v_fmac_f64_e32 v[222:223], v[222:223], v[224:225]
	v_fma_f64 v[224:225], -v[216:217], v[222:223], 1.0
	v_fmac_f64_e32 v[222:223], v[222:223], v[224:225]
	v_div_scale_f64 v[224:225], vcc, 1.0, v[218:219], 1.0
	v_mul_f64 v[226:227], v[224:225], v[222:223]
	v_fma_f64 v[216:217], -v[216:217], v[226:227], v[224:225]
	s_nop 1
	v_div_fmas_f64 v[216:217], v[216:217], v[222:223], v[226:227]
	v_div_fixup_f64 v[222:223], v[216:217], v[218:219], 1.0
	v_mul_f64 v[220:221], v[220:221], v[222:223]
	v_xor_b32_e32 v223, 0x80000000, v223
                                        ; implicit-def: $vgpr216_vgpr217
.LBB83_311:
	s_andn2_saveexec_b64 s[2:3], s[2:3]
	s_cbranch_execz .LBB83_313
; %bb.312:
	v_div_scale_f64 v[220:221], s[10:11], v[216:217], v[216:217], v[218:219]
	v_rcp_f64_e32 v[222:223], v[220:221]
	v_div_scale_f64 v[224:225], vcc, v[218:219], v[216:217], v[218:219]
	v_fma_f64 v[226:227], -v[220:221], v[222:223], 1.0
	v_fmac_f64_e32 v[222:223], v[222:223], v[226:227]
	v_fma_f64 v[226:227], -v[220:221], v[222:223], 1.0
	v_fmac_f64_e32 v[222:223], v[222:223], v[226:227]
	v_mul_f64 v[226:227], v[224:225], v[222:223]
	v_fma_f64 v[220:221], -v[220:221], v[226:227], v[224:225]
	v_div_fmas_f64 v[220:221], v[220:221], v[222:223], v[226:227]
	v_div_fixup_f64 v[222:223], v[220:221], v[216:217], v[218:219]
	v_fmac_f64_e32 v[216:217], v[218:219], v[222:223]
	v_div_scale_f64 v[218:219], s[10:11], v[216:217], v[216:217], 1.0
	v_rcp_f64_e32 v[220:221], v[218:219]
	s_nop 0
	v_fma_f64 v[224:225], -v[218:219], v[220:221], 1.0
	v_fmac_f64_e32 v[220:221], v[220:221], v[224:225]
	v_fma_f64 v[224:225], -v[218:219], v[220:221], 1.0
	v_fmac_f64_e32 v[220:221], v[220:221], v[224:225]
	v_div_scale_f64 v[224:225], vcc, 1.0, v[216:217], 1.0
	v_mul_f64 v[226:227], v[224:225], v[220:221]
	v_fma_f64 v[218:219], -v[218:219], v[226:227], v[224:225]
	s_nop 1
	v_div_fmas_f64 v[218:219], v[218:219], v[220:221], v[226:227]
	v_div_fixup_f64 v[220:221], v[218:219], v[216:217], 1.0
	v_mul_f64 v[222:223], v[222:223], -v[220:221]
.LBB83_313:
	s_or_b64 exec, exec, s[2:3]
	ds_write2_b64 v249, v[220:221], v[222:223] offset1:1
.LBB83_314:
	s_or_b64 exec, exec, s[4:5]
	s_waitcnt lgkmcnt(0)
	s_barrier
	ds_read2_b64 v[216:219], v249 offset1:1
	v_cmp_lt_u32_e32 vcc, 34, v248
	s_and_saveexec_b64 s[2:3], vcc
	s_cbranch_execz .LBB83_316
; %bb.315:
	ds_read2_b64 v[222:225], v250 offset0:70 offset1:71
	s_waitcnt vmcnt(43) lgkmcnt(1)
	v_mul_f64 v[220:221], v[216:217], v[26:27]
	v_fmac_f64_e32 v[220:221], v[218:219], v[24:25]
	v_mul_f64 v[26:27], v[218:219], v[26:27]
	v_fma_f64 v[24:25], v[216:217], v[24:25], -v[26:27]
	s_waitcnt lgkmcnt(0)
	v_mul_f64 v[26:27], v[224:225], v[220:221]
	v_fma_f64 v[26:27], v[222:223], v[24:25], -v[26:27]
	v_mul_f64 v[222:223], v[222:223], v[220:221]
	v_fmac_f64_e32 v[222:223], v[224:225], v[24:25]
	s_waitcnt vmcnt(42)
	v_add_f64 v[22:23], v[22:23], -v[222:223]
	ds_read2_b64 v[222:225], v250 offset0:72 offset1:73
	v_add_f64 v[20:21], v[20:21], -v[26:27]
	s_waitcnt lgkmcnt(0)
	v_mul_f64 v[26:27], v[224:225], v[220:221]
	v_fma_f64 v[26:27], v[222:223], v[24:25], -v[26:27]
	v_mul_f64 v[222:223], v[222:223], v[220:221]
	v_fmac_f64_e32 v[222:223], v[224:225], v[24:25]
	s_waitcnt vmcnt(41)
	v_add_f64 v[18:19], v[18:19], -v[222:223]
	ds_read2_b64 v[222:225], v250 offset0:74 offset1:75
	v_add_f64 v[16:17], v[16:17], -v[26:27]
	;; [unrolled: 9-line block ×6, first 2 shown]
	s_waitcnt lgkmcnt(0)
	v_mul_f64 v[26:27], v[224:225], v[220:221]
	v_fma_f64 v[26:27], v[222:223], v[24:25], -v[26:27]
	v_mul_f64 v[222:223], v[222:223], v[220:221]
	v_fmac_f64_e32 v[222:223], v[224:225], v[24:25]
	s_waitcnt vmcnt(36)
	v_add_f64 v[164:165], v[164:165], -v[26:27]
	v_add_f64 v[166:167], v[166:167], -v[222:223]
	v_mov_b64_e32 v[26:27], v[220:221]
.LBB83_316:
	s_or_b64 exec, exec, s[2:3]
	v_cmp_eq_u32_e32 vcc, 35, v248
	s_waitcnt lgkmcnt(0)
	s_barrier
	s_and_saveexec_b64 s[4:5], vcc
	s_cbranch_execz .LBB83_323
; %bb.317:
	s_waitcnt vmcnt(42)
	ds_write2_b64 v249, v[20:21], v[22:23] offset1:1
	s_waitcnt vmcnt(41)
	ds_write2_b64 v250, v[16:17], v[18:19] offset0:72 offset1:73
	s_waitcnt vmcnt(40)
	ds_write2_b64 v250, v[12:13], v[14:15] offset0:74 offset1:75
	;; [unrolled: 2-line block ×6, first 2 shown]
	ds_read2_b64 v[220:223], v249 offset1:1
	s_waitcnt lgkmcnt(0)
	v_cmp_neq_f64_e32 vcc, 0, v[220:221]
	v_cmp_neq_f64_e64 s[2:3], 0, v[222:223]
	s_or_b64 s[2:3], vcc, s[2:3]
	s_and_b64 exec, exec, s[2:3]
	s_cbranch_execz .LBB83_323
; %bb.318:
	v_cmp_ngt_f64_e64 s[2:3], |v[220:221]|, |v[222:223]|
                                        ; implicit-def: $vgpr224_vgpr225
	s_and_saveexec_b64 s[10:11], s[2:3]
	s_xor_b64 s[2:3], exec, s[10:11]
                                        ; implicit-def: $vgpr226_vgpr227
	s_cbranch_execz .LBB83_320
; %bb.319:
	v_div_scale_f64 v[224:225], s[10:11], v[222:223], v[222:223], v[220:221]
	v_rcp_f64_e32 v[226:227], v[224:225]
	v_div_scale_f64 v[228:229], vcc, v[220:221], v[222:223], v[220:221]
	v_fma_f64 v[230:231], -v[224:225], v[226:227], 1.0
	v_fmac_f64_e32 v[226:227], v[226:227], v[230:231]
	v_fma_f64 v[230:231], -v[224:225], v[226:227], 1.0
	v_fmac_f64_e32 v[226:227], v[226:227], v[230:231]
	v_mul_f64 v[230:231], v[228:229], v[226:227]
	v_fma_f64 v[224:225], -v[224:225], v[230:231], v[228:229]
	v_div_fmas_f64 v[224:225], v[224:225], v[226:227], v[230:231]
	v_div_fixup_f64 v[224:225], v[224:225], v[222:223], v[220:221]
	v_fmac_f64_e32 v[222:223], v[220:221], v[224:225]
	v_div_scale_f64 v[220:221], s[10:11], v[222:223], v[222:223], 1.0
	v_rcp_f64_e32 v[226:227], v[220:221]
	s_nop 0
	v_fma_f64 v[228:229], -v[220:221], v[226:227], 1.0
	v_fmac_f64_e32 v[226:227], v[226:227], v[228:229]
	v_fma_f64 v[228:229], -v[220:221], v[226:227], 1.0
	v_fmac_f64_e32 v[226:227], v[226:227], v[228:229]
	v_div_scale_f64 v[228:229], vcc, 1.0, v[222:223], 1.0
	v_mul_f64 v[230:231], v[228:229], v[226:227]
	v_fma_f64 v[220:221], -v[220:221], v[230:231], v[228:229]
	s_nop 1
	v_div_fmas_f64 v[220:221], v[220:221], v[226:227], v[230:231]
	v_div_fixup_f64 v[226:227], v[220:221], v[222:223], 1.0
	v_mul_f64 v[224:225], v[224:225], v[226:227]
	v_xor_b32_e32 v227, 0x80000000, v227
                                        ; implicit-def: $vgpr220_vgpr221
.LBB83_320:
	s_andn2_saveexec_b64 s[2:3], s[2:3]
	s_cbranch_execz .LBB83_322
; %bb.321:
	v_div_scale_f64 v[224:225], s[10:11], v[220:221], v[220:221], v[222:223]
	v_rcp_f64_e32 v[226:227], v[224:225]
	v_div_scale_f64 v[228:229], vcc, v[222:223], v[220:221], v[222:223]
	v_fma_f64 v[230:231], -v[224:225], v[226:227], 1.0
	v_fmac_f64_e32 v[226:227], v[226:227], v[230:231]
	v_fma_f64 v[230:231], -v[224:225], v[226:227], 1.0
	v_fmac_f64_e32 v[226:227], v[226:227], v[230:231]
	v_mul_f64 v[230:231], v[228:229], v[226:227]
	v_fma_f64 v[224:225], -v[224:225], v[230:231], v[228:229]
	v_div_fmas_f64 v[224:225], v[224:225], v[226:227], v[230:231]
	v_div_fixup_f64 v[226:227], v[224:225], v[220:221], v[222:223]
	v_fmac_f64_e32 v[220:221], v[222:223], v[226:227]
	v_div_scale_f64 v[222:223], s[10:11], v[220:221], v[220:221], 1.0
	v_rcp_f64_e32 v[224:225], v[222:223]
	s_nop 0
	v_fma_f64 v[228:229], -v[222:223], v[224:225], 1.0
	v_fmac_f64_e32 v[224:225], v[224:225], v[228:229]
	v_fma_f64 v[228:229], -v[222:223], v[224:225], 1.0
	v_fmac_f64_e32 v[224:225], v[224:225], v[228:229]
	v_div_scale_f64 v[228:229], vcc, 1.0, v[220:221], 1.0
	v_mul_f64 v[230:231], v[228:229], v[224:225]
	v_fma_f64 v[222:223], -v[222:223], v[230:231], v[228:229]
	s_nop 1
	v_div_fmas_f64 v[222:223], v[222:223], v[224:225], v[230:231]
	v_div_fixup_f64 v[224:225], v[222:223], v[220:221], 1.0
	v_mul_f64 v[226:227], v[226:227], -v[224:225]
.LBB83_322:
	s_or_b64 exec, exec, s[2:3]
	ds_write2_b64 v249, v[224:225], v[226:227] offset1:1
.LBB83_323:
	s_or_b64 exec, exec, s[4:5]
	s_waitcnt lgkmcnt(0)
	s_barrier
	ds_read2_b64 v[220:223], v249 offset1:1
	v_cmp_lt_u32_e32 vcc, 35, v248
	s_and_saveexec_b64 s[2:3], vcc
	s_cbranch_execz .LBB83_325
; %bb.324:
	ds_read2_b64 v[224:227], v250 offset0:72 offset1:73
	s_waitcnt vmcnt(42) lgkmcnt(1)
	v_mul_f64 v[228:229], v[220:221], v[22:23]
	v_fmac_f64_e32 v[228:229], v[222:223], v[20:21]
	v_mul_f64 v[22:23], v[222:223], v[22:23]
	v_fma_f64 v[20:21], v[220:221], v[20:21], -v[22:23]
	s_waitcnt lgkmcnt(0)
	v_mul_f64 v[22:23], v[226:227], v[228:229]
	v_fma_f64 v[22:23], v[224:225], v[20:21], -v[22:23]
	v_mul_f64 v[224:225], v[224:225], v[228:229]
	v_fmac_f64_e32 v[224:225], v[226:227], v[20:21]
	s_waitcnt vmcnt(41)
	v_add_f64 v[18:19], v[18:19], -v[224:225]
	ds_read2_b64 v[224:227], v250 offset0:74 offset1:75
	v_add_f64 v[16:17], v[16:17], -v[22:23]
	s_waitcnt lgkmcnt(0)
	v_mul_f64 v[22:23], v[226:227], v[228:229]
	v_fma_f64 v[22:23], v[224:225], v[20:21], -v[22:23]
	v_mul_f64 v[224:225], v[224:225], v[228:229]
	v_fmac_f64_e32 v[224:225], v[226:227], v[20:21]
	s_waitcnt vmcnt(40)
	v_add_f64 v[14:15], v[14:15], -v[224:225]
	ds_read2_b64 v[224:227], v250 offset0:76 offset1:77
	v_add_f64 v[12:13], v[12:13], -v[22:23]
	s_waitcnt lgkmcnt(0)
	v_mul_f64 v[22:23], v[226:227], v[228:229]
	v_fma_f64 v[22:23], v[224:225], v[20:21], -v[22:23]
	v_mul_f64 v[224:225], v[224:225], v[228:229]
	v_fmac_f64_e32 v[224:225], v[226:227], v[20:21]
	s_waitcnt vmcnt(39)
	v_add_f64 v[10:11], v[10:11], -v[224:225]
	ds_read2_b64 v[224:227], v250 offset0:78 offset1:79
	v_add_f64 v[8:9], v[8:9], -v[22:23]
	s_waitcnt lgkmcnt(0)
	v_mul_f64 v[22:23], v[226:227], v[228:229]
	v_fma_f64 v[22:23], v[224:225], v[20:21], -v[22:23]
	v_mul_f64 v[224:225], v[224:225], v[228:229]
	v_fmac_f64_e32 v[224:225], v[226:227], v[20:21]
	s_waitcnt vmcnt(38)
	v_add_f64 v[6:7], v[6:7], -v[224:225]
	ds_read2_b64 v[224:227], v250 offset0:80 offset1:81
	v_add_f64 v[4:5], v[4:5], -v[22:23]
	s_waitcnt lgkmcnt(0)
	v_mul_f64 v[22:23], v[226:227], v[228:229]
	v_fma_f64 v[22:23], v[224:225], v[20:21], -v[22:23]
	v_mul_f64 v[224:225], v[224:225], v[228:229]
	v_fmac_f64_e32 v[224:225], v[226:227], v[20:21]
	s_waitcnt vmcnt(37)
	v_add_f64 v[2:3], v[2:3], -v[224:225]
	ds_read2_b64 v[224:227], v250 offset0:82 offset1:83
	v_add_f64 v[0:1], v[0:1], -v[22:23]
	s_waitcnt lgkmcnt(0)
	v_mul_f64 v[22:23], v[226:227], v[228:229]
	v_fma_f64 v[22:23], v[224:225], v[20:21], -v[22:23]
	v_mul_f64 v[224:225], v[224:225], v[228:229]
	v_fmac_f64_e32 v[224:225], v[226:227], v[20:21]
	s_waitcnt vmcnt(36)
	v_add_f64 v[164:165], v[164:165], -v[22:23]
	v_add_f64 v[166:167], v[166:167], -v[224:225]
	v_mov_b64_e32 v[22:23], v[228:229]
.LBB83_325:
	s_or_b64 exec, exec, s[2:3]
	v_cmp_eq_u32_e32 vcc, 36, v248
	s_waitcnt lgkmcnt(0)
	s_barrier
	s_and_saveexec_b64 s[4:5], vcc
	s_cbranch_execz .LBB83_332
; %bb.326:
	s_waitcnt vmcnt(41)
	ds_write2_b64 v249, v[16:17], v[18:19] offset1:1
	s_waitcnt vmcnt(40)
	ds_write2_b64 v250, v[12:13], v[14:15] offset0:74 offset1:75
	s_waitcnt vmcnt(39)
	ds_write2_b64 v250, v[8:9], v[10:11] offset0:76 offset1:77
	;; [unrolled: 2-line block ×5, first 2 shown]
	ds_read2_b64 v[224:227], v249 offset1:1
	s_waitcnt lgkmcnt(0)
	v_cmp_neq_f64_e32 vcc, 0, v[224:225]
	v_cmp_neq_f64_e64 s[2:3], 0, v[226:227]
	s_or_b64 s[2:3], vcc, s[2:3]
	s_and_b64 exec, exec, s[2:3]
	s_cbranch_execz .LBB83_332
; %bb.327:
	v_cmp_ngt_f64_e64 s[2:3], |v[224:225]|, |v[226:227]|
                                        ; implicit-def: $vgpr228_vgpr229
	s_and_saveexec_b64 s[10:11], s[2:3]
	s_xor_b64 s[2:3], exec, s[10:11]
                                        ; implicit-def: $vgpr230_vgpr231
	s_cbranch_execz .LBB83_329
; %bb.328:
	v_div_scale_f64 v[228:229], s[10:11], v[226:227], v[226:227], v[224:225]
	v_rcp_f64_e32 v[230:231], v[228:229]
	v_div_scale_f64 v[232:233], vcc, v[224:225], v[226:227], v[224:225]
	v_fma_f64 v[234:235], -v[228:229], v[230:231], 1.0
	v_fmac_f64_e32 v[230:231], v[230:231], v[234:235]
	v_fma_f64 v[234:235], -v[228:229], v[230:231], 1.0
	v_fmac_f64_e32 v[230:231], v[230:231], v[234:235]
	v_mul_f64 v[234:235], v[232:233], v[230:231]
	v_fma_f64 v[228:229], -v[228:229], v[234:235], v[232:233]
	v_div_fmas_f64 v[228:229], v[228:229], v[230:231], v[234:235]
	v_div_fixup_f64 v[228:229], v[228:229], v[226:227], v[224:225]
	v_fmac_f64_e32 v[226:227], v[224:225], v[228:229]
	v_div_scale_f64 v[224:225], s[10:11], v[226:227], v[226:227], 1.0
	v_rcp_f64_e32 v[230:231], v[224:225]
	s_nop 0
	v_fma_f64 v[232:233], -v[224:225], v[230:231], 1.0
	v_fmac_f64_e32 v[230:231], v[230:231], v[232:233]
	v_fma_f64 v[232:233], -v[224:225], v[230:231], 1.0
	v_fmac_f64_e32 v[230:231], v[230:231], v[232:233]
	v_div_scale_f64 v[232:233], vcc, 1.0, v[226:227], 1.0
	v_mul_f64 v[234:235], v[232:233], v[230:231]
	v_fma_f64 v[224:225], -v[224:225], v[234:235], v[232:233]
	s_nop 1
	v_div_fmas_f64 v[224:225], v[224:225], v[230:231], v[234:235]
	v_div_fixup_f64 v[230:231], v[224:225], v[226:227], 1.0
	v_mul_f64 v[228:229], v[228:229], v[230:231]
	v_xor_b32_e32 v231, 0x80000000, v231
                                        ; implicit-def: $vgpr224_vgpr225
.LBB83_329:
	s_andn2_saveexec_b64 s[2:3], s[2:3]
	s_cbranch_execz .LBB83_331
; %bb.330:
	v_div_scale_f64 v[228:229], s[10:11], v[224:225], v[224:225], v[226:227]
	v_rcp_f64_e32 v[230:231], v[228:229]
	v_div_scale_f64 v[232:233], vcc, v[226:227], v[224:225], v[226:227]
	v_fma_f64 v[234:235], -v[228:229], v[230:231], 1.0
	v_fmac_f64_e32 v[230:231], v[230:231], v[234:235]
	v_fma_f64 v[234:235], -v[228:229], v[230:231], 1.0
	v_fmac_f64_e32 v[230:231], v[230:231], v[234:235]
	v_mul_f64 v[234:235], v[232:233], v[230:231]
	v_fma_f64 v[228:229], -v[228:229], v[234:235], v[232:233]
	v_div_fmas_f64 v[228:229], v[228:229], v[230:231], v[234:235]
	v_div_fixup_f64 v[230:231], v[228:229], v[224:225], v[226:227]
	v_fmac_f64_e32 v[224:225], v[226:227], v[230:231]
	v_div_scale_f64 v[226:227], s[10:11], v[224:225], v[224:225], 1.0
	v_rcp_f64_e32 v[228:229], v[226:227]
	s_nop 0
	v_fma_f64 v[232:233], -v[226:227], v[228:229], 1.0
	v_fmac_f64_e32 v[228:229], v[228:229], v[232:233]
	v_fma_f64 v[232:233], -v[226:227], v[228:229], 1.0
	v_fmac_f64_e32 v[228:229], v[228:229], v[232:233]
	v_div_scale_f64 v[232:233], vcc, 1.0, v[224:225], 1.0
	v_mul_f64 v[234:235], v[232:233], v[228:229]
	v_fma_f64 v[226:227], -v[226:227], v[234:235], v[232:233]
	s_nop 1
	v_div_fmas_f64 v[226:227], v[226:227], v[228:229], v[234:235]
	v_div_fixup_f64 v[228:229], v[226:227], v[224:225], 1.0
	v_mul_f64 v[230:231], v[230:231], -v[228:229]
.LBB83_331:
	s_or_b64 exec, exec, s[2:3]
	ds_write2_b64 v249, v[228:229], v[230:231] offset1:1
.LBB83_332:
	s_or_b64 exec, exec, s[4:5]
	s_waitcnt lgkmcnt(0)
	s_barrier
	ds_read2_b64 v[224:227], v249 offset1:1
	v_cmp_lt_u32_e32 vcc, 36, v248
	s_and_saveexec_b64 s[2:3], vcc
	s_cbranch_execz .LBB83_334
; %bb.333:
	ds_read2_b64 v[228:231], v250 offset0:74 offset1:75
	s_waitcnt vmcnt(41) lgkmcnt(1)
	v_mul_f64 v[232:233], v[224:225], v[18:19]
	v_fmac_f64_e32 v[232:233], v[226:227], v[16:17]
	v_mul_f64 v[18:19], v[226:227], v[18:19]
	v_fma_f64 v[16:17], v[224:225], v[16:17], -v[18:19]
	s_waitcnt lgkmcnt(0)
	v_mul_f64 v[18:19], v[230:231], v[232:233]
	v_fma_f64 v[18:19], v[228:229], v[16:17], -v[18:19]
	v_mul_f64 v[228:229], v[228:229], v[232:233]
	v_fmac_f64_e32 v[228:229], v[230:231], v[16:17]
	s_waitcnt vmcnt(40)
	v_add_f64 v[14:15], v[14:15], -v[228:229]
	ds_read2_b64 v[228:231], v250 offset0:76 offset1:77
	v_add_f64 v[12:13], v[12:13], -v[18:19]
	s_waitcnt lgkmcnt(0)
	v_mul_f64 v[18:19], v[230:231], v[232:233]
	v_fma_f64 v[18:19], v[228:229], v[16:17], -v[18:19]
	v_mul_f64 v[228:229], v[228:229], v[232:233]
	v_fmac_f64_e32 v[228:229], v[230:231], v[16:17]
	s_waitcnt vmcnt(39)
	v_add_f64 v[10:11], v[10:11], -v[228:229]
	ds_read2_b64 v[228:231], v250 offset0:78 offset1:79
	v_add_f64 v[8:9], v[8:9], -v[18:19]
	;; [unrolled: 9-line block ×4, first 2 shown]
	s_waitcnt lgkmcnt(0)
	v_mul_f64 v[18:19], v[230:231], v[232:233]
	v_fma_f64 v[18:19], v[228:229], v[16:17], -v[18:19]
	v_mul_f64 v[228:229], v[228:229], v[232:233]
	v_fmac_f64_e32 v[228:229], v[230:231], v[16:17]
	s_waitcnt vmcnt(36)
	v_add_f64 v[164:165], v[164:165], -v[18:19]
	v_add_f64 v[166:167], v[166:167], -v[228:229]
	v_mov_b64_e32 v[18:19], v[232:233]
.LBB83_334:
	s_or_b64 exec, exec, s[2:3]
	v_cmp_eq_u32_e32 vcc, 37, v248
	s_waitcnt lgkmcnt(0)
	s_barrier
	s_and_saveexec_b64 s[4:5], vcc
	s_cbranch_execz .LBB83_341
; %bb.335:
	s_waitcnt vmcnt(40)
	ds_write2_b64 v249, v[12:13], v[14:15] offset1:1
	s_waitcnt vmcnt(39)
	ds_write2_b64 v250, v[8:9], v[10:11] offset0:76 offset1:77
	s_waitcnt vmcnt(38)
	ds_write2_b64 v250, v[4:5], v[6:7] offset0:78 offset1:79
	;; [unrolled: 2-line block ×4, first 2 shown]
	ds_read2_b64 v[228:231], v249 offset1:1
	s_waitcnt lgkmcnt(0)
	v_cmp_neq_f64_e32 vcc, 0, v[228:229]
	v_cmp_neq_f64_e64 s[2:3], 0, v[230:231]
	s_or_b64 s[2:3], vcc, s[2:3]
	s_and_b64 exec, exec, s[2:3]
	s_cbranch_execz .LBB83_341
; %bb.336:
	v_cmp_ngt_f64_e64 s[2:3], |v[228:229]|, |v[230:231]|
                                        ; implicit-def: $vgpr232_vgpr233
	s_and_saveexec_b64 s[10:11], s[2:3]
	s_xor_b64 s[2:3], exec, s[10:11]
                                        ; implicit-def: $vgpr234_vgpr235
	s_cbranch_execz .LBB83_338
; %bb.337:
	v_div_scale_f64 v[232:233], s[10:11], v[230:231], v[230:231], v[228:229]
	v_rcp_f64_e32 v[234:235], v[232:233]
	v_div_scale_f64 v[236:237], vcc, v[228:229], v[230:231], v[228:229]
	v_fma_f64 v[238:239], -v[232:233], v[234:235], 1.0
	v_fmac_f64_e32 v[234:235], v[234:235], v[238:239]
	v_fma_f64 v[238:239], -v[232:233], v[234:235], 1.0
	v_fmac_f64_e32 v[234:235], v[234:235], v[238:239]
	v_mul_f64 v[238:239], v[236:237], v[234:235]
	v_fma_f64 v[232:233], -v[232:233], v[238:239], v[236:237]
	v_div_fmas_f64 v[232:233], v[232:233], v[234:235], v[238:239]
	v_div_fixup_f64 v[232:233], v[232:233], v[230:231], v[228:229]
	v_fmac_f64_e32 v[230:231], v[228:229], v[232:233]
	v_div_scale_f64 v[228:229], s[10:11], v[230:231], v[230:231], 1.0
	v_rcp_f64_e32 v[234:235], v[228:229]
	s_nop 0
	v_fma_f64 v[236:237], -v[228:229], v[234:235], 1.0
	v_fmac_f64_e32 v[234:235], v[234:235], v[236:237]
	v_fma_f64 v[236:237], -v[228:229], v[234:235], 1.0
	v_fmac_f64_e32 v[234:235], v[234:235], v[236:237]
	v_div_scale_f64 v[236:237], vcc, 1.0, v[230:231], 1.0
	v_mul_f64 v[238:239], v[236:237], v[234:235]
	v_fma_f64 v[228:229], -v[228:229], v[238:239], v[236:237]
	s_nop 1
	v_div_fmas_f64 v[228:229], v[228:229], v[234:235], v[238:239]
	v_div_fixup_f64 v[234:235], v[228:229], v[230:231], 1.0
	v_mul_f64 v[232:233], v[232:233], v[234:235]
	v_xor_b32_e32 v235, 0x80000000, v235
                                        ; implicit-def: $vgpr228_vgpr229
.LBB83_338:
	s_andn2_saveexec_b64 s[2:3], s[2:3]
	s_cbranch_execz .LBB83_340
; %bb.339:
	v_div_scale_f64 v[232:233], s[10:11], v[228:229], v[228:229], v[230:231]
	v_rcp_f64_e32 v[234:235], v[232:233]
	v_div_scale_f64 v[236:237], vcc, v[230:231], v[228:229], v[230:231]
	v_fma_f64 v[238:239], -v[232:233], v[234:235], 1.0
	v_fmac_f64_e32 v[234:235], v[234:235], v[238:239]
	v_fma_f64 v[238:239], -v[232:233], v[234:235], 1.0
	v_fmac_f64_e32 v[234:235], v[234:235], v[238:239]
	v_mul_f64 v[238:239], v[236:237], v[234:235]
	v_fma_f64 v[232:233], -v[232:233], v[238:239], v[236:237]
	v_div_fmas_f64 v[232:233], v[232:233], v[234:235], v[238:239]
	v_div_fixup_f64 v[234:235], v[232:233], v[228:229], v[230:231]
	v_fmac_f64_e32 v[228:229], v[230:231], v[234:235]
	v_div_scale_f64 v[230:231], s[10:11], v[228:229], v[228:229], 1.0
	v_rcp_f64_e32 v[232:233], v[230:231]
	s_nop 0
	v_fma_f64 v[236:237], -v[230:231], v[232:233], 1.0
	v_fmac_f64_e32 v[232:233], v[232:233], v[236:237]
	v_fma_f64 v[236:237], -v[230:231], v[232:233], 1.0
	v_fmac_f64_e32 v[232:233], v[232:233], v[236:237]
	v_div_scale_f64 v[236:237], vcc, 1.0, v[228:229], 1.0
	v_mul_f64 v[238:239], v[236:237], v[232:233]
	v_fma_f64 v[230:231], -v[230:231], v[238:239], v[236:237]
	s_nop 1
	v_div_fmas_f64 v[230:231], v[230:231], v[232:233], v[238:239]
	v_div_fixup_f64 v[232:233], v[230:231], v[228:229], 1.0
	v_mul_f64 v[234:235], v[234:235], -v[232:233]
.LBB83_340:
	s_or_b64 exec, exec, s[2:3]
	ds_write2_b64 v249, v[232:233], v[234:235] offset1:1
.LBB83_341:
	s_or_b64 exec, exec, s[4:5]
	s_waitcnt lgkmcnt(0)
	s_barrier
	ds_read2_b64 v[228:231], v249 offset1:1
	v_cmp_lt_u32_e32 vcc, 37, v248
	s_and_saveexec_b64 s[2:3], vcc
	s_cbranch_execz .LBB83_343
; %bb.342:
	ds_read2_b64 v[232:235], v250 offset0:76 offset1:77
	s_waitcnt vmcnt(40) lgkmcnt(1)
	v_mul_f64 v[236:237], v[228:229], v[14:15]
	v_fmac_f64_e32 v[236:237], v[230:231], v[12:13]
	v_mul_f64 v[14:15], v[230:231], v[14:15]
	v_fma_f64 v[12:13], v[228:229], v[12:13], -v[14:15]
	s_waitcnt lgkmcnt(0)
	v_mul_f64 v[14:15], v[234:235], v[236:237]
	v_fma_f64 v[14:15], v[232:233], v[12:13], -v[14:15]
	v_mul_f64 v[232:233], v[232:233], v[236:237]
	v_fmac_f64_e32 v[232:233], v[234:235], v[12:13]
	s_waitcnt vmcnt(39)
	v_add_f64 v[10:11], v[10:11], -v[232:233]
	ds_read2_b64 v[232:235], v250 offset0:78 offset1:79
	v_add_f64 v[8:9], v[8:9], -v[14:15]
	s_waitcnt lgkmcnt(0)
	v_mul_f64 v[14:15], v[234:235], v[236:237]
	v_fma_f64 v[14:15], v[232:233], v[12:13], -v[14:15]
	v_mul_f64 v[232:233], v[232:233], v[236:237]
	v_fmac_f64_e32 v[232:233], v[234:235], v[12:13]
	s_waitcnt vmcnt(38)
	v_add_f64 v[6:7], v[6:7], -v[232:233]
	ds_read2_b64 v[232:235], v250 offset0:80 offset1:81
	v_add_f64 v[4:5], v[4:5], -v[14:15]
	;; [unrolled: 9-line block ×3, first 2 shown]
	s_waitcnt lgkmcnt(0)
	v_mul_f64 v[14:15], v[234:235], v[236:237]
	v_fma_f64 v[14:15], v[232:233], v[12:13], -v[14:15]
	v_mul_f64 v[232:233], v[232:233], v[236:237]
	v_fmac_f64_e32 v[232:233], v[234:235], v[12:13]
	s_waitcnt vmcnt(36)
	v_add_f64 v[164:165], v[164:165], -v[14:15]
	v_add_f64 v[166:167], v[166:167], -v[232:233]
	v_mov_b64_e32 v[14:15], v[236:237]
.LBB83_343:
	s_or_b64 exec, exec, s[2:3]
	v_cmp_eq_u32_e32 vcc, 38, v248
	s_waitcnt lgkmcnt(0)
	s_barrier
	s_and_saveexec_b64 s[4:5], vcc
	s_cbranch_execz .LBB83_350
; %bb.344:
	s_waitcnt vmcnt(39)
	ds_write2_b64 v249, v[8:9], v[10:11] offset1:1
	s_waitcnt vmcnt(38)
	ds_write2_b64 v250, v[4:5], v[6:7] offset0:78 offset1:79
	s_waitcnt vmcnt(37)
	ds_write2_b64 v250, v[0:1], v[2:3] offset0:80 offset1:81
	;; [unrolled: 2-line block ×3, first 2 shown]
	ds_read2_b64 v[232:235], v249 offset1:1
	s_waitcnt lgkmcnt(0)
	v_cmp_neq_f64_e32 vcc, 0, v[232:233]
	v_cmp_neq_f64_e64 s[2:3], 0, v[234:235]
	s_or_b64 s[2:3], vcc, s[2:3]
	s_and_b64 exec, exec, s[2:3]
	s_cbranch_execz .LBB83_350
; %bb.345:
	v_cmp_ngt_f64_e64 s[2:3], |v[232:233]|, |v[234:235]|
                                        ; implicit-def: $vgpr236_vgpr237
	s_and_saveexec_b64 s[10:11], s[2:3]
	s_xor_b64 s[2:3], exec, s[10:11]
                                        ; implicit-def: $vgpr238_vgpr239
	s_cbranch_execz .LBB83_347
; %bb.346:
	v_div_scale_f64 v[236:237], s[10:11], v[234:235], v[234:235], v[232:233]
	v_rcp_f64_e32 v[238:239], v[236:237]
	v_div_scale_f64 v[240:241], vcc, v[232:233], v[234:235], v[232:233]
	v_fma_f64 v[242:243], -v[236:237], v[238:239], 1.0
	v_fmac_f64_e32 v[238:239], v[238:239], v[242:243]
	v_fma_f64 v[242:243], -v[236:237], v[238:239], 1.0
	v_fmac_f64_e32 v[238:239], v[238:239], v[242:243]
	v_mul_f64 v[242:243], v[240:241], v[238:239]
	v_fma_f64 v[236:237], -v[236:237], v[242:243], v[240:241]
	v_div_fmas_f64 v[236:237], v[236:237], v[238:239], v[242:243]
	v_div_fixup_f64 v[236:237], v[236:237], v[234:235], v[232:233]
	v_fmac_f64_e32 v[234:235], v[232:233], v[236:237]
	v_div_scale_f64 v[232:233], s[10:11], v[234:235], v[234:235], 1.0
	v_rcp_f64_e32 v[238:239], v[232:233]
	s_nop 0
	v_fma_f64 v[240:241], -v[232:233], v[238:239], 1.0
	v_fmac_f64_e32 v[238:239], v[238:239], v[240:241]
	v_fma_f64 v[240:241], -v[232:233], v[238:239], 1.0
	v_fmac_f64_e32 v[238:239], v[238:239], v[240:241]
	v_div_scale_f64 v[240:241], vcc, 1.0, v[234:235], 1.0
	v_mul_f64 v[242:243], v[240:241], v[238:239]
	v_fma_f64 v[232:233], -v[232:233], v[242:243], v[240:241]
	s_nop 1
	v_div_fmas_f64 v[232:233], v[232:233], v[238:239], v[242:243]
	v_div_fixup_f64 v[238:239], v[232:233], v[234:235], 1.0
	v_mul_f64 v[236:237], v[236:237], v[238:239]
	v_xor_b32_e32 v239, 0x80000000, v239
                                        ; implicit-def: $vgpr232_vgpr233
.LBB83_347:
	s_andn2_saveexec_b64 s[2:3], s[2:3]
	s_cbranch_execz .LBB83_349
; %bb.348:
	v_div_scale_f64 v[236:237], s[10:11], v[232:233], v[232:233], v[234:235]
	v_rcp_f64_e32 v[238:239], v[236:237]
	v_div_scale_f64 v[240:241], vcc, v[234:235], v[232:233], v[234:235]
	v_fma_f64 v[242:243], -v[236:237], v[238:239], 1.0
	v_fmac_f64_e32 v[238:239], v[238:239], v[242:243]
	v_fma_f64 v[242:243], -v[236:237], v[238:239], 1.0
	v_fmac_f64_e32 v[238:239], v[238:239], v[242:243]
	v_mul_f64 v[242:243], v[240:241], v[238:239]
	v_fma_f64 v[236:237], -v[236:237], v[242:243], v[240:241]
	v_div_fmas_f64 v[236:237], v[236:237], v[238:239], v[242:243]
	v_div_fixup_f64 v[238:239], v[236:237], v[232:233], v[234:235]
	v_fmac_f64_e32 v[232:233], v[234:235], v[238:239]
	v_div_scale_f64 v[234:235], s[10:11], v[232:233], v[232:233], 1.0
	v_rcp_f64_e32 v[236:237], v[234:235]
	s_nop 0
	v_fma_f64 v[240:241], -v[234:235], v[236:237], 1.0
	v_fmac_f64_e32 v[236:237], v[236:237], v[240:241]
	v_fma_f64 v[240:241], -v[234:235], v[236:237], 1.0
	v_fmac_f64_e32 v[236:237], v[236:237], v[240:241]
	v_div_scale_f64 v[240:241], vcc, 1.0, v[232:233], 1.0
	v_mul_f64 v[242:243], v[240:241], v[236:237]
	v_fma_f64 v[234:235], -v[234:235], v[242:243], v[240:241]
	s_nop 1
	v_div_fmas_f64 v[234:235], v[234:235], v[236:237], v[242:243]
	v_div_fixup_f64 v[236:237], v[234:235], v[232:233], 1.0
	v_mul_f64 v[238:239], v[238:239], -v[236:237]
.LBB83_349:
	s_or_b64 exec, exec, s[2:3]
	ds_write2_b64 v249, v[236:237], v[238:239] offset1:1
.LBB83_350:
	s_or_b64 exec, exec, s[4:5]
	s_waitcnt lgkmcnt(0)
	s_barrier
	ds_read2_b64 v[232:235], v249 offset1:1
	v_cmp_lt_u32_e32 vcc, 38, v248
	s_and_saveexec_b64 s[2:3], vcc
	s_cbranch_execz .LBB83_352
; %bb.351:
	ds_read2_b64 v[236:239], v250 offset0:78 offset1:79
	s_waitcnt vmcnt(39) lgkmcnt(1)
	v_mul_f64 v[240:241], v[232:233], v[10:11]
	v_fmac_f64_e32 v[240:241], v[234:235], v[8:9]
	v_mul_f64 v[10:11], v[234:235], v[10:11]
	v_fma_f64 v[8:9], v[232:233], v[8:9], -v[10:11]
	s_waitcnt lgkmcnt(0)
	v_mul_f64 v[10:11], v[238:239], v[240:241]
	v_fma_f64 v[10:11], v[236:237], v[8:9], -v[10:11]
	v_mul_f64 v[236:237], v[236:237], v[240:241]
	v_fmac_f64_e32 v[236:237], v[238:239], v[8:9]
	s_waitcnt vmcnt(38)
	v_add_f64 v[6:7], v[6:7], -v[236:237]
	ds_read2_b64 v[236:239], v250 offset0:80 offset1:81
	v_add_f64 v[4:5], v[4:5], -v[10:11]
	s_waitcnt lgkmcnt(0)
	v_mul_f64 v[10:11], v[238:239], v[240:241]
	v_fma_f64 v[10:11], v[236:237], v[8:9], -v[10:11]
	v_mul_f64 v[236:237], v[236:237], v[240:241]
	v_fmac_f64_e32 v[236:237], v[238:239], v[8:9]
	s_waitcnt vmcnt(37)
	v_add_f64 v[2:3], v[2:3], -v[236:237]
	ds_read2_b64 v[236:239], v250 offset0:82 offset1:83
	v_add_f64 v[0:1], v[0:1], -v[10:11]
	s_waitcnt lgkmcnt(0)
	v_mul_f64 v[10:11], v[238:239], v[240:241]
	v_fma_f64 v[10:11], v[236:237], v[8:9], -v[10:11]
	v_mul_f64 v[236:237], v[236:237], v[240:241]
	v_fmac_f64_e32 v[236:237], v[238:239], v[8:9]
	s_waitcnt vmcnt(36)
	v_add_f64 v[164:165], v[164:165], -v[10:11]
	v_add_f64 v[166:167], v[166:167], -v[236:237]
	v_mov_b64_e32 v[10:11], v[240:241]
.LBB83_352:
	s_or_b64 exec, exec, s[2:3]
	v_cmp_eq_u32_e32 vcc, 39, v248
	s_waitcnt lgkmcnt(0)
	s_barrier
	s_and_saveexec_b64 s[4:5], vcc
	s_cbranch_execz .LBB83_359
; %bb.353:
	s_waitcnt vmcnt(38)
	ds_write2_b64 v249, v[4:5], v[6:7] offset1:1
	s_waitcnt vmcnt(37)
	ds_write2_b64 v250, v[0:1], v[2:3] offset0:80 offset1:81
	s_waitcnt vmcnt(36)
	ds_write2_b64 v250, v[164:165], v[166:167] offset0:82 offset1:83
	ds_read2_b64 v[236:239], v249 offset1:1
	s_waitcnt lgkmcnt(0)
	v_cmp_neq_f64_e32 vcc, 0, v[236:237]
	v_cmp_neq_f64_e64 s[2:3], 0, v[238:239]
	s_or_b64 s[2:3], vcc, s[2:3]
	s_and_b64 exec, exec, s[2:3]
	s_cbranch_execz .LBB83_359
; %bb.354:
	v_cmp_ngt_f64_e64 s[2:3], |v[236:237]|, |v[238:239]|
                                        ; implicit-def: $vgpr240_vgpr241
	s_and_saveexec_b64 s[10:11], s[2:3]
	s_xor_b64 s[2:3], exec, s[10:11]
                                        ; implicit-def: $vgpr242_vgpr243
	s_cbranch_execz .LBB83_356
; %bb.355:
	v_div_scale_f64 v[240:241], s[10:11], v[238:239], v[238:239], v[236:237]
	v_rcp_f64_e32 v[242:243], v[240:241]
	v_div_scale_f64 v[244:245], vcc, v[236:237], v[238:239], v[236:237]
	v_fma_f64 v[246:247], -v[240:241], v[242:243], 1.0
	v_fmac_f64_e32 v[242:243], v[242:243], v[246:247]
	v_fma_f64 v[246:247], -v[240:241], v[242:243], 1.0
	v_fmac_f64_e32 v[242:243], v[242:243], v[246:247]
	v_mul_f64 v[246:247], v[244:245], v[242:243]
	v_fma_f64 v[240:241], -v[240:241], v[246:247], v[244:245]
	v_div_fmas_f64 v[240:241], v[240:241], v[242:243], v[246:247]
	v_div_fixup_f64 v[240:241], v[240:241], v[238:239], v[236:237]
	v_fmac_f64_e32 v[238:239], v[236:237], v[240:241]
	v_div_scale_f64 v[236:237], s[10:11], v[238:239], v[238:239], 1.0
	v_rcp_f64_e32 v[242:243], v[236:237]
	s_nop 0
	v_fma_f64 v[244:245], -v[236:237], v[242:243], 1.0
	v_fmac_f64_e32 v[242:243], v[242:243], v[244:245]
	v_fma_f64 v[244:245], -v[236:237], v[242:243], 1.0
	v_fmac_f64_e32 v[242:243], v[242:243], v[244:245]
	v_div_scale_f64 v[244:245], vcc, 1.0, v[238:239], 1.0
	v_mul_f64 v[246:247], v[244:245], v[242:243]
	v_fma_f64 v[236:237], -v[236:237], v[246:247], v[244:245]
	s_nop 1
	v_div_fmas_f64 v[236:237], v[236:237], v[242:243], v[246:247]
	v_div_fixup_f64 v[242:243], v[236:237], v[238:239], 1.0
	v_mul_f64 v[240:241], v[240:241], v[242:243]
	v_xor_b32_e32 v243, 0x80000000, v243
                                        ; implicit-def: $vgpr236_vgpr237
.LBB83_356:
	s_andn2_saveexec_b64 s[2:3], s[2:3]
	s_cbranch_execz .LBB83_358
; %bb.357:
	v_div_scale_f64 v[240:241], s[10:11], v[236:237], v[236:237], v[238:239]
	v_rcp_f64_e32 v[242:243], v[240:241]
	v_div_scale_f64 v[244:245], vcc, v[238:239], v[236:237], v[238:239]
	v_fma_f64 v[246:247], -v[240:241], v[242:243], 1.0
	v_fmac_f64_e32 v[242:243], v[242:243], v[246:247]
	v_fma_f64 v[246:247], -v[240:241], v[242:243], 1.0
	v_fmac_f64_e32 v[242:243], v[242:243], v[246:247]
	v_mul_f64 v[246:247], v[244:245], v[242:243]
	v_fma_f64 v[240:241], -v[240:241], v[246:247], v[244:245]
	v_div_fmas_f64 v[240:241], v[240:241], v[242:243], v[246:247]
	v_div_fixup_f64 v[242:243], v[240:241], v[236:237], v[238:239]
	v_fmac_f64_e32 v[236:237], v[238:239], v[242:243]
	v_div_scale_f64 v[238:239], s[10:11], v[236:237], v[236:237], 1.0
	v_rcp_f64_e32 v[240:241], v[238:239]
	s_nop 0
	v_fma_f64 v[244:245], -v[238:239], v[240:241], 1.0
	v_fmac_f64_e32 v[240:241], v[240:241], v[244:245]
	v_fma_f64 v[244:245], -v[238:239], v[240:241], 1.0
	v_fmac_f64_e32 v[240:241], v[240:241], v[244:245]
	v_div_scale_f64 v[244:245], vcc, 1.0, v[236:237], 1.0
	v_mul_f64 v[246:247], v[244:245], v[240:241]
	v_fma_f64 v[238:239], -v[238:239], v[246:247], v[244:245]
	s_nop 1
	v_div_fmas_f64 v[238:239], v[238:239], v[240:241], v[246:247]
	v_div_fixup_f64 v[240:241], v[238:239], v[236:237], 1.0
	v_mul_f64 v[242:243], v[242:243], -v[240:241]
.LBB83_358:
	s_or_b64 exec, exec, s[2:3]
	ds_write2_b64 v249, v[240:241], v[242:243] offset1:1
.LBB83_359:
	s_or_b64 exec, exec, s[4:5]
	s_waitcnt lgkmcnt(0)
	s_barrier
	ds_read2_b64 v[236:239], v249 offset1:1
	v_cmp_lt_u32_e32 vcc, 39, v248
	s_and_saveexec_b64 s[2:3], vcc
	s_cbranch_execz .LBB83_361
; %bb.360:
	ds_read2_b64 v[240:243], v250 offset0:80 offset1:81
	s_waitcnt vmcnt(38) lgkmcnt(1)
	v_mul_f64 v[244:245], v[236:237], v[6:7]
	v_fmac_f64_e32 v[244:245], v[238:239], v[4:5]
	v_mul_f64 v[6:7], v[238:239], v[6:7]
	v_fma_f64 v[4:5], v[236:237], v[4:5], -v[6:7]
	s_waitcnt lgkmcnt(0)
	v_mul_f64 v[6:7], v[242:243], v[244:245]
	v_fma_f64 v[6:7], v[240:241], v[4:5], -v[6:7]
	v_mul_f64 v[240:241], v[240:241], v[244:245]
	v_fmac_f64_e32 v[240:241], v[242:243], v[4:5]
	s_waitcnt vmcnt(37)
	v_add_f64 v[2:3], v[2:3], -v[240:241]
	ds_read2_b64 v[240:243], v250 offset0:82 offset1:83
	v_add_f64 v[0:1], v[0:1], -v[6:7]
	s_waitcnt lgkmcnt(0)
	v_mul_f64 v[6:7], v[242:243], v[244:245]
	v_fma_f64 v[6:7], v[240:241], v[4:5], -v[6:7]
	v_mul_f64 v[240:241], v[240:241], v[244:245]
	v_fmac_f64_e32 v[240:241], v[242:243], v[4:5]
	s_waitcnt vmcnt(36)
	v_add_f64 v[164:165], v[164:165], -v[6:7]
	v_add_f64 v[166:167], v[166:167], -v[240:241]
	v_mov_b64_e32 v[6:7], v[244:245]
.LBB83_361:
	s_or_b64 exec, exec, s[2:3]
	v_cmp_eq_u32_e32 vcc, 40, v248
	s_waitcnt lgkmcnt(0)
	s_barrier
	s_and_saveexec_b64 s[4:5], vcc
	s_cbranch_execz .LBB83_368
; %bb.362:
	s_waitcnt vmcnt(37)
	ds_write2_b64 v249, v[0:1], v[2:3] offset1:1
	s_waitcnt vmcnt(36)
	ds_write2_b64 v250, v[164:165], v[166:167] offset0:82 offset1:83
	ds_read2_b64 v[240:243], v249 offset1:1
	s_waitcnt lgkmcnt(0)
	v_cmp_neq_f64_e32 vcc, 0, v[240:241]
	v_cmp_neq_f64_e64 s[2:3], 0, v[242:243]
	s_or_b64 s[2:3], vcc, s[2:3]
	s_and_b64 exec, exec, s[2:3]
	s_cbranch_execz .LBB83_368
; %bb.363:
	v_cmp_ngt_f64_e64 s[2:3], |v[240:241]|, |v[242:243]|
                                        ; implicit-def: $vgpr244_vgpr245
	s_and_saveexec_b64 s[10:11], s[2:3]
	s_xor_b64 s[2:3], exec, s[10:11]
                                        ; implicit-def: $vgpr246_vgpr247
	s_cbranch_execz .LBB83_365
; %bb.364:
	v_div_scale_f64 v[244:245], s[10:11], v[242:243], v[242:243], v[240:241]
	v_rcp_f64_e32 v[246:247], v[244:245]
	v_mov_b64_e32 v[168:169], v[254:255]
	v_div_scale_f64 v[252:253], vcc, v[240:241], v[242:243], v[240:241]
	v_fma_f64 v[254:255], -v[244:245], v[246:247], 1.0
	v_fmac_f64_e32 v[246:247], v[246:247], v[254:255]
	v_fma_f64 v[254:255], -v[244:245], v[246:247], 1.0
	v_fmac_f64_e32 v[246:247], v[246:247], v[254:255]
	v_mul_f64 v[254:255], v[252:253], v[246:247]
	v_fma_f64 v[244:245], -v[244:245], v[254:255], v[252:253]
	v_div_fmas_f64 v[244:245], v[244:245], v[246:247], v[254:255]
	v_div_fixup_f64 v[244:245], v[244:245], v[242:243], v[240:241]
	v_fmac_f64_e32 v[242:243], v[240:241], v[244:245]
	v_div_scale_f64 v[240:241], s[10:11], v[242:243], v[242:243], 1.0
	v_rcp_f64_e32 v[246:247], v[240:241]
	s_nop 0
	v_fma_f64 v[252:253], -v[240:241], v[246:247], 1.0
	v_fmac_f64_e32 v[246:247], v[246:247], v[252:253]
	v_fma_f64 v[252:253], -v[240:241], v[246:247], 1.0
	v_fmac_f64_e32 v[246:247], v[246:247], v[252:253]
	v_div_scale_f64 v[252:253], vcc, 1.0, v[242:243], 1.0
	v_mul_f64 v[254:255], v[252:253], v[246:247]
	v_fma_f64 v[240:241], -v[240:241], v[254:255], v[252:253]
	s_nop 1
	v_div_fmas_f64 v[240:241], v[240:241], v[246:247], v[254:255]
	v_div_fixup_f64 v[246:247], v[240:241], v[242:243], 1.0
	v_mov_b64_e32 v[254:255], v[168:169]
	v_mul_f64 v[244:245], v[244:245], v[246:247]
	v_xor_b32_e32 v247, 0x80000000, v247
                                        ; implicit-def: $vgpr240_vgpr241
.LBB83_365:
	s_andn2_saveexec_b64 s[2:3], s[2:3]
	s_cbranch_execz .LBB83_367
; %bb.366:
	v_div_scale_f64 v[244:245], s[10:11], v[240:241], v[240:241], v[242:243]
	v_rcp_f64_e32 v[246:247], v[244:245]
	v_mov_b64_e32 v[168:169], v[254:255]
	v_div_scale_f64 v[252:253], vcc, v[242:243], v[240:241], v[242:243]
	v_fma_f64 v[254:255], -v[244:245], v[246:247], 1.0
	v_fmac_f64_e32 v[246:247], v[246:247], v[254:255]
	v_fma_f64 v[254:255], -v[244:245], v[246:247], 1.0
	v_fmac_f64_e32 v[246:247], v[246:247], v[254:255]
	v_mul_f64 v[254:255], v[252:253], v[246:247]
	v_fma_f64 v[244:245], -v[244:245], v[254:255], v[252:253]
	v_div_fmas_f64 v[244:245], v[244:245], v[246:247], v[254:255]
	v_div_fixup_f64 v[246:247], v[244:245], v[240:241], v[242:243]
	v_fmac_f64_e32 v[240:241], v[242:243], v[246:247]
	v_div_scale_f64 v[242:243], s[10:11], v[240:241], v[240:241], 1.0
	v_rcp_f64_e32 v[244:245], v[242:243]
	s_nop 0
	v_fma_f64 v[252:253], -v[242:243], v[244:245], 1.0
	v_fmac_f64_e32 v[244:245], v[244:245], v[252:253]
	v_fma_f64 v[252:253], -v[242:243], v[244:245], 1.0
	v_fmac_f64_e32 v[244:245], v[244:245], v[252:253]
	v_div_scale_f64 v[252:253], vcc, 1.0, v[240:241], 1.0
	v_mul_f64 v[254:255], v[252:253], v[244:245]
	v_fma_f64 v[242:243], -v[242:243], v[254:255], v[252:253]
	s_nop 1
	v_div_fmas_f64 v[242:243], v[242:243], v[244:245], v[254:255]
	v_div_fixup_f64 v[244:245], v[242:243], v[240:241], 1.0
	v_mov_b64_e32 v[254:255], v[168:169]
	v_mul_f64 v[246:247], v[246:247], -v[244:245]
.LBB83_367:
	s_or_b64 exec, exec, s[2:3]
	ds_write2_b64 v249, v[244:245], v[246:247] offset1:1
.LBB83_368:
	s_or_b64 exec, exec, s[4:5]
	s_waitcnt lgkmcnt(0)
	s_barrier
	ds_read2_b64 v[240:243], v249 offset1:1
	v_cmp_lt_u32_e32 vcc, 40, v248
	s_and_saveexec_b64 s[2:3], vcc
	s_cbranch_execz .LBB83_370
; %bb.369:
	ds_read2_b64 v[244:247], v250 offset0:82 offset1:83
	s_waitcnt vmcnt(37) lgkmcnt(1)
	v_mul_f64 v[250:251], v[240:241], v[2:3]
	v_mul_f64 v[2:3], v[242:243], v[2:3]
	v_fmac_f64_e32 v[250:251], v[242:243], v[0:1]
	v_fma_f64 v[0:1], v[240:241], v[0:1], -v[2:3]
	s_waitcnt lgkmcnt(0)
	v_mul_f64 v[2:3], v[246:247], v[250:251]
	v_fma_f64 v[2:3], v[244:245], v[0:1], -v[2:3]
	v_mul_f64 v[244:245], v[244:245], v[250:251]
	v_fmac_f64_e32 v[244:245], v[246:247], v[0:1]
	s_waitcnt vmcnt(36)
	v_add_f64 v[164:165], v[164:165], -v[2:3]
	v_add_f64 v[166:167], v[166:167], -v[244:245]
	v_mov_b64_e32 v[2:3], v[250:251]
.LBB83_370:
	s_or_b64 exec, exec, s[2:3]
	v_cmp_eq_u32_e32 vcc, 41, v248
	s_waitcnt lgkmcnt(0)
	s_barrier
	s_and_saveexec_b64 s[4:5], vcc
	s_cbranch_execz .LBB83_377
; %bb.371:
	s_waitcnt vmcnt(36)
	v_cmp_neq_f64_e32 vcc, 0, v[164:165]
	v_cmp_neq_f64_e64 s[2:3], 0, v[166:167]
	s_or_b64 s[2:3], vcc, s[2:3]
	ds_write2_b64 v249, v[164:165], v[166:167] offset1:1
	s_and_b64 exec, exec, s[2:3]
	s_cbranch_execz .LBB83_377
; %bb.372:
	v_cmp_ngt_f64_e64 s[2:3], |v[164:165]|, |v[166:167]|
                                        ; implicit-def: $vgpr244_vgpr245
	s_mov_b64 s[10:11], exec
	s_and_b64 s[12:13], s[10:11], s[2:3]
	s_xor_b64 s[2:3], s[12:13], s[10:11]
                                        ; implicit-def: $vgpr246_vgpr247
	scratch_store_dwordx4 off, v[228:231], off offset:704 ; 16-byte Folded Spill
	s_mov_b64 exec, s[12:13]
	s_cbranch_execz .LBB83_374
; %bb.373:
	v_mov_b64_e32 v[230:231], v[2:3]
	v_mov_b64_e32 v[228:229], v[0:1]
	;; [unrolled: 1-line block ×28, first 2 shown]
	s_waitcnt vmcnt(36)
	v_mov_b64_e32 v[48:49], v[52:53]
	v_mov_b64_e32 v[50:51], v[54:55]
	;; [unrolled: 1-line block ×43, first 2 shown]
	v_div_scale_f64 v[244:245], s[10:11], v[166:167], v[166:167], v[164:165]
	v_mov_b64_e32 v[126:127], v[130:131]
	v_mov_b64_e32 v[128:129], v[212:213]
	v_rcp_f64_e32 v[246:247], v[244:245]
	v_mov_b64_e32 v[130:131], v[214:215]
	v_mov_b64_e32 v[214:215], v[134:135]
	v_mov_b64_e32 v[212:213], v[132:133]
	v_mov_b64_e32 v[132:133], v[136:137]
	v_mov_b64_e32 v[134:135], v[138:139]
	v_mov_b64_e32 v[136:137], v[140:141]
	v_mov_b64_e32 v[138:139], v[142:143]
	v_mov_b64_e32 v[140:141], v[144:145]
	v_mov_b64_e32 v[142:143], v[146:147]
	v_mov_b64_e32 v[144:145], v[148:149]
	v_fma_f64 v[252:253], -v[244:245], v[246:247], 1.0
	v_mov_b64_e32 v[146:147], v[150:151]
	v_mov_b64_e32 v[148:149], v[152:153]
	v_fmac_f64_e32 v[246:247], v[246:247], v[252:253]
	v_mov_b64_e32 v[150:151], v[154:155]
	v_mov_b64_e32 v[152:153], v[208:209]
	v_fma_f64 v[252:253], -v[244:245], v[246:247], 1.0
	v_div_scale_f64 v[250:251], vcc, v[164:165], v[166:167], v[164:165]
	v_mov_b64_e32 v[154:155], v[210:211]
	v_mov_b64_e32 v[210:211], v[158:159]
	v_fmac_f64_e32 v[246:247], v[246:247], v[252:253]
	v_mov_b64_e32 v[208:209], v[156:157]
	v_mov_b64_e32 v[156:157], v[160:161]
	v_mul_f64 v[252:253], v[250:251], v[246:247]
	v_mov_b64_e32 v[158:159], v[162:163]
	v_mov_b64_e32 v[160:161], v[204:205]
	v_fma_f64 v[244:245], -v[244:245], v[252:253], v[250:251]
	v_mov_b64_e32 v[162:163], v[206:207]
	v_mov_b64_e32 v[206:207], v[202:203]
	v_div_fmas_f64 v[244:245], v[244:245], v[246:247], v[252:253]
	v_mov_b64_e32 v[204:205], v[200:201]
	v_mov_b64_e32 v[202:203], v[198:199]
	v_div_fixup_f64 v[244:245], v[244:245], v[166:167], v[164:165]
	v_mov_b64_e32 v[200:201], v[196:197]
	v_mov_b64_e32 v[198:199], v[194:195]
	v_fma_f64 v[246:247], v[164:165], v[244:245], v[166:167]
	v_mov_b64_e32 v[196:197], v[192:193]
	v_mov_b64_e32 v[194:195], v[190:191]
	v_div_scale_f64 v[250:251], s[10:11], v[246:247], v[246:247], 1.0
	v_mov_b64_e32 v[192:193], v[188:189]
	v_mov_b64_e32 v[190:191], v[186:187]
	v_rcp_f64_e32 v[252:253], v[250:251]
	v_mov_b64_e32 v[188:189], v[184:185]
	v_mov_b64_e32 v[186:187], v[182:183]
	;; [unrolled: 1-line block ×8, first 2 shown]
	v_fma_f64 v[254:255], -v[250:251], v[252:253], 1.0
	v_fmac_f64_e32 v[252:253], v[252:253], v[254:255]
	v_fma_f64 v[254:255], -v[250:251], v[252:253], 1.0
	v_fmac_f64_e32 v[252:253], v[252:253], v[254:255]
	v_div_scale_f64 v[254:255], vcc, 1.0, v[246:247], 1.0
	v_mul_f64 v[168:169], v[254:255], v[252:253]
	v_fma_f64 v[170:171], -v[250:251], v[168:169], v[254:255]
	v_mov_b64_e32 v[254:255], v[172:173]
	v_mov_b64_e32 v[172:173], v[176:177]
	;; [unrolled: 1-line block ×111, first 2 shown]
	scratch_load_dwordx4 v[228:231], off, off offset:704 ; 16-byte Folded Reload
	v_div_fmas_f64 v[168:169], v[170:171], v[252:253], v[168:169]
	v_div_fixup_f64 v[246:247], v[168:169], v[246:247], 1.0
	v_mul_f64 v[244:245], v[244:245], v[246:247]
	v_xor_b32_e32 v247, 0x80000000, v247
.LBB83_374:
	s_andn2_saveexec_b64 s[2:3], s[2:3]
	s_cbranch_execz .LBB83_376
; %bb.375:
	v_div_scale_f64 v[168:169], s[10:11], v[164:165], v[164:165], v[166:167]
	v_rcp_f64_e32 v[170:171], v[168:169]
	v_div_scale_f64 v[244:245], vcc, v[166:167], v[164:165], v[166:167]
	s_waitcnt vmcnt(0)
	v_mov_b64_e32 v[230:231], v[166:167]
	v_fma_f64 v[246:247], -v[168:169], v[170:171], 1.0
	v_fmac_f64_e32 v[170:171], v[170:171], v[246:247]
	v_fma_f64 v[246:247], -v[168:169], v[170:171], 1.0
	v_fmac_f64_e32 v[170:171], v[170:171], v[246:247]
	v_mul_f64 v[246:247], v[244:245], v[170:171]
	v_fma_f64 v[168:169], -v[168:169], v[246:247], v[244:245]
	v_div_fmas_f64 v[168:169], v[168:169], v[170:171], v[246:247]
	v_div_fixup_f64 v[168:169], v[168:169], v[164:165], v[166:167]
	v_fma_f64 v[170:171], v[166:167], v[168:169], v[164:165]
	v_mov_b64_e32 v[228:229], v[164:165]
	v_mov_b64_e32 v[166:167], v[2:3]
	;; [unrolled: 1-line block ×223, first 2 shown]
	scratch_load_dwordx4 v[228:231], off, off offset:704 ; 16-byte Folded Reload
	v_div_scale_f64 v[244:245], s[10:11], v[170:171], v[170:171], 1.0
	v_rcp_f64_e32 v[246:247], v[244:245]
	s_nop 0
	v_fma_f64 v[250:251], -v[244:245], v[246:247], 1.0
	v_fmac_f64_e32 v[246:247], v[246:247], v[250:251]
	v_fma_f64 v[250:251], -v[244:245], v[246:247], 1.0
	v_fmac_f64_e32 v[246:247], v[246:247], v[250:251]
	v_div_scale_f64 v[250:251], vcc, 1.0, v[170:171], 1.0
	v_mul_f64 v[252:253], v[250:251], v[246:247]
	v_fma_f64 v[244:245], -v[244:245], v[252:253], v[250:251]
	s_nop 1
	v_div_fmas_f64 v[244:245], v[244:245], v[246:247], v[252:253]
	v_div_fixup_f64 v[244:245], v[244:245], v[170:171], 1.0
	v_mul_f64 v[246:247], v[168:169], -v[244:245]
.LBB83_376:
	s_or_b64 exec, exec, s[2:3]
	ds_write2_b64 v249, v[244:245], v[246:247] offset1:1
.LBB83_377:
	s_or_b64 exec, exec, s[4:5]
	s_waitcnt lgkmcnt(0)
	s_barrier
	ds_read2_b64 v[244:247], v249 offset1:1
	s_waitcnt lgkmcnt(0)
	s_barrier
	s_and_saveexec_b64 s[2:3], s[0:1]
	s_cbranch_execz .LBB83_380
; %bb.378:
	scratch_load_dwordx4 v[168:171], off, off offset:320 ; 16-byte Folded Reload
	v_mov_b64_e32 v[252:253], v[202:203]
	v_mov_b64_e32 v[250:251], v[200:201]
	;; [unrolled: 1-line block ×16, first 2 shown]
	s_waitcnt vmcnt(0)
	v_cmp_eq_f64_e64 s[0:1], 0, v[170:171]
	scratch_load_dwordx4 v[170:173], off, off offset:336 ; 16-byte Folded Reload
	v_cmp_eq_f64_e32 vcc, 0, v[168:169]
	s_and_b64 s[4:5], vcc, s[0:1]
	v_cndmask_b32_e64 v168, 0, 1, s[4:5]
	v_mov_b32_e32 v169, s7
	s_waitcnt vmcnt(0)
	v_cmp_neq_f64_e32 vcc, 0, v[170:171]
	v_cmp_neq_f64_e64 s[0:1], 0, v[172:173]
	scratch_load_dwordx4 v[170:173], off, off offset:352 ; 16-byte Folded Reload
	s_or_b64 s[0:1], vcc, s[0:1]
	s_or_b64 vcc, s[0:1], s[4:5]
	v_cndmask_b32_e32 v168, 2, v168, vcc
	s_waitcnt vmcnt(0)
	v_cmp_eq_f64_e32 vcc, 0, v[170:171]
	v_cmp_eq_f64_e64 s[0:1], 0, v[172:173]
	scratch_load_dwordx4 v[170:173], off, off offset:368 ; 16-byte Folded Reload
	s_and_b64 s[0:1], vcc, s[0:1]
	v_cmp_eq_u32_e32 vcc, 0, v168
	s_and_b64 s[0:1], s[0:1], vcc
	v_cndmask_b32_e64 v168, v168, 3, s[0:1]
	s_waitcnt vmcnt(0)
	v_cmp_eq_f64_e32 vcc, 0, v[170:171]
	v_cmp_eq_f64_e64 s[0:1], 0, v[172:173]
	scratch_load_dwordx4 v[170:173], off, off offset:384 ; 16-byte Folded Reload
	s_and_b64 s[0:1], vcc, s[0:1]
	v_cmp_eq_u32_e32 vcc, 0, v168
	s_and_b64 s[0:1], s[0:1], vcc
	v_cndmask_b32_e64 v168, v168, 4, s[0:1]
	;; [unrolled: 8-line block ×20, first 2 shown]
	s_waitcnt vmcnt(0)
	v_cmp_eq_f64_e64 s[0:1], 0, v[172:173]
	scratch_load_dwordx2 v[172:173], off, off offset:696 ; 8-byte Folded Reload
	v_cmp_eq_f64_e32 vcc, 0, v[170:171]
	s_and_b64 s[0:1], vcc, s[0:1]
	v_cmp_eq_u32_e32 vcc, 0, v168
	s_and_b64 s[0:1], s[0:1], vcc
	v_cndmask_b32_e64 v168, v168, 23, s[0:1]
	v_cmp_eq_f64_e32 vcc, 0, v[174:175]
	v_cmp_eq_f64_e64 s[0:1], 0, v[176:177]
	s_and_b64 s[0:1], vcc, s[0:1]
	v_cmp_eq_u32_e32 vcc, 0, v168
	s_and_b64 s[0:1], s[0:1], vcc
	v_cndmask_b32_e64 v168, v168, 24, s[0:1]
	v_cmp_eq_f64_e32 vcc, 0, v[178:179]
	v_cmp_eq_f64_e64 s[0:1], 0, v[180:181]
	;; [unrolled: 6-line block ×5, first 2 shown]
	s_and_b64 s[0:1], vcc, s[0:1]
	v_cmp_eq_u32_e32 vcc, 0, v168
	s_and_b64 s[0:1], s[0:1], vcc
	v_cndmask_b32_e64 v170, v168, 28, s[0:1]
	v_mov_b32_e32 v168, s6
	v_cmp_eq_f64_e32 vcc, 0, v[194:195]
	v_cmp_eq_f64_e64 s[0:1], 0, v[196:197]
	s_and_b64 s[0:1], vcc, s[0:1]
	v_cmp_eq_u32_e32 vcc, 0, v170
	s_and_b64 s[0:1], s[0:1], vcc
	v_cndmask_b32_e64 v170, v170, 29, s[0:1]
	v_cmp_eq_f64_e32 vcc, 0, v[198:199]
	v_cmp_eq_f64_e64 s[0:1], 0, v[200:201]
	s_and_b64 s[0:1], vcc, s[0:1]
	v_cmp_eq_u32_e32 vcc, 0, v170
	s_and_b64 s[0:1], s[0:1], vcc
	v_cndmask_b32_e64 v170, v170, 30, s[0:1]
	v_cmp_eq_f64_e32 vcc, 0, v[250:251]
	v_cmp_eq_f64_e64 s[0:1], 0, v[252:253]
	s_and_b64 s[0:1], vcc, s[0:1]
	v_cmp_eq_u32_e32 vcc, 0, v170
	s_and_b64 s[0:1], s[0:1], vcc
	v_cndmask_b32_e64 v170, v170, 31, s[0:1]
	v_cmp_eq_f64_e32 vcc, 0, v[204:205]
	v_cmp_eq_f64_e64 s[0:1], 0, v[206:207]
	s_and_b64 s[0:1], vcc, s[0:1]
	v_cmp_eq_u32_e32 vcc, 0, v170
	s_and_b64 s[0:1], s[0:1], vcc
	v_cndmask_b32_e64 v170, v170, 32, s[0:1]
	v_cmp_eq_f64_e32 vcc, 0, v[208:209]
	v_cmp_eq_f64_e64 s[0:1], 0, v[210:211]
	s_and_b64 s[0:1], vcc, s[0:1]
	v_cmp_eq_u32_e32 vcc, 0, v170
	s_and_b64 s[0:1], s[0:1], vcc
	v_cndmask_b32_e64 v170, v170, 33, s[0:1]
	v_cmp_eq_f64_e32 vcc, 0, v[212:213]
	v_cmp_eq_f64_e64 s[0:1], 0, v[214:215]
	s_and_b64 s[0:1], vcc, s[0:1]
	v_cmp_eq_u32_e32 vcc, 0, v170
	s_and_b64 s[0:1], s[0:1], vcc
	v_cndmask_b32_e64 v170, v170, 34, s[0:1]
	v_cmp_eq_f64_e32 vcc, 0, v[216:217]
	v_cmp_eq_f64_e64 s[0:1], 0, v[218:219]
	s_and_b64 s[0:1], vcc, s[0:1]
	v_cmp_eq_u32_e32 vcc, 0, v170
	s_and_b64 s[0:1], s[0:1], vcc
	v_cndmask_b32_e64 v170, v170, 35, s[0:1]
	v_cmp_eq_f64_e32 vcc, 0, v[220:221]
	s_waitcnt vmcnt(0)
	v_lshl_add_u64 v[168:169], v[172:173], 2, v[168:169]
	global_load_dword v171, v[168:169], off
	v_cmp_eq_f64_e64 s[0:1], 0, v[222:223]
	s_and_b64 s[0:1], vcc, s[0:1]
	v_cmp_eq_u32_e32 vcc, 0, v170
	s_and_b64 s[0:1], s[0:1], vcc
	v_cndmask_b32_e64 v170, v170, 36, s[0:1]
	v_cmp_eq_f64_e32 vcc, 0, v[224:225]
	v_cmp_eq_f64_e64 s[0:1], 0, v[226:227]
	s_and_b64 s[0:1], vcc, s[0:1]
	v_cmp_eq_u32_e32 vcc, 0, v170
	s_and_b64 s[0:1], s[0:1], vcc
	v_cndmask_b32_e64 v170, v170, 37, s[0:1]
	v_cmp_eq_f64_e32 vcc, 0, v[228:229]
	;; [unrolled: 6-line block ×6, first 2 shown]
	v_cmp_eq_f64_e64 s[0:1], 0, v[246:247]
	s_and_b64 s[0:1], vcc, s[0:1]
	v_cmp_eq_u32_e32 vcc, 0, v170
	s_and_b64 s[0:1], s[0:1], vcc
	v_cndmask_b32_e64 v170, v170, 42, s[0:1]
	v_cmp_ne_u32_e64 s[0:1], 0, v170
	s_waitcnt vmcnt(0)
	v_cmp_eq_u32_e32 vcc, 0, v171
	s_and_b64 s[0:1], vcc, s[0:1]
	s_and_b64 exec, exec, s[0:1]
	s_cbranch_execz .LBB83_380
; %bb.379:
	v_add_u32_e32 v170, s9, v170
	global_store_dword v[168:169], v170, off
.LBB83_380:
	s_or_b64 exec, exec, s[2:3]
	global_store_dwordx4 v[254:255], v[160:163], off
	scratch_load_dwordx2 v[160:161], off, off offset:312 ; 8-byte Folded Reload
	s_waitcnt vmcnt(38)
	v_mul_f64 v[168:169], v[246:247], v[166:167]
	v_mul_f64 v[170:171], v[244:245], v[166:167]
	v_cmp_lt_u32_e32 vcc, 41, v248
	v_fma_f64 v[168:169], v[244:245], v[164:165], -v[168:169]
	v_fmac_f64_e32 v[170:171], v[246:247], v[164:165]
	v_cndmask_b32_e32 v167, v167, v171, vcc
	v_cndmask_b32_e32 v166, v166, v170, vcc
	v_cndmask_b32_e32 v165, v165, v169, vcc
	v_cndmask_b32_e32 v164, v164, v168, vcc
	s_waitcnt vmcnt(0)
	global_store_dwordx4 v[160:161], v[156:159], off
	scratch_load_dwordx2 v[156:157], off, off offset:688 ; 8-byte Folded Reload
	s_waitcnt vmcnt(0)
	global_store_dwordx4 v[156:157], v[152:155], off
	scratch_load_dwordx2 v[152:153], off, off ; 8-byte Folded Reload
	s_waitcnt vmcnt(0)
	global_store_dwordx4 v[152:153], v[148:151], off
	scratch_load_dwordx2 v[148:149], off, off offset:8 ; 8-byte Folded Reload
	s_waitcnt vmcnt(0)
	global_store_dwordx4 v[148:149], v[144:147], off
	scratch_load_dwordx2 v[144:145], off, off offset:16 ; 8-byte Folded Reload
	;; [unrolled: 3-line block ×38, first 2 shown]
	s_waitcnt vmcnt(0)
	global_store_dwordx4 v[0:1], v[164:167], off
.LBB83_381:
	s_endpgm
	.section	.rodata,"a",@progbits
	.p2align	6, 0x0
	.amdhsa_kernel _ZN9rocsolver6v33100L23getf2_npvt_small_kernelILi42E19rocblas_complex_numIdEiiPS3_EEvT1_T3_lS5_lPT2_S5_S5_
		.amdhsa_group_segment_fixed_size 0
		.amdhsa_private_segment_fixed_size 724
		.amdhsa_kernarg_size 312
		.amdhsa_user_sgpr_count 2
		.amdhsa_user_sgpr_dispatch_ptr 0
		.amdhsa_user_sgpr_queue_ptr 0
		.amdhsa_user_sgpr_kernarg_segment_ptr 1
		.amdhsa_user_sgpr_dispatch_id 0
		.amdhsa_user_sgpr_kernarg_preload_length 0
		.amdhsa_user_sgpr_kernarg_preload_offset 0
		.amdhsa_user_sgpr_private_segment_size 0
		.amdhsa_uses_dynamic_stack 0
		.amdhsa_enable_private_segment 1
		.amdhsa_system_sgpr_workgroup_id_x 1
		.amdhsa_system_sgpr_workgroup_id_y 1
		.amdhsa_system_sgpr_workgroup_id_z 0
		.amdhsa_system_sgpr_workgroup_info 0
		.amdhsa_system_vgpr_workitem_id 1
		.amdhsa_next_free_vgpr 256
		.amdhsa_next_free_sgpr 16
		.amdhsa_accum_offset 256
		.amdhsa_reserve_vcc 1
		.amdhsa_float_round_mode_32 0
		.amdhsa_float_round_mode_16_64 0
		.amdhsa_float_denorm_mode_32 3
		.amdhsa_float_denorm_mode_16_64 3
		.amdhsa_dx10_clamp 1
		.amdhsa_ieee_mode 1
		.amdhsa_fp16_overflow 0
		.amdhsa_tg_split 0
		.amdhsa_exception_fp_ieee_invalid_op 0
		.amdhsa_exception_fp_denorm_src 0
		.amdhsa_exception_fp_ieee_div_zero 0
		.amdhsa_exception_fp_ieee_overflow 0
		.amdhsa_exception_fp_ieee_underflow 0
		.amdhsa_exception_fp_ieee_inexact 0
		.amdhsa_exception_int_div_zero 0
	.end_amdhsa_kernel
	.section	.text._ZN9rocsolver6v33100L23getf2_npvt_small_kernelILi42E19rocblas_complex_numIdEiiPS3_EEvT1_T3_lS5_lPT2_S5_S5_,"axG",@progbits,_ZN9rocsolver6v33100L23getf2_npvt_small_kernelILi42E19rocblas_complex_numIdEiiPS3_EEvT1_T3_lS5_lPT2_S5_S5_,comdat
.Lfunc_end83:
	.size	_ZN9rocsolver6v33100L23getf2_npvt_small_kernelILi42E19rocblas_complex_numIdEiiPS3_EEvT1_T3_lS5_lPT2_S5_S5_, .Lfunc_end83-_ZN9rocsolver6v33100L23getf2_npvt_small_kernelILi42E19rocblas_complex_numIdEiiPS3_EEvT1_T3_lS5_lPT2_S5_S5_
                                        ; -- End function
	.set _ZN9rocsolver6v33100L23getf2_npvt_small_kernelILi42E19rocblas_complex_numIdEiiPS3_EEvT1_T3_lS5_lPT2_S5_S5_.num_vgpr, 256
	.set _ZN9rocsolver6v33100L23getf2_npvt_small_kernelILi42E19rocblas_complex_numIdEiiPS3_EEvT1_T3_lS5_lPT2_S5_S5_.num_agpr, 0
	.set _ZN9rocsolver6v33100L23getf2_npvt_small_kernelILi42E19rocblas_complex_numIdEiiPS3_EEvT1_T3_lS5_lPT2_S5_S5_.numbered_sgpr, 16
	.set _ZN9rocsolver6v33100L23getf2_npvt_small_kernelILi42E19rocblas_complex_numIdEiiPS3_EEvT1_T3_lS5_lPT2_S5_S5_.num_named_barrier, 0
	.set _ZN9rocsolver6v33100L23getf2_npvt_small_kernelILi42E19rocblas_complex_numIdEiiPS3_EEvT1_T3_lS5_lPT2_S5_S5_.private_seg_size, 724
	.set _ZN9rocsolver6v33100L23getf2_npvt_small_kernelILi42E19rocblas_complex_numIdEiiPS3_EEvT1_T3_lS5_lPT2_S5_S5_.uses_vcc, 1
	.set _ZN9rocsolver6v33100L23getf2_npvt_small_kernelILi42E19rocblas_complex_numIdEiiPS3_EEvT1_T3_lS5_lPT2_S5_S5_.uses_flat_scratch, 0
	.set _ZN9rocsolver6v33100L23getf2_npvt_small_kernelILi42E19rocblas_complex_numIdEiiPS3_EEvT1_T3_lS5_lPT2_S5_S5_.has_dyn_sized_stack, 0
	.set _ZN9rocsolver6v33100L23getf2_npvt_small_kernelILi42E19rocblas_complex_numIdEiiPS3_EEvT1_T3_lS5_lPT2_S5_S5_.has_recursion, 0
	.set _ZN9rocsolver6v33100L23getf2_npvt_small_kernelILi42E19rocblas_complex_numIdEiiPS3_EEvT1_T3_lS5_lPT2_S5_S5_.has_indirect_call, 0
	.section	.AMDGPU.csdata,"",@progbits
; Kernel info:
; codeLenInByte = 84808
; TotalNumSgprs: 22
; NumVgprs: 256
; NumAgprs: 0
; TotalNumVgprs: 256
; ScratchSize: 724
; MemoryBound: 1
; FloatMode: 240
; IeeeMode: 1
; LDSByteSize: 0 bytes/workgroup (compile time only)
; SGPRBlocks: 2
; VGPRBlocks: 31
; NumSGPRsForWavesPerEU: 22
; NumVGPRsForWavesPerEU: 256
; AccumOffset: 256
; Occupancy: 2
; WaveLimiterHint : 0
; COMPUTE_PGM_RSRC2:SCRATCH_EN: 1
; COMPUTE_PGM_RSRC2:USER_SGPR: 2
; COMPUTE_PGM_RSRC2:TRAP_HANDLER: 0
; COMPUTE_PGM_RSRC2:TGID_X_EN: 1
; COMPUTE_PGM_RSRC2:TGID_Y_EN: 1
; COMPUTE_PGM_RSRC2:TGID_Z_EN: 0
; COMPUTE_PGM_RSRC2:TIDIG_COMP_CNT: 1
; COMPUTE_PGM_RSRC3_GFX90A:ACCUM_OFFSET: 63
; COMPUTE_PGM_RSRC3_GFX90A:TG_SPLIT: 0
	.section	.text._ZN9rocsolver6v33100L18getf2_small_kernelILi43E19rocblas_complex_numIdEiiPS3_EEvT1_T3_lS5_lPS5_llPT2_S5_S5_S7_l,"axG",@progbits,_ZN9rocsolver6v33100L18getf2_small_kernelILi43E19rocblas_complex_numIdEiiPS3_EEvT1_T3_lS5_lPS5_llPT2_S5_S5_S7_l,comdat
	.globl	_ZN9rocsolver6v33100L18getf2_small_kernelILi43E19rocblas_complex_numIdEiiPS3_EEvT1_T3_lS5_lPS5_llPT2_S5_S5_S7_l ; -- Begin function _ZN9rocsolver6v33100L18getf2_small_kernelILi43E19rocblas_complex_numIdEiiPS3_EEvT1_T3_lS5_lPS5_llPT2_S5_S5_S7_l
	.p2align	8
	.type	_ZN9rocsolver6v33100L18getf2_small_kernelILi43E19rocblas_complex_numIdEiiPS3_EEvT1_T3_lS5_lPS5_llPT2_S5_S5_S7_l,@function
_ZN9rocsolver6v33100L18getf2_small_kernelILi43E19rocblas_complex_numIdEiiPS3_EEvT1_T3_lS5_lPS5_llPT2_S5_S5_S7_l: ; @_ZN9rocsolver6v33100L18getf2_small_kernelILi43E19rocblas_complex_numIdEiiPS3_EEvT1_T3_lS5_lPS5_llPT2_S5_S5_S7_l
; %bb.0:
	s_load_dword s2, s[0:1], 0x6c
	s_load_dwordx2 s[12:13], s[0:1], 0x48
	v_bfe_u32 v172, v0, 10, 10
	s_waitcnt lgkmcnt(0)
	s_lshr_b32 s2, s2, 16
	s_mul_i32 s3, s3, s2
	v_add_u32_e32 v178, s3, v172
	v_cmp_gt_i32_e32 vcc, s12, v178
	s_and_saveexec_b64 s[2:3], vcc
	s_cbranch_execz .LBB84_904
; %bb.1:
	s_load_dwordx4 s[4:7], s[0:1], 0x50
	v_ashrrev_i32_e32 v179, 31, v178
	v_mov_b64_e32 v[180:181], 0
	s_waitcnt lgkmcnt(0)
	s_cmp_eq_u64 s[4:5], 0
	s_cselect_b64 s[14:15], -1, 0
	s_and_b64 vcc, exec, s[14:15]
	s_cbranch_vccnz .LBB84_3
; %bb.2:
	v_mul_lo_u32 v1, s7, v178
	v_mul_lo_u32 v4, s6, v179
	v_mad_u64_u32 v[2:3], s[2:3], s6, v178, 0
	v_add3_u32 v3, v3, v4, v1
	v_lshl_add_u64 v[180:181], v[2:3], 2, s[4:5]
.LBB84_3:
	s_load_dwordx4 s[16:19], s[0:1], 0x8
	s_load_dwordx8 s[4:11], s[0:1], 0x20
	s_load_dword s2, s[0:1], 0x18
	s_load_dword s20, s[0:1], 0x0
	v_and_b32_e32 v187, 0x3ff, v0
	s_waitcnt lgkmcnt(0)
	v_mov_b32_e32 v2, s16
	v_mul_lo_u32 v1, s5, v178
	v_mul_lo_u32 v6, s4, v179
	v_mad_u64_u32 v[4:5], s[4:5], s4, v178, 0
	v_mov_b32_e32 v3, s17
	v_add3_u32 v5, v5, v6, v1
	v_lshl_add_u64 v[2:3], v[4:5], 4, v[2:3]
	s_add_i32 s12, s2, s2
	v_lshl_add_u64 v[176:177], s[18:19], 4, v[2:3]
	v_add_u32_e32 v2, s12, v187
	v_add_u32_e32 v4, s2, v2
	;; [unrolled: 1-line block ×3, first 2 shown]
	v_lshlrev_b32_e32 v182, 4, v187
	v_mov_b32_e32 v183, 0
	v_add_u32_e32 v8, s2, v6
	v_lshl_add_u64 v[0:1], v[176:177], 0, v[182:183]
	s_ashr_i32 s3, s2, 31
	v_ashrrev_i32_e32 v9, 31, v8
	v_add_u32_e32 v12, s2, v8
	v_lshl_add_u64 v[10:11], s[2:3], 4, v[0:1]
	global_load_dwordx4 v[112:115], v[0:1], off
	global_load_dwordx4 v[104:107], v[10:11], off
	v_lshl_add_u64 v[0:1], v[8:9], 4, v[176:177]
	v_ashrrev_i32_e32 v13, 31, v12
	v_add_u32_e32 v8, s2, v12
	v_lshl_add_u64 v[10:11], v[12:13], 4, v[176:177]
	v_add_u32_e32 v12, s2, v8
	v_add_u32_e32 v14, s2, v12
	;; [unrolled: 1-line block ×15, first 2 shown]
	v_ashrrev_i32_e32 v41, 31, v40
	v_lshl_add_u64 v[42:43], v[40:41], 4, v[176:177]
	v_add_u32_e32 v40, s2, v40
	v_ashrrev_i32_e32 v41, 31, v40
	v_lshl_add_u64 v[44:45], v[40:41], 4, v[176:177]
	v_add_u32_e32 v40, s2, v40
	;; [unrolled: 3-line block ×19, first 2 shown]
	v_ashrrev_i32_e32 v41, 31, v40
	v_ashrrev_i32_e32 v3, 31, v2
	;; [unrolled: 1-line block ×19, first 2 shown]
	v_lshl_add_u64 v[204:205], v[40:41], 4, v[176:177]
	v_add_u32_e32 v40, s2, v40
	v_lshl_add_u64 v[2:3], v[2:3], 4, v[176:177]
	v_lshl_add_u64 v[4:5], v[4:5], 4, v[176:177]
	v_lshl_add_u64 v[6:7], v[6:7], 4, v[176:177]
	v_lshl_add_u64 v[8:9], v[8:9], 4, v[176:177]
	v_lshl_add_u64 v[12:13], v[12:13], 4, v[176:177]
	v_lshl_add_u64 v[14:15], v[14:15], 4, v[176:177]
	v_lshl_add_u64 v[16:17], v[16:17], 4, v[176:177]
	v_lshl_add_u64 v[18:19], v[18:19], 4, v[176:177]
	v_lshl_add_u64 v[20:21], v[20:21], 4, v[176:177]
	v_lshl_add_u64 v[22:23], v[22:23], 4, v[176:177]
	v_lshl_add_u64 v[24:25], v[24:25], 4, v[176:177]
	v_lshl_add_u64 v[26:27], v[26:27], 4, v[176:177]
	v_lshl_add_u64 v[28:29], v[28:29], 4, v[176:177]
	v_lshl_add_u64 v[30:31], v[30:31], 4, v[176:177]
	v_lshl_add_u64 v[32:33], v[32:33], 4, v[176:177]
	v_lshl_add_u64 v[34:35], v[34:35], 4, v[176:177]
	v_lshl_add_u64 v[36:37], v[36:37], 4, v[176:177]
	v_lshl_add_u64 v[38:39], v[38:39], 4, v[176:177]
	v_ashrrev_i32_e32 v41, 31, v40
	v_lshl_add_u64 v[206:207], v[40:41], 4, v[176:177]
	global_load_dwordx4 v[164:167], v[2:3], off
	global_load_dwordx4 v[160:163], v[4:5], off
	;; [unrolled: 1-line block ×7, first 2 shown]
                                        ; kill: killed $vgpr2_vgpr3
                                        ; kill: killed $vgpr4_vgpr5
                                        ; kill: killed $vgpr6_vgpr7
                                        ; kill: killed $vgpr0_vgpr1
                                        ; kill: killed $vgpr10_vgpr11
                                        ; kill: killed $vgpr8_vgpr9
                                        ; kill: killed $vgpr12_vgpr13
	global_load_dwordx4 v[136:139], v[14:15], off
	global_load_dwordx4 v[132:135], v[16:17], off
	;; [unrolled: 1-line block ×3, first 2 shown]
                                        ; kill: killed $vgpr18_vgpr19
                                        ; kill: killed $vgpr14_vgpr15
                                        ; kill: killed $vgpr16_vgpr17
	global_load_dwordx4 v[124:127], v[20:21], off
	global_load_dwordx4 v[120:123], v[22:23], off
                                        ; kill: killed $vgpr20_vgpr21
                                        ; kill: killed $vgpr22_vgpr23
	global_load_dwordx4 v[116:119], v[24:25], off
	global_load_dwordx4 v[108:111], v[26:27], off
	;; [unrolled: 1-line block ×14, first 2 shown]
	s_nop 0
	global_load_dwordx4 v[52:55], v[54:55], off
	s_nop 0
	global_load_dwordx4 v[48:51], v[168:169], off
	global_load_dwordx4 v[44:47], v[170:171], off
	;; [unrolled: 1-line block ×14, first 2 shown]
	s_load_dwordx2 s[4:5], s[0:1], 0x40
	s_max_i32 s0, s20, 43
	v_mul_lo_u32 v185, s0, v172
	v_lshl_add_u32 v184, v185, 4, 0
	v_add_u32_e32 v172, v184, v182
	s_waitcnt vmcnt(42)
	ds_write2_b64 v172, v[112:113], v[114:115] offset1:1
	s_waitcnt lgkmcnt(0)
	s_barrier
	ds_read2_b64 v[172:175], v184 offset1:1
	s_cmp_lt_i32 s20, 2
	v_lshlrev_b32_e32 v188, 4, v185
	s_cbranch_scc1 .LBB84_6
; %bb.4:
	v_add3_u32 v182, v188, 0, 16
	s_mov_b32 s16, 1
	v_mov_b32_e32 v183, 0
.LBB84_5:                               ; =>This Inner Loop Header: Depth=1
	ds_read2_b64 v[190:193], v182 offset1:1
	s_waitcnt lgkmcnt(1)
	v_xor_b32_e32 v185, 0x80000000, v173
	v_xor_b32_e32 v186, 0x80000000, v175
	v_cmp_gt_f64_e32 vcc, 0, v[174:175]
	v_cmp_gt_f64_e64 s[0:1], 0, v[172:173]
	v_mov_b32_e32 v194, v172
	v_mov_b32_e32 v196, v174
	v_cndmask_b32_e64 v195, v173, v185, s[0:1]
	v_cndmask_b32_e32 v197, v175, v186, vcc
	s_waitcnt lgkmcnt(0)
	v_xor_b32_e32 v185, 0x80000000, v191
	v_xor_b32_e32 v186, 0x80000000, v193
	v_cmp_gt_f64_e32 vcc, 0, v[192:193]
	v_cmp_gt_f64_e64 s[0:1], 0, v[190:191]
	v_add_f64 v[194:195], v[194:195], v[196:197]
	v_mov_b32_e32 v196, v190
	v_mov_b32_e32 v198, v192
	v_cndmask_b32_e64 v197, v191, v185, s[0:1]
	v_cndmask_b32_e32 v199, v193, v186, vcc
	v_add_f64 v[196:197], v[196:197], v[198:199]
	v_mov_b32_e32 v189, s16
	s_add_i32 s16, s16, 1
	v_cmp_lt_f64_e32 vcc, v[194:195], v[196:197]
	v_add_u32_e32 v182, 16, v182
	s_cmp_eq_u32 s20, s16
	v_cndmask_b32_e32 v173, v173, v191, vcc
	v_cndmask_b32_e32 v172, v172, v190, vcc
	;; [unrolled: 1-line block ×5, first 2 shown]
	s_cbranch_scc0 .LBB84_5
.LBB84_6:
	s_waitcnt lgkmcnt(0)
	v_cmp_neq_f64_e32 vcc, 0, v[172:173]
	v_cmp_neq_f64_e64 s[0:1], 0, v[174:175]
	s_or_b64 s[16:17], vcc, s[0:1]
	v_mov_b32_e32 v186, 1
	v_mov_b32_e32 v189, 1
	s_and_saveexec_b64 s[0:1], s[16:17]
	s_cbranch_execz .LBB84_12
; %bb.7:
	v_cmp_ngt_f64_e64 s[16:17], |v[172:173]|, |v[174:175]|
	s_and_saveexec_b64 s[18:19], s[16:17]
	s_xor_b64 s[16:17], exec, s[18:19]
	s_cbranch_execz .LBB84_9
; %bb.8:
	v_div_scale_f64 v[190:191], s[18:19], v[174:175], v[174:175], v[172:173]
	v_rcp_f64_e32 v[192:193], v[190:191]
	v_div_scale_f64 v[194:195], vcc, v[172:173], v[174:175], v[172:173]
	v_fma_f64 v[196:197], -v[190:191], v[192:193], 1.0
	v_fmac_f64_e32 v[192:193], v[192:193], v[196:197]
	v_fma_f64 v[196:197], -v[190:191], v[192:193], 1.0
	v_fmac_f64_e32 v[192:193], v[192:193], v[196:197]
	v_mul_f64 v[196:197], v[194:195], v[192:193]
	v_fma_f64 v[190:191], -v[190:191], v[196:197], v[194:195]
	v_div_fmas_f64 v[190:191], v[190:191], v[192:193], v[196:197]
	v_div_fixup_f64 v[190:191], v[190:191], v[174:175], v[172:173]
	v_fmac_f64_e32 v[174:175], v[172:173], v[190:191]
	v_div_scale_f64 v[172:173], s[18:19], v[174:175], v[174:175], 1.0
	v_rcp_f64_e32 v[192:193], v[172:173]
	s_nop 0
	v_fma_f64 v[194:195], -v[172:173], v[192:193], 1.0
	v_fmac_f64_e32 v[192:193], v[192:193], v[194:195]
	v_fma_f64 v[194:195], -v[172:173], v[192:193], 1.0
	v_fmac_f64_e32 v[192:193], v[192:193], v[194:195]
	v_div_scale_f64 v[194:195], vcc, 1.0, v[174:175], 1.0
	v_mul_f64 v[196:197], v[194:195], v[192:193]
	v_fma_f64 v[172:173], -v[172:173], v[196:197], v[194:195]
	s_nop 1
	v_div_fmas_f64 v[172:173], v[172:173], v[192:193], v[196:197]
	v_div_fixup_f64 v[174:175], v[172:173], v[174:175], 1.0
	v_mul_f64 v[172:173], v[190:191], v[174:175]
	v_xor_b32_e32 v175, 0x80000000, v175
.LBB84_9:
	s_andn2_saveexec_b64 s[16:17], s[16:17]
	s_cbranch_execz .LBB84_11
; %bb.10:
	v_div_scale_f64 v[190:191], s[18:19], v[172:173], v[172:173], v[174:175]
	v_rcp_f64_e32 v[192:193], v[190:191]
	v_div_scale_f64 v[194:195], vcc, v[174:175], v[172:173], v[174:175]
	v_fma_f64 v[196:197], -v[190:191], v[192:193], 1.0
	v_fmac_f64_e32 v[192:193], v[192:193], v[196:197]
	v_fma_f64 v[196:197], -v[190:191], v[192:193], 1.0
	v_fmac_f64_e32 v[192:193], v[192:193], v[196:197]
	v_mul_f64 v[196:197], v[194:195], v[192:193]
	v_fma_f64 v[190:191], -v[190:191], v[196:197], v[194:195]
	v_div_fmas_f64 v[190:191], v[190:191], v[192:193], v[196:197]
	v_div_fixup_f64 v[190:191], v[190:191], v[172:173], v[174:175]
	v_fmac_f64_e32 v[172:173], v[174:175], v[190:191]
	v_div_scale_f64 v[174:175], s[18:19], v[172:173], v[172:173], 1.0
	v_rcp_f64_e32 v[192:193], v[174:175]
	s_nop 0
	v_fma_f64 v[194:195], -v[174:175], v[192:193], 1.0
	v_fmac_f64_e32 v[192:193], v[192:193], v[194:195]
	v_fma_f64 v[194:195], -v[174:175], v[192:193], 1.0
	v_fmac_f64_e32 v[192:193], v[192:193], v[194:195]
	v_div_scale_f64 v[194:195], vcc, 1.0, v[172:173], 1.0
	v_mul_f64 v[196:197], v[194:195], v[192:193]
	v_fma_f64 v[174:175], -v[174:175], v[196:197], v[194:195]
	s_nop 1
	v_div_fmas_f64 v[174:175], v[174:175], v[192:193], v[196:197]
	v_div_fixup_f64 v[172:173], v[174:175], v[172:173], 1.0
	v_mul_f64 v[174:175], v[190:191], -v[172:173]
.LBB84_11:
	s_or_b64 exec, exec, s[16:17]
	v_mov_b32_e32 v189, 0
	v_mov_b32_e32 v186, 2
.LBB84_12:
	s_or_b64 exec, exec, s[0:1]
	v_cmp_ne_u32_e32 vcc, v187, v183
	s_and_saveexec_b64 s[0:1], vcc
	s_xor_b64 s[0:1], exec, s[0:1]
	s_cbranch_execz .LBB84_18
; %bb.13:
	v_cmp_eq_u32_e32 vcc, 0, v187
	s_and_saveexec_b64 s[16:17], vcc
	s_cbranch_execz .LBB84_17
; %bb.14:
	v_cmp_ne_u32_e32 vcc, 0, v183
	s_xor_b64 s[18:19], s[14:15], -1
	s_and_b64 s[22:23], s[18:19], vcc
	s_and_saveexec_b64 s[18:19], s[22:23]
	s_cbranch_execz .LBB84_16
; %bb.15:
	v_ashrrev_i32_e32 v191, 31, v183
	v_mov_b32_e32 v190, v183
	v_lshl_add_u64 v[190:191], v[190:191], 2, v[180:181]
	global_load_dword v182, v[190:191], off
	global_load_dword v185, v[180:181], off
	s_waitcnt vmcnt(1)
	global_store_dword v[180:181], v182, off
	s_waitcnt vmcnt(1)
	global_store_dword v[190:191], v185, off
.LBB84_16:
	s_or_b64 exec, exec, s[18:19]
	v_mov_b32_e32 v187, v183
.LBB84_17:
	s_or_b64 exec, exec, s[16:17]
.LBB84_18:
	s_or_saveexec_b64 s[0:1], s[0:1]
	v_mov_b32_e32 v185, v187
	s_xor_b64 exec, exec, s[0:1]
	s_cbranch_execz .LBB84_20
; %bb.19:
	v_mov_b32_e32 v185, 0
	s_waitcnt vmcnt(41)
	ds_write2_b64 v184, v[104:105], v[106:107] offset0:2 offset1:3
	s_waitcnt vmcnt(40)
	ds_write2_b64 v184, v[164:165], v[166:167] offset0:4 offset1:5
	;; [unrolled: 2-line block ×42, first 2 shown]
.LBB84_20:
	s_or_b64 exec, exec, s[0:1]
	v_cmp_lt_i32_e32 vcc, 0, v185
	s_waitcnt lgkmcnt(0)
	s_barrier
	s_and_saveexec_b64 s[0:1], vcc
	s_cbranch_execz .LBB84_22
; %bb.21:
	ds_read2_b64 v[190:193], v184 offset0:2 offset1:3
	v_mul_f64 v[182:183], v[174:175], v[114:115]
	v_mul_f64 v[114:115], v[172:173], v[114:115]
	v_fma_f64 v[182:183], v[172:173], v[112:113], -v[182:183]
	v_fmac_f64_e32 v[114:115], v[174:175], v[112:113]
	ds_read2_b64 v[172:175], v184 offset0:4 offset1:5
	s_waitcnt lgkmcnt(1)
	v_mul_f64 v[112:113], v[192:193], v[114:115]
	v_fma_f64 v[112:113], v[190:191], v[182:183], -v[112:113]
	v_mul_f64 v[190:191], v[190:191], v[114:115]
	v_fmac_f64_e32 v[190:191], v[192:193], v[182:183]
	s_waitcnt vmcnt(41)
	v_add_f64 v[104:105], v[104:105], -v[112:113]
	s_waitcnt lgkmcnt(0)
	v_mul_f64 v[112:113], v[174:175], v[114:115]
	v_add_f64 v[106:107], v[106:107], -v[190:191]
	v_fma_f64 v[112:113], v[172:173], v[182:183], -v[112:113]
	v_mul_f64 v[172:173], v[172:173], v[114:115]
	ds_read2_b64 v[190:193], v184 offset0:6 offset1:7
	v_fmac_f64_e32 v[172:173], v[174:175], v[182:183]
	s_waitcnt vmcnt(40)
	v_add_f64 v[166:167], v[166:167], -v[172:173]
	ds_read2_b64 v[172:175], v184 offset0:8 offset1:9
	v_add_f64 v[164:165], v[164:165], -v[112:113]
	s_waitcnt lgkmcnt(1)
	v_mul_f64 v[112:113], v[192:193], v[114:115]
	v_fma_f64 v[112:113], v[190:191], v[182:183], -v[112:113]
	v_mul_f64 v[190:191], v[190:191], v[114:115]
	v_fmac_f64_e32 v[190:191], v[192:193], v[182:183]
	s_waitcnt vmcnt(39)
	v_add_f64 v[160:161], v[160:161], -v[112:113]
	s_waitcnt lgkmcnt(0)
	v_mul_f64 v[112:113], v[174:175], v[114:115]
	v_add_f64 v[162:163], v[162:163], -v[190:191]
	v_fma_f64 v[112:113], v[172:173], v[182:183], -v[112:113]
	v_mul_f64 v[172:173], v[172:173], v[114:115]
	ds_read2_b64 v[190:193], v184 offset0:10 offset1:11
	v_fmac_f64_e32 v[172:173], v[174:175], v[182:183]
	s_waitcnt vmcnt(38)
	v_add_f64 v[158:159], v[158:159], -v[172:173]
	ds_read2_b64 v[172:175], v184 offset0:12 offset1:13
	v_add_f64 v[156:157], v[156:157], -v[112:113]
	;; [unrolled: 18-line block ×20, first 2 shown]
	s_waitcnt lgkmcnt(1)
	v_mul_f64 v[112:113], v[192:193], v[114:115]
	v_fma_f64 v[112:113], v[190:191], v[182:183], -v[112:113]
	s_waitcnt vmcnt(1)
	v_add_f64 v[0:1], v[0:1], -v[112:113]
	s_waitcnt lgkmcnt(0)
	v_mul_f64 v[112:113], v[174:175], v[114:115]
	v_mul_f64 v[190:191], v[190:191], v[114:115]
	v_fma_f64 v[112:113], v[172:173], v[182:183], -v[112:113]
	v_mul_f64 v[172:173], v[172:173], v[114:115]
	v_fmac_f64_e32 v[190:191], v[192:193], v[182:183]
	v_fmac_f64_e32 v[172:173], v[174:175], v[182:183]
	v_add_f64 v[2:3], v[2:3], -v[190:191]
	s_waitcnt vmcnt(0)
	v_add_f64 v[168:169], v[168:169], -v[112:113]
	v_add_f64 v[170:171], v[170:171], -v[172:173]
	v_mov_b64_e32 v[112:113], v[182:183]
.LBB84_22:
	s_or_b64 exec, exec, s[0:1]
	v_lshl_add_u32 v172, v185, 4, v184
	s_barrier
	s_waitcnt vmcnt(41)
	ds_write2_b64 v172, v[104:105], v[106:107] offset1:1
	s_waitcnt lgkmcnt(0)
	s_barrier
	ds_read2_b64 v[172:175], v184 offset0:2 offset1:3
	s_cmp_lt_i32 s20, 3
	v_mov_b32_e32 v182, 1
	s_cbranch_scc1 .LBB84_25
; %bb.23:
	v_add3_u32 v183, v188, 0, 32
	s_mov_b32 s16, 2
	v_mov_b32_e32 v182, 1
.LBB84_24:                              ; =>This Inner Loop Header: Depth=1
	ds_read2_b64 v[190:193], v183 offset1:1
	s_waitcnt lgkmcnt(1)
	v_xor_b32_e32 v195, 0x80000000, v173
	v_xor_b32_e32 v197, 0x80000000, v175
	v_cmp_gt_f64_e32 vcc, 0, v[174:175]
	v_cmp_gt_f64_e64 s[0:1], 0, v[172:173]
	v_mov_b32_e32 v194, v172
	v_mov_b32_e32 v196, v174
	v_cndmask_b32_e64 v195, v173, v195, s[0:1]
	v_cndmask_b32_e32 v197, v175, v197, vcc
	v_add_f64 v[194:195], v[194:195], v[196:197]
	s_waitcnt lgkmcnt(0)
	v_xor_b32_e32 v197, 0x80000000, v191
	v_xor_b32_e32 v199, 0x80000000, v193
	v_cmp_gt_f64_e32 vcc, 0, v[192:193]
	v_cmp_gt_f64_e64 s[0:1], 0, v[190:191]
	v_mov_b32_e32 v196, v190
	v_mov_b32_e32 v198, v192
	v_cndmask_b32_e64 v197, v191, v197, s[0:1]
	v_cndmask_b32_e32 v199, v193, v199, vcc
	v_add_f64 v[196:197], v[196:197], v[198:199]
	v_mov_b32_e32 v200, s16
	s_add_i32 s16, s16, 1
	v_cmp_lt_f64_e32 vcc, v[194:195], v[196:197]
	v_add_u32_e32 v183, 16, v183
	s_cmp_lg_u32 s20, s16
	v_cndmask_b32_e32 v173, v173, v191, vcc
	v_cndmask_b32_e32 v172, v172, v190, vcc
	;; [unrolled: 1-line block ×5, first 2 shown]
	s_cbranch_scc1 .LBB84_24
.LBB84_25:
	s_waitcnt lgkmcnt(0)
	v_cmp_neq_f64_e32 vcc, 0, v[172:173]
	v_cmp_neq_f64_e64 s[0:1], 0, v[174:175]
	s_or_b64 s[16:17], vcc, s[0:1]
	s_and_saveexec_b64 s[0:1], s[16:17]
	s_cbranch_execz .LBB84_31
; %bb.26:
	v_cmp_ngt_f64_e64 s[16:17], |v[172:173]|, |v[174:175]|
	s_and_saveexec_b64 s[18:19], s[16:17]
	s_xor_b64 s[16:17], exec, s[18:19]
	s_cbranch_execz .LBB84_28
; %bb.27:
	v_div_scale_f64 v[190:191], s[18:19], v[174:175], v[174:175], v[172:173]
	v_rcp_f64_e32 v[192:193], v[190:191]
	v_div_scale_f64 v[194:195], vcc, v[172:173], v[174:175], v[172:173]
	v_fma_f64 v[196:197], -v[190:191], v[192:193], 1.0
	v_fmac_f64_e32 v[192:193], v[192:193], v[196:197]
	v_fma_f64 v[196:197], -v[190:191], v[192:193], 1.0
	v_fmac_f64_e32 v[192:193], v[192:193], v[196:197]
	v_mul_f64 v[196:197], v[194:195], v[192:193]
	v_fma_f64 v[190:191], -v[190:191], v[196:197], v[194:195]
	v_div_fmas_f64 v[190:191], v[190:191], v[192:193], v[196:197]
	v_div_fixup_f64 v[190:191], v[190:191], v[174:175], v[172:173]
	v_fmac_f64_e32 v[174:175], v[172:173], v[190:191]
	v_div_scale_f64 v[172:173], s[18:19], v[174:175], v[174:175], 1.0
	v_rcp_f64_e32 v[192:193], v[172:173]
	s_nop 0
	v_fma_f64 v[194:195], -v[172:173], v[192:193], 1.0
	v_fmac_f64_e32 v[192:193], v[192:193], v[194:195]
	v_fma_f64 v[194:195], -v[172:173], v[192:193], 1.0
	v_fmac_f64_e32 v[192:193], v[192:193], v[194:195]
	v_div_scale_f64 v[194:195], vcc, 1.0, v[174:175], 1.0
	v_mul_f64 v[196:197], v[194:195], v[192:193]
	v_fma_f64 v[172:173], -v[172:173], v[196:197], v[194:195]
	s_nop 1
	v_div_fmas_f64 v[172:173], v[172:173], v[192:193], v[196:197]
	v_div_fixup_f64 v[174:175], v[172:173], v[174:175], 1.0
	v_mul_f64 v[172:173], v[190:191], v[174:175]
	v_xor_b32_e32 v175, 0x80000000, v175
.LBB84_28:
	s_andn2_saveexec_b64 s[16:17], s[16:17]
	s_cbranch_execz .LBB84_30
; %bb.29:
	v_div_scale_f64 v[190:191], s[18:19], v[172:173], v[172:173], v[174:175]
	v_rcp_f64_e32 v[192:193], v[190:191]
	v_div_scale_f64 v[194:195], vcc, v[174:175], v[172:173], v[174:175]
	v_fma_f64 v[196:197], -v[190:191], v[192:193], 1.0
	v_fmac_f64_e32 v[192:193], v[192:193], v[196:197]
	v_fma_f64 v[196:197], -v[190:191], v[192:193], 1.0
	v_fmac_f64_e32 v[192:193], v[192:193], v[196:197]
	v_mul_f64 v[196:197], v[194:195], v[192:193]
	v_fma_f64 v[190:191], -v[190:191], v[196:197], v[194:195]
	v_div_fmas_f64 v[190:191], v[190:191], v[192:193], v[196:197]
	v_div_fixup_f64 v[190:191], v[190:191], v[172:173], v[174:175]
	v_fmac_f64_e32 v[172:173], v[174:175], v[190:191]
	v_div_scale_f64 v[174:175], s[18:19], v[172:173], v[172:173], 1.0
	v_rcp_f64_e32 v[192:193], v[174:175]
	s_nop 0
	v_fma_f64 v[194:195], -v[174:175], v[192:193], 1.0
	v_fmac_f64_e32 v[192:193], v[192:193], v[194:195]
	v_fma_f64 v[194:195], -v[174:175], v[192:193], 1.0
	v_fmac_f64_e32 v[192:193], v[192:193], v[194:195]
	v_div_scale_f64 v[194:195], vcc, 1.0, v[172:173], 1.0
	v_mul_f64 v[196:197], v[194:195], v[192:193]
	v_fma_f64 v[174:175], -v[174:175], v[196:197], v[194:195]
	s_nop 1
	v_div_fmas_f64 v[174:175], v[174:175], v[192:193], v[196:197]
	v_div_fixup_f64 v[172:173], v[174:175], v[172:173], 1.0
	v_mul_f64 v[174:175], v[190:191], -v[172:173]
.LBB84_30:
	s_or_b64 exec, exec, s[16:17]
	v_mov_b32_e32 v186, v189
.LBB84_31:
	s_or_b64 exec, exec, s[0:1]
	v_cmp_ne_u32_e32 vcc, v185, v182
	s_and_saveexec_b64 s[0:1], vcc
	s_xor_b64 s[0:1], exec, s[0:1]
	s_cbranch_execz .LBB84_37
; %bb.32:
	v_cmp_eq_u32_e32 vcc, 1, v185
	s_and_saveexec_b64 s[16:17], vcc
	s_cbranch_execz .LBB84_36
; %bb.33:
	v_cmp_ne_u32_e32 vcc, 1, v182
	s_xor_b64 s[18:19], s[14:15], -1
	s_and_b64 s[22:23], s[18:19], vcc
	s_and_saveexec_b64 s[18:19], s[22:23]
	s_cbranch_execz .LBB84_35
; %bb.34:
	v_ashrrev_i32_e32 v183, 31, v182
	v_lshl_add_u64 v[190:191], v[182:183], 2, v[180:181]
	global_load_dword v183, v[190:191], off
	global_load_dword v185, v[180:181], off offset:4
	s_waitcnt vmcnt(1)
	global_store_dword v[180:181], v183, off offset:4
	s_waitcnt vmcnt(1)
	global_store_dword v[190:191], v185, off
.LBB84_35:
	s_or_b64 exec, exec, s[18:19]
	v_mov_b32_e32 v185, v182
	v_mov_b32_e32 v187, v182
.LBB84_36:
	s_or_b64 exec, exec, s[16:17]
.LBB84_37:
	s_andn2_saveexec_b64 s[0:1], s[0:1]
	s_cbranch_execz .LBB84_39
; %bb.38:
	v_mov_b32_e32 v185, 1
	s_waitcnt vmcnt(40)
	ds_write2_b64 v184, v[164:165], v[166:167] offset0:4 offset1:5
	s_waitcnt vmcnt(39)
	ds_write2_b64 v184, v[160:161], v[162:163] offset0:6 offset1:7
	;; [unrolled: 2-line block ×41, first 2 shown]
.LBB84_39:
	s_or_b64 exec, exec, s[0:1]
	v_cmp_lt_i32_e32 vcc, 1, v185
	s_waitcnt lgkmcnt(0)
	s_barrier
	s_and_saveexec_b64 s[0:1], vcc
	s_cbranch_execz .LBB84_41
; %bb.40:
	ds_read2_b64 v[190:193], v184 offset0:4 offset1:5
	v_mul_f64 v[182:183], v[174:175], v[106:107]
	v_mul_f64 v[106:107], v[172:173], v[106:107]
	v_fmac_f64_e32 v[106:107], v[174:175], v[104:105]
	v_fma_f64 v[182:183], v[172:173], v[104:105], -v[182:183]
	ds_read2_b64 v[172:175], v184 offset0:6 offset1:7
	s_waitcnt lgkmcnt(1)
	v_mul_f64 v[104:105], v[192:193], v[106:107]
	v_fma_f64 v[104:105], v[190:191], v[182:183], -v[104:105]
	v_mul_f64 v[190:191], v[190:191], v[106:107]
	v_fmac_f64_e32 v[190:191], v[192:193], v[182:183]
	s_waitcnt vmcnt(40)
	v_add_f64 v[166:167], v[166:167], -v[190:191]
	ds_read2_b64 v[190:193], v184 offset0:8 offset1:9
	v_add_f64 v[164:165], v[164:165], -v[104:105]
	s_waitcnt lgkmcnt(1)
	v_mul_f64 v[104:105], v[174:175], v[106:107]
	v_fma_f64 v[104:105], v[172:173], v[182:183], -v[104:105]
	v_mul_f64 v[172:173], v[172:173], v[106:107]
	v_fmac_f64_e32 v[172:173], v[174:175], v[182:183]
	s_waitcnt vmcnt(39)
	v_add_f64 v[160:161], v[160:161], -v[104:105]
	v_add_f64 v[162:163], v[162:163], -v[172:173]
	ds_read2_b64 v[172:175], v184 offset0:10 offset1:11
	s_waitcnt lgkmcnt(1)
	v_mul_f64 v[104:105], v[192:193], v[106:107]
	v_fma_f64 v[104:105], v[190:191], v[182:183], -v[104:105]
	v_mul_f64 v[190:191], v[190:191], v[106:107]
	v_fmac_f64_e32 v[190:191], v[192:193], v[182:183]
	s_waitcnt vmcnt(38)
	v_add_f64 v[158:159], v[158:159], -v[190:191]
	ds_read2_b64 v[190:193], v184 offset0:12 offset1:13
	v_add_f64 v[156:157], v[156:157], -v[104:105]
	s_waitcnt lgkmcnt(1)
	v_mul_f64 v[104:105], v[174:175], v[106:107]
	v_fma_f64 v[104:105], v[172:173], v[182:183], -v[104:105]
	v_mul_f64 v[172:173], v[172:173], v[106:107]
	v_fmac_f64_e32 v[172:173], v[174:175], v[182:183]
	s_waitcnt vmcnt(37)
	v_add_f64 v[152:153], v[152:153], -v[104:105]
	v_add_f64 v[154:155], v[154:155], -v[172:173]
	;; [unrolled: 18-line block ×20, first 2 shown]
	s_waitcnt lgkmcnt(0)
	v_mul_f64 v[104:105], v[192:193], v[106:107]
	v_mul_f64 v[172:173], v[190:191], v[106:107]
	v_fma_f64 v[104:105], v[190:191], v[182:183], -v[104:105]
	v_fmac_f64_e32 v[172:173], v[192:193], v[182:183]
	s_waitcnt vmcnt(0)
	v_add_f64 v[168:169], v[168:169], -v[104:105]
	v_add_f64 v[170:171], v[170:171], -v[172:173]
	v_mov_b64_e32 v[104:105], v[182:183]
.LBB84_41:
	s_or_b64 exec, exec, s[0:1]
	v_lshl_add_u32 v172, v185, 4, v184
	s_barrier
	s_waitcnt vmcnt(40)
	ds_write2_b64 v172, v[164:165], v[166:167] offset1:1
	s_waitcnt lgkmcnt(0)
	s_barrier
	ds_read2_b64 v[172:175], v184 offset0:4 offset1:5
	s_cmp_lt_i32 s20, 4
	v_mov_b32_e32 v182, 2
	s_cbranch_scc1 .LBB84_44
; %bb.42:
	v_add3_u32 v183, v188, 0, 48
	s_mov_b32 s16, 3
	v_mov_b32_e32 v182, 2
.LBB84_43:                              ; =>This Inner Loop Header: Depth=1
	ds_read2_b64 v[190:193], v183 offset1:1
	s_waitcnt lgkmcnt(1)
	v_xor_b32_e32 v189, 0x80000000, v173
	v_xor_b32_e32 v197, 0x80000000, v175
	v_cmp_gt_f64_e32 vcc, 0, v[174:175]
	v_cmp_gt_f64_e64 s[0:1], 0, v[172:173]
	v_mov_b32_e32 v194, v172
	v_mov_b32_e32 v196, v174
	v_cndmask_b32_e64 v195, v173, v189, s[0:1]
	v_cndmask_b32_e32 v197, v175, v197, vcc
	s_waitcnt lgkmcnt(0)
	v_xor_b32_e32 v189, 0x80000000, v191
	v_xor_b32_e32 v199, 0x80000000, v193
	v_cmp_gt_f64_e32 vcc, 0, v[192:193]
	v_cmp_gt_f64_e64 s[0:1], 0, v[190:191]
	v_add_f64 v[194:195], v[194:195], v[196:197]
	v_mov_b32_e32 v196, v190
	v_mov_b32_e32 v198, v192
	v_cndmask_b32_e64 v197, v191, v189, s[0:1]
	v_cndmask_b32_e32 v199, v193, v199, vcc
	v_add_f64 v[196:197], v[196:197], v[198:199]
	v_mov_b32_e32 v200, s16
	s_add_i32 s16, s16, 1
	v_cmp_lt_f64_e32 vcc, v[194:195], v[196:197]
	v_add_u32_e32 v183, 16, v183
	s_cmp_lg_u32 s20, s16
	v_cndmask_b32_e32 v173, v173, v191, vcc
	v_cndmask_b32_e32 v172, v172, v190, vcc
	;; [unrolled: 1-line block ×5, first 2 shown]
	s_cbranch_scc1 .LBB84_43
.LBB84_44:
	s_waitcnt lgkmcnt(0)
	v_cmp_eq_f64_e32 vcc, 0, v[172:173]
	v_cmp_eq_f64_e64 s[0:1], 0, v[174:175]
	s_and_b64 s[0:1], vcc, s[0:1]
	s_and_saveexec_b64 s[16:17], s[0:1]
	s_xor_b64 s[0:1], exec, s[16:17]
; %bb.45:
	v_cmp_ne_u32_e32 vcc, 0, v186
	s_nop 1
	v_cndmask_b32_e32 v186, 3, v186, vcc
; %bb.46:
	s_andn2_saveexec_b64 s[0:1], s[0:1]
	s_cbranch_execz .LBB84_52
; %bb.47:
	v_cmp_ngt_f64_e64 s[16:17], |v[172:173]|, |v[174:175]|
	s_and_saveexec_b64 s[18:19], s[16:17]
	s_xor_b64 s[16:17], exec, s[18:19]
	s_cbranch_execz .LBB84_49
; %bb.48:
	v_div_scale_f64 v[190:191], s[18:19], v[174:175], v[174:175], v[172:173]
	v_rcp_f64_e32 v[192:193], v[190:191]
	v_div_scale_f64 v[194:195], vcc, v[172:173], v[174:175], v[172:173]
	v_fma_f64 v[196:197], -v[190:191], v[192:193], 1.0
	v_fmac_f64_e32 v[192:193], v[192:193], v[196:197]
	v_fma_f64 v[196:197], -v[190:191], v[192:193], 1.0
	v_fmac_f64_e32 v[192:193], v[192:193], v[196:197]
	v_mul_f64 v[196:197], v[194:195], v[192:193]
	v_fma_f64 v[190:191], -v[190:191], v[196:197], v[194:195]
	v_div_fmas_f64 v[190:191], v[190:191], v[192:193], v[196:197]
	v_div_fixup_f64 v[190:191], v[190:191], v[174:175], v[172:173]
	v_fmac_f64_e32 v[174:175], v[172:173], v[190:191]
	v_div_scale_f64 v[172:173], s[18:19], v[174:175], v[174:175], 1.0
	v_rcp_f64_e32 v[192:193], v[172:173]
	s_nop 0
	v_fma_f64 v[194:195], -v[172:173], v[192:193], 1.0
	v_fmac_f64_e32 v[192:193], v[192:193], v[194:195]
	v_fma_f64 v[194:195], -v[172:173], v[192:193], 1.0
	v_fmac_f64_e32 v[192:193], v[192:193], v[194:195]
	v_div_scale_f64 v[194:195], vcc, 1.0, v[174:175], 1.0
	v_mul_f64 v[196:197], v[194:195], v[192:193]
	v_fma_f64 v[172:173], -v[172:173], v[196:197], v[194:195]
	s_nop 1
	v_div_fmas_f64 v[172:173], v[172:173], v[192:193], v[196:197]
	v_div_fixup_f64 v[174:175], v[172:173], v[174:175], 1.0
	v_mul_f64 v[172:173], v[190:191], v[174:175]
	v_xor_b32_e32 v175, 0x80000000, v175
.LBB84_49:
	s_andn2_saveexec_b64 s[16:17], s[16:17]
	s_cbranch_execz .LBB84_51
; %bb.50:
	v_div_scale_f64 v[190:191], s[18:19], v[172:173], v[172:173], v[174:175]
	v_rcp_f64_e32 v[192:193], v[190:191]
	v_div_scale_f64 v[194:195], vcc, v[174:175], v[172:173], v[174:175]
	v_fma_f64 v[196:197], -v[190:191], v[192:193], 1.0
	v_fmac_f64_e32 v[192:193], v[192:193], v[196:197]
	v_fma_f64 v[196:197], -v[190:191], v[192:193], 1.0
	v_fmac_f64_e32 v[192:193], v[192:193], v[196:197]
	v_mul_f64 v[196:197], v[194:195], v[192:193]
	v_fma_f64 v[190:191], -v[190:191], v[196:197], v[194:195]
	v_div_fmas_f64 v[190:191], v[190:191], v[192:193], v[196:197]
	v_div_fixup_f64 v[190:191], v[190:191], v[172:173], v[174:175]
	v_fmac_f64_e32 v[172:173], v[174:175], v[190:191]
	v_div_scale_f64 v[174:175], s[18:19], v[172:173], v[172:173], 1.0
	v_rcp_f64_e32 v[192:193], v[174:175]
	s_nop 0
	v_fma_f64 v[194:195], -v[174:175], v[192:193], 1.0
	v_fmac_f64_e32 v[192:193], v[192:193], v[194:195]
	v_fma_f64 v[194:195], -v[174:175], v[192:193], 1.0
	v_fmac_f64_e32 v[192:193], v[192:193], v[194:195]
	v_div_scale_f64 v[194:195], vcc, 1.0, v[172:173], 1.0
	v_mul_f64 v[196:197], v[194:195], v[192:193]
	v_fma_f64 v[174:175], -v[174:175], v[196:197], v[194:195]
	s_nop 1
	v_div_fmas_f64 v[174:175], v[174:175], v[192:193], v[196:197]
	v_div_fixup_f64 v[172:173], v[174:175], v[172:173], 1.0
	v_mul_f64 v[174:175], v[190:191], -v[172:173]
.LBB84_51:
	s_or_b64 exec, exec, s[16:17]
.LBB84_52:
	s_or_b64 exec, exec, s[0:1]
	v_cmp_ne_u32_e32 vcc, v185, v182
	s_and_saveexec_b64 s[0:1], vcc
	s_xor_b64 s[0:1], exec, s[0:1]
	s_cbranch_execz .LBB84_58
; %bb.53:
	v_cmp_eq_u32_e32 vcc, 2, v185
	s_and_saveexec_b64 s[16:17], vcc
	s_cbranch_execz .LBB84_57
; %bb.54:
	v_cmp_ne_u32_e32 vcc, 2, v182
	s_xor_b64 s[18:19], s[14:15], -1
	s_and_b64 s[22:23], s[18:19], vcc
	s_and_saveexec_b64 s[18:19], s[22:23]
	s_cbranch_execz .LBB84_56
; %bb.55:
	v_ashrrev_i32_e32 v183, 31, v182
	v_lshl_add_u64 v[190:191], v[182:183], 2, v[180:181]
	global_load_dword v183, v[190:191], off
	global_load_dword v185, v[180:181], off offset:8
	s_waitcnt vmcnt(1)
	global_store_dword v[180:181], v183, off offset:8
	s_waitcnt vmcnt(1)
	global_store_dword v[190:191], v185, off
.LBB84_56:
	s_or_b64 exec, exec, s[18:19]
	v_mov_b32_e32 v185, v182
	v_mov_b32_e32 v187, v182
.LBB84_57:
	s_or_b64 exec, exec, s[16:17]
.LBB84_58:
	s_andn2_saveexec_b64 s[0:1], s[0:1]
	s_cbranch_execz .LBB84_60
; %bb.59:
	v_mov_b32_e32 v185, 2
	s_waitcnt vmcnt(39)
	ds_write2_b64 v184, v[160:161], v[162:163] offset0:6 offset1:7
	s_waitcnt vmcnt(38)
	ds_write2_b64 v184, v[156:157], v[158:159] offset0:8 offset1:9
	;; [unrolled: 2-line block ×40, first 2 shown]
.LBB84_60:
	s_or_b64 exec, exec, s[0:1]
	v_cmp_lt_i32_e32 vcc, 2, v185
	s_waitcnt lgkmcnt(0)
	s_barrier
	s_and_saveexec_b64 s[0:1], vcc
	s_cbranch_execz .LBB84_62
; %bb.61:
	ds_read2_b64 v[190:193], v184 offset0:6 offset1:7
	v_mul_f64 v[182:183], v[174:175], v[166:167]
	v_mul_f64 v[166:167], v[172:173], v[166:167]
	v_fma_f64 v[182:183], v[172:173], v[164:165], -v[182:183]
	v_fmac_f64_e32 v[166:167], v[174:175], v[164:165]
	ds_read2_b64 v[172:175], v184 offset0:8 offset1:9
	s_waitcnt lgkmcnt(1)
	v_mul_f64 v[164:165], v[192:193], v[166:167]
	v_fma_f64 v[164:165], v[190:191], v[182:183], -v[164:165]
	v_mul_f64 v[190:191], v[190:191], v[166:167]
	v_fmac_f64_e32 v[190:191], v[192:193], v[182:183]
	s_waitcnt vmcnt(39)
	v_add_f64 v[160:161], v[160:161], -v[164:165]
	s_waitcnt lgkmcnt(0)
	v_mul_f64 v[164:165], v[174:175], v[166:167]
	v_add_f64 v[162:163], v[162:163], -v[190:191]
	v_fma_f64 v[164:165], v[172:173], v[182:183], -v[164:165]
	v_mul_f64 v[172:173], v[172:173], v[166:167]
	ds_read2_b64 v[190:193], v184 offset0:10 offset1:11
	v_fmac_f64_e32 v[172:173], v[174:175], v[182:183]
	s_waitcnt vmcnt(38)
	v_add_f64 v[158:159], v[158:159], -v[172:173]
	ds_read2_b64 v[172:175], v184 offset0:12 offset1:13
	v_add_f64 v[156:157], v[156:157], -v[164:165]
	s_waitcnt lgkmcnt(1)
	v_mul_f64 v[164:165], v[192:193], v[166:167]
	v_fma_f64 v[164:165], v[190:191], v[182:183], -v[164:165]
	v_mul_f64 v[190:191], v[190:191], v[166:167]
	v_fmac_f64_e32 v[190:191], v[192:193], v[182:183]
	s_waitcnt vmcnt(37)
	v_add_f64 v[152:153], v[152:153], -v[164:165]
	s_waitcnt lgkmcnt(0)
	v_mul_f64 v[164:165], v[174:175], v[166:167]
	v_add_f64 v[154:155], v[154:155], -v[190:191]
	v_fma_f64 v[164:165], v[172:173], v[182:183], -v[164:165]
	v_mul_f64 v[172:173], v[172:173], v[166:167]
	ds_read2_b64 v[190:193], v184 offset0:14 offset1:15
	v_fmac_f64_e32 v[172:173], v[174:175], v[182:183]
	s_waitcnt vmcnt(36)
	v_add_f64 v[150:151], v[150:151], -v[172:173]
	ds_read2_b64 v[172:175], v184 offset0:16 offset1:17
	v_add_f64 v[148:149], v[148:149], -v[164:165]
	;; [unrolled: 18-line block ×19, first 2 shown]
	s_waitcnt lgkmcnt(1)
	v_mul_f64 v[164:165], v[192:193], v[166:167]
	v_fma_f64 v[164:165], v[190:191], v[182:183], -v[164:165]
	s_waitcnt vmcnt(1)
	v_add_f64 v[0:1], v[0:1], -v[164:165]
	s_waitcnt lgkmcnt(0)
	v_mul_f64 v[164:165], v[174:175], v[166:167]
	v_mul_f64 v[190:191], v[190:191], v[166:167]
	v_fma_f64 v[164:165], v[172:173], v[182:183], -v[164:165]
	v_mul_f64 v[172:173], v[172:173], v[166:167]
	v_fmac_f64_e32 v[190:191], v[192:193], v[182:183]
	v_fmac_f64_e32 v[172:173], v[174:175], v[182:183]
	v_add_f64 v[2:3], v[2:3], -v[190:191]
	s_waitcnt vmcnt(0)
	v_add_f64 v[168:169], v[168:169], -v[164:165]
	v_add_f64 v[170:171], v[170:171], -v[172:173]
	v_mov_b64_e32 v[164:165], v[182:183]
.LBB84_62:
	s_or_b64 exec, exec, s[0:1]
	v_lshl_add_u32 v172, v185, 4, v184
	s_barrier
	s_waitcnt vmcnt(39)
	ds_write2_b64 v172, v[160:161], v[162:163] offset1:1
	s_waitcnt lgkmcnt(0)
	s_barrier
	ds_read2_b64 v[172:175], v184 offset0:6 offset1:7
	s_mov_b32 s16, 4
	s_cmp_lt_i32 s20, 5
	v_mov_b32_e32 v182, 3
	s_cbranch_scc1 .LBB84_65
; %bb.63:
	v_add3_u32 v183, v188, 0, 64
	v_mov_b32_e32 v182, 3
.LBB84_64:                              ; =>This Inner Loop Header: Depth=1
	ds_read2_b64 v[188:191], v183 offset1:1
	s_waitcnt lgkmcnt(1)
	v_xor_b32_e32 v193, 0x80000000, v173
	v_xor_b32_e32 v195, 0x80000000, v175
	v_cmp_gt_f64_e32 vcc, 0, v[174:175]
	v_cmp_gt_f64_e64 s[0:1], 0, v[172:173]
	v_mov_b32_e32 v192, v172
	v_mov_b32_e32 v194, v174
	v_cndmask_b32_e64 v193, v173, v193, s[0:1]
	v_cndmask_b32_e32 v195, v175, v195, vcc
	v_add_f64 v[192:193], v[192:193], v[194:195]
	s_waitcnt lgkmcnt(0)
	v_xor_b32_e32 v195, 0x80000000, v189
	v_xor_b32_e32 v197, 0x80000000, v191
	v_cmp_gt_f64_e32 vcc, 0, v[190:191]
	v_cmp_gt_f64_e64 s[0:1], 0, v[188:189]
	v_mov_b32_e32 v194, v188
	v_mov_b32_e32 v196, v190
	v_cndmask_b32_e64 v195, v189, v195, s[0:1]
	v_cndmask_b32_e32 v197, v191, v197, vcc
	v_add_f64 v[194:195], v[194:195], v[196:197]
	v_mov_b32_e32 v198, s16
	s_add_i32 s16, s16, 1
	v_cmp_lt_f64_e32 vcc, v[192:193], v[194:195]
	v_add_u32_e32 v183, 16, v183
	s_cmp_lg_u32 s20, s16
	v_cndmask_b32_e32 v173, v173, v189, vcc
	v_cndmask_b32_e32 v172, v172, v188, vcc
	v_cndmask_b32_e32 v175, v175, v191, vcc
	v_cndmask_b32_e32 v174, v174, v190, vcc
	v_cndmask_b32_e32 v182, v182, v198, vcc
	s_cbranch_scc1 .LBB84_64
.LBB84_65:
	s_waitcnt lgkmcnt(0)
	v_cmp_eq_f64_e32 vcc, 0, v[172:173]
	v_cmp_eq_f64_e64 s[0:1], 0, v[174:175]
	s_and_b64 s[0:1], vcc, s[0:1]
	s_and_saveexec_b64 s[16:17], s[0:1]
	s_xor_b64 s[0:1], exec, s[16:17]
; %bb.66:
	v_cmp_ne_u32_e32 vcc, 0, v186
	s_nop 1
	v_cndmask_b32_e32 v186, 4, v186, vcc
; %bb.67:
	s_andn2_saveexec_b64 s[0:1], s[0:1]
	s_cbranch_execz .LBB84_73
; %bb.68:
	v_cmp_ngt_f64_e64 s[16:17], |v[172:173]|, |v[174:175]|
	s_and_saveexec_b64 s[18:19], s[16:17]
	s_xor_b64 s[16:17], exec, s[18:19]
	s_cbranch_execz .LBB84_70
; %bb.69:
	v_div_scale_f64 v[188:189], s[18:19], v[174:175], v[174:175], v[172:173]
	v_rcp_f64_e32 v[190:191], v[188:189]
	v_div_scale_f64 v[192:193], vcc, v[172:173], v[174:175], v[172:173]
	v_fma_f64 v[194:195], -v[188:189], v[190:191], 1.0
	v_fmac_f64_e32 v[190:191], v[190:191], v[194:195]
	v_fma_f64 v[194:195], -v[188:189], v[190:191], 1.0
	v_fmac_f64_e32 v[190:191], v[190:191], v[194:195]
	v_mul_f64 v[194:195], v[192:193], v[190:191]
	v_fma_f64 v[188:189], -v[188:189], v[194:195], v[192:193]
	v_div_fmas_f64 v[188:189], v[188:189], v[190:191], v[194:195]
	v_div_fixup_f64 v[188:189], v[188:189], v[174:175], v[172:173]
	v_fmac_f64_e32 v[174:175], v[172:173], v[188:189]
	v_div_scale_f64 v[172:173], s[18:19], v[174:175], v[174:175], 1.0
	v_rcp_f64_e32 v[190:191], v[172:173]
	s_nop 0
	v_fma_f64 v[192:193], -v[172:173], v[190:191], 1.0
	v_fmac_f64_e32 v[190:191], v[190:191], v[192:193]
	v_fma_f64 v[192:193], -v[172:173], v[190:191], 1.0
	v_fmac_f64_e32 v[190:191], v[190:191], v[192:193]
	v_div_scale_f64 v[192:193], vcc, 1.0, v[174:175], 1.0
	v_mul_f64 v[194:195], v[192:193], v[190:191]
	v_fma_f64 v[172:173], -v[172:173], v[194:195], v[192:193]
	s_nop 1
	v_div_fmas_f64 v[172:173], v[172:173], v[190:191], v[194:195]
	v_div_fixup_f64 v[174:175], v[172:173], v[174:175], 1.0
	v_mul_f64 v[172:173], v[188:189], v[174:175]
	v_xor_b32_e32 v175, 0x80000000, v175
.LBB84_70:
	s_andn2_saveexec_b64 s[16:17], s[16:17]
	s_cbranch_execz .LBB84_72
; %bb.71:
	v_div_scale_f64 v[188:189], s[18:19], v[172:173], v[172:173], v[174:175]
	v_rcp_f64_e32 v[190:191], v[188:189]
	v_div_scale_f64 v[192:193], vcc, v[174:175], v[172:173], v[174:175]
	v_fma_f64 v[194:195], -v[188:189], v[190:191], 1.0
	v_fmac_f64_e32 v[190:191], v[190:191], v[194:195]
	v_fma_f64 v[194:195], -v[188:189], v[190:191], 1.0
	v_fmac_f64_e32 v[190:191], v[190:191], v[194:195]
	v_mul_f64 v[194:195], v[192:193], v[190:191]
	v_fma_f64 v[188:189], -v[188:189], v[194:195], v[192:193]
	v_div_fmas_f64 v[188:189], v[188:189], v[190:191], v[194:195]
	v_div_fixup_f64 v[188:189], v[188:189], v[172:173], v[174:175]
	v_fmac_f64_e32 v[172:173], v[174:175], v[188:189]
	v_div_scale_f64 v[174:175], s[18:19], v[172:173], v[172:173], 1.0
	v_rcp_f64_e32 v[190:191], v[174:175]
	s_nop 0
	v_fma_f64 v[192:193], -v[174:175], v[190:191], 1.0
	v_fmac_f64_e32 v[190:191], v[190:191], v[192:193]
	v_fma_f64 v[192:193], -v[174:175], v[190:191], 1.0
	v_fmac_f64_e32 v[190:191], v[190:191], v[192:193]
	v_div_scale_f64 v[192:193], vcc, 1.0, v[172:173], 1.0
	v_mul_f64 v[194:195], v[192:193], v[190:191]
	v_fma_f64 v[174:175], -v[174:175], v[194:195], v[192:193]
	s_nop 1
	v_div_fmas_f64 v[174:175], v[174:175], v[190:191], v[194:195]
	v_div_fixup_f64 v[172:173], v[174:175], v[172:173], 1.0
	v_mul_f64 v[174:175], v[188:189], -v[172:173]
.LBB84_72:
	s_or_b64 exec, exec, s[16:17]
.LBB84_73:
	s_or_b64 exec, exec, s[0:1]
	v_cmp_ne_u32_e32 vcc, v185, v182
	s_and_saveexec_b64 s[0:1], vcc
	s_xor_b64 s[0:1], exec, s[0:1]
	s_cbranch_execz .LBB84_79
; %bb.74:
	v_cmp_eq_u32_e32 vcc, 3, v185
	s_and_saveexec_b64 s[16:17], vcc
	s_cbranch_execz .LBB84_78
; %bb.75:
	v_cmp_ne_u32_e32 vcc, 3, v182
	s_xor_b64 s[18:19], s[14:15], -1
	s_and_b64 s[22:23], s[18:19], vcc
	s_and_saveexec_b64 s[18:19], s[22:23]
	s_cbranch_execz .LBB84_77
; %bb.76:
	v_ashrrev_i32_e32 v183, 31, v182
	v_lshl_add_u64 v[188:189], v[182:183], 2, v[180:181]
	global_load_dword v183, v[188:189], off
	global_load_dword v185, v[180:181], off offset:12
	s_waitcnt vmcnt(1)
	global_store_dword v[180:181], v183, off offset:12
	s_waitcnt vmcnt(1)
	global_store_dword v[188:189], v185, off
.LBB84_77:
	s_or_b64 exec, exec, s[18:19]
	v_mov_b32_e32 v185, v182
	v_mov_b32_e32 v187, v182
.LBB84_78:
	s_or_b64 exec, exec, s[16:17]
.LBB84_79:
	s_andn2_saveexec_b64 s[0:1], s[0:1]
	s_cbranch_execz .LBB84_81
; %bb.80:
	v_mov_b32_e32 v185, 3
	s_waitcnt vmcnt(38)
	ds_write2_b64 v184, v[156:157], v[158:159] offset0:8 offset1:9
	s_waitcnt vmcnt(37)
	ds_write2_b64 v184, v[152:153], v[154:155] offset0:10 offset1:11
	;; [unrolled: 2-line block ×39, first 2 shown]
.LBB84_81:
	s_or_b64 exec, exec, s[0:1]
	v_cmp_lt_i32_e32 vcc, 3, v185
	s_waitcnt lgkmcnt(0)
	s_barrier
	s_and_saveexec_b64 s[0:1], vcc
	s_cbranch_execz .LBB84_83
; %bb.82:
	ds_read2_b64 v[188:191], v184 offset0:8 offset1:9
	v_mul_f64 v[182:183], v[174:175], v[162:163]
	v_mul_f64 v[162:163], v[172:173], v[162:163]
	v_fmac_f64_e32 v[162:163], v[174:175], v[160:161]
	v_fma_f64 v[182:183], v[172:173], v[160:161], -v[182:183]
	ds_read2_b64 v[172:175], v184 offset0:10 offset1:11
	s_waitcnt lgkmcnt(1)
	v_mul_f64 v[160:161], v[190:191], v[162:163]
	v_fma_f64 v[160:161], v[188:189], v[182:183], -v[160:161]
	v_mul_f64 v[188:189], v[188:189], v[162:163]
	v_fmac_f64_e32 v[188:189], v[190:191], v[182:183]
	s_waitcnt vmcnt(38)
	v_add_f64 v[158:159], v[158:159], -v[188:189]
	ds_read2_b64 v[188:191], v184 offset0:12 offset1:13
	v_add_f64 v[156:157], v[156:157], -v[160:161]
	s_waitcnt lgkmcnt(1)
	v_mul_f64 v[160:161], v[174:175], v[162:163]
	v_fma_f64 v[160:161], v[172:173], v[182:183], -v[160:161]
	v_mul_f64 v[172:173], v[172:173], v[162:163]
	v_fmac_f64_e32 v[172:173], v[174:175], v[182:183]
	s_waitcnt vmcnt(37)
	v_add_f64 v[152:153], v[152:153], -v[160:161]
	v_add_f64 v[154:155], v[154:155], -v[172:173]
	ds_read2_b64 v[172:175], v184 offset0:14 offset1:15
	s_waitcnt lgkmcnt(1)
	v_mul_f64 v[160:161], v[190:191], v[162:163]
	v_fma_f64 v[160:161], v[188:189], v[182:183], -v[160:161]
	v_mul_f64 v[188:189], v[188:189], v[162:163]
	v_fmac_f64_e32 v[188:189], v[190:191], v[182:183]
	s_waitcnt vmcnt(36)
	v_add_f64 v[150:151], v[150:151], -v[188:189]
	ds_read2_b64 v[188:191], v184 offset0:16 offset1:17
	v_add_f64 v[148:149], v[148:149], -v[160:161]
	s_waitcnt lgkmcnt(1)
	v_mul_f64 v[160:161], v[174:175], v[162:163]
	v_fma_f64 v[160:161], v[172:173], v[182:183], -v[160:161]
	v_mul_f64 v[172:173], v[172:173], v[162:163]
	v_fmac_f64_e32 v[172:173], v[174:175], v[182:183]
	s_waitcnt vmcnt(35)
	v_add_f64 v[144:145], v[144:145], -v[160:161]
	v_add_f64 v[146:147], v[146:147], -v[172:173]
	;; [unrolled: 18-line block ×19, first 2 shown]
	s_waitcnt lgkmcnt(0)
	v_mul_f64 v[160:161], v[190:191], v[162:163]
	v_mul_f64 v[172:173], v[188:189], v[162:163]
	v_fma_f64 v[160:161], v[188:189], v[182:183], -v[160:161]
	v_fmac_f64_e32 v[172:173], v[190:191], v[182:183]
	s_waitcnt vmcnt(0)
	v_add_f64 v[168:169], v[168:169], -v[160:161]
	v_add_f64 v[170:171], v[170:171], -v[172:173]
	v_mov_b64_e32 v[160:161], v[182:183]
.LBB84_83:
	s_or_b64 exec, exec, s[0:1]
	v_lshl_add_u32 v172, v185, 4, v184
	s_barrier
	s_waitcnt vmcnt(38)
	ds_write2_b64 v172, v[156:157], v[158:159] offset1:1
	s_waitcnt lgkmcnt(0)
	s_barrier
	ds_read2_b64 v[172:175], v184 offset0:8 offset1:9
	s_cmp_lt_i32 s20, 6
	v_mov_b32_e32 v182, 4
	s_cbranch_scc1 .LBB84_86
; %bb.84:
	v_mov_b32_e32 v182, 4
	v_add_u32_e32 v183, 0x50, v184
	s_mov_b32 s16, 5
.LBB84_85:                              ; =>This Inner Loop Header: Depth=1
	ds_read2_b64 v[188:191], v183 offset1:1
	s_waitcnt lgkmcnt(1)
	v_xor_b32_e32 v193, 0x80000000, v173
	v_xor_b32_e32 v195, 0x80000000, v175
	v_cmp_gt_f64_e32 vcc, 0, v[174:175]
	v_cmp_gt_f64_e64 s[0:1], 0, v[172:173]
	v_mov_b32_e32 v192, v172
	v_mov_b32_e32 v194, v174
	v_cndmask_b32_e64 v193, v173, v193, s[0:1]
	v_cndmask_b32_e32 v195, v175, v195, vcc
	v_add_f64 v[192:193], v[192:193], v[194:195]
	s_waitcnt lgkmcnt(0)
	v_xor_b32_e32 v195, 0x80000000, v189
	v_xor_b32_e32 v197, 0x80000000, v191
	v_cmp_gt_f64_e32 vcc, 0, v[190:191]
	v_cmp_gt_f64_e64 s[0:1], 0, v[188:189]
	v_mov_b32_e32 v194, v188
	v_mov_b32_e32 v196, v190
	v_cndmask_b32_e64 v195, v189, v195, s[0:1]
	v_cndmask_b32_e32 v197, v191, v197, vcc
	v_add_f64 v[194:195], v[194:195], v[196:197]
	v_mov_b32_e32 v198, s16
	s_add_i32 s16, s16, 1
	v_cmp_lt_f64_e32 vcc, v[192:193], v[194:195]
	v_add_u32_e32 v183, 16, v183
	s_cmp_lg_u32 s20, s16
	v_cndmask_b32_e32 v173, v173, v189, vcc
	v_cndmask_b32_e32 v172, v172, v188, vcc
	;; [unrolled: 1-line block ×5, first 2 shown]
	s_cbranch_scc1 .LBB84_85
.LBB84_86:
	s_waitcnt lgkmcnt(0)
	v_cmp_eq_f64_e32 vcc, 0, v[172:173]
	v_cmp_eq_f64_e64 s[0:1], 0, v[174:175]
	s_and_b64 s[0:1], vcc, s[0:1]
	s_and_saveexec_b64 s[16:17], s[0:1]
	s_xor_b64 s[0:1], exec, s[16:17]
; %bb.87:
	v_cmp_ne_u32_e32 vcc, 0, v186
	s_nop 1
	v_cndmask_b32_e32 v186, 5, v186, vcc
; %bb.88:
	s_andn2_saveexec_b64 s[0:1], s[0:1]
	s_cbranch_execz .LBB84_94
; %bb.89:
	v_cmp_ngt_f64_e64 s[16:17], |v[172:173]|, |v[174:175]|
	s_and_saveexec_b64 s[18:19], s[16:17]
	s_xor_b64 s[16:17], exec, s[18:19]
	s_cbranch_execz .LBB84_91
; %bb.90:
	v_div_scale_f64 v[188:189], s[18:19], v[174:175], v[174:175], v[172:173]
	v_rcp_f64_e32 v[190:191], v[188:189]
	v_div_scale_f64 v[192:193], vcc, v[172:173], v[174:175], v[172:173]
	v_fma_f64 v[194:195], -v[188:189], v[190:191], 1.0
	v_fmac_f64_e32 v[190:191], v[190:191], v[194:195]
	v_fma_f64 v[194:195], -v[188:189], v[190:191], 1.0
	v_fmac_f64_e32 v[190:191], v[190:191], v[194:195]
	v_mul_f64 v[194:195], v[192:193], v[190:191]
	v_fma_f64 v[188:189], -v[188:189], v[194:195], v[192:193]
	v_div_fmas_f64 v[188:189], v[188:189], v[190:191], v[194:195]
	v_div_fixup_f64 v[188:189], v[188:189], v[174:175], v[172:173]
	v_fmac_f64_e32 v[174:175], v[172:173], v[188:189]
	v_div_scale_f64 v[172:173], s[18:19], v[174:175], v[174:175], 1.0
	v_rcp_f64_e32 v[190:191], v[172:173]
	s_nop 0
	v_fma_f64 v[192:193], -v[172:173], v[190:191], 1.0
	v_fmac_f64_e32 v[190:191], v[190:191], v[192:193]
	v_fma_f64 v[192:193], -v[172:173], v[190:191], 1.0
	v_fmac_f64_e32 v[190:191], v[190:191], v[192:193]
	v_div_scale_f64 v[192:193], vcc, 1.0, v[174:175], 1.0
	v_mul_f64 v[194:195], v[192:193], v[190:191]
	v_fma_f64 v[172:173], -v[172:173], v[194:195], v[192:193]
	s_nop 1
	v_div_fmas_f64 v[172:173], v[172:173], v[190:191], v[194:195]
	v_div_fixup_f64 v[174:175], v[172:173], v[174:175], 1.0
	v_mul_f64 v[172:173], v[188:189], v[174:175]
	v_xor_b32_e32 v175, 0x80000000, v175
.LBB84_91:
	s_andn2_saveexec_b64 s[16:17], s[16:17]
	s_cbranch_execz .LBB84_93
; %bb.92:
	v_div_scale_f64 v[188:189], s[18:19], v[172:173], v[172:173], v[174:175]
	v_rcp_f64_e32 v[190:191], v[188:189]
	v_div_scale_f64 v[192:193], vcc, v[174:175], v[172:173], v[174:175]
	v_fma_f64 v[194:195], -v[188:189], v[190:191], 1.0
	v_fmac_f64_e32 v[190:191], v[190:191], v[194:195]
	v_fma_f64 v[194:195], -v[188:189], v[190:191], 1.0
	v_fmac_f64_e32 v[190:191], v[190:191], v[194:195]
	v_mul_f64 v[194:195], v[192:193], v[190:191]
	v_fma_f64 v[188:189], -v[188:189], v[194:195], v[192:193]
	v_div_fmas_f64 v[188:189], v[188:189], v[190:191], v[194:195]
	v_div_fixup_f64 v[188:189], v[188:189], v[172:173], v[174:175]
	v_fmac_f64_e32 v[172:173], v[174:175], v[188:189]
	v_div_scale_f64 v[174:175], s[18:19], v[172:173], v[172:173], 1.0
	v_rcp_f64_e32 v[190:191], v[174:175]
	s_nop 0
	v_fma_f64 v[192:193], -v[174:175], v[190:191], 1.0
	v_fmac_f64_e32 v[190:191], v[190:191], v[192:193]
	v_fma_f64 v[192:193], -v[174:175], v[190:191], 1.0
	v_fmac_f64_e32 v[190:191], v[190:191], v[192:193]
	v_div_scale_f64 v[192:193], vcc, 1.0, v[172:173], 1.0
	v_mul_f64 v[194:195], v[192:193], v[190:191]
	v_fma_f64 v[174:175], -v[174:175], v[194:195], v[192:193]
	s_nop 1
	v_div_fmas_f64 v[174:175], v[174:175], v[190:191], v[194:195]
	v_div_fixup_f64 v[172:173], v[174:175], v[172:173], 1.0
	v_mul_f64 v[174:175], v[188:189], -v[172:173]
.LBB84_93:
	s_or_b64 exec, exec, s[16:17]
.LBB84_94:
	s_or_b64 exec, exec, s[0:1]
	v_cmp_ne_u32_e32 vcc, v185, v182
	s_and_saveexec_b64 s[0:1], vcc
	s_xor_b64 s[0:1], exec, s[0:1]
	s_cbranch_execz .LBB84_100
; %bb.95:
	v_cmp_eq_u32_e32 vcc, 4, v185
	s_and_saveexec_b64 s[16:17], vcc
	s_cbranch_execz .LBB84_99
; %bb.96:
	v_cmp_ne_u32_e32 vcc, 4, v182
	s_xor_b64 s[18:19], s[14:15], -1
	s_and_b64 s[22:23], s[18:19], vcc
	s_and_saveexec_b64 s[18:19], s[22:23]
	s_cbranch_execz .LBB84_98
; %bb.97:
	v_ashrrev_i32_e32 v183, 31, v182
	v_lshl_add_u64 v[188:189], v[182:183], 2, v[180:181]
	global_load_dword v183, v[188:189], off
	global_load_dword v185, v[180:181], off offset:16
	s_waitcnt vmcnt(1)
	global_store_dword v[180:181], v183, off offset:16
	s_waitcnt vmcnt(1)
	global_store_dword v[188:189], v185, off
.LBB84_98:
	s_or_b64 exec, exec, s[18:19]
	v_mov_b32_e32 v185, v182
	v_mov_b32_e32 v187, v182
.LBB84_99:
	s_or_b64 exec, exec, s[16:17]
.LBB84_100:
	s_andn2_saveexec_b64 s[0:1], s[0:1]
	s_cbranch_execz .LBB84_102
; %bb.101:
	v_mov_b32_e32 v185, 4
	s_waitcnt vmcnt(37)
	ds_write2_b64 v184, v[152:153], v[154:155] offset0:10 offset1:11
	s_waitcnt vmcnt(36)
	ds_write2_b64 v184, v[148:149], v[150:151] offset0:12 offset1:13
	s_waitcnt vmcnt(35)
	ds_write2_b64 v184, v[144:145], v[146:147] offset0:14 offset1:15
	s_waitcnt vmcnt(34)
	ds_write2_b64 v184, v[140:141], v[142:143] offset0:16 offset1:17
	s_waitcnt vmcnt(33)
	ds_write2_b64 v184, v[136:137], v[138:139] offset0:18 offset1:19
	s_waitcnt vmcnt(32)
	ds_write2_b64 v184, v[132:133], v[134:135] offset0:20 offset1:21
	s_waitcnt vmcnt(31)
	ds_write2_b64 v184, v[128:129], v[130:131] offset0:22 offset1:23
	s_waitcnt vmcnt(30)
	ds_write2_b64 v184, v[124:125], v[126:127] offset0:24 offset1:25
	s_waitcnt vmcnt(29)
	ds_write2_b64 v184, v[120:121], v[122:123] offset0:26 offset1:27
	s_waitcnt vmcnt(28)
	ds_write2_b64 v184, v[116:117], v[118:119] offset0:28 offset1:29
	s_waitcnt vmcnt(27)
	ds_write2_b64 v184, v[108:109], v[110:111] offset0:30 offset1:31
	s_waitcnt vmcnt(26)
	ds_write2_b64 v184, v[100:101], v[102:103] offset0:32 offset1:33
	s_waitcnt vmcnt(25)
	ds_write2_b64 v184, v[96:97], v[98:99] offset0:34 offset1:35
	s_waitcnt vmcnt(24)
	ds_write2_b64 v184, v[92:93], v[94:95] offset0:36 offset1:37
	s_waitcnt vmcnt(23)
	ds_write2_b64 v184, v[88:89], v[90:91] offset0:38 offset1:39
	s_waitcnt vmcnt(22)
	ds_write2_b64 v184, v[84:85], v[86:87] offset0:40 offset1:41
	s_waitcnt vmcnt(21)
	ds_write2_b64 v184, v[80:81], v[82:83] offset0:42 offset1:43
	s_waitcnt vmcnt(20)
	ds_write2_b64 v184, v[76:77], v[78:79] offset0:44 offset1:45
	s_waitcnt vmcnt(19)
	ds_write2_b64 v184, v[72:73], v[74:75] offset0:46 offset1:47
	s_waitcnt vmcnt(18)
	ds_write2_b64 v184, v[68:69], v[70:71] offset0:48 offset1:49
	s_waitcnt vmcnt(17)
	ds_write2_b64 v184, v[64:65], v[66:67] offset0:50 offset1:51
	s_waitcnt vmcnt(16)
	ds_write2_b64 v184, v[60:61], v[62:63] offset0:52 offset1:53
	s_waitcnt vmcnt(15)
	ds_write2_b64 v184, v[56:57], v[58:59] offset0:54 offset1:55
	s_waitcnt vmcnt(14)
	ds_write2_b64 v184, v[52:53], v[54:55] offset0:56 offset1:57
	s_waitcnt vmcnt(13)
	ds_write2_b64 v184, v[48:49], v[50:51] offset0:58 offset1:59
	s_waitcnt vmcnt(12)
	ds_write2_b64 v184, v[44:45], v[46:47] offset0:60 offset1:61
	s_waitcnt vmcnt(11)
	ds_write2_b64 v184, v[40:41], v[42:43] offset0:62 offset1:63
	s_waitcnt vmcnt(10)
	ds_write2_b64 v184, v[36:37], v[38:39] offset0:64 offset1:65
	s_waitcnt vmcnt(9)
	ds_write2_b64 v184, v[32:33], v[34:35] offset0:66 offset1:67
	s_waitcnt vmcnt(8)
	ds_write2_b64 v184, v[28:29], v[30:31] offset0:68 offset1:69
	s_waitcnt vmcnt(7)
	ds_write2_b64 v184, v[24:25], v[26:27] offset0:70 offset1:71
	s_waitcnt vmcnt(6)
	ds_write2_b64 v184, v[20:21], v[22:23] offset0:72 offset1:73
	s_waitcnt vmcnt(5)
	ds_write2_b64 v184, v[16:17], v[18:19] offset0:74 offset1:75
	s_waitcnt vmcnt(4)
	ds_write2_b64 v184, v[12:13], v[14:15] offset0:76 offset1:77
	s_waitcnt vmcnt(3)
	ds_write2_b64 v184, v[8:9], v[10:11] offset0:78 offset1:79
	s_waitcnt vmcnt(2)
	ds_write2_b64 v184, v[4:5], v[6:7] offset0:80 offset1:81
	s_waitcnt vmcnt(1)
	ds_write2_b64 v184, v[0:1], v[2:3] offset0:82 offset1:83
	s_waitcnt vmcnt(0)
	ds_write2_b64 v184, v[168:169], v[170:171] offset0:84 offset1:85
.LBB84_102:
	s_or_b64 exec, exec, s[0:1]
	v_cmp_lt_i32_e32 vcc, 4, v185
	s_waitcnt lgkmcnt(0)
	s_barrier
	s_and_saveexec_b64 s[0:1], vcc
	s_cbranch_execz .LBB84_104
; %bb.103:
	ds_read2_b64 v[188:191], v184 offset0:10 offset1:11
	v_mul_f64 v[182:183], v[174:175], v[158:159]
	v_mul_f64 v[158:159], v[172:173], v[158:159]
	v_fma_f64 v[182:183], v[172:173], v[156:157], -v[182:183]
	v_fmac_f64_e32 v[158:159], v[174:175], v[156:157]
	ds_read2_b64 v[172:175], v184 offset0:12 offset1:13
	s_waitcnt lgkmcnt(1)
	v_mul_f64 v[156:157], v[190:191], v[158:159]
	v_fma_f64 v[156:157], v[188:189], v[182:183], -v[156:157]
	v_mul_f64 v[188:189], v[188:189], v[158:159]
	v_fmac_f64_e32 v[188:189], v[190:191], v[182:183]
	s_waitcnt vmcnt(37)
	v_add_f64 v[152:153], v[152:153], -v[156:157]
	s_waitcnt lgkmcnt(0)
	v_mul_f64 v[156:157], v[174:175], v[158:159]
	v_add_f64 v[154:155], v[154:155], -v[188:189]
	v_fma_f64 v[156:157], v[172:173], v[182:183], -v[156:157]
	v_mul_f64 v[172:173], v[172:173], v[158:159]
	ds_read2_b64 v[188:191], v184 offset0:14 offset1:15
	v_fmac_f64_e32 v[172:173], v[174:175], v[182:183]
	s_waitcnt vmcnt(36)
	v_add_f64 v[150:151], v[150:151], -v[172:173]
	ds_read2_b64 v[172:175], v184 offset0:16 offset1:17
	v_add_f64 v[148:149], v[148:149], -v[156:157]
	s_waitcnt lgkmcnt(1)
	v_mul_f64 v[156:157], v[190:191], v[158:159]
	v_fma_f64 v[156:157], v[188:189], v[182:183], -v[156:157]
	v_mul_f64 v[188:189], v[188:189], v[158:159]
	v_fmac_f64_e32 v[188:189], v[190:191], v[182:183]
	s_waitcnt vmcnt(35)
	v_add_f64 v[144:145], v[144:145], -v[156:157]
	s_waitcnt lgkmcnt(0)
	v_mul_f64 v[156:157], v[174:175], v[158:159]
	v_add_f64 v[146:147], v[146:147], -v[188:189]
	v_fma_f64 v[156:157], v[172:173], v[182:183], -v[156:157]
	v_mul_f64 v[172:173], v[172:173], v[158:159]
	ds_read2_b64 v[188:191], v184 offset0:18 offset1:19
	v_fmac_f64_e32 v[172:173], v[174:175], v[182:183]
	s_waitcnt vmcnt(34)
	v_add_f64 v[142:143], v[142:143], -v[172:173]
	ds_read2_b64 v[172:175], v184 offset0:20 offset1:21
	v_add_f64 v[140:141], v[140:141], -v[156:157]
	;; [unrolled: 18-line block ×18, first 2 shown]
	s_waitcnt lgkmcnt(1)
	v_mul_f64 v[156:157], v[190:191], v[158:159]
	v_fma_f64 v[156:157], v[188:189], v[182:183], -v[156:157]
	s_waitcnt vmcnt(1)
	v_add_f64 v[0:1], v[0:1], -v[156:157]
	s_waitcnt lgkmcnt(0)
	v_mul_f64 v[156:157], v[174:175], v[158:159]
	v_mul_f64 v[188:189], v[188:189], v[158:159]
	v_fma_f64 v[156:157], v[172:173], v[182:183], -v[156:157]
	v_mul_f64 v[172:173], v[172:173], v[158:159]
	v_fmac_f64_e32 v[188:189], v[190:191], v[182:183]
	v_fmac_f64_e32 v[172:173], v[174:175], v[182:183]
	v_add_f64 v[2:3], v[2:3], -v[188:189]
	s_waitcnt vmcnt(0)
	v_add_f64 v[168:169], v[168:169], -v[156:157]
	v_add_f64 v[170:171], v[170:171], -v[172:173]
	v_mov_b64_e32 v[156:157], v[182:183]
.LBB84_104:
	s_or_b64 exec, exec, s[0:1]
	v_lshl_add_u32 v172, v185, 4, v184
	s_barrier
	s_waitcnt vmcnt(37)
	ds_write2_b64 v172, v[152:153], v[154:155] offset1:1
	s_waitcnt lgkmcnt(0)
	s_barrier
	ds_read2_b64 v[172:175], v184 offset0:10 offset1:11
	s_cmp_lt_i32 s20, 7
	v_mov_b32_e32 v182, 5
	s_cbranch_scc1 .LBB84_107
; %bb.105:
	v_add_u32_e32 v183, 0x60, v184
	s_mov_b32 s16, 6
	v_mov_b32_e32 v182, 5
.LBB84_106:                             ; =>This Inner Loop Header: Depth=1
	ds_read2_b64 v[188:191], v183 offset1:1
	s_waitcnt lgkmcnt(1)
	v_xor_b32_e32 v193, 0x80000000, v173
	v_xor_b32_e32 v195, 0x80000000, v175
	v_cmp_gt_f64_e32 vcc, 0, v[174:175]
	v_cmp_gt_f64_e64 s[0:1], 0, v[172:173]
	v_mov_b32_e32 v192, v172
	v_mov_b32_e32 v194, v174
	v_cndmask_b32_e64 v193, v173, v193, s[0:1]
	v_cndmask_b32_e32 v195, v175, v195, vcc
	v_add_f64 v[192:193], v[192:193], v[194:195]
	s_waitcnt lgkmcnt(0)
	v_xor_b32_e32 v195, 0x80000000, v189
	v_xor_b32_e32 v197, 0x80000000, v191
	v_cmp_gt_f64_e32 vcc, 0, v[190:191]
	v_cmp_gt_f64_e64 s[0:1], 0, v[188:189]
	v_mov_b32_e32 v194, v188
	v_mov_b32_e32 v196, v190
	v_cndmask_b32_e64 v195, v189, v195, s[0:1]
	v_cndmask_b32_e32 v197, v191, v197, vcc
	v_add_f64 v[194:195], v[194:195], v[196:197]
	v_mov_b32_e32 v198, s16
	s_add_i32 s16, s16, 1
	v_cmp_lt_f64_e32 vcc, v[192:193], v[194:195]
	v_add_u32_e32 v183, 16, v183
	s_cmp_lg_u32 s20, s16
	v_cndmask_b32_e32 v173, v173, v189, vcc
	v_cndmask_b32_e32 v172, v172, v188, vcc
	;; [unrolled: 1-line block ×5, first 2 shown]
	s_cbranch_scc1 .LBB84_106
.LBB84_107:
	s_waitcnt lgkmcnt(0)
	v_cmp_eq_f64_e32 vcc, 0, v[172:173]
	v_cmp_eq_f64_e64 s[0:1], 0, v[174:175]
	s_and_b64 s[0:1], vcc, s[0:1]
	s_and_saveexec_b64 s[16:17], s[0:1]
	s_xor_b64 s[0:1], exec, s[16:17]
; %bb.108:
	v_cmp_ne_u32_e32 vcc, 0, v186
	s_nop 1
	v_cndmask_b32_e32 v186, 6, v186, vcc
; %bb.109:
	s_andn2_saveexec_b64 s[0:1], s[0:1]
	s_cbranch_execz .LBB84_115
; %bb.110:
	v_cmp_ngt_f64_e64 s[16:17], |v[172:173]|, |v[174:175]|
	s_and_saveexec_b64 s[18:19], s[16:17]
	s_xor_b64 s[16:17], exec, s[18:19]
	s_cbranch_execz .LBB84_112
; %bb.111:
	v_div_scale_f64 v[188:189], s[18:19], v[174:175], v[174:175], v[172:173]
	v_rcp_f64_e32 v[190:191], v[188:189]
	v_div_scale_f64 v[192:193], vcc, v[172:173], v[174:175], v[172:173]
	v_fma_f64 v[194:195], -v[188:189], v[190:191], 1.0
	v_fmac_f64_e32 v[190:191], v[190:191], v[194:195]
	v_fma_f64 v[194:195], -v[188:189], v[190:191], 1.0
	v_fmac_f64_e32 v[190:191], v[190:191], v[194:195]
	v_mul_f64 v[194:195], v[192:193], v[190:191]
	v_fma_f64 v[188:189], -v[188:189], v[194:195], v[192:193]
	v_div_fmas_f64 v[188:189], v[188:189], v[190:191], v[194:195]
	v_div_fixup_f64 v[188:189], v[188:189], v[174:175], v[172:173]
	v_fmac_f64_e32 v[174:175], v[172:173], v[188:189]
	v_div_scale_f64 v[172:173], s[18:19], v[174:175], v[174:175], 1.0
	v_rcp_f64_e32 v[190:191], v[172:173]
	s_nop 0
	v_fma_f64 v[192:193], -v[172:173], v[190:191], 1.0
	v_fmac_f64_e32 v[190:191], v[190:191], v[192:193]
	v_fma_f64 v[192:193], -v[172:173], v[190:191], 1.0
	v_fmac_f64_e32 v[190:191], v[190:191], v[192:193]
	v_div_scale_f64 v[192:193], vcc, 1.0, v[174:175], 1.0
	v_mul_f64 v[194:195], v[192:193], v[190:191]
	v_fma_f64 v[172:173], -v[172:173], v[194:195], v[192:193]
	s_nop 1
	v_div_fmas_f64 v[172:173], v[172:173], v[190:191], v[194:195]
	v_div_fixup_f64 v[174:175], v[172:173], v[174:175], 1.0
	v_mul_f64 v[172:173], v[188:189], v[174:175]
	v_xor_b32_e32 v175, 0x80000000, v175
.LBB84_112:
	s_andn2_saveexec_b64 s[16:17], s[16:17]
	s_cbranch_execz .LBB84_114
; %bb.113:
	v_div_scale_f64 v[188:189], s[18:19], v[172:173], v[172:173], v[174:175]
	v_rcp_f64_e32 v[190:191], v[188:189]
	v_div_scale_f64 v[192:193], vcc, v[174:175], v[172:173], v[174:175]
	v_fma_f64 v[194:195], -v[188:189], v[190:191], 1.0
	v_fmac_f64_e32 v[190:191], v[190:191], v[194:195]
	v_fma_f64 v[194:195], -v[188:189], v[190:191], 1.0
	v_fmac_f64_e32 v[190:191], v[190:191], v[194:195]
	v_mul_f64 v[194:195], v[192:193], v[190:191]
	v_fma_f64 v[188:189], -v[188:189], v[194:195], v[192:193]
	v_div_fmas_f64 v[188:189], v[188:189], v[190:191], v[194:195]
	v_div_fixup_f64 v[188:189], v[188:189], v[172:173], v[174:175]
	v_fmac_f64_e32 v[172:173], v[174:175], v[188:189]
	v_div_scale_f64 v[174:175], s[18:19], v[172:173], v[172:173], 1.0
	v_rcp_f64_e32 v[190:191], v[174:175]
	s_nop 0
	v_fma_f64 v[192:193], -v[174:175], v[190:191], 1.0
	v_fmac_f64_e32 v[190:191], v[190:191], v[192:193]
	v_fma_f64 v[192:193], -v[174:175], v[190:191], 1.0
	v_fmac_f64_e32 v[190:191], v[190:191], v[192:193]
	v_div_scale_f64 v[192:193], vcc, 1.0, v[172:173], 1.0
	v_mul_f64 v[194:195], v[192:193], v[190:191]
	v_fma_f64 v[174:175], -v[174:175], v[194:195], v[192:193]
	s_nop 1
	v_div_fmas_f64 v[174:175], v[174:175], v[190:191], v[194:195]
	v_div_fixup_f64 v[172:173], v[174:175], v[172:173], 1.0
	v_mul_f64 v[174:175], v[188:189], -v[172:173]
.LBB84_114:
	s_or_b64 exec, exec, s[16:17]
.LBB84_115:
	s_or_b64 exec, exec, s[0:1]
	v_cmp_ne_u32_e32 vcc, v185, v182
	s_and_saveexec_b64 s[0:1], vcc
	s_xor_b64 s[0:1], exec, s[0:1]
	s_cbranch_execz .LBB84_121
; %bb.116:
	v_cmp_eq_u32_e32 vcc, 5, v185
	s_and_saveexec_b64 s[16:17], vcc
	s_cbranch_execz .LBB84_120
; %bb.117:
	v_cmp_ne_u32_e32 vcc, 5, v182
	s_xor_b64 s[18:19], s[14:15], -1
	s_and_b64 s[22:23], s[18:19], vcc
	s_and_saveexec_b64 s[18:19], s[22:23]
	s_cbranch_execz .LBB84_119
; %bb.118:
	v_ashrrev_i32_e32 v183, 31, v182
	v_lshl_add_u64 v[188:189], v[182:183], 2, v[180:181]
	global_load_dword v183, v[188:189], off
	global_load_dword v185, v[180:181], off offset:20
	s_waitcnt vmcnt(1)
	global_store_dword v[180:181], v183, off offset:20
	s_waitcnt vmcnt(1)
	global_store_dword v[188:189], v185, off
.LBB84_119:
	s_or_b64 exec, exec, s[18:19]
	v_mov_b32_e32 v185, v182
	v_mov_b32_e32 v187, v182
.LBB84_120:
	s_or_b64 exec, exec, s[16:17]
.LBB84_121:
	s_andn2_saveexec_b64 s[0:1], s[0:1]
	s_cbranch_execz .LBB84_123
; %bb.122:
	v_mov_b32_e32 v185, 5
	s_waitcnt vmcnt(36)
	ds_write2_b64 v184, v[148:149], v[150:151] offset0:12 offset1:13
	s_waitcnt vmcnt(35)
	ds_write2_b64 v184, v[144:145], v[146:147] offset0:14 offset1:15
	s_waitcnt vmcnt(34)
	ds_write2_b64 v184, v[140:141], v[142:143] offset0:16 offset1:17
	s_waitcnt vmcnt(33)
	ds_write2_b64 v184, v[136:137], v[138:139] offset0:18 offset1:19
	s_waitcnt vmcnt(32)
	ds_write2_b64 v184, v[132:133], v[134:135] offset0:20 offset1:21
	s_waitcnt vmcnt(31)
	ds_write2_b64 v184, v[128:129], v[130:131] offset0:22 offset1:23
	s_waitcnt vmcnt(30)
	ds_write2_b64 v184, v[124:125], v[126:127] offset0:24 offset1:25
	s_waitcnt vmcnt(29)
	ds_write2_b64 v184, v[120:121], v[122:123] offset0:26 offset1:27
	s_waitcnt vmcnt(28)
	ds_write2_b64 v184, v[116:117], v[118:119] offset0:28 offset1:29
	s_waitcnt vmcnt(27)
	ds_write2_b64 v184, v[108:109], v[110:111] offset0:30 offset1:31
	s_waitcnt vmcnt(26)
	ds_write2_b64 v184, v[100:101], v[102:103] offset0:32 offset1:33
	s_waitcnt vmcnt(25)
	ds_write2_b64 v184, v[96:97], v[98:99] offset0:34 offset1:35
	s_waitcnt vmcnt(24)
	ds_write2_b64 v184, v[92:93], v[94:95] offset0:36 offset1:37
	s_waitcnt vmcnt(23)
	ds_write2_b64 v184, v[88:89], v[90:91] offset0:38 offset1:39
	s_waitcnt vmcnt(22)
	ds_write2_b64 v184, v[84:85], v[86:87] offset0:40 offset1:41
	s_waitcnt vmcnt(21)
	ds_write2_b64 v184, v[80:81], v[82:83] offset0:42 offset1:43
	s_waitcnt vmcnt(20)
	ds_write2_b64 v184, v[76:77], v[78:79] offset0:44 offset1:45
	s_waitcnt vmcnt(19)
	ds_write2_b64 v184, v[72:73], v[74:75] offset0:46 offset1:47
	s_waitcnt vmcnt(18)
	ds_write2_b64 v184, v[68:69], v[70:71] offset0:48 offset1:49
	s_waitcnt vmcnt(17)
	ds_write2_b64 v184, v[64:65], v[66:67] offset0:50 offset1:51
	s_waitcnt vmcnt(16)
	ds_write2_b64 v184, v[60:61], v[62:63] offset0:52 offset1:53
	s_waitcnt vmcnt(15)
	ds_write2_b64 v184, v[56:57], v[58:59] offset0:54 offset1:55
	s_waitcnt vmcnt(14)
	ds_write2_b64 v184, v[52:53], v[54:55] offset0:56 offset1:57
	s_waitcnt vmcnt(13)
	ds_write2_b64 v184, v[48:49], v[50:51] offset0:58 offset1:59
	s_waitcnt vmcnt(12)
	ds_write2_b64 v184, v[44:45], v[46:47] offset0:60 offset1:61
	s_waitcnt vmcnt(11)
	ds_write2_b64 v184, v[40:41], v[42:43] offset0:62 offset1:63
	s_waitcnt vmcnt(10)
	ds_write2_b64 v184, v[36:37], v[38:39] offset0:64 offset1:65
	s_waitcnt vmcnt(9)
	ds_write2_b64 v184, v[32:33], v[34:35] offset0:66 offset1:67
	s_waitcnt vmcnt(8)
	ds_write2_b64 v184, v[28:29], v[30:31] offset0:68 offset1:69
	s_waitcnt vmcnt(7)
	ds_write2_b64 v184, v[24:25], v[26:27] offset0:70 offset1:71
	s_waitcnt vmcnt(6)
	ds_write2_b64 v184, v[20:21], v[22:23] offset0:72 offset1:73
	s_waitcnt vmcnt(5)
	ds_write2_b64 v184, v[16:17], v[18:19] offset0:74 offset1:75
	s_waitcnt vmcnt(4)
	ds_write2_b64 v184, v[12:13], v[14:15] offset0:76 offset1:77
	s_waitcnt vmcnt(3)
	ds_write2_b64 v184, v[8:9], v[10:11] offset0:78 offset1:79
	s_waitcnt vmcnt(2)
	ds_write2_b64 v184, v[4:5], v[6:7] offset0:80 offset1:81
	s_waitcnt vmcnt(1)
	ds_write2_b64 v184, v[0:1], v[2:3] offset0:82 offset1:83
	s_waitcnt vmcnt(0)
	ds_write2_b64 v184, v[168:169], v[170:171] offset0:84 offset1:85
.LBB84_123:
	s_or_b64 exec, exec, s[0:1]
	v_cmp_lt_i32_e32 vcc, 5, v185
	s_waitcnt lgkmcnt(0)
	s_barrier
	s_and_saveexec_b64 s[0:1], vcc
	s_cbranch_execz .LBB84_125
; %bb.124:
	ds_read2_b64 v[188:191], v184 offset0:12 offset1:13
	v_mul_f64 v[182:183], v[174:175], v[154:155]
	v_mul_f64 v[154:155], v[172:173], v[154:155]
	v_fmac_f64_e32 v[154:155], v[174:175], v[152:153]
	v_fma_f64 v[182:183], v[172:173], v[152:153], -v[182:183]
	ds_read2_b64 v[172:175], v184 offset0:14 offset1:15
	s_waitcnt lgkmcnt(1)
	v_mul_f64 v[152:153], v[190:191], v[154:155]
	v_fma_f64 v[152:153], v[188:189], v[182:183], -v[152:153]
	v_mul_f64 v[188:189], v[188:189], v[154:155]
	v_fmac_f64_e32 v[188:189], v[190:191], v[182:183]
	s_waitcnt vmcnt(36)
	v_add_f64 v[150:151], v[150:151], -v[188:189]
	ds_read2_b64 v[188:191], v184 offset0:16 offset1:17
	v_add_f64 v[148:149], v[148:149], -v[152:153]
	s_waitcnt lgkmcnt(1)
	v_mul_f64 v[152:153], v[174:175], v[154:155]
	v_fma_f64 v[152:153], v[172:173], v[182:183], -v[152:153]
	v_mul_f64 v[172:173], v[172:173], v[154:155]
	v_fmac_f64_e32 v[172:173], v[174:175], v[182:183]
	s_waitcnt vmcnt(35)
	v_add_f64 v[144:145], v[144:145], -v[152:153]
	v_add_f64 v[146:147], v[146:147], -v[172:173]
	ds_read2_b64 v[172:175], v184 offset0:18 offset1:19
	s_waitcnt lgkmcnt(1)
	v_mul_f64 v[152:153], v[190:191], v[154:155]
	v_fma_f64 v[152:153], v[188:189], v[182:183], -v[152:153]
	v_mul_f64 v[188:189], v[188:189], v[154:155]
	v_fmac_f64_e32 v[188:189], v[190:191], v[182:183]
	s_waitcnt vmcnt(34)
	v_add_f64 v[142:143], v[142:143], -v[188:189]
	ds_read2_b64 v[188:191], v184 offset0:20 offset1:21
	v_add_f64 v[140:141], v[140:141], -v[152:153]
	s_waitcnt lgkmcnt(1)
	v_mul_f64 v[152:153], v[174:175], v[154:155]
	v_fma_f64 v[152:153], v[172:173], v[182:183], -v[152:153]
	v_mul_f64 v[172:173], v[172:173], v[154:155]
	v_fmac_f64_e32 v[172:173], v[174:175], v[182:183]
	s_waitcnt vmcnt(33)
	v_add_f64 v[136:137], v[136:137], -v[152:153]
	v_add_f64 v[138:139], v[138:139], -v[172:173]
	;; [unrolled: 18-line block ×18, first 2 shown]
	s_waitcnt lgkmcnt(0)
	v_mul_f64 v[152:153], v[190:191], v[154:155]
	v_mul_f64 v[172:173], v[188:189], v[154:155]
	v_fma_f64 v[152:153], v[188:189], v[182:183], -v[152:153]
	v_fmac_f64_e32 v[172:173], v[190:191], v[182:183]
	s_waitcnt vmcnt(0)
	v_add_f64 v[168:169], v[168:169], -v[152:153]
	v_add_f64 v[170:171], v[170:171], -v[172:173]
	v_mov_b64_e32 v[152:153], v[182:183]
.LBB84_125:
	s_or_b64 exec, exec, s[0:1]
	v_lshl_add_u32 v172, v185, 4, v184
	s_barrier
	s_waitcnt vmcnt(36)
	ds_write2_b64 v172, v[148:149], v[150:151] offset1:1
	s_waitcnt lgkmcnt(0)
	s_barrier
	ds_read2_b64 v[172:175], v184 offset0:12 offset1:13
	s_cmp_lt_i32 s20, 8
	v_mov_b32_e32 v182, 6
	s_cbranch_scc1 .LBB84_128
; %bb.126:
	v_add_u32_e32 v183, 0x70, v184
	s_mov_b32 s16, 7
	v_mov_b32_e32 v182, 6
.LBB84_127:                             ; =>This Inner Loop Header: Depth=1
	ds_read2_b64 v[188:191], v183 offset1:1
	s_waitcnt lgkmcnt(1)
	v_xor_b32_e32 v193, 0x80000000, v173
	v_xor_b32_e32 v195, 0x80000000, v175
	v_cmp_gt_f64_e32 vcc, 0, v[174:175]
	v_cmp_gt_f64_e64 s[0:1], 0, v[172:173]
	v_mov_b32_e32 v192, v172
	v_mov_b32_e32 v194, v174
	v_cndmask_b32_e64 v193, v173, v193, s[0:1]
	v_cndmask_b32_e32 v195, v175, v195, vcc
	v_add_f64 v[192:193], v[192:193], v[194:195]
	s_waitcnt lgkmcnt(0)
	v_xor_b32_e32 v195, 0x80000000, v189
	v_xor_b32_e32 v197, 0x80000000, v191
	v_cmp_gt_f64_e32 vcc, 0, v[190:191]
	v_cmp_gt_f64_e64 s[0:1], 0, v[188:189]
	v_mov_b32_e32 v194, v188
	v_mov_b32_e32 v196, v190
	v_cndmask_b32_e64 v195, v189, v195, s[0:1]
	v_cndmask_b32_e32 v197, v191, v197, vcc
	v_add_f64 v[194:195], v[194:195], v[196:197]
	v_mov_b32_e32 v198, s16
	s_add_i32 s16, s16, 1
	v_cmp_lt_f64_e32 vcc, v[192:193], v[194:195]
	v_add_u32_e32 v183, 16, v183
	s_cmp_lg_u32 s20, s16
	v_cndmask_b32_e32 v173, v173, v189, vcc
	v_cndmask_b32_e32 v172, v172, v188, vcc
	;; [unrolled: 1-line block ×5, first 2 shown]
	s_cbranch_scc1 .LBB84_127
.LBB84_128:
	s_waitcnt lgkmcnt(0)
	v_cmp_eq_f64_e32 vcc, 0, v[172:173]
	v_cmp_eq_f64_e64 s[0:1], 0, v[174:175]
	s_and_b64 s[0:1], vcc, s[0:1]
	s_and_saveexec_b64 s[16:17], s[0:1]
	s_xor_b64 s[0:1], exec, s[16:17]
; %bb.129:
	v_cmp_ne_u32_e32 vcc, 0, v186
	s_nop 1
	v_cndmask_b32_e32 v186, 7, v186, vcc
; %bb.130:
	s_andn2_saveexec_b64 s[0:1], s[0:1]
	s_cbranch_execz .LBB84_136
; %bb.131:
	v_cmp_ngt_f64_e64 s[16:17], |v[172:173]|, |v[174:175]|
	s_and_saveexec_b64 s[18:19], s[16:17]
	s_xor_b64 s[16:17], exec, s[18:19]
	s_cbranch_execz .LBB84_133
; %bb.132:
	v_div_scale_f64 v[188:189], s[18:19], v[174:175], v[174:175], v[172:173]
	v_rcp_f64_e32 v[190:191], v[188:189]
	v_div_scale_f64 v[192:193], vcc, v[172:173], v[174:175], v[172:173]
	v_fma_f64 v[194:195], -v[188:189], v[190:191], 1.0
	v_fmac_f64_e32 v[190:191], v[190:191], v[194:195]
	v_fma_f64 v[194:195], -v[188:189], v[190:191], 1.0
	v_fmac_f64_e32 v[190:191], v[190:191], v[194:195]
	v_mul_f64 v[194:195], v[192:193], v[190:191]
	v_fma_f64 v[188:189], -v[188:189], v[194:195], v[192:193]
	v_div_fmas_f64 v[188:189], v[188:189], v[190:191], v[194:195]
	v_div_fixup_f64 v[188:189], v[188:189], v[174:175], v[172:173]
	v_fmac_f64_e32 v[174:175], v[172:173], v[188:189]
	v_div_scale_f64 v[172:173], s[18:19], v[174:175], v[174:175], 1.0
	v_rcp_f64_e32 v[190:191], v[172:173]
	s_nop 0
	v_fma_f64 v[192:193], -v[172:173], v[190:191], 1.0
	v_fmac_f64_e32 v[190:191], v[190:191], v[192:193]
	v_fma_f64 v[192:193], -v[172:173], v[190:191], 1.0
	v_fmac_f64_e32 v[190:191], v[190:191], v[192:193]
	v_div_scale_f64 v[192:193], vcc, 1.0, v[174:175], 1.0
	v_mul_f64 v[194:195], v[192:193], v[190:191]
	v_fma_f64 v[172:173], -v[172:173], v[194:195], v[192:193]
	s_nop 1
	v_div_fmas_f64 v[172:173], v[172:173], v[190:191], v[194:195]
	v_div_fixup_f64 v[174:175], v[172:173], v[174:175], 1.0
	v_mul_f64 v[172:173], v[188:189], v[174:175]
	v_xor_b32_e32 v175, 0x80000000, v175
.LBB84_133:
	s_andn2_saveexec_b64 s[16:17], s[16:17]
	s_cbranch_execz .LBB84_135
; %bb.134:
	v_div_scale_f64 v[188:189], s[18:19], v[172:173], v[172:173], v[174:175]
	v_rcp_f64_e32 v[190:191], v[188:189]
	v_div_scale_f64 v[192:193], vcc, v[174:175], v[172:173], v[174:175]
	v_fma_f64 v[194:195], -v[188:189], v[190:191], 1.0
	v_fmac_f64_e32 v[190:191], v[190:191], v[194:195]
	v_fma_f64 v[194:195], -v[188:189], v[190:191], 1.0
	v_fmac_f64_e32 v[190:191], v[190:191], v[194:195]
	v_mul_f64 v[194:195], v[192:193], v[190:191]
	v_fma_f64 v[188:189], -v[188:189], v[194:195], v[192:193]
	v_div_fmas_f64 v[188:189], v[188:189], v[190:191], v[194:195]
	v_div_fixup_f64 v[188:189], v[188:189], v[172:173], v[174:175]
	v_fmac_f64_e32 v[172:173], v[174:175], v[188:189]
	v_div_scale_f64 v[174:175], s[18:19], v[172:173], v[172:173], 1.0
	v_rcp_f64_e32 v[190:191], v[174:175]
	s_nop 0
	v_fma_f64 v[192:193], -v[174:175], v[190:191], 1.0
	v_fmac_f64_e32 v[190:191], v[190:191], v[192:193]
	v_fma_f64 v[192:193], -v[174:175], v[190:191], 1.0
	v_fmac_f64_e32 v[190:191], v[190:191], v[192:193]
	v_div_scale_f64 v[192:193], vcc, 1.0, v[172:173], 1.0
	v_mul_f64 v[194:195], v[192:193], v[190:191]
	v_fma_f64 v[174:175], -v[174:175], v[194:195], v[192:193]
	s_nop 1
	v_div_fmas_f64 v[174:175], v[174:175], v[190:191], v[194:195]
	v_div_fixup_f64 v[172:173], v[174:175], v[172:173], 1.0
	v_mul_f64 v[174:175], v[188:189], -v[172:173]
.LBB84_135:
	s_or_b64 exec, exec, s[16:17]
.LBB84_136:
	s_or_b64 exec, exec, s[0:1]
	v_cmp_ne_u32_e32 vcc, v185, v182
	s_and_saveexec_b64 s[0:1], vcc
	s_xor_b64 s[0:1], exec, s[0:1]
	s_cbranch_execz .LBB84_142
; %bb.137:
	v_cmp_eq_u32_e32 vcc, 6, v185
	s_and_saveexec_b64 s[16:17], vcc
	s_cbranch_execz .LBB84_141
; %bb.138:
	v_cmp_ne_u32_e32 vcc, 6, v182
	s_xor_b64 s[18:19], s[14:15], -1
	s_and_b64 s[22:23], s[18:19], vcc
	s_and_saveexec_b64 s[18:19], s[22:23]
	s_cbranch_execz .LBB84_140
; %bb.139:
	v_ashrrev_i32_e32 v183, 31, v182
	v_lshl_add_u64 v[188:189], v[182:183], 2, v[180:181]
	global_load_dword v183, v[188:189], off
	global_load_dword v185, v[180:181], off offset:24
	s_waitcnt vmcnt(1)
	global_store_dword v[180:181], v183, off offset:24
	s_waitcnt vmcnt(1)
	global_store_dword v[188:189], v185, off
.LBB84_140:
	s_or_b64 exec, exec, s[18:19]
	v_mov_b32_e32 v185, v182
	v_mov_b32_e32 v187, v182
.LBB84_141:
	s_or_b64 exec, exec, s[16:17]
.LBB84_142:
	s_andn2_saveexec_b64 s[0:1], s[0:1]
	s_cbranch_execz .LBB84_144
; %bb.143:
	v_mov_b32_e32 v185, 6
	s_waitcnt vmcnt(35)
	ds_write2_b64 v184, v[144:145], v[146:147] offset0:14 offset1:15
	s_waitcnt vmcnt(34)
	ds_write2_b64 v184, v[140:141], v[142:143] offset0:16 offset1:17
	;; [unrolled: 2-line block ×36, first 2 shown]
.LBB84_144:
	s_or_b64 exec, exec, s[0:1]
	v_cmp_lt_i32_e32 vcc, 6, v185
	s_waitcnt lgkmcnt(0)
	s_barrier
	s_and_saveexec_b64 s[0:1], vcc
	s_cbranch_execz .LBB84_146
; %bb.145:
	ds_read2_b64 v[188:191], v184 offset0:14 offset1:15
	v_mul_f64 v[182:183], v[174:175], v[150:151]
	v_mul_f64 v[150:151], v[172:173], v[150:151]
	v_fma_f64 v[182:183], v[172:173], v[148:149], -v[182:183]
	v_fmac_f64_e32 v[150:151], v[174:175], v[148:149]
	ds_read2_b64 v[172:175], v184 offset0:16 offset1:17
	s_waitcnt lgkmcnt(1)
	v_mul_f64 v[148:149], v[190:191], v[150:151]
	v_fma_f64 v[148:149], v[188:189], v[182:183], -v[148:149]
	v_mul_f64 v[188:189], v[188:189], v[150:151]
	v_fmac_f64_e32 v[188:189], v[190:191], v[182:183]
	s_waitcnt vmcnt(35)
	v_add_f64 v[144:145], v[144:145], -v[148:149]
	s_waitcnt lgkmcnt(0)
	v_mul_f64 v[148:149], v[174:175], v[150:151]
	v_add_f64 v[146:147], v[146:147], -v[188:189]
	v_fma_f64 v[148:149], v[172:173], v[182:183], -v[148:149]
	v_mul_f64 v[172:173], v[172:173], v[150:151]
	ds_read2_b64 v[188:191], v184 offset0:18 offset1:19
	v_fmac_f64_e32 v[172:173], v[174:175], v[182:183]
	s_waitcnt vmcnt(34)
	v_add_f64 v[142:143], v[142:143], -v[172:173]
	ds_read2_b64 v[172:175], v184 offset0:20 offset1:21
	v_add_f64 v[140:141], v[140:141], -v[148:149]
	s_waitcnt lgkmcnt(1)
	v_mul_f64 v[148:149], v[190:191], v[150:151]
	v_fma_f64 v[148:149], v[188:189], v[182:183], -v[148:149]
	v_mul_f64 v[188:189], v[188:189], v[150:151]
	v_fmac_f64_e32 v[188:189], v[190:191], v[182:183]
	s_waitcnt vmcnt(33)
	v_add_f64 v[136:137], v[136:137], -v[148:149]
	s_waitcnt lgkmcnt(0)
	v_mul_f64 v[148:149], v[174:175], v[150:151]
	v_add_f64 v[138:139], v[138:139], -v[188:189]
	v_fma_f64 v[148:149], v[172:173], v[182:183], -v[148:149]
	v_mul_f64 v[172:173], v[172:173], v[150:151]
	ds_read2_b64 v[188:191], v184 offset0:22 offset1:23
	v_fmac_f64_e32 v[172:173], v[174:175], v[182:183]
	s_waitcnt vmcnt(32)
	v_add_f64 v[134:135], v[134:135], -v[172:173]
	ds_read2_b64 v[172:175], v184 offset0:24 offset1:25
	v_add_f64 v[132:133], v[132:133], -v[148:149]
	;; [unrolled: 18-line block ×17, first 2 shown]
	s_waitcnt lgkmcnt(1)
	v_mul_f64 v[148:149], v[190:191], v[150:151]
	v_fma_f64 v[148:149], v[188:189], v[182:183], -v[148:149]
	s_waitcnt vmcnt(1)
	v_add_f64 v[0:1], v[0:1], -v[148:149]
	s_waitcnt lgkmcnt(0)
	v_mul_f64 v[148:149], v[174:175], v[150:151]
	v_mul_f64 v[188:189], v[188:189], v[150:151]
	v_fma_f64 v[148:149], v[172:173], v[182:183], -v[148:149]
	v_mul_f64 v[172:173], v[172:173], v[150:151]
	v_fmac_f64_e32 v[188:189], v[190:191], v[182:183]
	v_fmac_f64_e32 v[172:173], v[174:175], v[182:183]
	v_add_f64 v[2:3], v[2:3], -v[188:189]
	s_waitcnt vmcnt(0)
	v_add_f64 v[168:169], v[168:169], -v[148:149]
	v_add_f64 v[170:171], v[170:171], -v[172:173]
	v_mov_b64_e32 v[148:149], v[182:183]
.LBB84_146:
	s_or_b64 exec, exec, s[0:1]
	v_lshl_add_u32 v172, v185, 4, v184
	s_barrier
	s_waitcnt vmcnt(35)
	ds_write2_b64 v172, v[144:145], v[146:147] offset1:1
	s_waitcnt lgkmcnt(0)
	s_barrier
	ds_read2_b64 v[172:175], v184 offset0:14 offset1:15
	s_cmp_lt_i32 s20, 9
	v_mov_b32_e32 v182, 7
	s_cbranch_scc1 .LBB84_149
; %bb.147:
	v_add_u32_e32 v183, 0x80, v184
	s_mov_b32 s16, 8
	v_mov_b32_e32 v182, 7
.LBB84_148:                             ; =>This Inner Loop Header: Depth=1
	ds_read2_b64 v[188:191], v183 offset1:1
	s_waitcnt lgkmcnt(1)
	v_xor_b32_e32 v193, 0x80000000, v173
	v_xor_b32_e32 v195, 0x80000000, v175
	v_cmp_gt_f64_e32 vcc, 0, v[174:175]
	v_cmp_gt_f64_e64 s[0:1], 0, v[172:173]
	v_mov_b32_e32 v192, v172
	v_mov_b32_e32 v194, v174
	v_cndmask_b32_e64 v193, v173, v193, s[0:1]
	v_cndmask_b32_e32 v195, v175, v195, vcc
	v_add_f64 v[192:193], v[192:193], v[194:195]
	s_waitcnt lgkmcnt(0)
	v_xor_b32_e32 v195, 0x80000000, v189
	v_xor_b32_e32 v197, 0x80000000, v191
	v_cmp_gt_f64_e32 vcc, 0, v[190:191]
	v_cmp_gt_f64_e64 s[0:1], 0, v[188:189]
	v_mov_b32_e32 v194, v188
	v_mov_b32_e32 v196, v190
	v_cndmask_b32_e64 v195, v189, v195, s[0:1]
	v_cndmask_b32_e32 v197, v191, v197, vcc
	v_add_f64 v[194:195], v[194:195], v[196:197]
	v_mov_b32_e32 v198, s16
	s_add_i32 s16, s16, 1
	v_cmp_lt_f64_e32 vcc, v[192:193], v[194:195]
	v_add_u32_e32 v183, 16, v183
	s_cmp_lg_u32 s20, s16
	v_cndmask_b32_e32 v173, v173, v189, vcc
	v_cndmask_b32_e32 v172, v172, v188, vcc
	;; [unrolled: 1-line block ×5, first 2 shown]
	s_cbranch_scc1 .LBB84_148
.LBB84_149:
	s_waitcnt lgkmcnt(0)
	v_cmp_eq_f64_e32 vcc, 0, v[172:173]
	v_cmp_eq_f64_e64 s[0:1], 0, v[174:175]
	s_and_b64 s[0:1], vcc, s[0:1]
	s_and_saveexec_b64 s[16:17], s[0:1]
	s_xor_b64 s[0:1], exec, s[16:17]
; %bb.150:
	v_cmp_ne_u32_e32 vcc, 0, v186
	s_nop 1
	v_cndmask_b32_e32 v186, 8, v186, vcc
; %bb.151:
	s_andn2_saveexec_b64 s[0:1], s[0:1]
	s_cbranch_execz .LBB84_157
; %bb.152:
	v_cmp_ngt_f64_e64 s[16:17], |v[172:173]|, |v[174:175]|
	s_and_saveexec_b64 s[18:19], s[16:17]
	s_xor_b64 s[16:17], exec, s[18:19]
	s_cbranch_execz .LBB84_154
; %bb.153:
	v_div_scale_f64 v[188:189], s[18:19], v[174:175], v[174:175], v[172:173]
	v_rcp_f64_e32 v[190:191], v[188:189]
	v_div_scale_f64 v[192:193], vcc, v[172:173], v[174:175], v[172:173]
	v_fma_f64 v[194:195], -v[188:189], v[190:191], 1.0
	v_fmac_f64_e32 v[190:191], v[190:191], v[194:195]
	v_fma_f64 v[194:195], -v[188:189], v[190:191], 1.0
	v_fmac_f64_e32 v[190:191], v[190:191], v[194:195]
	v_mul_f64 v[194:195], v[192:193], v[190:191]
	v_fma_f64 v[188:189], -v[188:189], v[194:195], v[192:193]
	v_div_fmas_f64 v[188:189], v[188:189], v[190:191], v[194:195]
	v_div_fixup_f64 v[188:189], v[188:189], v[174:175], v[172:173]
	v_fmac_f64_e32 v[174:175], v[172:173], v[188:189]
	v_div_scale_f64 v[172:173], s[18:19], v[174:175], v[174:175], 1.0
	v_rcp_f64_e32 v[190:191], v[172:173]
	s_nop 0
	v_fma_f64 v[192:193], -v[172:173], v[190:191], 1.0
	v_fmac_f64_e32 v[190:191], v[190:191], v[192:193]
	v_fma_f64 v[192:193], -v[172:173], v[190:191], 1.0
	v_fmac_f64_e32 v[190:191], v[190:191], v[192:193]
	v_div_scale_f64 v[192:193], vcc, 1.0, v[174:175], 1.0
	v_mul_f64 v[194:195], v[192:193], v[190:191]
	v_fma_f64 v[172:173], -v[172:173], v[194:195], v[192:193]
	s_nop 1
	v_div_fmas_f64 v[172:173], v[172:173], v[190:191], v[194:195]
	v_div_fixup_f64 v[174:175], v[172:173], v[174:175], 1.0
	v_mul_f64 v[172:173], v[188:189], v[174:175]
	v_xor_b32_e32 v175, 0x80000000, v175
.LBB84_154:
	s_andn2_saveexec_b64 s[16:17], s[16:17]
	s_cbranch_execz .LBB84_156
; %bb.155:
	v_div_scale_f64 v[188:189], s[18:19], v[172:173], v[172:173], v[174:175]
	v_rcp_f64_e32 v[190:191], v[188:189]
	v_div_scale_f64 v[192:193], vcc, v[174:175], v[172:173], v[174:175]
	v_fma_f64 v[194:195], -v[188:189], v[190:191], 1.0
	v_fmac_f64_e32 v[190:191], v[190:191], v[194:195]
	v_fma_f64 v[194:195], -v[188:189], v[190:191], 1.0
	v_fmac_f64_e32 v[190:191], v[190:191], v[194:195]
	v_mul_f64 v[194:195], v[192:193], v[190:191]
	v_fma_f64 v[188:189], -v[188:189], v[194:195], v[192:193]
	v_div_fmas_f64 v[188:189], v[188:189], v[190:191], v[194:195]
	v_div_fixup_f64 v[188:189], v[188:189], v[172:173], v[174:175]
	v_fmac_f64_e32 v[172:173], v[174:175], v[188:189]
	v_div_scale_f64 v[174:175], s[18:19], v[172:173], v[172:173], 1.0
	v_rcp_f64_e32 v[190:191], v[174:175]
	s_nop 0
	v_fma_f64 v[192:193], -v[174:175], v[190:191], 1.0
	v_fmac_f64_e32 v[190:191], v[190:191], v[192:193]
	v_fma_f64 v[192:193], -v[174:175], v[190:191], 1.0
	v_fmac_f64_e32 v[190:191], v[190:191], v[192:193]
	v_div_scale_f64 v[192:193], vcc, 1.0, v[172:173], 1.0
	v_mul_f64 v[194:195], v[192:193], v[190:191]
	v_fma_f64 v[174:175], -v[174:175], v[194:195], v[192:193]
	s_nop 1
	v_div_fmas_f64 v[174:175], v[174:175], v[190:191], v[194:195]
	v_div_fixup_f64 v[172:173], v[174:175], v[172:173], 1.0
	v_mul_f64 v[174:175], v[188:189], -v[172:173]
.LBB84_156:
	s_or_b64 exec, exec, s[16:17]
.LBB84_157:
	s_or_b64 exec, exec, s[0:1]
	v_cmp_ne_u32_e32 vcc, v185, v182
	s_and_saveexec_b64 s[0:1], vcc
	s_xor_b64 s[0:1], exec, s[0:1]
	s_cbranch_execz .LBB84_163
; %bb.158:
	v_cmp_eq_u32_e32 vcc, 7, v185
	s_and_saveexec_b64 s[16:17], vcc
	s_cbranch_execz .LBB84_162
; %bb.159:
	v_cmp_ne_u32_e32 vcc, 7, v182
	s_xor_b64 s[18:19], s[14:15], -1
	s_and_b64 s[22:23], s[18:19], vcc
	s_and_saveexec_b64 s[18:19], s[22:23]
	s_cbranch_execz .LBB84_161
; %bb.160:
	v_ashrrev_i32_e32 v183, 31, v182
	v_lshl_add_u64 v[188:189], v[182:183], 2, v[180:181]
	global_load_dword v183, v[188:189], off
	global_load_dword v185, v[180:181], off offset:28
	s_waitcnt vmcnt(1)
	global_store_dword v[180:181], v183, off offset:28
	s_waitcnt vmcnt(1)
	global_store_dword v[188:189], v185, off
.LBB84_161:
	s_or_b64 exec, exec, s[18:19]
	v_mov_b32_e32 v185, v182
	v_mov_b32_e32 v187, v182
.LBB84_162:
	s_or_b64 exec, exec, s[16:17]
.LBB84_163:
	s_andn2_saveexec_b64 s[0:1], s[0:1]
	s_cbranch_execz .LBB84_165
; %bb.164:
	v_mov_b32_e32 v185, 7
	s_waitcnt vmcnt(34)
	ds_write2_b64 v184, v[140:141], v[142:143] offset0:16 offset1:17
	s_waitcnt vmcnt(33)
	ds_write2_b64 v184, v[136:137], v[138:139] offset0:18 offset1:19
	;; [unrolled: 2-line block ×35, first 2 shown]
.LBB84_165:
	s_or_b64 exec, exec, s[0:1]
	v_cmp_lt_i32_e32 vcc, 7, v185
	s_waitcnt lgkmcnt(0)
	s_barrier
	s_and_saveexec_b64 s[0:1], vcc
	s_cbranch_execz .LBB84_167
; %bb.166:
	ds_read2_b64 v[188:191], v184 offset0:16 offset1:17
	v_mul_f64 v[182:183], v[174:175], v[146:147]
	v_mul_f64 v[146:147], v[172:173], v[146:147]
	v_fmac_f64_e32 v[146:147], v[174:175], v[144:145]
	v_fma_f64 v[182:183], v[172:173], v[144:145], -v[182:183]
	ds_read2_b64 v[172:175], v184 offset0:18 offset1:19
	s_waitcnt lgkmcnt(1)
	v_mul_f64 v[144:145], v[190:191], v[146:147]
	v_fma_f64 v[144:145], v[188:189], v[182:183], -v[144:145]
	v_mul_f64 v[188:189], v[188:189], v[146:147]
	v_fmac_f64_e32 v[188:189], v[190:191], v[182:183]
	s_waitcnt vmcnt(34)
	v_add_f64 v[142:143], v[142:143], -v[188:189]
	ds_read2_b64 v[188:191], v184 offset0:20 offset1:21
	v_add_f64 v[140:141], v[140:141], -v[144:145]
	s_waitcnt lgkmcnt(1)
	v_mul_f64 v[144:145], v[174:175], v[146:147]
	v_fma_f64 v[144:145], v[172:173], v[182:183], -v[144:145]
	v_mul_f64 v[172:173], v[172:173], v[146:147]
	v_fmac_f64_e32 v[172:173], v[174:175], v[182:183]
	s_waitcnt vmcnt(33)
	v_add_f64 v[136:137], v[136:137], -v[144:145]
	v_add_f64 v[138:139], v[138:139], -v[172:173]
	ds_read2_b64 v[172:175], v184 offset0:22 offset1:23
	s_waitcnt lgkmcnt(1)
	v_mul_f64 v[144:145], v[190:191], v[146:147]
	v_fma_f64 v[144:145], v[188:189], v[182:183], -v[144:145]
	v_mul_f64 v[188:189], v[188:189], v[146:147]
	v_fmac_f64_e32 v[188:189], v[190:191], v[182:183]
	s_waitcnt vmcnt(32)
	v_add_f64 v[134:135], v[134:135], -v[188:189]
	ds_read2_b64 v[188:191], v184 offset0:24 offset1:25
	v_add_f64 v[132:133], v[132:133], -v[144:145]
	s_waitcnt lgkmcnt(1)
	v_mul_f64 v[144:145], v[174:175], v[146:147]
	v_fma_f64 v[144:145], v[172:173], v[182:183], -v[144:145]
	v_mul_f64 v[172:173], v[172:173], v[146:147]
	v_fmac_f64_e32 v[172:173], v[174:175], v[182:183]
	s_waitcnt vmcnt(31)
	v_add_f64 v[128:129], v[128:129], -v[144:145]
	v_add_f64 v[130:131], v[130:131], -v[172:173]
	;; [unrolled: 18-line block ×17, first 2 shown]
	s_waitcnt lgkmcnt(0)
	v_mul_f64 v[144:145], v[190:191], v[146:147]
	v_mul_f64 v[172:173], v[188:189], v[146:147]
	v_fma_f64 v[144:145], v[188:189], v[182:183], -v[144:145]
	v_fmac_f64_e32 v[172:173], v[190:191], v[182:183]
	s_waitcnt vmcnt(0)
	v_add_f64 v[168:169], v[168:169], -v[144:145]
	v_add_f64 v[170:171], v[170:171], -v[172:173]
	v_mov_b64_e32 v[144:145], v[182:183]
.LBB84_167:
	s_or_b64 exec, exec, s[0:1]
	v_lshl_add_u32 v172, v185, 4, v184
	s_barrier
	s_waitcnt vmcnt(34)
	ds_write2_b64 v172, v[140:141], v[142:143] offset1:1
	s_waitcnt lgkmcnt(0)
	s_barrier
	ds_read2_b64 v[172:175], v184 offset0:16 offset1:17
	s_cmp_lt_i32 s20, 10
	v_mov_b32_e32 v182, 8
	s_cbranch_scc1 .LBB84_170
; %bb.168:
	v_add_u32_e32 v183, 0x90, v184
	s_mov_b32 s16, 9
	v_mov_b32_e32 v182, 8
.LBB84_169:                             ; =>This Inner Loop Header: Depth=1
	ds_read2_b64 v[188:191], v183 offset1:1
	s_waitcnt lgkmcnt(1)
	v_xor_b32_e32 v193, 0x80000000, v173
	v_xor_b32_e32 v195, 0x80000000, v175
	v_cmp_gt_f64_e32 vcc, 0, v[174:175]
	v_cmp_gt_f64_e64 s[0:1], 0, v[172:173]
	v_mov_b32_e32 v192, v172
	v_mov_b32_e32 v194, v174
	v_cndmask_b32_e64 v193, v173, v193, s[0:1]
	v_cndmask_b32_e32 v195, v175, v195, vcc
	v_add_f64 v[192:193], v[192:193], v[194:195]
	s_waitcnt lgkmcnt(0)
	v_xor_b32_e32 v195, 0x80000000, v189
	v_xor_b32_e32 v197, 0x80000000, v191
	v_cmp_gt_f64_e32 vcc, 0, v[190:191]
	v_cmp_gt_f64_e64 s[0:1], 0, v[188:189]
	v_mov_b32_e32 v194, v188
	v_mov_b32_e32 v196, v190
	v_cndmask_b32_e64 v195, v189, v195, s[0:1]
	v_cndmask_b32_e32 v197, v191, v197, vcc
	v_add_f64 v[194:195], v[194:195], v[196:197]
	v_mov_b32_e32 v198, s16
	s_add_i32 s16, s16, 1
	v_cmp_lt_f64_e32 vcc, v[192:193], v[194:195]
	v_add_u32_e32 v183, 16, v183
	s_cmp_lg_u32 s20, s16
	v_cndmask_b32_e32 v173, v173, v189, vcc
	v_cndmask_b32_e32 v172, v172, v188, vcc
	;; [unrolled: 1-line block ×5, first 2 shown]
	s_cbranch_scc1 .LBB84_169
.LBB84_170:
	s_waitcnt lgkmcnt(0)
	v_cmp_eq_f64_e32 vcc, 0, v[172:173]
	v_cmp_eq_f64_e64 s[0:1], 0, v[174:175]
	s_and_b64 s[0:1], vcc, s[0:1]
	s_and_saveexec_b64 s[16:17], s[0:1]
	s_xor_b64 s[0:1], exec, s[16:17]
; %bb.171:
	v_cmp_ne_u32_e32 vcc, 0, v186
	s_nop 1
	v_cndmask_b32_e32 v186, 9, v186, vcc
; %bb.172:
	s_andn2_saveexec_b64 s[0:1], s[0:1]
	s_cbranch_execz .LBB84_178
; %bb.173:
	v_cmp_ngt_f64_e64 s[16:17], |v[172:173]|, |v[174:175]|
	s_and_saveexec_b64 s[18:19], s[16:17]
	s_xor_b64 s[16:17], exec, s[18:19]
	s_cbranch_execz .LBB84_175
; %bb.174:
	v_div_scale_f64 v[188:189], s[18:19], v[174:175], v[174:175], v[172:173]
	v_rcp_f64_e32 v[190:191], v[188:189]
	v_div_scale_f64 v[192:193], vcc, v[172:173], v[174:175], v[172:173]
	v_fma_f64 v[194:195], -v[188:189], v[190:191], 1.0
	v_fmac_f64_e32 v[190:191], v[190:191], v[194:195]
	v_fma_f64 v[194:195], -v[188:189], v[190:191], 1.0
	v_fmac_f64_e32 v[190:191], v[190:191], v[194:195]
	v_mul_f64 v[194:195], v[192:193], v[190:191]
	v_fma_f64 v[188:189], -v[188:189], v[194:195], v[192:193]
	v_div_fmas_f64 v[188:189], v[188:189], v[190:191], v[194:195]
	v_div_fixup_f64 v[188:189], v[188:189], v[174:175], v[172:173]
	v_fmac_f64_e32 v[174:175], v[172:173], v[188:189]
	v_div_scale_f64 v[172:173], s[18:19], v[174:175], v[174:175], 1.0
	v_rcp_f64_e32 v[190:191], v[172:173]
	s_nop 0
	v_fma_f64 v[192:193], -v[172:173], v[190:191], 1.0
	v_fmac_f64_e32 v[190:191], v[190:191], v[192:193]
	v_fma_f64 v[192:193], -v[172:173], v[190:191], 1.0
	v_fmac_f64_e32 v[190:191], v[190:191], v[192:193]
	v_div_scale_f64 v[192:193], vcc, 1.0, v[174:175], 1.0
	v_mul_f64 v[194:195], v[192:193], v[190:191]
	v_fma_f64 v[172:173], -v[172:173], v[194:195], v[192:193]
	s_nop 1
	v_div_fmas_f64 v[172:173], v[172:173], v[190:191], v[194:195]
	v_div_fixup_f64 v[174:175], v[172:173], v[174:175], 1.0
	v_mul_f64 v[172:173], v[188:189], v[174:175]
	v_xor_b32_e32 v175, 0x80000000, v175
.LBB84_175:
	s_andn2_saveexec_b64 s[16:17], s[16:17]
	s_cbranch_execz .LBB84_177
; %bb.176:
	v_div_scale_f64 v[188:189], s[18:19], v[172:173], v[172:173], v[174:175]
	v_rcp_f64_e32 v[190:191], v[188:189]
	v_div_scale_f64 v[192:193], vcc, v[174:175], v[172:173], v[174:175]
	v_fma_f64 v[194:195], -v[188:189], v[190:191], 1.0
	v_fmac_f64_e32 v[190:191], v[190:191], v[194:195]
	v_fma_f64 v[194:195], -v[188:189], v[190:191], 1.0
	v_fmac_f64_e32 v[190:191], v[190:191], v[194:195]
	v_mul_f64 v[194:195], v[192:193], v[190:191]
	v_fma_f64 v[188:189], -v[188:189], v[194:195], v[192:193]
	v_div_fmas_f64 v[188:189], v[188:189], v[190:191], v[194:195]
	v_div_fixup_f64 v[188:189], v[188:189], v[172:173], v[174:175]
	v_fmac_f64_e32 v[172:173], v[174:175], v[188:189]
	v_div_scale_f64 v[174:175], s[18:19], v[172:173], v[172:173], 1.0
	v_rcp_f64_e32 v[190:191], v[174:175]
	s_nop 0
	v_fma_f64 v[192:193], -v[174:175], v[190:191], 1.0
	v_fmac_f64_e32 v[190:191], v[190:191], v[192:193]
	v_fma_f64 v[192:193], -v[174:175], v[190:191], 1.0
	v_fmac_f64_e32 v[190:191], v[190:191], v[192:193]
	v_div_scale_f64 v[192:193], vcc, 1.0, v[172:173], 1.0
	v_mul_f64 v[194:195], v[192:193], v[190:191]
	v_fma_f64 v[174:175], -v[174:175], v[194:195], v[192:193]
	s_nop 1
	v_div_fmas_f64 v[174:175], v[174:175], v[190:191], v[194:195]
	v_div_fixup_f64 v[172:173], v[174:175], v[172:173], 1.0
	v_mul_f64 v[174:175], v[188:189], -v[172:173]
.LBB84_177:
	s_or_b64 exec, exec, s[16:17]
.LBB84_178:
	s_or_b64 exec, exec, s[0:1]
	v_cmp_ne_u32_e32 vcc, v185, v182
	s_and_saveexec_b64 s[0:1], vcc
	s_xor_b64 s[0:1], exec, s[0:1]
	s_cbranch_execz .LBB84_184
; %bb.179:
	v_cmp_eq_u32_e32 vcc, 8, v185
	s_and_saveexec_b64 s[16:17], vcc
	s_cbranch_execz .LBB84_183
; %bb.180:
	v_cmp_ne_u32_e32 vcc, 8, v182
	s_xor_b64 s[18:19], s[14:15], -1
	s_and_b64 s[22:23], s[18:19], vcc
	s_and_saveexec_b64 s[18:19], s[22:23]
	s_cbranch_execz .LBB84_182
; %bb.181:
	v_ashrrev_i32_e32 v183, 31, v182
	v_lshl_add_u64 v[188:189], v[182:183], 2, v[180:181]
	global_load_dword v183, v[188:189], off
	global_load_dword v185, v[180:181], off offset:32
	s_waitcnt vmcnt(1)
	global_store_dword v[180:181], v183, off offset:32
	s_waitcnt vmcnt(1)
	global_store_dword v[188:189], v185, off
.LBB84_182:
	s_or_b64 exec, exec, s[18:19]
	v_mov_b32_e32 v185, v182
	v_mov_b32_e32 v187, v182
.LBB84_183:
	s_or_b64 exec, exec, s[16:17]
.LBB84_184:
	s_andn2_saveexec_b64 s[0:1], s[0:1]
	s_cbranch_execz .LBB84_186
; %bb.185:
	v_mov_b32_e32 v185, 8
	s_waitcnt vmcnt(33)
	ds_write2_b64 v184, v[136:137], v[138:139] offset0:18 offset1:19
	s_waitcnt vmcnt(32)
	ds_write2_b64 v184, v[132:133], v[134:135] offset0:20 offset1:21
	;; [unrolled: 2-line block ×34, first 2 shown]
.LBB84_186:
	s_or_b64 exec, exec, s[0:1]
	v_cmp_lt_i32_e32 vcc, 8, v185
	s_waitcnt lgkmcnt(0)
	s_barrier
	s_and_saveexec_b64 s[0:1], vcc
	s_cbranch_execz .LBB84_188
; %bb.187:
	ds_read2_b64 v[188:191], v184 offset0:18 offset1:19
	v_mul_f64 v[182:183], v[174:175], v[142:143]
	v_mul_f64 v[142:143], v[172:173], v[142:143]
	v_fma_f64 v[182:183], v[172:173], v[140:141], -v[182:183]
	v_fmac_f64_e32 v[142:143], v[174:175], v[140:141]
	ds_read2_b64 v[172:175], v184 offset0:20 offset1:21
	s_waitcnt lgkmcnt(1)
	v_mul_f64 v[140:141], v[190:191], v[142:143]
	v_fma_f64 v[140:141], v[188:189], v[182:183], -v[140:141]
	v_mul_f64 v[188:189], v[188:189], v[142:143]
	v_fmac_f64_e32 v[188:189], v[190:191], v[182:183]
	s_waitcnt vmcnt(33)
	v_add_f64 v[136:137], v[136:137], -v[140:141]
	s_waitcnt lgkmcnt(0)
	v_mul_f64 v[140:141], v[174:175], v[142:143]
	v_add_f64 v[138:139], v[138:139], -v[188:189]
	v_fma_f64 v[140:141], v[172:173], v[182:183], -v[140:141]
	v_mul_f64 v[172:173], v[172:173], v[142:143]
	ds_read2_b64 v[188:191], v184 offset0:22 offset1:23
	v_fmac_f64_e32 v[172:173], v[174:175], v[182:183]
	s_waitcnt vmcnt(32)
	v_add_f64 v[134:135], v[134:135], -v[172:173]
	ds_read2_b64 v[172:175], v184 offset0:24 offset1:25
	v_add_f64 v[132:133], v[132:133], -v[140:141]
	s_waitcnt lgkmcnt(1)
	v_mul_f64 v[140:141], v[190:191], v[142:143]
	v_fma_f64 v[140:141], v[188:189], v[182:183], -v[140:141]
	v_mul_f64 v[188:189], v[188:189], v[142:143]
	v_fmac_f64_e32 v[188:189], v[190:191], v[182:183]
	s_waitcnt vmcnt(31)
	v_add_f64 v[128:129], v[128:129], -v[140:141]
	s_waitcnt lgkmcnt(0)
	v_mul_f64 v[140:141], v[174:175], v[142:143]
	v_add_f64 v[130:131], v[130:131], -v[188:189]
	v_fma_f64 v[140:141], v[172:173], v[182:183], -v[140:141]
	v_mul_f64 v[172:173], v[172:173], v[142:143]
	ds_read2_b64 v[188:191], v184 offset0:26 offset1:27
	v_fmac_f64_e32 v[172:173], v[174:175], v[182:183]
	s_waitcnt vmcnt(30)
	v_add_f64 v[126:127], v[126:127], -v[172:173]
	ds_read2_b64 v[172:175], v184 offset0:28 offset1:29
	v_add_f64 v[124:125], v[124:125], -v[140:141]
	;; [unrolled: 18-line block ×16, first 2 shown]
	s_waitcnt lgkmcnt(1)
	v_mul_f64 v[140:141], v[190:191], v[142:143]
	v_fma_f64 v[140:141], v[188:189], v[182:183], -v[140:141]
	s_waitcnt vmcnt(1)
	v_add_f64 v[0:1], v[0:1], -v[140:141]
	s_waitcnt lgkmcnt(0)
	v_mul_f64 v[140:141], v[174:175], v[142:143]
	v_mul_f64 v[188:189], v[188:189], v[142:143]
	v_fma_f64 v[140:141], v[172:173], v[182:183], -v[140:141]
	v_mul_f64 v[172:173], v[172:173], v[142:143]
	v_fmac_f64_e32 v[188:189], v[190:191], v[182:183]
	v_fmac_f64_e32 v[172:173], v[174:175], v[182:183]
	v_add_f64 v[2:3], v[2:3], -v[188:189]
	s_waitcnt vmcnt(0)
	v_add_f64 v[168:169], v[168:169], -v[140:141]
	v_add_f64 v[170:171], v[170:171], -v[172:173]
	v_mov_b64_e32 v[140:141], v[182:183]
.LBB84_188:
	s_or_b64 exec, exec, s[0:1]
	v_lshl_add_u32 v172, v185, 4, v184
	s_barrier
	s_waitcnt vmcnt(33)
	ds_write2_b64 v172, v[136:137], v[138:139] offset1:1
	s_waitcnt lgkmcnt(0)
	s_barrier
	ds_read2_b64 v[172:175], v184 offset0:18 offset1:19
	s_cmp_lt_i32 s20, 11
	v_mov_b32_e32 v182, 9
	s_cbranch_scc1 .LBB84_191
; %bb.189:
	v_add_u32_e32 v183, 0xa0, v184
	s_mov_b32 s16, 10
	v_mov_b32_e32 v182, 9
.LBB84_190:                             ; =>This Inner Loop Header: Depth=1
	ds_read2_b64 v[188:191], v183 offset1:1
	s_waitcnt lgkmcnt(1)
	v_xor_b32_e32 v193, 0x80000000, v173
	v_xor_b32_e32 v195, 0x80000000, v175
	v_cmp_gt_f64_e32 vcc, 0, v[174:175]
	v_cmp_gt_f64_e64 s[0:1], 0, v[172:173]
	v_mov_b32_e32 v192, v172
	v_mov_b32_e32 v194, v174
	v_cndmask_b32_e64 v193, v173, v193, s[0:1]
	v_cndmask_b32_e32 v195, v175, v195, vcc
	v_add_f64 v[192:193], v[192:193], v[194:195]
	s_waitcnt lgkmcnt(0)
	v_xor_b32_e32 v195, 0x80000000, v189
	v_xor_b32_e32 v197, 0x80000000, v191
	v_cmp_gt_f64_e32 vcc, 0, v[190:191]
	v_cmp_gt_f64_e64 s[0:1], 0, v[188:189]
	v_mov_b32_e32 v194, v188
	v_mov_b32_e32 v196, v190
	v_cndmask_b32_e64 v195, v189, v195, s[0:1]
	v_cndmask_b32_e32 v197, v191, v197, vcc
	v_add_f64 v[194:195], v[194:195], v[196:197]
	v_mov_b32_e32 v198, s16
	s_add_i32 s16, s16, 1
	v_cmp_lt_f64_e32 vcc, v[192:193], v[194:195]
	v_add_u32_e32 v183, 16, v183
	s_cmp_lg_u32 s20, s16
	v_cndmask_b32_e32 v173, v173, v189, vcc
	v_cndmask_b32_e32 v172, v172, v188, vcc
	;; [unrolled: 1-line block ×5, first 2 shown]
	s_cbranch_scc1 .LBB84_190
.LBB84_191:
	s_waitcnt lgkmcnt(0)
	v_cmp_eq_f64_e32 vcc, 0, v[172:173]
	v_cmp_eq_f64_e64 s[0:1], 0, v[174:175]
	s_and_b64 s[0:1], vcc, s[0:1]
	s_and_saveexec_b64 s[16:17], s[0:1]
	s_xor_b64 s[0:1], exec, s[16:17]
; %bb.192:
	v_cmp_ne_u32_e32 vcc, 0, v186
	s_nop 1
	v_cndmask_b32_e32 v186, 10, v186, vcc
; %bb.193:
	s_andn2_saveexec_b64 s[0:1], s[0:1]
	s_cbranch_execz .LBB84_199
; %bb.194:
	v_cmp_ngt_f64_e64 s[16:17], |v[172:173]|, |v[174:175]|
	s_and_saveexec_b64 s[18:19], s[16:17]
	s_xor_b64 s[16:17], exec, s[18:19]
	s_cbranch_execz .LBB84_196
; %bb.195:
	v_div_scale_f64 v[188:189], s[18:19], v[174:175], v[174:175], v[172:173]
	v_rcp_f64_e32 v[190:191], v[188:189]
	v_div_scale_f64 v[192:193], vcc, v[172:173], v[174:175], v[172:173]
	v_fma_f64 v[194:195], -v[188:189], v[190:191], 1.0
	v_fmac_f64_e32 v[190:191], v[190:191], v[194:195]
	v_fma_f64 v[194:195], -v[188:189], v[190:191], 1.0
	v_fmac_f64_e32 v[190:191], v[190:191], v[194:195]
	v_mul_f64 v[194:195], v[192:193], v[190:191]
	v_fma_f64 v[188:189], -v[188:189], v[194:195], v[192:193]
	v_div_fmas_f64 v[188:189], v[188:189], v[190:191], v[194:195]
	v_div_fixup_f64 v[188:189], v[188:189], v[174:175], v[172:173]
	v_fmac_f64_e32 v[174:175], v[172:173], v[188:189]
	v_div_scale_f64 v[172:173], s[18:19], v[174:175], v[174:175], 1.0
	v_rcp_f64_e32 v[190:191], v[172:173]
	s_nop 0
	v_fma_f64 v[192:193], -v[172:173], v[190:191], 1.0
	v_fmac_f64_e32 v[190:191], v[190:191], v[192:193]
	v_fma_f64 v[192:193], -v[172:173], v[190:191], 1.0
	v_fmac_f64_e32 v[190:191], v[190:191], v[192:193]
	v_div_scale_f64 v[192:193], vcc, 1.0, v[174:175], 1.0
	v_mul_f64 v[194:195], v[192:193], v[190:191]
	v_fma_f64 v[172:173], -v[172:173], v[194:195], v[192:193]
	s_nop 1
	v_div_fmas_f64 v[172:173], v[172:173], v[190:191], v[194:195]
	v_div_fixup_f64 v[174:175], v[172:173], v[174:175], 1.0
	v_mul_f64 v[172:173], v[188:189], v[174:175]
	v_xor_b32_e32 v175, 0x80000000, v175
.LBB84_196:
	s_andn2_saveexec_b64 s[16:17], s[16:17]
	s_cbranch_execz .LBB84_198
; %bb.197:
	v_div_scale_f64 v[188:189], s[18:19], v[172:173], v[172:173], v[174:175]
	v_rcp_f64_e32 v[190:191], v[188:189]
	v_div_scale_f64 v[192:193], vcc, v[174:175], v[172:173], v[174:175]
	v_fma_f64 v[194:195], -v[188:189], v[190:191], 1.0
	v_fmac_f64_e32 v[190:191], v[190:191], v[194:195]
	v_fma_f64 v[194:195], -v[188:189], v[190:191], 1.0
	v_fmac_f64_e32 v[190:191], v[190:191], v[194:195]
	v_mul_f64 v[194:195], v[192:193], v[190:191]
	v_fma_f64 v[188:189], -v[188:189], v[194:195], v[192:193]
	v_div_fmas_f64 v[188:189], v[188:189], v[190:191], v[194:195]
	v_div_fixup_f64 v[188:189], v[188:189], v[172:173], v[174:175]
	v_fmac_f64_e32 v[172:173], v[174:175], v[188:189]
	v_div_scale_f64 v[174:175], s[18:19], v[172:173], v[172:173], 1.0
	v_rcp_f64_e32 v[190:191], v[174:175]
	s_nop 0
	v_fma_f64 v[192:193], -v[174:175], v[190:191], 1.0
	v_fmac_f64_e32 v[190:191], v[190:191], v[192:193]
	v_fma_f64 v[192:193], -v[174:175], v[190:191], 1.0
	v_fmac_f64_e32 v[190:191], v[190:191], v[192:193]
	v_div_scale_f64 v[192:193], vcc, 1.0, v[172:173], 1.0
	v_mul_f64 v[194:195], v[192:193], v[190:191]
	v_fma_f64 v[174:175], -v[174:175], v[194:195], v[192:193]
	s_nop 1
	v_div_fmas_f64 v[174:175], v[174:175], v[190:191], v[194:195]
	v_div_fixup_f64 v[172:173], v[174:175], v[172:173], 1.0
	v_mul_f64 v[174:175], v[188:189], -v[172:173]
.LBB84_198:
	s_or_b64 exec, exec, s[16:17]
.LBB84_199:
	s_or_b64 exec, exec, s[0:1]
	v_cmp_ne_u32_e32 vcc, v185, v182
	s_and_saveexec_b64 s[0:1], vcc
	s_xor_b64 s[0:1], exec, s[0:1]
	s_cbranch_execz .LBB84_205
; %bb.200:
	v_cmp_eq_u32_e32 vcc, 9, v185
	s_and_saveexec_b64 s[16:17], vcc
	s_cbranch_execz .LBB84_204
; %bb.201:
	v_cmp_ne_u32_e32 vcc, 9, v182
	s_xor_b64 s[18:19], s[14:15], -1
	s_and_b64 s[22:23], s[18:19], vcc
	s_and_saveexec_b64 s[18:19], s[22:23]
	s_cbranch_execz .LBB84_203
; %bb.202:
	v_ashrrev_i32_e32 v183, 31, v182
	v_lshl_add_u64 v[188:189], v[182:183], 2, v[180:181]
	global_load_dword v183, v[188:189], off
	global_load_dword v185, v[180:181], off offset:36
	s_waitcnt vmcnt(1)
	global_store_dword v[180:181], v183, off offset:36
	s_waitcnt vmcnt(1)
	global_store_dword v[188:189], v185, off
.LBB84_203:
	s_or_b64 exec, exec, s[18:19]
	v_mov_b32_e32 v185, v182
	v_mov_b32_e32 v187, v182
.LBB84_204:
	s_or_b64 exec, exec, s[16:17]
.LBB84_205:
	s_andn2_saveexec_b64 s[0:1], s[0:1]
	s_cbranch_execz .LBB84_207
; %bb.206:
	v_mov_b32_e32 v185, 9
	s_waitcnt vmcnt(32)
	ds_write2_b64 v184, v[132:133], v[134:135] offset0:20 offset1:21
	s_waitcnt vmcnt(31)
	ds_write2_b64 v184, v[128:129], v[130:131] offset0:22 offset1:23
	;; [unrolled: 2-line block ×33, first 2 shown]
.LBB84_207:
	s_or_b64 exec, exec, s[0:1]
	v_cmp_lt_i32_e32 vcc, 9, v185
	s_waitcnt lgkmcnt(0)
	s_barrier
	s_and_saveexec_b64 s[0:1], vcc
	s_cbranch_execz .LBB84_209
; %bb.208:
	ds_read2_b64 v[188:191], v184 offset0:20 offset1:21
	v_mul_f64 v[182:183], v[174:175], v[138:139]
	v_mul_f64 v[138:139], v[172:173], v[138:139]
	v_fmac_f64_e32 v[138:139], v[174:175], v[136:137]
	v_fma_f64 v[182:183], v[172:173], v[136:137], -v[182:183]
	ds_read2_b64 v[172:175], v184 offset0:22 offset1:23
	s_waitcnt lgkmcnt(1)
	v_mul_f64 v[136:137], v[190:191], v[138:139]
	v_fma_f64 v[136:137], v[188:189], v[182:183], -v[136:137]
	v_mul_f64 v[188:189], v[188:189], v[138:139]
	v_fmac_f64_e32 v[188:189], v[190:191], v[182:183]
	s_waitcnt vmcnt(32)
	v_add_f64 v[134:135], v[134:135], -v[188:189]
	ds_read2_b64 v[188:191], v184 offset0:24 offset1:25
	v_add_f64 v[132:133], v[132:133], -v[136:137]
	s_waitcnt lgkmcnt(1)
	v_mul_f64 v[136:137], v[174:175], v[138:139]
	v_fma_f64 v[136:137], v[172:173], v[182:183], -v[136:137]
	v_mul_f64 v[172:173], v[172:173], v[138:139]
	v_fmac_f64_e32 v[172:173], v[174:175], v[182:183]
	s_waitcnt vmcnt(31)
	v_add_f64 v[128:129], v[128:129], -v[136:137]
	v_add_f64 v[130:131], v[130:131], -v[172:173]
	ds_read2_b64 v[172:175], v184 offset0:26 offset1:27
	s_waitcnt lgkmcnt(1)
	v_mul_f64 v[136:137], v[190:191], v[138:139]
	v_fma_f64 v[136:137], v[188:189], v[182:183], -v[136:137]
	v_mul_f64 v[188:189], v[188:189], v[138:139]
	v_fmac_f64_e32 v[188:189], v[190:191], v[182:183]
	s_waitcnt vmcnt(30)
	v_add_f64 v[126:127], v[126:127], -v[188:189]
	ds_read2_b64 v[188:191], v184 offset0:28 offset1:29
	v_add_f64 v[124:125], v[124:125], -v[136:137]
	s_waitcnt lgkmcnt(1)
	v_mul_f64 v[136:137], v[174:175], v[138:139]
	v_fma_f64 v[136:137], v[172:173], v[182:183], -v[136:137]
	v_mul_f64 v[172:173], v[172:173], v[138:139]
	v_fmac_f64_e32 v[172:173], v[174:175], v[182:183]
	s_waitcnt vmcnt(29)
	v_add_f64 v[120:121], v[120:121], -v[136:137]
	v_add_f64 v[122:123], v[122:123], -v[172:173]
	;; [unrolled: 18-line block ×16, first 2 shown]
	s_waitcnt lgkmcnt(0)
	v_mul_f64 v[136:137], v[190:191], v[138:139]
	v_mul_f64 v[172:173], v[188:189], v[138:139]
	v_fma_f64 v[136:137], v[188:189], v[182:183], -v[136:137]
	v_fmac_f64_e32 v[172:173], v[190:191], v[182:183]
	s_waitcnt vmcnt(0)
	v_add_f64 v[168:169], v[168:169], -v[136:137]
	v_add_f64 v[170:171], v[170:171], -v[172:173]
	v_mov_b64_e32 v[136:137], v[182:183]
.LBB84_209:
	s_or_b64 exec, exec, s[0:1]
	v_lshl_add_u32 v172, v185, 4, v184
	s_barrier
	s_waitcnt vmcnt(32)
	ds_write2_b64 v172, v[132:133], v[134:135] offset1:1
	s_waitcnt lgkmcnt(0)
	s_barrier
	ds_read2_b64 v[172:175], v184 offset0:20 offset1:21
	s_cmp_lt_i32 s20, 12
	v_mov_b32_e32 v182, 10
	s_cbranch_scc1 .LBB84_212
; %bb.210:
	v_add_u32_e32 v183, 0xb0, v184
	s_mov_b32 s16, 11
	v_mov_b32_e32 v182, 10
.LBB84_211:                             ; =>This Inner Loop Header: Depth=1
	ds_read2_b64 v[188:191], v183 offset1:1
	s_waitcnt lgkmcnt(1)
	v_xor_b32_e32 v193, 0x80000000, v173
	v_xor_b32_e32 v195, 0x80000000, v175
	v_cmp_gt_f64_e32 vcc, 0, v[174:175]
	v_cmp_gt_f64_e64 s[0:1], 0, v[172:173]
	v_mov_b32_e32 v192, v172
	v_mov_b32_e32 v194, v174
	v_cndmask_b32_e64 v193, v173, v193, s[0:1]
	v_cndmask_b32_e32 v195, v175, v195, vcc
	v_add_f64 v[192:193], v[192:193], v[194:195]
	s_waitcnt lgkmcnt(0)
	v_xor_b32_e32 v195, 0x80000000, v189
	v_xor_b32_e32 v197, 0x80000000, v191
	v_cmp_gt_f64_e32 vcc, 0, v[190:191]
	v_cmp_gt_f64_e64 s[0:1], 0, v[188:189]
	v_mov_b32_e32 v194, v188
	v_mov_b32_e32 v196, v190
	v_cndmask_b32_e64 v195, v189, v195, s[0:1]
	v_cndmask_b32_e32 v197, v191, v197, vcc
	v_add_f64 v[194:195], v[194:195], v[196:197]
	v_mov_b32_e32 v198, s16
	s_add_i32 s16, s16, 1
	v_cmp_lt_f64_e32 vcc, v[192:193], v[194:195]
	v_add_u32_e32 v183, 16, v183
	s_cmp_lg_u32 s20, s16
	v_cndmask_b32_e32 v173, v173, v189, vcc
	v_cndmask_b32_e32 v172, v172, v188, vcc
	;; [unrolled: 1-line block ×5, first 2 shown]
	s_cbranch_scc1 .LBB84_211
.LBB84_212:
	s_waitcnt lgkmcnt(0)
	v_cmp_eq_f64_e32 vcc, 0, v[172:173]
	v_cmp_eq_f64_e64 s[0:1], 0, v[174:175]
	s_and_b64 s[0:1], vcc, s[0:1]
	s_and_saveexec_b64 s[16:17], s[0:1]
	s_xor_b64 s[0:1], exec, s[16:17]
; %bb.213:
	v_cmp_ne_u32_e32 vcc, 0, v186
	s_nop 1
	v_cndmask_b32_e32 v186, 11, v186, vcc
; %bb.214:
	s_andn2_saveexec_b64 s[0:1], s[0:1]
	s_cbranch_execz .LBB84_220
; %bb.215:
	v_cmp_ngt_f64_e64 s[16:17], |v[172:173]|, |v[174:175]|
	s_and_saveexec_b64 s[18:19], s[16:17]
	s_xor_b64 s[16:17], exec, s[18:19]
	s_cbranch_execz .LBB84_217
; %bb.216:
	v_div_scale_f64 v[188:189], s[18:19], v[174:175], v[174:175], v[172:173]
	v_rcp_f64_e32 v[190:191], v[188:189]
	v_div_scale_f64 v[192:193], vcc, v[172:173], v[174:175], v[172:173]
	v_fma_f64 v[194:195], -v[188:189], v[190:191], 1.0
	v_fmac_f64_e32 v[190:191], v[190:191], v[194:195]
	v_fma_f64 v[194:195], -v[188:189], v[190:191], 1.0
	v_fmac_f64_e32 v[190:191], v[190:191], v[194:195]
	v_mul_f64 v[194:195], v[192:193], v[190:191]
	v_fma_f64 v[188:189], -v[188:189], v[194:195], v[192:193]
	v_div_fmas_f64 v[188:189], v[188:189], v[190:191], v[194:195]
	v_div_fixup_f64 v[188:189], v[188:189], v[174:175], v[172:173]
	v_fmac_f64_e32 v[174:175], v[172:173], v[188:189]
	v_div_scale_f64 v[172:173], s[18:19], v[174:175], v[174:175], 1.0
	v_rcp_f64_e32 v[190:191], v[172:173]
	s_nop 0
	v_fma_f64 v[192:193], -v[172:173], v[190:191], 1.0
	v_fmac_f64_e32 v[190:191], v[190:191], v[192:193]
	v_fma_f64 v[192:193], -v[172:173], v[190:191], 1.0
	v_fmac_f64_e32 v[190:191], v[190:191], v[192:193]
	v_div_scale_f64 v[192:193], vcc, 1.0, v[174:175], 1.0
	v_mul_f64 v[194:195], v[192:193], v[190:191]
	v_fma_f64 v[172:173], -v[172:173], v[194:195], v[192:193]
	s_nop 1
	v_div_fmas_f64 v[172:173], v[172:173], v[190:191], v[194:195]
	v_div_fixup_f64 v[174:175], v[172:173], v[174:175], 1.0
	v_mul_f64 v[172:173], v[188:189], v[174:175]
	v_xor_b32_e32 v175, 0x80000000, v175
.LBB84_217:
	s_andn2_saveexec_b64 s[16:17], s[16:17]
	s_cbranch_execz .LBB84_219
; %bb.218:
	v_div_scale_f64 v[188:189], s[18:19], v[172:173], v[172:173], v[174:175]
	v_rcp_f64_e32 v[190:191], v[188:189]
	v_div_scale_f64 v[192:193], vcc, v[174:175], v[172:173], v[174:175]
	v_fma_f64 v[194:195], -v[188:189], v[190:191], 1.0
	v_fmac_f64_e32 v[190:191], v[190:191], v[194:195]
	v_fma_f64 v[194:195], -v[188:189], v[190:191], 1.0
	v_fmac_f64_e32 v[190:191], v[190:191], v[194:195]
	v_mul_f64 v[194:195], v[192:193], v[190:191]
	v_fma_f64 v[188:189], -v[188:189], v[194:195], v[192:193]
	v_div_fmas_f64 v[188:189], v[188:189], v[190:191], v[194:195]
	v_div_fixup_f64 v[188:189], v[188:189], v[172:173], v[174:175]
	v_fmac_f64_e32 v[172:173], v[174:175], v[188:189]
	v_div_scale_f64 v[174:175], s[18:19], v[172:173], v[172:173], 1.0
	v_rcp_f64_e32 v[190:191], v[174:175]
	s_nop 0
	v_fma_f64 v[192:193], -v[174:175], v[190:191], 1.0
	v_fmac_f64_e32 v[190:191], v[190:191], v[192:193]
	v_fma_f64 v[192:193], -v[174:175], v[190:191], 1.0
	v_fmac_f64_e32 v[190:191], v[190:191], v[192:193]
	v_div_scale_f64 v[192:193], vcc, 1.0, v[172:173], 1.0
	v_mul_f64 v[194:195], v[192:193], v[190:191]
	v_fma_f64 v[174:175], -v[174:175], v[194:195], v[192:193]
	s_nop 1
	v_div_fmas_f64 v[174:175], v[174:175], v[190:191], v[194:195]
	v_div_fixup_f64 v[172:173], v[174:175], v[172:173], 1.0
	v_mul_f64 v[174:175], v[188:189], -v[172:173]
.LBB84_219:
	s_or_b64 exec, exec, s[16:17]
.LBB84_220:
	s_or_b64 exec, exec, s[0:1]
	v_cmp_ne_u32_e32 vcc, v185, v182
	s_and_saveexec_b64 s[0:1], vcc
	s_xor_b64 s[0:1], exec, s[0:1]
	s_cbranch_execz .LBB84_226
; %bb.221:
	v_cmp_eq_u32_e32 vcc, 10, v185
	s_and_saveexec_b64 s[16:17], vcc
	s_cbranch_execz .LBB84_225
; %bb.222:
	v_cmp_ne_u32_e32 vcc, 10, v182
	s_xor_b64 s[18:19], s[14:15], -1
	s_and_b64 s[22:23], s[18:19], vcc
	s_and_saveexec_b64 s[18:19], s[22:23]
	s_cbranch_execz .LBB84_224
; %bb.223:
	v_ashrrev_i32_e32 v183, 31, v182
	v_lshl_add_u64 v[188:189], v[182:183], 2, v[180:181]
	global_load_dword v183, v[188:189], off
	global_load_dword v185, v[180:181], off offset:40
	s_waitcnt vmcnt(1)
	global_store_dword v[180:181], v183, off offset:40
	s_waitcnt vmcnt(1)
	global_store_dword v[188:189], v185, off
.LBB84_224:
	s_or_b64 exec, exec, s[18:19]
	v_mov_b32_e32 v185, v182
	v_mov_b32_e32 v187, v182
.LBB84_225:
	s_or_b64 exec, exec, s[16:17]
.LBB84_226:
	s_andn2_saveexec_b64 s[0:1], s[0:1]
	s_cbranch_execz .LBB84_228
; %bb.227:
	v_mov_b32_e32 v185, 10
	s_waitcnt vmcnt(31)
	ds_write2_b64 v184, v[128:129], v[130:131] offset0:22 offset1:23
	s_waitcnt vmcnt(30)
	ds_write2_b64 v184, v[124:125], v[126:127] offset0:24 offset1:25
	;; [unrolled: 2-line block ×32, first 2 shown]
.LBB84_228:
	s_or_b64 exec, exec, s[0:1]
	v_cmp_lt_i32_e32 vcc, 10, v185
	s_waitcnt lgkmcnt(0)
	s_barrier
	s_and_saveexec_b64 s[0:1], vcc
	s_cbranch_execz .LBB84_230
; %bb.229:
	ds_read2_b64 v[188:191], v184 offset0:22 offset1:23
	v_mul_f64 v[182:183], v[174:175], v[134:135]
	v_mul_f64 v[134:135], v[172:173], v[134:135]
	v_fma_f64 v[182:183], v[172:173], v[132:133], -v[182:183]
	v_fmac_f64_e32 v[134:135], v[174:175], v[132:133]
	ds_read2_b64 v[172:175], v184 offset0:24 offset1:25
	s_waitcnt lgkmcnt(1)
	v_mul_f64 v[132:133], v[190:191], v[134:135]
	v_fma_f64 v[132:133], v[188:189], v[182:183], -v[132:133]
	v_mul_f64 v[188:189], v[188:189], v[134:135]
	v_fmac_f64_e32 v[188:189], v[190:191], v[182:183]
	s_waitcnt vmcnt(31)
	v_add_f64 v[128:129], v[128:129], -v[132:133]
	s_waitcnt lgkmcnt(0)
	v_mul_f64 v[132:133], v[174:175], v[134:135]
	v_add_f64 v[130:131], v[130:131], -v[188:189]
	v_fma_f64 v[132:133], v[172:173], v[182:183], -v[132:133]
	v_mul_f64 v[172:173], v[172:173], v[134:135]
	ds_read2_b64 v[188:191], v184 offset0:26 offset1:27
	v_fmac_f64_e32 v[172:173], v[174:175], v[182:183]
	s_waitcnt vmcnt(30)
	v_add_f64 v[126:127], v[126:127], -v[172:173]
	ds_read2_b64 v[172:175], v184 offset0:28 offset1:29
	v_add_f64 v[124:125], v[124:125], -v[132:133]
	s_waitcnt lgkmcnt(1)
	v_mul_f64 v[132:133], v[190:191], v[134:135]
	v_fma_f64 v[132:133], v[188:189], v[182:183], -v[132:133]
	v_mul_f64 v[188:189], v[188:189], v[134:135]
	v_fmac_f64_e32 v[188:189], v[190:191], v[182:183]
	s_waitcnt vmcnt(29)
	v_add_f64 v[120:121], v[120:121], -v[132:133]
	s_waitcnt lgkmcnt(0)
	v_mul_f64 v[132:133], v[174:175], v[134:135]
	v_add_f64 v[122:123], v[122:123], -v[188:189]
	v_fma_f64 v[132:133], v[172:173], v[182:183], -v[132:133]
	v_mul_f64 v[172:173], v[172:173], v[134:135]
	ds_read2_b64 v[188:191], v184 offset0:30 offset1:31
	v_fmac_f64_e32 v[172:173], v[174:175], v[182:183]
	s_waitcnt vmcnt(28)
	v_add_f64 v[118:119], v[118:119], -v[172:173]
	ds_read2_b64 v[172:175], v184 offset0:32 offset1:33
	v_add_f64 v[116:117], v[116:117], -v[132:133]
	;; [unrolled: 18-line block ×15, first 2 shown]
	s_waitcnt lgkmcnt(1)
	v_mul_f64 v[132:133], v[190:191], v[134:135]
	v_fma_f64 v[132:133], v[188:189], v[182:183], -v[132:133]
	s_waitcnt vmcnt(1)
	v_add_f64 v[0:1], v[0:1], -v[132:133]
	s_waitcnt lgkmcnt(0)
	v_mul_f64 v[132:133], v[174:175], v[134:135]
	v_mul_f64 v[188:189], v[188:189], v[134:135]
	v_fma_f64 v[132:133], v[172:173], v[182:183], -v[132:133]
	v_mul_f64 v[172:173], v[172:173], v[134:135]
	v_fmac_f64_e32 v[188:189], v[190:191], v[182:183]
	v_fmac_f64_e32 v[172:173], v[174:175], v[182:183]
	v_add_f64 v[2:3], v[2:3], -v[188:189]
	s_waitcnt vmcnt(0)
	v_add_f64 v[168:169], v[168:169], -v[132:133]
	v_add_f64 v[170:171], v[170:171], -v[172:173]
	v_mov_b64_e32 v[132:133], v[182:183]
.LBB84_230:
	s_or_b64 exec, exec, s[0:1]
	v_lshl_add_u32 v172, v185, 4, v184
	s_barrier
	s_waitcnt vmcnt(31)
	ds_write2_b64 v172, v[128:129], v[130:131] offset1:1
	s_waitcnt lgkmcnt(0)
	s_barrier
	ds_read2_b64 v[172:175], v184 offset0:22 offset1:23
	s_cmp_lt_i32 s20, 13
	v_mov_b32_e32 v182, 11
	s_cbranch_scc1 .LBB84_233
; %bb.231:
	v_add_u32_e32 v183, 0xc0, v184
	s_mov_b32 s16, 12
	v_mov_b32_e32 v182, 11
.LBB84_232:                             ; =>This Inner Loop Header: Depth=1
	ds_read2_b64 v[188:191], v183 offset1:1
	s_waitcnt lgkmcnt(1)
	v_xor_b32_e32 v193, 0x80000000, v173
	v_xor_b32_e32 v195, 0x80000000, v175
	v_cmp_gt_f64_e32 vcc, 0, v[174:175]
	v_cmp_gt_f64_e64 s[0:1], 0, v[172:173]
	v_mov_b32_e32 v192, v172
	v_mov_b32_e32 v194, v174
	v_cndmask_b32_e64 v193, v173, v193, s[0:1]
	v_cndmask_b32_e32 v195, v175, v195, vcc
	v_add_f64 v[192:193], v[192:193], v[194:195]
	s_waitcnt lgkmcnt(0)
	v_xor_b32_e32 v195, 0x80000000, v189
	v_xor_b32_e32 v197, 0x80000000, v191
	v_cmp_gt_f64_e32 vcc, 0, v[190:191]
	v_cmp_gt_f64_e64 s[0:1], 0, v[188:189]
	v_mov_b32_e32 v194, v188
	v_mov_b32_e32 v196, v190
	v_cndmask_b32_e64 v195, v189, v195, s[0:1]
	v_cndmask_b32_e32 v197, v191, v197, vcc
	v_add_f64 v[194:195], v[194:195], v[196:197]
	v_mov_b32_e32 v198, s16
	s_add_i32 s16, s16, 1
	v_cmp_lt_f64_e32 vcc, v[192:193], v[194:195]
	v_add_u32_e32 v183, 16, v183
	s_cmp_lg_u32 s20, s16
	v_cndmask_b32_e32 v173, v173, v189, vcc
	v_cndmask_b32_e32 v172, v172, v188, vcc
	;; [unrolled: 1-line block ×5, first 2 shown]
	s_cbranch_scc1 .LBB84_232
.LBB84_233:
	s_waitcnt lgkmcnt(0)
	v_cmp_eq_f64_e32 vcc, 0, v[172:173]
	v_cmp_eq_f64_e64 s[0:1], 0, v[174:175]
	s_and_b64 s[0:1], vcc, s[0:1]
	s_and_saveexec_b64 s[16:17], s[0:1]
	s_xor_b64 s[0:1], exec, s[16:17]
; %bb.234:
	v_cmp_ne_u32_e32 vcc, 0, v186
	s_nop 1
	v_cndmask_b32_e32 v186, 12, v186, vcc
; %bb.235:
	s_andn2_saveexec_b64 s[0:1], s[0:1]
	s_cbranch_execz .LBB84_241
; %bb.236:
	v_cmp_ngt_f64_e64 s[16:17], |v[172:173]|, |v[174:175]|
	s_and_saveexec_b64 s[18:19], s[16:17]
	s_xor_b64 s[16:17], exec, s[18:19]
	s_cbranch_execz .LBB84_238
; %bb.237:
	v_div_scale_f64 v[188:189], s[18:19], v[174:175], v[174:175], v[172:173]
	v_rcp_f64_e32 v[190:191], v[188:189]
	v_div_scale_f64 v[192:193], vcc, v[172:173], v[174:175], v[172:173]
	v_fma_f64 v[194:195], -v[188:189], v[190:191], 1.0
	v_fmac_f64_e32 v[190:191], v[190:191], v[194:195]
	v_fma_f64 v[194:195], -v[188:189], v[190:191], 1.0
	v_fmac_f64_e32 v[190:191], v[190:191], v[194:195]
	v_mul_f64 v[194:195], v[192:193], v[190:191]
	v_fma_f64 v[188:189], -v[188:189], v[194:195], v[192:193]
	v_div_fmas_f64 v[188:189], v[188:189], v[190:191], v[194:195]
	v_div_fixup_f64 v[188:189], v[188:189], v[174:175], v[172:173]
	v_fmac_f64_e32 v[174:175], v[172:173], v[188:189]
	v_div_scale_f64 v[172:173], s[18:19], v[174:175], v[174:175], 1.0
	v_rcp_f64_e32 v[190:191], v[172:173]
	s_nop 0
	v_fma_f64 v[192:193], -v[172:173], v[190:191], 1.0
	v_fmac_f64_e32 v[190:191], v[190:191], v[192:193]
	v_fma_f64 v[192:193], -v[172:173], v[190:191], 1.0
	v_fmac_f64_e32 v[190:191], v[190:191], v[192:193]
	v_div_scale_f64 v[192:193], vcc, 1.0, v[174:175], 1.0
	v_mul_f64 v[194:195], v[192:193], v[190:191]
	v_fma_f64 v[172:173], -v[172:173], v[194:195], v[192:193]
	s_nop 1
	v_div_fmas_f64 v[172:173], v[172:173], v[190:191], v[194:195]
	v_div_fixup_f64 v[174:175], v[172:173], v[174:175], 1.0
	v_mul_f64 v[172:173], v[188:189], v[174:175]
	v_xor_b32_e32 v175, 0x80000000, v175
.LBB84_238:
	s_andn2_saveexec_b64 s[16:17], s[16:17]
	s_cbranch_execz .LBB84_240
; %bb.239:
	v_div_scale_f64 v[188:189], s[18:19], v[172:173], v[172:173], v[174:175]
	v_rcp_f64_e32 v[190:191], v[188:189]
	v_div_scale_f64 v[192:193], vcc, v[174:175], v[172:173], v[174:175]
	v_fma_f64 v[194:195], -v[188:189], v[190:191], 1.0
	v_fmac_f64_e32 v[190:191], v[190:191], v[194:195]
	v_fma_f64 v[194:195], -v[188:189], v[190:191], 1.0
	v_fmac_f64_e32 v[190:191], v[190:191], v[194:195]
	v_mul_f64 v[194:195], v[192:193], v[190:191]
	v_fma_f64 v[188:189], -v[188:189], v[194:195], v[192:193]
	v_div_fmas_f64 v[188:189], v[188:189], v[190:191], v[194:195]
	v_div_fixup_f64 v[188:189], v[188:189], v[172:173], v[174:175]
	v_fmac_f64_e32 v[172:173], v[174:175], v[188:189]
	v_div_scale_f64 v[174:175], s[18:19], v[172:173], v[172:173], 1.0
	v_rcp_f64_e32 v[190:191], v[174:175]
	s_nop 0
	v_fma_f64 v[192:193], -v[174:175], v[190:191], 1.0
	v_fmac_f64_e32 v[190:191], v[190:191], v[192:193]
	v_fma_f64 v[192:193], -v[174:175], v[190:191], 1.0
	v_fmac_f64_e32 v[190:191], v[190:191], v[192:193]
	v_div_scale_f64 v[192:193], vcc, 1.0, v[172:173], 1.0
	v_mul_f64 v[194:195], v[192:193], v[190:191]
	v_fma_f64 v[174:175], -v[174:175], v[194:195], v[192:193]
	s_nop 1
	v_div_fmas_f64 v[174:175], v[174:175], v[190:191], v[194:195]
	v_div_fixup_f64 v[172:173], v[174:175], v[172:173], 1.0
	v_mul_f64 v[174:175], v[188:189], -v[172:173]
.LBB84_240:
	s_or_b64 exec, exec, s[16:17]
.LBB84_241:
	s_or_b64 exec, exec, s[0:1]
	v_cmp_ne_u32_e32 vcc, v185, v182
	s_and_saveexec_b64 s[0:1], vcc
	s_xor_b64 s[0:1], exec, s[0:1]
	s_cbranch_execz .LBB84_247
; %bb.242:
	v_cmp_eq_u32_e32 vcc, 11, v185
	s_and_saveexec_b64 s[16:17], vcc
	s_cbranch_execz .LBB84_246
; %bb.243:
	v_cmp_ne_u32_e32 vcc, 11, v182
	s_xor_b64 s[18:19], s[14:15], -1
	s_and_b64 s[22:23], s[18:19], vcc
	s_and_saveexec_b64 s[18:19], s[22:23]
	s_cbranch_execz .LBB84_245
; %bb.244:
	v_ashrrev_i32_e32 v183, 31, v182
	v_lshl_add_u64 v[188:189], v[182:183], 2, v[180:181]
	global_load_dword v183, v[188:189], off
	global_load_dword v185, v[180:181], off offset:44
	s_waitcnt vmcnt(1)
	global_store_dword v[180:181], v183, off offset:44
	s_waitcnt vmcnt(1)
	global_store_dword v[188:189], v185, off
.LBB84_245:
	s_or_b64 exec, exec, s[18:19]
	v_mov_b32_e32 v185, v182
	v_mov_b32_e32 v187, v182
.LBB84_246:
	s_or_b64 exec, exec, s[16:17]
.LBB84_247:
	s_andn2_saveexec_b64 s[0:1], s[0:1]
	s_cbranch_execz .LBB84_249
; %bb.248:
	v_mov_b32_e32 v185, 11
	s_waitcnt vmcnt(30)
	ds_write2_b64 v184, v[124:125], v[126:127] offset0:24 offset1:25
	s_waitcnt vmcnt(29)
	ds_write2_b64 v184, v[120:121], v[122:123] offset0:26 offset1:27
	s_waitcnt vmcnt(28)
	ds_write2_b64 v184, v[116:117], v[118:119] offset0:28 offset1:29
	s_waitcnt vmcnt(27)
	ds_write2_b64 v184, v[108:109], v[110:111] offset0:30 offset1:31
	s_waitcnt vmcnt(26)
	ds_write2_b64 v184, v[100:101], v[102:103] offset0:32 offset1:33
	s_waitcnt vmcnt(25)
	ds_write2_b64 v184, v[96:97], v[98:99] offset0:34 offset1:35
	s_waitcnt vmcnt(24)
	ds_write2_b64 v184, v[92:93], v[94:95] offset0:36 offset1:37
	s_waitcnt vmcnt(23)
	ds_write2_b64 v184, v[88:89], v[90:91] offset0:38 offset1:39
	s_waitcnt vmcnt(22)
	ds_write2_b64 v184, v[84:85], v[86:87] offset0:40 offset1:41
	s_waitcnt vmcnt(21)
	ds_write2_b64 v184, v[80:81], v[82:83] offset0:42 offset1:43
	s_waitcnt vmcnt(20)
	ds_write2_b64 v184, v[76:77], v[78:79] offset0:44 offset1:45
	s_waitcnt vmcnt(19)
	ds_write2_b64 v184, v[72:73], v[74:75] offset0:46 offset1:47
	s_waitcnt vmcnt(18)
	ds_write2_b64 v184, v[68:69], v[70:71] offset0:48 offset1:49
	s_waitcnt vmcnt(17)
	ds_write2_b64 v184, v[64:65], v[66:67] offset0:50 offset1:51
	s_waitcnt vmcnt(16)
	ds_write2_b64 v184, v[60:61], v[62:63] offset0:52 offset1:53
	s_waitcnt vmcnt(15)
	ds_write2_b64 v184, v[56:57], v[58:59] offset0:54 offset1:55
	s_waitcnt vmcnt(14)
	ds_write2_b64 v184, v[52:53], v[54:55] offset0:56 offset1:57
	s_waitcnt vmcnt(13)
	ds_write2_b64 v184, v[48:49], v[50:51] offset0:58 offset1:59
	s_waitcnt vmcnt(12)
	ds_write2_b64 v184, v[44:45], v[46:47] offset0:60 offset1:61
	s_waitcnt vmcnt(11)
	ds_write2_b64 v184, v[40:41], v[42:43] offset0:62 offset1:63
	s_waitcnt vmcnt(10)
	ds_write2_b64 v184, v[36:37], v[38:39] offset0:64 offset1:65
	s_waitcnt vmcnt(9)
	ds_write2_b64 v184, v[32:33], v[34:35] offset0:66 offset1:67
	s_waitcnt vmcnt(8)
	ds_write2_b64 v184, v[28:29], v[30:31] offset0:68 offset1:69
	s_waitcnt vmcnt(7)
	ds_write2_b64 v184, v[24:25], v[26:27] offset0:70 offset1:71
	s_waitcnt vmcnt(6)
	ds_write2_b64 v184, v[20:21], v[22:23] offset0:72 offset1:73
	s_waitcnt vmcnt(5)
	ds_write2_b64 v184, v[16:17], v[18:19] offset0:74 offset1:75
	s_waitcnt vmcnt(4)
	ds_write2_b64 v184, v[12:13], v[14:15] offset0:76 offset1:77
	s_waitcnt vmcnt(3)
	ds_write2_b64 v184, v[8:9], v[10:11] offset0:78 offset1:79
	s_waitcnt vmcnt(2)
	ds_write2_b64 v184, v[4:5], v[6:7] offset0:80 offset1:81
	s_waitcnt vmcnt(1)
	ds_write2_b64 v184, v[0:1], v[2:3] offset0:82 offset1:83
	s_waitcnt vmcnt(0)
	ds_write2_b64 v184, v[168:169], v[170:171] offset0:84 offset1:85
.LBB84_249:
	s_or_b64 exec, exec, s[0:1]
	v_cmp_lt_i32_e32 vcc, 11, v185
	s_waitcnt lgkmcnt(0)
	s_barrier
	s_and_saveexec_b64 s[0:1], vcc
	s_cbranch_execz .LBB84_251
; %bb.250:
	ds_read2_b64 v[188:191], v184 offset0:24 offset1:25
	v_mul_f64 v[182:183], v[174:175], v[130:131]
	v_mul_f64 v[130:131], v[172:173], v[130:131]
	v_fmac_f64_e32 v[130:131], v[174:175], v[128:129]
	v_fma_f64 v[182:183], v[172:173], v[128:129], -v[182:183]
	ds_read2_b64 v[172:175], v184 offset0:26 offset1:27
	s_waitcnt lgkmcnt(1)
	v_mul_f64 v[128:129], v[190:191], v[130:131]
	v_fma_f64 v[128:129], v[188:189], v[182:183], -v[128:129]
	v_mul_f64 v[188:189], v[188:189], v[130:131]
	v_fmac_f64_e32 v[188:189], v[190:191], v[182:183]
	s_waitcnt vmcnt(30)
	v_add_f64 v[126:127], v[126:127], -v[188:189]
	ds_read2_b64 v[188:191], v184 offset0:28 offset1:29
	v_add_f64 v[124:125], v[124:125], -v[128:129]
	s_waitcnt lgkmcnt(1)
	v_mul_f64 v[128:129], v[174:175], v[130:131]
	v_fma_f64 v[128:129], v[172:173], v[182:183], -v[128:129]
	v_mul_f64 v[172:173], v[172:173], v[130:131]
	v_fmac_f64_e32 v[172:173], v[174:175], v[182:183]
	s_waitcnt vmcnt(29)
	v_add_f64 v[120:121], v[120:121], -v[128:129]
	v_add_f64 v[122:123], v[122:123], -v[172:173]
	ds_read2_b64 v[172:175], v184 offset0:30 offset1:31
	s_waitcnt lgkmcnt(1)
	v_mul_f64 v[128:129], v[190:191], v[130:131]
	v_fma_f64 v[128:129], v[188:189], v[182:183], -v[128:129]
	v_mul_f64 v[188:189], v[188:189], v[130:131]
	v_fmac_f64_e32 v[188:189], v[190:191], v[182:183]
	s_waitcnt vmcnt(28)
	v_add_f64 v[118:119], v[118:119], -v[188:189]
	ds_read2_b64 v[188:191], v184 offset0:32 offset1:33
	v_add_f64 v[116:117], v[116:117], -v[128:129]
	s_waitcnt lgkmcnt(1)
	v_mul_f64 v[128:129], v[174:175], v[130:131]
	v_fma_f64 v[128:129], v[172:173], v[182:183], -v[128:129]
	v_mul_f64 v[172:173], v[172:173], v[130:131]
	v_fmac_f64_e32 v[172:173], v[174:175], v[182:183]
	s_waitcnt vmcnt(27)
	v_add_f64 v[108:109], v[108:109], -v[128:129]
	v_add_f64 v[110:111], v[110:111], -v[172:173]
	;; [unrolled: 18-line block ×15, first 2 shown]
	s_waitcnt lgkmcnt(0)
	v_mul_f64 v[128:129], v[190:191], v[130:131]
	v_mul_f64 v[172:173], v[188:189], v[130:131]
	v_fma_f64 v[128:129], v[188:189], v[182:183], -v[128:129]
	v_fmac_f64_e32 v[172:173], v[190:191], v[182:183]
	s_waitcnt vmcnt(0)
	v_add_f64 v[168:169], v[168:169], -v[128:129]
	v_add_f64 v[170:171], v[170:171], -v[172:173]
	v_mov_b64_e32 v[128:129], v[182:183]
.LBB84_251:
	s_or_b64 exec, exec, s[0:1]
	v_lshl_add_u32 v172, v185, 4, v184
	s_barrier
	s_waitcnt vmcnt(30)
	ds_write2_b64 v172, v[124:125], v[126:127] offset1:1
	s_waitcnt lgkmcnt(0)
	s_barrier
	ds_read2_b64 v[172:175], v184 offset0:24 offset1:25
	s_cmp_lt_i32 s20, 14
	v_mov_b32_e32 v182, 12
	s_cbranch_scc1 .LBB84_254
; %bb.252:
	v_add_u32_e32 v183, 0xd0, v184
	s_mov_b32 s16, 13
	v_mov_b32_e32 v182, 12
.LBB84_253:                             ; =>This Inner Loop Header: Depth=1
	ds_read2_b64 v[188:191], v183 offset1:1
	s_waitcnt lgkmcnt(1)
	v_xor_b32_e32 v193, 0x80000000, v173
	v_xor_b32_e32 v195, 0x80000000, v175
	v_cmp_gt_f64_e32 vcc, 0, v[174:175]
	v_cmp_gt_f64_e64 s[0:1], 0, v[172:173]
	v_mov_b32_e32 v192, v172
	v_mov_b32_e32 v194, v174
	v_cndmask_b32_e64 v193, v173, v193, s[0:1]
	v_cndmask_b32_e32 v195, v175, v195, vcc
	v_add_f64 v[192:193], v[192:193], v[194:195]
	s_waitcnt lgkmcnt(0)
	v_xor_b32_e32 v195, 0x80000000, v189
	v_xor_b32_e32 v197, 0x80000000, v191
	v_cmp_gt_f64_e32 vcc, 0, v[190:191]
	v_cmp_gt_f64_e64 s[0:1], 0, v[188:189]
	v_mov_b32_e32 v194, v188
	v_mov_b32_e32 v196, v190
	v_cndmask_b32_e64 v195, v189, v195, s[0:1]
	v_cndmask_b32_e32 v197, v191, v197, vcc
	v_add_f64 v[194:195], v[194:195], v[196:197]
	v_mov_b32_e32 v198, s16
	s_add_i32 s16, s16, 1
	v_cmp_lt_f64_e32 vcc, v[192:193], v[194:195]
	v_add_u32_e32 v183, 16, v183
	s_cmp_lg_u32 s20, s16
	v_cndmask_b32_e32 v173, v173, v189, vcc
	v_cndmask_b32_e32 v172, v172, v188, vcc
	;; [unrolled: 1-line block ×5, first 2 shown]
	s_cbranch_scc1 .LBB84_253
.LBB84_254:
	s_waitcnt lgkmcnt(0)
	v_cmp_eq_f64_e32 vcc, 0, v[172:173]
	v_cmp_eq_f64_e64 s[0:1], 0, v[174:175]
	s_and_b64 s[0:1], vcc, s[0:1]
	s_and_saveexec_b64 s[16:17], s[0:1]
	s_xor_b64 s[0:1], exec, s[16:17]
; %bb.255:
	v_cmp_ne_u32_e32 vcc, 0, v186
	s_nop 1
	v_cndmask_b32_e32 v186, 13, v186, vcc
; %bb.256:
	s_andn2_saveexec_b64 s[0:1], s[0:1]
	s_cbranch_execz .LBB84_262
; %bb.257:
	v_cmp_ngt_f64_e64 s[16:17], |v[172:173]|, |v[174:175]|
	s_and_saveexec_b64 s[18:19], s[16:17]
	s_xor_b64 s[16:17], exec, s[18:19]
	s_cbranch_execz .LBB84_259
; %bb.258:
	v_div_scale_f64 v[188:189], s[18:19], v[174:175], v[174:175], v[172:173]
	v_rcp_f64_e32 v[190:191], v[188:189]
	v_div_scale_f64 v[192:193], vcc, v[172:173], v[174:175], v[172:173]
	v_fma_f64 v[194:195], -v[188:189], v[190:191], 1.0
	v_fmac_f64_e32 v[190:191], v[190:191], v[194:195]
	v_fma_f64 v[194:195], -v[188:189], v[190:191], 1.0
	v_fmac_f64_e32 v[190:191], v[190:191], v[194:195]
	v_mul_f64 v[194:195], v[192:193], v[190:191]
	v_fma_f64 v[188:189], -v[188:189], v[194:195], v[192:193]
	v_div_fmas_f64 v[188:189], v[188:189], v[190:191], v[194:195]
	v_div_fixup_f64 v[188:189], v[188:189], v[174:175], v[172:173]
	v_fmac_f64_e32 v[174:175], v[172:173], v[188:189]
	v_div_scale_f64 v[172:173], s[18:19], v[174:175], v[174:175], 1.0
	v_rcp_f64_e32 v[190:191], v[172:173]
	s_nop 0
	v_fma_f64 v[192:193], -v[172:173], v[190:191], 1.0
	v_fmac_f64_e32 v[190:191], v[190:191], v[192:193]
	v_fma_f64 v[192:193], -v[172:173], v[190:191], 1.0
	v_fmac_f64_e32 v[190:191], v[190:191], v[192:193]
	v_div_scale_f64 v[192:193], vcc, 1.0, v[174:175], 1.0
	v_mul_f64 v[194:195], v[192:193], v[190:191]
	v_fma_f64 v[172:173], -v[172:173], v[194:195], v[192:193]
	s_nop 1
	v_div_fmas_f64 v[172:173], v[172:173], v[190:191], v[194:195]
	v_div_fixup_f64 v[174:175], v[172:173], v[174:175], 1.0
	v_mul_f64 v[172:173], v[188:189], v[174:175]
	v_xor_b32_e32 v175, 0x80000000, v175
.LBB84_259:
	s_andn2_saveexec_b64 s[16:17], s[16:17]
	s_cbranch_execz .LBB84_261
; %bb.260:
	v_div_scale_f64 v[188:189], s[18:19], v[172:173], v[172:173], v[174:175]
	v_rcp_f64_e32 v[190:191], v[188:189]
	v_div_scale_f64 v[192:193], vcc, v[174:175], v[172:173], v[174:175]
	v_fma_f64 v[194:195], -v[188:189], v[190:191], 1.0
	v_fmac_f64_e32 v[190:191], v[190:191], v[194:195]
	v_fma_f64 v[194:195], -v[188:189], v[190:191], 1.0
	v_fmac_f64_e32 v[190:191], v[190:191], v[194:195]
	v_mul_f64 v[194:195], v[192:193], v[190:191]
	v_fma_f64 v[188:189], -v[188:189], v[194:195], v[192:193]
	v_div_fmas_f64 v[188:189], v[188:189], v[190:191], v[194:195]
	v_div_fixup_f64 v[188:189], v[188:189], v[172:173], v[174:175]
	v_fmac_f64_e32 v[172:173], v[174:175], v[188:189]
	v_div_scale_f64 v[174:175], s[18:19], v[172:173], v[172:173], 1.0
	v_rcp_f64_e32 v[190:191], v[174:175]
	s_nop 0
	v_fma_f64 v[192:193], -v[174:175], v[190:191], 1.0
	v_fmac_f64_e32 v[190:191], v[190:191], v[192:193]
	v_fma_f64 v[192:193], -v[174:175], v[190:191], 1.0
	v_fmac_f64_e32 v[190:191], v[190:191], v[192:193]
	v_div_scale_f64 v[192:193], vcc, 1.0, v[172:173], 1.0
	v_mul_f64 v[194:195], v[192:193], v[190:191]
	v_fma_f64 v[174:175], -v[174:175], v[194:195], v[192:193]
	s_nop 1
	v_div_fmas_f64 v[174:175], v[174:175], v[190:191], v[194:195]
	v_div_fixup_f64 v[172:173], v[174:175], v[172:173], 1.0
	v_mul_f64 v[174:175], v[188:189], -v[172:173]
.LBB84_261:
	s_or_b64 exec, exec, s[16:17]
.LBB84_262:
	s_or_b64 exec, exec, s[0:1]
	v_cmp_ne_u32_e32 vcc, v185, v182
	s_and_saveexec_b64 s[0:1], vcc
	s_xor_b64 s[0:1], exec, s[0:1]
	s_cbranch_execz .LBB84_268
; %bb.263:
	v_cmp_eq_u32_e32 vcc, 12, v185
	s_and_saveexec_b64 s[16:17], vcc
	s_cbranch_execz .LBB84_267
; %bb.264:
	v_cmp_ne_u32_e32 vcc, 12, v182
	s_xor_b64 s[18:19], s[14:15], -1
	s_and_b64 s[22:23], s[18:19], vcc
	s_and_saveexec_b64 s[18:19], s[22:23]
	s_cbranch_execz .LBB84_266
; %bb.265:
	v_ashrrev_i32_e32 v183, 31, v182
	v_lshl_add_u64 v[188:189], v[182:183], 2, v[180:181]
	global_load_dword v183, v[188:189], off
	global_load_dword v185, v[180:181], off offset:48
	s_waitcnt vmcnt(1)
	global_store_dword v[180:181], v183, off offset:48
	s_waitcnt vmcnt(1)
	global_store_dword v[188:189], v185, off
.LBB84_266:
	s_or_b64 exec, exec, s[18:19]
	v_mov_b32_e32 v185, v182
	v_mov_b32_e32 v187, v182
.LBB84_267:
	s_or_b64 exec, exec, s[16:17]
.LBB84_268:
	s_andn2_saveexec_b64 s[0:1], s[0:1]
	s_cbranch_execz .LBB84_270
; %bb.269:
	v_mov_b32_e32 v185, 12
	s_waitcnt vmcnt(29)
	ds_write2_b64 v184, v[120:121], v[122:123] offset0:26 offset1:27
	s_waitcnt vmcnt(28)
	ds_write2_b64 v184, v[116:117], v[118:119] offset0:28 offset1:29
	;; [unrolled: 2-line block ×30, first 2 shown]
.LBB84_270:
	s_or_b64 exec, exec, s[0:1]
	v_cmp_lt_i32_e32 vcc, 12, v185
	s_waitcnt lgkmcnt(0)
	s_barrier
	s_and_saveexec_b64 s[0:1], vcc
	s_cbranch_execz .LBB84_272
; %bb.271:
	ds_read2_b64 v[188:191], v184 offset0:26 offset1:27
	v_mul_f64 v[182:183], v[174:175], v[126:127]
	v_mul_f64 v[126:127], v[172:173], v[126:127]
	v_fma_f64 v[182:183], v[172:173], v[124:125], -v[182:183]
	v_fmac_f64_e32 v[126:127], v[174:175], v[124:125]
	ds_read2_b64 v[172:175], v184 offset0:28 offset1:29
	s_waitcnt lgkmcnt(1)
	v_mul_f64 v[124:125], v[190:191], v[126:127]
	v_fma_f64 v[124:125], v[188:189], v[182:183], -v[124:125]
	v_mul_f64 v[188:189], v[188:189], v[126:127]
	v_fmac_f64_e32 v[188:189], v[190:191], v[182:183]
	s_waitcnt vmcnt(29)
	v_add_f64 v[120:121], v[120:121], -v[124:125]
	s_waitcnt lgkmcnt(0)
	v_mul_f64 v[124:125], v[174:175], v[126:127]
	v_add_f64 v[122:123], v[122:123], -v[188:189]
	v_fma_f64 v[124:125], v[172:173], v[182:183], -v[124:125]
	v_mul_f64 v[172:173], v[172:173], v[126:127]
	ds_read2_b64 v[188:191], v184 offset0:30 offset1:31
	v_fmac_f64_e32 v[172:173], v[174:175], v[182:183]
	s_waitcnt vmcnt(28)
	v_add_f64 v[118:119], v[118:119], -v[172:173]
	ds_read2_b64 v[172:175], v184 offset0:32 offset1:33
	v_add_f64 v[116:117], v[116:117], -v[124:125]
	s_waitcnt lgkmcnt(1)
	v_mul_f64 v[124:125], v[190:191], v[126:127]
	v_fma_f64 v[124:125], v[188:189], v[182:183], -v[124:125]
	v_mul_f64 v[188:189], v[188:189], v[126:127]
	v_fmac_f64_e32 v[188:189], v[190:191], v[182:183]
	s_waitcnt vmcnt(27)
	v_add_f64 v[108:109], v[108:109], -v[124:125]
	s_waitcnt lgkmcnt(0)
	v_mul_f64 v[124:125], v[174:175], v[126:127]
	v_add_f64 v[110:111], v[110:111], -v[188:189]
	v_fma_f64 v[124:125], v[172:173], v[182:183], -v[124:125]
	v_mul_f64 v[172:173], v[172:173], v[126:127]
	ds_read2_b64 v[188:191], v184 offset0:34 offset1:35
	v_fmac_f64_e32 v[172:173], v[174:175], v[182:183]
	s_waitcnt vmcnt(26)
	v_add_f64 v[102:103], v[102:103], -v[172:173]
	ds_read2_b64 v[172:175], v184 offset0:36 offset1:37
	v_add_f64 v[100:101], v[100:101], -v[124:125]
	;; [unrolled: 18-line block ×14, first 2 shown]
	s_waitcnt lgkmcnt(1)
	v_mul_f64 v[124:125], v[190:191], v[126:127]
	v_fma_f64 v[124:125], v[188:189], v[182:183], -v[124:125]
	s_waitcnt vmcnt(1)
	v_add_f64 v[0:1], v[0:1], -v[124:125]
	s_waitcnt lgkmcnt(0)
	v_mul_f64 v[124:125], v[174:175], v[126:127]
	v_mul_f64 v[188:189], v[188:189], v[126:127]
	v_fma_f64 v[124:125], v[172:173], v[182:183], -v[124:125]
	v_mul_f64 v[172:173], v[172:173], v[126:127]
	v_fmac_f64_e32 v[188:189], v[190:191], v[182:183]
	v_fmac_f64_e32 v[172:173], v[174:175], v[182:183]
	v_add_f64 v[2:3], v[2:3], -v[188:189]
	s_waitcnt vmcnt(0)
	v_add_f64 v[168:169], v[168:169], -v[124:125]
	v_add_f64 v[170:171], v[170:171], -v[172:173]
	v_mov_b64_e32 v[124:125], v[182:183]
.LBB84_272:
	s_or_b64 exec, exec, s[0:1]
	v_lshl_add_u32 v172, v185, 4, v184
	s_barrier
	s_waitcnt vmcnt(29)
	ds_write2_b64 v172, v[120:121], v[122:123] offset1:1
	s_waitcnt lgkmcnt(0)
	s_barrier
	ds_read2_b64 v[172:175], v184 offset0:26 offset1:27
	s_cmp_lt_i32 s20, 15
	v_mov_b32_e32 v182, 13
	s_cbranch_scc1 .LBB84_275
; %bb.273:
	v_add_u32_e32 v183, 0xe0, v184
	s_mov_b32 s16, 14
	v_mov_b32_e32 v182, 13
.LBB84_274:                             ; =>This Inner Loop Header: Depth=1
	ds_read2_b64 v[188:191], v183 offset1:1
	s_waitcnt lgkmcnt(1)
	v_xor_b32_e32 v193, 0x80000000, v173
	v_xor_b32_e32 v195, 0x80000000, v175
	v_cmp_gt_f64_e32 vcc, 0, v[174:175]
	v_cmp_gt_f64_e64 s[0:1], 0, v[172:173]
	v_mov_b32_e32 v192, v172
	v_mov_b32_e32 v194, v174
	v_cndmask_b32_e64 v193, v173, v193, s[0:1]
	v_cndmask_b32_e32 v195, v175, v195, vcc
	v_add_f64 v[192:193], v[192:193], v[194:195]
	s_waitcnt lgkmcnt(0)
	v_xor_b32_e32 v195, 0x80000000, v189
	v_xor_b32_e32 v197, 0x80000000, v191
	v_cmp_gt_f64_e32 vcc, 0, v[190:191]
	v_cmp_gt_f64_e64 s[0:1], 0, v[188:189]
	v_mov_b32_e32 v194, v188
	v_mov_b32_e32 v196, v190
	v_cndmask_b32_e64 v195, v189, v195, s[0:1]
	v_cndmask_b32_e32 v197, v191, v197, vcc
	v_add_f64 v[194:195], v[194:195], v[196:197]
	v_mov_b32_e32 v198, s16
	s_add_i32 s16, s16, 1
	v_cmp_lt_f64_e32 vcc, v[192:193], v[194:195]
	v_add_u32_e32 v183, 16, v183
	s_cmp_lg_u32 s20, s16
	v_cndmask_b32_e32 v173, v173, v189, vcc
	v_cndmask_b32_e32 v172, v172, v188, vcc
	;; [unrolled: 1-line block ×5, first 2 shown]
	s_cbranch_scc1 .LBB84_274
.LBB84_275:
	s_waitcnt lgkmcnt(0)
	v_cmp_eq_f64_e32 vcc, 0, v[172:173]
	v_cmp_eq_f64_e64 s[0:1], 0, v[174:175]
	s_and_b64 s[0:1], vcc, s[0:1]
	s_and_saveexec_b64 s[16:17], s[0:1]
	s_xor_b64 s[0:1], exec, s[16:17]
; %bb.276:
	v_cmp_ne_u32_e32 vcc, 0, v186
	s_nop 1
	v_cndmask_b32_e32 v186, 14, v186, vcc
; %bb.277:
	s_andn2_saveexec_b64 s[0:1], s[0:1]
	s_cbranch_execz .LBB84_283
; %bb.278:
	v_cmp_ngt_f64_e64 s[16:17], |v[172:173]|, |v[174:175]|
	s_and_saveexec_b64 s[18:19], s[16:17]
	s_xor_b64 s[16:17], exec, s[18:19]
	s_cbranch_execz .LBB84_280
; %bb.279:
	v_div_scale_f64 v[188:189], s[18:19], v[174:175], v[174:175], v[172:173]
	v_rcp_f64_e32 v[190:191], v[188:189]
	v_div_scale_f64 v[192:193], vcc, v[172:173], v[174:175], v[172:173]
	v_fma_f64 v[194:195], -v[188:189], v[190:191], 1.0
	v_fmac_f64_e32 v[190:191], v[190:191], v[194:195]
	v_fma_f64 v[194:195], -v[188:189], v[190:191], 1.0
	v_fmac_f64_e32 v[190:191], v[190:191], v[194:195]
	v_mul_f64 v[194:195], v[192:193], v[190:191]
	v_fma_f64 v[188:189], -v[188:189], v[194:195], v[192:193]
	v_div_fmas_f64 v[188:189], v[188:189], v[190:191], v[194:195]
	v_div_fixup_f64 v[188:189], v[188:189], v[174:175], v[172:173]
	v_fmac_f64_e32 v[174:175], v[172:173], v[188:189]
	v_div_scale_f64 v[172:173], s[18:19], v[174:175], v[174:175], 1.0
	v_rcp_f64_e32 v[190:191], v[172:173]
	s_nop 0
	v_fma_f64 v[192:193], -v[172:173], v[190:191], 1.0
	v_fmac_f64_e32 v[190:191], v[190:191], v[192:193]
	v_fma_f64 v[192:193], -v[172:173], v[190:191], 1.0
	v_fmac_f64_e32 v[190:191], v[190:191], v[192:193]
	v_div_scale_f64 v[192:193], vcc, 1.0, v[174:175], 1.0
	v_mul_f64 v[194:195], v[192:193], v[190:191]
	v_fma_f64 v[172:173], -v[172:173], v[194:195], v[192:193]
	s_nop 1
	v_div_fmas_f64 v[172:173], v[172:173], v[190:191], v[194:195]
	v_div_fixup_f64 v[174:175], v[172:173], v[174:175], 1.0
	v_mul_f64 v[172:173], v[188:189], v[174:175]
	v_xor_b32_e32 v175, 0x80000000, v175
.LBB84_280:
	s_andn2_saveexec_b64 s[16:17], s[16:17]
	s_cbranch_execz .LBB84_282
; %bb.281:
	v_div_scale_f64 v[188:189], s[18:19], v[172:173], v[172:173], v[174:175]
	v_rcp_f64_e32 v[190:191], v[188:189]
	v_div_scale_f64 v[192:193], vcc, v[174:175], v[172:173], v[174:175]
	v_fma_f64 v[194:195], -v[188:189], v[190:191], 1.0
	v_fmac_f64_e32 v[190:191], v[190:191], v[194:195]
	v_fma_f64 v[194:195], -v[188:189], v[190:191], 1.0
	v_fmac_f64_e32 v[190:191], v[190:191], v[194:195]
	v_mul_f64 v[194:195], v[192:193], v[190:191]
	v_fma_f64 v[188:189], -v[188:189], v[194:195], v[192:193]
	v_div_fmas_f64 v[188:189], v[188:189], v[190:191], v[194:195]
	v_div_fixup_f64 v[188:189], v[188:189], v[172:173], v[174:175]
	v_fmac_f64_e32 v[172:173], v[174:175], v[188:189]
	v_div_scale_f64 v[174:175], s[18:19], v[172:173], v[172:173], 1.0
	v_rcp_f64_e32 v[190:191], v[174:175]
	s_nop 0
	v_fma_f64 v[192:193], -v[174:175], v[190:191], 1.0
	v_fmac_f64_e32 v[190:191], v[190:191], v[192:193]
	v_fma_f64 v[192:193], -v[174:175], v[190:191], 1.0
	v_fmac_f64_e32 v[190:191], v[190:191], v[192:193]
	v_div_scale_f64 v[192:193], vcc, 1.0, v[172:173], 1.0
	v_mul_f64 v[194:195], v[192:193], v[190:191]
	v_fma_f64 v[174:175], -v[174:175], v[194:195], v[192:193]
	s_nop 1
	v_div_fmas_f64 v[174:175], v[174:175], v[190:191], v[194:195]
	v_div_fixup_f64 v[172:173], v[174:175], v[172:173], 1.0
	v_mul_f64 v[174:175], v[188:189], -v[172:173]
.LBB84_282:
	s_or_b64 exec, exec, s[16:17]
.LBB84_283:
	s_or_b64 exec, exec, s[0:1]
	v_cmp_ne_u32_e32 vcc, v185, v182
	s_and_saveexec_b64 s[0:1], vcc
	s_xor_b64 s[0:1], exec, s[0:1]
	s_cbranch_execz .LBB84_289
; %bb.284:
	v_cmp_eq_u32_e32 vcc, 13, v185
	s_and_saveexec_b64 s[16:17], vcc
	s_cbranch_execz .LBB84_288
; %bb.285:
	v_cmp_ne_u32_e32 vcc, 13, v182
	s_xor_b64 s[18:19], s[14:15], -1
	s_and_b64 s[22:23], s[18:19], vcc
	s_and_saveexec_b64 s[18:19], s[22:23]
	s_cbranch_execz .LBB84_287
; %bb.286:
	v_ashrrev_i32_e32 v183, 31, v182
	v_lshl_add_u64 v[188:189], v[182:183], 2, v[180:181]
	global_load_dword v183, v[188:189], off
	global_load_dword v185, v[180:181], off offset:52
	s_waitcnt vmcnt(1)
	global_store_dword v[180:181], v183, off offset:52
	s_waitcnt vmcnt(1)
	global_store_dword v[188:189], v185, off
.LBB84_287:
	s_or_b64 exec, exec, s[18:19]
	v_mov_b32_e32 v185, v182
	v_mov_b32_e32 v187, v182
.LBB84_288:
	s_or_b64 exec, exec, s[16:17]
.LBB84_289:
	s_andn2_saveexec_b64 s[0:1], s[0:1]
	s_cbranch_execz .LBB84_291
; %bb.290:
	v_mov_b32_e32 v185, 13
	s_waitcnt vmcnt(28)
	ds_write2_b64 v184, v[116:117], v[118:119] offset0:28 offset1:29
	s_waitcnt vmcnt(27)
	ds_write2_b64 v184, v[108:109], v[110:111] offset0:30 offset1:31
	;; [unrolled: 2-line block ×29, first 2 shown]
.LBB84_291:
	s_or_b64 exec, exec, s[0:1]
	v_cmp_lt_i32_e32 vcc, 13, v185
	s_waitcnt lgkmcnt(0)
	s_barrier
	s_and_saveexec_b64 s[0:1], vcc
	s_cbranch_execz .LBB84_293
; %bb.292:
	ds_read2_b64 v[188:191], v184 offset0:28 offset1:29
	v_mul_f64 v[182:183], v[174:175], v[122:123]
	v_mul_f64 v[122:123], v[172:173], v[122:123]
	v_fmac_f64_e32 v[122:123], v[174:175], v[120:121]
	v_fma_f64 v[182:183], v[172:173], v[120:121], -v[182:183]
	ds_read2_b64 v[172:175], v184 offset0:30 offset1:31
	s_waitcnt lgkmcnt(1)
	v_mul_f64 v[120:121], v[190:191], v[122:123]
	v_fma_f64 v[120:121], v[188:189], v[182:183], -v[120:121]
	v_mul_f64 v[188:189], v[188:189], v[122:123]
	v_fmac_f64_e32 v[188:189], v[190:191], v[182:183]
	s_waitcnt vmcnt(28)
	v_add_f64 v[118:119], v[118:119], -v[188:189]
	ds_read2_b64 v[188:191], v184 offset0:32 offset1:33
	v_add_f64 v[116:117], v[116:117], -v[120:121]
	s_waitcnt lgkmcnt(1)
	v_mul_f64 v[120:121], v[174:175], v[122:123]
	v_fma_f64 v[120:121], v[172:173], v[182:183], -v[120:121]
	v_mul_f64 v[172:173], v[172:173], v[122:123]
	v_fmac_f64_e32 v[172:173], v[174:175], v[182:183]
	s_waitcnt vmcnt(27)
	v_add_f64 v[108:109], v[108:109], -v[120:121]
	v_add_f64 v[110:111], v[110:111], -v[172:173]
	ds_read2_b64 v[172:175], v184 offset0:34 offset1:35
	s_waitcnt lgkmcnt(1)
	v_mul_f64 v[120:121], v[190:191], v[122:123]
	v_fma_f64 v[120:121], v[188:189], v[182:183], -v[120:121]
	v_mul_f64 v[188:189], v[188:189], v[122:123]
	v_fmac_f64_e32 v[188:189], v[190:191], v[182:183]
	s_waitcnt vmcnt(26)
	v_add_f64 v[102:103], v[102:103], -v[188:189]
	ds_read2_b64 v[188:191], v184 offset0:36 offset1:37
	v_add_f64 v[100:101], v[100:101], -v[120:121]
	s_waitcnt lgkmcnt(1)
	v_mul_f64 v[120:121], v[174:175], v[122:123]
	v_fma_f64 v[120:121], v[172:173], v[182:183], -v[120:121]
	v_mul_f64 v[172:173], v[172:173], v[122:123]
	v_fmac_f64_e32 v[172:173], v[174:175], v[182:183]
	s_waitcnt vmcnt(25)
	v_add_f64 v[96:97], v[96:97], -v[120:121]
	v_add_f64 v[98:99], v[98:99], -v[172:173]
	;; [unrolled: 18-line block ×14, first 2 shown]
	s_waitcnt lgkmcnt(0)
	v_mul_f64 v[120:121], v[190:191], v[122:123]
	v_mul_f64 v[172:173], v[188:189], v[122:123]
	v_fma_f64 v[120:121], v[188:189], v[182:183], -v[120:121]
	v_fmac_f64_e32 v[172:173], v[190:191], v[182:183]
	s_waitcnt vmcnt(0)
	v_add_f64 v[168:169], v[168:169], -v[120:121]
	v_add_f64 v[170:171], v[170:171], -v[172:173]
	v_mov_b64_e32 v[120:121], v[182:183]
.LBB84_293:
	s_or_b64 exec, exec, s[0:1]
	v_lshl_add_u32 v172, v185, 4, v184
	s_barrier
	s_waitcnt vmcnt(28)
	ds_write2_b64 v172, v[116:117], v[118:119] offset1:1
	s_waitcnt lgkmcnt(0)
	s_barrier
	ds_read2_b64 v[172:175], v184 offset0:28 offset1:29
	s_cmp_lt_i32 s20, 16
	v_mov_b32_e32 v182, 14
	s_cbranch_scc1 .LBB84_296
; %bb.294:
	v_add_u32_e32 v183, 0xf0, v184
	s_mov_b32 s16, 15
	v_mov_b32_e32 v182, 14
.LBB84_295:                             ; =>This Inner Loop Header: Depth=1
	ds_read2_b64 v[188:191], v183 offset1:1
	s_waitcnt lgkmcnt(1)
	v_xor_b32_e32 v193, 0x80000000, v173
	v_xor_b32_e32 v195, 0x80000000, v175
	v_cmp_gt_f64_e32 vcc, 0, v[174:175]
	v_cmp_gt_f64_e64 s[0:1], 0, v[172:173]
	v_mov_b32_e32 v192, v172
	v_mov_b32_e32 v194, v174
	v_cndmask_b32_e64 v193, v173, v193, s[0:1]
	v_cndmask_b32_e32 v195, v175, v195, vcc
	v_add_f64 v[192:193], v[192:193], v[194:195]
	s_waitcnt lgkmcnt(0)
	v_xor_b32_e32 v195, 0x80000000, v189
	v_xor_b32_e32 v197, 0x80000000, v191
	v_cmp_gt_f64_e32 vcc, 0, v[190:191]
	v_cmp_gt_f64_e64 s[0:1], 0, v[188:189]
	v_mov_b32_e32 v194, v188
	v_mov_b32_e32 v196, v190
	v_cndmask_b32_e64 v195, v189, v195, s[0:1]
	v_cndmask_b32_e32 v197, v191, v197, vcc
	v_add_f64 v[194:195], v[194:195], v[196:197]
	v_mov_b32_e32 v198, s16
	s_add_i32 s16, s16, 1
	v_cmp_lt_f64_e32 vcc, v[192:193], v[194:195]
	v_add_u32_e32 v183, 16, v183
	s_cmp_lg_u32 s20, s16
	v_cndmask_b32_e32 v173, v173, v189, vcc
	v_cndmask_b32_e32 v172, v172, v188, vcc
	;; [unrolled: 1-line block ×5, first 2 shown]
	s_cbranch_scc1 .LBB84_295
.LBB84_296:
	s_waitcnt lgkmcnt(0)
	v_cmp_eq_f64_e32 vcc, 0, v[172:173]
	v_cmp_eq_f64_e64 s[0:1], 0, v[174:175]
	s_and_b64 s[0:1], vcc, s[0:1]
	s_and_saveexec_b64 s[16:17], s[0:1]
	s_xor_b64 s[0:1], exec, s[16:17]
; %bb.297:
	v_cmp_ne_u32_e32 vcc, 0, v186
	s_nop 1
	v_cndmask_b32_e32 v186, 15, v186, vcc
; %bb.298:
	s_andn2_saveexec_b64 s[0:1], s[0:1]
	s_cbranch_execz .LBB84_304
; %bb.299:
	v_cmp_ngt_f64_e64 s[16:17], |v[172:173]|, |v[174:175]|
	s_and_saveexec_b64 s[18:19], s[16:17]
	s_xor_b64 s[16:17], exec, s[18:19]
	s_cbranch_execz .LBB84_301
; %bb.300:
	v_div_scale_f64 v[188:189], s[18:19], v[174:175], v[174:175], v[172:173]
	v_rcp_f64_e32 v[190:191], v[188:189]
	v_div_scale_f64 v[192:193], vcc, v[172:173], v[174:175], v[172:173]
	v_fma_f64 v[194:195], -v[188:189], v[190:191], 1.0
	v_fmac_f64_e32 v[190:191], v[190:191], v[194:195]
	v_fma_f64 v[194:195], -v[188:189], v[190:191], 1.0
	v_fmac_f64_e32 v[190:191], v[190:191], v[194:195]
	v_mul_f64 v[194:195], v[192:193], v[190:191]
	v_fma_f64 v[188:189], -v[188:189], v[194:195], v[192:193]
	v_div_fmas_f64 v[188:189], v[188:189], v[190:191], v[194:195]
	v_div_fixup_f64 v[188:189], v[188:189], v[174:175], v[172:173]
	v_fmac_f64_e32 v[174:175], v[172:173], v[188:189]
	v_div_scale_f64 v[172:173], s[18:19], v[174:175], v[174:175], 1.0
	v_rcp_f64_e32 v[190:191], v[172:173]
	s_nop 0
	v_fma_f64 v[192:193], -v[172:173], v[190:191], 1.0
	v_fmac_f64_e32 v[190:191], v[190:191], v[192:193]
	v_fma_f64 v[192:193], -v[172:173], v[190:191], 1.0
	v_fmac_f64_e32 v[190:191], v[190:191], v[192:193]
	v_div_scale_f64 v[192:193], vcc, 1.0, v[174:175], 1.0
	v_mul_f64 v[194:195], v[192:193], v[190:191]
	v_fma_f64 v[172:173], -v[172:173], v[194:195], v[192:193]
	s_nop 1
	v_div_fmas_f64 v[172:173], v[172:173], v[190:191], v[194:195]
	v_div_fixup_f64 v[174:175], v[172:173], v[174:175], 1.0
	v_mul_f64 v[172:173], v[188:189], v[174:175]
	v_xor_b32_e32 v175, 0x80000000, v175
.LBB84_301:
	s_andn2_saveexec_b64 s[16:17], s[16:17]
	s_cbranch_execz .LBB84_303
; %bb.302:
	v_div_scale_f64 v[188:189], s[18:19], v[172:173], v[172:173], v[174:175]
	v_rcp_f64_e32 v[190:191], v[188:189]
	v_div_scale_f64 v[192:193], vcc, v[174:175], v[172:173], v[174:175]
	v_fma_f64 v[194:195], -v[188:189], v[190:191], 1.0
	v_fmac_f64_e32 v[190:191], v[190:191], v[194:195]
	v_fma_f64 v[194:195], -v[188:189], v[190:191], 1.0
	v_fmac_f64_e32 v[190:191], v[190:191], v[194:195]
	v_mul_f64 v[194:195], v[192:193], v[190:191]
	v_fma_f64 v[188:189], -v[188:189], v[194:195], v[192:193]
	v_div_fmas_f64 v[188:189], v[188:189], v[190:191], v[194:195]
	v_div_fixup_f64 v[188:189], v[188:189], v[172:173], v[174:175]
	v_fmac_f64_e32 v[172:173], v[174:175], v[188:189]
	v_div_scale_f64 v[174:175], s[18:19], v[172:173], v[172:173], 1.0
	v_rcp_f64_e32 v[190:191], v[174:175]
	s_nop 0
	v_fma_f64 v[192:193], -v[174:175], v[190:191], 1.0
	v_fmac_f64_e32 v[190:191], v[190:191], v[192:193]
	v_fma_f64 v[192:193], -v[174:175], v[190:191], 1.0
	v_fmac_f64_e32 v[190:191], v[190:191], v[192:193]
	v_div_scale_f64 v[192:193], vcc, 1.0, v[172:173], 1.0
	v_mul_f64 v[194:195], v[192:193], v[190:191]
	v_fma_f64 v[174:175], -v[174:175], v[194:195], v[192:193]
	s_nop 1
	v_div_fmas_f64 v[174:175], v[174:175], v[190:191], v[194:195]
	v_div_fixup_f64 v[172:173], v[174:175], v[172:173], 1.0
	v_mul_f64 v[174:175], v[188:189], -v[172:173]
.LBB84_303:
	s_or_b64 exec, exec, s[16:17]
.LBB84_304:
	s_or_b64 exec, exec, s[0:1]
	v_cmp_ne_u32_e32 vcc, v185, v182
	s_and_saveexec_b64 s[0:1], vcc
	s_xor_b64 s[0:1], exec, s[0:1]
	s_cbranch_execz .LBB84_310
; %bb.305:
	v_cmp_eq_u32_e32 vcc, 14, v185
	s_and_saveexec_b64 s[16:17], vcc
	s_cbranch_execz .LBB84_309
; %bb.306:
	v_cmp_ne_u32_e32 vcc, 14, v182
	s_xor_b64 s[18:19], s[14:15], -1
	s_and_b64 s[22:23], s[18:19], vcc
	s_and_saveexec_b64 s[18:19], s[22:23]
	s_cbranch_execz .LBB84_308
; %bb.307:
	v_ashrrev_i32_e32 v183, 31, v182
	v_lshl_add_u64 v[188:189], v[182:183], 2, v[180:181]
	global_load_dword v183, v[188:189], off
	global_load_dword v185, v[180:181], off offset:56
	s_waitcnt vmcnt(1)
	global_store_dword v[180:181], v183, off offset:56
	s_waitcnt vmcnt(1)
	global_store_dword v[188:189], v185, off
.LBB84_308:
	s_or_b64 exec, exec, s[18:19]
	v_mov_b32_e32 v185, v182
	v_mov_b32_e32 v187, v182
.LBB84_309:
	s_or_b64 exec, exec, s[16:17]
.LBB84_310:
	s_andn2_saveexec_b64 s[0:1], s[0:1]
	s_cbranch_execz .LBB84_312
; %bb.311:
	v_mov_b32_e32 v185, 14
	s_waitcnt vmcnt(27)
	ds_write2_b64 v184, v[108:109], v[110:111] offset0:30 offset1:31
	s_waitcnt vmcnt(26)
	ds_write2_b64 v184, v[100:101], v[102:103] offset0:32 offset1:33
	;; [unrolled: 2-line block ×28, first 2 shown]
.LBB84_312:
	s_or_b64 exec, exec, s[0:1]
	v_cmp_lt_i32_e32 vcc, 14, v185
	s_waitcnt lgkmcnt(0)
	s_barrier
	s_and_saveexec_b64 s[0:1], vcc
	s_cbranch_execz .LBB84_314
; %bb.313:
	ds_read2_b64 v[188:191], v184 offset0:30 offset1:31
	v_mul_f64 v[182:183], v[174:175], v[118:119]
	v_mul_f64 v[118:119], v[172:173], v[118:119]
	v_fma_f64 v[182:183], v[172:173], v[116:117], -v[182:183]
	v_fmac_f64_e32 v[118:119], v[174:175], v[116:117]
	ds_read2_b64 v[172:175], v184 offset0:32 offset1:33
	s_waitcnt lgkmcnt(1)
	v_mul_f64 v[116:117], v[190:191], v[118:119]
	v_fma_f64 v[116:117], v[188:189], v[182:183], -v[116:117]
	v_mul_f64 v[188:189], v[188:189], v[118:119]
	v_fmac_f64_e32 v[188:189], v[190:191], v[182:183]
	s_waitcnt vmcnt(27)
	v_add_f64 v[108:109], v[108:109], -v[116:117]
	s_waitcnt lgkmcnt(0)
	v_mul_f64 v[116:117], v[174:175], v[118:119]
	v_add_f64 v[110:111], v[110:111], -v[188:189]
	v_fma_f64 v[116:117], v[172:173], v[182:183], -v[116:117]
	v_mul_f64 v[172:173], v[172:173], v[118:119]
	ds_read2_b64 v[188:191], v184 offset0:34 offset1:35
	v_fmac_f64_e32 v[172:173], v[174:175], v[182:183]
	s_waitcnt vmcnt(26)
	v_add_f64 v[102:103], v[102:103], -v[172:173]
	ds_read2_b64 v[172:175], v184 offset0:36 offset1:37
	v_add_f64 v[100:101], v[100:101], -v[116:117]
	s_waitcnt lgkmcnt(1)
	v_mul_f64 v[116:117], v[190:191], v[118:119]
	v_fma_f64 v[116:117], v[188:189], v[182:183], -v[116:117]
	v_mul_f64 v[188:189], v[188:189], v[118:119]
	v_fmac_f64_e32 v[188:189], v[190:191], v[182:183]
	s_waitcnt vmcnt(25)
	v_add_f64 v[96:97], v[96:97], -v[116:117]
	s_waitcnt lgkmcnt(0)
	v_mul_f64 v[116:117], v[174:175], v[118:119]
	v_add_f64 v[98:99], v[98:99], -v[188:189]
	v_fma_f64 v[116:117], v[172:173], v[182:183], -v[116:117]
	v_mul_f64 v[172:173], v[172:173], v[118:119]
	ds_read2_b64 v[188:191], v184 offset0:38 offset1:39
	v_fmac_f64_e32 v[172:173], v[174:175], v[182:183]
	s_waitcnt vmcnt(24)
	v_add_f64 v[94:95], v[94:95], -v[172:173]
	ds_read2_b64 v[172:175], v184 offset0:40 offset1:41
	v_add_f64 v[92:93], v[92:93], -v[116:117]
	;; [unrolled: 18-line block ×13, first 2 shown]
	s_waitcnt lgkmcnt(1)
	v_mul_f64 v[116:117], v[190:191], v[118:119]
	v_fma_f64 v[116:117], v[188:189], v[182:183], -v[116:117]
	s_waitcnt vmcnt(1)
	v_add_f64 v[0:1], v[0:1], -v[116:117]
	s_waitcnt lgkmcnt(0)
	v_mul_f64 v[116:117], v[174:175], v[118:119]
	v_mul_f64 v[188:189], v[188:189], v[118:119]
	v_fma_f64 v[116:117], v[172:173], v[182:183], -v[116:117]
	v_mul_f64 v[172:173], v[172:173], v[118:119]
	v_fmac_f64_e32 v[188:189], v[190:191], v[182:183]
	v_fmac_f64_e32 v[172:173], v[174:175], v[182:183]
	v_add_f64 v[2:3], v[2:3], -v[188:189]
	s_waitcnt vmcnt(0)
	v_add_f64 v[168:169], v[168:169], -v[116:117]
	v_add_f64 v[170:171], v[170:171], -v[172:173]
	v_mov_b64_e32 v[116:117], v[182:183]
.LBB84_314:
	s_or_b64 exec, exec, s[0:1]
	v_lshl_add_u32 v172, v185, 4, v184
	s_barrier
	s_waitcnt vmcnt(27)
	ds_write2_b64 v172, v[108:109], v[110:111] offset1:1
	s_waitcnt lgkmcnt(0)
	s_barrier
	ds_read2_b64 v[172:175], v184 offset0:30 offset1:31
	s_cmp_lt_i32 s20, 17
	v_mov_b32_e32 v182, 15
	s_cbranch_scc1 .LBB84_317
; %bb.315:
	v_add_u32_e32 v183, 0x100, v184
	s_mov_b32 s16, 16
	v_mov_b32_e32 v182, 15
.LBB84_316:                             ; =>This Inner Loop Header: Depth=1
	ds_read2_b64 v[188:191], v183 offset1:1
	s_waitcnt lgkmcnt(1)
	v_xor_b32_e32 v193, 0x80000000, v173
	v_xor_b32_e32 v195, 0x80000000, v175
	v_cmp_gt_f64_e32 vcc, 0, v[174:175]
	v_cmp_gt_f64_e64 s[0:1], 0, v[172:173]
	v_mov_b32_e32 v192, v172
	v_mov_b32_e32 v194, v174
	v_cndmask_b32_e64 v193, v173, v193, s[0:1]
	v_cndmask_b32_e32 v195, v175, v195, vcc
	v_add_f64 v[192:193], v[192:193], v[194:195]
	s_waitcnt lgkmcnt(0)
	v_xor_b32_e32 v195, 0x80000000, v189
	v_xor_b32_e32 v197, 0x80000000, v191
	v_cmp_gt_f64_e32 vcc, 0, v[190:191]
	v_cmp_gt_f64_e64 s[0:1], 0, v[188:189]
	v_mov_b32_e32 v194, v188
	v_mov_b32_e32 v196, v190
	v_cndmask_b32_e64 v195, v189, v195, s[0:1]
	v_cndmask_b32_e32 v197, v191, v197, vcc
	v_add_f64 v[194:195], v[194:195], v[196:197]
	v_mov_b32_e32 v198, s16
	s_add_i32 s16, s16, 1
	v_cmp_lt_f64_e32 vcc, v[192:193], v[194:195]
	v_add_u32_e32 v183, 16, v183
	s_cmp_lg_u32 s20, s16
	v_cndmask_b32_e32 v173, v173, v189, vcc
	v_cndmask_b32_e32 v172, v172, v188, vcc
	;; [unrolled: 1-line block ×5, first 2 shown]
	s_cbranch_scc1 .LBB84_316
.LBB84_317:
	s_waitcnt lgkmcnt(0)
	v_cmp_eq_f64_e32 vcc, 0, v[172:173]
	v_cmp_eq_f64_e64 s[0:1], 0, v[174:175]
	s_and_b64 s[0:1], vcc, s[0:1]
	s_and_saveexec_b64 s[16:17], s[0:1]
	s_xor_b64 s[0:1], exec, s[16:17]
; %bb.318:
	v_cmp_ne_u32_e32 vcc, 0, v186
	s_nop 1
	v_cndmask_b32_e32 v186, 16, v186, vcc
; %bb.319:
	s_andn2_saveexec_b64 s[0:1], s[0:1]
	s_cbranch_execz .LBB84_325
; %bb.320:
	v_cmp_ngt_f64_e64 s[16:17], |v[172:173]|, |v[174:175]|
	s_and_saveexec_b64 s[18:19], s[16:17]
	s_xor_b64 s[16:17], exec, s[18:19]
	s_cbranch_execz .LBB84_322
; %bb.321:
	v_div_scale_f64 v[188:189], s[18:19], v[174:175], v[174:175], v[172:173]
	v_rcp_f64_e32 v[190:191], v[188:189]
	v_div_scale_f64 v[192:193], vcc, v[172:173], v[174:175], v[172:173]
	v_fma_f64 v[194:195], -v[188:189], v[190:191], 1.0
	v_fmac_f64_e32 v[190:191], v[190:191], v[194:195]
	v_fma_f64 v[194:195], -v[188:189], v[190:191], 1.0
	v_fmac_f64_e32 v[190:191], v[190:191], v[194:195]
	v_mul_f64 v[194:195], v[192:193], v[190:191]
	v_fma_f64 v[188:189], -v[188:189], v[194:195], v[192:193]
	v_div_fmas_f64 v[188:189], v[188:189], v[190:191], v[194:195]
	v_div_fixup_f64 v[188:189], v[188:189], v[174:175], v[172:173]
	v_fmac_f64_e32 v[174:175], v[172:173], v[188:189]
	v_div_scale_f64 v[172:173], s[18:19], v[174:175], v[174:175], 1.0
	v_rcp_f64_e32 v[190:191], v[172:173]
	s_nop 0
	v_fma_f64 v[192:193], -v[172:173], v[190:191], 1.0
	v_fmac_f64_e32 v[190:191], v[190:191], v[192:193]
	v_fma_f64 v[192:193], -v[172:173], v[190:191], 1.0
	v_fmac_f64_e32 v[190:191], v[190:191], v[192:193]
	v_div_scale_f64 v[192:193], vcc, 1.0, v[174:175], 1.0
	v_mul_f64 v[194:195], v[192:193], v[190:191]
	v_fma_f64 v[172:173], -v[172:173], v[194:195], v[192:193]
	s_nop 1
	v_div_fmas_f64 v[172:173], v[172:173], v[190:191], v[194:195]
	v_div_fixup_f64 v[174:175], v[172:173], v[174:175], 1.0
	v_mul_f64 v[172:173], v[188:189], v[174:175]
	v_xor_b32_e32 v175, 0x80000000, v175
.LBB84_322:
	s_andn2_saveexec_b64 s[16:17], s[16:17]
	s_cbranch_execz .LBB84_324
; %bb.323:
	v_div_scale_f64 v[188:189], s[18:19], v[172:173], v[172:173], v[174:175]
	v_rcp_f64_e32 v[190:191], v[188:189]
	v_div_scale_f64 v[192:193], vcc, v[174:175], v[172:173], v[174:175]
	v_fma_f64 v[194:195], -v[188:189], v[190:191], 1.0
	v_fmac_f64_e32 v[190:191], v[190:191], v[194:195]
	v_fma_f64 v[194:195], -v[188:189], v[190:191], 1.0
	v_fmac_f64_e32 v[190:191], v[190:191], v[194:195]
	v_mul_f64 v[194:195], v[192:193], v[190:191]
	v_fma_f64 v[188:189], -v[188:189], v[194:195], v[192:193]
	v_div_fmas_f64 v[188:189], v[188:189], v[190:191], v[194:195]
	v_div_fixup_f64 v[188:189], v[188:189], v[172:173], v[174:175]
	v_fmac_f64_e32 v[172:173], v[174:175], v[188:189]
	v_div_scale_f64 v[174:175], s[18:19], v[172:173], v[172:173], 1.0
	v_rcp_f64_e32 v[190:191], v[174:175]
	s_nop 0
	v_fma_f64 v[192:193], -v[174:175], v[190:191], 1.0
	v_fmac_f64_e32 v[190:191], v[190:191], v[192:193]
	v_fma_f64 v[192:193], -v[174:175], v[190:191], 1.0
	v_fmac_f64_e32 v[190:191], v[190:191], v[192:193]
	v_div_scale_f64 v[192:193], vcc, 1.0, v[172:173], 1.0
	v_mul_f64 v[194:195], v[192:193], v[190:191]
	v_fma_f64 v[174:175], -v[174:175], v[194:195], v[192:193]
	s_nop 1
	v_div_fmas_f64 v[174:175], v[174:175], v[190:191], v[194:195]
	v_div_fixup_f64 v[172:173], v[174:175], v[172:173], 1.0
	v_mul_f64 v[174:175], v[188:189], -v[172:173]
.LBB84_324:
	s_or_b64 exec, exec, s[16:17]
.LBB84_325:
	s_or_b64 exec, exec, s[0:1]
	v_cmp_ne_u32_e32 vcc, v185, v182
	s_and_saveexec_b64 s[0:1], vcc
	s_xor_b64 s[0:1], exec, s[0:1]
	s_cbranch_execz .LBB84_331
; %bb.326:
	v_cmp_eq_u32_e32 vcc, 15, v185
	s_and_saveexec_b64 s[16:17], vcc
	s_cbranch_execz .LBB84_330
; %bb.327:
	v_cmp_ne_u32_e32 vcc, 15, v182
	s_xor_b64 s[18:19], s[14:15], -1
	s_and_b64 s[22:23], s[18:19], vcc
	s_and_saveexec_b64 s[18:19], s[22:23]
	s_cbranch_execz .LBB84_329
; %bb.328:
	v_ashrrev_i32_e32 v183, 31, v182
	v_lshl_add_u64 v[188:189], v[182:183], 2, v[180:181]
	global_load_dword v183, v[188:189], off
	global_load_dword v185, v[180:181], off offset:60
	s_waitcnt vmcnt(1)
	global_store_dword v[180:181], v183, off offset:60
	s_waitcnt vmcnt(1)
	global_store_dword v[188:189], v185, off
.LBB84_329:
	s_or_b64 exec, exec, s[18:19]
	v_mov_b32_e32 v185, v182
	v_mov_b32_e32 v187, v182
.LBB84_330:
	s_or_b64 exec, exec, s[16:17]
.LBB84_331:
	s_andn2_saveexec_b64 s[0:1], s[0:1]
	s_cbranch_execz .LBB84_333
; %bb.332:
	v_mov_b32_e32 v185, 15
	s_waitcnt vmcnt(26)
	ds_write2_b64 v184, v[100:101], v[102:103] offset0:32 offset1:33
	s_waitcnt vmcnt(25)
	ds_write2_b64 v184, v[96:97], v[98:99] offset0:34 offset1:35
	;; [unrolled: 2-line block ×27, first 2 shown]
.LBB84_333:
	s_or_b64 exec, exec, s[0:1]
	v_cmp_lt_i32_e32 vcc, 15, v185
	s_waitcnt lgkmcnt(0)
	s_barrier
	s_and_saveexec_b64 s[0:1], vcc
	s_cbranch_execz .LBB84_335
; %bb.334:
	ds_read2_b64 v[188:191], v184 offset0:32 offset1:33
	v_mul_f64 v[182:183], v[174:175], v[110:111]
	v_mul_f64 v[110:111], v[172:173], v[110:111]
	v_fmac_f64_e32 v[110:111], v[174:175], v[108:109]
	v_fma_f64 v[182:183], v[172:173], v[108:109], -v[182:183]
	ds_read2_b64 v[172:175], v184 offset0:34 offset1:35
	s_waitcnt lgkmcnt(1)
	v_mul_f64 v[108:109], v[190:191], v[110:111]
	v_fma_f64 v[108:109], v[188:189], v[182:183], -v[108:109]
	v_mul_f64 v[188:189], v[188:189], v[110:111]
	v_fmac_f64_e32 v[188:189], v[190:191], v[182:183]
	s_waitcnt vmcnt(26)
	v_add_f64 v[102:103], v[102:103], -v[188:189]
	ds_read2_b64 v[188:191], v184 offset0:36 offset1:37
	v_add_f64 v[100:101], v[100:101], -v[108:109]
	s_waitcnt lgkmcnt(1)
	v_mul_f64 v[108:109], v[174:175], v[110:111]
	v_fma_f64 v[108:109], v[172:173], v[182:183], -v[108:109]
	v_mul_f64 v[172:173], v[172:173], v[110:111]
	v_fmac_f64_e32 v[172:173], v[174:175], v[182:183]
	s_waitcnt vmcnt(25)
	v_add_f64 v[96:97], v[96:97], -v[108:109]
	v_add_f64 v[98:99], v[98:99], -v[172:173]
	ds_read2_b64 v[172:175], v184 offset0:38 offset1:39
	s_waitcnt lgkmcnt(1)
	v_mul_f64 v[108:109], v[190:191], v[110:111]
	v_fma_f64 v[108:109], v[188:189], v[182:183], -v[108:109]
	v_mul_f64 v[188:189], v[188:189], v[110:111]
	v_fmac_f64_e32 v[188:189], v[190:191], v[182:183]
	s_waitcnt vmcnt(24)
	v_add_f64 v[94:95], v[94:95], -v[188:189]
	ds_read2_b64 v[188:191], v184 offset0:40 offset1:41
	v_add_f64 v[92:93], v[92:93], -v[108:109]
	s_waitcnt lgkmcnt(1)
	v_mul_f64 v[108:109], v[174:175], v[110:111]
	v_fma_f64 v[108:109], v[172:173], v[182:183], -v[108:109]
	v_mul_f64 v[172:173], v[172:173], v[110:111]
	v_fmac_f64_e32 v[172:173], v[174:175], v[182:183]
	s_waitcnt vmcnt(23)
	v_add_f64 v[88:89], v[88:89], -v[108:109]
	v_add_f64 v[90:91], v[90:91], -v[172:173]
	;; [unrolled: 18-line block ×13, first 2 shown]
	s_waitcnt lgkmcnt(0)
	v_mul_f64 v[108:109], v[190:191], v[110:111]
	v_mul_f64 v[172:173], v[188:189], v[110:111]
	v_fma_f64 v[108:109], v[188:189], v[182:183], -v[108:109]
	v_fmac_f64_e32 v[172:173], v[190:191], v[182:183]
	s_waitcnt vmcnt(0)
	v_add_f64 v[168:169], v[168:169], -v[108:109]
	v_add_f64 v[170:171], v[170:171], -v[172:173]
	v_mov_b64_e32 v[108:109], v[182:183]
.LBB84_335:
	s_or_b64 exec, exec, s[0:1]
	v_lshl_add_u32 v172, v185, 4, v184
	s_barrier
	s_waitcnt vmcnt(26)
	ds_write2_b64 v172, v[100:101], v[102:103] offset1:1
	s_waitcnt lgkmcnt(0)
	s_barrier
	ds_read2_b64 v[172:175], v184 offset0:32 offset1:33
	s_cmp_lt_i32 s20, 18
	v_mov_b32_e32 v182, 16
	s_cbranch_scc1 .LBB84_338
; %bb.336:
	v_add_u32_e32 v183, 0x110, v184
	s_mov_b32 s16, 17
	v_mov_b32_e32 v182, 16
.LBB84_337:                             ; =>This Inner Loop Header: Depth=1
	ds_read2_b64 v[188:191], v183 offset1:1
	s_waitcnt lgkmcnt(1)
	v_xor_b32_e32 v193, 0x80000000, v173
	v_xor_b32_e32 v195, 0x80000000, v175
	v_cmp_gt_f64_e32 vcc, 0, v[174:175]
	v_cmp_gt_f64_e64 s[0:1], 0, v[172:173]
	v_mov_b32_e32 v192, v172
	v_mov_b32_e32 v194, v174
	v_cndmask_b32_e64 v193, v173, v193, s[0:1]
	v_cndmask_b32_e32 v195, v175, v195, vcc
	v_add_f64 v[192:193], v[192:193], v[194:195]
	s_waitcnt lgkmcnt(0)
	v_xor_b32_e32 v195, 0x80000000, v189
	v_xor_b32_e32 v197, 0x80000000, v191
	v_cmp_gt_f64_e32 vcc, 0, v[190:191]
	v_cmp_gt_f64_e64 s[0:1], 0, v[188:189]
	v_mov_b32_e32 v194, v188
	v_mov_b32_e32 v196, v190
	v_cndmask_b32_e64 v195, v189, v195, s[0:1]
	v_cndmask_b32_e32 v197, v191, v197, vcc
	v_add_f64 v[194:195], v[194:195], v[196:197]
	v_mov_b32_e32 v198, s16
	s_add_i32 s16, s16, 1
	v_cmp_lt_f64_e32 vcc, v[192:193], v[194:195]
	v_add_u32_e32 v183, 16, v183
	s_cmp_lg_u32 s20, s16
	v_cndmask_b32_e32 v173, v173, v189, vcc
	v_cndmask_b32_e32 v172, v172, v188, vcc
	v_cndmask_b32_e32 v175, v175, v191, vcc
	v_cndmask_b32_e32 v174, v174, v190, vcc
	v_cndmask_b32_e32 v182, v182, v198, vcc
	s_cbranch_scc1 .LBB84_337
.LBB84_338:
	s_waitcnt lgkmcnt(0)
	v_cmp_eq_f64_e32 vcc, 0, v[172:173]
	v_cmp_eq_f64_e64 s[0:1], 0, v[174:175]
	s_and_b64 s[0:1], vcc, s[0:1]
	s_and_saveexec_b64 s[16:17], s[0:1]
	s_xor_b64 s[0:1], exec, s[16:17]
; %bb.339:
	v_cmp_ne_u32_e32 vcc, 0, v186
	s_nop 1
	v_cndmask_b32_e32 v186, 17, v186, vcc
; %bb.340:
	s_andn2_saveexec_b64 s[0:1], s[0:1]
	s_cbranch_execz .LBB84_346
; %bb.341:
	v_cmp_ngt_f64_e64 s[16:17], |v[172:173]|, |v[174:175]|
	s_and_saveexec_b64 s[18:19], s[16:17]
	s_xor_b64 s[16:17], exec, s[18:19]
	s_cbranch_execz .LBB84_343
; %bb.342:
	v_div_scale_f64 v[188:189], s[18:19], v[174:175], v[174:175], v[172:173]
	v_rcp_f64_e32 v[190:191], v[188:189]
	v_div_scale_f64 v[192:193], vcc, v[172:173], v[174:175], v[172:173]
	v_fma_f64 v[194:195], -v[188:189], v[190:191], 1.0
	v_fmac_f64_e32 v[190:191], v[190:191], v[194:195]
	v_fma_f64 v[194:195], -v[188:189], v[190:191], 1.0
	v_fmac_f64_e32 v[190:191], v[190:191], v[194:195]
	v_mul_f64 v[194:195], v[192:193], v[190:191]
	v_fma_f64 v[188:189], -v[188:189], v[194:195], v[192:193]
	v_div_fmas_f64 v[188:189], v[188:189], v[190:191], v[194:195]
	v_div_fixup_f64 v[188:189], v[188:189], v[174:175], v[172:173]
	v_fmac_f64_e32 v[174:175], v[172:173], v[188:189]
	v_div_scale_f64 v[172:173], s[18:19], v[174:175], v[174:175], 1.0
	v_rcp_f64_e32 v[190:191], v[172:173]
	s_nop 0
	v_fma_f64 v[192:193], -v[172:173], v[190:191], 1.0
	v_fmac_f64_e32 v[190:191], v[190:191], v[192:193]
	v_fma_f64 v[192:193], -v[172:173], v[190:191], 1.0
	v_fmac_f64_e32 v[190:191], v[190:191], v[192:193]
	v_div_scale_f64 v[192:193], vcc, 1.0, v[174:175], 1.0
	v_mul_f64 v[194:195], v[192:193], v[190:191]
	v_fma_f64 v[172:173], -v[172:173], v[194:195], v[192:193]
	s_nop 1
	v_div_fmas_f64 v[172:173], v[172:173], v[190:191], v[194:195]
	v_div_fixup_f64 v[174:175], v[172:173], v[174:175], 1.0
	v_mul_f64 v[172:173], v[188:189], v[174:175]
	v_xor_b32_e32 v175, 0x80000000, v175
.LBB84_343:
	s_andn2_saveexec_b64 s[16:17], s[16:17]
	s_cbranch_execz .LBB84_345
; %bb.344:
	v_div_scale_f64 v[188:189], s[18:19], v[172:173], v[172:173], v[174:175]
	v_rcp_f64_e32 v[190:191], v[188:189]
	v_div_scale_f64 v[192:193], vcc, v[174:175], v[172:173], v[174:175]
	v_fma_f64 v[194:195], -v[188:189], v[190:191], 1.0
	v_fmac_f64_e32 v[190:191], v[190:191], v[194:195]
	v_fma_f64 v[194:195], -v[188:189], v[190:191], 1.0
	v_fmac_f64_e32 v[190:191], v[190:191], v[194:195]
	v_mul_f64 v[194:195], v[192:193], v[190:191]
	v_fma_f64 v[188:189], -v[188:189], v[194:195], v[192:193]
	v_div_fmas_f64 v[188:189], v[188:189], v[190:191], v[194:195]
	v_div_fixup_f64 v[188:189], v[188:189], v[172:173], v[174:175]
	v_fmac_f64_e32 v[172:173], v[174:175], v[188:189]
	v_div_scale_f64 v[174:175], s[18:19], v[172:173], v[172:173], 1.0
	v_rcp_f64_e32 v[190:191], v[174:175]
	s_nop 0
	v_fma_f64 v[192:193], -v[174:175], v[190:191], 1.0
	v_fmac_f64_e32 v[190:191], v[190:191], v[192:193]
	v_fma_f64 v[192:193], -v[174:175], v[190:191], 1.0
	v_fmac_f64_e32 v[190:191], v[190:191], v[192:193]
	v_div_scale_f64 v[192:193], vcc, 1.0, v[172:173], 1.0
	v_mul_f64 v[194:195], v[192:193], v[190:191]
	v_fma_f64 v[174:175], -v[174:175], v[194:195], v[192:193]
	s_nop 1
	v_div_fmas_f64 v[174:175], v[174:175], v[190:191], v[194:195]
	v_div_fixup_f64 v[172:173], v[174:175], v[172:173], 1.0
	v_mul_f64 v[174:175], v[188:189], -v[172:173]
.LBB84_345:
	s_or_b64 exec, exec, s[16:17]
.LBB84_346:
	s_or_b64 exec, exec, s[0:1]
	v_cmp_ne_u32_e32 vcc, v185, v182
	s_and_saveexec_b64 s[0:1], vcc
	s_xor_b64 s[0:1], exec, s[0:1]
	s_cbranch_execz .LBB84_352
; %bb.347:
	v_cmp_eq_u32_e32 vcc, 16, v185
	s_and_saveexec_b64 s[16:17], vcc
	s_cbranch_execz .LBB84_351
; %bb.348:
	v_cmp_ne_u32_e32 vcc, 16, v182
	s_xor_b64 s[18:19], s[14:15], -1
	s_and_b64 s[22:23], s[18:19], vcc
	s_and_saveexec_b64 s[18:19], s[22:23]
	s_cbranch_execz .LBB84_350
; %bb.349:
	v_ashrrev_i32_e32 v183, 31, v182
	v_lshl_add_u64 v[188:189], v[182:183], 2, v[180:181]
	global_load_dword v183, v[188:189], off
	global_load_dword v185, v[180:181], off offset:64
	s_waitcnt vmcnt(1)
	global_store_dword v[180:181], v183, off offset:64
	s_waitcnt vmcnt(1)
	global_store_dword v[188:189], v185, off
.LBB84_350:
	s_or_b64 exec, exec, s[18:19]
	v_mov_b32_e32 v185, v182
	v_mov_b32_e32 v187, v182
.LBB84_351:
	s_or_b64 exec, exec, s[16:17]
.LBB84_352:
	s_andn2_saveexec_b64 s[0:1], s[0:1]
	s_cbranch_execz .LBB84_354
; %bb.353:
	v_mov_b32_e32 v185, 16
	s_waitcnt vmcnt(25)
	ds_write2_b64 v184, v[96:97], v[98:99] offset0:34 offset1:35
	s_waitcnt vmcnt(24)
	ds_write2_b64 v184, v[92:93], v[94:95] offset0:36 offset1:37
	;; [unrolled: 2-line block ×26, first 2 shown]
.LBB84_354:
	s_or_b64 exec, exec, s[0:1]
	v_cmp_lt_i32_e32 vcc, 16, v185
	s_waitcnt lgkmcnt(0)
	s_barrier
	s_and_saveexec_b64 s[0:1], vcc
	s_cbranch_execz .LBB84_356
; %bb.355:
	ds_read2_b64 v[188:191], v184 offset0:34 offset1:35
	v_mul_f64 v[182:183], v[174:175], v[102:103]
	v_mul_f64 v[102:103], v[172:173], v[102:103]
	v_fma_f64 v[182:183], v[172:173], v[100:101], -v[182:183]
	v_fmac_f64_e32 v[102:103], v[174:175], v[100:101]
	ds_read2_b64 v[172:175], v184 offset0:36 offset1:37
	s_waitcnt lgkmcnt(1)
	v_mul_f64 v[100:101], v[190:191], v[102:103]
	v_fma_f64 v[100:101], v[188:189], v[182:183], -v[100:101]
	v_mul_f64 v[188:189], v[188:189], v[102:103]
	v_fmac_f64_e32 v[188:189], v[190:191], v[182:183]
	s_waitcnt vmcnt(25)
	v_add_f64 v[96:97], v[96:97], -v[100:101]
	s_waitcnt lgkmcnt(0)
	v_mul_f64 v[100:101], v[174:175], v[102:103]
	v_add_f64 v[98:99], v[98:99], -v[188:189]
	v_fma_f64 v[100:101], v[172:173], v[182:183], -v[100:101]
	v_mul_f64 v[172:173], v[172:173], v[102:103]
	ds_read2_b64 v[188:191], v184 offset0:38 offset1:39
	v_fmac_f64_e32 v[172:173], v[174:175], v[182:183]
	s_waitcnt vmcnt(24)
	v_add_f64 v[94:95], v[94:95], -v[172:173]
	ds_read2_b64 v[172:175], v184 offset0:40 offset1:41
	v_add_f64 v[92:93], v[92:93], -v[100:101]
	s_waitcnt lgkmcnt(1)
	v_mul_f64 v[100:101], v[190:191], v[102:103]
	v_fma_f64 v[100:101], v[188:189], v[182:183], -v[100:101]
	v_mul_f64 v[188:189], v[188:189], v[102:103]
	v_fmac_f64_e32 v[188:189], v[190:191], v[182:183]
	s_waitcnt vmcnt(23)
	v_add_f64 v[88:89], v[88:89], -v[100:101]
	s_waitcnt lgkmcnt(0)
	v_mul_f64 v[100:101], v[174:175], v[102:103]
	v_add_f64 v[90:91], v[90:91], -v[188:189]
	v_fma_f64 v[100:101], v[172:173], v[182:183], -v[100:101]
	v_mul_f64 v[172:173], v[172:173], v[102:103]
	ds_read2_b64 v[188:191], v184 offset0:42 offset1:43
	v_fmac_f64_e32 v[172:173], v[174:175], v[182:183]
	s_waitcnt vmcnt(22)
	v_add_f64 v[86:87], v[86:87], -v[172:173]
	ds_read2_b64 v[172:175], v184 offset0:44 offset1:45
	v_add_f64 v[84:85], v[84:85], -v[100:101]
	;; [unrolled: 18-line block ×12, first 2 shown]
	s_waitcnt lgkmcnt(1)
	v_mul_f64 v[100:101], v[190:191], v[102:103]
	v_fma_f64 v[100:101], v[188:189], v[182:183], -v[100:101]
	s_waitcnt vmcnt(1)
	v_add_f64 v[0:1], v[0:1], -v[100:101]
	s_waitcnt lgkmcnt(0)
	v_mul_f64 v[100:101], v[174:175], v[102:103]
	v_mul_f64 v[188:189], v[188:189], v[102:103]
	v_fma_f64 v[100:101], v[172:173], v[182:183], -v[100:101]
	v_mul_f64 v[172:173], v[172:173], v[102:103]
	v_fmac_f64_e32 v[188:189], v[190:191], v[182:183]
	v_fmac_f64_e32 v[172:173], v[174:175], v[182:183]
	v_add_f64 v[2:3], v[2:3], -v[188:189]
	s_waitcnt vmcnt(0)
	v_add_f64 v[168:169], v[168:169], -v[100:101]
	v_add_f64 v[170:171], v[170:171], -v[172:173]
	v_mov_b64_e32 v[100:101], v[182:183]
.LBB84_356:
	s_or_b64 exec, exec, s[0:1]
	v_lshl_add_u32 v172, v185, 4, v184
	s_barrier
	s_waitcnt vmcnt(25)
	ds_write2_b64 v172, v[96:97], v[98:99] offset1:1
	s_waitcnt lgkmcnt(0)
	s_barrier
	ds_read2_b64 v[172:175], v184 offset0:34 offset1:35
	s_cmp_lt_i32 s20, 19
	v_mov_b32_e32 v182, 17
	s_cbranch_scc1 .LBB84_359
; %bb.357:
	v_add_u32_e32 v183, 0x120, v184
	s_mov_b32 s16, 18
	v_mov_b32_e32 v182, 17
.LBB84_358:                             ; =>This Inner Loop Header: Depth=1
	ds_read2_b64 v[188:191], v183 offset1:1
	s_waitcnt lgkmcnt(1)
	v_xor_b32_e32 v193, 0x80000000, v173
	v_xor_b32_e32 v195, 0x80000000, v175
	v_cmp_gt_f64_e32 vcc, 0, v[174:175]
	v_cmp_gt_f64_e64 s[0:1], 0, v[172:173]
	v_mov_b32_e32 v192, v172
	v_mov_b32_e32 v194, v174
	v_cndmask_b32_e64 v193, v173, v193, s[0:1]
	v_cndmask_b32_e32 v195, v175, v195, vcc
	v_add_f64 v[192:193], v[192:193], v[194:195]
	s_waitcnt lgkmcnt(0)
	v_xor_b32_e32 v195, 0x80000000, v189
	v_xor_b32_e32 v197, 0x80000000, v191
	v_cmp_gt_f64_e32 vcc, 0, v[190:191]
	v_cmp_gt_f64_e64 s[0:1], 0, v[188:189]
	v_mov_b32_e32 v194, v188
	v_mov_b32_e32 v196, v190
	v_cndmask_b32_e64 v195, v189, v195, s[0:1]
	v_cndmask_b32_e32 v197, v191, v197, vcc
	v_add_f64 v[194:195], v[194:195], v[196:197]
	v_mov_b32_e32 v198, s16
	s_add_i32 s16, s16, 1
	v_cmp_lt_f64_e32 vcc, v[192:193], v[194:195]
	v_add_u32_e32 v183, 16, v183
	s_cmp_lg_u32 s20, s16
	v_cndmask_b32_e32 v173, v173, v189, vcc
	v_cndmask_b32_e32 v172, v172, v188, vcc
	;; [unrolled: 1-line block ×5, first 2 shown]
	s_cbranch_scc1 .LBB84_358
.LBB84_359:
	s_waitcnt lgkmcnt(0)
	v_cmp_eq_f64_e32 vcc, 0, v[172:173]
	v_cmp_eq_f64_e64 s[0:1], 0, v[174:175]
	s_and_b64 s[0:1], vcc, s[0:1]
	s_and_saveexec_b64 s[16:17], s[0:1]
	s_xor_b64 s[0:1], exec, s[16:17]
; %bb.360:
	v_cmp_ne_u32_e32 vcc, 0, v186
	s_nop 1
	v_cndmask_b32_e32 v186, 18, v186, vcc
; %bb.361:
	s_andn2_saveexec_b64 s[0:1], s[0:1]
	s_cbranch_execz .LBB84_367
; %bb.362:
	v_cmp_ngt_f64_e64 s[16:17], |v[172:173]|, |v[174:175]|
	s_and_saveexec_b64 s[18:19], s[16:17]
	s_xor_b64 s[16:17], exec, s[18:19]
	s_cbranch_execz .LBB84_364
; %bb.363:
	v_div_scale_f64 v[188:189], s[18:19], v[174:175], v[174:175], v[172:173]
	v_rcp_f64_e32 v[190:191], v[188:189]
	v_div_scale_f64 v[192:193], vcc, v[172:173], v[174:175], v[172:173]
	v_fma_f64 v[194:195], -v[188:189], v[190:191], 1.0
	v_fmac_f64_e32 v[190:191], v[190:191], v[194:195]
	v_fma_f64 v[194:195], -v[188:189], v[190:191], 1.0
	v_fmac_f64_e32 v[190:191], v[190:191], v[194:195]
	v_mul_f64 v[194:195], v[192:193], v[190:191]
	v_fma_f64 v[188:189], -v[188:189], v[194:195], v[192:193]
	v_div_fmas_f64 v[188:189], v[188:189], v[190:191], v[194:195]
	v_div_fixup_f64 v[188:189], v[188:189], v[174:175], v[172:173]
	v_fmac_f64_e32 v[174:175], v[172:173], v[188:189]
	v_div_scale_f64 v[172:173], s[18:19], v[174:175], v[174:175], 1.0
	v_rcp_f64_e32 v[190:191], v[172:173]
	s_nop 0
	v_fma_f64 v[192:193], -v[172:173], v[190:191], 1.0
	v_fmac_f64_e32 v[190:191], v[190:191], v[192:193]
	v_fma_f64 v[192:193], -v[172:173], v[190:191], 1.0
	v_fmac_f64_e32 v[190:191], v[190:191], v[192:193]
	v_div_scale_f64 v[192:193], vcc, 1.0, v[174:175], 1.0
	v_mul_f64 v[194:195], v[192:193], v[190:191]
	v_fma_f64 v[172:173], -v[172:173], v[194:195], v[192:193]
	s_nop 1
	v_div_fmas_f64 v[172:173], v[172:173], v[190:191], v[194:195]
	v_div_fixup_f64 v[174:175], v[172:173], v[174:175], 1.0
	v_mul_f64 v[172:173], v[188:189], v[174:175]
	v_xor_b32_e32 v175, 0x80000000, v175
.LBB84_364:
	s_andn2_saveexec_b64 s[16:17], s[16:17]
	s_cbranch_execz .LBB84_366
; %bb.365:
	v_div_scale_f64 v[188:189], s[18:19], v[172:173], v[172:173], v[174:175]
	v_rcp_f64_e32 v[190:191], v[188:189]
	v_div_scale_f64 v[192:193], vcc, v[174:175], v[172:173], v[174:175]
	v_fma_f64 v[194:195], -v[188:189], v[190:191], 1.0
	v_fmac_f64_e32 v[190:191], v[190:191], v[194:195]
	v_fma_f64 v[194:195], -v[188:189], v[190:191], 1.0
	v_fmac_f64_e32 v[190:191], v[190:191], v[194:195]
	v_mul_f64 v[194:195], v[192:193], v[190:191]
	v_fma_f64 v[188:189], -v[188:189], v[194:195], v[192:193]
	v_div_fmas_f64 v[188:189], v[188:189], v[190:191], v[194:195]
	v_div_fixup_f64 v[188:189], v[188:189], v[172:173], v[174:175]
	v_fmac_f64_e32 v[172:173], v[174:175], v[188:189]
	v_div_scale_f64 v[174:175], s[18:19], v[172:173], v[172:173], 1.0
	v_rcp_f64_e32 v[190:191], v[174:175]
	s_nop 0
	v_fma_f64 v[192:193], -v[174:175], v[190:191], 1.0
	v_fmac_f64_e32 v[190:191], v[190:191], v[192:193]
	v_fma_f64 v[192:193], -v[174:175], v[190:191], 1.0
	v_fmac_f64_e32 v[190:191], v[190:191], v[192:193]
	v_div_scale_f64 v[192:193], vcc, 1.0, v[172:173], 1.0
	v_mul_f64 v[194:195], v[192:193], v[190:191]
	v_fma_f64 v[174:175], -v[174:175], v[194:195], v[192:193]
	s_nop 1
	v_div_fmas_f64 v[174:175], v[174:175], v[190:191], v[194:195]
	v_div_fixup_f64 v[172:173], v[174:175], v[172:173], 1.0
	v_mul_f64 v[174:175], v[188:189], -v[172:173]
.LBB84_366:
	s_or_b64 exec, exec, s[16:17]
.LBB84_367:
	s_or_b64 exec, exec, s[0:1]
	v_cmp_ne_u32_e32 vcc, v185, v182
	s_and_saveexec_b64 s[0:1], vcc
	s_xor_b64 s[0:1], exec, s[0:1]
	s_cbranch_execz .LBB84_373
; %bb.368:
	v_cmp_eq_u32_e32 vcc, 17, v185
	s_and_saveexec_b64 s[16:17], vcc
	s_cbranch_execz .LBB84_372
; %bb.369:
	v_cmp_ne_u32_e32 vcc, 17, v182
	s_xor_b64 s[18:19], s[14:15], -1
	s_and_b64 s[22:23], s[18:19], vcc
	s_and_saveexec_b64 s[18:19], s[22:23]
	s_cbranch_execz .LBB84_371
; %bb.370:
	v_ashrrev_i32_e32 v183, 31, v182
	v_lshl_add_u64 v[188:189], v[182:183], 2, v[180:181]
	global_load_dword v183, v[188:189], off
	global_load_dword v185, v[180:181], off offset:68
	s_waitcnt vmcnt(1)
	global_store_dword v[180:181], v183, off offset:68
	s_waitcnt vmcnt(1)
	global_store_dword v[188:189], v185, off
.LBB84_371:
	s_or_b64 exec, exec, s[18:19]
	v_mov_b32_e32 v185, v182
	v_mov_b32_e32 v187, v182
.LBB84_372:
	s_or_b64 exec, exec, s[16:17]
.LBB84_373:
	s_andn2_saveexec_b64 s[0:1], s[0:1]
	s_cbranch_execz .LBB84_375
; %bb.374:
	v_mov_b32_e32 v185, 17
	s_waitcnt vmcnt(24)
	ds_write2_b64 v184, v[92:93], v[94:95] offset0:36 offset1:37
	s_waitcnt vmcnt(23)
	ds_write2_b64 v184, v[88:89], v[90:91] offset0:38 offset1:39
	;; [unrolled: 2-line block ×25, first 2 shown]
.LBB84_375:
	s_or_b64 exec, exec, s[0:1]
	v_cmp_lt_i32_e32 vcc, 17, v185
	s_waitcnt lgkmcnt(0)
	s_barrier
	s_and_saveexec_b64 s[0:1], vcc
	s_cbranch_execz .LBB84_377
; %bb.376:
	ds_read2_b64 v[188:191], v184 offset0:36 offset1:37
	v_mul_f64 v[182:183], v[174:175], v[98:99]
	v_mul_f64 v[98:99], v[172:173], v[98:99]
	v_fmac_f64_e32 v[98:99], v[174:175], v[96:97]
	v_fma_f64 v[182:183], v[172:173], v[96:97], -v[182:183]
	ds_read2_b64 v[172:175], v184 offset0:38 offset1:39
	s_waitcnt lgkmcnt(1)
	v_mul_f64 v[96:97], v[190:191], v[98:99]
	v_fma_f64 v[96:97], v[188:189], v[182:183], -v[96:97]
	v_mul_f64 v[188:189], v[188:189], v[98:99]
	v_fmac_f64_e32 v[188:189], v[190:191], v[182:183]
	s_waitcnt vmcnt(24)
	v_add_f64 v[94:95], v[94:95], -v[188:189]
	ds_read2_b64 v[188:191], v184 offset0:40 offset1:41
	v_add_f64 v[92:93], v[92:93], -v[96:97]
	s_waitcnt lgkmcnt(1)
	v_mul_f64 v[96:97], v[174:175], v[98:99]
	v_fma_f64 v[96:97], v[172:173], v[182:183], -v[96:97]
	v_mul_f64 v[172:173], v[172:173], v[98:99]
	v_fmac_f64_e32 v[172:173], v[174:175], v[182:183]
	s_waitcnt vmcnt(23)
	v_add_f64 v[88:89], v[88:89], -v[96:97]
	v_add_f64 v[90:91], v[90:91], -v[172:173]
	ds_read2_b64 v[172:175], v184 offset0:42 offset1:43
	s_waitcnt lgkmcnt(1)
	v_mul_f64 v[96:97], v[190:191], v[98:99]
	v_fma_f64 v[96:97], v[188:189], v[182:183], -v[96:97]
	v_mul_f64 v[188:189], v[188:189], v[98:99]
	v_fmac_f64_e32 v[188:189], v[190:191], v[182:183]
	s_waitcnt vmcnt(22)
	v_add_f64 v[86:87], v[86:87], -v[188:189]
	ds_read2_b64 v[188:191], v184 offset0:44 offset1:45
	v_add_f64 v[84:85], v[84:85], -v[96:97]
	s_waitcnt lgkmcnt(1)
	v_mul_f64 v[96:97], v[174:175], v[98:99]
	v_fma_f64 v[96:97], v[172:173], v[182:183], -v[96:97]
	v_mul_f64 v[172:173], v[172:173], v[98:99]
	v_fmac_f64_e32 v[172:173], v[174:175], v[182:183]
	s_waitcnt vmcnt(21)
	v_add_f64 v[80:81], v[80:81], -v[96:97]
	v_add_f64 v[82:83], v[82:83], -v[172:173]
	;; [unrolled: 18-line block ×12, first 2 shown]
	s_waitcnt lgkmcnt(0)
	v_mul_f64 v[96:97], v[190:191], v[98:99]
	v_mul_f64 v[172:173], v[188:189], v[98:99]
	v_fma_f64 v[96:97], v[188:189], v[182:183], -v[96:97]
	v_fmac_f64_e32 v[172:173], v[190:191], v[182:183]
	s_waitcnt vmcnt(0)
	v_add_f64 v[168:169], v[168:169], -v[96:97]
	v_add_f64 v[170:171], v[170:171], -v[172:173]
	v_mov_b64_e32 v[96:97], v[182:183]
.LBB84_377:
	s_or_b64 exec, exec, s[0:1]
	v_lshl_add_u32 v172, v185, 4, v184
	s_barrier
	s_waitcnt vmcnt(24)
	ds_write2_b64 v172, v[92:93], v[94:95] offset1:1
	s_waitcnt lgkmcnt(0)
	s_barrier
	ds_read2_b64 v[172:175], v184 offset0:36 offset1:37
	s_cmp_lt_i32 s20, 20
	v_mov_b32_e32 v182, 18
	s_cbranch_scc1 .LBB84_380
; %bb.378:
	v_add_u32_e32 v183, 0x130, v184
	s_mov_b32 s16, 19
	v_mov_b32_e32 v182, 18
.LBB84_379:                             ; =>This Inner Loop Header: Depth=1
	ds_read2_b64 v[188:191], v183 offset1:1
	s_waitcnt lgkmcnt(1)
	v_xor_b32_e32 v193, 0x80000000, v173
	v_xor_b32_e32 v195, 0x80000000, v175
	v_cmp_gt_f64_e32 vcc, 0, v[174:175]
	v_cmp_gt_f64_e64 s[0:1], 0, v[172:173]
	v_mov_b32_e32 v192, v172
	v_mov_b32_e32 v194, v174
	v_cndmask_b32_e64 v193, v173, v193, s[0:1]
	v_cndmask_b32_e32 v195, v175, v195, vcc
	v_add_f64 v[192:193], v[192:193], v[194:195]
	s_waitcnt lgkmcnt(0)
	v_xor_b32_e32 v195, 0x80000000, v189
	v_xor_b32_e32 v197, 0x80000000, v191
	v_cmp_gt_f64_e32 vcc, 0, v[190:191]
	v_cmp_gt_f64_e64 s[0:1], 0, v[188:189]
	v_mov_b32_e32 v194, v188
	v_mov_b32_e32 v196, v190
	v_cndmask_b32_e64 v195, v189, v195, s[0:1]
	v_cndmask_b32_e32 v197, v191, v197, vcc
	v_add_f64 v[194:195], v[194:195], v[196:197]
	v_mov_b32_e32 v198, s16
	s_add_i32 s16, s16, 1
	v_cmp_lt_f64_e32 vcc, v[192:193], v[194:195]
	v_add_u32_e32 v183, 16, v183
	s_cmp_lg_u32 s20, s16
	v_cndmask_b32_e32 v173, v173, v189, vcc
	v_cndmask_b32_e32 v172, v172, v188, vcc
	;; [unrolled: 1-line block ×5, first 2 shown]
	s_cbranch_scc1 .LBB84_379
.LBB84_380:
	s_waitcnt lgkmcnt(0)
	v_cmp_eq_f64_e32 vcc, 0, v[172:173]
	v_cmp_eq_f64_e64 s[0:1], 0, v[174:175]
	s_and_b64 s[0:1], vcc, s[0:1]
	s_and_saveexec_b64 s[16:17], s[0:1]
	s_xor_b64 s[0:1], exec, s[16:17]
; %bb.381:
	v_cmp_ne_u32_e32 vcc, 0, v186
	s_nop 1
	v_cndmask_b32_e32 v186, 19, v186, vcc
; %bb.382:
	s_andn2_saveexec_b64 s[0:1], s[0:1]
	s_cbranch_execz .LBB84_388
; %bb.383:
	v_cmp_ngt_f64_e64 s[16:17], |v[172:173]|, |v[174:175]|
	s_and_saveexec_b64 s[18:19], s[16:17]
	s_xor_b64 s[16:17], exec, s[18:19]
	s_cbranch_execz .LBB84_385
; %bb.384:
	v_div_scale_f64 v[188:189], s[18:19], v[174:175], v[174:175], v[172:173]
	v_rcp_f64_e32 v[190:191], v[188:189]
	v_div_scale_f64 v[192:193], vcc, v[172:173], v[174:175], v[172:173]
	v_fma_f64 v[194:195], -v[188:189], v[190:191], 1.0
	v_fmac_f64_e32 v[190:191], v[190:191], v[194:195]
	v_fma_f64 v[194:195], -v[188:189], v[190:191], 1.0
	v_fmac_f64_e32 v[190:191], v[190:191], v[194:195]
	v_mul_f64 v[194:195], v[192:193], v[190:191]
	v_fma_f64 v[188:189], -v[188:189], v[194:195], v[192:193]
	v_div_fmas_f64 v[188:189], v[188:189], v[190:191], v[194:195]
	v_div_fixup_f64 v[188:189], v[188:189], v[174:175], v[172:173]
	v_fmac_f64_e32 v[174:175], v[172:173], v[188:189]
	v_div_scale_f64 v[172:173], s[18:19], v[174:175], v[174:175], 1.0
	v_rcp_f64_e32 v[190:191], v[172:173]
	s_nop 0
	v_fma_f64 v[192:193], -v[172:173], v[190:191], 1.0
	v_fmac_f64_e32 v[190:191], v[190:191], v[192:193]
	v_fma_f64 v[192:193], -v[172:173], v[190:191], 1.0
	v_fmac_f64_e32 v[190:191], v[190:191], v[192:193]
	v_div_scale_f64 v[192:193], vcc, 1.0, v[174:175], 1.0
	v_mul_f64 v[194:195], v[192:193], v[190:191]
	v_fma_f64 v[172:173], -v[172:173], v[194:195], v[192:193]
	s_nop 1
	v_div_fmas_f64 v[172:173], v[172:173], v[190:191], v[194:195]
	v_div_fixup_f64 v[174:175], v[172:173], v[174:175], 1.0
	v_mul_f64 v[172:173], v[188:189], v[174:175]
	v_xor_b32_e32 v175, 0x80000000, v175
.LBB84_385:
	s_andn2_saveexec_b64 s[16:17], s[16:17]
	s_cbranch_execz .LBB84_387
; %bb.386:
	v_div_scale_f64 v[188:189], s[18:19], v[172:173], v[172:173], v[174:175]
	v_rcp_f64_e32 v[190:191], v[188:189]
	v_div_scale_f64 v[192:193], vcc, v[174:175], v[172:173], v[174:175]
	v_fma_f64 v[194:195], -v[188:189], v[190:191], 1.0
	v_fmac_f64_e32 v[190:191], v[190:191], v[194:195]
	v_fma_f64 v[194:195], -v[188:189], v[190:191], 1.0
	v_fmac_f64_e32 v[190:191], v[190:191], v[194:195]
	v_mul_f64 v[194:195], v[192:193], v[190:191]
	v_fma_f64 v[188:189], -v[188:189], v[194:195], v[192:193]
	v_div_fmas_f64 v[188:189], v[188:189], v[190:191], v[194:195]
	v_div_fixup_f64 v[188:189], v[188:189], v[172:173], v[174:175]
	v_fmac_f64_e32 v[172:173], v[174:175], v[188:189]
	v_div_scale_f64 v[174:175], s[18:19], v[172:173], v[172:173], 1.0
	v_rcp_f64_e32 v[190:191], v[174:175]
	s_nop 0
	v_fma_f64 v[192:193], -v[174:175], v[190:191], 1.0
	v_fmac_f64_e32 v[190:191], v[190:191], v[192:193]
	v_fma_f64 v[192:193], -v[174:175], v[190:191], 1.0
	v_fmac_f64_e32 v[190:191], v[190:191], v[192:193]
	v_div_scale_f64 v[192:193], vcc, 1.0, v[172:173], 1.0
	v_mul_f64 v[194:195], v[192:193], v[190:191]
	v_fma_f64 v[174:175], -v[174:175], v[194:195], v[192:193]
	s_nop 1
	v_div_fmas_f64 v[174:175], v[174:175], v[190:191], v[194:195]
	v_div_fixup_f64 v[172:173], v[174:175], v[172:173], 1.0
	v_mul_f64 v[174:175], v[188:189], -v[172:173]
.LBB84_387:
	s_or_b64 exec, exec, s[16:17]
.LBB84_388:
	s_or_b64 exec, exec, s[0:1]
	v_cmp_ne_u32_e32 vcc, v185, v182
	s_and_saveexec_b64 s[0:1], vcc
	s_xor_b64 s[0:1], exec, s[0:1]
	s_cbranch_execz .LBB84_394
; %bb.389:
	v_cmp_eq_u32_e32 vcc, 18, v185
	s_and_saveexec_b64 s[16:17], vcc
	s_cbranch_execz .LBB84_393
; %bb.390:
	v_cmp_ne_u32_e32 vcc, 18, v182
	s_xor_b64 s[18:19], s[14:15], -1
	s_and_b64 s[22:23], s[18:19], vcc
	s_and_saveexec_b64 s[18:19], s[22:23]
	s_cbranch_execz .LBB84_392
; %bb.391:
	v_ashrrev_i32_e32 v183, 31, v182
	v_lshl_add_u64 v[188:189], v[182:183], 2, v[180:181]
	global_load_dword v183, v[188:189], off
	global_load_dword v185, v[180:181], off offset:72
	s_waitcnt vmcnt(1)
	global_store_dword v[180:181], v183, off offset:72
	s_waitcnt vmcnt(1)
	global_store_dword v[188:189], v185, off
.LBB84_392:
	s_or_b64 exec, exec, s[18:19]
	v_mov_b32_e32 v185, v182
	v_mov_b32_e32 v187, v182
.LBB84_393:
	s_or_b64 exec, exec, s[16:17]
.LBB84_394:
	s_andn2_saveexec_b64 s[0:1], s[0:1]
	s_cbranch_execz .LBB84_396
; %bb.395:
	v_mov_b32_e32 v185, 18
	s_waitcnt vmcnt(23)
	ds_write2_b64 v184, v[88:89], v[90:91] offset0:38 offset1:39
	s_waitcnt vmcnt(22)
	ds_write2_b64 v184, v[84:85], v[86:87] offset0:40 offset1:41
	;; [unrolled: 2-line block ×24, first 2 shown]
.LBB84_396:
	s_or_b64 exec, exec, s[0:1]
	v_cmp_lt_i32_e32 vcc, 18, v185
	s_waitcnt lgkmcnt(0)
	s_barrier
	s_and_saveexec_b64 s[0:1], vcc
	s_cbranch_execz .LBB84_398
; %bb.397:
	ds_read2_b64 v[188:191], v184 offset0:38 offset1:39
	v_mul_f64 v[182:183], v[174:175], v[94:95]
	v_mul_f64 v[94:95], v[172:173], v[94:95]
	v_fma_f64 v[182:183], v[172:173], v[92:93], -v[182:183]
	v_fmac_f64_e32 v[94:95], v[174:175], v[92:93]
	ds_read2_b64 v[172:175], v184 offset0:40 offset1:41
	s_waitcnt lgkmcnt(1)
	v_mul_f64 v[92:93], v[190:191], v[94:95]
	v_fma_f64 v[92:93], v[188:189], v[182:183], -v[92:93]
	v_mul_f64 v[188:189], v[188:189], v[94:95]
	v_fmac_f64_e32 v[188:189], v[190:191], v[182:183]
	s_waitcnt vmcnt(23)
	v_add_f64 v[88:89], v[88:89], -v[92:93]
	s_waitcnt lgkmcnt(0)
	v_mul_f64 v[92:93], v[174:175], v[94:95]
	v_add_f64 v[90:91], v[90:91], -v[188:189]
	v_fma_f64 v[92:93], v[172:173], v[182:183], -v[92:93]
	v_mul_f64 v[172:173], v[172:173], v[94:95]
	ds_read2_b64 v[188:191], v184 offset0:42 offset1:43
	v_fmac_f64_e32 v[172:173], v[174:175], v[182:183]
	s_waitcnt vmcnt(22)
	v_add_f64 v[86:87], v[86:87], -v[172:173]
	ds_read2_b64 v[172:175], v184 offset0:44 offset1:45
	v_add_f64 v[84:85], v[84:85], -v[92:93]
	s_waitcnt lgkmcnt(1)
	v_mul_f64 v[92:93], v[190:191], v[94:95]
	v_fma_f64 v[92:93], v[188:189], v[182:183], -v[92:93]
	v_mul_f64 v[188:189], v[188:189], v[94:95]
	v_fmac_f64_e32 v[188:189], v[190:191], v[182:183]
	s_waitcnt vmcnt(21)
	v_add_f64 v[80:81], v[80:81], -v[92:93]
	s_waitcnt lgkmcnt(0)
	v_mul_f64 v[92:93], v[174:175], v[94:95]
	v_add_f64 v[82:83], v[82:83], -v[188:189]
	v_fma_f64 v[92:93], v[172:173], v[182:183], -v[92:93]
	v_mul_f64 v[172:173], v[172:173], v[94:95]
	ds_read2_b64 v[188:191], v184 offset0:46 offset1:47
	v_fmac_f64_e32 v[172:173], v[174:175], v[182:183]
	s_waitcnt vmcnt(20)
	v_add_f64 v[78:79], v[78:79], -v[172:173]
	ds_read2_b64 v[172:175], v184 offset0:48 offset1:49
	v_add_f64 v[76:77], v[76:77], -v[92:93]
	;; [unrolled: 18-line block ×11, first 2 shown]
	s_waitcnt lgkmcnt(1)
	v_mul_f64 v[92:93], v[190:191], v[94:95]
	v_fma_f64 v[92:93], v[188:189], v[182:183], -v[92:93]
	s_waitcnt vmcnt(1)
	v_add_f64 v[0:1], v[0:1], -v[92:93]
	s_waitcnt lgkmcnt(0)
	v_mul_f64 v[92:93], v[174:175], v[94:95]
	v_mul_f64 v[188:189], v[188:189], v[94:95]
	v_fma_f64 v[92:93], v[172:173], v[182:183], -v[92:93]
	v_mul_f64 v[172:173], v[172:173], v[94:95]
	v_fmac_f64_e32 v[188:189], v[190:191], v[182:183]
	v_fmac_f64_e32 v[172:173], v[174:175], v[182:183]
	v_add_f64 v[2:3], v[2:3], -v[188:189]
	s_waitcnt vmcnt(0)
	v_add_f64 v[168:169], v[168:169], -v[92:93]
	v_add_f64 v[170:171], v[170:171], -v[172:173]
	v_mov_b64_e32 v[92:93], v[182:183]
.LBB84_398:
	s_or_b64 exec, exec, s[0:1]
	v_lshl_add_u32 v172, v185, 4, v184
	s_barrier
	s_waitcnt vmcnt(23)
	ds_write2_b64 v172, v[88:89], v[90:91] offset1:1
	s_waitcnt lgkmcnt(0)
	s_barrier
	ds_read2_b64 v[172:175], v184 offset0:38 offset1:39
	s_cmp_lt_i32 s20, 21
	v_mov_b32_e32 v182, 19
	s_cbranch_scc1 .LBB84_401
; %bb.399:
	v_add_u32_e32 v183, 0x140, v184
	s_mov_b32 s16, 20
	v_mov_b32_e32 v182, 19
.LBB84_400:                             ; =>This Inner Loop Header: Depth=1
	ds_read2_b64 v[188:191], v183 offset1:1
	s_waitcnt lgkmcnt(1)
	v_xor_b32_e32 v193, 0x80000000, v173
	v_xor_b32_e32 v195, 0x80000000, v175
	v_cmp_gt_f64_e32 vcc, 0, v[174:175]
	v_cmp_gt_f64_e64 s[0:1], 0, v[172:173]
	v_mov_b32_e32 v192, v172
	v_mov_b32_e32 v194, v174
	v_cndmask_b32_e64 v193, v173, v193, s[0:1]
	v_cndmask_b32_e32 v195, v175, v195, vcc
	v_add_f64 v[192:193], v[192:193], v[194:195]
	s_waitcnt lgkmcnt(0)
	v_xor_b32_e32 v195, 0x80000000, v189
	v_xor_b32_e32 v197, 0x80000000, v191
	v_cmp_gt_f64_e32 vcc, 0, v[190:191]
	v_cmp_gt_f64_e64 s[0:1], 0, v[188:189]
	v_mov_b32_e32 v194, v188
	v_mov_b32_e32 v196, v190
	v_cndmask_b32_e64 v195, v189, v195, s[0:1]
	v_cndmask_b32_e32 v197, v191, v197, vcc
	v_add_f64 v[194:195], v[194:195], v[196:197]
	v_mov_b32_e32 v198, s16
	s_add_i32 s16, s16, 1
	v_cmp_lt_f64_e32 vcc, v[192:193], v[194:195]
	v_add_u32_e32 v183, 16, v183
	s_cmp_lg_u32 s20, s16
	v_cndmask_b32_e32 v173, v173, v189, vcc
	v_cndmask_b32_e32 v172, v172, v188, vcc
	;; [unrolled: 1-line block ×5, first 2 shown]
	s_cbranch_scc1 .LBB84_400
.LBB84_401:
	s_waitcnt lgkmcnt(0)
	v_cmp_eq_f64_e32 vcc, 0, v[172:173]
	v_cmp_eq_f64_e64 s[0:1], 0, v[174:175]
	s_and_b64 s[0:1], vcc, s[0:1]
	s_and_saveexec_b64 s[16:17], s[0:1]
	s_xor_b64 s[0:1], exec, s[16:17]
; %bb.402:
	v_cmp_ne_u32_e32 vcc, 0, v186
	s_nop 1
	v_cndmask_b32_e32 v186, 20, v186, vcc
; %bb.403:
	s_andn2_saveexec_b64 s[0:1], s[0:1]
	s_cbranch_execz .LBB84_409
; %bb.404:
	v_cmp_ngt_f64_e64 s[16:17], |v[172:173]|, |v[174:175]|
	s_and_saveexec_b64 s[18:19], s[16:17]
	s_xor_b64 s[16:17], exec, s[18:19]
	s_cbranch_execz .LBB84_406
; %bb.405:
	v_div_scale_f64 v[188:189], s[18:19], v[174:175], v[174:175], v[172:173]
	v_rcp_f64_e32 v[190:191], v[188:189]
	v_div_scale_f64 v[192:193], vcc, v[172:173], v[174:175], v[172:173]
	v_fma_f64 v[194:195], -v[188:189], v[190:191], 1.0
	v_fmac_f64_e32 v[190:191], v[190:191], v[194:195]
	v_fma_f64 v[194:195], -v[188:189], v[190:191], 1.0
	v_fmac_f64_e32 v[190:191], v[190:191], v[194:195]
	v_mul_f64 v[194:195], v[192:193], v[190:191]
	v_fma_f64 v[188:189], -v[188:189], v[194:195], v[192:193]
	v_div_fmas_f64 v[188:189], v[188:189], v[190:191], v[194:195]
	v_div_fixup_f64 v[188:189], v[188:189], v[174:175], v[172:173]
	v_fmac_f64_e32 v[174:175], v[172:173], v[188:189]
	v_div_scale_f64 v[172:173], s[18:19], v[174:175], v[174:175], 1.0
	v_rcp_f64_e32 v[190:191], v[172:173]
	s_nop 0
	v_fma_f64 v[192:193], -v[172:173], v[190:191], 1.0
	v_fmac_f64_e32 v[190:191], v[190:191], v[192:193]
	v_fma_f64 v[192:193], -v[172:173], v[190:191], 1.0
	v_fmac_f64_e32 v[190:191], v[190:191], v[192:193]
	v_div_scale_f64 v[192:193], vcc, 1.0, v[174:175], 1.0
	v_mul_f64 v[194:195], v[192:193], v[190:191]
	v_fma_f64 v[172:173], -v[172:173], v[194:195], v[192:193]
	s_nop 1
	v_div_fmas_f64 v[172:173], v[172:173], v[190:191], v[194:195]
	v_div_fixup_f64 v[174:175], v[172:173], v[174:175], 1.0
	v_mul_f64 v[172:173], v[188:189], v[174:175]
	v_xor_b32_e32 v175, 0x80000000, v175
.LBB84_406:
	s_andn2_saveexec_b64 s[16:17], s[16:17]
	s_cbranch_execz .LBB84_408
; %bb.407:
	v_div_scale_f64 v[188:189], s[18:19], v[172:173], v[172:173], v[174:175]
	v_rcp_f64_e32 v[190:191], v[188:189]
	v_div_scale_f64 v[192:193], vcc, v[174:175], v[172:173], v[174:175]
	v_fma_f64 v[194:195], -v[188:189], v[190:191], 1.0
	v_fmac_f64_e32 v[190:191], v[190:191], v[194:195]
	v_fma_f64 v[194:195], -v[188:189], v[190:191], 1.0
	v_fmac_f64_e32 v[190:191], v[190:191], v[194:195]
	v_mul_f64 v[194:195], v[192:193], v[190:191]
	v_fma_f64 v[188:189], -v[188:189], v[194:195], v[192:193]
	v_div_fmas_f64 v[188:189], v[188:189], v[190:191], v[194:195]
	v_div_fixup_f64 v[188:189], v[188:189], v[172:173], v[174:175]
	v_fmac_f64_e32 v[172:173], v[174:175], v[188:189]
	v_div_scale_f64 v[174:175], s[18:19], v[172:173], v[172:173], 1.0
	v_rcp_f64_e32 v[190:191], v[174:175]
	s_nop 0
	v_fma_f64 v[192:193], -v[174:175], v[190:191], 1.0
	v_fmac_f64_e32 v[190:191], v[190:191], v[192:193]
	v_fma_f64 v[192:193], -v[174:175], v[190:191], 1.0
	v_fmac_f64_e32 v[190:191], v[190:191], v[192:193]
	v_div_scale_f64 v[192:193], vcc, 1.0, v[172:173], 1.0
	v_mul_f64 v[194:195], v[192:193], v[190:191]
	v_fma_f64 v[174:175], -v[174:175], v[194:195], v[192:193]
	s_nop 1
	v_div_fmas_f64 v[174:175], v[174:175], v[190:191], v[194:195]
	v_div_fixup_f64 v[172:173], v[174:175], v[172:173], 1.0
	v_mul_f64 v[174:175], v[188:189], -v[172:173]
.LBB84_408:
	s_or_b64 exec, exec, s[16:17]
.LBB84_409:
	s_or_b64 exec, exec, s[0:1]
	v_cmp_ne_u32_e32 vcc, v185, v182
	s_and_saveexec_b64 s[0:1], vcc
	s_xor_b64 s[0:1], exec, s[0:1]
	s_cbranch_execz .LBB84_415
; %bb.410:
	v_cmp_eq_u32_e32 vcc, 19, v185
	s_and_saveexec_b64 s[16:17], vcc
	s_cbranch_execz .LBB84_414
; %bb.411:
	v_cmp_ne_u32_e32 vcc, 19, v182
	s_xor_b64 s[18:19], s[14:15], -1
	s_and_b64 s[22:23], s[18:19], vcc
	s_and_saveexec_b64 s[18:19], s[22:23]
	s_cbranch_execz .LBB84_413
; %bb.412:
	v_ashrrev_i32_e32 v183, 31, v182
	v_lshl_add_u64 v[188:189], v[182:183], 2, v[180:181]
	global_load_dword v183, v[188:189], off
	global_load_dword v185, v[180:181], off offset:76
	s_waitcnt vmcnt(1)
	global_store_dword v[180:181], v183, off offset:76
	s_waitcnt vmcnt(1)
	global_store_dword v[188:189], v185, off
.LBB84_413:
	s_or_b64 exec, exec, s[18:19]
	v_mov_b32_e32 v185, v182
	v_mov_b32_e32 v187, v182
.LBB84_414:
	s_or_b64 exec, exec, s[16:17]
.LBB84_415:
	s_andn2_saveexec_b64 s[0:1], s[0:1]
	s_cbranch_execz .LBB84_417
; %bb.416:
	v_mov_b32_e32 v185, 19
	s_waitcnt vmcnt(22)
	ds_write2_b64 v184, v[84:85], v[86:87] offset0:40 offset1:41
	s_waitcnt vmcnt(21)
	ds_write2_b64 v184, v[80:81], v[82:83] offset0:42 offset1:43
	s_waitcnt vmcnt(20)
	ds_write2_b64 v184, v[76:77], v[78:79] offset0:44 offset1:45
	s_waitcnt vmcnt(19)
	ds_write2_b64 v184, v[72:73], v[74:75] offset0:46 offset1:47
	s_waitcnt vmcnt(18)
	ds_write2_b64 v184, v[68:69], v[70:71] offset0:48 offset1:49
	s_waitcnt vmcnt(17)
	ds_write2_b64 v184, v[64:65], v[66:67] offset0:50 offset1:51
	s_waitcnt vmcnt(16)
	ds_write2_b64 v184, v[60:61], v[62:63] offset0:52 offset1:53
	s_waitcnt vmcnt(15)
	ds_write2_b64 v184, v[56:57], v[58:59] offset0:54 offset1:55
	s_waitcnt vmcnt(14)
	ds_write2_b64 v184, v[52:53], v[54:55] offset0:56 offset1:57
	s_waitcnt vmcnt(13)
	ds_write2_b64 v184, v[48:49], v[50:51] offset0:58 offset1:59
	s_waitcnt vmcnt(12)
	ds_write2_b64 v184, v[44:45], v[46:47] offset0:60 offset1:61
	s_waitcnt vmcnt(11)
	ds_write2_b64 v184, v[40:41], v[42:43] offset0:62 offset1:63
	s_waitcnt vmcnt(10)
	ds_write2_b64 v184, v[36:37], v[38:39] offset0:64 offset1:65
	s_waitcnt vmcnt(9)
	ds_write2_b64 v184, v[32:33], v[34:35] offset0:66 offset1:67
	s_waitcnt vmcnt(8)
	ds_write2_b64 v184, v[28:29], v[30:31] offset0:68 offset1:69
	s_waitcnt vmcnt(7)
	ds_write2_b64 v184, v[24:25], v[26:27] offset0:70 offset1:71
	s_waitcnt vmcnt(6)
	ds_write2_b64 v184, v[20:21], v[22:23] offset0:72 offset1:73
	s_waitcnt vmcnt(5)
	ds_write2_b64 v184, v[16:17], v[18:19] offset0:74 offset1:75
	s_waitcnt vmcnt(4)
	ds_write2_b64 v184, v[12:13], v[14:15] offset0:76 offset1:77
	s_waitcnt vmcnt(3)
	ds_write2_b64 v184, v[8:9], v[10:11] offset0:78 offset1:79
	s_waitcnt vmcnt(2)
	ds_write2_b64 v184, v[4:5], v[6:7] offset0:80 offset1:81
	s_waitcnt vmcnt(1)
	ds_write2_b64 v184, v[0:1], v[2:3] offset0:82 offset1:83
	s_waitcnt vmcnt(0)
	ds_write2_b64 v184, v[168:169], v[170:171] offset0:84 offset1:85
.LBB84_417:
	s_or_b64 exec, exec, s[0:1]
	v_cmp_lt_i32_e32 vcc, 19, v185
	s_waitcnt lgkmcnt(0)
	s_barrier
	s_and_saveexec_b64 s[0:1], vcc
	s_cbranch_execz .LBB84_419
; %bb.418:
	ds_read2_b64 v[188:191], v184 offset0:40 offset1:41
	v_mul_f64 v[182:183], v[174:175], v[90:91]
	v_mul_f64 v[90:91], v[172:173], v[90:91]
	v_fmac_f64_e32 v[90:91], v[174:175], v[88:89]
	v_fma_f64 v[182:183], v[172:173], v[88:89], -v[182:183]
	ds_read2_b64 v[172:175], v184 offset0:42 offset1:43
	s_waitcnt lgkmcnt(1)
	v_mul_f64 v[88:89], v[190:191], v[90:91]
	v_fma_f64 v[88:89], v[188:189], v[182:183], -v[88:89]
	v_mul_f64 v[188:189], v[188:189], v[90:91]
	v_fmac_f64_e32 v[188:189], v[190:191], v[182:183]
	s_waitcnt vmcnt(22)
	v_add_f64 v[86:87], v[86:87], -v[188:189]
	ds_read2_b64 v[188:191], v184 offset0:44 offset1:45
	v_add_f64 v[84:85], v[84:85], -v[88:89]
	s_waitcnt lgkmcnt(1)
	v_mul_f64 v[88:89], v[174:175], v[90:91]
	v_fma_f64 v[88:89], v[172:173], v[182:183], -v[88:89]
	v_mul_f64 v[172:173], v[172:173], v[90:91]
	v_fmac_f64_e32 v[172:173], v[174:175], v[182:183]
	s_waitcnt vmcnt(21)
	v_add_f64 v[80:81], v[80:81], -v[88:89]
	v_add_f64 v[82:83], v[82:83], -v[172:173]
	ds_read2_b64 v[172:175], v184 offset0:46 offset1:47
	s_waitcnt lgkmcnt(1)
	v_mul_f64 v[88:89], v[190:191], v[90:91]
	v_fma_f64 v[88:89], v[188:189], v[182:183], -v[88:89]
	v_mul_f64 v[188:189], v[188:189], v[90:91]
	v_fmac_f64_e32 v[188:189], v[190:191], v[182:183]
	s_waitcnt vmcnt(20)
	v_add_f64 v[78:79], v[78:79], -v[188:189]
	ds_read2_b64 v[188:191], v184 offset0:48 offset1:49
	v_add_f64 v[76:77], v[76:77], -v[88:89]
	s_waitcnt lgkmcnt(1)
	v_mul_f64 v[88:89], v[174:175], v[90:91]
	v_fma_f64 v[88:89], v[172:173], v[182:183], -v[88:89]
	v_mul_f64 v[172:173], v[172:173], v[90:91]
	v_fmac_f64_e32 v[172:173], v[174:175], v[182:183]
	s_waitcnt vmcnt(19)
	v_add_f64 v[72:73], v[72:73], -v[88:89]
	v_add_f64 v[74:75], v[74:75], -v[172:173]
	;; [unrolled: 18-line block ×11, first 2 shown]
	s_waitcnt lgkmcnt(0)
	v_mul_f64 v[88:89], v[190:191], v[90:91]
	v_mul_f64 v[172:173], v[188:189], v[90:91]
	v_fma_f64 v[88:89], v[188:189], v[182:183], -v[88:89]
	v_fmac_f64_e32 v[172:173], v[190:191], v[182:183]
	s_waitcnt vmcnt(0)
	v_add_f64 v[168:169], v[168:169], -v[88:89]
	v_add_f64 v[170:171], v[170:171], -v[172:173]
	v_mov_b64_e32 v[88:89], v[182:183]
.LBB84_419:
	s_or_b64 exec, exec, s[0:1]
	v_lshl_add_u32 v172, v185, 4, v184
	s_barrier
	s_waitcnt vmcnt(22)
	ds_write2_b64 v172, v[84:85], v[86:87] offset1:1
	s_waitcnt lgkmcnt(0)
	s_barrier
	ds_read2_b64 v[172:175], v184 offset0:40 offset1:41
	s_cmp_lt_i32 s20, 22
	v_mov_b32_e32 v182, 20
	s_cbranch_scc1 .LBB84_422
; %bb.420:
	v_add_u32_e32 v183, 0x150, v184
	s_mov_b32 s16, 21
	v_mov_b32_e32 v182, 20
.LBB84_421:                             ; =>This Inner Loop Header: Depth=1
	ds_read2_b64 v[188:191], v183 offset1:1
	s_waitcnt lgkmcnt(1)
	v_xor_b32_e32 v193, 0x80000000, v173
	v_xor_b32_e32 v195, 0x80000000, v175
	v_cmp_gt_f64_e32 vcc, 0, v[174:175]
	v_cmp_gt_f64_e64 s[0:1], 0, v[172:173]
	v_mov_b32_e32 v192, v172
	v_mov_b32_e32 v194, v174
	v_cndmask_b32_e64 v193, v173, v193, s[0:1]
	v_cndmask_b32_e32 v195, v175, v195, vcc
	v_add_f64 v[192:193], v[192:193], v[194:195]
	s_waitcnt lgkmcnt(0)
	v_xor_b32_e32 v195, 0x80000000, v189
	v_xor_b32_e32 v197, 0x80000000, v191
	v_cmp_gt_f64_e32 vcc, 0, v[190:191]
	v_cmp_gt_f64_e64 s[0:1], 0, v[188:189]
	v_mov_b32_e32 v194, v188
	v_mov_b32_e32 v196, v190
	v_cndmask_b32_e64 v195, v189, v195, s[0:1]
	v_cndmask_b32_e32 v197, v191, v197, vcc
	v_add_f64 v[194:195], v[194:195], v[196:197]
	v_mov_b32_e32 v198, s16
	s_add_i32 s16, s16, 1
	v_cmp_lt_f64_e32 vcc, v[192:193], v[194:195]
	v_add_u32_e32 v183, 16, v183
	s_cmp_lg_u32 s20, s16
	v_cndmask_b32_e32 v173, v173, v189, vcc
	v_cndmask_b32_e32 v172, v172, v188, vcc
	;; [unrolled: 1-line block ×5, first 2 shown]
	s_cbranch_scc1 .LBB84_421
.LBB84_422:
	s_waitcnt lgkmcnt(0)
	v_cmp_eq_f64_e32 vcc, 0, v[172:173]
	v_cmp_eq_f64_e64 s[0:1], 0, v[174:175]
	s_and_b64 s[0:1], vcc, s[0:1]
	s_and_saveexec_b64 s[16:17], s[0:1]
	s_xor_b64 s[0:1], exec, s[16:17]
; %bb.423:
	v_cmp_ne_u32_e32 vcc, 0, v186
	s_nop 1
	v_cndmask_b32_e32 v186, 21, v186, vcc
; %bb.424:
	s_andn2_saveexec_b64 s[0:1], s[0:1]
	s_cbranch_execz .LBB84_430
; %bb.425:
	v_cmp_ngt_f64_e64 s[16:17], |v[172:173]|, |v[174:175]|
	s_and_saveexec_b64 s[18:19], s[16:17]
	s_xor_b64 s[16:17], exec, s[18:19]
	s_cbranch_execz .LBB84_427
; %bb.426:
	v_div_scale_f64 v[188:189], s[18:19], v[174:175], v[174:175], v[172:173]
	v_rcp_f64_e32 v[190:191], v[188:189]
	v_div_scale_f64 v[192:193], vcc, v[172:173], v[174:175], v[172:173]
	v_fma_f64 v[194:195], -v[188:189], v[190:191], 1.0
	v_fmac_f64_e32 v[190:191], v[190:191], v[194:195]
	v_fma_f64 v[194:195], -v[188:189], v[190:191], 1.0
	v_fmac_f64_e32 v[190:191], v[190:191], v[194:195]
	v_mul_f64 v[194:195], v[192:193], v[190:191]
	v_fma_f64 v[188:189], -v[188:189], v[194:195], v[192:193]
	v_div_fmas_f64 v[188:189], v[188:189], v[190:191], v[194:195]
	v_div_fixup_f64 v[188:189], v[188:189], v[174:175], v[172:173]
	v_fmac_f64_e32 v[174:175], v[172:173], v[188:189]
	v_div_scale_f64 v[172:173], s[18:19], v[174:175], v[174:175], 1.0
	v_rcp_f64_e32 v[190:191], v[172:173]
	s_nop 0
	v_fma_f64 v[192:193], -v[172:173], v[190:191], 1.0
	v_fmac_f64_e32 v[190:191], v[190:191], v[192:193]
	v_fma_f64 v[192:193], -v[172:173], v[190:191], 1.0
	v_fmac_f64_e32 v[190:191], v[190:191], v[192:193]
	v_div_scale_f64 v[192:193], vcc, 1.0, v[174:175], 1.0
	v_mul_f64 v[194:195], v[192:193], v[190:191]
	v_fma_f64 v[172:173], -v[172:173], v[194:195], v[192:193]
	s_nop 1
	v_div_fmas_f64 v[172:173], v[172:173], v[190:191], v[194:195]
	v_div_fixup_f64 v[174:175], v[172:173], v[174:175], 1.0
	v_mul_f64 v[172:173], v[188:189], v[174:175]
	v_xor_b32_e32 v175, 0x80000000, v175
.LBB84_427:
	s_andn2_saveexec_b64 s[16:17], s[16:17]
	s_cbranch_execz .LBB84_429
; %bb.428:
	v_div_scale_f64 v[188:189], s[18:19], v[172:173], v[172:173], v[174:175]
	v_rcp_f64_e32 v[190:191], v[188:189]
	v_div_scale_f64 v[192:193], vcc, v[174:175], v[172:173], v[174:175]
	v_fma_f64 v[194:195], -v[188:189], v[190:191], 1.0
	v_fmac_f64_e32 v[190:191], v[190:191], v[194:195]
	v_fma_f64 v[194:195], -v[188:189], v[190:191], 1.0
	v_fmac_f64_e32 v[190:191], v[190:191], v[194:195]
	v_mul_f64 v[194:195], v[192:193], v[190:191]
	v_fma_f64 v[188:189], -v[188:189], v[194:195], v[192:193]
	v_div_fmas_f64 v[188:189], v[188:189], v[190:191], v[194:195]
	v_div_fixup_f64 v[188:189], v[188:189], v[172:173], v[174:175]
	v_fmac_f64_e32 v[172:173], v[174:175], v[188:189]
	v_div_scale_f64 v[174:175], s[18:19], v[172:173], v[172:173], 1.0
	v_rcp_f64_e32 v[190:191], v[174:175]
	s_nop 0
	v_fma_f64 v[192:193], -v[174:175], v[190:191], 1.0
	v_fmac_f64_e32 v[190:191], v[190:191], v[192:193]
	v_fma_f64 v[192:193], -v[174:175], v[190:191], 1.0
	v_fmac_f64_e32 v[190:191], v[190:191], v[192:193]
	v_div_scale_f64 v[192:193], vcc, 1.0, v[172:173], 1.0
	v_mul_f64 v[194:195], v[192:193], v[190:191]
	v_fma_f64 v[174:175], -v[174:175], v[194:195], v[192:193]
	s_nop 1
	v_div_fmas_f64 v[174:175], v[174:175], v[190:191], v[194:195]
	v_div_fixup_f64 v[172:173], v[174:175], v[172:173], 1.0
	v_mul_f64 v[174:175], v[188:189], -v[172:173]
.LBB84_429:
	s_or_b64 exec, exec, s[16:17]
.LBB84_430:
	s_or_b64 exec, exec, s[0:1]
	v_cmp_ne_u32_e32 vcc, v185, v182
	s_and_saveexec_b64 s[0:1], vcc
	s_xor_b64 s[0:1], exec, s[0:1]
	s_cbranch_execz .LBB84_436
; %bb.431:
	v_cmp_eq_u32_e32 vcc, 20, v185
	s_and_saveexec_b64 s[16:17], vcc
	s_cbranch_execz .LBB84_435
; %bb.432:
	v_cmp_ne_u32_e32 vcc, 20, v182
	s_xor_b64 s[18:19], s[14:15], -1
	s_and_b64 s[22:23], s[18:19], vcc
	s_and_saveexec_b64 s[18:19], s[22:23]
	s_cbranch_execz .LBB84_434
; %bb.433:
	v_ashrrev_i32_e32 v183, 31, v182
	v_lshl_add_u64 v[188:189], v[182:183], 2, v[180:181]
	global_load_dword v183, v[188:189], off
	global_load_dword v185, v[180:181], off offset:80
	s_waitcnt vmcnt(1)
	global_store_dword v[180:181], v183, off offset:80
	s_waitcnt vmcnt(1)
	global_store_dword v[188:189], v185, off
.LBB84_434:
	s_or_b64 exec, exec, s[18:19]
	v_mov_b32_e32 v185, v182
	v_mov_b32_e32 v187, v182
.LBB84_435:
	s_or_b64 exec, exec, s[16:17]
.LBB84_436:
	s_andn2_saveexec_b64 s[0:1], s[0:1]
	s_cbranch_execz .LBB84_438
; %bb.437:
	v_mov_b32_e32 v185, 20
	s_waitcnt vmcnt(21)
	ds_write2_b64 v184, v[80:81], v[82:83] offset0:42 offset1:43
	s_waitcnt vmcnt(20)
	ds_write2_b64 v184, v[76:77], v[78:79] offset0:44 offset1:45
	;; [unrolled: 2-line block ×22, first 2 shown]
.LBB84_438:
	s_or_b64 exec, exec, s[0:1]
	v_cmp_lt_i32_e32 vcc, 20, v185
	s_waitcnt lgkmcnt(0)
	s_barrier
	s_and_saveexec_b64 s[0:1], vcc
	s_cbranch_execz .LBB84_440
; %bb.439:
	ds_read2_b64 v[188:191], v184 offset0:42 offset1:43
	v_mul_f64 v[182:183], v[174:175], v[86:87]
	v_mul_f64 v[86:87], v[172:173], v[86:87]
	v_fma_f64 v[182:183], v[172:173], v[84:85], -v[182:183]
	v_fmac_f64_e32 v[86:87], v[174:175], v[84:85]
	ds_read2_b64 v[172:175], v184 offset0:44 offset1:45
	s_waitcnt lgkmcnt(1)
	v_mul_f64 v[84:85], v[190:191], v[86:87]
	v_fma_f64 v[84:85], v[188:189], v[182:183], -v[84:85]
	v_mul_f64 v[188:189], v[188:189], v[86:87]
	v_fmac_f64_e32 v[188:189], v[190:191], v[182:183]
	s_waitcnt vmcnt(21)
	v_add_f64 v[80:81], v[80:81], -v[84:85]
	s_waitcnt lgkmcnt(0)
	v_mul_f64 v[84:85], v[174:175], v[86:87]
	v_add_f64 v[82:83], v[82:83], -v[188:189]
	v_fma_f64 v[84:85], v[172:173], v[182:183], -v[84:85]
	v_mul_f64 v[172:173], v[172:173], v[86:87]
	ds_read2_b64 v[188:191], v184 offset0:46 offset1:47
	v_fmac_f64_e32 v[172:173], v[174:175], v[182:183]
	s_waitcnt vmcnt(20)
	v_add_f64 v[78:79], v[78:79], -v[172:173]
	ds_read2_b64 v[172:175], v184 offset0:48 offset1:49
	v_add_f64 v[76:77], v[76:77], -v[84:85]
	s_waitcnt lgkmcnt(1)
	v_mul_f64 v[84:85], v[190:191], v[86:87]
	v_fma_f64 v[84:85], v[188:189], v[182:183], -v[84:85]
	v_mul_f64 v[188:189], v[188:189], v[86:87]
	v_fmac_f64_e32 v[188:189], v[190:191], v[182:183]
	s_waitcnt vmcnt(19)
	v_add_f64 v[72:73], v[72:73], -v[84:85]
	s_waitcnt lgkmcnt(0)
	v_mul_f64 v[84:85], v[174:175], v[86:87]
	v_add_f64 v[74:75], v[74:75], -v[188:189]
	v_fma_f64 v[84:85], v[172:173], v[182:183], -v[84:85]
	v_mul_f64 v[172:173], v[172:173], v[86:87]
	ds_read2_b64 v[188:191], v184 offset0:50 offset1:51
	v_fmac_f64_e32 v[172:173], v[174:175], v[182:183]
	s_waitcnt vmcnt(18)
	v_add_f64 v[70:71], v[70:71], -v[172:173]
	ds_read2_b64 v[172:175], v184 offset0:52 offset1:53
	v_add_f64 v[68:69], v[68:69], -v[84:85]
	;; [unrolled: 18-line block ×10, first 2 shown]
	s_waitcnt lgkmcnt(1)
	v_mul_f64 v[84:85], v[190:191], v[86:87]
	v_fma_f64 v[84:85], v[188:189], v[182:183], -v[84:85]
	s_waitcnt vmcnt(1)
	v_add_f64 v[0:1], v[0:1], -v[84:85]
	s_waitcnt lgkmcnt(0)
	v_mul_f64 v[84:85], v[174:175], v[86:87]
	v_mul_f64 v[188:189], v[188:189], v[86:87]
	v_fma_f64 v[84:85], v[172:173], v[182:183], -v[84:85]
	v_mul_f64 v[172:173], v[172:173], v[86:87]
	v_fmac_f64_e32 v[188:189], v[190:191], v[182:183]
	v_fmac_f64_e32 v[172:173], v[174:175], v[182:183]
	v_add_f64 v[2:3], v[2:3], -v[188:189]
	s_waitcnt vmcnt(0)
	v_add_f64 v[168:169], v[168:169], -v[84:85]
	v_add_f64 v[170:171], v[170:171], -v[172:173]
	v_mov_b64_e32 v[84:85], v[182:183]
.LBB84_440:
	s_or_b64 exec, exec, s[0:1]
	v_lshl_add_u32 v172, v185, 4, v184
	s_barrier
	s_waitcnt vmcnt(21)
	ds_write2_b64 v172, v[80:81], v[82:83] offset1:1
	s_waitcnt lgkmcnt(0)
	s_barrier
	ds_read2_b64 v[172:175], v184 offset0:42 offset1:43
	s_cmp_lt_i32 s20, 23
	v_mov_b32_e32 v182, 21
	s_cbranch_scc1 .LBB84_443
; %bb.441:
	v_add_u32_e32 v183, 0x160, v184
	s_mov_b32 s16, 22
	v_mov_b32_e32 v182, 21
.LBB84_442:                             ; =>This Inner Loop Header: Depth=1
	ds_read2_b64 v[188:191], v183 offset1:1
	s_waitcnt lgkmcnt(1)
	v_xor_b32_e32 v193, 0x80000000, v173
	v_xor_b32_e32 v195, 0x80000000, v175
	v_cmp_gt_f64_e32 vcc, 0, v[174:175]
	v_cmp_gt_f64_e64 s[0:1], 0, v[172:173]
	v_mov_b32_e32 v192, v172
	v_mov_b32_e32 v194, v174
	v_cndmask_b32_e64 v193, v173, v193, s[0:1]
	v_cndmask_b32_e32 v195, v175, v195, vcc
	v_add_f64 v[192:193], v[192:193], v[194:195]
	s_waitcnt lgkmcnt(0)
	v_xor_b32_e32 v195, 0x80000000, v189
	v_xor_b32_e32 v197, 0x80000000, v191
	v_cmp_gt_f64_e32 vcc, 0, v[190:191]
	v_cmp_gt_f64_e64 s[0:1], 0, v[188:189]
	v_mov_b32_e32 v194, v188
	v_mov_b32_e32 v196, v190
	v_cndmask_b32_e64 v195, v189, v195, s[0:1]
	v_cndmask_b32_e32 v197, v191, v197, vcc
	v_add_f64 v[194:195], v[194:195], v[196:197]
	v_mov_b32_e32 v198, s16
	s_add_i32 s16, s16, 1
	v_cmp_lt_f64_e32 vcc, v[192:193], v[194:195]
	v_add_u32_e32 v183, 16, v183
	s_cmp_lg_u32 s20, s16
	v_cndmask_b32_e32 v173, v173, v189, vcc
	v_cndmask_b32_e32 v172, v172, v188, vcc
	;; [unrolled: 1-line block ×5, first 2 shown]
	s_cbranch_scc1 .LBB84_442
.LBB84_443:
	s_waitcnt lgkmcnt(0)
	v_cmp_eq_f64_e32 vcc, 0, v[172:173]
	v_cmp_eq_f64_e64 s[0:1], 0, v[174:175]
	s_and_b64 s[0:1], vcc, s[0:1]
	s_and_saveexec_b64 s[16:17], s[0:1]
	s_xor_b64 s[0:1], exec, s[16:17]
; %bb.444:
	v_cmp_ne_u32_e32 vcc, 0, v186
	s_nop 1
	v_cndmask_b32_e32 v186, 22, v186, vcc
; %bb.445:
	s_andn2_saveexec_b64 s[0:1], s[0:1]
	s_cbranch_execz .LBB84_451
; %bb.446:
	v_cmp_ngt_f64_e64 s[16:17], |v[172:173]|, |v[174:175]|
	s_and_saveexec_b64 s[18:19], s[16:17]
	s_xor_b64 s[16:17], exec, s[18:19]
	s_cbranch_execz .LBB84_448
; %bb.447:
	v_div_scale_f64 v[188:189], s[18:19], v[174:175], v[174:175], v[172:173]
	v_rcp_f64_e32 v[190:191], v[188:189]
	v_div_scale_f64 v[192:193], vcc, v[172:173], v[174:175], v[172:173]
	v_fma_f64 v[194:195], -v[188:189], v[190:191], 1.0
	v_fmac_f64_e32 v[190:191], v[190:191], v[194:195]
	v_fma_f64 v[194:195], -v[188:189], v[190:191], 1.0
	v_fmac_f64_e32 v[190:191], v[190:191], v[194:195]
	v_mul_f64 v[194:195], v[192:193], v[190:191]
	v_fma_f64 v[188:189], -v[188:189], v[194:195], v[192:193]
	v_div_fmas_f64 v[188:189], v[188:189], v[190:191], v[194:195]
	v_div_fixup_f64 v[188:189], v[188:189], v[174:175], v[172:173]
	v_fmac_f64_e32 v[174:175], v[172:173], v[188:189]
	v_div_scale_f64 v[172:173], s[18:19], v[174:175], v[174:175], 1.0
	v_rcp_f64_e32 v[190:191], v[172:173]
	s_nop 0
	v_fma_f64 v[192:193], -v[172:173], v[190:191], 1.0
	v_fmac_f64_e32 v[190:191], v[190:191], v[192:193]
	v_fma_f64 v[192:193], -v[172:173], v[190:191], 1.0
	v_fmac_f64_e32 v[190:191], v[190:191], v[192:193]
	v_div_scale_f64 v[192:193], vcc, 1.0, v[174:175], 1.0
	v_mul_f64 v[194:195], v[192:193], v[190:191]
	v_fma_f64 v[172:173], -v[172:173], v[194:195], v[192:193]
	s_nop 1
	v_div_fmas_f64 v[172:173], v[172:173], v[190:191], v[194:195]
	v_div_fixup_f64 v[174:175], v[172:173], v[174:175], 1.0
	v_mul_f64 v[172:173], v[188:189], v[174:175]
	v_xor_b32_e32 v175, 0x80000000, v175
.LBB84_448:
	s_andn2_saveexec_b64 s[16:17], s[16:17]
	s_cbranch_execz .LBB84_450
; %bb.449:
	v_div_scale_f64 v[188:189], s[18:19], v[172:173], v[172:173], v[174:175]
	v_rcp_f64_e32 v[190:191], v[188:189]
	v_div_scale_f64 v[192:193], vcc, v[174:175], v[172:173], v[174:175]
	v_fma_f64 v[194:195], -v[188:189], v[190:191], 1.0
	v_fmac_f64_e32 v[190:191], v[190:191], v[194:195]
	v_fma_f64 v[194:195], -v[188:189], v[190:191], 1.0
	v_fmac_f64_e32 v[190:191], v[190:191], v[194:195]
	v_mul_f64 v[194:195], v[192:193], v[190:191]
	v_fma_f64 v[188:189], -v[188:189], v[194:195], v[192:193]
	v_div_fmas_f64 v[188:189], v[188:189], v[190:191], v[194:195]
	v_div_fixup_f64 v[188:189], v[188:189], v[172:173], v[174:175]
	v_fmac_f64_e32 v[172:173], v[174:175], v[188:189]
	v_div_scale_f64 v[174:175], s[18:19], v[172:173], v[172:173], 1.0
	v_rcp_f64_e32 v[190:191], v[174:175]
	s_nop 0
	v_fma_f64 v[192:193], -v[174:175], v[190:191], 1.0
	v_fmac_f64_e32 v[190:191], v[190:191], v[192:193]
	v_fma_f64 v[192:193], -v[174:175], v[190:191], 1.0
	v_fmac_f64_e32 v[190:191], v[190:191], v[192:193]
	v_div_scale_f64 v[192:193], vcc, 1.0, v[172:173], 1.0
	v_mul_f64 v[194:195], v[192:193], v[190:191]
	v_fma_f64 v[174:175], -v[174:175], v[194:195], v[192:193]
	s_nop 1
	v_div_fmas_f64 v[174:175], v[174:175], v[190:191], v[194:195]
	v_div_fixup_f64 v[172:173], v[174:175], v[172:173], 1.0
	v_mul_f64 v[174:175], v[188:189], -v[172:173]
.LBB84_450:
	s_or_b64 exec, exec, s[16:17]
.LBB84_451:
	s_or_b64 exec, exec, s[0:1]
	v_cmp_ne_u32_e32 vcc, v185, v182
	s_and_saveexec_b64 s[0:1], vcc
	s_xor_b64 s[0:1], exec, s[0:1]
	s_cbranch_execz .LBB84_457
; %bb.452:
	v_cmp_eq_u32_e32 vcc, 21, v185
	s_and_saveexec_b64 s[16:17], vcc
	s_cbranch_execz .LBB84_456
; %bb.453:
	v_cmp_ne_u32_e32 vcc, 21, v182
	s_xor_b64 s[18:19], s[14:15], -1
	s_and_b64 s[22:23], s[18:19], vcc
	s_and_saveexec_b64 s[18:19], s[22:23]
	s_cbranch_execz .LBB84_455
; %bb.454:
	v_ashrrev_i32_e32 v183, 31, v182
	v_lshl_add_u64 v[188:189], v[182:183], 2, v[180:181]
	global_load_dword v183, v[188:189], off
	global_load_dword v185, v[180:181], off offset:84
	s_waitcnt vmcnt(1)
	global_store_dword v[180:181], v183, off offset:84
	s_waitcnt vmcnt(1)
	global_store_dword v[188:189], v185, off
.LBB84_455:
	s_or_b64 exec, exec, s[18:19]
	v_mov_b32_e32 v185, v182
	v_mov_b32_e32 v187, v182
.LBB84_456:
	s_or_b64 exec, exec, s[16:17]
.LBB84_457:
	s_andn2_saveexec_b64 s[0:1], s[0:1]
	s_cbranch_execz .LBB84_459
; %bb.458:
	v_mov_b32_e32 v185, 21
	s_waitcnt vmcnt(20)
	ds_write2_b64 v184, v[76:77], v[78:79] offset0:44 offset1:45
	s_waitcnt vmcnt(19)
	ds_write2_b64 v184, v[72:73], v[74:75] offset0:46 offset1:47
	;; [unrolled: 2-line block ×21, first 2 shown]
.LBB84_459:
	s_or_b64 exec, exec, s[0:1]
	v_cmp_lt_i32_e32 vcc, 21, v185
	s_waitcnt lgkmcnt(0)
	s_barrier
	s_and_saveexec_b64 s[0:1], vcc
	s_cbranch_execz .LBB84_461
; %bb.460:
	ds_read2_b64 v[188:191], v184 offset0:44 offset1:45
	v_mul_f64 v[182:183], v[174:175], v[82:83]
	v_mul_f64 v[82:83], v[172:173], v[82:83]
	v_fmac_f64_e32 v[82:83], v[174:175], v[80:81]
	v_fma_f64 v[182:183], v[172:173], v[80:81], -v[182:183]
	ds_read2_b64 v[172:175], v184 offset0:46 offset1:47
	s_waitcnt lgkmcnt(1)
	v_mul_f64 v[80:81], v[190:191], v[82:83]
	v_fma_f64 v[80:81], v[188:189], v[182:183], -v[80:81]
	v_mul_f64 v[188:189], v[188:189], v[82:83]
	v_fmac_f64_e32 v[188:189], v[190:191], v[182:183]
	s_waitcnt vmcnt(20)
	v_add_f64 v[78:79], v[78:79], -v[188:189]
	ds_read2_b64 v[188:191], v184 offset0:48 offset1:49
	v_add_f64 v[76:77], v[76:77], -v[80:81]
	s_waitcnt lgkmcnt(1)
	v_mul_f64 v[80:81], v[174:175], v[82:83]
	v_fma_f64 v[80:81], v[172:173], v[182:183], -v[80:81]
	v_mul_f64 v[172:173], v[172:173], v[82:83]
	v_fmac_f64_e32 v[172:173], v[174:175], v[182:183]
	s_waitcnt vmcnt(19)
	v_add_f64 v[72:73], v[72:73], -v[80:81]
	v_add_f64 v[74:75], v[74:75], -v[172:173]
	ds_read2_b64 v[172:175], v184 offset0:50 offset1:51
	s_waitcnt lgkmcnt(1)
	v_mul_f64 v[80:81], v[190:191], v[82:83]
	v_fma_f64 v[80:81], v[188:189], v[182:183], -v[80:81]
	v_mul_f64 v[188:189], v[188:189], v[82:83]
	v_fmac_f64_e32 v[188:189], v[190:191], v[182:183]
	s_waitcnt vmcnt(18)
	v_add_f64 v[70:71], v[70:71], -v[188:189]
	ds_read2_b64 v[188:191], v184 offset0:52 offset1:53
	v_add_f64 v[68:69], v[68:69], -v[80:81]
	s_waitcnt lgkmcnt(1)
	v_mul_f64 v[80:81], v[174:175], v[82:83]
	v_fma_f64 v[80:81], v[172:173], v[182:183], -v[80:81]
	v_mul_f64 v[172:173], v[172:173], v[82:83]
	v_fmac_f64_e32 v[172:173], v[174:175], v[182:183]
	s_waitcnt vmcnt(17)
	v_add_f64 v[64:65], v[64:65], -v[80:81]
	v_add_f64 v[66:67], v[66:67], -v[172:173]
	ds_read2_b64 v[172:175], v184 offset0:54 offset1:55
	s_waitcnt lgkmcnt(1)
	v_mul_f64 v[80:81], v[190:191], v[82:83]
	v_fma_f64 v[80:81], v[188:189], v[182:183], -v[80:81]
	v_mul_f64 v[188:189], v[188:189], v[82:83]
	v_fmac_f64_e32 v[188:189], v[190:191], v[182:183]
	s_waitcnt vmcnt(16)
	v_add_f64 v[62:63], v[62:63], -v[188:189]
	ds_read2_b64 v[188:191], v184 offset0:56 offset1:57
	v_add_f64 v[60:61], v[60:61], -v[80:81]
	s_waitcnt lgkmcnt(1)
	v_mul_f64 v[80:81], v[174:175], v[82:83]
	v_fma_f64 v[80:81], v[172:173], v[182:183], -v[80:81]
	v_mul_f64 v[172:173], v[172:173], v[82:83]
	v_fmac_f64_e32 v[172:173], v[174:175], v[182:183]
	s_waitcnt vmcnt(15)
	v_add_f64 v[56:57], v[56:57], -v[80:81]
	v_add_f64 v[58:59], v[58:59], -v[172:173]
	ds_read2_b64 v[172:175], v184 offset0:58 offset1:59
	s_waitcnt lgkmcnt(1)
	v_mul_f64 v[80:81], v[190:191], v[82:83]
	v_fma_f64 v[80:81], v[188:189], v[182:183], -v[80:81]
	v_mul_f64 v[188:189], v[188:189], v[82:83]
	v_fmac_f64_e32 v[188:189], v[190:191], v[182:183]
	s_waitcnt vmcnt(14)
	v_add_f64 v[54:55], v[54:55], -v[188:189]
	ds_read2_b64 v[188:191], v184 offset0:60 offset1:61
	v_add_f64 v[52:53], v[52:53], -v[80:81]
	s_waitcnt lgkmcnt(1)
	v_mul_f64 v[80:81], v[174:175], v[82:83]
	v_fma_f64 v[80:81], v[172:173], v[182:183], -v[80:81]
	v_mul_f64 v[172:173], v[172:173], v[82:83]
	v_fmac_f64_e32 v[172:173], v[174:175], v[182:183]
	s_waitcnt vmcnt(13)
	v_add_f64 v[48:49], v[48:49], -v[80:81]
	v_add_f64 v[50:51], v[50:51], -v[172:173]
	ds_read2_b64 v[172:175], v184 offset0:62 offset1:63
	s_waitcnt lgkmcnt(1)
	v_mul_f64 v[80:81], v[190:191], v[82:83]
	v_fma_f64 v[80:81], v[188:189], v[182:183], -v[80:81]
	v_mul_f64 v[188:189], v[188:189], v[82:83]
	v_fmac_f64_e32 v[188:189], v[190:191], v[182:183]
	s_waitcnt vmcnt(12)
	v_add_f64 v[46:47], v[46:47], -v[188:189]
	ds_read2_b64 v[188:191], v184 offset0:64 offset1:65
	v_add_f64 v[44:45], v[44:45], -v[80:81]
	s_waitcnt lgkmcnt(1)
	v_mul_f64 v[80:81], v[174:175], v[82:83]
	v_fma_f64 v[80:81], v[172:173], v[182:183], -v[80:81]
	v_mul_f64 v[172:173], v[172:173], v[82:83]
	v_fmac_f64_e32 v[172:173], v[174:175], v[182:183]
	s_waitcnt vmcnt(11)
	v_add_f64 v[40:41], v[40:41], -v[80:81]
	v_add_f64 v[42:43], v[42:43], -v[172:173]
	ds_read2_b64 v[172:175], v184 offset0:66 offset1:67
	s_waitcnt lgkmcnt(1)
	v_mul_f64 v[80:81], v[190:191], v[82:83]
	v_fma_f64 v[80:81], v[188:189], v[182:183], -v[80:81]
	v_mul_f64 v[188:189], v[188:189], v[82:83]
	v_fmac_f64_e32 v[188:189], v[190:191], v[182:183]
	s_waitcnt vmcnt(10)
	v_add_f64 v[38:39], v[38:39], -v[188:189]
	ds_read2_b64 v[188:191], v184 offset0:68 offset1:69
	v_add_f64 v[36:37], v[36:37], -v[80:81]
	s_waitcnt lgkmcnt(1)
	v_mul_f64 v[80:81], v[174:175], v[82:83]
	v_fma_f64 v[80:81], v[172:173], v[182:183], -v[80:81]
	v_mul_f64 v[172:173], v[172:173], v[82:83]
	v_fmac_f64_e32 v[172:173], v[174:175], v[182:183]
	s_waitcnt vmcnt(9)
	v_add_f64 v[32:33], v[32:33], -v[80:81]
	v_add_f64 v[34:35], v[34:35], -v[172:173]
	ds_read2_b64 v[172:175], v184 offset0:70 offset1:71
	s_waitcnt lgkmcnt(1)
	v_mul_f64 v[80:81], v[190:191], v[82:83]
	v_fma_f64 v[80:81], v[188:189], v[182:183], -v[80:81]
	v_mul_f64 v[188:189], v[188:189], v[82:83]
	v_fmac_f64_e32 v[188:189], v[190:191], v[182:183]
	s_waitcnt vmcnt(8)
	v_add_f64 v[30:31], v[30:31], -v[188:189]
	ds_read2_b64 v[188:191], v184 offset0:72 offset1:73
	v_add_f64 v[28:29], v[28:29], -v[80:81]
	s_waitcnt lgkmcnt(1)
	v_mul_f64 v[80:81], v[174:175], v[82:83]
	v_fma_f64 v[80:81], v[172:173], v[182:183], -v[80:81]
	v_mul_f64 v[172:173], v[172:173], v[82:83]
	v_fmac_f64_e32 v[172:173], v[174:175], v[182:183]
	s_waitcnt vmcnt(7)
	v_add_f64 v[24:25], v[24:25], -v[80:81]
	v_add_f64 v[26:27], v[26:27], -v[172:173]
	ds_read2_b64 v[172:175], v184 offset0:74 offset1:75
	s_waitcnt lgkmcnt(1)
	v_mul_f64 v[80:81], v[190:191], v[82:83]
	v_fma_f64 v[80:81], v[188:189], v[182:183], -v[80:81]
	v_mul_f64 v[188:189], v[188:189], v[82:83]
	v_fmac_f64_e32 v[188:189], v[190:191], v[182:183]
	s_waitcnt vmcnt(6)
	v_add_f64 v[22:23], v[22:23], -v[188:189]
	ds_read2_b64 v[188:191], v184 offset0:76 offset1:77
	v_add_f64 v[20:21], v[20:21], -v[80:81]
	s_waitcnt lgkmcnt(1)
	v_mul_f64 v[80:81], v[174:175], v[82:83]
	v_fma_f64 v[80:81], v[172:173], v[182:183], -v[80:81]
	v_mul_f64 v[172:173], v[172:173], v[82:83]
	v_fmac_f64_e32 v[172:173], v[174:175], v[182:183]
	s_waitcnt vmcnt(5)
	v_add_f64 v[16:17], v[16:17], -v[80:81]
	v_add_f64 v[18:19], v[18:19], -v[172:173]
	ds_read2_b64 v[172:175], v184 offset0:78 offset1:79
	s_waitcnt lgkmcnt(1)
	v_mul_f64 v[80:81], v[190:191], v[82:83]
	v_fma_f64 v[80:81], v[188:189], v[182:183], -v[80:81]
	v_mul_f64 v[188:189], v[188:189], v[82:83]
	v_fmac_f64_e32 v[188:189], v[190:191], v[182:183]
	s_waitcnt vmcnt(4)
	v_add_f64 v[14:15], v[14:15], -v[188:189]
	ds_read2_b64 v[188:191], v184 offset0:80 offset1:81
	v_add_f64 v[12:13], v[12:13], -v[80:81]
	s_waitcnt lgkmcnt(1)
	v_mul_f64 v[80:81], v[174:175], v[82:83]
	v_fma_f64 v[80:81], v[172:173], v[182:183], -v[80:81]
	v_mul_f64 v[172:173], v[172:173], v[82:83]
	v_fmac_f64_e32 v[172:173], v[174:175], v[182:183]
	s_waitcnt vmcnt(3)
	v_add_f64 v[8:9], v[8:9], -v[80:81]
	v_add_f64 v[10:11], v[10:11], -v[172:173]
	ds_read2_b64 v[172:175], v184 offset0:82 offset1:83
	s_waitcnt lgkmcnt(1)
	v_mul_f64 v[80:81], v[190:191], v[82:83]
	v_fma_f64 v[80:81], v[188:189], v[182:183], -v[80:81]
	v_mul_f64 v[188:189], v[188:189], v[82:83]
	v_fmac_f64_e32 v[188:189], v[190:191], v[182:183]
	s_waitcnt vmcnt(2)
	v_add_f64 v[6:7], v[6:7], -v[188:189]
	ds_read2_b64 v[188:191], v184 offset0:84 offset1:85
	v_add_f64 v[4:5], v[4:5], -v[80:81]
	s_waitcnt lgkmcnt(1)
	v_mul_f64 v[80:81], v[174:175], v[82:83]
	v_fma_f64 v[80:81], v[172:173], v[182:183], -v[80:81]
	v_mul_f64 v[172:173], v[172:173], v[82:83]
	v_fmac_f64_e32 v[172:173], v[174:175], v[182:183]
	s_waitcnt vmcnt(1)
	v_add_f64 v[0:1], v[0:1], -v[80:81]
	v_add_f64 v[2:3], v[2:3], -v[172:173]
	s_waitcnt lgkmcnt(0)
	v_mul_f64 v[80:81], v[190:191], v[82:83]
	v_mul_f64 v[172:173], v[188:189], v[82:83]
	v_fma_f64 v[80:81], v[188:189], v[182:183], -v[80:81]
	v_fmac_f64_e32 v[172:173], v[190:191], v[182:183]
	s_waitcnt vmcnt(0)
	v_add_f64 v[168:169], v[168:169], -v[80:81]
	v_add_f64 v[170:171], v[170:171], -v[172:173]
	v_mov_b64_e32 v[80:81], v[182:183]
.LBB84_461:
	s_or_b64 exec, exec, s[0:1]
	v_lshl_add_u32 v172, v185, 4, v184
	s_barrier
	s_waitcnt vmcnt(20)
	ds_write2_b64 v172, v[76:77], v[78:79] offset1:1
	s_waitcnt lgkmcnt(0)
	s_barrier
	ds_read2_b64 v[172:175], v184 offset0:44 offset1:45
	s_cmp_lt_i32 s20, 24
	v_mov_b32_e32 v182, 22
	s_cbranch_scc1 .LBB84_464
; %bb.462:
	v_add_u32_e32 v183, 0x170, v184
	s_mov_b32 s16, 23
	v_mov_b32_e32 v182, 22
.LBB84_463:                             ; =>This Inner Loop Header: Depth=1
	ds_read2_b64 v[188:191], v183 offset1:1
	s_waitcnt lgkmcnt(1)
	v_xor_b32_e32 v193, 0x80000000, v173
	v_xor_b32_e32 v195, 0x80000000, v175
	v_cmp_gt_f64_e32 vcc, 0, v[174:175]
	v_cmp_gt_f64_e64 s[0:1], 0, v[172:173]
	v_mov_b32_e32 v192, v172
	v_mov_b32_e32 v194, v174
	v_cndmask_b32_e64 v193, v173, v193, s[0:1]
	v_cndmask_b32_e32 v195, v175, v195, vcc
	v_add_f64 v[192:193], v[192:193], v[194:195]
	s_waitcnt lgkmcnt(0)
	v_xor_b32_e32 v195, 0x80000000, v189
	v_xor_b32_e32 v197, 0x80000000, v191
	v_cmp_gt_f64_e32 vcc, 0, v[190:191]
	v_cmp_gt_f64_e64 s[0:1], 0, v[188:189]
	v_mov_b32_e32 v194, v188
	v_mov_b32_e32 v196, v190
	v_cndmask_b32_e64 v195, v189, v195, s[0:1]
	v_cndmask_b32_e32 v197, v191, v197, vcc
	v_add_f64 v[194:195], v[194:195], v[196:197]
	v_mov_b32_e32 v198, s16
	s_add_i32 s16, s16, 1
	v_cmp_lt_f64_e32 vcc, v[192:193], v[194:195]
	v_add_u32_e32 v183, 16, v183
	s_cmp_lg_u32 s20, s16
	v_cndmask_b32_e32 v173, v173, v189, vcc
	v_cndmask_b32_e32 v172, v172, v188, vcc
	;; [unrolled: 1-line block ×5, first 2 shown]
	s_cbranch_scc1 .LBB84_463
.LBB84_464:
	s_waitcnt lgkmcnt(0)
	v_cmp_eq_f64_e32 vcc, 0, v[172:173]
	v_cmp_eq_f64_e64 s[0:1], 0, v[174:175]
	s_and_b64 s[0:1], vcc, s[0:1]
	s_and_saveexec_b64 s[16:17], s[0:1]
	s_xor_b64 s[0:1], exec, s[16:17]
; %bb.465:
	v_cmp_ne_u32_e32 vcc, 0, v186
	s_nop 1
	v_cndmask_b32_e32 v186, 23, v186, vcc
; %bb.466:
	s_andn2_saveexec_b64 s[0:1], s[0:1]
	s_cbranch_execz .LBB84_472
; %bb.467:
	v_cmp_ngt_f64_e64 s[16:17], |v[172:173]|, |v[174:175]|
	s_and_saveexec_b64 s[18:19], s[16:17]
	s_xor_b64 s[16:17], exec, s[18:19]
	s_cbranch_execz .LBB84_469
; %bb.468:
	v_div_scale_f64 v[188:189], s[18:19], v[174:175], v[174:175], v[172:173]
	v_rcp_f64_e32 v[190:191], v[188:189]
	v_div_scale_f64 v[192:193], vcc, v[172:173], v[174:175], v[172:173]
	v_fma_f64 v[194:195], -v[188:189], v[190:191], 1.0
	v_fmac_f64_e32 v[190:191], v[190:191], v[194:195]
	v_fma_f64 v[194:195], -v[188:189], v[190:191], 1.0
	v_fmac_f64_e32 v[190:191], v[190:191], v[194:195]
	v_mul_f64 v[194:195], v[192:193], v[190:191]
	v_fma_f64 v[188:189], -v[188:189], v[194:195], v[192:193]
	v_div_fmas_f64 v[188:189], v[188:189], v[190:191], v[194:195]
	v_div_fixup_f64 v[188:189], v[188:189], v[174:175], v[172:173]
	v_fmac_f64_e32 v[174:175], v[172:173], v[188:189]
	v_div_scale_f64 v[172:173], s[18:19], v[174:175], v[174:175], 1.0
	v_rcp_f64_e32 v[190:191], v[172:173]
	s_nop 0
	v_fma_f64 v[192:193], -v[172:173], v[190:191], 1.0
	v_fmac_f64_e32 v[190:191], v[190:191], v[192:193]
	v_fma_f64 v[192:193], -v[172:173], v[190:191], 1.0
	v_fmac_f64_e32 v[190:191], v[190:191], v[192:193]
	v_div_scale_f64 v[192:193], vcc, 1.0, v[174:175], 1.0
	v_mul_f64 v[194:195], v[192:193], v[190:191]
	v_fma_f64 v[172:173], -v[172:173], v[194:195], v[192:193]
	s_nop 1
	v_div_fmas_f64 v[172:173], v[172:173], v[190:191], v[194:195]
	v_div_fixup_f64 v[174:175], v[172:173], v[174:175], 1.0
	v_mul_f64 v[172:173], v[188:189], v[174:175]
	v_xor_b32_e32 v175, 0x80000000, v175
.LBB84_469:
	s_andn2_saveexec_b64 s[16:17], s[16:17]
	s_cbranch_execz .LBB84_471
; %bb.470:
	v_div_scale_f64 v[188:189], s[18:19], v[172:173], v[172:173], v[174:175]
	v_rcp_f64_e32 v[190:191], v[188:189]
	v_div_scale_f64 v[192:193], vcc, v[174:175], v[172:173], v[174:175]
	v_fma_f64 v[194:195], -v[188:189], v[190:191], 1.0
	v_fmac_f64_e32 v[190:191], v[190:191], v[194:195]
	v_fma_f64 v[194:195], -v[188:189], v[190:191], 1.0
	v_fmac_f64_e32 v[190:191], v[190:191], v[194:195]
	v_mul_f64 v[194:195], v[192:193], v[190:191]
	v_fma_f64 v[188:189], -v[188:189], v[194:195], v[192:193]
	v_div_fmas_f64 v[188:189], v[188:189], v[190:191], v[194:195]
	v_div_fixup_f64 v[188:189], v[188:189], v[172:173], v[174:175]
	v_fmac_f64_e32 v[172:173], v[174:175], v[188:189]
	v_div_scale_f64 v[174:175], s[18:19], v[172:173], v[172:173], 1.0
	v_rcp_f64_e32 v[190:191], v[174:175]
	s_nop 0
	v_fma_f64 v[192:193], -v[174:175], v[190:191], 1.0
	v_fmac_f64_e32 v[190:191], v[190:191], v[192:193]
	v_fma_f64 v[192:193], -v[174:175], v[190:191], 1.0
	v_fmac_f64_e32 v[190:191], v[190:191], v[192:193]
	v_div_scale_f64 v[192:193], vcc, 1.0, v[172:173], 1.0
	v_mul_f64 v[194:195], v[192:193], v[190:191]
	v_fma_f64 v[174:175], -v[174:175], v[194:195], v[192:193]
	s_nop 1
	v_div_fmas_f64 v[174:175], v[174:175], v[190:191], v[194:195]
	v_div_fixup_f64 v[172:173], v[174:175], v[172:173], 1.0
	v_mul_f64 v[174:175], v[188:189], -v[172:173]
.LBB84_471:
	s_or_b64 exec, exec, s[16:17]
.LBB84_472:
	s_or_b64 exec, exec, s[0:1]
	v_cmp_ne_u32_e32 vcc, v185, v182
	s_and_saveexec_b64 s[0:1], vcc
	s_xor_b64 s[0:1], exec, s[0:1]
	s_cbranch_execz .LBB84_478
; %bb.473:
	v_cmp_eq_u32_e32 vcc, 22, v185
	s_and_saveexec_b64 s[16:17], vcc
	s_cbranch_execz .LBB84_477
; %bb.474:
	v_cmp_ne_u32_e32 vcc, 22, v182
	s_xor_b64 s[18:19], s[14:15], -1
	s_and_b64 s[22:23], s[18:19], vcc
	s_and_saveexec_b64 s[18:19], s[22:23]
	s_cbranch_execz .LBB84_476
; %bb.475:
	v_ashrrev_i32_e32 v183, 31, v182
	v_lshl_add_u64 v[188:189], v[182:183], 2, v[180:181]
	global_load_dword v183, v[188:189], off
	global_load_dword v185, v[180:181], off offset:88
	s_waitcnt vmcnt(1)
	global_store_dword v[180:181], v183, off offset:88
	s_waitcnt vmcnt(1)
	global_store_dword v[188:189], v185, off
.LBB84_476:
	s_or_b64 exec, exec, s[18:19]
	v_mov_b32_e32 v185, v182
	v_mov_b32_e32 v187, v182
.LBB84_477:
	s_or_b64 exec, exec, s[16:17]
.LBB84_478:
	s_andn2_saveexec_b64 s[0:1], s[0:1]
	s_cbranch_execz .LBB84_480
; %bb.479:
	v_mov_b32_e32 v185, 22
	s_waitcnt vmcnt(19)
	ds_write2_b64 v184, v[72:73], v[74:75] offset0:46 offset1:47
	s_waitcnt vmcnt(18)
	ds_write2_b64 v184, v[68:69], v[70:71] offset0:48 offset1:49
	;; [unrolled: 2-line block ×20, first 2 shown]
.LBB84_480:
	s_or_b64 exec, exec, s[0:1]
	v_cmp_lt_i32_e32 vcc, 22, v185
	s_waitcnt lgkmcnt(0)
	s_barrier
	s_and_saveexec_b64 s[0:1], vcc
	s_cbranch_execz .LBB84_482
; %bb.481:
	ds_read2_b64 v[188:191], v184 offset0:46 offset1:47
	v_mul_f64 v[182:183], v[174:175], v[78:79]
	v_mul_f64 v[78:79], v[172:173], v[78:79]
	v_fma_f64 v[182:183], v[172:173], v[76:77], -v[182:183]
	v_fmac_f64_e32 v[78:79], v[174:175], v[76:77]
	ds_read2_b64 v[172:175], v184 offset0:48 offset1:49
	s_waitcnt lgkmcnt(1)
	v_mul_f64 v[76:77], v[190:191], v[78:79]
	v_fma_f64 v[76:77], v[188:189], v[182:183], -v[76:77]
	v_mul_f64 v[188:189], v[188:189], v[78:79]
	v_fmac_f64_e32 v[188:189], v[190:191], v[182:183]
	s_waitcnt vmcnt(19)
	v_add_f64 v[72:73], v[72:73], -v[76:77]
	s_waitcnt lgkmcnt(0)
	v_mul_f64 v[76:77], v[174:175], v[78:79]
	v_add_f64 v[74:75], v[74:75], -v[188:189]
	v_fma_f64 v[76:77], v[172:173], v[182:183], -v[76:77]
	v_mul_f64 v[172:173], v[172:173], v[78:79]
	ds_read2_b64 v[188:191], v184 offset0:50 offset1:51
	v_fmac_f64_e32 v[172:173], v[174:175], v[182:183]
	s_waitcnt vmcnt(18)
	v_add_f64 v[70:71], v[70:71], -v[172:173]
	ds_read2_b64 v[172:175], v184 offset0:52 offset1:53
	v_add_f64 v[68:69], v[68:69], -v[76:77]
	s_waitcnt lgkmcnt(1)
	v_mul_f64 v[76:77], v[190:191], v[78:79]
	v_fma_f64 v[76:77], v[188:189], v[182:183], -v[76:77]
	v_mul_f64 v[188:189], v[188:189], v[78:79]
	v_fmac_f64_e32 v[188:189], v[190:191], v[182:183]
	s_waitcnt vmcnt(17)
	v_add_f64 v[64:65], v[64:65], -v[76:77]
	s_waitcnt lgkmcnt(0)
	v_mul_f64 v[76:77], v[174:175], v[78:79]
	v_add_f64 v[66:67], v[66:67], -v[188:189]
	v_fma_f64 v[76:77], v[172:173], v[182:183], -v[76:77]
	v_mul_f64 v[172:173], v[172:173], v[78:79]
	ds_read2_b64 v[188:191], v184 offset0:54 offset1:55
	v_fmac_f64_e32 v[172:173], v[174:175], v[182:183]
	s_waitcnt vmcnt(16)
	v_add_f64 v[62:63], v[62:63], -v[172:173]
	ds_read2_b64 v[172:175], v184 offset0:56 offset1:57
	v_add_f64 v[60:61], v[60:61], -v[76:77]
	;; [unrolled: 18-line block ×9, first 2 shown]
	s_waitcnt lgkmcnt(1)
	v_mul_f64 v[76:77], v[190:191], v[78:79]
	v_fma_f64 v[76:77], v[188:189], v[182:183], -v[76:77]
	s_waitcnt vmcnt(1)
	v_add_f64 v[0:1], v[0:1], -v[76:77]
	s_waitcnt lgkmcnt(0)
	v_mul_f64 v[76:77], v[174:175], v[78:79]
	v_mul_f64 v[188:189], v[188:189], v[78:79]
	v_fma_f64 v[76:77], v[172:173], v[182:183], -v[76:77]
	v_mul_f64 v[172:173], v[172:173], v[78:79]
	v_fmac_f64_e32 v[188:189], v[190:191], v[182:183]
	v_fmac_f64_e32 v[172:173], v[174:175], v[182:183]
	v_add_f64 v[2:3], v[2:3], -v[188:189]
	s_waitcnt vmcnt(0)
	v_add_f64 v[168:169], v[168:169], -v[76:77]
	v_add_f64 v[170:171], v[170:171], -v[172:173]
	v_mov_b64_e32 v[76:77], v[182:183]
.LBB84_482:
	s_or_b64 exec, exec, s[0:1]
	v_lshl_add_u32 v172, v185, 4, v184
	s_barrier
	s_waitcnt vmcnt(19)
	ds_write2_b64 v172, v[72:73], v[74:75] offset1:1
	s_waitcnt lgkmcnt(0)
	s_barrier
	ds_read2_b64 v[172:175], v184 offset0:46 offset1:47
	s_cmp_lt_i32 s20, 25
	v_mov_b32_e32 v182, 23
	s_cbranch_scc1 .LBB84_485
; %bb.483:
	v_add_u32_e32 v183, 0x180, v184
	s_mov_b32 s16, 24
	v_mov_b32_e32 v182, 23
.LBB84_484:                             ; =>This Inner Loop Header: Depth=1
	ds_read2_b64 v[188:191], v183 offset1:1
	s_waitcnt lgkmcnt(1)
	v_xor_b32_e32 v193, 0x80000000, v173
	v_xor_b32_e32 v195, 0x80000000, v175
	v_cmp_gt_f64_e32 vcc, 0, v[174:175]
	v_cmp_gt_f64_e64 s[0:1], 0, v[172:173]
	v_mov_b32_e32 v192, v172
	v_mov_b32_e32 v194, v174
	v_cndmask_b32_e64 v193, v173, v193, s[0:1]
	v_cndmask_b32_e32 v195, v175, v195, vcc
	v_add_f64 v[192:193], v[192:193], v[194:195]
	s_waitcnt lgkmcnt(0)
	v_xor_b32_e32 v195, 0x80000000, v189
	v_xor_b32_e32 v197, 0x80000000, v191
	v_cmp_gt_f64_e32 vcc, 0, v[190:191]
	v_cmp_gt_f64_e64 s[0:1], 0, v[188:189]
	v_mov_b32_e32 v194, v188
	v_mov_b32_e32 v196, v190
	v_cndmask_b32_e64 v195, v189, v195, s[0:1]
	v_cndmask_b32_e32 v197, v191, v197, vcc
	v_add_f64 v[194:195], v[194:195], v[196:197]
	v_mov_b32_e32 v198, s16
	s_add_i32 s16, s16, 1
	v_cmp_lt_f64_e32 vcc, v[192:193], v[194:195]
	v_add_u32_e32 v183, 16, v183
	s_cmp_lg_u32 s20, s16
	v_cndmask_b32_e32 v173, v173, v189, vcc
	v_cndmask_b32_e32 v172, v172, v188, vcc
	;; [unrolled: 1-line block ×5, first 2 shown]
	s_cbranch_scc1 .LBB84_484
.LBB84_485:
	s_waitcnt lgkmcnt(0)
	v_cmp_eq_f64_e32 vcc, 0, v[172:173]
	v_cmp_eq_f64_e64 s[0:1], 0, v[174:175]
	s_and_b64 s[0:1], vcc, s[0:1]
	s_and_saveexec_b64 s[16:17], s[0:1]
	s_xor_b64 s[0:1], exec, s[16:17]
; %bb.486:
	v_cmp_ne_u32_e32 vcc, 0, v186
	s_nop 1
	v_cndmask_b32_e32 v186, 24, v186, vcc
; %bb.487:
	s_andn2_saveexec_b64 s[0:1], s[0:1]
	s_cbranch_execz .LBB84_493
; %bb.488:
	v_cmp_ngt_f64_e64 s[16:17], |v[172:173]|, |v[174:175]|
	s_and_saveexec_b64 s[18:19], s[16:17]
	s_xor_b64 s[16:17], exec, s[18:19]
	s_cbranch_execz .LBB84_490
; %bb.489:
	v_div_scale_f64 v[188:189], s[18:19], v[174:175], v[174:175], v[172:173]
	v_rcp_f64_e32 v[190:191], v[188:189]
	v_div_scale_f64 v[192:193], vcc, v[172:173], v[174:175], v[172:173]
	v_fma_f64 v[194:195], -v[188:189], v[190:191], 1.0
	v_fmac_f64_e32 v[190:191], v[190:191], v[194:195]
	v_fma_f64 v[194:195], -v[188:189], v[190:191], 1.0
	v_fmac_f64_e32 v[190:191], v[190:191], v[194:195]
	v_mul_f64 v[194:195], v[192:193], v[190:191]
	v_fma_f64 v[188:189], -v[188:189], v[194:195], v[192:193]
	v_div_fmas_f64 v[188:189], v[188:189], v[190:191], v[194:195]
	v_div_fixup_f64 v[188:189], v[188:189], v[174:175], v[172:173]
	v_fmac_f64_e32 v[174:175], v[172:173], v[188:189]
	v_div_scale_f64 v[172:173], s[18:19], v[174:175], v[174:175], 1.0
	v_rcp_f64_e32 v[190:191], v[172:173]
	s_nop 0
	v_fma_f64 v[192:193], -v[172:173], v[190:191], 1.0
	v_fmac_f64_e32 v[190:191], v[190:191], v[192:193]
	v_fma_f64 v[192:193], -v[172:173], v[190:191], 1.0
	v_fmac_f64_e32 v[190:191], v[190:191], v[192:193]
	v_div_scale_f64 v[192:193], vcc, 1.0, v[174:175], 1.0
	v_mul_f64 v[194:195], v[192:193], v[190:191]
	v_fma_f64 v[172:173], -v[172:173], v[194:195], v[192:193]
	s_nop 1
	v_div_fmas_f64 v[172:173], v[172:173], v[190:191], v[194:195]
	v_div_fixup_f64 v[174:175], v[172:173], v[174:175], 1.0
	v_mul_f64 v[172:173], v[188:189], v[174:175]
	v_xor_b32_e32 v175, 0x80000000, v175
.LBB84_490:
	s_andn2_saveexec_b64 s[16:17], s[16:17]
	s_cbranch_execz .LBB84_492
; %bb.491:
	v_div_scale_f64 v[188:189], s[18:19], v[172:173], v[172:173], v[174:175]
	v_rcp_f64_e32 v[190:191], v[188:189]
	v_div_scale_f64 v[192:193], vcc, v[174:175], v[172:173], v[174:175]
	v_fma_f64 v[194:195], -v[188:189], v[190:191], 1.0
	v_fmac_f64_e32 v[190:191], v[190:191], v[194:195]
	v_fma_f64 v[194:195], -v[188:189], v[190:191], 1.0
	v_fmac_f64_e32 v[190:191], v[190:191], v[194:195]
	v_mul_f64 v[194:195], v[192:193], v[190:191]
	v_fma_f64 v[188:189], -v[188:189], v[194:195], v[192:193]
	v_div_fmas_f64 v[188:189], v[188:189], v[190:191], v[194:195]
	v_div_fixup_f64 v[188:189], v[188:189], v[172:173], v[174:175]
	v_fmac_f64_e32 v[172:173], v[174:175], v[188:189]
	v_div_scale_f64 v[174:175], s[18:19], v[172:173], v[172:173], 1.0
	v_rcp_f64_e32 v[190:191], v[174:175]
	s_nop 0
	v_fma_f64 v[192:193], -v[174:175], v[190:191], 1.0
	v_fmac_f64_e32 v[190:191], v[190:191], v[192:193]
	v_fma_f64 v[192:193], -v[174:175], v[190:191], 1.0
	v_fmac_f64_e32 v[190:191], v[190:191], v[192:193]
	v_div_scale_f64 v[192:193], vcc, 1.0, v[172:173], 1.0
	v_mul_f64 v[194:195], v[192:193], v[190:191]
	v_fma_f64 v[174:175], -v[174:175], v[194:195], v[192:193]
	s_nop 1
	v_div_fmas_f64 v[174:175], v[174:175], v[190:191], v[194:195]
	v_div_fixup_f64 v[172:173], v[174:175], v[172:173], 1.0
	v_mul_f64 v[174:175], v[188:189], -v[172:173]
.LBB84_492:
	s_or_b64 exec, exec, s[16:17]
.LBB84_493:
	s_or_b64 exec, exec, s[0:1]
	v_cmp_ne_u32_e32 vcc, v185, v182
	s_and_saveexec_b64 s[0:1], vcc
	s_xor_b64 s[0:1], exec, s[0:1]
	s_cbranch_execz .LBB84_499
; %bb.494:
	v_cmp_eq_u32_e32 vcc, 23, v185
	s_and_saveexec_b64 s[16:17], vcc
	s_cbranch_execz .LBB84_498
; %bb.495:
	v_cmp_ne_u32_e32 vcc, 23, v182
	s_xor_b64 s[18:19], s[14:15], -1
	s_and_b64 s[22:23], s[18:19], vcc
	s_and_saveexec_b64 s[18:19], s[22:23]
	s_cbranch_execz .LBB84_497
; %bb.496:
	v_ashrrev_i32_e32 v183, 31, v182
	v_lshl_add_u64 v[188:189], v[182:183], 2, v[180:181]
	global_load_dword v183, v[188:189], off
	global_load_dword v185, v[180:181], off offset:92
	s_waitcnt vmcnt(1)
	global_store_dword v[180:181], v183, off offset:92
	s_waitcnt vmcnt(1)
	global_store_dword v[188:189], v185, off
.LBB84_497:
	s_or_b64 exec, exec, s[18:19]
	v_mov_b32_e32 v185, v182
	v_mov_b32_e32 v187, v182
.LBB84_498:
	s_or_b64 exec, exec, s[16:17]
.LBB84_499:
	s_andn2_saveexec_b64 s[0:1], s[0:1]
	s_cbranch_execz .LBB84_501
; %bb.500:
	v_mov_b32_e32 v185, 23
	s_waitcnt vmcnt(18)
	ds_write2_b64 v184, v[68:69], v[70:71] offset0:48 offset1:49
	s_waitcnt vmcnt(17)
	ds_write2_b64 v184, v[64:65], v[66:67] offset0:50 offset1:51
	;; [unrolled: 2-line block ×19, first 2 shown]
.LBB84_501:
	s_or_b64 exec, exec, s[0:1]
	v_cmp_lt_i32_e32 vcc, 23, v185
	s_waitcnt lgkmcnt(0)
	s_barrier
	s_and_saveexec_b64 s[0:1], vcc
	s_cbranch_execz .LBB84_503
; %bb.502:
	ds_read2_b64 v[188:191], v184 offset0:48 offset1:49
	v_mul_f64 v[182:183], v[174:175], v[74:75]
	v_mul_f64 v[74:75], v[172:173], v[74:75]
	v_fmac_f64_e32 v[74:75], v[174:175], v[72:73]
	v_fma_f64 v[182:183], v[172:173], v[72:73], -v[182:183]
	ds_read2_b64 v[172:175], v184 offset0:50 offset1:51
	s_waitcnt lgkmcnt(1)
	v_mul_f64 v[72:73], v[190:191], v[74:75]
	v_fma_f64 v[72:73], v[188:189], v[182:183], -v[72:73]
	v_mul_f64 v[188:189], v[188:189], v[74:75]
	v_fmac_f64_e32 v[188:189], v[190:191], v[182:183]
	s_waitcnt vmcnt(18)
	v_add_f64 v[70:71], v[70:71], -v[188:189]
	ds_read2_b64 v[188:191], v184 offset0:52 offset1:53
	v_add_f64 v[68:69], v[68:69], -v[72:73]
	s_waitcnt lgkmcnt(1)
	v_mul_f64 v[72:73], v[174:175], v[74:75]
	v_fma_f64 v[72:73], v[172:173], v[182:183], -v[72:73]
	v_mul_f64 v[172:173], v[172:173], v[74:75]
	v_fmac_f64_e32 v[172:173], v[174:175], v[182:183]
	s_waitcnt vmcnt(17)
	v_add_f64 v[64:65], v[64:65], -v[72:73]
	v_add_f64 v[66:67], v[66:67], -v[172:173]
	ds_read2_b64 v[172:175], v184 offset0:54 offset1:55
	s_waitcnt lgkmcnt(1)
	v_mul_f64 v[72:73], v[190:191], v[74:75]
	v_fma_f64 v[72:73], v[188:189], v[182:183], -v[72:73]
	v_mul_f64 v[188:189], v[188:189], v[74:75]
	v_fmac_f64_e32 v[188:189], v[190:191], v[182:183]
	s_waitcnt vmcnt(16)
	v_add_f64 v[62:63], v[62:63], -v[188:189]
	ds_read2_b64 v[188:191], v184 offset0:56 offset1:57
	v_add_f64 v[60:61], v[60:61], -v[72:73]
	s_waitcnt lgkmcnt(1)
	v_mul_f64 v[72:73], v[174:175], v[74:75]
	v_fma_f64 v[72:73], v[172:173], v[182:183], -v[72:73]
	v_mul_f64 v[172:173], v[172:173], v[74:75]
	v_fmac_f64_e32 v[172:173], v[174:175], v[182:183]
	s_waitcnt vmcnt(15)
	v_add_f64 v[56:57], v[56:57], -v[72:73]
	v_add_f64 v[58:59], v[58:59], -v[172:173]
	;; [unrolled: 18-line block ×9, first 2 shown]
	s_waitcnt lgkmcnt(0)
	v_mul_f64 v[72:73], v[190:191], v[74:75]
	v_mul_f64 v[172:173], v[188:189], v[74:75]
	v_fma_f64 v[72:73], v[188:189], v[182:183], -v[72:73]
	v_fmac_f64_e32 v[172:173], v[190:191], v[182:183]
	s_waitcnt vmcnt(0)
	v_add_f64 v[168:169], v[168:169], -v[72:73]
	v_add_f64 v[170:171], v[170:171], -v[172:173]
	v_mov_b64_e32 v[72:73], v[182:183]
.LBB84_503:
	s_or_b64 exec, exec, s[0:1]
	v_lshl_add_u32 v172, v185, 4, v184
	s_barrier
	s_waitcnt vmcnt(18)
	ds_write2_b64 v172, v[68:69], v[70:71] offset1:1
	s_waitcnt lgkmcnt(0)
	s_barrier
	ds_read2_b64 v[172:175], v184 offset0:48 offset1:49
	s_cmp_lt_i32 s20, 26
	v_mov_b32_e32 v182, 24
	s_cbranch_scc1 .LBB84_506
; %bb.504:
	v_add_u32_e32 v183, 0x190, v184
	s_mov_b32 s16, 25
	v_mov_b32_e32 v182, 24
.LBB84_505:                             ; =>This Inner Loop Header: Depth=1
	ds_read2_b64 v[188:191], v183 offset1:1
	s_waitcnt lgkmcnt(1)
	v_xor_b32_e32 v193, 0x80000000, v173
	v_xor_b32_e32 v195, 0x80000000, v175
	v_cmp_gt_f64_e32 vcc, 0, v[174:175]
	v_cmp_gt_f64_e64 s[0:1], 0, v[172:173]
	v_mov_b32_e32 v192, v172
	v_mov_b32_e32 v194, v174
	v_cndmask_b32_e64 v193, v173, v193, s[0:1]
	v_cndmask_b32_e32 v195, v175, v195, vcc
	v_add_f64 v[192:193], v[192:193], v[194:195]
	s_waitcnt lgkmcnt(0)
	v_xor_b32_e32 v195, 0x80000000, v189
	v_xor_b32_e32 v197, 0x80000000, v191
	v_cmp_gt_f64_e32 vcc, 0, v[190:191]
	v_cmp_gt_f64_e64 s[0:1], 0, v[188:189]
	v_mov_b32_e32 v194, v188
	v_mov_b32_e32 v196, v190
	v_cndmask_b32_e64 v195, v189, v195, s[0:1]
	v_cndmask_b32_e32 v197, v191, v197, vcc
	v_add_f64 v[194:195], v[194:195], v[196:197]
	v_mov_b32_e32 v198, s16
	s_add_i32 s16, s16, 1
	v_cmp_lt_f64_e32 vcc, v[192:193], v[194:195]
	v_add_u32_e32 v183, 16, v183
	s_cmp_lg_u32 s20, s16
	v_cndmask_b32_e32 v173, v173, v189, vcc
	v_cndmask_b32_e32 v172, v172, v188, vcc
	;; [unrolled: 1-line block ×5, first 2 shown]
	s_cbranch_scc1 .LBB84_505
.LBB84_506:
	s_waitcnt lgkmcnt(0)
	v_cmp_eq_f64_e32 vcc, 0, v[172:173]
	v_cmp_eq_f64_e64 s[0:1], 0, v[174:175]
	s_and_b64 s[0:1], vcc, s[0:1]
	s_and_saveexec_b64 s[16:17], s[0:1]
	s_xor_b64 s[0:1], exec, s[16:17]
; %bb.507:
	v_cmp_ne_u32_e32 vcc, 0, v186
	s_nop 1
	v_cndmask_b32_e32 v186, 25, v186, vcc
; %bb.508:
	s_andn2_saveexec_b64 s[0:1], s[0:1]
	s_cbranch_execz .LBB84_514
; %bb.509:
	v_cmp_ngt_f64_e64 s[16:17], |v[172:173]|, |v[174:175]|
	s_and_saveexec_b64 s[18:19], s[16:17]
	s_xor_b64 s[16:17], exec, s[18:19]
	s_cbranch_execz .LBB84_511
; %bb.510:
	v_div_scale_f64 v[188:189], s[18:19], v[174:175], v[174:175], v[172:173]
	v_rcp_f64_e32 v[190:191], v[188:189]
	v_div_scale_f64 v[192:193], vcc, v[172:173], v[174:175], v[172:173]
	v_fma_f64 v[194:195], -v[188:189], v[190:191], 1.0
	v_fmac_f64_e32 v[190:191], v[190:191], v[194:195]
	v_fma_f64 v[194:195], -v[188:189], v[190:191], 1.0
	v_fmac_f64_e32 v[190:191], v[190:191], v[194:195]
	v_mul_f64 v[194:195], v[192:193], v[190:191]
	v_fma_f64 v[188:189], -v[188:189], v[194:195], v[192:193]
	v_div_fmas_f64 v[188:189], v[188:189], v[190:191], v[194:195]
	v_div_fixup_f64 v[188:189], v[188:189], v[174:175], v[172:173]
	v_fmac_f64_e32 v[174:175], v[172:173], v[188:189]
	v_div_scale_f64 v[172:173], s[18:19], v[174:175], v[174:175], 1.0
	v_rcp_f64_e32 v[190:191], v[172:173]
	s_nop 0
	v_fma_f64 v[192:193], -v[172:173], v[190:191], 1.0
	v_fmac_f64_e32 v[190:191], v[190:191], v[192:193]
	v_fma_f64 v[192:193], -v[172:173], v[190:191], 1.0
	v_fmac_f64_e32 v[190:191], v[190:191], v[192:193]
	v_div_scale_f64 v[192:193], vcc, 1.0, v[174:175], 1.0
	v_mul_f64 v[194:195], v[192:193], v[190:191]
	v_fma_f64 v[172:173], -v[172:173], v[194:195], v[192:193]
	s_nop 1
	v_div_fmas_f64 v[172:173], v[172:173], v[190:191], v[194:195]
	v_div_fixup_f64 v[174:175], v[172:173], v[174:175], 1.0
	v_mul_f64 v[172:173], v[188:189], v[174:175]
	v_xor_b32_e32 v175, 0x80000000, v175
.LBB84_511:
	s_andn2_saveexec_b64 s[16:17], s[16:17]
	s_cbranch_execz .LBB84_513
; %bb.512:
	v_div_scale_f64 v[188:189], s[18:19], v[172:173], v[172:173], v[174:175]
	v_rcp_f64_e32 v[190:191], v[188:189]
	v_div_scale_f64 v[192:193], vcc, v[174:175], v[172:173], v[174:175]
	v_fma_f64 v[194:195], -v[188:189], v[190:191], 1.0
	v_fmac_f64_e32 v[190:191], v[190:191], v[194:195]
	v_fma_f64 v[194:195], -v[188:189], v[190:191], 1.0
	v_fmac_f64_e32 v[190:191], v[190:191], v[194:195]
	v_mul_f64 v[194:195], v[192:193], v[190:191]
	v_fma_f64 v[188:189], -v[188:189], v[194:195], v[192:193]
	v_div_fmas_f64 v[188:189], v[188:189], v[190:191], v[194:195]
	v_div_fixup_f64 v[188:189], v[188:189], v[172:173], v[174:175]
	v_fmac_f64_e32 v[172:173], v[174:175], v[188:189]
	v_div_scale_f64 v[174:175], s[18:19], v[172:173], v[172:173], 1.0
	v_rcp_f64_e32 v[190:191], v[174:175]
	s_nop 0
	v_fma_f64 v[192:193], -v[174:175], v[190:191], 1.0
	v_fmac_f64_e32 v[190:191], v[190:191], v[192:193]
	v_fma_f64 v[192:193], -v[174:175], v[190:191], 1.0
	v_fmac_f64_e32 v[190:191], v[190:191], v[192:193]
	v_div_scale_f64 v[192:193], vcc, 1.0, v[172:173], 1.0
	v_mul_f64 v[194:195], v[192:193], v[190:191]
	v_fma_f64 v[174:175], -v[174:175], v[194:195], v[192:193]
	s_nop 1
	v_div_fmas_f64 v[174:175], v[174:175], v[190:191], v[194:195]
	v_div_fixup_f64 v[172:173], v[174:175], v[172:173], 1.0
	v_mul_f64 v[174:175], v[188:189], -v[172:173]
.LBB84_513:
	s_or_b64 exec, exec, s[16:17]
.LBB84_514:
	s_or_b64 exec, exec, s[0:1]
	v_cmp_ne_u32_e32 vcc, v185, v182
	s_and_saveexec_b64 s[0:1], vcc
	s_xor_b64 s[0:1], exec, s[0:1]
	s_cbranch_execz .LBB84_520
; %bb.515:
	v_cmp_eq_u32_e32 vcc, 24, v185
	s_and_saveexec_b64 s[16:17], vcc
	s_cbranch_execz .LBB84_519
; %bb.516:
	v_cmp_ne_u32_e32 vcc, 24, v182
	s_xor_b64 s[18:19], s[14:15], -1
	s_and_b64 s[22:23], s[18:19], vcc
	s_and_saveexec_b64 s[18:19], s[22:23]
	s_cbranch_execz .LBB84_518
; %bb.517:
	v_ashrrev_i32_e32 v183, 31, v182
	v_lshl_add_u64 v[188:189], v[182:183], 2, v[180:181]
	global_load_dword v183, v[188:189], off
	global_load_dword v185, v[180:181], off offset:96
	s_waitcnt vmcnt(1)
	global_store_dword v[180:181], v183, off offset:96
	s_waitcnt vmcnt(1)
	global_store_dword v[188:189], v185, off
.LBB84_518:
	s_or_b64 exec, exec, s[18:19]
	v_mov_b32_e32 v185, v182
	v_mov_b32_e32 v187, v182
.LBB84_519:
	s_or_b64 exec, exec, s[16:17]
.LBB84_520:
	s_andn2_saveexec_b64 s[0:1], s[0:1]
	s_cbranch_execz .LBB84_522
; %bb.521:
	v_mov_b32_e32 v185, 24
	s_waitcnt vmcnt(17)
	ds_write2_b64 v184, v[64:65], v[66:67] offset0:50 offset1:51
	s_waitcnt vmcnt(16)
	ds_write2_b64 v184, v[60:61], v[62:63] offset0:52 offset1:53
	;; [unrolled: 2-line block ×18, first 2 shown]
.LBB84_522:
	s_or_b64 exec, exec, s[0:1]
	v_cmp_lt_i32_e32 vcc, 24, v185
	s_waitcnt lgkmcnt(0)
	s_barrier
	s_and_saveexec_b64 s[0:1], vcc
	s_cbranch_execz .LBB84_524
; %bb.523:
	ds_read2_b64 v[188:191], v184 offset0:50 offset1:51
	v_mul_f64 v[182:183], v[174:175], v[70:71]
	v_mul_f64 v[70:71], v[172:173], v[70:71]
	v_fma_f64 v[182:183], v[172:173], v[68:69], -v[182:183]
	v_fmac_f64_e32 v[70:71], v[174:175], v[68:69]
	ds_read2_b64 v[172:175], v184 offset0:52 offset1:53
	s_waitcnt lgkmcnt(1)
	v_mul_f64 v[68:69], v[190:191], v[70:71]
	v_fma_f64 v[68:69], v[188:189], v[182:183], -v[68:69]
	v_mul_f64 v[188:189], v[188:189], v[70:71]
	v_fmac_f64_e32 v[188:189], v[190:191], v[182:183]
	s_waitcnt vmcnt(17)
	v_add_f64 v[64:65], v[64:65], -v[68:69]
	s_waitcnt lgkmcnt(0)
	v_mul_f64 v[68:69], v[174:175], v[70:71]
	v_add_f64 v[66:67], v[66:67], -v[188:189]
	v_fma_f64 v[68:69], v[172:173], v[182:183], -v[68:69]
	v_mul_f64 v[172:173], v[172:173], v[70:71]
	ds_read2_b64 v[188:191], v184 offset0:54 offset1:55
	v_fmac_f64_e32 v[172:173], v[174:175], v[182:183]
	s_waitcnt vmcnt(16)
	v_add_f64 v[62:63], v[62:63], -v[172:173]
	ds_read2_b64 v[172:175], v184 offset0:56 offset1:57
	v_add_f64 v[60:61], v[60:61], -v[68:69]
	s_waitcnt lgkmcnt(1)
	v_mul_f64 v[68:69], v[190:191], v[70:71]
	v_fma_f64 v[68:69], v[188:189], v[182:183], -v[68:69]
	v_mul_f64 v[188:189], v[188:189], v[70:71]
	v_fmac_f64_e32 v[188:189], v[190:191], v[182:183]
	s_waitcnt vmcnt(15)
	v_add_f64 v[56:57], v[56:57], -v[68:69]
	s_waitcnt lgkmcnt(0)
	v_mul_f64 v[68:69], v[174:175], v[70:71]
	v_add_f64 v[58:59], v[58:59], -v[188:189]
	v_fma_f64 v[68:69], v[172:173], v[182:183], -v[68:69]
	v_mul_f64 v[172:173], v[172:173], v[70:71]
	ds_read2_b64 v[188:191], v184 offset0:58 offset1:59
	v_fmac_f64_e32 v[172:173], v[174:175], v[182:183]
	s_waitcnt vmcnt(14)
	v_add_f64 v[54:55], v[54:55], -v[172:173]
	ds_read2_b64 v[172:175], v184 offset0:60 offset1:61
	v_add_f64 v[52:53], v[52:53], -v[68:69]
	;; [unrolled: 18-line block ×8, first 2 shown]
	s_waitcnt lgkmcnt(1)
	v_mul_f64 v[68:69], v[190:191], v[70:71]
	v_fma_f64 v[68:69], v[188:189], v[182:183], -v[68:69]
	s_waitcnt vmcnt(1)
	v_add_f64 v[0:1], v[0:1], -v[68:69]
	s_waitcnt lgkmcnt(0)
	v_mul_f64 v[68:69], v[174:175], v[70:71]
	v_mul_f64 v[188:189], v[188:189], v[70:71]
	v_fma_f64 v[68:69], v[172:173], v[182:183], -v[68:69]
	v_mul_f64 v[172:173], v[172:173], v[70:71]
	v_fmac_f64_e32 v[188:189], v[190:191], v[182:183]
	v_fmac_f64_e32 v[172:173], v[174:175], v[182:183]
	v_add_f64 v[2:3], v[2:3], -v[188:189]
	s_waitcnt vmcnt(0)
	v_add_f64 v[168:169], v[168:169], -v[68:69]
	v_add_f64 v[170:171], v[170:171], -v[172:173]
	v_mov_b64_e32 v[68:69], v[182:183]
.LBB84_524:
	s_or_b64 exec, exec, s[0:1]
	v_lshl_add_u32 v172, v185, 4, v184
	s_barrier
	s_waitcnt vmcnt(17)
	ds_write2_b64 v172, v[64:65], v[66:67] offset1:1
	s_waitcnt lgkmcnt(0)
	s_barrier
	ds_read2_b64 v[172:175], v184 offset0:50 offset1:51
	s_cmp_lt_i32 s20, 27
	v_mov_b32_e32 v182, 25
	s_cbranch_scc1 .LBB84_527
; %bb.525:
	v_add_u32_e32 v183, 0x1a0, v184
	s_mov_b32 s16, 26
	v_mov_b32_e32 v182, 25
.LBB84_526:                             ; =>This Inner Loop Header: Depth=1
	ds_read2_b64 v[188:191], v183 offset1:1
	s_waitcnt lgkmcnt(1)
	v_xor_b32_e32 v193, 0x80000000, v173
	v_xor_b32_e32 v195, 0x80000000, v175
	v_cmp_gt_f64_e32 vcc, 0, v[174:175]
	v_cmp_gt_f64_e64 s[0:1], 0, v[172:173]
	v_mov_b32_e32 v192, v172
	v_mov_b32_e32 v194, v174
	v_cndmask_b32_e64 v193, v173, v193, s[0:1]
	v_cndmask_b32_e32 v195, v175, v195, vcc
	v_add_f64 v[192:193], v[192:193], v[194:195]
	s_waitcnt lgkmcnt(0)
	v_xor_b32_e32 v195, 0x80000000, v189
	v_xor_b32_e32 v197, 0x80000000, v191
	v_cmp_gt_f64_e32 vcc, 0, v[190:191]
	v_cmp_gt_f64_e64 s[0:1], 0, v[188:189]
	v_mov_b32_e32 v194, v188
	v_mov_b32_e32 v196, v190
	v_cndmask_b32_e64 v195, v189, v195, s[0:1]
	v_cndmask_b32_e32 v197, v191, v197, vcc
	v_add_f64 v[194:195], v[194:195], v[196:197]
	v_mov_b32_e32 v198, s16
	s_add_i32 s16, s16, 1
	v_cmp_lt_f64_e32 vcc, v[192:193], v[194:195]
	v_add_u32_e32 v183, 16, v183
	s_cmp_lg_u32 s20, s16
	v_cndmask_b32_e32 v173, v173, v189, vcc
	v_cndmask_b32_e32 v172, v172, v188, vcc
	;; [unrolled: 1-line block ×5, first 2 shown]
	s_cbranch_scc1 .LBB84_526
.LBB84_527:
	s_waitcnt lgkmcnt(0)
	v_cmp_eq_f64_e32 vcc, 0, v[172:173]
	v_cmp_eq_f64_e64 s[0:1], 0, v[174:175]
	s_and_b64 s[0:1], vcc, s[0:1]
	s_and_saveexec_b64 s[16:17], s[0:1]
	s_xor_b64 s[0:1], exec, s[16:17]
; %bb.528:
	v_cmp_ne_u32_e32 vcc, 0, v186
	s_nop 1
	v_cndmask_b32_e32 v186, 26, v186, vcc
; %bb.529:
	s_andn2_saveexec_b64 s[0:1], s[0:1]
	s_cbranch_execz .LBB84_535
; %bb.530:
	v_cmp_ngt_f64_e64 s[16:17], |v[172:173]|, |v[174:175]|
	s_and_saveexec_b64 s[18:19], s[16:17]
	s_xor_b64 s[16:17], exec, s[18:19]
	s_cbranch_execz .LBB84_532
; %bb.531:
	v_div_scale_f64 v[188:189], s[18:19], v[174:175], v[174:175], v[172:173]
	v_rcp_f64_e32 v[190:191], v[188:189]
	v_div_scale_f64 v[192:193], vcc, v[172:173], v[174:175], v[172:173]
	v_fma_f64 v[194:195], -v[188:189], v[190:191], 1.0
	v_fmac_f64_e32 v[190:191], v[190:191], v[194:195]
	v_fma_f64 v[194:195], -v[188:189], v[190:191], 1.0
	v_fmac_f64_e32 v[190:191], v[190:191], v[194:195]
	v_mul_f64 v[194:195], v[192:193], v[190:191]
	v_fma_f64 v[188:189], -v[188:189], v[194:195], v[192:193]
	v_div_fmas_f64 v[188:189], v[188:189], v[190:191], v[194:195]
	v_div_fixup_f64 v[188:189], v[188:189], v[174:175], v[172:173]
	v_fmac_f64_e32 v[174:175], v[172:173], v[188:189]
	v_div_scale_f64 v[172:173], s[18:19], v[174:175], v[174:175], 1.0
	v_rcp_f64_e32 v[190:191], v[172:173]
	s_nop 0
	v_fma_f64 v[192:193], -v[172:173], v[190:191], 1.0
	v_fmac_f64_e32 v[190:191], v[190:191], v[192:193]
	v_fma_f64 v[192:193], -v[172:173], v[190:191], 1.0
	v_fmac_f64_e32 v[190:191], v[190:191], v[192:193]
	v_div_scale_f64 v[192:193], vcc, 1.0, v[174:175], 1.0
	v_mul_f64 v[194:195], v[192:193], v[190:191]
	v_fma_f64 v[172:173], -v[172:173], v[194:195], v[192:193]
	s_nop 1
	v_div_fmas_f64 v[172:173], v[172:173], v[190:191], v[194:195]
	v_div_fixup_f64 v[174:175], v[172:173], v[174:175], 1.0
	v_mul_f64 v[172:173], v[188:189], v[174:175]
	v_xor_b32_e32 v175, 0x80000000, v175
.LBB84_532:
	s_andn2_saveexec_b64 s[16:17], s[16:17]
	s_cbranch_execz .LBB84_534
; %bb.533:
	v_div_scale_f64 v[188:189], s[18:19], v[172:173], v[172:173], v[174:175]
	v_rcp_f64_e32 v[190:191], v[188:189]
	v_div_scale_f64 v[192:193], vcc, v[174:175], v[172:173], v[174:175]
	v_fma_f64 v[194:195], -v[188:189], v[190:191], 1.0
	v_fmac_f64_e32 v[190:191], v[190:191], v[194:195]
	v_fma_f64 v[194:195], -v[188:189], v[190:191], 1.0
	v_fmac_f64_e32 v[190:191], v[190:191], v[194:195]
	v_mul_f64 v[194:195], v[192:193], v[190:191]
	v_fma_f64 v[188:189], -v[188:189], v[194:195], v[192:193]
	v_div_fmas_f64 v[188:189], v[188:189], v[190:191], v[194:195]
	v_div_fixup_f64 v[188:189], v[188:189], v[172:173], v[174:175]
	v_fmac_f64_e32 v[172:173], v[174:175], v[188:189]
	v_div_scale_f64 v[174:175], s[18:19], v[172:173], v[172:173], 1.0
	v_rcp_f64_e32 v[190:191], v[174:175]
	s_nop 0
	v_fma_f64 v[192:193], -v[174:175], v[190:191], 1.0
	v_fmac_f64_e32 v[190:191], v[190:191], v[192:193]
	v_fma_f64 v[192:193], -v[174:175], v[190:191], 1.0
	v_fmac_f64_e32 v[190:191], v[190:191], v[192:193]
	v_div_scale_f64 v[192:193], vcc, 1.0, v[172:173], 1.0
	v_mul_f64 v[194:195], v[192:193], v[190:191]
	v_fma_f64 v[174:175], -v[174:175], v[194:195], v[192:193]
	s_nop 1
	v_div_fmas_f64 v[174:175], v[174:175], v[190:191], v[194:195]
	v_div_fixup_f64 v[172:173], v[174:175], v[172:173], 1.0
	v_mul_f64 v[174:175], v[188:189], -v[172:173]
.LBB84_534:
	s_or_b64 exec, exec, s[16:17]
.LBB84_535:
	s_or_b64 exec, exec, s[0:1]
	v_cmp_ne_u32_e32 vcc, v185, v182
	s_and_saveexec_b64 s[0:1], vcc
	s_xor_b64 s[0:1], exec, s[0:1]
	s_cbranch_execz .LBB84_541
; %bb.536:
	v_cmp_eq_u32_e32 vcc, 25, v185
	s_and_saveexec_b64 s[16:17], vcc
	s_cbranch_execz .LBB84_540
; %bb.537:
	v_cmp_ne_u32_e32 vcc, 25, v182
	s_xor_b64 s[18:19], s[14:15], -1
	s_and_b64 s[22:23], s[18:19], vcc
	s_and_saveexec_b64 s[18:19], s[22:23]
	s_cbranch_execz .LBB84_539
; %bb.538:
	v_ashrrev_i32_e32 v183, 31, v182
	v_lshl_add_u64 v[188:189], v[182:183], 2, v[180:181]
	global_load_dword v183, v[188:189], off
	global_load_dword v185, v[180:181], off offset:100
	s_waitcnt vmcnt(1)
	global_store_dword v[180:181], v183, off offset:100
	s_waitcnt vmcnt(1)
	global_store_dword v[188:189], v185, off
.LBB84_539:
	s_or_b64 exec, exec, s[18:19]
	v_mov_b32_e32 v185, v182
	v_mov_b32_e32 v187, v182
.LBB84_540:
	s_or_b64 exec, exec, s[16:17]
.LBB84_541:
	s_andn2_saveexec_b64 s[0:1], s[0:1]
	s_cbranch_execz .LBB84_543
; %bb.542:
	v_mov_b32_e32 v185, 25
	s_waitcnt vmcnt(16)
	ds_write2_b64 v184, v[60:61], v[62:63] offset0:52 offset1:53
	s_waitcnt vmcnt(15)
	ds_write2_b64 v184, v[56:57], v[58:59] offset0:54 offset1:55
	;; [unrolled: 2-line block ×17, first 2 shown]
.LBB84_543:
	s_or_b64 exec, exec, s[0:1]
	v_cmp_lt_i32_e32 vcc, 25, v185
	s_waitcnt lgkmcnt(0)
	s_barrier
	s_and_saveexec_b64 s[0:1], vcc
	s_cbranch_execz .LBB84_545
; %bb.544:
	ds_read2_b64 v[188:191], v184 offset0:52 offset1:53
	v_mul_f64 v[182:183], v[174:175], v[66:67]
	v_mul_f64 v[66:67], v[172:173], v[66:67]
	v_fmac_f64_e32 v[66:67], v[174:175], v[64:65]
	v_fma_f64 v[182:183], v[172:173], v[64:65], -v[182:183]
	ds_read2_b64 v[172:175], v184 offset0:54 offset1:55
	s_waitcnt lgkmcnt(1)
	v_mul_f64 v[64:65], v[190:191], v[66:67]
	v_fma_f64 v[64:65], v[188:189], v[182:183], -v[64:65]
	v_mul_f64 v[188:189], v[188:189], v[66:67]
	v_fmac_f64_e32 v[188:189], v[190:191], v[182:183]
	s_waitcnt vmcnt(16)
	v_add_f64 v[62:63], v[62:63], -v[188:189]
	ds_read2_b64 v[188:191], v184 offset0:56 offset1:57
	v_add_f64 v[60:61], v[60:61], -v[64:65]
	s_waitcnt lgkmcnt(1)
	v_mul_f64 v[64:65], v[174:175], v[66:67]
	v_fma_f64 v[64:65], v[172:173], v[182:183], -v[64:65]
	v_mul_f64 v[172:173], v[172:173], v[66:67]
	v_fmac_f64_e32 v[172:173], v[174:175], v[182:183]
	s_waitcnt vmcnt(15)
	v_add_f64 v[56:57], v[56:57], -v[64:65]
	v_add_f64 v[58:59], v[58:59], -v[172:173]
	ds_read2_b64 v[172:175], v184 offset0:58 offset1:59
	s_waitcnt lgkmcnt(1)
	v_mul_f64 v[64:65], v[190:191], v[66:67]
	v_fma_f64 v[64:65], v[188:189], v[182:183], -v[64:65]
	v_mul_f64 v[188:189], v[188:189], v[66:67]
	v_fmac_f64_e32 v[188:189], v[190:191], v[182:183]
	s_waitcnt vmcnt(14)
	v_add_f64 v[54:55], v[54:55], -v[188:189]
	ds_read2_b64 v[188:191], v184 offset0:60 offset1:61
	v_add_f64 v[52:53], v[52:53], -v[64:65]
	s_waitcnt lgkmcnt(1)
	v_mul_f64 v[64:65], v[174:175], v[66:67]
	v_fma_f64 v[64:65], v[172:173], v[182:183], -v[64:65]
	v_mul_f64 v[172:173], v[172:173], v[66:67]
	v_fmac_f64_e32 v[172:173], v[174:175], v[182:183]
	s_waitcnt vmcnt(13)
	v_add_f64 v[48:49], v[48:49], -v[64:65]
	v_add_f64 v[50:51], v[50:51], -v[172:173]
	;; [unrolled: 18-line block ×8, first 2 shown]
	s_waitcnt lgkmcnt(0)
	v_mul_f64 v[64:65], v[190:191], v[66:67]
	v_mul_f64 v[172:173], v[188:189], v[66:67]
	v_fma_f64 v[64:65], v[188:189], v[182:183], -v[64:65]
	v_fmac_f64_e32 v[172:173], v[190:191], v[182:183]
	s_waitcnt vmcnt(0)
	v_add_f64 v[168:169], v[168:169], -v[64:65]
	v_add_f64 v[170:171], v[170:171], -v[172:173]
	v_mov_b64_e32 v[64:65], v[182:183]
.LBB84_545:
	s_or_b64 exec, exec, s[0:1]
	v_lshl_add_u32 v172, v185, 4, v184
	s_barrier
	s_waitcnt vmcnt(16)
	ds_write2_b64 v172, v[60:61], v[62:63] offset1:1
	s_waitcnt lgkmcnt(0)
	s_barrier
	ds_read2_b64 v[172:175], v184 offset0:52 offset1:53
	s_cmp_lt_i32 s20, 28
	v_mov_b32_e32 v182, 26
	s_cbranch_scc1 .LBB84_548
; %bb.546:
	v_add_u32_e32 v183, 0x1b0, v184
	s_mov_b32 s16, 27
	v_mov_b32_e32 v182, 26
.LBB84_547:                             ; =>This Inner Loop Header: Depth=1
	ds_read2_b64 v[188:191], v183 offset1:1
	s_waitcnt lgkmcnt(1)
	v_xor_b32_e32 v193, 0x80000000, v173
	v_xor_b32_e32 v195, 0x80000000, v175
	v_cmp_gt_f64_e32 vcc, 0, v[174:175]
	v_cmp_gt_f64_e64 s[0:1], 0, v[172:173]
	v_mov_b32_e32 v192, v172
	v_mov_b32_e32 v194, v174
	v_cndmask_b32_e64 v193, v173, v193, s[0:1]
	v_cndmask_b32_e32 v195, v175, v195, vcc
	v_add_f64 v[192:193], v[192:193], v[194:195]
	s_waitcnt lgkmcnt(0)
	v_xor_b32_e32 v195, 0x80000000, v189
	v_xor_b32_e32 v197, 0x80000000, v191
	v_cmp_gt_f64_e32 vcc, 0, v[190:191]
	v_cmp_gt_f64_e64 s[0:1], 0, v[188:189]
	v_mov_b32_e32 v194, v188
	v_mov_b32_e32 v196, v190
	v_cndmask_b32_e64 v195, v189, v195, s[0:1]
	v_cndmask_b32_e32 v197, v191, v197, vcc
	v_add_f64 v[194:195], v[194:195], v[196:197]
	v_mov_b32_e32 v198, s16
	s_add_i32 s16, s16, 1
	v_cmp_lt_f64_e32 vcc, v[192:193], v[194:195]
	v_add_u32_e32 v183, 16, v183
	s_cmp_lg_u32 s20, s16
	v_cndmask_b32_e32 v173, v173, v189, vcc
	v_cndmask_b32_e32 v172, v172, v188, vcc
	;; [unrolled: 1-line block ×5, first 2 shown]
	s_cbranch_scc1 .LBB84_547
.LBB84_548:
	s_waitcnt lgkmcnt(0)
	v_cmp_eq_f64_e32 vcc, 0, v[172:173]
	v_cmp_eq_f64_e64 s[0:1], 0, v[174:175]
	s_and_b64 s[0:1], vcc, s[0:1]
	s_and_saveexec_b64 s[16:17], s[0:1]
	s_xor_b64 s[0:1], exec, s[16:17]
; %bb.549:
	v_cmp_ne_u32_e32 vcc, 0, v186
	s_nop 1
	v_cndmask_b32_e32 v186, 27, v186, vcc
; %bb.550:
	s_andn2_saveexec_b64 s[0:1], s[0:1]
	s_cbranch_execz .LBB84_556
; %bb.551:
	v_cmp_ngt_f64_e64 s[16:17], |v[172:173]|, |v[174:175]|
	s_and_saveexec_b64 s[18:19], s[16:17]
	s_xor_b64 s[16:17], exec, s[18:19]
	s_cbranch_execz .LBB84_553
; %bb.552:
	v_div_scale_f64 v[188:189], s[18:19], v[174:175], v[174:175], v[172:173]
	v_rcp_f64_e32 v[190:191], v[188:189]
	v_div_scale_f64 v[192:193], vcc, v[172:173], v[174:175], v[172:173]
	v_fma_f64 v[194:195], -v[188:189], v[190:191], 1.0
	v_fmac_f64_e32 v[190:191], v[190:191], v[194:195]
	v_fma_f64 v[194:195], -v[188:189], v[190:191], 1.0
	v_fmac_f64_e32 v[190:191], v[190:191], v[194:195]
	v_mul_f64 v[194:195], v[192:193], v[190:191]
	v_fma_f64 v[188:189], -v[188:189], v[194:195], v[192:193]
	v_div_fmas_f64 v[188:189], v[188:189], v[190:191], v[194:195]
	v_div_fixup_f64 v[188:189], v[188:189], v[174:175], v[172:173]
	v_fmac_f64_e32 v[174:175], v[172:173], v[188:189]
	v_div_scale_f64 v[172:173], s[18:19], v[174:175], v[174:175], 1.0
	v_rcp_f64_e32 v[190:191], v[172:173]
	s_nop 0
	v_fma_f64 v[192:193], -v[172:173], v[190:191], 1.0
	v_fmac_f64_e32 v[190:191], v[190:191], v[192:193]
	v_fma_f64 v[192:193], -v[172:173], v[190:191], 1.0
	v_fmac_f64_e32 v[190:191], v[190:191], v[192:193]
	v_div_scale_f64 v[192:193], vcc, 1.0, v[174:175], 1.0
	v_mul_f64 v[194:195], v[192:193], v[190:191]
	v_fma_f64 v[172:173], -v[172:173], v[194:195], v[192:193]
	s_nop 1
	v_div_fmas_f64 v[172:173], v[172:173], v[190:191], v[194:195]
	v_div_fixup_f64 v[174:175], v[172:173], v[174:175], 1.0
	v_mul_f64 v[172:173], v[188:189], v[174:175]
	v_xor_b32_e32 v175, 0x80000000, v175
.LBB84_553:
	s_andn2_saveexec_b64 s[16:17], s[16:17]
	s_cbranch_execz .LBB84_555
; %bb.554:
	v_div_scale_f64 v[188:189], s[18:19], v[172:173], v[172:173], v[174:175]
	v_rcp_f64_e32 v[190:191], v[188:189]
	v_div_scale_f64 v[192:193], vcc, v[174:175], v[172:173], v[174:175]
	v_fma_f64 v[194:195], -v[188:189], v[190:191], 1.0
	v_fmac_f64_e32 v[190:191], v[190:191], v[194:195]
	v_fma_f64 v[194:195], -v[188:189], v[190:191], 1.0
	v_fmac_f64_e32 v[190:191], v[190:191], v[194:195]
	v_mul_f64 v[194:195], v[192:193], v[190:191]
	v_fma_f64 v[188:189], -v[188:189], v[194:195], v[192:193]
	v_div_fmas_f64 v[188:189], v[188:189], v[190:191], v[194:195]
	v_div_fixup_f64 v[188:189], v[188:189], v[172:173], v[174:175]
	v_fmac_f64_e32 v[172:173], v[174:175], v[188:189]
	v_div_scale_f64 v[174:175], s[18:19], v[172:173], v[172:173], 1.0
	v_rcp_f64_e32 v[190:191], v[174:175]
	s_nop 0
	v_fma_f64 v[192:193], -v[174:175], v[190:191], 1.0
	v_fmac_f64_e32 v[190:191], v[190:191], v[192:193]
	v_fma_f64 v[192:193], -v[174:175], v[190:191], 1.0
	v_fmac_f64_e32 v[190:191], v[190:191], v[192:193]
	v_div_scale_f64 v[192:193], vcc, 1.0, v[172:173], 1.0
	v_mul_f64 v[194:195], v[192:193], v[190:191]
	v_fma_f64 v[174:175], -v[174:175], v[194:195], v[192:193]
	s_nop 1
	v_div_fmas_f64 v[174:175], v[174:175], v[190:191], v[194:195]
	v_div_fixup_f64 v[172:173], v[174:175], v[172:173], 1.0
	v_mul_f64 v[174:175], v[188:189], -v[172:173]
.LBB84_555:
	s_or_b64 exec, exec, s[16:17]
.LBB84_556:
	s_or_b64 exec, exec, s[0:1]
	v_cmp_ne_u32_e32 vcc, v185, v182
	s_and_saveexec_b64 s[0:1], vcc
	s_xor_b64 s[0:1], exec, s[0:1]
	s_cbranch_execz .LBB84_562
; %bb.557:
	v_cmp_eq_u32_e32 vcc, 26, v185
	s_and_saveexec_b64 s[16:17], vcc
	s_cbranch_execz .LBB84_561
; %bb.558:
	v_cmp_ne_u32_e32 vcc, 26, v182
	s_xor_b64 s[18:19], s[14:15], -1
	s_and_b64 s[22:23], s[18:19], vcc
	s_and_saveexec_b64 s[18:19], s[22:23]
	s_cbranch_execz .LBB84_560
; %bb.559:
	v_ashrrev_i32_e32 v183, 31, v182
	v_lshl_add_u64 v[188:189], v[182:183], 2, v[180:181]
	global_load_dword v183, v[188:189], off
	global_load_dword v185, v[180:181], off offset:104
	s_waitcnt vmcnt(1)
	global_store_dword v[180:181], v183, off offset:104
	s_waitcnt vmcnt(1)
	global_store_dword v[188:189], v185, off
.LBB84_560:
	s_or_b64 exec, exec, s[18:19]
	v_mov_b32_e32 v185, v182
	v_mov_b32_e32 v187, v182
.LBB84_561:
	s_or_b64 exec, exec, s[16:17]
.LBB84_562:
	s_andn2_saveexec_b64 s[0:1], s[0:1]
	s_cbranch_execz .LBB84_564
; %bb.563:
	v_mov_b32_e32 v185, 26
	s_waitcnt vmcnt(15)
	ds_write2_b64 v184, v[56:57], v[58:59] offset0:54 offset1:55
	s_waitcnt vmcnt(14)
	ds_write2_b64 v184, v[52:53], v[54:55] offset0:56 offset1:57
	s_waitcnt vmcnt(13)
	ds_write2_b64 v184, v[48:49], v[50:51] offset0:58 offset1:59
	s_waitcnt vmcnt(12)
	ds_write2_b64 v184, v[44:45], v[46:47] offset0:60 offset1:61
	s_waitcnt vmcnt(11)
	ds_write2_b64 v184, v[40:41], v[42:43] offset0:62 offset1:63
	s_waitcnt vmcnt(10)
	ds_write2_b64 v184, v[36:37], v[38:39] offset0:64 offset1:65
	s_waitcnt vmcnt(9)
	ds_write2_b64 v184, v[32:33], v[34:35] offset0:66 offset1:67
	s_waitcnt vmcnt(8)
	ds_write2_b64 v184, v[28:29], v[30:31] offset0:68 offset1:69
	s_waitcnt vmcnt(7)
	ds_write2_b64 v184, v[24:25], v[26:27] offset0:70 offset1:71
	s_waitcnt vmcnt(6)
	ds_write2_b64 v184, v[20:21], v[22:23] offset0:72 offset1:73
	s_waitcnt vmcnt(5)
	ds_write2_b64 v184, v[16:17], v[18:19] offset0:74 offset1:75
	s_waitcnt vmcnt(4)
	ds_write2_b64 v184, v[12:13], v[14:15] offset0:76 offset1:77
	s_waitcnt vmcnt(3)
	ds_write2_b64 v184, v[8:9], v[10:11] offset0:78 offset1:79
	s_waitcnt vmcnt(2)
	ds_write2_b64 v184, v[4:5], v[6:7] offset0:80 offset1:81
	s_waitcnt vmcnt(1)
	ds_write2_b64 v184, v[0:1], v[2:3] offset0:82 offset1:83
	s_waitcnt vmcnt(0)
	ds_write2_b64 v184, v[168:169], v[170:171] offset0:84 offset1:85
.LBB84_564:
	s_or_b64 exec, exec, s[0:1]
	v_cmp_lt_i32_e32 vcc, 26, v185
	s_waitcnt lgkmcnt(0)
	s_barrier
	s_and_saveexec_b64 s[0:1], vcc
	s_cbranch_execz .LBB84_566
; %bb.565:
	ds_read2_b64 v[188:191], v184 offset0:54 offset1:55
	v_mul_f64 v[182:183], v[172:173], v[62:63]
	v_mul_f64 v[62:63], v[174:175], v[62:63]
	v_fmac_f64_e32 v[182:183], v[174:175], v[60:61]
	v_fma_f64 v[60:61], v[172:173], v[60:61], -v[62:63]
	ds_read2_b64 v[172:175], v184 offset0:56 offset1:57
	s_waitcnt lgkmcnt(1)
	v_mul_f64 v[62:63], v[190:191], v[182:183]
	v_fma_f64 v[62:63], v[188:189], v[60:61], -v[62:63]
	v_mul_f64 v[188:189], v[188:189], v[182:183]
	v_fmac_f64_e32 v[188:189], v[190:191], v[60:61]
	s_waitcnt vmcnt(15)
	v_add_f64 v[56:57], v[56:57], -v[62:63]
	s_waitcnt lgkmcnt(0)
	v_mul_f64 v[62:63], v[174:175], v[182:183]
	v_add_f64 v[58:59], v[58:59], -v[188:189]
	v_fma_f64 v[62:63], v[172:173], v[60:61], -v[62:63]
	v_mul_f64 v[172:173], v[172:173], v[182:183]
	ds_read2_b64 v[188:191], v184 offset0:58 offset1:59
	v_fmac_f64_e32 v[172:173], v[174:175], v[60:61]
	s_waitcnt vmcnt(14)
	v_add_f64 v[54:55], v[54:55], -v[172:173]
	ds_read2_b64 v[172:175], v184 offset0:60 offset1:61
	v_add_f64 v[52:53], v[52:53], -v[62:63]
	s_waitcnt lgkmcnt(1)
	v_mul_f64 v[62:63], v[190:191], v[182:183]
	v_fma_f64 v[62:63], v[188:189], v[60:61], -v[62:63]
	v_mul_f64 v[188:189], v[188:189], v[182:183]
	v_fmac_f64_e32 v[188:189], v[190:191], v[60:61]
	s_waitcnt vmcnt(13)
	v_add_f64 v[48:49], v[48:49], -v[62:63]
	s_waitcnt lgkmcnt(0)
	v_mul_f64 v[62:63], v[174:175], v[182:183]
	v_add_f64 v[50:51], v[50:51], -v[188:189]
	v_fma_f64 v[62:63], v[172:173], v[60:61], -v[62:63]
	v_mul_f64 v[172:173], v[172:173], v[182:183]
	ds_read2_b64 v[188:191], v184 offset0:62 offset1:63
	v_fmac_f64_e32 v[172:173], v[174:175], v[60:61]
	s_waitcnt vmcnt(12)
	v_add_f64 v[46:47], v[46:47], -v[172:173]
	ds_read2_b64 v[172:175], v184 offset0:64 offset1:65
	v_add_f64 v[44:45], v[44:45], -v[62:63]
	;; [unrolled: 18-line block ×7, first 2 shown]
	s_waitcnt lgkmcnt(1)
	v_mul_f64 v[62:63], v[190:191], v[182:183]
	v_fma_f64 v[62:63], v[188:189], v[60:61], -v[62:63]
	s_waitcnt vmcnt(1)
	v_add_f64 v[0:1], v[0:1], -v[62:63]
	s_waitcnt lgkmcnt(0)
	v_mul_f64 v[62:63], v[174:175], v[182:183]
	v_mul_f64 v[188:189], v[188:189], v[182:183]
	v_fma_f64 v[62:63], v[172:173], v[60:61], -v[62:63]
	v_mul_f64 v[172:173], v[172:173], v[182:183]
	v_fmac_f64_e32 v[188:189], v[190:191], v[60:61]
	v_fmac_f64_e32 v[172:173], v[174:175], v[60:61]
	v_add_f64 v[2:3], v[2:3], -v[188:189]
	s_waitcnt vmcnt(0)
	v_add_f64 v[168:169], v[168:169], -v[62:63]
	v_add_f64 v[170:171], v[170:171], -v[172:173]
	v_mov_b64_e32 v[62:63], v[182:183]
.LBB84_566:
	s_or_b64 exec, exec, s[0:1]
	v_lshl_add_u32 v172, v185, 4, v184
	s_barrier
	s_waitcnt vmcnt(15)
	ds_write2_b64 v172, v[56:57], v[58:59] offset1:1
	s_waitcnt lgkmcnt(0)
	s_barrier
	ds_read2_b64 v[172:175], v184 offset0:54 offset1:55
	s_cmp_lt_i32 s20, 29
	v_mov_b32_e32 v182, 27
	s_cbranch_scc1 .LBB84_569
; %bb.567:
	v_add_u32_e32 v183, 0x1c0, v184
	s_mov_b32 s16, 28
	v_mov_b32_e32 v182, 27
.LBB84_568:                             ; =>This Inner Loop Header: Depth=1
	ds_read2_b64 v[188:191], v183 offset1:1
	s_waitcnt lgkmcnt(1)
	v_xor_b32_e32 v193, 0x80000000, v173
	v_xor_b32_e32 v195, 0x80000000, v175
	v_cmp_gt_f64_e32 vcc, 0, v[174:175]
	v_cmp_gt_f64_e64 s[0:1], 0, v[172:173]
	v_mov_b32_e32 v192, v172
	v_mov_b32_e32 v194, v174
	v_cndmask_b32_e64 v193, v173, v193, s[0:1]
	v_cndmask_b32_e32 v195, v175, v195, vcc
	v_add_f64 v[192:193], v[192:193], v[194:195]
	s_waitcnt lgkmcnt(0)
	v_xor_b32_e32 v195, 0x80000000, v189
	v_xor_b32_e32 v197, 0x80000000, v191
	v_cmp_gt_f64_e32 vcc, 0, v[190:191]
	v_cmp_gt_f64_e64 s[0:1], 0, v[188:189]
	v_mov_b32_e32 v194, v188
	v_mov_b32_e32 v196, v190
	v_cndmask_b32_e64 v195, v189, v195, s[0:1]
	v_cndmask_b32_e32 v197, v191, v197, vcc
	v_add_f64 v[194:195], v[194:195], v[196:197]
	v_mov_b32_e32 v198, s16
	s_add_i32 s16, s16, 1
	v_cmp_lt_f64_e32 vcc, v[192:193], v[194:195]
	v_add_u32_e32 v183, 16, v183
	s_cmp_lg_u32 s20, s16
	v_cndmask_b32_e32 v173, v173, v189, vcc
	v_cndmask_b32_e32 v172, v172, v188, vcc
	;; [unrolled: 1-line block ×5, first 2 shown]
	s_cbranch_scc1 .LBB84_568
.LBB84_569:
	s_waitcnt lgkmcnt(0)
	v_cmp_eq_f64_e32 vcc, 0, v[172:173]
	v_cmp_eq_f64_e64 s[0:1], 0, v[174:175]
	s_and_b64 s[0:1], vcc, s[0:1]
	s_and_saveexec_b64 s[16:17], s[0:1]
	s_xor_b64 s[0:1], exec, s[16:17]
; %bb.570:
	v_cmp_ne_u32_e32 vcc, 0, v186
	s_nop 1
	v_cndmask_b32_e32 v186, 28, v186, vcc
; %bb.571:
	s_andn2_saveexec_b64 s[0:1], s[0:1]
	s_cbranch_execz .LBB84_577
; %bb.572:
	v_cmp_ngt_f64_e64 s[16:17], |v[172:173]|, |v[174:175]|
	s_and_saveexec_b64 s[18:19], s[16:17]
	s_xor_b64 s[16:17], exec, s[18:19]
	s_cbranch_execz .LBB84_574
; %bb.573:
	v_div_scale_f64 v[188:189], s[18:19], v[174:175], v[174:175], v[172:173]
	v_rcp_f64_e32 v[190:191], v[188:189]
	v_div_scale_f64 v[192:193], vcc, v[172:173], v[174:175], v[172:173]
	v_fma_f64 v[194:195], -v[188:189], v[190:191], 1.0
	v_fmac_f64_e32 v[190:191], v[190:191], v[194:195]
	v_fma_f64 v[194:195], -v[188:189], v[190:191], 1.0
	v_fmac_f64_e32 v[190:191], v[190:191], v[194:195]
	v_mul_f64 v[194:195], v[192:193], v[190:191]
	v_fma_f64 v[188:189], -v[188:189], v[194:195], v[192:193]
	v_div_fmas_f64 v[188:189], v[188:189], v[190:191], v[194:195]
	v_div_fixup_f64 v[188:189], v[188:189], v[174:175], v[172:173]
	v_fmac_f64_e32 v[174:175], v[172:173], v[188:189]
	v_div_scale_f64 v[172:173], s[18:19], v[174:175], v[174:175], 1.0
	v_rcp_f64_e32 v[190:191], v[172:173]
	s_nop 0
	v_fma_f64 v[192:193], -v[172:173], v[190:191], 1.0
	v_fmac_f64_e32 v[190:191], v[190:191], v[192:193]
	v_fma_f64 v[192:193], -v[172:173], v[190:191], 1.0
	v_fmac_f64_e32 v[190:191], v[190:191], v[192:193]
	v_div_scale_f64 v[192:193], vcc, 1.0, v[174:175], 1.0
	v_mul_f64 v[194:195], v[192:193], v[190:191]
	v_fma_f64 v[172:173], -v[172:173], v[194:195], v[192:193]
	s_nop 1
	v_div_fmas_f64 v[172:173], v[172:173], v[190:191], v[194:195]
	v_div_fixup_f64 v[174:175], v[172:173], v[174:175], 1.0
	v_mul_f64 v[172:173], v[188:189], v[174:175]
	v_xor_b32_e32 v175, 0x80000000, v175
.LBB84_574:
	s_andn2_saveexec_b64 s[16:17], s[16:17]
	s_cbranch_execz .LBB84_576
; %bb.575:
	v_div_scale_f64 v[188:189], s[18:19], v[172:173], v[172:173], v[174:175]
	v_rcp_f64_e32 v[190:191], v[188:189]
	v_div_scale_f64 v[192:193], vcc, v[174:175], v[172:173], v[174:175]
	v_fma_f64 v[194:195], -v[188:189], v[190:191], 1.0
	v_fmac_f64_e32 v[190:191], v[190:191], v[194:195]
	v_fma_f64 v[194:195], -v[188:189], v[190:191], 1.0
	v_fmac_f64_e32 v[190:191], v[190:191], v[194:195]
	v_mul_f64 v[194:195], v[192:193], v[190:191]
	v_fma_f64 v[188:189], -v[188:189], v[194:195], v[192:193]
	v_div_fmas_f64 v[188:189], v[188:189], v[190:191], v[194:195]
	v_div_fixup_f64 v[188:189], v[188:189], v[172:173], v[174:175]
	v_fmac_f64_e32 v[172:173], v[174:175], v[188:189]
	v_div_scale_f64 v[174:175], s[18:19], v[172:173], v[172:173], 1.0
	v_rcp_f64_e32 v[190:191], v[174:175]
	s_nop 0
	v_fma_f64 v[192:193], -v[174:175], v[190:191], 1.0
	v_fmac_f64_e32 v[190:191], v[190:191], v[192:193]
	v_fma_f64 v[192:193], -v[174:175], v[190:191], 1.0
	v_fmac_f64_e32 v[190:191], v[190:191], v[192:193]
	v_div_scale_f64 v[192:193], vcc, 1.0, v[172:173], 1.0
	v_mul_f64 v[194:195], v[192:193], v[190:191]
	v_fma_f64 v[174:175], -v[174:175], v[194:195], v[192:193]
	s_nop 1
	v_div_fmas_f64 v[174:175], v[174:175], v[190:191], v[194:195]
	v_div_fixup_f64 v[172:173], v[174:175], v[172:173], 1.0
	v_mul_f64 v[174:175], v[188:189], -v[172:173]
.LBB84_576:
	s_or_b64 exec, exec, s[16:17]
.LBB84_577:
	s_or_b64 exec, exec, s[0:1]
	v_cmp_ne_u32_e32 vcc, v185, v182
	s_and_saveexec_b64 s[0:1], vcc
	s_xor_b64 s[0:1], exec, s[0:1]
	s_cbranch_execz .LBB84_583
; %bb.578:
	v_cmp_eq_u32_e32 vcc, 27, v185
	s_and_saveexec_b64 s[16:17], vcc
	s_cbranch_execz .LBB84_582
; %bb.579:
	v_cmp_ne_u32_e32 vcc, 27, v182
	s_xor_b64 s[18:19], s[14:15], -1
	s_and_b64 s[22:23], s[18:19], vcc
	s_and_saveexec_b64 s[18:19], s[22:23]
	s_cbranch_execz .LBB84_581
; %bb.580:
	v_ashrrev_i32_e32 v183, 31, v182
	v_lshl_add_u64 v[188:189], v[182:183], 2, v[180:181]
	global_load_dword v183, v[188:189], off
	global_load_dword v185, v[180:181], off offset:108
	s_waitcnt vmcnt(1)
	global_store_dword v[180:181], v183, off offset:108
	s_waitcnt vmcnt(1)
	global_store_dword v[188:189], v185, off
.LBB84_581:
	s_or_b64 exec, exec, s[18:19]
	v_mov_b32_e32 v185, v182
	v_mov_b32_e32 v187, v182
.LBB84_582:
	s_or_b64 exec, exec, s[16:17]
.LBB84_583:
	s_andn2_saveexec_b64 s[0:1], s[0:1]
	s_cbranch_execz .LBB84_585
; %bb.584:
	v_mov_b32_e32 v185, 27
	s_waitcnt vmcnt(14)
	ds_write2_b64 v184, v[52:53], v[54:55] offset0:56 offset1:57
	s_waitcnt vmcnt(13)
	ds_write2_b64 v184, v[48:49], v[50:51] offset0:58 offset1:59
	;; [unrolled: 2-line block ×15, first 2 shown]
.LBB84_585:
	s_or_b64 exec, exec, s[0:1]
	v_cmp_lt_i32_e32 vcc, 27, v185
	s_waitcnt lgkmcnt(0)
	s_barrier
	s_and_saveexec_b64 s[0:1], vcc
	s_cbranch_execz .LBB84_587
; %bb.586:
	ds_read2_b64 v[188:191], v184 offset0:56 offset1:57
	v_mul_f64 v[182:183], v[172:173], v[58:59]
	v_fmac_f64_e32 v[182:183], v[174:175], v[56:57]
	v_mul_f64 v[58:59], v[174:175], v[58:59]
	v_fma_f64 v[56:57], v[172:173], v[56:57], -v[58:59]
	ds_read2_b64 v[172:175], v184 offset0:58 offset1:59
	s_waitcnt lgkmcnt(1)
	v_mul_f64 v[58:59], v[190:191], v[182:183]
	v_fma_f64 v[58:59], v[188:189], v[56:57], -v[58:59]
	v_mul_f64 v[188:189], v[188:189], v[182:183]
	v_fmac_f64_e32 v[188:189], v[190:191], v[56:57]
	s_waitcnt vmcnt(14)
	v_add_f64 v[54:55], v[54:55], -v[188:189]
	ds_read2_b64 v[188:191], v184 offset0:60 offset1:61
	v_add_f64 v[52:53], v[52:53], -v[58:59]
	s_waitcnt lgkmcnt(1)
	v_mul_f64 v[58:59], v[174:175], v[182:183]
	v_fma_f64 v[58:59], v[172:173], v[56:57], -v[58:59]
	v_mul_f64 v[172:173], v[172:173], v[182:183]
	v_fmac_f64_e32 v[172:173], v[174:175], v[56:57]
	s_waitcnt vmcnt(13)
	v_add_f64 v[48:49], v[48:49], -v[58:59]
	v_add_f64 v[50:51], v[50:51], -v[172:173]
	ds_read2_b64 v[172:175], v184 offset0:62 offset1:63
	s_waitcnt lgkmcnt(1)
	v_mul_f64 v[58:59], v[190:191], v[182:183]
	v_fma_f64 v[58:59], v[188:189], v[56:57], -v[58:59]
	v_mul_f64 v[188:189], v[188:189], v[182:183]
	v_fmac_f64_e32 v[188:189], v[190:191], v[56:57]
	s_waitcnt vmcnt(12)
	v_add_f64 v[46:47], v[46:47], -v[188:189]
	ds_read2_b64 v[188:191], v184 offset0:64 offset1:65
	v_add_f64 v[44:45], v[44:45], -v[58:59]
	s_waitcnt lgkmcnt(1)
	v_mul_f64 v[58:59], v[174:175], v[182:183]
	v_fma_f64 v[58:59], v[172:173], v[56:57], -v[58:59]
	v_mul_f64 v[172:173], v[172:173], v[182:183]
	v_fmac_f64_e32 v[172:173], v[174:175], v[56:57]
	s_waitcnt vmcnt(11)
	v_add_f64 v[40:41], v[40:41], -v[58:59]
	v_add_f64 v[42:43], v[42:43], -v[172:173]
	;; [unrolled: 18-line block ×7, first 2 shown]
	s_waitcnt lgkmcnt(0)
	v_mul_f64 v[58:59], v[190:191], v[182:183]
	v_mul_f64 v[172:173], v[188:189], v[182:183]
	v_fma_f64 v[58:59], v[188:189], v[56:57], -v[58:59]
	v_fmac_f64_e32 v[172:173], v[190:191], v[56:57]
	s_waitcnt vmcnt(0)
	v_add_f64 v[168:169], v[168:169], -v[58:59]
	v_add_f64 v[170:171], v[170:171], -v[172:173]
	v_mov_b64_e32 v[58:59], v[182:183]
.LBB84_587:
	s_or_b64 exec, exec, s[0:1]
	v_lshl_add_u32 v172, v185, 4, v184
	s_barrier
	s_waitcnt vmcnt(14)
	ds_write2_b64 v172, v[52:53], v[54:55] offset1:1
	s_waitcnt lgkmcnt(0)
	s_barrier
	ds_read2_b64 v[172:175], v184 offset0:56 offset1:57
	s_cmp_lt_i32 s20, 30
	v_mov_b32_e32 v182, 28
	s_cbranch_scc1 .LBB84_590
; %bb.588:
	v_add_u32_e32 v183, 0x1d0, v184
	s_mov_b32 s16, 29
	v_mov_b32_e32 v182, 28
.LBB84_589:                             ; =>This Inner Loop Header: Depth=1
	ds_read2_b64 v[188:191], v183 offset1:1
	s_waitcnt lgkmcnt(1)
	v_xor_b32_e32 v193, 0x80000000, v173
	v_xor_b32_e32 v195, 0x80000000, v175
	v_cmp_gt_f64_e32 vcc, 0, v[174:175]
	v_cmp_gt_f64_e64 s[0:1], 0, v[172:173]
	v_mov_b32_e32 v192, v172
	v_mov_b32_e32 v194, v174
	v_cndmask_b32_e64 v193, v173, v193, s[0:1]
	v_cndmask_b32_e32 v195, v175, v195, vcc
	v_add_f64 v[192:193], v[192:193], v[194:195]
	s_waitcnt lgkmcnt(0)
	v_xor_b32_e32 v195, 0x80000000, v189
	v_xor_b32_e32 v197, 0x80000000, v191
	v_cmp_gt_f64_e32 vcc, 0, v[190:191]
	v_cmp_gt_f64_e64 s[0:1], 0, v[188:189]
	v_mov_b32_e32 v194, v188
	v_mov_b32_e32 v196, v190
	v_cndmask_b32_e64 v195, v189, v195, s[0:1]
	v_cndmask_b32_e32 v197, v191, v197, vcc
	v_add_f64 v[194:195], v[194:195], v[196:197]
	v_mov_b32_e32 v198, s16
	s_add_i32 s16, s16, 1
	v_cmp_lt_f64_e32 vcc, v[192:193], v[194:195]
	v_add_u32_e32 v183, 16, v183
	s_cmp_lg_u32 s20, s16
	v_cndmask_b32_e32 v173, v173, v189, vcc
	v_cndmask_b32_e32 v172, v172, v188, vcc
	;; [unrolled: 1-line block ×5, first 2 shown]
	s_cbranch_scc1 .LBB84_589
.LBB84_590:
	s_waitcnt lgkmcnt(0)
	v_cmp_eq_f64_e32 vcc, 0, v[172:173]
	v_cmp_eq_f64_e64 s[0:1], 0, v[174:175]
	s_and_b64 s[0:1], vcc, s[0:1]
	s_and_saveexec_b64 s[16:17], s[0:1]
	s_xor_b64 s[0:1], exec, s[16:17]
; %bb.591:
	v_cmp_ne_u32_e32 vcc, 0, v186
	s_nop 1
	v_cndmask_b32_e32 v186, 29, v186, vcc
; %bb.592:
	s_andn2_saveexec_b64 s[0:1], s[0:1]
	s_cbranch_execz .LBB84_598
; %bb.593:
	v_cmp_ngt_f64_e64 s[16:17], |v[172:173]|, |v[174:175]|
	s_and_saveexec_b64 s[18:19], s[16:17]
	s_xor_b64 s[16:17], exec, s[18:19]
	s_cbranch_execz .LBB84_595
; %bb.594:
	v_div_scale_f64 v[188:189], s[18:19], v[174:175], v[174:175], v[172:173]
	v_rcp_f64_e32 v[190:191], v[188:189]
	v_div_scale_f64 v[192:193], vcc, v[172:173], v[174:175], v[172:173]
	v_fma_f64 v[194:195], -v[188:189], v[190:191], 1.0
	v_fmac_f64_e32 v[190:191], v[190:191], v[194:195]
	v_fma_f64 v[194:195], -v[188:189], v[190:191], 1.0
	v_fmac_f64_e32 v[190:191], v[190:191], v[194:195]
	v_mul_f64 v[194:195], v[192:193], v[190:191]
	v_fma_f64 v[188:189], -v[188:189], v[194:195], v[192:193]
	v_div_fmas_f64 v[188:189], v[188:189], v[190:191], v[194:195]
	v_div_fixup_f64 v[188:189], v[188:189], v[174:175], v[172:173]
	v_fmac_f64_e32 v[174:175], v[172:173], v[188:189]
	v_div_scale_f64 v[172:173], s[18:19], v[174:175], v[174:175], 1.0
	v_rcp_f64_e32 v[190:191], v[172:173]
	s_nop 0
	v_fma_f64 v[192:193], -v[172:173], v[190:191], 1.0
	v_fmac_f64_e32 v[190:191], v[190:191], v[192:193]
	v_fma_f64 v[192:193], -v[172:173], v[190:191], 1.0
	v_fmac_f64_e32 v[190:191], v[190:191], v[192:193]
	v_div_scale_f64 v[192:193], vcc, 1.0, v[174:175], 1.0
	v_mul_f64 v[194:195], v[192:193], v[190:191]
	v_fma_f64 v[172:173], -v[172:173], v[194:195], v[192:193]
	s_nop 1
	v_div_fmas_f64 v[172:173], v[172:173], v[190:191], v[194:195]
	v_div_fixup_f64 v[174:175], v[172:173], v[174:175], 1.0
	v_mul_f64 v[172:173], v[188:189], v[174:175]
	v_xor_b32_e32 v175, 0x80000000, v175
.LBB84_595:
	s_andn2_saveexec_b64 s[16:17], s[16:17]
	s_cbranch_execz .LBB84_597
; %bb.596:
	v_div_scale_f64 v[188:189], s[18:19], v[172:173], v[172:173], v[174:175]
	v_rcp_f64_e32 v[190:191], v[188:189]
	v_div_scale_f64 v[192:193], vcc, v[174:175], v[172:173], v[174:175]
	v_fma_f64 v[194:195], -v[188:189], v[190:191], 1.0
	v_fmac_f64_e32 v[190:191], v[190:191], v[194:195]
	v_fma_f64 v[194:195], -v[188:189], v[190:191], 1.0
	v_fmac_f64_e32 v[190:191], v[190:191], v[194:195]
	v_mul_f64 v[194:195], v[192:193], v[190:191]
	v_fma_f64 v[188:189], -v[188:189], v[194:195], v[192:193]
	v_div_fmas_f64 v[188:189], v[188:189], v[190:191], v[194:195]
	v_div_fixup_f64 v[188:189], v[188:189], v[172:173], v[174:175]
	v_fmac_f64_e32 v[172:173], v[174:175], v[188:189]
	v_div_scale_f64 v[174:175], s[18:19], v[172:173], v[172:173], 1.0
	v_rcp_f64_e32 v[190:191], v[174:175]
	s_nop 0
	v_fma_f64 v[192:193], -v[174:175], v[190:191], 1.0
	v_fmac_f64_e32 v[190:191], v[190:191], v[192:193]
	v_fma_f64 v[192:193], -v[174:175], v[190:191], 1.0
	v_fmac_f64_e32 v[190:191], v[190:191], v[192:193]
	v_div_scale_f64 v[192:193], vcc, 1.0, v[172:173], 1.0
	v_mul_f64 v[194:195], v[192:193], v[190:191]
	v_fma_f64 v[174:175], -v[174:175], v[194:195], v[192:193]
	s_nop 1
	v_div_fmas_f64 v[174:175], v[174:175], v[190:191], v[194:195]
	v_div_fixup_f64 v[172:173], v[174:175], v[172:173], 1.0
	v_mul_f64 v[174:175], v[188:189], -v[172:173]
.LBB84_597:
	s_or_b64 exec, exec, s[16:17]
.LBB84_598:
	s_or_b64 exec, exec, s[0:1]
	v_cmp_ne_u32_e32 vcc, v185, v182
	s_and_saveexec_b64 s[0:1], vcc
	s_xor_b64 s[0:1], exec, s[0:1]
	s_cbranch_execz .LBB84_604
; %bb.599:
	v_cmp_eq_u32_e32 vcc, 28, v185
	s_and_saveexec_b64 s[16:17], vcc
	s_cbranch_execz .LBB84_603
; %bb.600:
	v_cmp_ne_u32_e32 vcc, 28, v182
	s_xor_b64 s[18:19], s[14:15], -1
	s_and_b64 s[22:23], s[18:19], vcc
	s_and_saveexec_b64 s[18:19], s[22:23]
	s_cbranch_execz .LBB84_602
; %bb.601:
	v_ashrrev_i32_e32 v183, 31, v182
	v_lshl_add_u64 v[188:189], v[182:183], 2, v[180:181]
	global_load_dword v183, v[188:189], off
	global_load_dword v185, v[180:181], off offset:112
	s_waitcnt vmcnt(1)
	global_store_dword v[180:181], v183, off offset:112
	s_waitcnt vmcnt(1)
	global_store_dword v[188:189], v185, off
.LBB84_602:
	s_or_b64 exec, exec, s[18:19]
	v_mov_b32_e32 v185, v182
	v_mov_b32_e32 v187, v182
.LBB84_603:
	s_or_b64 exec, exec, s[16:17]
.LBB84_604:
	s_andn2_saveexec_b64 s[0:1], s[0:1]
	s_cbranch_execz .LBB84_606
; %bb.605:
	v_mov_b32_e32 v185, 28
	s_waitcnt vmcnt(13)
	ds_write2_b64 v184, v[48:49], v[50:51] offset0:58 offset1:59
	s_waitcnt vmcnt(12)
	ds_write2_b64 v184, v[44:45], v[46:47] offset0:60 offset1:61
	;; [unrolled: 2-line block ×14, first 2 shown]
.LBB84_606:
	s_or_b64 exec, exec, s[0:1]
	v_cmp_lt_i32_e32 vcc, 28, v185
	s_waitcnt lgkmcnt(0)
	s_barrier
	s_and_saveexec_b64 s[0:1], vcc
	s_cbranch_execz .LBB84_608
; %bb.607:
	ds_read2_b64 v[188:191], v184 offset0:58 offset1:59
	v_mul_f64 v[182:183], v[172:173], v[54:55]
	v_mul_f64 v[54:55], v[174:175], v[54:55]
	v_fmac_f64_e32 v[182:183], v[174:175], v[52:53]
	v_fma_f64 v[52:53], v[172:173], v[52:53], -v[54:55]
	ds_read2_b64 v[172:175], v184 offset0:60 offset1:61
	s_waitcnt lgkmcnt(1)
	v_mul_f64 v[54:55], v[190:191], v[182:183]
	v_fma_f64 v[54:55], v[188:189], v[52:53], -v[54:55]
	v_mul_f64 v[188:189], v[188:189], v[182:183]
	v_fmac_f64_e32 v[188:189], v[190:191], v[52:53]
	s_waitcnt vmcnt(13)
	v_add_f64 v[48:49], v[48:49], -v[54:55]
	s_waitcnt lgkmcnt(0)
	v_mul_f64 v[54:55], v[174:175], v[182:183]
	v_add_f64 v[50:51], v[50:51], -v[188:189]
	v_fma_f64 v[54:55], v[172:173], v[52:53], -v[54:55]
	v_mul_f64 v[172:173], v[172:173], v[182:183]
	ds_read2_b64 v[188:191], v184 offset0:62 offset1:63
	v_fmac_f64_e32 v[172:173], v[174:175], v[52:53]
	s_waitcnt vmcnt(12)
	v_add_f64 v[46:47], v[46:47], -v[172:173]
	ds_read2_b64 v[172:175], v184 offset0:64 offset1:65
	v_add_f64 v[44:45], v[44:45], -v[54:55]
	s_waitcnt lgkmcnt(1)
	v_mul_f64 v[54:55], v[190:191], v[182:183]
	v_fma_f64 v[54:55], v[188:189], v[52:53], -v[54:55]
	v_mul_f64 v[188:189], v[188:189], v[182:183]
	v_fmac_f64_e32 v[188:189], v[190:191], v[52:53]
	s_waitcnt vmcnt(11)
	v_add_f64 v[40:41], v[40:41], -v[54:55]
	s_waitcnt lgkmcnt(0)
	v_mul_f64 v[54:55], v[174:175], v[182:183]
	v_add_f64 v[42:43], v[42:43], -v[188:189]
	v_fma_f64 v[54:55], v[172:173], v[52:53], -v[54:55]
	v_mul_f64 v[172:173], v[172:173], v[182:183]
	ds_read2_b64 v[188:191], v184 offset0:66 offset1:67
	v_fmac_f64_e32 v[172:173], v[174:175], v[52:53]
	s_waitcnt vmcnt(10)
	v_add_f64 v[38:39], v[38:39], -v[172:173]
	ds_read2_b64 v[172:175], v184 offset0:68 offset1:69
	v_add_f64 v[36:37], v[36:37], -v[54:55]
	s_waitcnt lgkmcnt(1)
	v_mul_f64 v[54:55], v[190:191], v[182:183]
	v_fma_f64 v[54:55], v[188:189], v[52:53], -v[54:55]
	v_mul_f64 v[188:189], v[188:189], v[182:183]
	v_fmac_f64_e32 v[188:189], v[190:191], v[52:53]
	s_waitcnt vmcnt(9)
	v_add_f64 v[32:33], v[32:33], -v[54:55]
	s_waitcnt lgkmcnt(0)
	v_mul_f64 v[54:55], v[174:175], v[182:183]
	v_add_f64 v[34:35], v[34:35], -v[188:189]
	v_fma_f64 v[54:55], v[172:173], v[52:53], -v[54:55]
	v_mul_f64 v[172:173], v[172:173], v[182:183]
	ds_read2_b64 v[188:191], v184 offset0:70 offset1:71
	v_fmac_f64_e32 v[172:173], v[174:175], v[52:53]
	s_waitcnt vmcnt(8)
	v_add_f64 v[30:31], v[30:31], -v[172:173]
	ds_read2_b64 v[172:175], v184 offset0:72 offset1:73
	v_add_f64 v[28:29], v[28:29], -v[54:55]
	s_waitcnt lgkmcnt(1)
	v_mul_f64 v[54:55], v[190:191], v[182:183]
	v_fma_f64 v[54:55], v[188:189], v[52:53], -v[54:55]
	v_mul_f64 v[188:189], v[188:189], v[182:183]
	v_fmac_f64_e32 v[188:189], v[190:191], v[52:53]
	s_waitcnt vmcnt(7)
	v_add_f64 v[24:25], v[24:25], -v[54:55]
	s_waitcnt lgkmcnt(0)
	v_mul_f64 v[54:55], v[174:175], v[182:183]
	v_add_f64 v[26:27], v[26:27], -v[188:189]
	v_fma_f64 v[54:55], v[172:173], v[52:53], -v[54:55]
	v_mul_f64 v[172:173], v[172:173], v[182:183]
	ds_read2_b64 v[188:191], v184 offset0:74 offset1:75
	v_fmac_f64_e32 v[172:173], v[174:175], v[52:53]
	s_waitcnt vmcnt(6)
	v_add_f64 v[22:23], v[22:23], -v[172:173]
	ds_read2_b64 v[172:175], v184 offset0:76 offset1:77
	v_add_f64 v[20:21], v[20:21], -v[54:55]
	s_waitcnt lgkmcnt(1)
	v_mul_f64 v[54:55], v[190:191], v[182:183]
	v_fma_f64 v[54:55], v[188:189], v[52:53], -v[54:55]
	v_mul_f64 v[188:189], v[188:189], v[182:183]
	v_fmac_f64_e32 v[188:189], v[190:191], v[52:53]
	s_waitcnt vmcnt(5)
	v_add_f64 v[16:17], v[16:17], -v[54:55]
	s_waitcnt lgkmcnt(0)
	v_mul_f64 v[54:55], v[174:175], v[182:183]
	v_add_f64 v[18:19], v[18:19], -v[188:189]
	v_fma_f64 v[54:55], v[172:173], v[52:53], -v[54:55]
	v_mul_f64 v[172:173], v[172:173], v[182:183]
	ds_read2_b64 v[188:191], v184 offset0:78 offset1:79
	v_fmac_f64_e32 v[172:173], v[174:175], v[52:53]
	s_waitcnt vmcnt(4)
	v_add_f64 v[14:15], v[14:15], -v[172:173]
	ds_read2_b64 v[172:175], v184 offset0:80 offset1:81
	v_add_f64 v[12:13], v[12:13], -v[54:55]
	s_waitcnt lgkmcnt(1)
	v_mul_f64 v[54:55], v[190:191], v[182:183]
	v_fma_f64 v[54:55], v[188:189], v[52:53], -v[54:55]
	v_mul_f64 v[188:189], v[188:189], v[182:183]
	v_fmac_f64_e32 v[188:189], v[190:191], v[52:53]
	s_waitcnt vmcnt(3)
	v_add_f64 v[8:9], v[8:9], -v[54:55]
	s_waitcnt lgkmcnt(0)
	v_mul_f64 v[54:55], v[174:175], v[182:183]
	v_add_f64 v[10:11], v[10:11], -v[188:189]
	v_fma_f64 v[54:55], v[172:173], v[52:53], -v[54:55]
	v_mul_f64 v[172:173], v[172:173], v[182:183]
	ds_read2_b64 v[188:191], v184 offset0:82 offset1:83
	v_fmac_f64_e32 v[172:173], v[174:175], v[52:53]
	s_waitcnt vmcnt(2)
	v_add_f64 v[6:7], v[6:7], -v[172:173]
	ds_read2_b64 v[172:175], v184 offset0:84 offset1:85
	v_add_f64 v[4:5], v[4:5], -v[54:55]
	s_waitcnt lgkmcnt(1)
	v_mul_f64 v[54:55], v[190:191], v[182:183]
	v_fma_f64 v[54:55], v[188:189], v[52:53], -v[54:55]
	s_waitcnt vmcnt(1)
	v_add_f64 v[0:1], v[0:1], -v[54:55]
	s_waitcnt lgkmcnt(0)
	v_mul_f64 v[54:55], v[174:175], v[182:183]
	v_mul_f64 v[188:189], v[188:189], v[182:183]
	v_fma_f64 v[54:55], v[172:173], v[52:53], -v[54:55]
	v_mul_f64 v[172:173], v[172:173], v[182:183]
	v_fmac_f64_e32 v[188:189], v[190:191], v[52:53]
	v_fmac_f64_e32 v[172:173], v[174:175], v[52:53]
	v_add_f64 v[2:3], v[2:3], -v[188:189]
	s_waitcnt vmcnt(0)
	v_add_f64 v[168:169], v[168:169], -v[54:55]
	v_add_f64 v[170:171], v[170:171], -v[172:173]
	v_mov_b64_e32 v[54:55], v[182:183]
.LBB84_608:
	s_or_b64 exec, exec, s[0:1]
	v_lshl_add_u32 v172, v185, 4, v184
	s_barrier
	s_waitcnt vmcnt(13)
	ds_write2_b64 v172, v[48:49], v[50:51] offset1:1
	s_waitcnt lgkmcnt(0)
	s_barrier
	ds_read2_b64 v[172:175], v184 offset0:58 offset1:59
	s_cmp_lt_i32 s20, 31
	v_mov_b32_e32 v182, 29
	s_cbranch_scc1 .LBB84_611
; %bb.609:
	v_add_u32_e32 v183, 0x1e0, v184
	s_mov_b32 s16, 30
	v_mov_b32_e32 v182, 29
.LBB84_610:                             ; =>This Inner Loop Header: Depth=1
	ds_read2_b64 v[188:191], v183 offset1:1
	s_waitcnt lgkmcnt(1)
	v_xor_b32_e32 v193, 0x80000000, v173
	v_xor_b32_e32 v195, 0x80000000, v175
	v_cmp_gt_f64_e32 vcc, 0, v[174:175]
	v_cmp_gt_f64_e64 s[0:1], 0, v[172:173]
	v_mov_b32_e32 v192, v172
	v_mov_b32_e32 v194, v174
	v_cndmask_b32_e64 v193, v173, v193, s[0:1]
	v_cndmask_b32_e32 v195, v175, v195, vcc
	v_add_f64 v[192:193], v[192:193], v[194:195]
	s_waitcnt lgkmcnt(0)
	v_xor_b32_e32 v195, 0x80000000, v189
	v_xor_b32_e32 v197, 0x80000000, v191
	v_cmp_gt_f64_e32 vcc, 0, v[190:191]
	v_cmp_gt_f64_e64 s[0:1], 0, v[188:189]
	v_mov_b32_e32 v194, v188
	v_mov_b32_e32 v196, v190
	v_cndmask_b32_e64 v195, v189, v195, s[0:1]
	v_cndmask_b32_e32 v197, v191, v197, vcc
	v_add_f64 v[194:195], v[194:195], v[196:197]
	v_mov_b32_e32 v198, s16
	s_add_i32 s16, s16, 1
	v_cmp_lt_f64_e32 vcc, v[192:193], v[194:195]
	v_add_u32_e32 v183, 16, v183
	s_cmp_lg_u32 s20, s16
	v_cndmask_b32_e32 v173, v173, v189, vcc
	v_cndmask_b32_e32 v172, v172, v188, vcc
	;; [unrolled: 1-line block ×5, first 2 shown]
	s_cbranch_scc1 .LBB84_610
.LBB84_611:
	s_waitcnt lgkmcnt(0)
	v_cmp_eq_f64_e32 vcc, 0, v[172:173]
	v_cmp_eq_f64_e64 s[0:1], 0, v[174:175]
	s_and_b64 s[0:1], vcc, s[0:1]
	s_and_saveexec_b64 s[16:17], s[0:1]
	s_xor_b64 s[0:1], exec, s[16:17]
; %bb.612:
	v_cmp_ne_u32_e32 vcc, 0, v186
	s_nop 1
	v_cndmask_b32_e32 v186, 30, v186, vcc
; %bb.613:
	s_andn2_saveexec_b64 s[0:1], s[0:1]
	s_cbranch_execz .LBB84_619
; %bb.614:
	v_cmp_ngt_f64_e64 s[16:17], |v[172:173]|, |v[174:175]|
	s_and_saveexec_b64 s[18:19], s[16:17]
	s_xor_b64 s[16:17], exec, s[18:19]
	s_cbranch_execz .LBB84_616
; %bb.615:
	v_div_scale_f64 v[188:189], s[18:19], v[174:175], v[174:175], v[172:173]
	v_rcp_f64_e32 v[190:191], v[188:189]
	v_div_scale_f64 v[192:193], vcc, v[172:173], v[174:175], v[172:173]
	v_fma_f64 v[194:195], -v[188:189], v[190:191], 1.0
	v_fmac_f64_e32 v[190:191], v[190:191], v[194:195]
	v_fma_f64 v[194:195], -v[188:189], v[190:191], 1.0
	v_fmac_f64_e32 v[190:191], v[190:191], v[194:195]
	v_mul_f64 v[194:195], v[192:193], v[190:191]
	v_fma_f64 v[188:189], -v[188:189], v[194:195], v[192:193]
	v_div_fmas_f64 v[188:189], v[188:189], v[190:191], v[194:195]
	v_div_fixup_f64 v[188:189], v[188:189], v[174:175], v[172:173]
	v_fmac_f64_e32 v[174:175], v[172:173], v[188:189]
	v_div_scale_f64 v[172:173], s[18:19], v[174:175], v[174:175], 1.0
	v_rcp_f64_e32 v[190:191], v[172:173]
	s_nop 0
	v_fma_f64 v[192:193], -v[172:173], v[190:191], 1.0
	v_fmac_f64_e32 v[190:191], v[190:191], v[192:193]
	v_fma_f64 v[192:193], -v[172:173], v[190:191], 1.0
	v_fmac_f64_e32 v[190:191], v[190:191], v[192:193]
	v_div_scale_f64 v[192:193], vcc, 1.0, v[174:175], 1.0
	v_mul_f64 v[194:195], v[192:193], v[190:191]
	v_fma_f64 v[172:173], -v[172:173], v[194:195], v[192:193]
	s_nop 1
	v_div_fmas_f64 v[172:173], v[172:173], v[190:191], v[194:195]
	v_div_fixup_f64 v[174:175], v[172:173], v[174:175], 1.0
	v_mul_f64 v[172:173], v[188:189], v[174:175]
	v_xor_b32_e32 v175, 0x80000000, v175
.LBB84_616:
	s_andn2_saveexec_b64 s[16:17], s[16:17]
	s_cbranch_execz .LBB84_618
; %bb.617:
	v_div_scale_f64 v[188:189], s[18:19], v[172:173], v[172:173], v[174:175]
	v_rcp_f64_e32 v[190:191], v[188:189]
	v_div_scale_f64 v[192:193], vcc, v[174:175], v[172:173], v[174:175]
	v_fma_f64 v[194:195], -v[188:189], v[190:191], 1.0
	v_fmac_f64_e32 v[190:191], v[190:191], v[194:195]
	v_fma_f64 v[194:195], -v[188:189], v[190:191], 1.0
	v_fmac_f64_e32 v[190:191], v[190:191], v[194:195]
	v_mul_f64 v[194:195], v[192:193], v[190:191]
	v_fma_f64 v[188:189], -v[188:189], v[194:195], v[192:193]
	v_div_fmas_f64 v[188:189], v[188:189], v[190:191], v[194:195]
	v_div_fixup_f64 v[188:189], v[188:189], v[172:173], v[174:175]
	v_fmac_f64_e32 v[172:173], v[174:175], v[188:189]
	v_div_scale_f64 v[174:175], s[18:19], v[172:173], v[172:173], 1.0
	v_rcp_f64_e32 v[190:191], v[174:175]
	s_nop 0
	v_fma_f64 v[192:193], -v[174:175], v[190:191], 1.0
	v_fmac_f64_e32 v[190:191], v[190:191], v[192:193]
	v_fma_f64 v[192:193], -v[174:175], v[190:191], 1.0
	v_fmac_f64_e32 v[190:191], v[190:191], v[192:193]
	v_div_scale_f64 v[192:193], vcc, 1.0, v[172:173], 1.0
	v_mul_f64 v[194:195], v[192:193], v[190:191]
	v_fma_f64 v[174:175], -v[174:175], v[194:195], v[192:193]
	s_nop 1
	v_div_fmas_f64 v[174:175], v[174:175], v[190:191], v[194:195]
	v_div_fixup_f64 v[172:173], v[174:175], v[172:173], 1.0
	v_mul_f64 v[174:175], v[188:189], -v[172:173]
.LBB84_618:
	s_or_b64 exec, exec, s[16:17]
.LBB84_619:
	s_or_b64 exec, exec, s[0:1]
	v_cmp_ne_u32_e32 vcc, v185, v182
	s_and_saveexec_b64 s[0:1], vcc
	s_xor_b64 s[0:1], exec, s[0:1]
	s_cbranch_execz .LBB84_625
; %bb.620:
	v_cmp_eq_u32_e32 vcc, 29, v185
	s_and_saveexec_b64 s[16:17], vcc
	s_cbranch_execz .LBB84_624
; %bb.621:
	v_cmp_ne_u32_e32 vcc, 29, v182
	s_xor_b64 s[18:19], s[14:15], -1
	s_and_b64 s[22:23], s[18:19], vcc
	s_and_saveexec_b64 s[18:19], s[22:23]
	s_cbranch_execz .LBB84_623
; %bb.622:
	v_ashrrev_i32_e32 v183, 31, v182
	v_lshl_add_u64 v[188:189], v[182:183], 2, v[180:181]
	global_load_dword v183, v[188:189], off
	global_load_dword v185, v[180:181], off offset:116
	s_waitcnt vmcnt(1)
	global_store_dword v[180:181], v183, off offset:116
	s_waitcnt vmcnt(1)
	global_store_dword v[188:189], v185, off
.LBB84_623:
	s_or_b64 exec, exec, s[18:19]
	v_mov_b32_e32 v185, v182
	v_mov_b32_e32 v187, v182
.LBB84_624:
	s_or_b64 exec, exec, s[16:17]
.LBB84_625:
	s_andn2_saveexec_b64 s[0:1], s[0:1]
	s_cbranch_execz .LBB84_627
; %bb.626:
	v_mov_b32_e32 v185, 29
	s_waitcnt vmcnt(12)
	ds_write2_b64 v184, v[44:45], v[46:47] offset0:60 offset1:61
	s_waitcnt vmcnt(11)
	ds_write2_b64 v184, v[40:41], v[42:43] offset0:62 offset1:63
	;; [unrolled: 2-line block ×13, first 2 shown]
.LBB84_627:
	s_or_b64 exec, exec, s[0:1]
	v_cmp_lt_i32_e32 vcc, 29, v185
	s_waitcnt lgkmcnt(0)
	s_barrier
	s_and_saveexec_b64 s[0:1], vcc
	s_cbranch_execz .LBB84_629
; %bb.628:
	ds_read2_b64 v[188:191], v184 offset0:60 offset1:61
	v_mul_f64 v[182:183], v[172:173], v[50:51]
	v_fmac_f64_e32 v[182:183], v[174:175], v[48:49]
	v_mul_f64 v[50:51], v[174:175], v[50:51]
	v_fma_f64 v[48:49], v[172:173], v[48:49], -v[50:51]
	ds_read2_b64 v[172:175], v184 offset0:62 offset1:63
	s_waitcnt lgkmcnt(1)
	v_mul_f64 v[50:51], v[190:191], v[182:183]
	v_fma_f64 v[50:51], v[188:189], v[48:49], -v[50:51]
	v_mul_f64 v[188:189], v[188:189], v[182:183]
	v_fmac_f64_e32 v[188:189], v[190:191], v[48:49]
	s_waitcnt vmcnt(12)
	v_add_f64 v[46:47], v[46:47], -v[188:189]
	ds_read2_b64 v[188:191], v184 offset0:64 offset1:65
	v_add_f64 v[44:45], v[44:45], -v[50:51]
	s_waitcnt lgkmcnt(1)
	v_mul_f64 v[50:51], v[174:175], v[182:183]
	v_fma_f64 v[50:51], v[172:173], v[48:49], -v[50:51]
	v_mul_f64 v[172:173], v[172:173], v[182:183]
	v_fmac_f64_e32 v[172:173], v[174:175], v[48:49]
	s_waitcnt vmcnt(11)
	v_add_f64 v[40:41], v[40:41], -v[50:51]
	v_add_f64 v[42:43], v[42:43], -v[172:173]
	ds_read2_b64 v[172:175], v184 offset0:66 offset1:67
	s_waitcnt lgkmcnt(1)
	v_mul_f64 v[50:51], v[190:191], v[182:183]
	v_fma_f64 v[50:51], v[188:189], v[48:49], -v[50:51]
	v_mul_f64 v[188:189], v[188:189], v[182:183]
	v_fmac_f64_e32 v[188:189], v[190:191], v[48:49]
	s_waitcnt vmcnt(10)
	v_add_f64 v[38:39], v[38:39], -v[188:189]
	ds_read2_b64 v[188:191], v184 offset0:68 offset1:69
	v_add_f64 v[36:37], v[36:37], -v[50:51]
	s_waitcnt lgkmcnt(1)
	v_mul_f64 v[50:51], v[174:175], v[182:183]
	v_fma_f64 v[50:51], v[172:173], v[48:49], -v[50:51]
	v_mul_f64 v[172:173], v[172:173], v[182:183]
	v_fmac_f64_e32 v[172:173], v[174:175], v[48:49]
	s_waitcnt vmcnt(9)
	v_add_f64 v[32:33], v[32:33], -v[50:51]
	v_add_f64 v[34:35], v[34:35], -v[172:173]
	;; [unrolled: 18-line block ×6, first 2 shown]
	s_waitcnt lgkmcnt(0)
	v_mul_f64 v[50:51], v[190:191], v[182:183]
	v_mul_f64 v[172:173], v[188:189], v[182:183]
	v_fma_f64 v[50:51], v[188:189], v[48:49], -v[50:51]
	v_fmac_f64_e32 v[172:173], v[190:191], v[48:49]
	s_waitcnt vmcnt(0)
	v_add_f64 v[168:169], v[168:169], -v[50:51]
	v_add_f64 v[170:171], v[170:171], -v[172:173]
	v_mov_b64_e32 v[50:51], v[182:183]
.LBB84_629:
	s_or_b64 exec, exec, s[0:1]
	v_lshl_add_u32 v172, v185, 4, v184
	s_barrier
	s_waitcnt vmcnt(12)
	ds_write2_b64 v172, v[44:45], v[46:47] offset1:1
	s_waitcnt lgkmcnt(0)
	s_barrier
	ds_read2_b64 v[172:175], v184 offset0:60 offset1:61
	s_cmp_lt_i32 s20, 32
	v_mov_b32_e32 v182, 30
	s_cbranch_scc1 .LBB84_632
; %bb.630:
	v_add_u32_e32 v183, 0x1f0, v184
	s_mov_b32 s16, 31
	v_mov_b32_e32 v182, 30
.LBB84_631:                             ; =>This Inner Loop Header: Depth=1
	ds_read2_b64 v[188:191], v183 offset1:1
	s_waitcnt lgkmcnt(1)
	v_xor_b32_e32 v193, 0x80000000, v173
	v_xor_b32_e32 v195, 0x80000000, v175
	v_cmp_gt_f64_e32 vcc, 0, v[174:175]
	v_cmp_gt_f64_e64 s[0:1], 0, v[172:173]
	v_mov_b32_e32 v192, v172
	v_mov_b32_e32 v194, v174
	v_cndmask_b32_e64 v193, v173, v193, s[0:1]
	v_cndmask_b32_e32 v195, v175, v195, vcc
	v_add_f64 v[192:193], v[192:193], v[194:195]
	s_waitcnt lgkmcnt(0)
	v_xor_b32_e32 v195, 0x80000000, v189
	v_xor_b32_e32 v197, 0x80000000, v191
	v_cmp_gt_f64_e32 vcc, 0, v[190:191]
	v_cmp_gt_f64_e64 s[0:1], 0, v[188:189]
	v_mov_b32_e32 v194, v188
	v_mov_b32_e32 v196, v190
	v_cndmask_b32_e64 v195, v189, v195, s[0:1]
	v_cndmask_b32_e32 v197, v191, v197, vcc
	v_add_f64 v[194:195], v[194:195], v[196:197]
	v_mov_b32_e32 v198, s16
	s_add_i32 s16, s16, 1
	v_cmp_lt_f64_e32 vcc, v[192:193], v[194:195]
	v_add_u32_e32 v183, 16, v183
	s_cmp_lg_u32 s20, s16
	v_cndmask_b32_e32 v173, v173, v189, vcc
	v_cndmask_b32_e32 v172, v172, v188, vcc
	;; [unrolled: 1-line block ×5, first 2 shown]
	s_cbranch_scc1 .LBB84_631
.LBB84_632:
	s_waitcnt lgkmcnt(0)
	v_cmp_eq_f64_e32 vcc, 0, v[172:173]
	v_cmp_eq_f64_e64 s[0:1], 0, v[174:175]
	s_and_b64 s[0:1], vcc, s[0:1]
	s_and_saveexec_b64 s[16:17], s[0:1]
	s_xor_b64 s[0:1], exec, s[16:17]
; %bb.633:
	v_cmp_ne_u32_e32 vcc, 0, v186
	s_nop 1
	v_cndmask_b32_e32 v186, 31, v186, vcc
; %bb.634:
	s_andn2_saveexec_b64 s[0:1], s[0:1]
	s_cbranch_execz .LBB84_640
; %bb.635:
	v_cmp_ngt_f64_e64 s[16:17], |v[172:173]|, |v[174:175]|
	s_and_saveexec_b64 s[18:19], s[16:17]
	s_xor_b64 s[16:17], exec, s[18:19]
	s_cbranch_execz .LBB84_637
; %bb.636:
	v_div_scale_f64 v[188:189], s[18:19], v[174:175], v[174:175], v[172:173]
	v_rcp_f64_e32 v[190:191], v[188:189]
	v_div_scale_f64 v[192:193], vcc, v[172:173], v[174:175], v[172:173]
	v_fma_f64 v[194:195], -v[188:189], v[190:191], 1.0
	v_fmac_f64_e32 v[190:191], v[190:191], v[194:195]
	v_fma_f64 v[194:195], -v[188:189], v[190:191], 1.0
	v_fmac_f64_e32 v[190:191], v[190:191], v[194:195]
	v_mul_f64 v[194:195], v[192:193], v[190:191]
	v_fma_f64 v[188:189], -v[188:189], v[194:195], v[192:193]
	v_div_fmas_f64 v[188:189], v[188:189], v[190:191], v[194:195]
	v_div_fixup_f64 v[188:189], v[188:189], v[174:175], v[172:173]
	v_fmac_f64_e32 v[174:175], v[172:173], v[188:189]
	v_div_scale_f64 v[172:173], s[18:19], v[174:175], v[174:175], 1.0
	v_rcp_f64_e32 v[190:191], v[172:173]
	s_nop 0
	v_fma_f64 v[192:193], -v[172:173], v[190:191], 1.0
	v_fmac_f64_e32 v[190:191], v[190:191], v[192:193]
	v_fma_f64 v[192:193], -v[172:173], v[190:191], 1.0
	v_fmac_f64_e32 v[190:191], v[190:191], v[192:193]
	v_div_scale_f64 v[192:193], vcc, 1.0, v[174:175], 1.0
	v_mul_f64 v[194:195], v[192:193], v[190:191]
	v_fma_f64 v[172:173], -v[172:173], v[194:195], v[192:193]
	s_nop 1
	v_div_fmas_f64 v[172:173], v[172:173], v[190:191], v[194:195]
	v_div_fixup_f64 v[174:175], v[172:173], v[174:175], 1.0
	v_mul_f64 v[172:173], v[188:189], v[174:175]
	v_xor_b32_e32 v175, 0x80000000, v175
.LBB84_637:
	s_andn2_saveexec_b64 s[16:17], s[16:17]
	s_cbranch_execz .LBB84_639
; %bb.638:
	v_div_scale_f64 v[188:189], s[18:19], v[172:173], v[172:173], v[174:175]
	v_rcp_f64_e32 v[190:191], v[188:189]
	v_div_scale_f64 v[192:193], vcc, v[174:175], v[172:173], v[174:175]
	v_fma_f64 v[194:195], -v[188:189], v[190:191], 1.0
	v_fmac_f64_e32 v[190:191], v[190:191], v[194:195]
	v_fma_f64 v[194:195], -v[188:189], v[190:191], 1.0
	v_fmac_f64_e32 v[190:191], v[190:191], v[194:195]
	v_mul_f64 v[194:195], v[192:193], v[190:191]
	v_fma_f64 v[188:189], -v[188:189], v[194:195], v[192:193]
	v_div_fmas_f64 v[188:189], v[188:189], v[190:191], v[194:195]
	v_div_fixup_f64 v[188:189], v[188:189], v[172:173], v[174:175]
	v_fmac_f64_e32 v[172:173], v[174:175], v[188:189]
	v_div_scale_f64 v[174:175], s[18:19], v[172:173], v[172:173], 1.0
	v_rcp_f64_e32 v[190:191], v[174:175]
	s_nop 0
	v_fma_f64 v[192:193], -v[174:175], v[190:191], 1.0
	v_fmac_f64_e32 v[190:191], v[190:191], v[192:193]
	v_fma_f64 v[192:193], -v[174:175], v[190:191], 1.0
	v_fmac_f64_e32 v[190:191], v[190:191], v[192:193]
	v_div_scale_f64 v[192:193], vcc, 1.0, v[172:173], 1.0
	v_mul_f64 v[194:195], v[192:193], v[190:191]
	v_fma_f64 v[174:175], -v[174:175], v[194:195], v[192:193]
	s_nop 1
	v_div_fmas_f64 v[174:175], v[174:175], v[190:191], v[194:195]
	v_div_fixup_f64 v[172:173], v[174:175], v[172:173], 1.0
	v_mul_f64 v[174:175], v[188:189], -v[172:173]
.LBB84_639:
	s_or_b64 exec, exec, s[16:17]
.LBB84_640:
	s_or_b64 exec, exec, s[0:1]
	v_cmp_ne_u32_e32 vcc, v185, v182
	s_and_saveexec_b64 s[0:1], vcc
	s_xor_b64 s[0:1], exec, s[0:1]
	s_cbranch_execz .LBB84_646
; %bb.641:
	v_cmp_eq_u32_e32 vcc, 30, v185
	s_and_saveexec_b64 s[16:17], vcc
	s_cbranch_execz .LBB84_645
; %bb.642:
	v_cmp_ne_u32_e32 vcc, 30, v182
	s_xor_b64 s[18:19], s[14:15], -1
	s_and_b64 s[22:23], s[18:19], vcc
	s_and_saveexec_b64 s[18:19], s[22:23]
	s_cbranch_execz .LBB84_644
; %bb.643:
	v_ashrrev_i32_e32 v183, 31, v182
	v_lshl_add_u64 v[188:189], v[182:183], 2, v[180:181]
	global_load_dword v183, v[188:189], off
	global_load_dword v185, v[180:181], off offset:120
	s_waitcnt vmcnt(1)
	global_store_dword v[180:181], v183, off offset:120
	s_waitcnt vmcnt(1)
	global_store_dword v[188:189], v185, off
.LBB84_644:
	s_or_b64 exec, exec, s[18:19]
	v_mov_b32_e32 v185, v182
	v_mov_b32_e32 v187, v182
.LBB84_645:
	s_or_b64 exec, exec, s[16:17]
.LBB84_646:
	s_andn2_saveexec_b64 s[0:1], s[0:1]
	s_cbranch_execz .LBB84_648
; %bb.647:
	v_mov_b32_e32 v185, 30
	s_waitcnt vmcnt(11)
	ds_write2_b64 v184, v[40:41], v[42:43] offset0:62 offset1:63
	s_waitcnt vmcnt(10)
	ds_write2_b64 v184, v[36:37], v[38:39] offset0:64 offset1:65
	;; [unrolled: 2-line block ×12, first 2 shown]
.LBB84_648:
	s_or_b64 exec, exec, s[0:1]
	v_cmp_lt_i32_e32 vcc, 30, v185
	s_waitcnt lgkmcnt(0)
	s_barrier
	s_and_saveexec_b64 s[0:1], vcc
	s_cbranch_execz .LBB84_650
; %bb.649:
	ds_read2_b64 v[188:191], v184 offset0:62 offset1:63
	v_mul_f64 v[182:183], v[172:173], v[46:47]
	v_mul_f64 v[46:47], v[174:175], v[46:47]
	v_fmac_f64_e32 v[182:183], v[174:175], v[44:45]
	v_fma_f64 v[44:45], v[172:173], v[44:45], -v[46:47]
	ds_read2_b64 v[172:175], v184 offset0:64 offset1:65
	s_waitcnt lgkmcnt(1)
	v_mul_f64 v[46:47], v[190:191], v[182:183]
	v_fma_f64 v[46:47], v[188:189], v[44:45], -v[46:47]
	v_mul_f64 v[188:189], v[188:189], v[182:183]
	v_fmac_f64_e32 v[188:189], v[190:191], v[44:45]
	s_waitcnt vmcnt(11)
	v_add_f64 v[40:41], v[40:41], -v[46:47]
	s_waitcnt lgkmcnt(0)
	v_mul_f64 v[46:47], v[174:175], v[182:183]
	v_add_f64 v[42:43], v[42:43], -v[188:189]
	v_fma_f64 v[46:47], v[172:173], v[44:45], -v[46:47]
	v_mul_f64 v[172:173], v[172:173], v[182:183]
	ds_read2_b64 v[188:191], v184 offset0:66 offset1:67
	v_fmac_f64_e32 v[172:173], v[174:175], v[44:45]
	s_waitcnt vmcnt(10)
	v_add_f64 v[38:39], v[38:39], -v[172:173]
	ds_read2_b64 v[172:175], v184 offset0:68 offset1:69
	v_add_f64 v[36:37], v[36:37], -v[46:47]
	s_waitcnt lgkmcnt(1)
	v_mul_f64 v[46:47], v[190:191], v[182:183]
	v_fma_f64 v[46:47], v[188:189], v[44:45], -v[46:47]
	v_mul_f64 v[188:189], v[188:189], v[182:183]
	v_fmac_f64_e32 v[188:189], v[190:191], v[44:45]
	s_waitcnt vmcnt(9)
	v_add_f64 v[32:33], v[32:33], -v[46:47]
	s_waitcnt lgkmcnt(0)
	v_mul_f64 v[46:47], v[174:175], v[182:183]
	v_add_f64 v[34:35], v[34:35], -v[188:189]
	v_fma_f64 v[46:47], v[172:173], v[44:45], -v[46:47]
	v_mul_f64 v[172:173], v[172:173], v[182:183]
	ds_read2_b64 v[188:191], v184 offset0:70 offset1:71
	v_fmac_f64_e32 v[172:173], v[174:175], v[44:45]
	s_waitcnt vmcnt(8)
	v_add_f64 v[30:31], v[30:31], -v[172:173]
	ds_read2_b64 v[172:175], v184 offset0:72 offset1:73
	v_add_f64 v[28:29], v[28:29], -v[46:47]
	;; [unrolled: 18-line block ×5, first 2 shown]
	s_waitcnt lgkmcnt(1)
	v_mul_f64 v[46:47], v[190:191], v[182:183]
	v_fma_f64 v[46:47], v[188:189], v[44:45], -v[46:47]
	s_waitcnt vmcnt(1)
	v_add_f64 v[0:1], v[0:1], -v[46:47]
	s_waitcnt lgkmcnt(0)
	v_mul_f64 v[46:47], v[174:175], v[182:183]
	v_mul_f64 v[188:189], v[188:189], v[182:183]
	v_fma_f64 v[46:47], v[172:173], v[44:45], -v[46:47]
	v_mul_f64 v[172:173], v[172:173], v[182:183]
	v_fmac_f64_e32 v[188:189], v[190:191], v[44:45]
	v_fmac_f64_e32 v[172:173], v[174:175], v[44:45]
	v_add_f64 v[2:3], v[2:3], -v[188:189]
	s_waitcnt vmcnt(0)
	v_add_f64 v[168:169], v[168:169], -v[46:47]
	v_add_f64 v[170:171], v[170:171], -v[172:173]
	v_mov_b64_e32 v[46:47], v[182:183]
.LBB84_650:
	s_or_b64 exec, exec, s[0:1]
	v_lshl_add_u32 v172, v185, 4, v184
	s_barrier
	s_waitcnt vmcnt(11)
	ds_write2_b64 v172, v[40:41], v[42:43] offset1:1
	s_waitcnt lgkmcnt(0)
	s_barrier
	ds_read2_b64 v[172:175], v184 offset0:62 offset1:63
	s_cmp_lt_i32 s20, 33
	v_mov_b32_e32 v182, 31
	s_cbranch_scc1 .LBB84_653
; %bb.651:
	v_add_u32_e32 v183, 0x200, v184
	s_mov_b32 s16, 32
	v_mov_b32_e32 v182, 31
.LBB84_652:                             ; =>This Inner Loop Header: Depth=1
	ds_read2_b64 v[188:191], v183 offset1:1
	s_waitcnt lgkmcnt(1)
	v_xor_b32_e32 v193, 0x80000000, v173
	v_xor_b32_e32 v195, 0x80000000, v175
	v_cmp_gt_f64_e32 vcc, 0, v[174:175]
	v_cmp_gt_f64_e64 s[0:1], 0, v[172:173]
	v_mov_b32_e32 v192, v172
	v_mov_b32_e32 v194, v174
	v_cndmask_b32_e64 v193, v173, v193, s[0:1]
	v_cndmask_b32_e32 v195, v175, v195, vcc
	v_add_f64 v[192:193], v[192:193], v[194:195]
	s_waitcnt lgkmcnt(0)
	v_xor_b32_e32 v195, 0x80000000, v189
	v_xor_b32_e32 v197, 0x80000000, v191
	v_cmp_gt_f64_e32 vcc, 0, v[190:191]
	v_cmp_gt_f64_e64 s[0:1], 0, v[188:189]
	v_mov_b32_e32 v194, v188
	v_mov_b32_e32 v196, v190
	v_cndmask_b32_e64 v195, v189, v195, s[0:1]
	v_cndmask_b32_e32 v197, v191, v197, vcc
	v_add_f64 v[194:195], v[194:195], v[196:197]
	v_mov_b32_e32 v198, s16
	s_add_i32 s16, s16, 1
	v_cmp_lt_f64_e32 vcc, v[192:193], v[194:195]
	v_add_u32_e32 v183, 16, v183
	s_cmp_lg_u32 s20, s16
	v_cndmask_b32_e32 v173, v173, v189, vcc
	v_cndmask_b32_e32 v172, v172, v188, vcc
	;; [unrolled: 1-line block ×5, first 2 shown]
	s_cbranch_scc1 .LBB84_652
.LBB84_653:
	s_waitcnt lgkmcnt(0)
	v_cmp_eq_f64_e32 vcc, 0, v[172:173]
	v_cmp_eq_f64_e64 s[0:1], 0, v[174:175]
	s_and_b64 s[0:1], vcc, s[0:1]
	s_and_saveexec_b64 s[16:17], s[0:1]
	s_xor_b64 s[0:1], exec, s[16:17]
; %bb.654:
	v_cmp_ne_u32_e32 vcc, 0, v186
	s_nop 1
	v_cndmask_b32_e32 v186, 32, v186, vcc
; %bb.655:
	s_andn2_saveexec_b64 s[0:1], s[0:1]
	s_cbranch_execz .LBB84_661
; %bb.656:
	v_cmp_ngt_f64_e64 s[16:17], |v[172:173]|, |v[174:175]|
	s_and_saveexec_b64 s[18:19], s[16:17]
	s_xor_b64 s[16:17], exec, s[18:19]
	s_cbranch_execz .LBB84_658
; %bb.657:
	v_div_scale_f64 v[188:189], s[18:19], v[174:175], v[174:175], v[172:173]
	v_rcp_f64_e32 v[190:191], v[188:189]
	v_div_scale_f64 v[192:193], vcc, v[172:173], v[174:175], v[172:173]
	v_fma_f64 v[194:195], -v[188:189], v[190:191], 1.0
	v_fmac_f64_e32 v[190:191], v[190:191], v[194:195]
	v_fma_f64 v[194:195], -v[188:189], v[190:191], 1.0
	v_fmac_f64_e32 v[190:191], v[190:191], v[194:195]
	v_mul_f64 v[194:195], v[192:193], v[190:191]
	v_fma_f64 v[188:189], -v[188:189], v[194:195], v[192:193]
	v_div_fmas_f64 v[188:189], v[188:189], v[190:191], v[194:195]
	v_div_fixup_f64 v[188:189], v[188:189], v[174:175], v[172:173]
	v_fmac_f64_e32 v[174:175], v[172:173], v[188:189]
	v_div_scale_f64 v[172:173], s[18:19], v[174:175], v[174:175], 1.0
	v_rcp_f64_e32 v[190:191], v[172:173]
	s_nop 0
	v_fma_f64 v[192:193], -v[172:173], v[190:191], 1.0
	v_fmac_f64_e32 v[190:191], v[190:191], v[192:193]
	v_fma_f64 v[192:193], -v[172:173], v[190:191], 1.0
	v_fmac_f64_e32 v[190:191], v[190:191], v[192:193]
	v_div_scale_f64 v[192:193], vcc, 1.0, v[174:175], 1.0
	v_mul_f64 v[194:195], v[192:193], v[190:191]
	v_fma_f64 v[172:173], -v[172:173], v[194:195], v[192:193]
	s_nop 1
	v_div_fmas_f64 v[172:173], v[172:173], v[190:191], v[194:195]
	v_div_fixup_f64 v[174:175], v[172:173], v[174:175], 1.0
	v_mul_f64 v[172:173], v[188:189], v[174:175]
	v_xor_b32_e32 v175, 0x80000000, v175
.LBB84_658:
	s_andn2_saveexec_b64 s[16:17], s[16:17]
	s_cbranch_execz .LBB84_660
; %bb.659:
	v_div_scale_f64 v[188:189], s[18:19], v[172:173], v[172:173], v[174:175]
	v_rcp_f64_e32 v[190:191], v[188:189]
	v_div_scale_f64 v[192:193], vcc, v[174:175], v[172:173], v[174:175]
	v_fma_f64 v[194:195], -v[188:189], v[190:191], 1.0
	v_fmac_f64_e32 v[190:191], v[190:191], v[194:195]
	v_fma_f64 v[194:195], -v[188:189], v[190:191], 1.0
	v_fmac_f64_e32 v[190:191], v[190:191], v[194:195]
	v_mul_f64 v[194:195], v[192:193], v[190:191]
	v_fma_f64 v[188:189], -v[188:189], v[194:195], v[192:193]
	v_div_fmas_f64 v[188:189], v[188:189], v[190:191], v[194:195]
	v_div_fixup_f64 v[188:189], v[188:189], v[172:173], v[174:175]
	v_fmac_f64_e32 v[172:173], v[174:175], v[188:189]
	v_div_scale_f64 v[174:175], s[18:19], v[172:173], v[172:173], 1.0
	v_rcp_f64_e32 v[190:191], v[174:175]
	s_nop 0
	v_fma_f64 v[192:193], -v[174:175], v[190:191], 1.0
	v_fmac_f64_e32 v[190:191], v[190:191], v[192:193]
	v_fma_f64 v[192:193], -v[174:175], v[190:191], 1.0
	v_fmac_f64_e32 v[190:191], v[190:191], v[192:193]
	v_div_scale_f64 v[192:193], vcc, 1.0, v[172:173], 1.0
	v_mul_f64 v[194:195], v[192:193], v[190:191]
	v_fma_f64 v[174:175], -v[174:175], v[194:195], v[192:193]
	s_nop 1
	v_div_fmas_f64 v[174:175], v[174:175], v[190:191], v[194:195]
	v_div_fixup_f64 v[172:173], v[174:175], v[172:173], 1.0
	v_mul_f64 v[174:175], v[188:189], -v[172:173]
.LBB84_660:
	s_or_b64 exec, exec, s[16:17]
.LBB84_661:
	s_or_b64 exec, exec, s[0:1]
	v_cmp_ne_u32_e32 vcc, v185, v182
	s_and_saveexec_b64 s[0:1], vcc
	s_xor_b64 s[0:1], exec, s[0:1]
	s_cbranch_execz .LBB84_667
; %bb.662:
	v_cmp_eq_u32_e32 vcc, 31, v185
	s_and_saveexec_b64 s[16:17], vcc
	s_cbranch_execz .LBB84_666
; %bb.663:
	v_cmp_ne_u32_e32 vcc, 31, v182
	s_xor_b64 s[18:19], s[14:15], -1
	s_and_b64 s[22:23], s[18:19], vcc
	s_and_saveexec_b64 s[18:19], s[22:23]
	s_cbranch_execz .LBB84_665
; %bb.664:
	v_ashrrev_i32_e32 v183, 31, v182
	v_lshl_add_u64 v[188:189], v[182:183], 2, v[180:181]
	global_load_dword v183, v[188:189], off
	global_load_dword v185, v[180:181], off offset:124
	s_waitcnt vmcnt(1)
	global_store_dword v[180:181], v183, off offset:124
	s_waitcnt vmcnt(1)
	global_store_dword v[188:189], v185, off
.LBB84_665:
	s_or_b64 exec, exec, s[18:19]
	v_mov_b32_e32 v185, v182
	v_mov_b32_e32 v187, v182
.LBB84_666:
	s_or_b64 exec, exec, s[16:17]
.LBB84_667:
	s_andn2_saveexec_b64 s[0:1], s[0:1]
	s_cbranch_execz .LBB84_669
; %bb.668:
	v_mov_b32_e32 v185, 31
	s_waitcnt vmcnt(10)
	ds_write2_b64 v184, v[36:37], v[38:39] offset0:64 offset1:65
	s_waitcnt vmcnt(9)
	ds_write2_b64 v184, v[32:33], v[34:35] offset0:66 offset1:67
	;; [unrolled: 2-line block ×11, first 2 shown]
.LBB84_669:
	s_or_b64 exec, exec, s[0:1]
	v_cmp_lt_i32_e32 vcc, 31, v185
	s_waitcnt lgkmcnt(0)
	s_barrier
	s_and_saveexec_b64 s[0:1], vcc
	s_cbranch_execz .LBB84_671
; %bb.670:
	ds_read2_b64 v[188:191], v184 offset0:64 offset1:65
	v_mul_f64 v[182:183], v[172:173], v[42:43]
	v_fmac_f64_e32 v[182:183], v[174:175], v[40:41]
	v_mul_f64 v[42:43], v[174:175], v[42:43]
	v_fma_f64 v[40:41], v[172:173], v[40:41], -v[42:43]
	ds_read2_b64 v[172:175], v184 offset0:66 offset1:67
	s_waitcnt lgkmcnt(1)
	v_mul_f64 v[42:43], v[190:191], v[182:183]
	v_fma_f64 v[42:43], v[188:189], v[40:41], -v[42:43]
	v_mul_f64 v[188:189], v[188:189], v[182:183]
	v_fmac_f64_e32 v[188:189], v[190:191], v[40:41]
	s_waitcnt vmcnt(10)
	v_add_f64 v[38:39], v[38:39], -v[188:189]
	ds_read2_b64 v[188:191], v184 offset0:68 offset1:69
	v_add_f64 v[36:37], v[36:37], -v[42:43]
	s_waitcnt lgkmcnt(1)
	v_mul_f64 v[42:43], v[174:175], v[182:183]
	v_fma_f64 v[42:43], v[172:173], v[40:41], -v[42:43]
	v_mul_f64 v[172:173], v[172:173], v[182:183]
	v_fmac_f64_e32 v[172:173], v[174:175], v[40:41]
	s_waitcnt vmcnt(9)
	v_add_f64 v[32:33], v[32:33], -v[42:43]
	v_add_f64 v[34:35], v[34:35], -v[172:173]
	ds_read2_b64 v[172:175], v184 offset0:70 offset1:71
	s_waitcnt lgkmcnt(1)
	v_mul_f64 v[42:43], v[190:191], v[182:183]
	v_fma_f64 v[42:43], v[188:189], v[40:41], -v[42:43]
	v_mul_f64 v[188:189], v[188:189], v[182:183]
	v_fmac_f64_e32 v[188:189], v[190:191], v[40:41]
	s_waitcnt vmcnt(8)
	v_add_f64 v[30:31], v[30:31], -v[188:189]
	ds_read2_b64 v[188:191], v184 offset0:72 offset1:73
	v_add_f64 v[28:29], v[28:29], -v[42:43]
	s_waitcnt lgkmcnt(1)
	v_mul_f64 v[42:43], v[174:175], v[182:183]
	v_fma_f64 v[42:43], v[172:173], v[40:41], -v[42:43]
	v_mul_f64 v[172:173], v[172:173], v[182:183]
	v_fmac_f64_e32 v[172:173], v[174:175], v[40:41]
	s_waitcnt vmcnt(7)
	v_add_f64 v[24:25], v[24:25], -v[42:43]
	v_add_f64 v[26:27], v[26:27], -v[172:173]
	;; [unrolled: 18-line block ×5, first 2 shown]
	s_waitcnt lgkmcnt(0)
	v_mul_f64 v[42:43], v[190:191], v[182:183]
	v_mul_f64 v[172:173], v[188:189], v[182:183]
	v_fma_f64 v[42:43], v[188:189], v[40:41], -v[42:43]
	v_fmac_f64_e32 v[172:173], v[190:191], v[40:41]
	s_waitcnt vmcnt(0)
	v_add_f64 v[168:169], v[168:169], -v[42:43]
	v_add_f64 v[170:171], v[170:171], -v[172:173]
	v_mov_b64_e32 v[42:43], v[182:183]
.LBB84_671:
	s_or_b64 exec, exec, s[0:1]
	v_lshl_add_u32 v172, v185, 4, v184
	s_barrier
	s_waitcnt vmcnt(10)
	ds_write2_b64 v172, v[36:37], v[38:39] offset1:1
	s_waitcnt lgkmcnt(0)
	s_barrier
	ds_read2_b64 v[172:175], v184 offset0:64 offset1:65
	s_cmp_lt_i32 s20, 34
	v_mov_b32_e32 v182, 32
	s_cbranch_scc1 .LBB84_674
; %bb.672:
	v_add_u32_e32 v183, 0x210, v184
	s_mov_b32 s16, 33
	v_mov_b32_e32 v182, 32
.LBB84_673:                             ; =>This Inner Loop Header: Depth=1
	ds_read2_b64 v[188:191], v183 offset1:1
	s_waitcnt lgkmcnt(1)
	v_xor_b32_e32 v193, 0x80000000, v173
	v_xor_b32_e32 v195, 0x80000000, v175
	v_cmp_gt_f64_e32 vcc, 0, v[174:175]
	v_cmp_gt_f64_e64 s[0:1], 0, v[172:173]
	v_mov_b32_e32 v192, v172
	v_mov_b32_e32 v194, v174
	v_cndmask_b32_e64 v193, v173, v193, s[0:1]
	v_cndmask_b32_e32 v195, v175, v195, vcc
	v_add_f64 v[192:193], v[192:193], v[194:195]
	s_waitcnt lgkmcnt(0)
	v_xor_b32_e32 v195, 0x80000000, v189
	v_xor_b32_e32 v197, 0x80000000, v191
	v_cmp_gt_f64_e32 vcc, 0, v[190:191]
	v_cmp_gt_f64_e64 s[0:1], 0, v[188:189]
	v_mov_b32_e32 v194, v188
	v_mov_b32_e32 v196, v190
	v_cndmask_b32_e64 v195, v189, v195, s[0:1]
	v_cndmask_b32_e32 v197, v191, v197, vcc
	v_add_f64 v[194:195], v[194:195], v[196:197]
	v_mov_b32_e32 v198, s16
	s_add_i32 s16, s16, 1
	v_cmp_lt_f64_e32 vcc, v[192:193], v[194:195]
	v_add_u32_e32 v183, 16, v183
	s_cmp_lg_u32 s20, s16
	v_cndmask_b32_e32 v173, v173, v189, vcc
	v_cndmask_b32_e32 v172, v172, v188, vcc
	;; [unrolled: 1-line block ×5, first 2 shown]
	s_cbranch_scc1 .LBB84_673
.LBB84_674:
	s_waitcnt lgkmcnt(0)
	v_cmp_eq_f64_e32 vcc, 0, v[172:173]
	v_cmp_eq_f64_e64 s[0:1], 0, v[174:175]
	s_and_b64 s[0:1], vcc, s[0:1]
	s_and_saveexec_b64 s[16:17], s[0:1]
	s_xor_b64 s[0:1], exec, s[16:17]
; %bb.675:
	v_cmp_ne_u32_e32 vcc, 0, v186
	s_nop 1
	v_cndmask_b32_e32 v186, 33, v186, vcc
; %bb.676:
	s_andn2_saveexec_b64 s[0:1], s[0:1]
	s_cbranch_execz .LBB84_682
; %bb.677:
	v_cmp_ngt_f64_e64 s[16:17], |v[172:173]|, |v[174:175]|
	s_and_saveexec_b64 s[18:19], s[16:17]
	s_xor_b64 s[16:17], exec, s[18:19]
	s_cbranch_execz .LBB84_679
; %bb.678:
	v_div_scale_f64 v[188:189], s[18:19], v[174:175], v[174:175], v[172:173]
	v_rcp_f64_e32 v[190:191], v[188:189]
	v_div_scale_f64 v[192:193], vcc, v[172:173], v[174:175], v[172:173]
	v_fma_f64 v[194:195], -v[188:189], v[190:191], 1.0
	v_fmac_f64_e32 v[190:191], v[190:191], v[194:195]
	v_fma_f64 v[194:195], -v[188:189], v[190:191], 1.0
	v_fmac_f64_e32 v[190:191], v[190:191], v[194:195]
	v_mul_f64 v[194:195], v[192:193], v[190:191]
	v_fma_f64 v[188:189], -v[188:189], v[194:195], v[192:193]
	v_div_fmas_f64 v[188:189], v[188:189], v[190:191], v[194:195]
	v_div_fixup_f64 v[188:189], v[188:189], v[174:175], v[172:173]
	v_fmac_f64_e32 v[174:175], v[172:173], v[188:189]
	v_div_scale_f64 v[172:173], s[18:19], v[174:175], v[174:175], 1.0
	v_rcp_f64_e32 v[190:191], v[172:173]
	s_nop 0
	v_fma_f64 v[192:193], -v[172:173], v[190:191], 1.0
	v_fmac_f64_e32 v[190:191], v[190:191], v[192:193]
	v_fma_f64 v[192:193], -v[172:173], v[190:191], 1.0
	v_fmac_f64_e32 v[190:191], v[190:191], v[192:193]
	v_div_scale_f64 v[192:193], vcc, 1.0, v[174:175], 1.0
	v_mul_f64 v[194:195], v[192:193], v[190:191]
	v_fma_f64 v[172:173], -v[172:173], v[194:195], v[192:193]
	s_nop 1
	v_div_fmas_f64 v[172:173], v[172:173], v[190:191], v[194:195]
	v_div_fixup_f64 v[174:175], v[172:173], v[174:175], 1.0
	v_mul_f64 v[172:173], v[188:189], v[174:175]
	v_xor_b32_e32 v175, 0x80000000, v175
.LBB84_679:
	s_andn2_saveexec_b64 s[16:17], s[16:17]
	s_cbranch_execz .LBB84_681
; %bb.680:
	v_div_scale_f64 v[188:189], s[18:19], v[172:173], v[172:173], v[174:175]
	v_rcp_f64_e32 v[190:191], v[188:189]
	v_div_scale_f64 v[192:193], vcc, v[174:175], v[172:173], v[174:175]
	v_fma_f64 v[194:195], -v[188:189], v[190:191], 1.0
	v_fmac_f64_e32 v[190:191], v[190:191], v[194:195]
	v_fma_f64 v[194:195], -v[188:189], v[190:191], 1.0
	v_fmac_f64_e32 v[190:191], v[190:191], v[194:195]
	v_mul_f64 v[194:195], v[192:193], v[190:191]
	v_fma_f64 v[188:189], -v[188:189], v[194:195], v[192:193]
	v_div_fmas_f64 v[188:189], v[188:189], v[190:191], v[194:195]
	v_div_fixup_f64 v[188:189], v[188:189], v[172:173], v[174:175]
	v_fmac_f64_e32 v[172:173], v[174:175], v[188:189]
	v_div_scale_f64 v[174:175], s[18:19], v[172:173], v[172:173], 1.0
	v_rcp_f64_e32 v[190:191], v[174:175]
	s_nop 0
	v_fma_f64 v[192:193], -v[174:175], v[190:191], 1.0
	v_fmac_f64_e32 v[190:191], v[190:191], v[192:193]
	v_fma_f64 v[192:193], -v[174:175], v[190:191], 1.0
	v_fmac_f64_e32 v[190:191], v[190:191], v[192:193]
	v_div_scale_f64 v[192:193], vcc, 1.0, v[172:173], 1.0
	v_mul_f64 v[194:195], v[192:193], v[190:191]
	v_fma_f64 v[174:175], -v[174:175], v[194:195], v[192:193]
	s_nop 1
	v_div_fmas_f64 v[174:175], v[174:175], v[190:191], v[194:195]
	v_div_fixup_f64 v[172:173], v[174:175], v[172:173], 1.0
	v_mul_f64 v[174:175], v[188:189], -v[172:173]
.LBB84_681:
	s_or_b64 exec, exec, s[16:17]
.LBB84_682:
	s_or_b64 exec, exec, s[0:1]
	v_cmp_ne_u32_e32 vcc, v185, v182
	s_and_saveexec_b64 s[0:1], vcc
	s_xor_b64 s[0:1], exec, s[0:1]
	s_cbranch_execz .LBB84_688
; %bb.683:
	v_cmp_eq_u32_e32 vcc, 32, v185
	s_and_saveexec_b64 s[16:17], vcc
	s_cbranch_execz .LBB84_687
; %bb.684:
	v_cmp_ne_u32_e32 vcc, 32, v182
	s_xor_b64 s[18:19], s[14:15], -1
	s_and_b64 s[22:23], s[18:19], vcc
	s_and_saveexec_b64 s[18:19], s[22:23]
	s_cbranch_execz .LBB84_686
; %bb.685:
	v_ashrrev_i32_e32 v183, 31, v182
	v_lshl_add_u64 v[188:189], v[182:183], 2, v[180:181]
	global_load_dword v183, v[188:189], off
	global_load_dword v185, v[180:181], off offset:128
	s_waitcnt vmcnt(1)
	global_store_dword v[180:181], v183, off offset:128
	s_waitcnt vmcnt(1)
	global_store_dword v[188:189], v185, off
.LBB84_686:
	s_or_b64 exec, exec, s[18:19]
	v_mov_b32_e32 v185, v182
	v_mov_b32_e32 v187, v182
.LBB84_687:
	s_or_b64 exec, exec, s[16:17]
.LBB84_688:
	s_andn2_saveexec_b64 s[0:1], s[0:1]
	s_cbranch_execz .LBB84_690
; %bb.689:
	v_mov_b32_e32 v185, 32
	s_waitcnt vmcnt(9)
	ds_write2_b64 v184, v[32:33], v[34:35] offset0:66 offset1:67
	s_waitcnt vmcnt(8)
	ds_write2_b64 v184, v[28:29], v[30:31] offset0:68 offset1:69
	;; [unrolled: 2-line block ×10, first 2 shown]
.LBB84_690:
	s_or_b64 exec, exec, s[0:1]
	v_cmp_lt_i32_e32 vcc, 32, v185
	s_waitcnt lgkmcnt(0)
	s_barrier
	s_and_saveexec_b64 s[0:1], vcc
	s_cbranch_execz .LBB84_692
; %bb.691:
	ds_read2_b64 v[188:191], v184 offset0:66 offset1:67
	v_mul_f64 v[182:183], v[172:173], v[38:39]
	v_mul_f64 v[38:39], v[174:175], v[38:39]
	v_fmac_f64_e32 v[182:183], v[174:175], v[36:37]
	v_fma_f64 v[36:37], v[172:173], v[36:37], -v[38:39]
	ds_read2_b64 v[172:175], v184 offset0:68 offset1:69
	s_waitcnt lgkmcnt(1)
	v_mul_f64 v[38:39], v[190:191], v[182:183]
	v_fma_f64 v[38:39], v[188:189], v[36:37], -v[38:39]
	v_mul_f64 v[188:189], v[188:189], v[182:183]
	v_fmac_f64_e32 v[188:189], v[190:191], v[36:37]
	s_waitcnt vmcnt(9)
	v_add_f64 v[32:33], v[32:33], -v[38:39]
	s_waitcnt lgkmcnt(0)
	v_mul_f64 v[38:39], v[174:175], v[182:183]
	v_add_f64 v[34:35], v[34:35], -v[188:189]
	v_fma_f64 v[38:39], v[172:173], v[36:37], -v[38:39]
	v_mul_f64 v[172:173], v[172:173], v[182:183]
	ds_read2_b64 v[188:191], v184 offset0:70 offset1:71
	v_fmac_f64_e32 v[172:173], v[174:175], v[36:37]
	s_waitcnt vmcnt(8)
	v_add_f64 v[30:31], v[30:31], -v[172:173]
	ds_read2_b64 v[172:175], v184 offset0:72 offset1:73
	v_add_f64 v[28:29], v[28:29], -v[38:39]
	s_waitcnt lgkmcnt(1)
	v_mul_f64 v[38:39], v[190:191], v[182:183]
	v_fma_f64 v[38:39], v[188:189], v[36:37], -v[38:39]
	v_mul_f64 v[188:189], v[188:189], v[182:183]
	v_fmac_f64_e32 v[188:189], v[190:191], v[36:37]
	s_waitcnt vmcnt(7)
	v_add_f64 v[24:25], v[24:25], -v[38:39]
	s_waitcnt lgkmcnt(0)
	v_mul_f64 v[38:39], v[174:175], v[182:183]
	v_add_f64 v[26:27], v[26:27], -v[188:189]
	v_fma_f64 v[38:39], v[172:173], v[36:37], -v[38:39]
	v_mul_f64 v[172:173], v[172:173], v[182:183]
	ds_read2_b64 v[188:191], v184 offset0:74 offset1:75
	v_fmac_f64_e32 v[172:173], v[174:175], v[36:37]
	s_waitcnt vmcnt(6)
	v_add_f64 v[22:23], v[22:23], -v[172:173]
	ds_read2_b64 v[172:175], v184 offset0:76 offset1:77
	v_add_f64 v[20:21], v[20:21], -v[38:39]
	;; [unrolled: 18-line block ×4, first 2 shown]
	s_waitcnt lgkmcnt(1)
	v_mul_f64 v[38:39], v[190:191], v[182:183]
	v_fma_f64 v[38:39], v[188:189], v[36:37], -v[38:39]
	s_waitcnt vmcnt(1)
	v_add_f64 v[0:1], v[0:1], -v[38:39]
	s_waitcnt lgkmcnt(0)
	v_mul_f64 v[38:39], v[174:175], v[182:183]
	v_mul_f64 v[188:189], v[188:189], v[182:183]
	v_fma_f64 v[38:39], v[172:173], v[36:37], -v[38:39]
	v_mul_f64 v[172:173], v[172:173], v[182:183]
	v_fmac_f64_e32 v[188:189], v[190:191], v[36:37]
	v_fmac_f64_e32 v[172:173], v[174:175], v[36:37]
	v_add_f64 v[2:3], v[2:3], -v[188:189]
	s_waitcnt vmcnt(0)
	v_add_f64 v[168:169], v[168:169], -v[38:39]
	v_add_f64 v[170:171], v[170:171], -v[172:173]
	v_mov_b64_e32 v[38:39], v[182:183]
.LBB84_692:
	s_or_b64 exec, exec, s[0:1]
	v_lshl_add_u32 v172, v185, 4, v184
	s_barrier
	s_waitcnt vmcnt(9)
	ds_write2_b64 v172, v[32:33], v[34:35] offset1:1
	s_waitcnt lgkmcnt(0)
	s_barrier
	ds_read2_b64 v[172:175], v184 offset0:66 offset1:67
	s_cmp_lt_i32 s20, 35
	v_mov_b32_e32 v182, 33
	s_cbranch_scc1 .LBB84_695
; %bb.693:
	v_add_u32_e32 v183, 0x220, v184
	s_mov_b32 s16, 34
	v_mov_b32_e32 v182, 33
.LBB84_694:                             ; =>This Inner Loop Header: Depth=1
	ds_read2_b64 v[188:191], v183 offset1:1
	s_waitcnt lgkmcnt(1)
	v_xor_b32_e32 v193, 0x80000000, v173
	v_xor_b32_e32 v195, 0x80000000, v175
	v_cmp_gt_f64_e32 vcc, 0, v[174:175]
	v_cmp_gt_f64_e64 s[0:1], 0, v[172:173]
	v_mov_b32_e32 v192, v172
	v_mov_b32_e32 v194, v174
	v_cndmask_b32_e64 v193, v173, v193, s[0:1]
	v_cndmask_b32_e32 v195, v175, v195, vcc
	v_add_f64 v[192:193], v[192:193], v[194:195]
	s_waitcnt lgkmcnt(0)
	v_xor_b32_e32 v195, 0x80000000, v189
	v_xor_b32_e32 v197, 0x80000000, v191
	v_cmp_gt_f64_e32 vcc, 0, v[190:191]
	v_cmp_gt_f64_e64 s[0:1], 0, v[188:189]
	v_mov_b32_e32 v194, v188
	v_mov_b32_e32 v196, v190
	v_cndmask_b32_e64 v195, v189, v195, s[0:1]
	v_cndmask_b32_e32 v197, v191, v197, vcc
	v_add_f64 v[194:195], v[194:195], v[196:197]
	v_mov_b32_e32 v198, s16
	s_add_i32 s16, s16, 1
	v_cmp_lt_f64_e32 vcc, v[192:193], v[194:195]
	v_add_u32_e32 v183, 16, v183
	s_cmp_lg_u32 s20, s16
	v_cndmask_b32_e32 v173, v173, v189, vcc
	v_cndmask_b32_e32 v172, v172, v188, vcc
	;; [unrolled: 1-line block ×5, first 2 shown]
	s_cbranch_scc1 .LBB84_694
.LBB84_695:
	s_waitcnt lgkmcnt(0)
	v_cmp_eq_f64_e32 vcc, 0, v[172:173]
	v_cmp_eq_f64_e64 s[0:1], 0, v[174:175]
	s_and_b64 s[0:1], vcc, s[0:1]
	s_and_saveexec_b64 s[16:17], s[0:1]
	s_xor_b64 s[0:1], exec, s[16:17]
; %bb.696:
	v_cmp_ne_u32_e32 vcc, 0, v186
	s_nop 1
	v_cndmask_b32_e32 v186, 34, v186, vcc
; %bb.697:
	s_andn2_saveexec_b64 s[0:1], s[0:1]
	s_cbranch_execz .LBB84_703
; %bb.698:
	v_cmp_ngt_f64_e64 s[16:17], |v[172:173]|, |v[174:175]|
	s_and_saveexec_b64 s[18:19], s[16:17]
	s_xor_b64 s[16:17], exec, s[18:19]
	s_cbranch_execz .LBB84_700
; %bb.699:
	v_div_scale_f64 v[188:189], s[18:19], v[174:175], v[174:175], v[172:173]
	v_rcp_f64_e32 v[190:191], v[188:189]
	v_div_scale_f64 v[192:193], vcc, v[172:173], v[174:175], v[172:173]
	v_fma_f64 v[194:195], -v[188:189], v[190:191], 1.0
	v_fmac_f64_e32 v[190:191], v[190:191], v[194:195]
	v_fma_f64 v[194:195], -v[188:189], v[190:191], 1.0
	v_fmac_f64_e32 v[190:191], v[190:191], v[194:195]
	v_mul_f64 v[194:195], v[192:193], v[190:191]
	v_fma_f64 v[188:189], -v[188:189], v[194:195], v[192:193]
	v_div_fmas_f64 v[188:189], v[188:189], v[190:191], v[194:195]
	v_div_fixup_f64 v[188:189], v[188:189], v[174:175], v[172:173]
	v_fmac_f64_e32 v[174:175], v[172:173], v[188:189]
	v_div_scale_f64 v[172:173], s[18:19], v[174:175], v[174:175], 1.0
	v_rcp_f64_e32 v[190:191], v[172:173]
	s_nop 0
	v_fma_f64 v[192:193], -v[172:173], v[190:191], 1.0
	v_fmac_f64_e32 v[190:191], v[190:191], v[192:193]
	v_fma_f64 v[192:193], -v[172:173], v[190:191], 1.0
	v_fmac_f64_e32 v[190:191], v[190:191], v[192:193]
	v_div_scale_f64 v[192:193], vcc, 1.0, v[174:175], 1.0
	v_mul_f64 v[194:195], v[192:193], v[190:191]
	v_fma_f64 v[172:173], -v[172:173], v[194:195], v[192:193]
	s_nop 1
	v_div_fmas_f64 v[172:173], v[172:173], v[190:191], v[194:195]
	v_div_fixup_f64 v[174:175], v[172:173], v[174:175], 1.0
	v_mul_f64 v[172:173], v[188:189], v[174:175]
	v_xor_b32_e32 v175, 0x80000000, v175
.LBB84_700:
	s_andn2_saveexec_b64 s[16:17], s[16:17]
	s_cbranch_execz .LBB84_702
; %bb.701:
	v_div_scale_f64 v[188:189], s[18:19], v[172:173], v[172:173], v[174:175]
	v_rcp_f64_e32 v[190:191], v[188:189]
	v_div_scale_f64 v[192:193], vcc, v[174:175], v[172:173], v[174:175]
	v_fma_f64 v[194:195], -v[188:189], v[190:191], 1.0
	v_fmac_f64_e32 v[190:191], v[190:191], v[194:195]
	v_fma_f64 v[194:195], -v[188:189], v[190:191], 1.0
	v_fmac_f64_e32 v[190:191], v[190:191], v[194:195]
	v_mul_f64 v[194:195], v[192:193], v[190:191]
	v_fma_f64 v[188:189], -v[188:189], v[194:195], v[192:193]
	v_div_fmas_f64 v[188:189], v[188:189], v[190:191], v[194:195]
	v_div_fixup_f64 v[188:189], v[188:189], v[172:173], v[174:175]
	v_fmac_f64_e32 v[172:173], v[174:175], v[188:189]
	v_div_scale_f64 v[174:175], s[18:19], v[172:173], v[172:173], 1.0
	v_rcp_f64_e32 v[190:191], v[174:175]
	s_nop 0
	v_fma_f64 v[192:193], -v[174:175], v[190:191], 1.0
	v_fmac_f64_e32 v[190:191], v[190:191], v[192:193]
	v_fma_f64 v[192:193], -v[174:175], v[190:191], 1.0
	v_fmac_f64_e32 v[190:191], v[190:191], v[192:193]
	v_div_scale_f64 v[192:193], vcc, 1.0, v[172:173], 1.0
	v_mul_f64 v[194:195], v[192:193], v[190:191]
	v_fma_f64 v[174:175], -v[174:175], v[194:195], v[192:193]
	s_nop 1
	v_div_fmas_f64 v[174:175], v[174:175], v[190:191], v[194:195]
	v_div_fixup_f64 v[172:173], v[174:175], v[172:173], 1.0
	v_mul_f64 v[174:175], v[188:189], -v[172:173]
.LBB84_702:
	s_or_b64 exec, exec, s[16:17]
.LBB84_703:
	s_or_b64 exec, exec, s[0:1]
	v_cmp_ne_u32_e32 vcc, v185, v182
	s_and_saveexec_b64 s[0:1], vcc
	s_xor_b64 s[0:1], exec, s[0:1]
	s_cbranch_execz .LBB84_709
; %bb.704:
	v_cmp_eq_u32_e32 vcc, 33, v185
	s_and_saveexec_b64 s[16:17], vcc
	s_cbranch_execz .LBB84_708
; %bb.705:
	v_cmp_ne_u32_e32 vcc, 33, v182
	s_xor_b64 s[18:19], s[14:15], -1
	s_and_b64 s[22:23], s[18:19], vcc
	s_and_saveexec_b64 s[18:19], s[22:23]
	s_cbranch_execz .LBB84_707
; %bb.706:
	v_ashrrev_i32_e32 v183, 31, v182
	v_lshl_add_u64 v[188:189], v[182:183], 2, v[180:181]
	global_load_dword v183, v[188:189], off
	global_load_dword v185, v[180:181], off offset:132
	s_waitcnt vmcnt(1)
	global_store_dword v[180:181], v183, off offset:132
	s_waitcnt vmcnt(1)
	global_store_dword v[188:189], v185, off
.LBB84_707:
	s_or_b64 exec, exec, s[18:19]
	v_mov_b32_e32 v185, v182
	v_mov_b32_e32 v187, v182
.LBB84_708:
	s_or_b64 exec, exec, s[16:17]
.LBB84_709:
	s_andn2_saveexec_b64 s[0:1], s[0:1]
	s_cbranch_execz .LBB84_711
; %bb.710:
	v_mov_b32_e32 v185, 33
	s_waitcnt vmcnt(8)
	ds_write2_b64 v184, v[28:29], v[30:31] offset0:68 offset1:69
	s_waitcnt vmcnt(7)
	ds_write2_b64 v184, v[24:25], v[26:27] offset0:70 offset1:71
	;; [unrolled: 2-line block ×9, first 2 shown]
.LBB84_711:
	s_or_b64 exec, exec, s[0:1]
	v_cmp_lt_i32_e32 vcc, 33, v185
	s_waitcnt lgkmcnt(0)
	s_barrier
	s_and_saveexec_b64 s[0:1], vcc
	s_cbranch_execz .LBB84_713
; %bb.712:
	ds_read2_b64 v[188:191], v184 offset0:68 offset1:69
	v_mul_f64 v[182:183], v[172:173], v[34:35]
	v_fmac_f64_e32 v[182:183], v[174:175], v[32:33]
	v_mul_f64 v[34:35], v[174:175], v[34:35]
	v_fma_f64 v[32:33], v[172:173], v[32:33], -v[34:35]
	ds_read2_b64 v[172:175], v184 offset0:70 offset1:71
	s_waitcnt lgkmcnt(1)
	v_mul_f64 v[34:35], v[190:191], v[182:183]
	v_fma_f64 v[34:35], v[188:189], v[32:33], -v[34:35]
	v_mul_f64 v[188:189], v[188:189], v[182:183]
	v_fmac_f64_e32 v[188:189], v[190:191], v[32:33]
	s_waitcnt vmcnt(8)
	v_add_f64 v[30:31], v[30:31], -v[188:189]
	ds_read2_b64 v[188:191], v184 offset0:72 offset1:73
	v_add_f64 v[28:29], v[28:29], -v[34:35]
	s_waitcnt lgkmcnt(1)
	v_mul_f64 v[34:35], v[174:175], v[182:183]
	v_fma_f64 v[34:35], v[172:173], v[32:33], -v[34:35]
	v_mul_f64 v[172:173], v[172:173], v[182:183]
	v_fmac_f64_e32 v[172:173], v[174:175], v[32:33]
	s_waitcnt vmcnt(7)
	v_add_f64 v[24:25], v[24:25], -v[34:35]
	v_add_f64 v[26:27], v[26:27], -v[172:173]
	ds_read2_b64 v[172:175], v184 offset0:74 offset1:75
	s_waitcnt lgkmcnt(1)
	v_mul_f64 v[34:35], v[190:191], v[182:183]
	v_fma_f64 v[34:35], v[188:189], v[32:33], -v[34:35]
	v_mul_f64 v[188:189], v[188:189], v[182:183]
	v_fmac_f64_e32 v[188:189], v[190:191], v[32:33]
	s_waitcnt vmcnt(6)
	v_add_f64 v[22:23], v[22:23], -v[188:189]
	ds_read2_b64 v[188:191], v184 offset0:76 offset1:77
	v_add_f64 v[20:21], v[20:21], -v[34:35]
	s_waitcnt lgkmcnt(1)
	v_mul_f64 v[34:35], v[174:175], v[182:183]
	v_fma_f64 v[34:35], v[172:173], v[32:33], -v[34:35]
	v_mul_f64 v[172:173], v[172:173], v[182:183]
	v_fmac_f64_e32 v[172:173], v[174:175], v[32:33]
	s_waitcnt vmcnt(5)
	v_add_f64 v[16:17], v[16:17], -v[34:35]
	v_add_f64 v[18:19], v[18:19], -v[172:173]
	;; [unrolled: 18-line block ×4, first 2 shown]
	s_waitcnt lgkmcnt(0)
	v_mul_f64 v[34:35], v[190:191], v[182:183]
	v_mul_f64 v[172:173], v[188:189], v[182:183]
	v_fma_f64 v[34:35], v[188:189], v[32:33], -v[34:35]
	v_fmac_f64_e32 v[172:173], v[190:191], v[32:33]
	s_waitcnt vmcnt(0)
	v_add_f64 v[168:169], v[168:169], -v[34:35]
	v_add_f64 v[170:171], v[170:171], -v[172:173]
	v_mov_b64_e32 v[34:35], v[182:183]
.LBB84_713:
	s_or_b64 exec, exec, s[0:1]
	v_lshl_add_u32 v172, v185, 4, v184
	s_barrier
	s_waitcnt vmcnt(8)
	ds_write2_b64 v172, v[28:29], v[30:31] offset1:1
	s_waitcnt lgkmcnt(0)
	s_barrier
	ds_read2_b64 v[172:175], v184 offset0:68 offset1:69
	s_cmp_lt_i32 s20, 36
	v_mov_b32_e32 v182, 34
	s_cbranch_scc1 .LBB84_716
; %bb.714:
	v_add_u32_e32 v183, 0x230, v184
	s_mov_b32 s16, 35
	v_mov_b32_e32 v182, 34
.LBB84_715:                             ; =>This Inner Loop Header: Depth=1
	ds_read2_b64 v[188:191], v183 offset1:1
	s_waitcnt lgkmcnt(1)
	v_xor_b32_e32 v193, 0x80000000, v173
	v_xor_b32_e32 v195, 0x80000000, v175
	v_cmp_gt_f64_e32 vcc, 0, v[174:175]
	v_cmp_gt_f64_e64 s[0:1], 0, v[172:173]
	v_mov_b32_e32 v192, v172
	v_mov_b32_e32 v194, v174
	v_cndmask_b32_e64 v193, v173, v193, s[0:1]
	v_cndmask_b32_e32 v195, v175, v195, vcc
	v_add_f64 v[192:193], v[192:193], v[194:195]
	s_waitcnt lgkmcnt(0)
	v_xor_b32_e32 v195, 0x80000000, v189
	v_xor_b32_e32 v197, 0x80000000, v191
	v_cmp_gt_f64_e32 vcc, 0, v[190:191]
	v_cmp_gt_f64_e64 s[0:1], 0, v[188:189]
	v_mov_b32_e32 v194, v188
	v_mov_b32_e32 v196, v190
	v_cndmask_b32_e64 v195, v189, v195, s[0:1]
	v_cndmask_b32_e32 v197, v191, v197, vcc
	v_add_f64 v[194:195], v[194:195], v[196:197]
	v_mov_b32_e32 v198, s16
	s_add_i32 s16, s16, 1
	v_cmp_lt_f64_e32 vcc, v[192:193], v[194:195]
	v_add_u32_e32 v183, 16, v183
	s_cmp_lg_u32 s20, s16
	v_cndmask_b32_e32 v173, v173, v189, vcc
	v_cndmask_b32_e32 v172, v172, v188, vcc
	;; [unrolled: 1-line block ×5, first 2 shown]
	s_cbranch_scc1 .LBB84_715
.LBB84_716:
	s_waitcnt lgkmcnt(0)
	v_cmp_eq_f64_e32 vcc, 0, v[172:173]
	v_cmp_eq_f64_e64 s[0:1], 0, v[174:175]
	s_and_b64 s[0:1], vcc, s[0:1]
	s_and_saveexec_b64 s[16:17], s[0:1]
	s_xor_b64 s[0:1], exec, s[16:17]
; %bb.717:
	v_cmp_ne_u32_e32 vcc, 0, v186
	s_nop 1
	v_cndmask_b32_e32 v186, 35, v186, vcc
; %bb.718:
	s_andn2_saveexec_b64 s[0:1], s[0:1]
	s_cbranch_execz .LBB84_724
; %bb.719:
	v_cmp_ngt_f64_e64 s[16:17], |v[172:173]|, |v[174:175]|
	s_and_saveexec_b64 s[18:19], s[16:17]
	s_xor_b64 s[16:17], exec, s[18:19]
	s_cbranch_execz .LBB84_721
; %bb.720:
	v_div_scale_f64 v[188:189], s[18:19], v[174:175], v[174:175], v[172:173]
	v_rcp_f64_e32 v[190:191], v[188:189]
	v_div_scale_f64 v[192:193], vcc, v[172:173], v[174:175], v[172:173]
	v_fma_f64 v[194:195], -v[188:189], v[190:191], 1.0
	v_fmac_f64_e32 v[190:191], v[190:191], v[194:195]
	v_fma_f64 v[194:195], -v[188:189], v[190:191], 1.0
	v_fmac_f64_e32 v[190:191], v[190:191], v[194:195]
	v_mul_f64 v[194:195], v[192:193], v[190:191]
	v_fma_f64 v[188:189], -v[188:189], v[194:195], v[192:193]
	v_div_fmas_f64 v[188:189], v[188:189], v[190:191], v[194:195]
	v_div_fixup_f64 v[188:189], v[188:189], v[174:175], v[172:173]
	v_fmac_f64_e32 v[174:175], v[172:173], v[188:189]
	v_div_scale_f64 v[172:173], s[18:19], v[174:175], v[174:175], 1.0
	v_rcp_f64_e32 v[190:191], v[172:173]
	s_nop 0
	v_fma_f64 v[192:193], -v[172:173], v[190:191], 1.0
	v_fmac_f64_e32 v[190:191], v[190:191], v[192:193]
	v_fma_f64 v[192:193], -v[172:173], v[190:191], 1.0
	v_fmac_f64_e32 v[190:191], v[190:191], v[192:193]
	v_div_scale_f64 v[192:193], vcc, 1.0, v[174:175], 1.0
	v_mul_f64 v[194:195], v[192:193], v[190:191]
	v_fma_f64 v[172:173], -v[172:173], v[194:195], v[192:193]
	s_nop 1
	v_div_fmas_f64 v[172:173], v[172:173], v[190:191], v[194:195]
	v_div_fixup_f64 v[174:175], v[172:173], v[174:175], 1.0
	v_mul_f64 v[172:173], v[188:189], v[174:175]
	v_xor_b32_e32 v175, 0x80000000, v175
.LBB84_721:
	s_andn2_saveexec_b64 s[16:17], s[16:17]
	s_cbranch_execz .LBB84_723
; %bb.722:
	v_div_scale_f64 v[188:189], s[18:19], v[172:173], v[172:173], v[174:175]
	v_rcp_f64_e32 v[190:191], v[188:189]
	v_div_scale_f64 v[192:193], vcc, v[174:175], v[172:173], v[174:175]
	v_fma_f64 v[194:195], -v[188:189], v[190:191], 1.0
	v_fmac_f64_e32 v[190:191], v[190:191], v[194:195]
	v_fma_f64 v[194:195], -v[188:189], v[190:191], 1.0
	v_fmac_f64_e32 v[190:191], v[190:191], v[194:195]
	v_mul_f64 v[194:195], v[192:193], v[190:191]
	v_fma_f64 v[188:189], -v[188:189], v[194:195], v[192:193]
	v_div_fmas_f64 v[188:189], v[188:189], v[190:191], v[194:195]
	v_div_fixup_f64 v[188:189], v[188:189], v[172:173], v[174:175]
	v_fmac_f64_e32 v[172:173], v[174:175], v[188:189]
	v_div_scale_f64 v[174:175], s[18:19], v[172:173], v[172:173], 1.0
	v_rcp_f64_e32 v[190:191], v[174:175]
	s_nop 0
	v_fma_f64 v[192:193], -v[174:175], v[190:191], 1.0
	v_fmac_f64_e32 v[190:191], v[190:191], v[192:193]
	v_fma_f64 v[192:193], -v[174:175], v[190:191], 1.0
	v_fmac_f64_e32 v[190:191], v[190:191], v[192:193]
	v_div_scale_f64 v[192:193], vcc, 1.0, v[172:173], 1.0
	v_mul_f64 v[194:195], v[192:193], v[190:191]
	v_fma_f64 v[174:175], -v[174:175], v[194:195], v[192:193]
	s_nop 1
	v_div_fmas_f64 v[174:175], v[174:175], v[190:191], v[194:195]
	v_div_fixup_f64 v[172:173], v[174:175], v[172:173], 1.0
	v_mul_f64 v[174:175], v[188:189], -v[172:173]
.LBB84_723:
	s_or_b64 exec, exec, s[16:17]
.LBB84_724:
	s_or_b64 exec, exec, s[0:1]
	v_cmp_ne_u32_e32 vcc, v185, v182
	s_and_saveexec_b64 s[0:1], vcc
	s_xor_b64 s[0:1], exec, s[0:1]
	s_cbranch_execz .LBB84_730
; %bb.725:
	v_cmp_eq_u32_e32 vcc, 34, v185
	s_and_saveexec_b64 s[16:17], vcc
	s_cbranch_execz .LBB84_729
; %bb.726:
	v_cmp_ne_u32_e32 vcc, 34, v182
	s_xor_b64 s[18:19], s[14:15], -1
	s_and_b64 s[22:23], s[18:19], vcc
	s_and_saveexec_b64 s[18:19], s[22:23]
	s_cbranch_execz .LBB84_728
; %bb.727:
	v_ashrrev_i32_e32 v183, 31, v182
	v_lshl_add_u64 v[188:189], v[182:183], 2, v[180:181]
	global_load_dword v183, v[188:189], off
	global_load_dword v185, v[180:181], off offset:136
	s_waitcnt vmcnt(1)
	global_store_dword v[180:181], v183, off offset:136
	s_waitcnt vmcnt(1)
	global_store_dword v[188:189], v185, off
.LBB84_728:
	s_or_b64 exec, exec, s[18:19]
	v_mov_b32_e32 v185, v182
	v_mov_b32_e32 v187, v182
.LBB84_729:
	s_or_b64 exec, exec, s[16:17]
.LBB84_730:
	s_andn2_saveexec_b64 s[0:1], s[0:1]
	s_cbranch_execz .LBB84_732
; %bb.731:
	v_mov_b32_e32 v185, 34
	s_waitcnt vmcnt(7)
	ds_write2_b64 v184, v[24:25], v[26:27] offset0:70 offset1:71
	s_waitcnt vmcnt(6)
	ds_write2_b64 v184, v[20:21], v[22:23] offset0:72 offset1:73
	;; [unrolled: 2-line block ×8, first 2 shown]
.LBB84_732:
	s_or_b64 exec, exec, s[0:1]
	v_cmp_lt_i32_e32 vcc, 34, v185
	s_waitcnt lgkmcnt(0)
	s_barrier
	s_and_saveexec_b64 s[0:1], vcc
	s_cbranch_execz .LBB84_734
; %bb.733:
	ds_read2_b64 v[188:191], v184 offset0:70 offset1:71
	v_mul_f64 v[182:183], v[172:173], v[30:31]
	v_mul_f64 v[30:31], v[174:175], v[30:31]
	v_fmac_f64_e32 v[182:183], v[174:175], v[28:29]
	v_fma_f64 v[28:29], v[172:173], v[28:29], -v[30:31]
	ds_read2_b64 v[172:175], v184 offset0:72 offset1:73
	s_waitcnt lgkmcnt(1)
	v_mul_f64 v[30:31], v[190:191], v[182:183]
	v_fma_f64 v[30:31], v[188:189], v[28:29], -v[30:31]
	v_mul_f64 v[188:189], v[188:189], v[182:183]
	v_fmac_f64_e32 v[188:189], v[190:191], v[28:29]
	s_waitcnt vmcnt(7)
	v_add_f64 v[24:25], v[24:25], -v[30:31]
	s_waitcnt lgkmcnt(0)
	v_mul_f64 v[30:31], v[174:175], v[182:183]
	v_add_f64 v[26:27], v[26:27], -v[188:189]
	v_fma_f64 v[30:31], v[172:173], v[28:29], -v[30:31]
	v_mul_f64 v[172:173], v[172:173], v[182:183]
	ds_read2_b64 v[188:191], v184 offset0:74 offset1:75
	v_fmac_f64_e32 v[172:173], v[174:175], v[28:29]
	s_waitcnt vmcnt(6)
	v_add_f64 v[22:23], v[22:23], -v[172:173]
	ds_read2_b64 v[172:175], v184 offset0:76 offset1:77
	v_add_f64 v[20:21], v[20:21], -v[30:31]
	s_waitcnt lgkmcnt(1)
	v_mul_f64 v[30:31], v[190:191], v[182:183]
	v_fma_f64 v[30:31], v[188:189], v[28:29], -v[30:31]
	v_mul_f64 v[188:189], v[188:189], v[182:183]
	v_fmac_f64_e32 v[188:189], v[190:191], v[28:29]
	s_waitcnt vmcnt(5)
	v_add_f64 v[16:17], v[16:17], -v[30:31]
	s_waitcnt lgkmcnt(0)
	v_mul_f64 v[30:31], v[174:175], v[182:183]
	v_add_f64 v[18:19], v[18:19], -v[188:189]
	v_fma_f64 v[30:31], v[172:173], v[28:29], -v[30:31]
	v_mul_f64 v[172:173], v[172:173], v[182:183]
	ds_read2_b64 v[188:191], v184 offset0:78 offset1:79
	v_fmac_f64_e32 v[172:173], v[174:175], v[28:29]
	s_waitcnt vmcnt(4)
	v_add_f64 v[14:15], v[14:15], -v[172:173]
	ds_read2_b64 v[172:175], v184 offset0:80 offset1:81
	v_add_f64 v[12:13], v[12:13], -v[30:31]
	;; [unrolled: 18-line block ×3, first 2 shown]
	s_waitcnt lgkmcnt(1)
	v_mul_f64 v[30:31], v[190:191], v[182:183]
	v_fma_f64 v[30:31], v[188:189], v[28:29], -v[30:31]
	s_waitcnt vmcnt(1)
	v_add_f64 v[0:1], v[0:1], -v[30:31]
	s_waitcnt lgkmcnt(0)
	v_mul_f64 v[30:31], v[174:175], v[182:183]
	v_mul_f64 v[188:189], v[188:189], v[182:183]
	v_fma_f64 v[30:31], v[172:173], v[28:29], -v[30:31]
	v_mul_f64 v[172:173], v[172:173], v[182:183]
	v_fmac_f64_e32 v[188:189], v[190:191], v[28:29]
	v_fmac_f64_e32 v[172:173], v[174:175], v[28:29]
	v_add_f64 v[2:3], v[2:3], -v[188:189]
	s_waitcnt vmcnt(0)
	v_add_f64 v[168:169], v[168:169], -v[30:31]
	v_add_f64 v[170:171], v[170:171], -v[172:173]
	v_mov_b64_e32 v[30:31], v[182:183]
.LBB84_734:
	s_or_b64 exec, exec, s[0:1]
	v_lshl_add_u32 v172, v185, 4, v184
	s_barrier
	s_waitcnt vmcnt(7)
	ds_write2_b64 v172, v[24:25], v[26:27] offset1:1
	s_waitcnt lgkmcnt(0)
	s_barrier
	ds_read2_b64 v[172:175], v184 offset0:70 offset1:71
	s_cmp_lt_i32 s20, 37
	v_mov_b32_e32 v182, 35
	s_cbranch_scc1 .LBB84_737
; %bb.735:
	v_add_u32_e32 v183, 0x240, v184
	s_mov_b32 s16, 36
	v_mov_b32_e32 v182, 35
.LBB84_736:                             ; =>This Inner Loop Header: Depth=1
	ds_read2_b64 v[188:191], v183 offset1:1
	s_waitcnt lgkmcnt(1)
	v_xor_b32_e32 v193, 0x80000000, v173
	v_xor_b32_e32 v195, 0x80000000, v175
	v_cmp_gt_f64_e32 vcc, 0, v[174:175]
	v_cmp_gt_f64_e64 s[0:1], 0, v[172:173]
	v_mov_b32_e32 v192, v172
	v_mov_b32_e32 v194, v174
	v_cndmask_b32_e64 v193, v173, v193, s[0:1]
	v_cndmask_b32_e32 v195, v175, v195, vcc
	v_add_f64 v[192:193], v[192:193], v[194:195]
	s_waitcnt lgkmcnt(0)
	v_xor_b32_e32 v195, 0x80000000, v189
	v_xor_b32_e32 v197, 0x80000000, v191
	v_cmp_gt_f64_e32 vcc, 0, v[190:191]
	v_cmp_gt_f64_e64 s[0:1], 0, v[188:189]
	v_mov_b32_e32 v194, v188
	v_mov_b32_e32 v196, v190
	v_cndmask_b32_e64 v195, v189, v195, s[0:1]
	v_cndmask_b32_e32 v197, v191, v197, vcc
	v_add_f64 v[194:195], v[194:195], v[196:197]
	v_mov_b32_e32 v198, s16
	s_add_i32 s16, s16, 1
	v_cmp_lt_f64_e32 vcc, v[192:193], v[194:195]
	v_add_u32_e32 v183, 16, v183
	s_cmp_lg_u32 s20, s16
	v_cndmask_b32_e32 v173, v173, v189, vcc
	v_cndmask_b32_e32 v172, v172, v188, vcc
	;; [unrolled: 1-line block ×5, first 2 shown]
	s_cbranch_scc1 .LBB84_736
.LBB84_737:
	s_waitcnt lgkmcnt(0)
	v_cmp_eq_f64_e32 vcc, 0, v[172:173]
	v_cmp_eq_f64_e64 s[0:1], 0, v[174:175]
	s_and_b64 s[0:1], vcc, s[0:1]
	s_and_saveexec_b64 s[16:17], s[0:1]
	s_xor_b64 s[0:1], exec, s[16:17]
; %bb.738:
	v_cmp_ne_u32_e32 vcc, 0, v186
	s_nop 1
	v_cndmask_b32_e32 v186, 36, v186, vcc
; %bb.739:
	s_andn2_saveexec_b64 s[0:1], s[0:1]
	s_cbranch_execz .LBB84_745
; %bb.740:
	v_cmp_ngt_f64_e64 s[16:17], |v[172:173]|, |v[174:175]|
	s_and_saveexec_b64 s[18:19], s[16:17]
	s_xor_b64 s[16:17], exec, s[18:19]
	s_cbranch_execz .LBB84_742
; %bb.741:
	v_div_scale_f64 v[188:189], s[18:19], v[174:175], v[174:175], v[172:173]
	v_rcp_f64_e32 v[190:191], v[188:189]
	v_div_scale_f64 v[192:193], vcc, v[172:173], v[174:175], v[172:173]
	v_fma_f64 v[194:195], -v[188:189], v[190:191], 1.0
	v_fmac_f64_e32 v[190:191], v[190:191], v[194:195]
	v_fma_f64 v[194:195], -v[188:189], v[190:191], 1.0
	v_fmac_f64_e32 v[190:191], v[190:191], v[194:195]
	v_mul_f64 v[194:195], v[192:193], v[190:191]
	v_fma_f64 v[188:189], -v[188:189], v[194:195], v[192:193]
	v_div_fmas_f64 v[188:189], v[188:189], v[190:191], v[194:195]
	v_div_fixup_f64 v[188:189], v[188:189], v[174:175], v[172:173]
	v_fmac_f64_e32 v[174:175], v[172:173], v[188:189]
	v_div_scale_f64 v[172:173], s[18:19], v[174:175], v[174:175], 1.0
	v_rcp_f64_e32 v[190:191], v[172:173]
	s_nop 0
	v_fma_f64 v[192:193], -v[172:173], v[190:191], 1.0
	v_fmac_f64_e32 v[190:191], v[190:191], v[192:193]
	v_fma_f64 v[192:193], -v[172:173], v[190:191], 1.0
	v_fmac_f64_e32 v[190:191], v[190:191], v[192:193]
	v_div_scale_f64 v[192:193], vcc, 1.0, v[174:175], 1.0
	v_mul_f64 v[194:195], v[192:193], v[190:191]
	v_fma_f64 v[172:173], -v[172:173], v[194:195], v[192:193]
	s_nop 1
	v_div_fmas_f64 v[172:173], v[172:173], v[190:191], v[194:195]
	v_div_fixup_f64 v[174:175], v[172:173], v[174:175], 1.0
	v_mul_f64 v[172:173], v[188:189], v[174:175]
	v_xor_b32_e32 v175, 0x80000000, v175
.LBB84_742:
	s_andn2_saveexec_b64 s[16:17], s[16:17]
	s_cbranch_execz .LBB84_744
; %bb.743:
	v_div_scale_f64 v[188:189], s[18:19], v[172:173], v[172:173], v[174:175]
	v_rcp_f64_e32 v[190:191], v[188:189]
	v_div_scale_f64 v[192:193], vcc, v[174:175], v[172:173], v[174:175]
	v_fma_f64 v[194:195], -v[188:189], v[190:191], 1.0
	v_fmac_f64_e32 v[190:191], v[190:191], v[194:195]
	v_fma_f64 v[194:195], -v[188:189], v[190:191], 1.0
	v_fmac_f64_e32 v[190:191], v[190:191], v[194:195]
	v_mul_f64 v[194:195], v[192:193], v[190:191]
	v_fma_f64 v[188:189], -v[188:189], v[194:195], v[192:193]
	v_div_fmas_f64 v[188:189], v[188:189], v[190:191], v[194:195]
	v_div_fixup_f64 v[188:189], v[188:189], v[172:173], v[174:175]
	v_fmac_f64_e32 v[172:173], v[174:175], v[188:189]
	v_div_scale_f64 v[174:175], s[18:19], v[172:173], v[172:173], 1.0
	v_rcp_f64_e32 v[190:191], v[174:175]
	s_nop 0
	v_fma_f64 v[192:193], -v[174:175], v[190:191], 1.0
	v_fmac_f64_e32 v[190:191], v[190:191], v[192:193]
	v_fma_f64 v[192:193], -v[174:175], v[190:191], 1.0
	v_fmac_f64_e32 v[190:191], v[190:191], v[192:193]
	v_div_scale_f64 v[192:193], vcc, 1.0, v[172:173], 1.0
	v_mul_f64 v[194:195], v[192:193], v[190:191]
	v_fma_f64 v[174:175], -v[174:175], v[194:195], v[192:193]
	s_nop 1
	v_div_fmas_f64 v[174:175], v[174:175], v[190:191], v[194:195]
	v_div_fixup_f64 v[172:173], v[174:175], v[172:173], 1.0
	v_mul_f64 v[174:175], v[188:189], -v[172:173]
.LBB84_744:
	s_or_b64 exec, exec, s[16:17]
.LBB84_745:
	s_or_b64 exec, exec, s[0:1]
	v_cmp_ne_u32_e32 vcc, v185, v182
	s_and_saveexec_b64 s[0:1], vcc
	s_xor_b64 s[0:1], exec, s[0:1]
	s_cbranch_execz .LBB84_751
; %bb.746:
	v_cmp_eq_u32_e32 vcc, 35, v185
	s_and_saveexec_b64 s[16:17], vcc
	s_cbranch_execz .LBB84_750
; %bb.747:
	v_cmp_ne_u32_e32 vcc, 35, v182
	s_xor_b64 s[18:19], s[14:15], -1
	s_and_b64 s[22:23], s[18:19], vcc
	s_and_saveexec_b64 s[18:19], s[22:23]
	s_cbranch_execz .LBB84_749
; %bb.748:
	v_ashrrev_i32_e32 v183, 31, v182
	v_lshl_add_u64 v[188:189], v[182:183], 2, v[180:181]
	global_load_dword v183, v[188:189], off
	global_load_dword v185, v[180:181], off offset:140
	s_waitcnt vmcnt(1)
	global_store_dword v[180:181], v183, off offset:140
	s_waitcnt vmcnt(1)
	global_store_dword v[188:189], v185, off
.LBB84_749:
	s_or_b64 exec, exec, s[18:19]
	v_mov_b32_e32 v185, v182
	v_mov_b32_e32 v187, v182
.LBB84_750:
	s_or_b64 exec, exec, s[16:17]
.LBB84_751:
	s_andn2_saveexec_b64 s[0:1], s[0:1]
	s_cbranch_execz .LBB84_753
; %bb.752:
	v_mov_b32_e32 v185, 35
	s_waitcnt vmcnt(6)
	ds_write2_b64 v184, v[20:21], v[22:23] offset0:72 offset1:73
	s_waitcnt vmcnt(5)
	ds_write2_b64 v184, v[16:17], v[18:19] offset0:74 offset1:75
	;; [unrolled: 2-line block ×7, first 2 shown]
.LBB84_753:
	s_or_b64 exec, exec, s[0:1]
	v_cmp_lt_i32_e32 vcc, 35, v185
	s_waitcnt lgkmcnt(0)
	s_barrier
	s_and_saveexec_b64 s[0:1], vcc
	s_cbranch_execz .LBB84_755
; %bb.754:
	ds_read2_b64 v[188:191], v184 offset0:72 offset1:73
	v_mul_f64 v[182:183], v[172:173], v[26:27]
	v_fmac_f64_e32 v[182:183], v[174:175], v[24:25]
	v_mul_f64 v[26:27], v[174:175], v[26:27]
	v_fma_f64 v[24:25], v[172:173], v[24:25], -v[26:27]
	ds_read2_b64 v[172:175], v184 offset0:74 offset1:75
	s_waitcnt lgkmcnt(1)
	v_mul_f64 v[26:27], v[190:191], v[182:183]
	v_fma_f64 v[26:27], v[188:189], v[24:25], -v[26:27]
	v_mul_f64 v[188:189], v[188:189], v[182:183]
	v_fmac_f64_e32 v[188:189], v[190:191], v[24:25]
	s_waitcnt vmcnt(6)
	v_add_f64 v[22:23], v[22:23], -v[188:189]
	ds_read2_b64 v[188:191], v184 offset0:76 offset1:77
	v_add_f64 v[20:21], v[20:21], -v[26:27]
	s_waitcnt lgkmcnt(1)
	v_mul_f64 v[26:27], v[174:175], v[182:183]
	v_fma_f64 v[26:27], v[172:173], v[24:25], -v[26:27]
	v_mul_f64 v[172:173], v[172:173], v[182:183]
	v_fmac_f64_e32 v[172:173], v[174:175], v[24:25]
	s_waitcnt vmcnt(5)
	v_add_f64 v[16:17], v[16:17], -v[26:27]
	v_add_f64 v[18:19], v[18:19], -v[172:173]
	ds_read2_b64 v[172:175], v184 offset0:78 offset1:79
	s_waitcnt lgkmcnt(1)
	v_mul_f64 v[26:27], v[190:191], v[182:183]
	v_fma_f64 v[26:27], v[188:189], v[24:25], -v[26:27]
	v_mul_f64 v[188:189], v[188:189], v[182:183]
	v_fmac_f64_e32 v[188:189], v[190:191], v[24:25]
	s_waitcnt vmcnt(4)
	v_add_f64 v[14:15], v[14:15], -v[188:189]
	ds_read2_b64 v[188:191], v184 offset0:80 offset1:81
	v_add_f64 v[12:13], v[12:13], -v[26:27]
	s_waitcnt lgkmcnt(1)
	v_mul_f64 v[26:27], v[174:175], v[182:183]
	v_fma_f64 v[26:27], v[172:173], v[24:25], -v[26:27]
	v_mul_f64 v[172:173], v[172:173], v[182:183]
	v_fmac_f64_e32 v[172:173], v[174:175], v[24:25]
	s_waitcnt vmcnt(3)
	v_add_f64 v[8:9], v[8:9], -v[26:27]
	v_add_f64 v[10:11], v[10:11], -v[172:173]
	;; [unrolled: 18-line block ×3, first 2 shown]
	s_waitcnt lgkmcnt(0)
	v_mul_f64 v[26:27], v[190:191], v[182:183]
	v_mul_f64 v[172:173], v[188:189], v[182:183]
	v_fma_f64 v[26:27], v[188:189], v[24:25], -v[26:27]
	v_fmac_f64_e32 v[172:173], v[190:191], v[24:25]
	s_waitcnt vmcnt(0)
	v_add_f64 v[168:169], v[168:169], -v[26:27]
	v_add_f64 v[170:171], v[170:171], -v[172:173]
	v_mov_b64_e32 v[26:27], v[182:183]
.LBB84_755:
	s_or_b64 exec, exec, s[0:1]
	v_lshl_add_u32 v172, v185, 4, v184
	s_barrier
	s_waitcnt vmcnt(6)
	ds_write2_b64 v172, v[20:21], v[22:23] offset1:1
	s_waitcnt lgkmcnt(0)
	s_barrier
	ds_read2_b64 v[172:175], v184 offset0:72 offset1:73
	s_cmp_lt_i32 s20, 38
	v_mov_b32_e32 v182, 36
	s_cbranch_scc1 .LBB84_758
; %bb.756:
	v_add_u32_e32 v183, 0x250, v184
	s_mov_b32 s16, 37
	v_mov_b32_e32 v182, 36
.LBB84_757:                             ; =>This Inner Loop Header: Depth=1
	ds_read2_b64 v[188:191], v183 offset1:1
	s_waitcnt lgkmcnt(1)
	v_xor_b32_e32 v193, 0x80000000, v173
	v_xor_b32_e32 v195, 0x80000000, v175
	v_cmp_gt_f64_e32 vcc, 0, v[174:175]
	v_cmp_gt_f64_e64 s[0:1], 0, v[172:173]
	v_mov_b32_e32 v192, v172
	v_mov_b32_e32 v194, v174
	v_cndmask_b32_e64 v193, v173, v193, s[0:1]
	v_cndmask_b32_e32 v195, v175, v195, vcc
	v_add_f64 v[192:193], v[192:193], v[194:195]
	s_waitcnt lgkmcnt(0)
	v_xor_b32_e32 v195, 0x80000000, v189
	v_xor_b32_e32 v197, 0x80000000, v191
	v_cmp_gt_f64_e32 vcc, 0, v[190:191]
	v_cmp_gt_f64_e64 s[0:1], 0, v[188:189]
	v_mov_b32_e32 v194, v188
	v_mov_b32_e32 v196, v190
	v_cndmask_b32_e64 v195, v189, v195, s[0:1]
	v_cndmask_b32_e32 v197, v191, v197, vcc
	v_add_f64 v[194:195], v[194:195], v[196:197]
	v_mov_b32_e32 v198, s16
	s_add_i32 s16, s16, 1
	v_cmp_lt_f64_e32 vcc, v[192:193], v[194:195]
	v_add_u32_e32 v183, 16, v183
	s_cmp_lg_u32 s20, s16
	v_cndmask_b32_e32 v173, v173, v189, vcc
	v_cndmask_b32_e32 v172, v172, v188, vcc
	;; [unrolled: 1-line block ×5, first 2 shown]
	s_cbranch_scc1 .LBB84_757
.LBB84_758:
	s_waitcnt lgkmcnt(0)
	v_cmp_eq_f64_e32 vcc, 0, v[172:173]
	v_cmp_eq_f64_e64 s[0:1], 0, v[174:175]
	s_and_b64 s[0:1], vcc, s[0:1]
	s_and_saveexec_b64 s[16:17], s[0:1]
	s_xor_b64 s[0:1], exec, s[16:17]
; %bb.759:
	v_cmp_ne_u32_e32 vcc, 0, v186
	s_nop 1
	v_cndmask_b32_e32 v186, 37, v186, vcc
; %bb.760:
	s_andn2_saveexec_b64 s[0:1], s[0:1]
	s_cbranch_execz .LBB84_766
; %bb.761:
	v_cmp_ngt_f64_e64 s[16:17], |v[172:173]|, |v[174:175]|
	s_and_saveexec_b64 s[18:19], s[16:17]
	s_xor_b64 s[16:17], exec, s[18:19]
	s_cbranch_execz .LBB84_763
; %bb.762:
	v_div_scale_f64 v[188:189], s[18:19], v[174:175], v[174:175], v[172:173]
	v_rcp_f64_e32 v[190:191], v[188:189]
	v_div_scale_f64 v[192:193], vcc, v[172:173], v[174:175], v[172:173]
	v_fma_f64 v[194:195], -v[188:189], v[190:191], 1.0
	v_fmac_f64_e32 v[190:191], v[190:191], v[194:195]
	v_fma_f64 v[194:195], -v[188:189], v[190:191], 1.0
	v_fmac_f64_e32 v[190:191], v[190:191], v[194:195]
	v_mul_f64 v[194:195], v[192:193], v[190:191]
	v_fma_f64 v[188:189], -v[188:189], v[194:195], v[192:193]
	v_div_fmas_f64 v[188:189], v[188:189], v[190:191], v[194:195]
	v_div_fixup_f64 v[188:189], v[188:189], v[174:175], v[172:173]
	v_fmac_f64_e32 v[174:175], v[172:173], v[188:189]
	v_div_scale_f64 v[172:173], s[18:19], v[174:175], v[174:175], 1.0
	v_rcp_f64_e32 v[190:191], v[172:173]
	s_nop 0
	v_fma_f64 v[192:193], -v[172:173], v[190:191], 1.0
	v_fmac_f64_e32 v[190:191], v[190:191], v[192:193]
	v_fma_f64 v[192:193], -v[172:173], v[190:191], 1.0
	v_fmac_f64_e32 v[190:191], v[190:191], v[192:193]
	v_div_scale_f64 v[192:193], vcc, 1.0, v[174:175], 1.0
	v_mul_f64 v[194:195], v[192:193], v[190:191]
	v_fma_f64 v[172:173], -v[172:173], v[194:195], v[192:193]
	s_nop 1
	v_div_fmas_f64 v[172:173], v[172:173], v[190:191], v[194:195]
	v_div_fixup_f64 v[174:175], v[172:173], v[174:175], 1.0
	v_mul_f64 v[172:173], v[188:189], v[174:175]
	v_xor_b32_e32 v175, 0x80000000, v175
.LBB84_763:
	s_andn2_saveexec_b64 s[16:17], s[16:17]
	s_cbranch_execz .LBB84_765
; %bb.764:
	v_div_scale_f64 v[188:189], s[18:19], v[172:173], v[172:173], v[174:175]
	v_rcp_f64_e32 v[190:191], v[188:189]
	v_div_scale_f64 v[192:193], vcc, v[174:175], v[172:173], v[174:175]
	v_fma_f64 v[194:195], -v[188:189], v[190:191], 1.0
	v_fmac_f64_e32 v[190:191], v[190:191], v[194:195]
	v_fma_f64 v[194:195], -v[188:189], v[190:191], 1.0
	v_fmac_f64_e32 v[190:191], v[190:191], v[194:195]
	v_mul_f64 v[194:195], v[192:193], v[190:191]
	v_fma_f64 v[188:189], -v[188:189], v[194:195], v[192:193]
	v_div_fmas_f64 v[188:189], v[188:189], v[190:191], v[194:195]
	v_div_fixup_f64 v[188:189], v[188:189], v[172:173], v[174:175]
	v_fmac_f64_e32 v[172:173], v[174:175], v[188:189]
	v_div_scale_f64 v[174:175], s[18:19], v[172:173], v[172:173], 1.0
	v_rcp_f64_e32 v[190:191], v[174:175]
	s_nop 0
	v_fma_f64 v[192:193], -v[174:175], v[190:191], 1.0
	v_fmac_f64_e32 v[190:191], v[190:191], v[192:193]
	v_fma_f64 v[192:193], -v[174:175], v[190:191], 1.0
	v_fmac_f64_e32 v[190:191], v[190:191], v[192:193]
	v_div_scale_f64 v[192:193], vcc, 1.0, v[172:173], 1.0
	v_mul_f64 v[194:195], v[192:193], v[190:191]
	v_fma_f64 v[174:175], -v[174:175], v[194:195], v[192:193]
	s_nop 1
	v_div_fmas_f64 v[174:175], v[174:175], v[190:191], v[194:195]
	v_div_fixup_f64 v[172:173], v[174:175], v[172:173], 1.0
	v_mul_f64 v[174:175], v[188:189], -v[172:173]
.LBB84_765:
	s_or_b64 exec, exec, s[16:17]
.LBB84_766:
	s_or_b64 exec, exec, s[0:1]
	v_cmp_ne_u32_e32 vcc, v185, v182
	s_and_saveexec_b64 s[0:1], vcc
	s_xor_b64 s[0:1], exec, s[0:1]
	s_cbranch_execz .LBB84_772
; %bb.767:
	v_cmp_eq_u32_e32 vcc, 36, v185
	s_and_saveexec_b64 s[16:17], vcc
	s_cbranch_execz .LBB84_771
; %bb.768:
	v_cmp_ne_u32_e32 vcc, 36, v182
	s_xor_b64 s[18:19], s[14:15], -1
	s_and_b64 s[22:23], s[18:19], vcc
	s_and_saveexec_b64 s[18:19], s[22:23]
	s_cbranch_execz .LBB84_770
; %bb.769:
	v_ashrrev_i32_e32 v183, 31, v182
	v_lshl_add_u64 v[188:189], v[182:183], 2, v[180:181]
	global_load_dword v183, v[188:189], off
	global_load_dword v185, v[180:181], off offset:144
	s_waitcnt vmcnt(1)
	global_store_dword v[180:181], v183, off offset:144
	s_waitcnt vmcnt(1)
	global_store_dword v[188:189], v185, off
.LBB84_770:
	s_or_b64 exec, exec, s[18:19]
	v_mov_b32_e32 v185, v182
	v_mov_b32_e32 v187, v182
.LBB84_771:
	s_or_b64 exec, exec, s[16:17]
.LBB84_772:
	s_andn2_saveexec_b64 s[0:1], s[0:1]
	s_cbranch_execz .LBB84_774
; %bb.773:
	v_mov_b32_e32 v185, 36
	s_waitcnt vmcnt(5)
	ds_write2_b64 v184, v[16:17], v[18:19] offset0:74 offset1:75
	s_waitcnt vmcnt(4)
	ds_write2_b64 v184, v[12:13], v[14:15] offset0:76 offset1:77
	;; [unrolled: 2-line block ×6, first 2 shown]
.LBB84_774:
	s_or_b64 exec, exec, s[0:1]
	v_cmp_lt_i32_e32 vcc, 36, v185
	s_waitcnt lgkmcnt(0)
	s_barrier
	s_and_saveexec_b64 s[0:1], vcc
	s_cbranch_execz .LBB84_776
; %bb.775:
	ds_read2_b64 v[188:191], v184 offset0:74 offset1:75
	v_mul_f64 v[182:183], v[172:173], v[22:23]
	v_mul_f64 v[22:23], v[174:175], v[22:23]
	v_fmac_f64_e32 v[182:183], v[174:175], v[20:21]
	v_fma_f64 v[20:21], v[172:173], v[20:21], -v[22:23]
	ds_read2_b64 v[172:175], v184 offset0:76 offset1:77
	s_waitcnt lgkmcnt(1)
	v_mul_f64 v[22:23], v[190:191], v[182:183]
	v_fma_f64 v[22:23], v[188:189], v[20:21], -v[22:23]
	v_mul_f64 v[188:189], v[188:189], v[182:183]
	v_fmac_f64_e32 v[188:189], v[190:191], v[20:21]
	s_waitcnt vmcnt(5)
	v_add_f64 v[16:17], v[16:17], -v[22:23]
	s_waitcnt lgkmcnt(0)
	v_mul_f64 v[22:23], v[174:175], v[182:183]
	v_add_f64 v[18:19], v[18:19], -v[188:189]
	v_fma_f64 v[22:23], v[172:173], v[20:21], -v[22:23]
	v_mul_f64 v[172:173], v[172:173], v[182:183]
	ds_read2_b64 v[188:191], v184 offset0:78 offset1:79
	v_fmac_f64_e32 v[172:173], v[174:175], v[20:21]
	s_waitcnt vmcnt(4)
	v_add_f64 v[14:15], v[14:15], -v[172:173]
	ds_read2_b64 v[172:175], v184 offset0:80 offset1:81
	v_add_f64 v[12:13], v[12:13], -v[22:23]
	s_waitcnt lgkmcnt(1)
	v_mul_f64 v[22:23], v[190:191], v[182:183]
	v_fma_f64 v[22:23], v[188:189], v[20:21], -v[22:23]
	v_mul_f64 v[188:189], v[188:189], v[182:183]
	v_fmac_f64_e32 v[188:189], v[190:191], v[20:21]
	s_waitcnt vmcnt(3)
	v_add_f64 v[8:9], v[8:9], -v[22:23]
	s_waitcnt lgkmcnt(0)
	v_mul_f64 v[22:23], v[174:175], v[182:183]
	v_add_f64 v[10:11], v[10:11], -v[188:189]
	v_fma_f64 v[22:23], v[172:173], v[20:21], -v[22:23]
	v_mul_f64 v[172:173], v[172:173], v[182:183]
	ds_read2_b64 v[188:191], v184 offset0:82 offset1:83
	v_fmac_f64_e32 v[172:173], v[174:175], v[20:21]
	s_waitcnt vmcnt(2)
	v_add_f64 v[6:7], v[6:7], -v[172:173]
	ds_read2_b64 v[172:175], v184 offset0:84 offset1:85
	v_add_f64 v[4:5], v[4:5], -v[22:23]
	s_waitcnt lgkmcnt(1)
	v_mul_f64 v[22:23], v[190:191], v[182:183]
	v_fma_f64 v[22:23], v[188:189], v[20:21], -v[22:23]
	s_waitcnt vmcnt(1)
	v_add_f64 v[0:1], v[0:1], -v[22:23]
	s_waitcnt lgkmcnt(0)
	v_mul_f64 v[22:23], v[174:175], v[182:183]
	v_mul_f64 v[188:189], v[188:189], v[182:183]
	v_fma_f64 v[22:23], v[172:173], v[20:21], -v[22:23]
	v_mul_f64 v[172:173], v[172:173], v[182:183]
	v_fmac_f64_e32 v[188:189], v[190:191], v[20:21]
	v_fmac_f64_e32 v[172:173], v[174:175], v[20:21]
	v_add_f64 v[2:3], v[2:3], -v[188:189]
	s_waitcnt vmcnt(0)
	v_add_f64 v[168:169], v[168:169], -v[22:23]
	v_add_f64 v[170:171], v[170:171], -v[172:173]
	v_mov_b64_e32 v[22:23], v[182:183]
.LBB84_776:
	s_or_b64 exec, exec, s[0:1]
	v_lshl_add_u32 v172, v185, 4, v184
	s_barrier
	s_waitcnt vmcnt(5)
	ds_write2_b64 v172, v[16:17], v[18:19] offset1:1
	s_waitcnt lgkmcnt(0)
	s_barrier
	ds_read2_b64 v[172:175], v184 offset0:74 offset1:75
	s_cmp_lt_i32 s20, 39
	v_mov_b32_e32 v182, 37
	s_cbranch_scc1 .LBB84_779
; %bb.777:
	v_add_u32_e32 v183, 0x260, v184
	s_mov_b32 s16, 38
	v_mov_b32_e32 v182, 37
.LBB84_778:                             ; =>This Inner Loop Header: Depth=1
	ds_read2_b64 v[188:191], v183 offset1:1
	s_waitcnt lgkmcnt(1)
	v_xor_b32_e32 v193, 0x80000000, v173
	v_xor_b32_e32 v195, 0x80000000, v175
	v_cmp_gt_f64_e32 vcc, 0, v[174:175]
	v_cmp_gt_f64_e64 s[0:1], 0, v[172:173]
	v_mov_b32_e32 v192, v172
	v_mov_b32_e32 v194, v174
	v_cndmask_b32_e64 v193, v173, v193, s[0:1]
	v_cndmask_b32_e32 v195, v175, v195, vcc
	v_add_f64 v[192:193], v[192:193], v[194:195]
	s_waitcnt lgkmcnt(0)
	v_xor_b32_e32 v195, 0x80000000, v189
	v_xor_b32_e32 v197, 0x80000000, v191
	v_cmp_gt_f64_e32 vcc, 0, v[190:191]
	v_cmp_gt_f64_e64 s[0:1], 0, v[188:189]
	v_mov_b32_e32 v194, v188
	v_mov_b32_e32 v196, v190
	v_cndmask_b32_e64 v195, v189, v195, s[0:1]
	v_cndmask_b32_e32 v197, v191, v197, vcc
	v_add_f64 v[194:195], v[194:195], v[196:197]
	v_mov_b32_e32 v198, s16
	s_add_i32 s16, s16, 1
	v_cmp_lt_f64_e32 vcc, v[192:193], v[194:195]
	v_add_u32_e32 v183, 16, v183
	s_cmp_lg_u32 s20, s16
	v_cndmask_b32_e32 v173, v173, v189, vcc
	v_cndmask_b32_e32 v172, v172, v188, vcc
	;; [unrolled: 1-line block ×5, first 2 shown]
	s_cbranch_scc1 .LBB84_778
.LBB84_779:
	s_waitcnt lgkmcnt(0)
	v_cmp_eq_f64_e32 vcc, 0, v[172:173]
	v_cmp_eq_f64_e64 s[0:1], 0, v[174:175]
	s_and_b64 s[0:1], vcc, s[0:1]
	s_and_saveexec_b64 s[16:17], s[0:1]
	s_xor_b64 s[0:1], exec, s[16:17]
; %bb.780:
	v_cmp_ne_u32_e32 vcc, 0, v186
	s_nop 1
	v_cndmask_b32_e32 v186, 38, v186, vcc
; %bb.781:
	s_andn2_saveexec_b64 s[0:1], s[0:1]
	s_cbranch_execz .LBB84_787
; %bb.782:
	v_cmp_ngt_f64_e64 s[16:17], |v[172:173]|, |v[174:175]|
	s_and_saveexec_b64 s[18:19], s[16:17]
	s_xor_b64 s[16:17], exec, s[18:19]
	s_cbranch_execz .LBB84_784
; %bb.783:
	v_div_scale_f64 v[188:189], s[18:19], v[174:175], v[174:175], v[172:173]
	v_rcp_f64_e32 v[190:191], v[188:189]
	v_div_scale_f64 v[192:193], vcc, v[172:173], v[174:175], v[172:173]
	v_fma_f64 v[194:195], -v[188:189], v[190:191], 1.0
	v_fmac_f64_e32 v[190:191], v[190:191], v[194:195]
	v_fma_f64 v[194:195], -v[188:189], v[190:191], 1.0
	v_fmac_f64_e32 v[190:191], v[190:191], v[194:195]
	v_mul_f64 v[194:195], v[192:193], v[190:191]
	v_fma_f64 v[188:189], -v[188:189], v[194:195], v[192:193]
	v_div_fmas_f64 v[188:189], v[188:189], v[190:191], v[194:195]
	v_div_fixup_f64 v[188:189], v[188:189], v[174:175], v[172:173]
	v_fmac_f64_e32 v[174:175], v[172:173], v[188:189]
	v_div_scale_f64 v[172:173], s[18:19], v[174:175], v[174:175], 1.0
	v_rcp_f64_e32 v[190:191], v[172:173]
	s_nop 0
	v_fma_f64 v[192:193], -v[172:173], v[190:191], 1.0
	v_fmac_f64_e32 v[190:191], v[190:191], v[192:193]
	v_fma_f64 v[192:193], -v[172:173], v[190:191], 1.0
	v_fmac_f64_e32 v[190:191], v[190:191], v[192:193]
	v_div_scale_f64 v[192:193], vcc, 1.0, v[174:175], 1.0
	v_mul_f64 v[194:195], v[192:193], v[190:191]
	v_fma_f64 v[172:173], -v[172:173], v[194:195], v[192:193]
	s_nop 1
	v_div_fmas_f64 v[172:173], v[172:173], v[190:191], v[194:195]
	v_div_fixup_f64 v[174:175], v[172:173], v[174:175], 1.0
	v_mul_f64 v[172:173], v[188:189], v[174:175]
	v_xor_b32_e32 v175, 0x80000000, v175
.LBB84_784:
	s_andn2_saveexec_b64 s[16:17], s[16:17]
	s_cbranch_execz .LBB84_786
; %bb.785:
	v_div_scale_f64 v[188:189], s[18:19], v[172:173], v[172:173], v[174:175]
	v_rcp_f64_e32 v[190:191], v[188:189]
	v_div_scale_f64 v[192:193], vcc, v[174:175], v[172:173], v[174:175]
	v_fma_f64 v[194:195], -v[188:189], v[190:191], 1.0
	v_fmac_f64_e32 v[190:191], v[190:191], v[194:195]
	v_fma_f64 v[194:195], -v[188:189], v[190:191], 1.0
	v_fmac_f64_e32 v[190:191], v[190:191], v[194:195]
	v_mul_f64 v[194:195], v[192:193], v[190:191]
	v_fma_f64 v[188:189], -v[188:189], v[194:195], v[192:193]
	v_div_fmas_f64 v[188:189], v[188:189], v[190:191], v[194:195]
	v_div_fixup_f64 v[188:189], v[188:189], v[172:173], v[174:175]
	v_fmac_f64_e32 v[172:173], v[174:175], v[188:189]
	v_div_scale_f64 v[174:175], s[18:19], v[172:173], v[172:173], 1.0
	v_rcp_f64_e32 v[190:191], v[174:175]
	s_nop 0
	v_fma_f64 v[192:193], -v[174:175], v[190:191], 1.0
	v_fmac_f64_e32 v[190:191], v[190:191], v[192:193]
	v_fma_f64 v[192:193], -v[174:175], v[190:191], 1.0
	v_fmac_f64_e32 v[190:191], v[190:191], v[192:193]
	v_div_scale_f64 v[192:193], vcc, 1.0, v[172:173], 1.0
	v_mul_f64 v[194:195], v[192:193], v[190:191]
	v_fma_f64 v[174:175], -v[174:175], v[194:195], v[192:193]
	s_nop 1
	v_div_fmas_f64 v[174:175], v[174:175], v[190:191], v[194:195]
	v_div_fixup_f64 v[172:173], v[174:175], v[172:173], 1.0
	v_mul_f64 v[174:175], v[188:189], -v[172:173]
.LBB84_786:
	s_or_b64 exec, exec, s[16:17]
.LBB84_787:
	s_or_b64 exec, exec, s[0:1]
	v_cmp_ne_u32_e32 vcc, v185, v182
	s_and_saveexec_b64 s[0:1], vcc
	s_xor_b64 s[0:1], exec, s[0:1]
	s_cbranch_execz .LBB84_793
; %bb.788:
	v_cmp_eq_u32_e32 vcc, 37, v185
	s_and_saveexec_b64 s[16:17], vcc
	s_cbranch_execz .LBB84_792
; %bb.789:
	v_cmp_ne_u32_e32 vcc, 37, v182
	s_xor_b64 s[18:19], s[14:15], -1
	s_and_b64 s[22:23], s[18:19], vcc
	s_and_saveexec_b64 s[18:19], s[22:23]
	s_cbranch_execz .LBB84_791
; %bb.790:
	v_ashrrev_i32_e32 v183, 31, v182
	v_lshl_add_u64 v[188:189], v[182:183], 2, v[180:181]
	global_load_dword v183, v[188:189], off
	global_load_dword v185, v[180:181], off offset:148
	s_waitcnt vmcnt(1)
	global_store_dword v[180:181], v183, off offset:148
	s_waitcnt vmcnt(1)
	global_store_dword v[188:189], v185, off
.LBB84_791:
	s_or_b64 exec, exec, s[18:19]
	v_mov_b32_e32 v185, v182
	v_mov_b32_e32 v187, v182
.LBB84_792:
	s_or_b64 exec, exec, s[16:17]
.LBB84_793:
	s_andn2_saveexec_b64 s[0:1], s[0:1]
	s_cbranch_execz .LBB84_795
; %bb.794:
	v_mov_b32_e32 v185, 37
	s_waitcnt vmcnt(4)
	ds_write2_b64 v184, v[12:13], v[14:15] offset0:76 offset1:77
	s_waitcnt vmcnt(3)
	ds_write2_b64 v184, v[8:9], v[10:11] offset0:78 offset1:79
	;; [unrolled: 2-line block ×5, first 2 shown]
.LBB84_795:
	s_or_b64 exec, exec, s[0:1]
	v_cmp_lt_i32_e32 vcc, 37, v185
	s_waitcnt lgkmcnt(0)
	s_barrier
	s_and_saveexec_b64 s[0:1], vcc
	s_cbranch_execz .LBB84_797
; %bb.796:
	ds_read2_b64 v[188:191], v184 offset0:76 offset1:77
	v_mul_f64 v[182:183], v[172:173], v[18:19]
	v_fmac_f64_e32 v[182:183], v[174:175], v[16:17]
	v_mul_f64 v[18:19], v[174:175], v[18:19]
	v_fma_f64 v[16:17], v[172:173], v[16:17], -v[18:19]
	ds_read2_b64 v[172:175], v184 offset0:78 offset1:79
	s_waitcnt lgkmcnt(1)
	v_mul_f64 v[18:19], v[190:191], v[182:183]
	v_fma_f64 v[18:19], v[188:189], v[16:17], -v[18:19]
	v_mul_f64 v[188:189], v[188:189], v[182:183]
	v_fmac_f64_e32 v[188:189], v[190:191], v[16:17]
	s_waitcnt vmcnt(4)
	v_add_f64 v[14:15], v[14:15], -v[188:189]
	ds_read2_b64 v[188:191], v184 offset0:80 offset1:81
	v_add_f64 v[12:13], v[12:13], -v[18:19]
	s_waitcnt lgkmcnt(1)
	v_mul_f64 v[18:19], v[174:175], v[182:183]
	v_fma_f64 v[18:19], v[172:173], v[16:17], -v[18:19]
	v_mul_f64 v[172:173], v[172:173], v[182:183]
	v_fmac_f64_e32 v[172:173], v[174:175], v[16:17]
	s_waitcnt vmcnt(3)
	v_add_f64 v[8:9], v[8:9], -v[18:19]
	v_add_f64 v[10:11], v[10:11], -v[172:173]
	ds_read2_b64 v[172:175], v184 offset0:82 offset1:83
	s_waitcnt lgkmcnt(1)
	v_mul_f64 v[18:19], v[190:191], v[182:183]
	v_fma_f64 v[18:19], v[188:189], v[16:17], -v[18:19]
	v_mul_f64 v[188:189], v[188:189], v[182:183]
	v_fmac_f64_e32 v[188:189], v[190:191], v[16:17]
	s_waitcnt vmcnt(2)
	v_add_f64 v[6:7], v[6:7], -v[188:189]
	ds_read2_b64 v[188:191], v184 offset0:84 offset1:85
	v_add_f64 v[4:5], v[4:5], -v[18:19]
	s_waitcnt lgkmcnt(1)
	v_mul_f64 v[18:19], v[174:175], v[182:183]
	v_fma_f64 v[18:19], v[172:173], v[16:17], -v[18:19]
	v_mul_f64 v[172:173], v[172:173], v[182:183]
	v_fmac_f64_e32 v[172:173], v[174:175], v[16:17]
	s_waitcnt vmcnt(1)
	v_add_f64 v[0:1], v[0:1], -v[18:19]
	v_add_f64 v[2:3], v[2:3], -v[172:173]
	s_waitcnt lgkmcnt(0)
	v_mul_f64 v[18:19], v[190:191], v[182:183]
	v_mul_f64 v[172:173], v[188:189], v[182:183]
	v_fma_f64 v[18:19], v[188:189], v[16:17], -v[18:19]
	v_fmac_f64_e32 v[172:173], v[190:191], v[16:17]
	s_waitcnt vmcnt(0)
	v_add_f64 v[168:169], v[168:169], -v[18:19]
	v_add_f64 v[170:171], v[170:171], -v[172:173]
	v_mov_b64_e32 v[18:19], v[182:183]
.LBB84_797:
	s_or_b64 exec, exec, s[0:1]
	v_lshl_add_u32 v172, v185, 4, v184
	s_barrier
	s_waitcnt vmcnt(4)
	ds_write2_b64 v172, v[12:13], v[14:15] offset1:1
	s_waitcnt lgkmcnt(0)
	s_barrier
	ds_read2_b64 v[172:175], v184 offset0:76 offset1:77
	s_cmp_lt_i32 s20, 40
	v_mov_b32_e32 v182, 38
	s_cbranch_scc1 .LBB84_800
; %bb.798:
	v_add_u32_e32 v183, 0x270, v184
	s_mov_b32 s16, 39
	v_mov_b32_e32 v182, 38
.LBB84_799:                             ; =>This Inner Loop Header: Depth=1
	ds_read2_b64 v[188:191], v183 offset1:1
	s_waitcnt lgkmcnt(1)
	v_xor_b32_e32 v193, 0x80000000, v173
	v_xor_b32_e32 v195, 0x80000000, v175
	v_cmp_gt_f64_e32 vcc, 0, v[174:175]
	v_cmp_gt_f64_e64 s[0:1], 0, v[172:173]
	v_mov_b32_e32 v192, v172
	v_mov_b32_e32 v194, v174
	v_cndmask_b32_e64 v193, v173, v193, s[0:1]
	v_cndmask_b32_e32 v195, v175, v195, vcc
	v_add_f64 v[192:193], v[192:193], v[194:195]
	s_waitcnt lgkmcnt(0)
	v_xor_b32_e32 v195, 0x80000000, v189
	v_xor_b32_e32 v197, 0x80000000, v191
	v_cmp_gt_f64_e32 vcc, 0, v[190:191]
	v_cmp_gt_f64_e64 s[0:1], 0, v[188:189]
	v_mov_b32_e32 v194, v188
	v_mov_b32_e32 v196, v190
	v_cndmask_b32_e64 v195, v189, v195, s[0:1]
	v_cndmask_b32_e32 v197, v191, v197, vcc
	v_add_f64 v[194:195], v[194:195], v[196:197]
	v_mov_b32_e32 v198, s16
	s_add_i32 s16, s16, 1
	v_cmp_lt_f64_e32 vcc, v[192:193], v[194:195]
	v_add_u32_e32 v183, 16, v183
	s_cmp_lg_u32 s20, s16
	v_cndmask_b32_e32 v173, v173, v189, vcc
	v_cndmask_b32_e32 v172, v172, v188, vcc
	;; [unrolled: 1-line block ×5, first 2 shown]
	s_cbranch_scc1 .LBB84_799
.LBB84_800:
	s_waitcnt lgkmcnt(0)
	v_cmp_eq_f64_e32 vcc, 0, v[172:173]
	v_cmp_eq_f64_e64 s[0:1], 0, v[174:175]
	s_and_b64 s[0:1], vcc, s[0:1]
	s_and_saveexec_b64 s[16:17], s[0:1]
	s_xor_b64 s[0:1], exec, s[16:17]
; %bb.801:
	v_cmp_ne_u32_e32 vcc, 0, v186
	s_nop 1
	v_cndmask_b32_e32 v186, 39, v186, vcc
; %bb.802:
	s_andn2_saveexec_b64 s[0:1], s[0:1]
	s_cbranch_execz .LBB84_808
; %bb.803:
	v_cmp_ngt_f64_e64 s[16:17], |v[172:173]|, |v[174:175]|
	s_and_saveexec_b64 s[18:19], s[16:17]
	s_xor_b64 s[16:17], exec, s[18:19]
	s_cbranch_execz .LBB84_805
; %bb.804:
	v_div_scale_f64 v[188:189], s[18:19], v[174:175], v[174:175], v[172:173]
	v_rcp_f64_e32 v[190:191], v[188:189]
	v_div_scale_f64 v[192:193], vcc, v[172:173], v[174:175], v[172:173]
	v_fma_f64 v[194:195], -v[188:189], v[190:191], 1.0
	v_fmac_f64_e32 v[190:191], v[190:191], v[194:195]
	v_fma_f64 v[194:195], -v[188:189], v[190:191], 1.0
	v_fmac_f64_e32 v[190:191], v[190:191], v[194:195]
	v_mul_f64 v[194:195], v[192:193], v[190:191]
	v_fma_f64 v[188:189], -v[188:189], v[194:195], v[192:193]
	v_div_fmas_f64 v[188:189], v[188:189], v[190:191], v[194:195]
	v_div_fixup_f64 v[188:189], v[188:189], v[174:175], v[172:173]
	v_fmac_f64_e32 v[174:175], v[172:173], v[188:189]
	v_div_scale_f64 v[172:173], s[18:19], v[174:175], v[174:175], 1.0
	v_rcp_f64_e32 v[190:191], v[172:173]
	s_nop 0
	v_fma_f64 v[192:193], -v[172:173], v[190:191], 1.0
	v_fmac_f64_e32 v[190:191], v[190:191], v[192:193]
	v_fma_f64 v[192:193], -v[172:173], v[190:191], 1.0
	v_fmac_f64_e32 v[190:191], v[190:191], v[192:193]
	v_div_scale_f64 v[192:193], vcc, 1.0, v[174:175], 1.0
	v_mul_f64 v[194:195], v[192:193], v[190:191]
	v_fma_f64 v[172:173], -v[172:173], v[194:195], v[192:193]
	s_nop 1
	v_div_fmas_f64 v[172:173], v[172:173], v[190:191], v[194:195]
	v_div_fixup_f64 v[174:175], v[172:173], v[174:175], 1.0
	v_mul_f64 v[172:173], v[188:189], v[174:175]
	v_xor_b32_e32 v175, 0x80000000, v175
.LBB84_805:
	s_andn2_saveexec_b64 s[16:17], s[16:17]
	s_cbranch_execz .LBB84_807
; %bb.806:
	v_div_scale_f64 v[188:189], s[18:19], v[172:173], v[172:173], v[174:175]
	v_rcp_f64_e32 v[190:191], v[188:189]
	v_div_scale_f64 v[192:193], vcc, v[174:175], v[172:173], v[174:175]
	v_fma_f64 v[194:195], -v[188:189], v[190:191], 1.0
	v_fmac_f64_e32 v[190:191], v[190:191], v[194:195]
	v_fma_f64 v[194:195], -v[188:189], v[190:191], 1.0
	v_fmac_f64_e32 v[190:191], v[190:191], v[194:195]
	v_mul_f64 v[194:195], v[192:193], v[190:191]
	v_fma_f64 v[188:189], -v[188:189], v[194:195], v[192:193]
	v_div_fmas_f64 v[188:189], v[188:189], v[190:191], v[194:195]
	v_div_fixup_f64 v[188:189], v[188:189], v[172:173], v[174:175]
	v_fmac_f64_e32 v[172:173], v[174:175], v[188:189]
	v_div_scale_f64 v[174:175], s[18:19], v[172:173], v[172:173], 1.0
	v_rcp_f64_e32 v[190:191], v[174:175]
	s_nop 0
	v_fma_f64 v[192:193], -v[174:175], v[190:191], 1.0
	v_fmac_f64_e32 v[190:191], v[190:191], v[192:193]
	v_fma_f64 v[192:193], -v[174:175], v[190:191], 1.0
	v_fmac_f64_e32 v[190:191], v[190:191], v[192:193]
	v_div_scale_f64 v[192:193], vcc, 1.0, v[172:173], 1.0
	v_mul_f64 v[194:195], v[192:193], v[190:191]
	v_fma_f64 v[174:175], -v[174:175], v[194:195], v[192:193]
	s_nop 1
	v_div_fmas_f64 v[174:175], v[174:175], v[190:191], v[194:195]
	v_div_fixup_f64 v[172:173], v[174:175], v[172:173], 1.0
	v_mul_f64 v[174:175], v[188:189], -v[172:173]
.LBB84_807:
	s_or_b64 exec, exec, s[16:17]
.LBB84_808:
	s_or_b64 exec, exec, s[0:1]
	v_cmp_ne_u32_e32 vcc, v185, v182
	s_and_saveexec_b64 s[0:1], vcc
	s_xor_b64 s[0:1], exec, s[0:1]
	s_cbranch_execz .LBB84_814
; %bb.809:
	v_cmp_eq_u32_e32 vcc, 38, v185
	s_and_saveexec_b64 s[16:17], vcc
	s_cbranch_execz .LBB84_813
; %bb.810:
	v_cmp_ne_u32_e32 vcc, 38, v182
	s_xor_b64 s[18:19], s[14:15], -1
	s_and_b64 s[22:23], s[18:19], vcc
	s_and_saveexec_b64 s[18:19], s[22:23]
	s_cbranch_execz .LBB84_812
; %bb.811:
	v_ashrrev_i32_e32 v183, 31, v182
	v_lshl_add_u64 v[188:189], v[182:183], 2, v[180:181]
	global_load_dword v183, v[188:189], off
	global_load_dword v185, v[180:181], off offset:152
	s_waitcnt vmcnt(1)
	global_store_dword v[180:181], v183, off offset:152
	s_waitcnt vmcnt(1)
	global_store_dword v[188:189], v185, off
.LBB84_812:
	s_or_b64 exec, exec, s[18:19]
	v_mov_b32_e32 v185, v182
	v_mov_b32_e32 v187, v182
.LBB84_813:
	s_or_b64 exec, exec, s[16:17]
.LBB84_814:
	s_andn2_saveexec_b64 s[0:1], s[0:1]
	s_cbranch_execz .LBB84_816
; %bb.815:
	v_mov_b32_e32 v185, 38
	s_waitcnt vmcnt(3)
	ds_write2_b64 v184, v[8:9], v[10:11] offset0:78 offset1:79
	s_waitcnt vmcnt(2)
	ds_write2_b64 v184, v[4:5], v[6:7] offset0:80 offset1:81
	;; [unrolled: 2-line block ×4, first 2 shown]
.LBB84_816:
	s_or_b64 exec, exec, s[0:1]
	v_cmp_lt_i32_e32 vcc, 38, v185
	s_waitcnt lgkmcnt(0)
	s_barrier
	s_and_saveexec_b64 s[0:1], vcc
	s_cbranch_execz .LBB84_818
; %bb.817:
	ds_read2_b64 v[188:191], v184 offset0:78 offset1:79
	v_mul_f64 v[182:183], v[172:173], v[14:15]
	v_mul_f64 v[14:15], v[174:175], v[14:15]
	v_fmac_f64_e32 v[182:183], v[174:175], v[12:13]
	v_fma_f64 v[12:13], v[172:173], v[12:13], -v[14:15]
	ds_read2_b64 v[172:175], v184 offset0:80 offset1:81
	s_waitcnt lgkmcnt(1)
	v_mul_f64 v[14:15], v[190:191], v[182:183]
	v_fma_f64 v[14:15], v[188:189], v[12:13], -v[14:15]
	v_mul_f64 v[188:189], v[188:189], v[182:183]
	v_fmac_f64_e32 v[188:189], v[190:191], v[12:13]
	s_waitcnt vmcnt(3)
	v_add_f64 v[8:9], v[8:9], -v[14:15]
	s_waitcnt lgkmcnt(0)
	v_mul_f64 v[14:15], v[174:175], v[182:183]
	v_add_f64 v[10:11], v[10:11], -v[188:189]
	v_fma_f64 v[14:15], v[172:173], v[12:13], -v[14:15]
	v_mul_f64 v[172:173], v[172:173], v[182:183]
	ds_read2_b64 v[188:191], v184 offset0:82 offset1:83
	v_fmac_f64_e32 v[172:173], v[174:175], v[12:13]
	s_waitcnt vmcnt(2)
	v_add_f64 v[6:7], v[6:7], -v[172:173]
	ds_read2_b64 v[172:175], v184 offset0:84 offset1:85
	v_add_f64 v[4:5], v[4:5], -v[14:15]
	s_waitcnt lgkmcnt(1)
	v_mul_f64 v[14:15], v[190:191], v[182:183]
	v_fma_f64 v[14:15], v[188:189], v[12:13], -v[14:15]
	s_waitcnt vmcnt(1)
	v_add_f64 v[0:1], v[0:1], -v[14:15]
	s_waitcnt lgkmcnt(0)
	v_mul_f64 v[14:15], v[174:175], v[182:183]
	v_mul_f64 v[188:189], v[188:189], v[182:183]
	v_fma_f64 v[14:15], v[172:173], v[12:13], -v[14:15]
	v_mul_f64 v[172:173], v[172:173], v[182:183]
	v_fmac_f64_e32 v[188:189], v[190:191], v[12:13]
	v_fmac_f64_e32 v[172:173], v[174:175], v[12:13]
	v_add_f64 v[2:3], v[2:3], -v[188:189]
	s_waitcnt vmcnt(0)
	v_add_f64 v[168:169], v[168:169], -v[14:15]
	v_add_f64 v[170:171], v[170:171], -v[172:173]
	v_mov_b64_e32 v[14:15], v[182:183]
.LBB84_818:
	s_or_b64 exec, exec, s[0:1]
	v_lshl_add_u32 v172, v185, 4, v184
	s_barrier
	s_waitcnt vmcnt(3)
	ds_write2_b64 v172, v[8:9], v[10:11] offset1:1
	s_waitcnt lgkmcnt(0)
	s_barrier
	ds_read2_b64 v[172:175], v184 offset0:78 offset1:79
	s_cmp_lt_i32 s20, 41
	v_mov_b32_e32 v182, 39
	s_cbranch_scc1 .LBB84_821
; %bb.819:
	v_add_u32_e32 v183, 0x280, v184
	s_mov_b32 s16, 40
	v_mov_b32_e32 v182, 39
.LBB84_820:                             ; =>This Inner Loop Header: Depth=1
	ds_read2_b64 v[188:191], v183 offset1:1
	s_waitcnt lgkmcnt(1)
	v_xor_b32_e32 v193, 0x80000000, v173
	v_xor_b32_e32 v195, 0x80000000, v175
	v_cmp_gt_f64_e32 vcc, 0, v[174:175]
	v_cmp_gt_f64_e64 s[0:1], 0, v[172:173]
	v_mov_b32_e32 v192, v172
	v_mov_b32_e32 v194, v174
	v_cndmask_b32_e64 v193, v173, v193, s[0:1]
	v_cndmask_b32_e32 v195, v175, v195, vcc
	v_add_f64 v[192:193], v[192:193], v[194:195]
	s_waitcnt lgkmcnt(0)
	v_xor_b32_e32 v195, 0x80000000, v189
	v_xor_b32_e32 v197, 0x80000000, v191
	v_cmp_gt_f64_e32 vcc, 0, v[190:191]
	v_cmp_gt_f64_e64 s[0:1], 0, v[188:189]
	v_mov_b32_e32 v194, v188
	v_mov_b32_e32 v196, v190
	v_cndmask_b32_e64 v195, v189, v195, s[0:1]
	v_cndmask_b32_e32 v197, v191, v197, vcc
	v_add_f64 v[194:195], v[194:195], v[196:197]
	v_mov_b32_e32 v198, s16
	s_add_i32 s16, s16, 1
	v_cmp_lt_f64_e32 vcc, v[192:193], v[194:195]
	v_add_u32_e32 v183, 16, v183
	s_cmp_lg_u32 s20, s16
	v_cndmask_b32_e32 v173, v173, v189, vcc
	v_cndmask_b32_e32 v172, v172, v188, vcc
	;; [unrolled: 1-line block ×5, first 2 shown]
	s_cbranch_scc1 .LBB84_820
.LBB84_821:
	s_waitcnt lgkmcnt(0)
	v_cmp_eq_f64_e32 vcc, 0, v[172:173]
	v_cmp_eq_f64_e64 s[0:1], 0, v[174:175]
	s_and_b64 s[0:1], vcc, s[0:1]
	s_and_saveexec_b64 s[16:17], s[0:1]
	s_xor_b64 s[0:1], exec, s[16:17]
; %bb.822:
	v_cmp_ne_u32_e32 vcc, 0, v186
	s_nop 1
	v_cndmask_b32_e32 v186, 40, v186, vcc
; %bb.823:
	s_andn2_saveexec_b64 s[0:1], s[0:1]
	s_cbranch_execz .LBB84_829
; %bb.824:
	v_cmp_ngt_f64_e64 s[16:17], |v[172:173]|, |v[174:175]|
	s_and_saveexec_b64 s[18:19], s[16:17]
	s_xor_b64 s[16:17], exec, s[18:19]
	s_cbranch_execz .LBB84_826
; %bb.825:
	v_div_scale_f64 v[188:189], s[18:19], v[174:175], v[174:175], v[172:173]
	v_rcp_f64_e32 v[190:191], v[188:189]
	v_div_scale_f64 v[192:193], vcc, v[172:173], v[174:175], v[172:173]
	v_fma_f64 v[194:195], -v[188:189], v[190:191], 1.0
	v_fmac_f64_e32 v[190:191], v[190:191], v[194:195]
	v_fma_f64 v[194:195], -v[188:189], v[190:191], 1.0
	v_fmac_f64_e32 v[190:191], v[190:191], v[194:195]
	v_mul_f64 v[194:195], v[192:193], v[190:191]
	v_fma_f64 v[188:189], -v[188:189], v[194:195], v[192:193]
	v_div_fmas_f64 v[188:189], v[188:189], v[190:191], v[194:195]
	v_div_fixup_f64 v[188:189], v[188:189], v[174:175], v[172:173]
	v_fmac_f64_e32 v[174:175], v[172:173], v[188:189]
	v_div_scale_f64 v[172:173], s[18:19], v[174:175], v[174:175], 1.0
	v_rcp_f64_e32 v[190:191], v[172:173]
	s_nop 0
	v_fma_f64 v[192:193], -v[172:173], v[190:191], 1.0
	v_fmac_f64_e32 v[190:191], v[190:191], v[192:193]
	v_fma_f64 v[192:193], -v[172:173], v[190:191], 1.0
	v_fmac_f64_e32 v[190:191], v[190:191], v[192:193]
	v_div_scale_f64 v[192:193], vcc, 1.0, v[174:175], 1.0
	v_mul_f64 v[194:195], v[192:193], v[190:191]
	v_fma_f64 v[172:173], -v[172:173], v[194:195], v[192:193]
	s_nop 1
	v_div_fmas_f64 v[172:173], v[172:173], v[190:191], v[194:195]
	v_div_fixup_f64 v[174:175], v[172:173], v[174:175], 1.0
	v_mul_f64 v[172:173], v[188:189], v[174:175]
	v_xor_b32_e32 v175, 0x80000000, v175
.LBB84_826:
	s_andn2_saveexec_b64 s[16:17], s[16:17]
	s_cbranch_execz .LBB84_828
; %bb.827:
	v_div_scale_f64 v[188:189], s[18:19], v[172:173], v[172:173], v[174:175]
	v_rcp_f64_e32 v[190:191], v[188:189]
	v_div_scale_f64 v[192:193], vcc, v[174:175], v[172:173], v[174:175]
	v_fma_f64 v[194:195], -v[188:189], v[190:191], 1.0
	v_fmac_f64_e32 v[190:191], v[190:191], v[194:195]
	v_fma_f64 v[194:195], -v[188:189], v[190:191], 1.0
	v_fmac_f64_e32 v[190:191], v[190:191], v[194:195]
	v_mul_f64 v[194:195], v[192:193], v[190:191]
	v_fma_f64 v[188:189], -v[188:189], v[194:195], v[192:193]
	v_div_fmas_f64 v[188:189], v[188:189], v[190:191], v[194:195]
	v_div_fixup_f64 v[188:189], v[188:189], v[172:173], v[174:175]
	v_fmac_f64_e32 v[172:173], v[174:175], v[188:189]
	v_div_scale_f64 v[174:175], s[18:19], v[172:173], v[172:173], 1.0
	v_rcp_f64_e32 v[190:191], v[174:175]
	s_nop 0
	v_fma_f64 v[192:193], -v[174:175], v[190:191], 1.0
	v_fmac_f64_e32 v[190:191], v[190:191], v[192:193]
	v_fma_f64 v[192:193], -v[174:175], v[190:191], 1.0
	v_fmac_f64_e32 v[190:191], v[190:191], v[192:193]
	v_div_scale_f64 v[192:193], vcc, 1.0, v[172:173], 1.0
	v_mul_f64 v[194:195], v[192:193], v[190:191]
	v_fma_f64 v[174:175], -v[174:175], v[194:195], v[192:193]
	s_nop 1
	v_div_fmas_f64 v[174:175], v[174:175], v[190:191], v[194:195]
	v_div_fixup_f64 v[172:173], v[174:175], v[172:173], 1.0
	v_mul_f64 v[174:175], v[188:189], -v[172:173]
.LBB84_828:
	s_or_b64 exec, exec, s[16:17]
.LBB84_829:
	s_or_b64 exec, exec, s[0:1]
	v_cmp_ne_u32_e32 vcc, v185, v182
	s_and_saveexec_b64 s[0:1], vcc
	s_xor_b64 s[0:1], exec, s[0:1]
	s_cbranch_execz .LBB84_835
; %bb.830:
	v_cmp_eq_u32_e32 vcc, 39, v185
	s_and_saveexec_b64 s[16:17], vcc
	s_cbranch_execz .LBB84_834
; %bb.831:
	v_cmp_ne_u32_e32 vcc, 39, v182
	s_xor_b64 s[18:19], s[14:15], -1
	s_and_b64 s[22:23], s[18:19], vcc
	s_and_saveexec_b64 s[18:19], s[22:23]
	s_cbranch_execz .LBB84_833
; %bb.832:
	v_ashrrev_i32_e32 v183, 31, v182
	v_lshl_add_u64 v[188:189], v[182:183], 2, v[180:181]
	global_load_dword v183, v[188:189], off
	global_load_dword v185, v[180:181], off offset:156
	s_waitcnt vmcnt(1)
	global_store_dword v[180:181], v183, off offset:156
	s_waitcnt vmcnt(1)
	global_store_dword v[188:189], v185, off
.LBB84_833:
	s_or_b64 exec, exec, s[18:19]
	v_mov_b32_e32 v185, v182
	v_mov_b32_e32 v187, v182
.LBB84_834:
	s_or_b64 exec, exec, s[16:17]
.LBB84_835:
	s_andn2_saveexec_b64 s[0:1], s[0:1]
	s_cbranch_execz .LBB84_837
; %bb.836:
	v_mov_b32_e32 v185, 39
	s_waitcnt vmcnt(2)
	ds_write2_b64 v184, v[4:5], v[6:7] offset0:80 offset1:81
	s_waitcnt vmcnt(1)
	ds_write2_b64 v184, v[0:1], v[2:3] offset0:82 offset1:83
	;; [unrolled: 2-line block ×3, first 2 shown]
.LBB84_837:
	s_or_b64 exec, exec, s[0:1]
	v_cmp_lt_i32_e32 vcc, 39, v185
	s_waitcnt lgkmcnt(0)
	s_barrier
	s_and_saveexec_b64 s[0:1], vcc
	s_cbranch_execz .LBB84_839
; %bb.838:
	ds_read2_b64 v[188:191], v184 offset0:80 offset1:81
	v_mul_f64 v[182:183], v[172:173], v[10:11]
	v_fmac_f64_e32 v[182:183], v[174:175], v[8:9]
	v_mul_f64 v[10:11], v[174:175], v[10:11]
	v_fma_f64 v[8:9], v[172:173], v[8:9], -v[10:11]
	ds_read2_b64 v[172:175], v184 offset0:82 offset1:83
	s_waitcnt lgkmcnt(1)
	v_mul_f64 v[10:11], v[190:191], v[182:183]
	v_fma_f64 v[10:11], v[188:189], v[8:9], -v[10:11]
	v_mul_f64 v[188:189], v[188:189], v[182:183]
	v_fmac_f64_e32 v[188:189], v[190:191], v[8:9]
	s_waitcnt vmcnt(2)
	v_add_f64 v[6:7], v[6:7], -v[188:189]
	ds_read2_b64 v[188:191], v184 offset0:84 offset1:85
	v_add_f64 v[4:5], v[4:5], -v[10:11]
	s_waitcnt lgkmcnt(1)
	v_mul_f64 v[10:11], v[174:175], v[182:183]
	v_fma_f64 v[10:11], v[172:173], v[8:9], -v[10:11]
	v_mul_f64 v[172:173], v[172:173], v[182:183]
	v_fmac_f64_e32 v[172:173], v[174:175], v[8:9]
	s_waitcnt vmcnt(1)
	v_add_f64 v[0:1], v[0:1], -v[10:11]
	v_add_f64 v[2:3], v[2:3], -v[172:173]
	s_waitcnt lgkmcnt(0)
	v_mul_f64 v[10:11], v[190:191], v[182:183]
	v_mul_f64 v[172:173], v[188:189], v[182:183]
	v_fma_f64 v[10:11], v[188:189], v[8:9], -v[10:11]
	v_fmac_f64_e32 v[172:173], v[190:191], v[8:9]
	s_waitcnt vmcnt(0)
	v_add_f64 v[168:169], v[168:169], -v[10:11]
	v_add_f64 v[170:171], v[170:171], -v[172:173]
	v_mov_b64_e32 v[10:11], v[182:183]
.LBB84_839:
	s_or_b64 exec, exec, s[0:1]
	v_lshl_add_u32 v172, v185, 4, v184
	s_barrier
	s_waitcnt vmcnt(2)
	ds_write2_b64 v172, v[4:5], v[6:7] offset1:1
	s_waitcnt lgkmcnt(0)
	s_barrier
	ds_read2_b64 v[172:175], v184 offset0:80 offset1:81
	s_cmp_lt_i32 s20, 42
	v_mov_b32_e32 v182, 40
	s_cbranch_scc1 .LBB84_842
; %bb.840:
	v_add_u32_e32 v183, 0x290, v184
	s_mov_b32 s16, 41
	v_mov_b32_e32 v182, 40
.LBB84_841:                             ; =>This Inner Loop Header: Depth=1
	ds_read2_b64 v[188:191], v183 offset1:1
	s_waitcnt lgkmcnt(1)
	v_xor_b32_e32 v193, 0x80000000, v173
	v_xor_b32_e32 v195, 0x80000000, v175
	v_cmp_gt_f64_e32 vcc, 0, v[174:175]
	v_cmp_gt_f64_e64 s[0:1], 0, v[172:173]
	v_mov_b32_e32 v192, v172
	v_mov_b32_e32 v194, v174
	v_cndmask_b32_e64 v193, v173, v193, s[0:1]
	v_cndmask_b32_e32 v195, v175, v195, vcc
	v_add_f64 v[192:193], v[192:193], v[194:195]
	s_waitcnt lgkmcnt(0)
	v_xor_b32_e32 v195, 0x80000000, v189
	v_xor_b32_e32 v197, 0x80000000, v191
	v_cmp_gt_f64_e32 vcc, 0, v[190:191]
	v_cmp_gt_f64_e64 s[0:1], 0, v[188:189]
	v_mov_b32_e32 v194, v188
	v_mov_b32_e32 v196, v190
	v_cndmask_b32_e64 v195, v189, v195, s[0:1]
	v_cndmask_b32_e32 v197, v191, v197, vcc
	v_add_f64 v[194:195], v[194:195], v[196:197]
	v_mov_b32_e32 v198, s16
	s_add_i32 s16, s16, 1
	v_cmp_lt_f64_e32 vcc, v[192:193], v[194:195]
	v_add_u32_e32 v183, 16, v183
	s_cmp_lg_u32 s20, s16
	v_cndmask_b32_e32 v173, v173, v189, vcc
	v_cndmask_b32_e32 v172, v172, v188, vcc
	;; [unrolled: 1-line block ×5, first 2 shown]
	s_cbranch_scc1 .LBB84_841
.LBB84_842:
	s_waitcnt lgkmcnt(0)
	v_cmp_eq_f64_e32 vcc, 0, v[172:173]
	v_cmp_eq_f64_e64 s[0:1], 0, v[174:175]
	s_and_b64 s[0:1], vcc, s[0:1]
	s_and_saveexec_b64 s[16:17], s[0:1]
	s_xor_b64 s[0:1], exec, s[16:17]
; %bb.843:
	v_cmp_ne_u32_e32 vcc, 0, v186
	s_nop 1
	v_cndmask_b32_e32 v186, 41, v186, vcc
; %bb.844:
	s_andn2_saveexec_b64 s[0:1], s[0:1]
	s_cbranch_execz .LBB84_850
; %bb.845:
	v_cmp_ngt_f64_e64 s[16:17], |v[172:173]|, |v[174:175]|
	s_and_saveexec_b64 s[18:19], s[16:17]
	s_xor_b64 s[16:17], exec, s[18:19]
	s_cbranch_execz .LBB84_847
; %bb.846:
	v_div_scale_f64 v[188:189], s[18:19], v[174:175], v[174:175], v[172:173]
	v_rcp_f64_e32 v[190:191], v[188:189]
	v_div_scale_f64 v[192:193], vcc, v[172:173], v[174:175], v[172:173]
	v_fma_f64 v[194:195], -v[188:189], v[190:191], 1.0
	v_fmac_f64_e32 v[190:191], v[190:191], v[194:195]
	v_fma_f64 v[194:195], -v[188:189], v[190:191], 1.0
	v_fmac_f64_e32 v[190:191], v[190:191], v[194:195]
	v_mul_f64 v[194:195], v[192:193], v[190:191]
	v_fma_f64 v[188:189], -v[188:189], v[194:195], v[192:193]
	v_div_fmas_f64 v[188:189], v[188:189], v[190:191], v[194:195]
	v_div_fixup_f64 v[188:189], v[188:189], v[174:175], v[172:173]
	v_fmac_f64_e32 v[174:175], v[172:173], v[188:189]
	v_div_scale_f64 v[172:173], s[18:19], v[174:175], v[174:175], 1.0
	v_rcp_f64_e32 v[190:191], v[172:173]
	s_nop 0
	v_fma_f64 v[192:193], -v[172:173], v[190:191], 1.0
	v_fmac_f64_e32 v[190:191], v[190:191], v[192:193]
	v_fma_f64 v[192:193], -v[172:173], v[190:191], 1.0
	v_fmac_f64_e32 v[190:191], v[190:191], v[192:193]
	v_div_scale_f64 v[192:193], vcc, 1.0, v[174:175], 1.0
	v_mul_f64 v[194:195], v[192:193], v[190:191]
	v_fma_f64 v[172:173], -v[172:173], v[194:195], v[192:193]
	s_nop 1
	v_div_fmas_f64 v[172:173], v[172:173], v[190:191], v[194:195]
	v_div_fixup_f64 v[174:175], v[172:173], v[174:175], 1.0
	v_mul_f64 v[172:173], v[188:189], v[174:175]
	v_xor_b32_e32 v175, 0x80000000, v175
.LBB84_847:
	s_andn2_saveexec_b64 s[16:17], s[16:17]
	s_cbranch_execz .LBB84_849
; %bb.848:
	v_div_scale_f64 v[188:189], s[18:19], v[172:173], v[172:173], v[174:175]
	v_rcp_f64_e32 v[190:191], v[188:189]
	v_div_scale_f64 v[192:193], vcc, v[174:175], v[172:173], v[174:175]
	v_fma_f64 v[194:195], -v[188:189], v[190:191], 1.0
	v_fmac_f64_e32 v[190:191], v[190:191], v[194:195]
	v_fma_f64 v[194:195], -v[188:189], v[190:191], 1.0
	v_fmac_f64_e32 v[190:191], v[190:191], v[194:195]
	v_mul_f64 v[194:195], v[192:193], v[190:191]
	v_fma_f64 v[188:189], -v[188:189], v[194:195], v[192:193]
	v_div_fmas_f64 v[188:189], v[188:189], v[190:191], v[194:195]
	v_div_fixup_f64 v[188:189], v[188:189], v[172:173], v[174:175]
	v_fmac_f64_e32 v[172:173], v[174:175], v[188:189]
	v_div_scale_f64 v[174:175], s[18:19], v[172:173], v[172:173], 1.0
	v_rcp_f64_e32 v[190:191], v[174:175]
	s_nop 0
	v_fma_f64 v[192:193], -v[174:175], v[190:191], 1.0
	v_fmac_f64_e32 v[190:191], v[190:191], v[192:193]
	v_fma_f64 v[192:193], -v[174:175], v[190:191], 1.0
	v_fmac_f64_e32 v[190:191], v[190:191], v[192:193]
	v_div_scale_f64 v[192:193], vcc, 1.0, v[172:173], 1.0
	v_mul_f64 v[194:195], v[192:193], v[190:191]
	v_fma_f64 v[174:175], -v[174:175], v[194:195], v[192:193]
	s_nop 1
	v_div_fmas_f64 v[174:175], v[174:175], v[190:191], v[194:195]
	v_div_fixup_f64 v[172:173], v[174:175], v[172:173], 1.0
	v_mul_f64 v[174:175], v[188:189], -v[172:173]
.LBB84_849:
	s_or_b64 exec, exec, s[16:17]
.LBB84_850:
	s_or_b64 exec, exec, s[0:1]
	v_cmp_ne_u32_e32 vcc, v185, v182
	s_and_saveexec_b64 s[0:1], vcc
	s_xor_b64 s[0:1], exec, s[0:1]
	s_cbranch_execz .LBB84_856
; %bb.851:
	v_cmp_eq_u32_e32 vcc, 40, v185
	s_and_saveexec_b64 s[16:17], vcc
	s_cbranch_execz .LBB84_855
; %bb.852:
	v_cmp_ne_u32_e32 vcc, 40, v182
	s_xor_b64 s[18:19], s[14:15], -1
	s_and_b64 s[22:23], s[18:19], vcc
	s_and_saveexec_b64 s[18:19], s[22:23]
	s_cbranch_execz .LBB84_854
; %bb.853:
	v_ashrrev_i32_e32 v183, 31, v182
	v_lshl_add_u64 v[188:189], v[182:183], 2, v[180:181]
	global_load_dword v183, v[188:189], off
	global_load_dword v185, v[180:181], off offset:160
	s_waitcnt vmcnt(1)
	global_store_dword v[180:181], v183, off offset:160
	s_waitcnt vmcnt(1)
	global_store_dword v[188:189], v185, off
.LBB84_854:
	s_or_b64 exec, exec, s[18:19]
	v_mov_b32_e32 v185, v182
	v_mov_b32_e32 v187, v182
.LBB84_855:
	s_or_b64 exec, exec, s[16:17]
.LBB84_856:
	s_andn2_saveexec_b64 s[0:1], s[0:1]
	s_cbranch_execz .LBB84_858
; %bb.857:
	v_mov_b32_e32 v185, 40
	s_waitcnt vmcnt(1)
	ds_write2_b64 v184, v[0:1], v[2:3] offset0:82 offset1:83
	s_waitcnt vmcnt(0)
	ds_write2_b64 v184, v[168:169], v[170:171] offset0:84 offset1:85
.LBB84_858:
	s_or_b64 exec, exec, s[0:1]
	v_cmp_lt_i32_e32 vcc, 40, v185
	s_waitcnt lgkmcnt(0)
	s_barrier
	s_and_saveexec_b64 s[0:1], vcc
	s_cbranch_execz .LBB84_860
; %bb.859:
	ds_read2_b64 v[188:191], v184 offset0:82 offset1:83
	v_mul_f64 v[182:183], v[172:173], v[6:7]
	v_mul_f64 v[6:7], v[174:175], v[6:7]
	v_fmac_f64_e32 v[182:183], v[174:175], v[4:5]
	v_fma_f64 v[4:5], v[172:173], v[4:5], -v[6:7]
	ds_read2_b64 v[172:175], v184 offset0:84 offset1:85
	s_waitcnt lgkmcnt(1)
	v_mul_f64 v[6:7], v[190:191], v[182:183]
	v_fma_f64 v[6:7], v[188:189], v[4:5], -v[6:7]
	s_waitcnt vmcnt(1)
	v_add_f64 v[0:1], v[0:1], -v[6:7]
	v_mul_f64 v[188:189], v[188:189], v[182:183]
	s_waitcnt lgkmcnt(0)
	v_mul_f64 v[6:7], v[174:175], v[182:183]
	v_fma_f64 v[6:7], v[172:173], v[4:5], -v[6:7]
	v_mul_f64 v[172:173], v[172:173], v[182:183]
	v_fmac_f64_e32 v[188:189], v[190:191], v[4:5]
	v_fmac_f64_e32 v[172:173], v[174:175], v[4:5]
	v_add_f64 v[2:3], v[2:3], -v[188:189]
	s_waitcnt vmcnt(0)
	v_add_f64 v[168:169], v[168:169], -v[6:7]
	v_add_f64 v[170:171], v[170:171], -v[172:173]
	v_mov_b64_e32 v[6:7], v[182:183]
.LBB84_860:
	s_or_b64 exec, exec, s[0:1]
	v_lshl_add_u32 v172, v185, 4, v184
	s_barrier
	s_waitcnt vmcnt(1)
	ds_write2_b64 v172, v[0:1], v[2:3] offset1:1
	s_waitcnt lgkmcnt(0)
	s_barrier
	ds_read2_b64 v[172:175], v184 offset0:82 offset1:83
	s_cmp_lt_i32 s20, 43
	v_mov_b32_e32 v182, 41
	s_cbranch_scc1 .LBB84_863
; %bb.861:
	v_add_u32_e32 v183, 0x2a0, v184
	s_mov_b32 s16, 42
	v_mov_b32_e32 v182, 41
.LBB84_862:                             ; =>This Inner Loop Header: Depth=1
	ds_read2_b64 v[188:191], v183 offset1:1
	s_waitcnt lgkmcnt(1)
	v_xor_b32_e32 v193, 0x80000000, v173
	v_xor_b32_e32 v195, 0x80000000, v175
	v_cmp_gt_f64_e32 vcc, 0, v[174:175]
	v_cmp_gt_f64_e64 s[0:1], 0, v[172:173]
	v_mov_b32_e32 v192, v172
	v_mov_b32_e32 v194, v174
	v_cndmask_b32_e64 v193, v173, v193, s[0:1]
	v_cndmask_b32_e32 v195, v175, v195, vcc
	v_add_f64 v[192:193], v[192:193], v[194:195]
	s_waitcnt lgkmcnt(0)
	v_xor_b32_e32 v195, 0x80000000, v189
	v_xor_b32_e32 v197, 0x80000000, v191
	v_cmp_gt_f64_e32 vcc, 0, v[190:191]
	v_cmp_gt_f64_e64 s[0:1], 0, v[188:189]
	v_mov_b32_e32 v194, v188
	v_mov_b32_e32 v196, v190
	v_cndmask_b32_e64 v195, v189, v195, s[0:1]
	v_cndmask_b32_e32 v197, v191, v197, vcc
	v_add_f64 v[194:195], v[194:195], v[196:197]
	v_mov_b32_e32 v198, s16
	s_add_i32 s16, s16, 1
	v_cmp_lt_f64_e32 vcc, v[192:193], v[194:195]
	v_add_u32_e32 v183, 16, v183
	s_cmp_lg_u32 s20, s16
	v_cndmask_b32_e32 v173, v173, v189, vcc
	v_cndmask_b32_e32 v172, v172, v188, vcc
	;; [unrolled: 1-line block ×5, first 2 shown]
	s_cbranch_scc1 .LBB84_862
.LBB84_863:
	s_waitcnt lgkmcnt(0)
	v_cmp_eq_f64_e32 vcc, 0, v[172:173]
	v_cmp_eq_f64_e64 s[0:1], 0, v[174:175]
	s_and_b64 s[0:1], vcc, s[0:1]
	s_and_saveexec_b64 s[16:17], s[0:1]
	s_xor_b64 s[0:1], exec, s[16:17]
; %bb.864:
	v_cmp_ne_u32_e32 vcc, 0, v186
	s_nop 1
	v_cndmask_b32_e32 v186, 42, v186, vcc
; %bb.865:
	s_andn2_saveexec_b64 s[0:1], s[0:1]
	s_cbranch_execz .LBB84_871
; %bb.866:
	v_cmp_ngt_f64_e64 s[16:17], |v[172:173]|, |v[174:175]|
	s_and_saveexec_b64 s[18:19], s[16:17]
	s_xor_b64 s[16:17], exec, s[18:19]
	s_cbranch_execz .LBB84_868
; %bb.867:
	v_div_scale_f64 v[188:189], s[18:19], v[174:175], v[174:175], v[172:173]
	v_rcp_f64_e32 v[190:191], v[188:189]
	v_div_scale_f64 v[192:193], vcc, v[172:173], v[174:175], v[172:173]
	v_fma_f64 v[194:195], -v[188:189], v[190:191], 1.0
	v_fmac_f64_e32 v[190:191], v[190:191], v[194:195]
	v_fma_f64 v[194:195], -v[188:189], v[190:191], 1.0
	v_fmac_f64_e32 v[190:191], v[190:191], v[194:195]
	v_mul_f64 v[194:195], v[192:193], v[190:191]
	v_fma_f64 v[188:189], -v[188:189], v[194:195], v[192:193]
	v_div_fmas_f64 v[188:189], v[188:189], v[190:191], v[194:195]
	v_div_fixup_f64 v[188:189], v[188:189], v[174:175], v[172:173]
	v_fmac_f64_e32 v[174:175], v[172:173], v[188:189]
	v_div_scale_f64 v[172:173], s[18:19], v[174:175], v[174:175], 1.0
	v_rcp_f64_e32 v[190:191], v[172:173]
	s_nop 0
	v_fma_f64 v[192:193], -v[172:173], v[190:191], 1.0
	v_fmac_f64_e32 v[190:191], v[190:191], v[192:193]
	v_fma_f64 v[192:193], -v[172:173], v[190:191], 1.0
	v_fmac_f64_e32 v[190:191], v[190:191], v[192:193]
	v_div_scale_f64 v[192:193], vcc, 1.0, v[174:175], 1.0
	v_mul_f64 v[194:195], v[192:193], v[190:191]
	v_fma_f64 v[172:173], -v[172:173], v[194:195], v[192:193]
	s_nop 1
	v_div_fmas_f64 v[172:173], v[172:173], v[190:191], v[194:195]
	v_div_fixup_f64 v[174:175], v[172:173], v[174:175], 1.0
	v_mul_f64 v[172:173], v[188:189], v[174:175]
	v_xor_b32_e32 v175, 0x80000000, v175
.LBB84_868:
	s_andn2_saveexec_b64 s[16:17], s[16:17]
	s_cbranch_execz .LBB84_870
; %bb.869:
	v_div_scale_f64 v[188:189], s[18:19], v[172:173], v[172:173], v[174:175]
	v_rcp_f64_e32 v[190:191], v[188:189]
	v_div_scale_f64 v[192:193], vcc, v[174:175], v[172:173], v[174:175]
	v_fma_f64 v[194:195], -v[188:189], v[190:191], 1.0
	v_fmac_f64_e32 v[190:191], v[190:191], v[194:195]
	v_fma_f64 v[194:195], -v[188:189], v[190:191], 1.0
	v_fmac_f64_e32 v[190:191], v[190:191], v[194:195]
	v_mul_f64 v[194:195], v[192:193], v[190:191]
	v_fma_f64 v[188:189], -v[188:189], v[194:195], v[192:193]
	v_div_fmas_f64 v[188:189], v[188:189], v[190:191], v[194:195]
	v_div_fixup_f64 v[188:189], v[188:189], v[172:173], v[174:175]
	v_fmac_f64_e32 v[172:173], v[174:175], v[188:189]
	v_div_scale_f64 v[174:175], s[18:19], v[172:173], v[172:173], 1.0
	v_rcp_f64_e32 v[190:191], v[174:175]
	s_nop 0
	v_fma_f64 v[192:193], -v[174:175], v[190:191], 1.0
	v_fmac_f64_e32 v[190:191], v[190:191], v[192:193]
	v_fma_f64 v[192:193], -v[174:175], v[190:191], 1.0
	v_fmac_f64_e32 v[190:191], v[190:191], v[192:193]
	v_div_scale_f64 v[192:193], vcc, 1.0, v[172:173], 1.0
	v_mul_f64 v[194:195], v[192:193], v[190:191]
	v_fma_f64 v[174:175], -v[174:175], v[194:195], v[192:193]
	s_nop 1
	v_div_fmas_f64 v[174:175], v[174:175], v[190:191], v[194:195]
	v_div_fixup_f64 v[172:173], v[174:175], v[172:173], 1.0
	v_mul_f64 v[174:175], v[188:189], -v[172:173]
.LBB84_870:
	s_or_b64 exec, exec, s[16:17]
.LBB84_871:
	s_or_b64 exec, exec, s[0:1]
	v_cmp_ne_u32_e32 vcc, v185, v182
	s_and_saveexec_b64 s[0:1], vcc
	s_xor_b64 s[0:1], exec, s[0:1]
	s_cbranch_execz .LBB84_877
; %bb.872:
	v_cmp_eq_u32_e32 vcc, 41, v185
	s_and_saveexec_b64 s[16:17], vcc
	s_cbranch_execz .LBB84_876
; %bb.873:
	v_cmp_ne_u32_e32 vcc, 41, v182
	s_xor_b64 s[18:19], s[14:15], -1
	s_and_b64 s[22:23], s[18:19], vcc
	s_and_saveexec_b64 s[18:19], s[22:23]
	s_cbranch_execz .LBB84_875
; %bb.874:
	v_ashrrev_i32_e32 v183, 31, v182
	v_lshl_add_u64 v[188:189], v[182:183], 2, v[180:181]
	global_load_dword v183, v[188:189], off
	global_load_dword v185, v[180:181], off offset:164
	s_waitcnt vmcnt(1)
	global_store_dword v[180:181], v183, off offset:164
	s_waitcnt vmcnt(1)
	global_store_dword v[188:189], v185, off
.LBB84_875:
	s_or_b64 exec, exec, s[18:19]
	v_mov_b32_e32 v185, v182
	v_mov_b32_e32 v187, v182
.LBB84_876:
	s_or_b64 exec, exec, s[16:17]
.LBB84_877:
	s_andn2_saveexec_b64 s[0:1], s[0:1]
	s_cbranch_execz .LBB84_879
; %bb.878:
	v_mov_b32_e32 v185, 41
	s_waitcnt vmcnt(0)
	ds_write2_b64 v184, v[168:169], v[170:171] offset0:84 offset1:85
.LBB84_879:
	s_or_b64 exec, exec, s[0:1]
	v_cmp_lt_i32_e32 vcc, 41, v185
	s_waitcnt lgkmcnt(0)
	s_barrier
	s_and_saveexec_b64 s[0:1], vcc
	s_cbranch_execz .LBB84_881
; %bb.880:
	ds_read2_b64 v[188:191], v184 offset0:84 offset1:85
	v_mul_f64 v[182:183], v[172:173], v[2:3]
	v_mul_f64 v[2:3], v[174:175], v[2:3]
	v_fmac_f64_e32 v[182:183], v[174:175], v[0:1]
	v_fma_f64 v[0:1], v[172:173], v[0:1], -v[2:3]
	s_waitcnt lgkmcnt(0)
	v_mul_f64 v[2:3], v[190:191], v[182:183]
	v_mul_f64 v[172:173], v[188:189], v[182:183]
	v_fma_f64 v[2:3], v[188:189], v[0:1], -v[2:3]
	v_fmac_f64_e32 v[172:173], v[190:191], v[0:1]
	s_waitcnt vmcnt(0)
	v_add_f64 v[168:169], v[168:169], -v[2:3]
	v_add_f64 v[170:171], v[170:171], -v[172:173]
	v_mov_b64_e32 v[2:3], v[182:183]
.LBB84_881:
	s_or_b64 exec, exec, s[0:1]
	v_lshl_add_u32 v172, v185, 4, v184
	s_barrier
	s_waitcnt vmcnt(0)
	ds_write2_b64 v172, v[168:169], v[170:171] offset1:1
	s_waitcnt lgkmcnt(0)
	s_barrier
	ds_read2_b64 v[172:175], v184 offset0:84 offset1:85
	s_cmp_lt_i32 s20, 44
	v_mov_b32_e32 v182, 42
	s_cbranch_scc1 .LBB84_884
; %bb.882:
	v_add_u32_e32 v183, 0x2b0, v184
	s_mov_b32 s16, 43
	v_mov_b32_e32 v182, 42
.LBB84_883:                             ; =>This Inner Loop Header: Depth=1
	ds_read2_b64 v[188:191], v183 offset1:1
	s_waitcnt lgkmcnt(1)
	v_xor_b32_e32 v184, 0x80000000, v173
	v_xor_b32_e32 v195, 0x80000000, v175
	v_cmp_gt_f64_e32 vcc, 0, v[174:175]
	v_cmp_gt_f64_e64 s[0:1], 0, v[172:173]
	v_mov_b32_e32 v192, v172
	v_mov_b32_e32 v194, v174
	v_cndmask_b32_e64 v193, v173, v184, s[0:1]
	v_cndmask_b32_e32 v195, v175, v195, vcc
	s_waitcnt lgkmcnt(0)
	v_xor_b32_e32 v184, 0x80000000, v189
	v_xor_b32_e32 v197, 0x80000000, v191
	v_cmp_gt_f64_e32 vcc, 0, v[190:191]
	v_cmp_gt_f64_e64 s[0:1], 0, v[188:189]
	v_add_f64 v[192:193], v[192:193], v[194:195]
	v_mov_b32_e32 v194, v188
	v_mov_b32_e32 v196, v190
	v_cndmask_b32_e64 v195, v189, v184, s[0:1]
	v_cndmask_b32_e32 v197, v191, v197, vcc
	v_add_f64 v[194:195], v[194:195], v[196:197]
	v_mov_b32_e32 v198, s16
	s_add_i32 s16, s16, 1
	v_cmp_lt_f64_e32 vcc, v[192:193], v[194:195]
	v_add_u32_e32 v183, 16, v183
	s_cmp_lg_u32 s20, s16
	v_cndmask_b32_e32 v173, v173, v189, vcc
	v_cndmask_b32_e32 v172, v172, v188, vcc
	;; [unrolled: 1-line block ×5, first 2 shown]
	s_cbranch_scc1 .LBB84_883
.LBB84_884:
	s_waitcnt lgkmcnt(0)
	v_cmp_eq_f64_e32 vcc, 0, v[172:173]
	v_cmp_eq_f64_e64 s[0:1], 0, v[174:175]
	s_and_b64 s[0:1], vcc, s[0:1]
	s_and_saveexec_b64 s[16:17], s[0:1]
	s_xor_b64 s[0:1], exec, s[16:17]
; %bb.885:
	v_cmp_ne_u32_e32 vcc, 0, v186
	s_nop 1
	v_cndmask_b32_e32 v186, 43, v186, vcc
; %bb.886:
	s_andn2_saveexec_b64 s[0:1], s[0:1]
	s_cbranch_execz .LBB84_892
; %bb.887:
	v_cmp_ngt_f64_e64 s[16:17], |v[172:173]|, |v[174:175]|
	s_and_saveexec_b64 s[18:19], s[16:17]
	s_xor_b64 s[16:17], exec, s[18:19]
	s_cbranch_execz .LBB84_889
; %bb.888:
	v_div_scale_f64 v[188:189], s[18:19], v[174:175], v[174:175], v[172:173]
	v_rcp_f64_e32 v[190:191], v[188:189]
	v_div_scale_f64 v[192:193], vcc, v[172:173], v[174:175], v[172:173]
	v_fma_f64 v[194:195], -v[188:189], v[190:191], 1.0
	v_fmac_f64_e32 v[190:191], v[190:191], v[194:195]
	v_fma_f64 v[194:195], -v[188:189], v[190:191], 1.0
	v_fmac_f64_e32 v[190:191], v[190:191], v[194:195]
	v_mul_f64 v[194:195], v[192:193], v[190:191]
	v_fma_f64 v[188:189], -v[188:189], v[194:195], v[192:193]
	v_div_fmas_f64 v[188:189], v[188:189], v[190:191], v[194:195]
	v_div_fixup_f64 v[188:189], v[188:189], v[174:175], v[172:173]
	v_fmac_f64_e32 v[174:175], v[172:173], v[188:189]
	v_div_scale_f64 v[172:173], s[18:19], v[174:175], v[174:175], 1.0
	v_rcp_f64_e32 v[190:191], v[172:173]
	s_nop 0
	v_fma_f64 v[192:193], -v[172:173], v[190:191], 1.0
	v_fmac_f64_e32 v[190:191], v[190:191], v[192:193]
	v_fma_f64 v[192:193], -v[172:173], v[190:191], 1.0
	v_fmac_f64_e32 v[190:191], v[190:191], v[192:193]
	v_div_scale_f64 v[192:193], vcc, 1.0, v[174:175], 1.0
	v_mul_f64 v[194:195], v[192:193], v[190:191]
	v_fma_f64 v[172:173], -v[172:173], v[194:195], v[192:193]
	s_nop 1
	v_div_fmas_f64 v[172:173], v[172:173], v[190:191], v[194:195]
	v_div_fixup_f64 v[174:175], v[172:173], v[174:175], 1.0
	v_mul_f64 v[172:173], v[188:189], v[174:175]
	v_xor_b32_e32 v175, 0x80000000, v175
.LBB84_889:
	s_andn2_saveexec_b64 s[16:17], s[16:17]
	s_cbranch_execz .LBB84_891
; %bb.890:
	v_div_scale_f64 v[188:189], s[18:19], v[172:173], v[172:173], v[174:175]
	v_rcp_f64_e32 v[190:191], v[188:189]
	v_div_scale_f64 v[192:193], vcc, v[174:175], v[172:173], v[174:175]
	v_fma_f64 v[194:195], -v[188:189], v[190:191], 1.0
	v_fmac_f64_e32 v[190:191], v[190:191], v[194:195]
	v_fma_f64 v[194:195], -v[188:189], v[190:191], 1.0
	v_fmac_f64_e32 v[190:191], v[190:191], v[194:195]
	v_mul_f64 v[194:195], v[192:193], v[190:191]
	v_fma_f64 v[188:189], -v[188:189], v[194:195], v[192:193]
	v_div_fmas_f64 v[188:189], v[188:189], v[190:191], v[194:195]
	v_div_fixup_f64 v[188:189], v[188:189], v[172:173], v[174:175]
	v_fmac_f64_e32 v[172:173], v[174:175], v[188:189]
	v_div_scale_f64 v[174:175], s[18:19], v[172:173], v[172:173], 1.0
	v_rcp_f64_e32 v[190:191], v[174:175]
	s_nop 0
	v_fma_f64 v[192:193], -v[174:175], v[190:191], 1.0
	v_fmac_f64_e32 v[190:191], v[190:191], v[192:193]
	v_fma_f64 v[192:193], -v[174:175], v[190:191], 1.0
	v_fmac_f64_e32 v[190:191], v[190:191], v[192:193]
	v_div_scale_f64 v[192:193], vcc, 1.0, v[172:173], 1.0
	v_mul_f64 v[194:195], v[192:193], v[190:191]
	v_fma_f64 v[174:175], -v[174:175], v[194:195], v[192:193]
	s_nop 1
	v_div_fmas_f64 v[174:175], v[174:175], v[190:191], v[194:195]
	v_div_fixup_f64 v[172:173], v[174:175], v[172:173], 1.0
	v_mul_f64 v[174:175], v[188:189], -v[172:173]
.LBB84_891:
	s_or_b64 exec, exec, s[16:17]
.LBB84_892:
	s_or_b64 exec, exec, s[0:1]
	v_cmp_ne_u32_e32 vcc, v185, v182
	v_mov_b32_e32 v184, 42
	s_and_saveexec_b64 s[0:1], vcc
	s_cbranch_execz .LBB84_898
; %bb.893:
	v_cmp_eq_u32_e32 vcc, 42, v185
	s_and_saveexec_b64 s[16:17], vcc
	s_cbranch_execz .LBB84_897
; %bb.894:
	v_cmp_ne_u32_e32 vcc, 42, v182
	s_xor_b64 s[14:15], s[14:15], -1
	s_and_b64 s[18:19], s[14:15], vcc
	s_and_saveexec_b64 s[14:15], s[18:19]
	s_cbranch_execz .LBB84_896
; %bb.895:
	v_ashrrev_i32_e32 v183, 31, v182
	v_lshl_add_u64 v[184:185], v[182:183], 2, v[180:181]
	global_load_dword v183, v[184:185], off
	global_load_dword v187, v[180:181], off offset:168
	s_waitcnt vmcnt(1)
	global_store_dword v[180:181], v183, off offset:168
	s_waitcnt vmcnt(1)
	global_store_dword v[184:185], v187, off
.LBB84_896:
	s_or_b64 exec, exec, s[14:15]
	v_mov_b32_e32 v185, v182
	v_mov_b32_e32 v187, v182
.LBB84_897:
	s_or_b64 exec, exec, s[16:17]
	v_mov_b32_e32 v184, v185
.LBB84_898:
	s_or_b64 exec, exec, s[0:1]
	v_cmp_gt_i32_e32 vcc, 43, v184
	v_ashrrev_i32_e32 v185, 31, v184
	s_barrier
	s_barrier
	s_and_saveexec_b64 s[0:1], vcc
	s_cbranch_execz .LBB84_900
; %bb.899:
	v_mov_b32_e32 v180, s6
	v_mov_b32_e32 v181, s7
	v_mul_lo_u32 v188, s11, v178
	v_mul_lo_u32 v189, s10, v179
	v_mad_u64_u32 v[182:183], s[6:7], s10, v178, 0
	v_add3_u32 v183, v183, v189, v188
	v_lshl_add_u64 v[180:181], v[182:183], 2, v[180:181]
	v_lshl_add_u64 v[180:181], s[8:9], 2, v[180:181]
	;; [unrolled: 1-line block ×3, first 2 shown]
	v_add3_u32 v182, v187, s13, 1
	global_store_dword v[180:181], v182, off
.LBB84_900:
	s_or_b64 exec, exec, s[0:1]
	v_cmp_eq_u32_e32 vcc, 0, v184
	s_and_saveexec_b64 s[6:7], vcc
	s_cbranch_execz .LBB84_903
; %bb.901:
	v_mov_b32_e32 v180, s4
	v_mov_b32_e32 v181, s5
	v_lshl_add_u64 v[178:179], v[178:179], 2, v[180:181]
	global_load_dword v180, v[178:179], off
	v_cmp_ne_u32_e64 s[0:1], 0, v186
	s_waitcnt vmcnt(0)
	v_cmp_eq_u32_e32 vcc, 0, v180
	s_and_b64 s[0:1], vcc, s[0:1]
	s_and_b64 exec, exec, s[0:1]
	s_cbranch_execz .LBB84_903
; %bb.902:
	v_add_u32_e32 v180, s13, v186
	global_store_dword v[178:179], v180, off
.LBB84_903:
	s_or_b64 exec, exec, s[6:7]
	v_mul_f64 v[178:179], v[174:175], v[170:171]
	v_fma_f64 v[178:179], v[172:173], v[168:169], -v[178:179]
	v_mul_f64 v[172:173], v[172:173], v[170:171]
	v_fmac_f64_e32 v[172:173], v[174:175], v[168:169]
	v_cmp_lt_i32_e32 vcc, 42, v184
	s_nop 1
	v_cndmask_b32_e32 v171, v171, v173, vcc
	v_cndmask_b32_e32 v170, v170, v172, vcc
	v_lshl_add_u64 v[172:173], v[184:185], 4, v[176:177]
	global_store_dwordx4 v[172:173], v[112:115], off
	v_cndmask_b32_e32 v169, v169, v179, vcc
	v_cndmask_b32_e32 v168, v168, v178, vcc
	v_lshl_add_u64 v[112:113], s[2:3], 4, v[172:173]
	global_store_dwordx4 v[112:113], v[104:107], off
	s_nop 1
	v_add_u32_e32 v104, s12, v184
	v_ashrrev_i32_e32 v105, 31, v104
	v_lshl_add_u64 v[106:107], v[104:105], 4, v[176:177]
	v_add_u32_e32 v104, s2, v104
	v_ashrrev_i32_e32 v105, 31, v104
	global_store_dwordx4 v[106:107], v[164:167], off
	v_lshl_add_u64 v[106:107], v[104:105], 4, v[176:177]
	v_add_u32_e32 v104, s2, v104
	v_ashrrev_i32_e32 v105, 31, v104
	global_store_dwordx4 v[106:107], v[160:163], off
	;; [unrolled: 4-line block ×14, first 2 shown]
	v_lshl_add_u64 v[106:107], v[104:105], 4, v[176:177]
	global_store_dwordx4 v[106:107], v[100:103], off
	s_nop 1
	v_add_u32_e32 v100, s2, v104
	v_ashrrev_i32_e32 v101, 31, v100
	v_lshl_add_u64 v[102:103], v[100:101], 4, v[176:177]
	global_store_dwordx4 v[102:103], v[96:99], off
	s_nop 1
	v_add_u32_e32 v96, s2, v100
	v_ashrrev_i32_e32 v97, 31, v96
	v_lshl_add_u64 v[98:99], v[96:97], 4, v[176:177]
	global_store_dwordx4 v[98:99], v[92:95], off
	s_nop 1
	v_add_u32_e32 v92, s2, v96
	v_ashrrev_i32_e32 v93, 31, v92
	v_lshl_add_u64 v[94:95], v[92:93], 4, v[176:177]
	global_store_dwordx4 v[94:95], v[88:91], off
	s_nop 1
	v_add_u32_e32 v88, s2, v92
	v_ashrrev_i32_e32 v89, 31, v88
	v_lshl_add_u64 v[90:91], v[88:89], 4, v[176:177]
	global_store_dwordx4 v[90:91], v[84:87], off
	s_nop 1
	v_add_u32_e32 v84, s2, v88
	v_ashrrev_i32_e32 v85, 31, v84
	v_lshl_add_u64 v[86:87], v[84:85], 4, v[176:177]
	global_store_dwordx4 v[86:87], v[80:83], off
	s_nop 1
	v_add_u32_e32 v80, s2, v84
	v_ashrrev_i32_e32 v81, 31, v80
	v_lshl_add_u64 v[82:83], v[80:81], 4, v[176:177]
	global_store_dwordx4 v[82:83], v[76:79], off
	s_nop 1
	v_add_u32_e32 v76, s2, v80
	v_ashrrev_i32_e32 v77, 31, v76
	v_lshl_add_u64 v[78:79], v[76:77], 4, v[176:177]
	global_store_dwordx4 v[78:79], v[72:75], off
	s_nop 1
	v_add_u32_e32 v72, s2, v76
	v_ashrrev_i32_e32 v73, 31, v72
	v_lshl_add_u64 v[74:75], v[72:73], 4, v[176:177]
	global_store_dwordx4 v[74:75], v[68:71], off
	s_nop 1
	v_add_u32_e32 v68, s2, v72
	v_ashrrev_i32_e32 v69, 31, v68
	v_lshl_add_u64 v[70:71], v[68:69], 4, v[176:177]
	global_store_dwordx4 v[70:71], v[64:67], off
	s_nop 1
	v_add_u32_e32 v64, s2, v68
	v_ashrrev_i32_e32 v65, 31, v64
	v_lshl_add_u64 v[66:67], v[64:65], 4, v[176:177]
	global_store_dwordx4 v[66:67], v[60:63], off
	s_nop 1
	v_add_u32_e32 v60, s2, v64
	v_ashrrev_i32_e32 v61, 31, v60
	v_lshl_add_u64 v[62:63], v[60:61], 4, v[176:177]
	global_store_dwordx4 v[62:63], v[56:59], off
	s_nop 1
	v_add_u32_e32 v56, s2, v60
	v_ashrrev_i32_e32 v57, 31, v56
	v_lshl_add_u64 v[58:59], v[56:57], 4, v[176:177]
	global_store_dwordx4 v[58:59], v[52:55], off
	s_nop 1
	v_add_u32_e32 v52, s2, v56
	v_ashrrev_i32_e32 v53, 31, v52
	v_lshl_add_u64 v[54:55], v[52:53], 4, v[176:177]
	global_store_dwordx4 v[54:55], v[48:51], off
	s_nop 1
	v_add_u32_e32 v48, s2, v52
	v_ashrrev_i32_e32 v49, 31, v48
	v_lshl_add_u64 v[50:51], v[48:49], 4, v[176:177]
	global_store_dwordx4 v[50:51], v[44:47], off
	s_nop 1
	v_add_u32_e32 v44, s2, v48
	v_ashrrev_i32_e32 v45, 31, v44
	v_lshl_add_u64 v[46:47], v[44:45], 4, v[176:177]
	global_store_dwordx4 v[46:47], v[40:43], off
	s_nop 1
	v_add_u32_e32 v40, s2, v44
	v_ashrrev_i32_e32 v41, 31, v40
	v_lshl_add_u64 v[42:43], v[40:41], 4, v[176:177]
	global_store_dwordx4 v[42:43], v[36:39], off
	s_nop 1
	v_add_u32_e32 v36, s2, v40
	v_ashrrev_i32_e32 v37, 31, v36
	v_lshl_add_u64 v[38:39], v[36:37], 4, v[176:177]
	global_store_dwordx4 v[38:39], v[32:35], off
	s_nop 1
	v_add_u32_e32 v32, s2, v36
	v_ashrrev_i32_e32 v33, 31, v32
	v_lshl_add_u64 v[34:35], v[32:33], 4, v[176:177]
	global_store_dwordx4 v[34:35], v[28:31], off
	s_nop 1
	v_add_u32_e32 v28, s2, v32
	v_ashrrev_i32_e32 v29, 31, v28
	v_lshl_add_u64 v[30:31], v[28:29], 4, v[176:177]
	global_store_dwordx4 v[30:31], v[24:27], off
	s_nop 1
	v_add_u32_e32 v24, s2, v28
	v_ashrrev_i32_e32 v25, 31, v24
	v_lshl_add_u64 v[26:27], v[24:25], 4, v[176:177]
	global_store_dwordx4 v[26:27], v[20:23], off
	s_nop 1
	v_add_u32_e32 v20, s2, v24
	v_ashrrev_i32_e32 v21, 31, v20
	v_lshl_add_u64 v[22:23], v[20:21], 4, v[176:177]
	global_store_dwordx4 v[22:23], v[16:19], off
	s_nop 1
	v_add_u32_e32 v16, s2, v20
	v_ashrrev_i32_e32 v17, 31, v16
	v_lshl_add_u64 v[18:19], v[16:17], 4, v[176:177]
	global_store_dwordx4 v[18:19], v[12:15], off
	s_nop 1
	v_add_u32_e32 v12, s2, v16
	v_ashrrev_i32_e32 v13, 31, v12
	v_lshl_add_u64 v[14:15], v[12:13], 4, v[176:177]
	global_store_dwordx4 v[14:15], v[8:11], off
	s_nop 1
	v_add_u32_e32 v8, s2, v12
	v_ashrrev_i32_e32 v9, 31, v8
	v_lshl_add_u64 v[10:11], v[8:9], 4, v[176:177]
	global_store_dwordx4 v[10:11], v[4:7], off
	s_nop 1
	v_add_u32_e32 v4, s2, v8
	v_ashrrev_i32_e32 v5, 31, v4
	v_lshl_add_u64 v[6:7], v[4:5], 4, v[176:177]
	global_store_dwordx4 v[6:7], v[0:3], off
	s_nop 1
	v_add_u32_e32 v0, s2, v4
	v_ashrrev_i32_e32 v1, 31, v0
	v_lshl_add_u64 v[0:1], v[0:1], 4, v[176:177]
	global_store_dwordx4 v[0:1], v[168:171], off
.LBB84_904:
	s_endpgm
	.section	.rodata,"a",@progbits
	.p2align	6, 0x0
	.amdhsa_kernel _ZN9rocsolver6v33100L18getf2_small_kernelILi43E19rocblas_complex_numIdEiiPS3_EEvT1_T3_lS5_lPS5_llPT2_S5_S5_S7_l
		.amdhsa_group_segment_fixed_size 0
		.amdhsa_private_segment_fixed_size 0
		.amdhsa_kernarg_size 352
		.amdhsa_user_sgpr_count 2
		.amdhsa_user_sgpr_dispatch_ptr 0
		.amdhsa_user_sgpr_queue_ptr 0
		.amdhsa_user_sgpr_kernarg_segment_ptr 1
		.amdhsa_user_sgpr_dispatch_id 0
		.amdhsa_user_sgpr_kernarg_preload_length 0
		.amdhsa_user_sgpr_kernarg_preload_offset 0
		.amdhsa_user_sgpr_private_segment_size 0
		.amdhsa_uses_dynamic_stack 0
		.amdhsa_enable_private_segment 0
		.amdhsa_system_sgpr_workgroup_id_x 1
		.amdhsa_system_sgpr_workgroup_id_y 1
		.amdhsa_system_sgpr_workgroup_id_z 0
		.amdhsa_system_sgpr_workgroup_info 0
		.amdhsa_system_vgpr_workitem_id 1
		.amdhsa_next_free_vgpr 208
		.amdhsa_next_free_sgpr 24
		.amdhsa_accum_offset 208
		.amdhsa_reserve_vcc 1
		.amdhsa_float_round_mode_32 0
		.amdhsa_float_round_mode_16_64 0
		.amdhsa_float_denorm_mode_32 3
		.amdhsa_float_denorm_mode_16_64 3
		.amdhsa_dx10_clamp 1
		.amdhsa_ieee_mode 1
		.amdhsa_fp16_overflow 0
		.amdhsa_tg_split 0
		.amdhsa_exception_fp_ieee_invalid_op 0
		.amdhsa_exception_fp_denorm_src 0
		.amdhsa_exception_fp_ieee_div_zero 0
		.amdhsa_exception_fp_ieee_overflow 0
		.amdhsa_exception_fp_ieee_underflow 0
		.amdhsa_exception_fp_ieee_inexact 0
		.amdhsa_exception_int_div_zero 0
	.end_amdhsa_kernel
	.section	.text._ZN9rocsolver6v33100L18getf2_small_kernelILi43E19rocblas_complex_numIdEiiPS3_EEvT1_T3_lS5_lPS5_llPT2_S5_S5_S7_l,"axG",@progbits,_ZN9rocsolver6v33100L18getf2_small_kernelILi43E19rocblas_complex_numIdEiiPS3_EEvT1_T3_lS5_lPS5_llPT2_S5_S5_S7_l,comdat
.Lfunc_end84:
	.size	_ZN9rocsolver6v33100L18getf2_small_kernelILi43E19rocblas_complex_numIdEiiPS3_EEvT1_T3_lS5_lPS5_llPT2_S5_S5_S7_l, .Lfunc_end84-_ZN9rocsolver6v33100L18getf2_small_kernelILi43E19rocblas_complex_numIdEiiPS3_EEvT1_T3_lS5_lPS5_llPT2_S5_S5_S7_l
                                        ; -- End function
	.set _ZN9rocsolver6v33100L18getf2_small_kernelILi43E19rocblas_complex_numIdEiiPS3_EEvT1_T3_lS5_lPS5_llPT2_S5_S5_S7_l.num_vgpr, 208
	.set _ZN9rocsolver6v33100L18getf2_small_kernelILi43E19rocblas_complex_numIdEiiPS3_EEvT1_T3_lS5_lPS5_llPT2_S5_S5_S7_l.num_agpr, 0
	.set _ZN9rocsolver6v33100L18getf2_small_kernelILi43E19rocblas_complex_numIdEiiPS3_EEvT1_T3_lS5_lPS5_llPT2_S5_S5_S7_l.numbered_sgpr, 24
	.set _ZN9rocsolver6v33100L18getf2_small_kernelILi43E19rocblas_complex_numIdEiiPS3_EEvT1_T3_lS5_lPS5_llPT2_S5_S5_S7_l.num_named_barrier, 0
	.set _ZN9rocsolver6v33100L18getf2_small_kernelILi43E19rocblas_complex_numIdEiiPS3_EEvT1_T3_lS5_lPS5_llPT2_S5_S5_S7_l.private_seg_size, 0
	.set _ZN9rocsolver6v33100L18getf2_small_kernelILi43E19rocblas_complex_numIdEiiPS3_EEvT1_T3_lS5_lPS5_llPT2_S5_S5_S7_l.uses_vcc, 1
	.set _ZN9rocsolver6v33100L18getf2_small_kernelILi43E19rocblas_complex_numIdEiiPS3_EEvT1_T3_lS5_lPS5_llPT2_S5_S5_S7_l.uses_flat_scratch, 0
	.set _ZN9rocsolver6v33100L18getf2_small_kernelILi43E19rocblas_complex_numIdEiiPS3_EEvT1_T3_lS5_lPS5_llPT2_S5_S5_S7_l.has_dyn_sized_stack, 0
	.set _ZN9rocsolver6v33100L18getf2_small_kernelILi43E19rocblas_complex_numIdEiiPS3_EEvT1_T3_lS5_lPS5_llPT2_S5_S5_S7_l.has_recursion, 0
	.set _ZN9rocsolver6v33100L18getf2_small_kernelILi43E19rocblas_complex_numIdEiiPS3_EEvT1_T3_lS5_lPS5_llPT2_S5_S5_S7_l.has_indirect_call, 0
	.section	.AMDGPU.csdata,"",@progbits
; Kernel info:
; codeLenInByte = 104748
; TotalNumSgprs: 30
; NumVgprs: 208
; NumAgprs: 0
; TotalNumVgprs: 208
; ScratchSize: 0
; MemoryBound: 0
; FloatMode: 240
; IeeeMode: 1
; LDSByteSize: 0 bytes/workgroup (compile time only)
; SGPRBlocks: 3
; VGPRBlocks: 25
; NumSGPRsForWavesPerEU: 30
; NumVGPRsForWavesPerEU: 208
; AccumOffset: 208
; Occupancy: 2
; WaveLimiterHint : 0
; COMPUTE_PGM_RSRC2:SCRATCH_EN: 0
; COMPUTE_PGM_RSRC2:USER_SGPR: 2
; COMPUTE_PGM_RSRC2:TRAP_HANDLER: 0
; COMPUTE_PGM_RSRC2:TGID_X_EN: 1
; COMPUTE_PGM_RSRC2:TGID_Y_EN: 1
; COMPUTE_PGM_RSRC2:TGID_Z_EN: 0
; COMPUTE_PGM_RSRC2:TIDIG_COMP_CNT: 1
; COMPUTE_PGM_RSRC3_GFX90A:ACCUM_OFFSET: 51
; COMPUTE_PGM_RSRC3_GFX90A:TG_SPLIT: 0
	.section	.text._ZN9rocsolver6v33100L23getf2_npvt_small_kernelILi43E19rocblas_complex_numIdEiiPS3_EEvT1_T3_lS5_lPT2_S5_S5_,"axG",@progbits,_ZN9rocsolver6v33100L23getf2_npvt_small_kernelILi43E19rocblas_complex_numIdEiiPS3_EEvT1_T3_lS5_lPT2_S5_S5_,comdat
	.globl	_ZN9rocsolver6v33100L23getf2_npvt_small_kernelILi43E19rocblas_complex_numIdEiiPS3_EEvT1_T3_lS5_lPT2_S5_S5_ ; -- Begin function _ZN9rocsolver6v33100L23getf2_npvt_small_kernelILi43E19rocblas_complex_numIdEiiPS3_EEvT1_T3_lS5_lPT2_S5_S5_
	.p2align	8
	.type	_ZN9rocsolver6v33100L23getf2_npvt_small_kernelILi43E19rocblas_complex_numIdEiiPS3_EEvT1_T3_lS5_lPT2_S5_S5_,@function
_ZN9rocsolver6v33100L23getf2_npvt_small_kernelILi43E19rocblas_complex_numIdEiiPS3_EEvT1_T3_lS5_lPT2_S5_S5_: ; @_ZN9rocsolver6v33100L23getf2_npvt_small_kernelILi43E19rocblas_complex_numIdEiiPS3_EEvT1_T3_lS5_lPT2_S5_S5_
; %bb.0:
	s_load_dword s2, s[0:1], 0x44
	s_load_dwordx2 s[8:9], s[0:1], 0x30
	v_bfe_u32 v2, v0, 10, 10
	s_waitcnt lgkmcnt(0)
	s_lshr_b32 s2, s2, 16
	s_mul_i32 s3, s3, s2
	v_add_u32_e32 v4, s3, v2
	v_cmp_gt_i32_e32 vcc, s8, v4
	s_and_saveexec_b64 s[4:5], vcc
	s_cbranch_execz .LBB85_390
; %bb.1:
	s_load_dwordx4 s[12:15], s[0:1], 0x8
	s_load_dword s10, s[0:1], 0x18
	s_load_dwordx4 s[4:7], s[0:1], 0x20
	v_ashrrev_i32_e32 v5, 31, v4
	scratch_store_dwordx2 off, v[4:5], off offset:760 ; 8-byte Folded Spill
	v_and_b32_e32 v164, 0x3ff, v0
	s_waitcnt lgkmcnt(0)
	v_mov_b32_e32 v0, s12
	v_mul_lo_u32 v3, s5, v4
	v_mul_lo_u32 v6, s4, v5
	v_mad_u64_u32 v[4:5], s[0:1], s4, v4, 0
	v_mov_b32_e32 v1, s13
	v_add3_u32 v5, v5, v6, v3
	v_lshl_add_u64 v[0:1], v[4:5], 4, v[0:1]
	v_lshl_add_u64 v[0:1], s[14:15], 4, v[0:1]
	v_lshlrev_b32_e32 v4, 4, v164
	v_mov_b32_e32 v5, 0
	s_add_i32 s0, s10, s10
	v_lshl_add_u64 v[6:7], v[0:1], 0, v[4:5]
	v_add_u32_e32 v4, s0, v164
	v_ashrrev_i32_e32 v5, 31, v4
	v_lshl_add_u64 v[8:9], v[4:5], 4, v[0:1]
	v_add_u32_e32 v4, s10, v4
	v_ashrrev_i32_e32 v5, 31, v4
	;; [unrolled: 3-line block ×40, first 2 shown]
	v_lshl_add_u64 v[194:195], v[4:5], 4, v[0:1]
	v_add_u32_e32 v4, s10, v4
	s_mulk_i32 s2, 0x2b0
	v_ashrrev_i32_e32 v5, 31, v4
	s_movk_i32 s0, 0x2b0
	s_add_i32 s1, s2, 0
	v_lshl_add_u64 v[196:197], v[4:5], 4, v[0:1]
	v_mad_u32_u24 v166, v2, s0, 0
	v_lshl_add_u32 v165, v2, 4, s1
	global_load_dwordx4 v[2:5], v[6:7], off
	s_ashr_i32 s11, s10, 31
	v_lshl_add_u64 v[0:1], s[10:11], 4, v[6:7]
	scratch_store_dwordx2 off, v[6:7], off offset:48 ; 8-byte Folded Spill
	v_cmp_ne_u32_e64 s[2:3], 0, v164
	v_cmp_eq_u32_e64 s[0:1], 0, v164
	s_waitcnt vmcnt(1)
	scratch_store_dwordx4 off, v[2:5], off offset:32 ; 16-byte Folded Spill
	scratch_store_dwordx2 off, v[0:1], off offset:384 ; 8-byte Folded Spill
	global_load_dwordx4 v[0:3], v[0:1], off
	s_waitcnt vmcnt(0)
	scratch_store_dwordx4 off, v[0:3], off offset:16 ; 16-byte Folded Spill
	scratch_store_dwordx2 off, v[8:9], off offset:56 ; 8-byte Folded Spill
	global_load_dwordx4 v[0:3], v[8:9], off
	s_waitcnt vmcnt(0)
	scratch_store_dwordx4 off, v[0:3], off  ; 16-byte Folded Spill
	scratch_store_dwordx2 off, v[10:11], off offset:64 ; 8-byte Folded Spill
	global_load_dwordx4 v[152:155], v[10:11], off
	global_load_dwordx4 v[148:151], v[12:13], off
	;; [unrolled: 1-line block ×27, first 2 shown]
	s_nop 0
	scratch_store_dwordx2 off, v[12:13], off offset:72 ; 8-byte Folded Spill
	scratch_store_dwordx2 off, v[14:15], off offset:80 ; 8-byte Folded Spill
	;; [unrolled: 1-line block ×24, first 2 shown]
	global_load_dwordx4 v[56:59], v[58:59], off
	s_nop 0
	global_load_dwordx4 v[52:55], v[168:169], off
	global_load_dwordx4 v[48:51], v[170:171], off
	;; [unrolled: 1-line block ×11, first 2 shown]
	s_nop 0
	scratch_store_dwordx2 off, v[168:169], off offset:264 ; 8-byte Folded Spill
	scratch_store_dwordx2 off, v[170:171], off offset:272 ; 8-byte Folded Spill
	global_load_dwordx4 v[168:171], v[196:197], off
	s_nop 0
	scratch_store_dwordx2 off, v[172:173], off offset:280 ; 8-byte Folded Spill
	scratch_store_dwordx2 off, v[174:175], off offset:288 ; 8-byte Folded Spill
	;; [unrolled: 1-line block ×13, first 2 shown]
	s_and_saveexec_b64 s[10:11], s[0:1]
	s_cbranch_execz .LBB85_8
; %bb.2:
	scratch_load_dwordx4 v[172:175], off, off offset:32 ; 16-byte Folded Reload
	scratch_load_dwordx4 v[156:159], off, off offset:16 ; 16-byte Folded Reload
	s_waitcnt vmcnt(1)
	ds_write2_b64 v165, v[172:173], v[174:175] offset1:1
	s_waitcnt vmcnt(0)
	ds_write2_b64 v166, v[156:157], v[158:159] offset0:2 offset1:3
	scratch_load_dwordx4 v[156:159], off, off ; 16-byte Folded Reload
	s_waitcnt vmcnt(0)
	ds_write2_b64 v166, v[156:157], v[158:159] offset0:4 offset1:5
	ds_write2_b64 v166, v[152:153], v[154:155] offset0:6 offset1:7
	;; [unrolled: 1-line block ×41, first 2 shown]
	ds_read2_b64 v[172:175], v165 offset1:1
	s_waitcnt lgkmcnt(0)
	v_cmp_neq_f64_e32 vcc, 0, v[172:173]
	v_cmp_neq_f64_e64 s[4:5], 0, v[174:175]
	s_or_b64 s[4:5], vcc, s[4:5]
	s_and_b64 exec, exec, s[4:5]
	s_cbranch_execz .LBB85_8
; %bb.3:
	v_cmp_ngt_f64_e64 s[4:5], |v[172:173]|, |v[174:175]|
                                        ; implicit-def: $vgpr176_vgpr177
	s_and_saveexec_b64 s[12:13], s[4:5]
	s_xor_b64 s[4:5], exec, s[12:13]
                                        ; implicit-def: $vgpr178_vgpr179
	s_cbranch_execz .LBB85_5
; %bb.4:
	v_div_scale_f64 v[176:177], s[12:13], v[174:175], v[174:175], v[172:173]
	v_rcp_f64_e32 v[178:179], v[176:177]
	v_div_scale_f64 v[180:181], vcc, v[172:173], v[174:175], v[172:173]
	v_fma_f64 v[182:183], -v[176:177], v[178:179], 1.0
	v_fmac_f64_e32 v[178:179], v[178:179], v[182:183]
	v_fma_f64 v[182:183], -v[176:177], v[178:179], 1.0
	v_fmac_f64_e32 v[178:179], v[178:179], v[182:183]
	v_mul_f64 v[182:183], v[180:181], v[178:179]
	v_fma_f64 v[176:177], -v[176:177], v[182:183], v[180:181]
	v_div_fmas_f64 v[176:177], v[176:177], v[178:179], v[182:183]
	v_div_fixup_f64 v[176:177], v[176:177], v[174:175], v[172:173]
	v_fmac_f64_e32 v[174:175], v[172:173], v[176:177]
	v_div_scale_f64 v[172:173], s[12:13], v[174:175], v[174:175], 1.0
	v_rcp_f64_e32 v[178:179], v[172:173]
	s_nop 0
	v_fma_f64 v[180:181], -v[172:173], v[178:179], 1.0
	v_fmac_f64_e32 v[178:179], v[178:179], v[180:181]
	v_fma_f64 v[180:181], -v[172:173], v[178:179], 1.0
	v_fmac_f64_e32 v[178:179], v[178:179], v[180:181]
	v_div_scale_f64 v[180:181], vcc, 1.0, v[174:175], 1.0
	v_mul_f64 v[182:183], v[180:181], v[178:179]
	v_fma_f64 v[172:173], -v[172:173], v[182:183], v[180:181]
	s_nop 1
	v_div_fmas_f64 v[172:173], v[172:173], v[178:179], v[182:183]
	v_div_fixup_f64 v[178:179], v[172:173], v[174:175], 1.0
	v_mul_f64 v[176:177], v[176:177], v[178:179]
	v_xor_b32_e32 v179, 0x80000000, v179
                                        ; implicit-def: $vgpr172_vgpr173
.LBB85_5:
	s_andn2_saveexec_b64 s[4:5], s[4:5]
	s_cbranch_execz .LBB85_7
; %bb.6:
	v_div_scale_f64 v[176:177], s[12:13], v[172:173], v[172:173], v[174:175]
	v_rcp_f64_e32 v[178:179], v[176:177]
	v_div_scale_f64 v[180:181], vcc, v[174:175], v[172:173], v[174:175]
	v_fma_f64 v[182:183], -v[176:177], v[178:179], 1.0
	v_fmac_f64_e32 v[178:179], v[178:179], v[182:183]
	v_fma_f64 v[182:183], -v[176:177], v[178:179], 1.0
	v_fmac_f64_e32 v[178:179], v[178:179], v[182:183]
	v_mul_f64 v[182:183], v[180:181], v[178:179]
	v_fma_f64 v[176:177], -v[176:177], v[182:183], v[180:181]
	v_div_fmas_f64 v[176:177], v[176:177], v[178:179], v[182:183]
	v_div_fixup_f64 v[178:179], v[176:177], v[172:173], v[174:175]
	v_fmac_f64_e32 v[172:173], v[174:175], v[178:179]
	v_div_scale_f64 v[174:175], s[12:13], v[172:173], v[172:173], 1.0
	v_rcp_f64_e32 v[176:177], v[174:175]
	s_nop 0
	v_fma_f64 v[180:181], -v[174:175], v[176:177], 1.0
	v_fmac_f64_e32 v[176:177], v[176:177], v[180:181]
	v_fma_f64 v[180:181], -v[174:175], v[176:177], 1.0
	v_fmac_f64_e32 v[176:177], v[176:177], v[180:181]
	v_div_scale_f64 v[180:181], vcc, 1.0, v[172:173], 1.0
	v_mul_f64 v[182:183], v[180:181], v[176:177]
	v_fma_f64 v[174:175], -v[174:175], v[182:183], v[180:181]
	s_nop 1
	v_div_fmas_f64 v[174:175], v[174:175], v[176:177], v[182:183]
	v_div_fixup_f64 v[176:177], v[174:175], v[172:173], 1.0
	v_mul_f64 v[178:179], v[178:179], -v[176:177]
.LBB85_7:
	s_or_b64 exec, exec, s[4:5]
	ds_write2_b64 v165, v[176:177], v[178:179] offset1:1
.LBB85_8:
	s_or_b64 exec, exec, s[10:11]
	s_waitcnt lgkmcnt(0)
	s_barrier
	ds_read2_b64 v[172:175], v165 offset1:1
	s_waitcnt lgkmcnt(0)
	scratch_store_dwordx4 off, v[172:175], off offset:392 ; 16-byte Folded Spill
	s_and_saveexec_b64 s[4:5], s[2:3]
	s_cbranch_execz .LBB85_10
; %bb.9:
	scratch_load_dwordx4 v[178:181], off, off offset:32 ; 16-byte Folded Reload
	scratch_load_dwordx4 v[174:177], off, off offset:392 ; 16-byte Folded Reload
	;; [unrolled: 1-line block ×3, first 2 shown]
	s_waitcnt vmcnt(1)
	v_mul_f64 v[172:173], v[176:177], v[180:181]
	v_mul_f64 v[180:181], v[174:175], v[180:181]
	v_fma_f64 v[172:173], v[174:175], v[178:179], -v[172:173]
	v_fmac_f64_e32 v[180:181], v[176:177], v[178:179]
	ds_read2_b64 v[174:177], v166 offset0:2 offset1:3
	s_waitcnt lgkmcnt(0)
	v_mul_f64 v[178:179], v[176:177], v[180:181]
	v_fma_f64 v[178:179], v[174:175], v[172:173], -v[178:179]
	v_mul_f64 v[174:175], v[174:175], v[180:181]
	v_fmac_f64_e32 v[174:175], v[176:177], v[172:173]
	s_waitcnt vmcnt(0)
	v_add_f64 v[156:157], v[156:157], -v[178:179]
	v_add_f64 v[158:159], v[158:159], -v[174:175]
	scratch_store_dwordx4 off, v[156:159], off offset:16 ; 16-byte Folded Spill
	scratch_load_dwordx4 v[156:159], off, off ; 16-byte Folded Reload
	ds_read2_b64 v[174:177], v166 offset0:4 offset1:5
	s_waitcnt lgkmcnt(0)
	v_mul_f64 v[178:179], v[176:177], v[180:181]
	v_fma_f64 v[178:179], v[174:175], v[172:173], -v[178:179]
	v_mul_f64 v[174:175], v[174:175], v[180:181]
	v_fmac_f64_e32 v[174:175], v[176:177], v[172:173]
	s_waitcnt vmcnt(0)
	v_add_f64 v[158:159], v[158:159], -v[174:175]
	ds_read2_b64 v[174:177], v166 offset0:6 offset1:7
	v_add_f64 v[156:157], v[156:157], -v[178:179]
	scratch_store_dwordx4 off, v[156:159], off ; 16-byte Folded Spill
	s_waitcnt lgkmcnt(0)
	v_mul_f64 v[178:179], v[176:177], v[180:181]
	v_fma_f64 v[178:179], v[174:175], v[172:173], -v[178:179]
	v_mul_f64 v[174:175], v[174:175], v[180:181]
	v_fmac_f64_e32 v[174:175], v[176:177], v[172:173]
	v_add_f64 v[154:155], v[154:155], -v[174:175]
	ds_read2_b64 v[174:177], v166 offset0:8 offset1:9
	v_add_f64 v[152:153], v[152:153], -v[178:179]
	s_waitcnt lgkmcnt(0)
	v_mul_f64 v[178:179], v[176:177], v[180:181]
	v_fma_f64 v[178:179], v[174:175], v[172:173], -v[178:179]
	v_mul_f64 v[174:175], v[174:175], v[180:181]
	v_fmac_f64_e32 v[174:175], v[176:177], v[172:173]
	v_add_f64 v[150:151], v[150:151], -v[174:175]
	ds_read2_b64 v[174:177], v166 offset0:10 offset1:11
	v_add_f64 v[148:149], v[148:149], -v[178:179]
	;; [unrolled: 8-line block ×39, first 2 shown]
	s_waitcnt lgkmcnt(0)
	v_mul_f64 v[178:179], v[176:177], v[180:181]
	v_fma_f64 v[178:179], v[174:175], v[172:173], -v[178:179]
	v_mul_f64 v[174:175], v[174:175], v[180:181]
	v_fmac_f64_e32 v[174:175], v[176:177], v[172:173]
	v_add_f64 v[168:169], v[168:169], -v[178:179]
	v_add_f64 v[170:171], v[170:171], -v[174:175]
	v_mov_b64_e32 v[178:179], v[172:173]
	scratch_store_dwordx4 off, v[178:181], off offset:32 ; 16-byte Folded Spill
.LBB85_10:
	s_or_b64 exec, exec, s[4:5]
	v_cmp_eq_u32_e32 vcc, 1, v164
	s_waitcnt vmcnt(63) expcnt(7) lgkmcnt(15)
	s_barrier
	s_and_saveexec_b64 s[4:5], vcc
	s_cbranch_execz .LBB85_17
; %bb.11:
	scratch_load_dwordx4 v[156:159], off, off offset:16 ; 16-byte Folded Reload
	s_waitcnt vmcnt(0)
	ds_write2_b64 v165, v[156:157], v[158:159] offset1:1
	scratch_load_dwordx4 v[156:159], off, off ; 16-byte Folded Reload
	s_waitcnt vmcnt(0)
	ds_write2_b64 v166, v[156:157], v[158:159] offset0:4 offset1:5
	ds_write2_b64 v166, v[152:153], v[154:155] offset0:6 offset1:7
	;; [unrolled: 1-line block ×41, first 2 shown]
	ds_read2_b64 v[172:175], v165 offset1:1
	s_waitcnt lgkmcnt(0)
	v_cmp_neq_f64_e32 vcc, 0, v[172:173]
	v_cmp_neq_f64_e64 s[2:3], 0, v[174:175]
	s_or_b64 s[2:3], vcc, s[2:3]
	s_and_b64 exec, exec, s[2:3]
	s_cbranch_execz .LBB85_17
; %bb.12:
	v_cmp_ngt_f64_e64 s[2:3], |v[172:173]|, |v[174:175]|
                                        ; implicit-def: $vgpr176_vgpr177
	s_and_saveexec_b64 s[10:11], s[2:3]
	s_xor_b64 s[2:3], exec, s[10:11]
                                        ; implicit-def: $vgpr178_vgpr179
	s_cbranch_execz .LBB85_14
; %bb.13:
	v_div_scale_f64 v[176:177], s[10:11], v[174:175], v[174:175], v[172:173]
	v_rcp_f64_e32 v[178:179], v[176:177]
	v_div_scale_f64 v[180:181], vcc, v[172:173], v[174:175], v[172:173]
	v_fma_f64 v[182:183], -v[176:177], v[178:179], 1.0
	v_fmac_f64_e32 v[178:179], v[178:179], v[182:183]
	v_fma_f64 v[182:183], -v[176:177], v[178:179], 1.0
	v_fmac_f64_e32 v[178:179], v[178:179], v[182:183]
	v_mul_f64 v[182:183], v[180:181], v[178:179]
	v_fma_f64 v[176:177], -v[176:177], v[182:183], v[180:181]
	v_div_fmas_f64 v[176:177], v[176:177], v[178:179], v[182:183]
	v_div_fixup_f64 v[176:177], v[176:177], v[174:175], v[172:173]
	v_fmac_f64_e32 v[174:175], v[172:173], v[176:177]
	v_div_scale_f64 v[172:173], s[10:11], v[174:175], v[174:175], 1.0
	v_rcp_f64_e32 v[178:179], v[172:173]
	s_nop 0
	v_fma_f64 v[180:181], -v[172:173], v[178:179], 1.0
	v_fmac_f64_e32 v[178:179], v[178:179], v[180:181]
	v_fma_f64 v[180:181], -v[172:173], v[178:179], 1.0
	v_fmac_f64_e32 v[178:179], v[178:179], v[180:181]
	v_div_scale_f64 v[180:181], vcc, 1.0, v[174:175], 1.0
	v_mul_f64 v[182:183], v[180:181], v[178:179]
	v_fma_f64 v[172:173], -v[172:173], v[182:183], v[180:181]
	s_nop 1
	v_div_fmas_f64 v[172:173], v[172:173], v[178:179], v[182:183]
	v_div_fixup_f64 v[178:179], v[172:173], v[174:175], 1.0
	v_mul_f64 v[176:177], v[176:177], v[178:179]
	v_xor_b32_e32 v179, 0x80000000, v179
                                        ; implicit-def: $vgpr172_vgpr173
.LBB85_14:
	s_andn2_saveexec_b64 s[2:3], s[2:3]
	s_cbranch_execz .LBB85_16
; %bb.15:
	v_div_scale_f64 v[176:177], s[10:11], v[172:173], v[172:173], v[174:175]
	v_rcp_f64_e32 v[178:179], v[176:177]
	v_div_scale_f64 v[180:181], vcc, v[174:175], v[172:173], v[174:175]
	v_fma_f64 v[182:183], -v[176:177], v[178:179], 1.0
	v_fmac_f64_e32 v[178:179], v[178:179], v[182:183]
	v_fma_f64 v[182:183], -v[176:177], v[178:179], 1.0
	v_fmac_f64_e32 v[178:179], v[178:179], v[182:183]
	v_mul_f64 v[182:183], v[180:181], v[178:179]
	v_fma_f64 v[176:177], -v[176:177], v[182:183], v[180:181]
	v_div_fmas_f64 v[176:177], v[176:177], v[178:179], v[182:183]
	v_div_fixup_f64 v[178:179], v[176:177], v[172:173], v[174:175]
	v_fmac_f64_e32 v[172:173], v[174:175], v[178:179]
	v_div_scale_f64 v[174:175], s[10:11], v[172:173], v[172:173], 1.0
	v_rcp_f64_e32 v[176:177], v[174:175]
	s_nop 0
	v_fma_f64 v[180:181], -v[174:175], v[176:177], 1.0
	v_fmac_f64_e32 v[176:177], v[176:177], v[180:181]
	v_fma_f64 v[180:181], -v[174:175], v[176:177], 1.0
	v_fmac_f64_e32 v[176:177], v[176:177], v[180:181]
	v_div_scale_f64 v[180:181], vcc, 1.0, v[172:173], 1.0
	v_mul_f64 v[182:183], v[180:181], v[176:177]
	v_fma_f64 v[174:175], -v[174:175], v[182:183], v[180:181]
	s_nop 1
	v_div_fmas_f64 v[174:175], v[174:175], v[176:177], v[182:183]
	v_div_fixup_f64 v[176:177], v[174:175], v[172:173], 1.0
	v_mul_f64 v[178:179], v[178:179], -v[176:177]
.LBB85_16:
	s_or_b64 exec, exec, s[2:3]
	ds_write2_b64 v165, v[176:177], v[178:179] offset1:1
.LBB85_17:
	s_or_b64 exec, exec, s[4:5]
	s_waitcnt lgkmcnt(0)
	s_barrier
	ds_read2_b64 v[172:175], v165 offset1:1
	v_cmp_lt_u32_e32 vcc, 1, v164
	s_waitcnt lgkmcnt(0)
	scratch_store_dwordx4 off, v[172:175], off offset:408 ; 16-byte Folded Spill
	s_and_saveexec_b64 s[2:3], vcc
	s_cbranch_execz .LBB85_19
; %bb.18:
	scratch_load_dwordx4 v[174:177], off, off offset:408 ; 16-byte Folded Reload
	scratch_load_dwordx4 v[160:163], off, off offset:16 ; 16-byte Folded Reload
	scratch_load_dwordx4 v[156:159], off, off ; 16-byte Folded Reload
	s_waitcnt vmcnt(1)
	v_mul_f64 v[172:173], v[176:177], v[162:163]
	v_mul_f64 v[162:163], v[174:175], v[162:163]
	v_fma_f64 v[172:173], v[174:175], v[160:161], -v[172:173]
	v_fmac_f64_e32 v[162:163], v[176:177], v[160:161]
	ds_read2_b64 v[174:177], v166 offset0:4 offset1:5
	s_waitcnt lgkmcnt(0)
	v_mul_f64 v[160:161], v[176:177], v[162:163]
	v_fma_f64 v[160:161], v[174:175], v[172:173], -v[160:161]
	v_mul_f64 v[174:175], v[174:175], v[162:163]
	v_fmac_f64_e32 v[174:175], v[176:177], v[172:173]
	s_waitcnt vmcnt(0)
	v_add_f64 v[158:159], v[158:159], -v[174:175]
	ds_read2_b64 v[174:177], v166 offset0:6 offset1:7
	v_add_f64 v[156:157], v[156:157], -v[160:161]
	scratch_store_dwordx4 off, v[156:159], off ; 16-byte Folded Spill
	s_waitcnt lgkmcnt(0)
	v_mul_f64 v[160:161], v[176:177], v[162:163]
	v_fma_f64 v[160:161], v[174:175], v[172:173], -v[160:161]
	v_mul_f64 v[174:175], v[174:175], v[162:163]
	v_fmac_f64_e32 v[174:175], v[176:177], v[172:173]
	v_add_f64 v[154:155], v[154:155], -v[174:175]
	ds_read2_b64 v[174:177], v166 offset0:8 offset1:9
	v_add_f64 v[152:153], v[152:153], -v[160:161]
	s_waitcnt lgkmcnt(0)
	v_mul_f64 v[160:161], v[176:177], v[162:163]
	v_fma_f64 v[160:161], v[174:175], v[172:173], -v[160:161]
	v_mul_f64 v[174:175], v[174:175], v[162:163]
	v_fmac_f64_e32 v[174:175], v[176:177], v[172:173]
	v_add_f64 v[150:151], v[150:151], -v[174:175]
	ds_read2_b64 v[174:177], v166 offset0:10 offset1:11
	v_add_f64 v[148:149], v[148:149], -v[160:161]
	;; [unrolled: 8-line block ×39, first 2 shown]
	s_waitcnt lgkmcnt(0)
	v_mul_f64 v[160:161], v[176:177], v[162:163]
	v_fma_f64 v[160:161], v[174:175], v[172:173], -v[160:161]
	v_mul_f64 v[174:175], v[174:175], v[162:163]
	v_fmac_f64_e32 v[174:175], v[176:177], v[172:173]
	v_add_f64 v[168:169], v[168:169], -v[160:161]
	v_add_f64 v[170:171], v[170:171], -v[174:175]
	v_mov_b64_e32 v[160:161], v[172:173]
	scratch_store_dwordx4 off, v[160:163], off offset:16 ; 16-byte Folded Spill
.LBB85_19:
	s_or_b64 exec, exec, s[2:3]
	v_cmp_eq_u32_e32 vcc, 2, v164
	s_waitcnt vmcnt(63) expcnt(7) lgkmcnt(15)
	s_barrier
	s_and_saveexec_b64 s[4:5], vcc
	s_cbranch_execz .LBB85_26
; %bb.20:
	scratch_load_dwordx4 v[156:159], off, off ; 16-byte Folded Reload
	s_waitcnt vmcnt(0)
	ds_write2_b64 v165, v[156:157], v[158:159] offset1:1
	ds_write2_b64 v166, v[152:153], v[154:155] offset0:6 offset1:7
	ds_write2_b64 v166, v[148:149], v[150:151] offset0:8 offset1:9
	;; [unrolled: 1-line block ×40, first 2 shown]
	ds_read2_b64 v[172:175], v165 offset1:1
	s_waitcnt lgkmcnt(0)
	v_cmp_neq_f64_e32 vcc, 0, v[172:173]
	v_cmp_neq_f64_e64 s[2:3], 0, v[174:175]
	s_or_b64 s[2:3], vcc, s[2:3]
	s_and_b64 exec, exec, s[2:3]
	s_cbranch_execz .LBB85_26
; %bb.21:
	v_cmp_ngt_f64_e64 s[2:3], |v[172:173]|, |v[174:175]|
                                        ; implicit-def: $vgpr176_vgpr177
	s_and_saveexec_b64 s[10:11], s[2:3]
	s_xor_b64 s[2:3], exec, s[10:11]
                                        ; implicit-def: $vgpr178_vgpr179
	s_cbranch_execz .LBB85_23
; %bb.22:
	v_div_scale_f64 v[176:177], s[10:11], v[174:175], v[174:175], v[172:173]
	v_rcp_f64_e32 v[178:179], v[176:177]
	v_div_scale_f64 v[180:181], vcc, v[172:173], v[174:175], v[172:173]
	v_fma_f64 v[182:183], -v[176:177], v[178:179], 1.0
	v_fmac_f64_e32 v[178:179], v[178:179], v[182:183]
	v_fma_f64 v[182:183], -v[176:177], v[178:179], 1.0
	v_fmac_f64_e32 v[178:179], v[178:179], v[182:183]
	v_mul_f64 v[182:183], v[180:181], v[178:179]
	v_fma_f64 v[176:177], -v[176:177], v[182:183], v[180:181]
	v_div_fmas_f64 v[176:177], v[176:177], v[178:179], v[182:183]
	v_div_fixup_f64 v[176:177], v[176:177], v[174:175], v[172:173]
	v_fmac_f64_e32 v[174:175], v[172:173], v[176:177]
	v_div_scale_f64 v[172:173], s[10:11], v[174:175], v[174:175], 1.0
	v_rcp_f64_e32 v[178:179], v[172:173]
	s_nop 0
	v_fma_f64 v[180:181], -v[172:173], v[178:179], 1.0
	v_fmac_f64_e32 v[178:179], v[178:179], v[180:181]
	v_fma_f64 v[180:181], -v[172:173], v[178:179], 1.0
	v_fmac_f64_e32 v[178:179], v[178:179], v[180:181]
	v_div_scale_f64 v[180:181], vcc, 1.0, v[174:175], 1.0
	v_mul_f64 v[182:183], v[180:181], v[178:179]
	v_fma_f64 v[172:173], -v[172:173], v[182:183], v[180:181]
	s_nop 1
	v_div_fmas_f64 v[172:173], v[172:173], v[178:179], v[182:183]
	v_div_fixup_f64 v[178:179], v[172:173], v[174:175], 1.0
	v_mul_f64 v[176:177], v[176:177], v[178:179]
	v_xor_b32_e32 v179, 0x80000000, v179
                                        ; implicit-def: $vgpr172_vgpr173
.LBB85_23:
	s_andn2_saveexec_b64 s[2:3], s[2:3]
	s_cbranch_execz .LBB85_25
; %bb.24:
	v_div_scale_f64 v[176:177], s[10:11], v[172:173], v[172:173], v[174:175]
	v_rcp_f64_e32 v[178:179], v[176:177]
	v_div_scale_f64 v[180:181], vcc, v[174:175], v[172:173], v[174:175]
	v_fma_f64 v[182:183], -v[176:177], v[178:179], 1.0
	v_fmac_f64_e32 v[178:179], v[178:179], v[182:183]
	v_fma_f64 v[182:183], -v[176:177], v[178:179], 1.0
	v_fmac_f64_e32 v[178:179], v[178:179], v[182:183]
	v_mul_f64 v[182:183], v[180:181], v[178:179]
	v_fma_f64 v[176:177], -v[176:177], v[182:183], v[180:181]
	v_div_fmas_f64 v[176:177], v[176:177], v[178:179], v[182:183]
	v_div_fixup_f64 v[178:179], v[176:177], v[172:173], v[174:175]
	v_fmac_f64_e32 v[172:173], v[174:175], v[178:179]
	v_div_scale_f64 v[174:175], s[10:11], v[172:173], v[172:173], 1.0
	v_rcp_f64_e32 v[176:177], v[174:175]
	s_nop 0
	v_fma_f64 v[180:181], -v[174:175], v[176:177], 1.0
	v_fmac_f64_e32 v[176:177], v[176:177], v[180:181]
	v_fma_f64 v[180:181], -v[174:175], v[176:177], 1.0
	v_fmac_f64_e32 v[176:177], v[176:177], v[180:181]
	v_div_scale_f64 v[180:181], vcc, 1.0, v[172:173], 1.0
	v_mul_f64 v[182:183], v[180:181], v[176:177]
	v_fma_f64 v[174:175], -v[174:175], v[182:183], v[180:181]
	s_nop 1
	v_div_fmas_f64 v[174:175], v[174:175], v[176:177], v[182:183]
	v_div_fixup_f64 v[176:177], v[174:175], v[172:173], 1.0
	v_mul_f64 v[178:179], v[178:179], -v[176:177]
.LBB85_25:
	s_or_b64 exec, exec, s[2:3]
	ds_write2_b64 v165, v[176:177], v[178:179] offset1:1
.LBB85_26:
	s_or_b64 exec, exec, s[4:5]
	s_waitcnt lgkmcnt(0)
	s_barrier
	ds_read2_b64 v[172:175], v165 offset1:1
	v_cmp_lt_u32_e32 vcc, 2, v164
	s_waitcnt lgkmcnt(0)
	scratch_store_dwordx4 off, v[172:175], off offset:424 ; 16-byte Folded Spill
	s_and_saveexec_b64 s[2:3], vcc
	s_cbranch_execz .LBB85_28
; %bb.27:
	scratch_load_dwordx4 v[174:177], off, off offset:424 ; 16-byte Folded Reload
	scratch_load_dwordx4 v[156:159], off, off ; 16-byte Folded Reload
	s_waitcnt vmcnt(0)
	v_mul_f64 v[172:173], v[176:177], v[158:159]
	v_mul_f64 v[158:159], v[174:175], v[158:159]
	v_fma_f64 v[172:173], v[174:175], v[156:157], -v[172:173]
	v_fmac_f64_e32 v[158:159], v[176:177], v[156:157]
	ds_read2_b64 v[174:177], v166 offset0:6 offset1:7
	s_waitcnt lgkmcnt(0)
	v_mul_f64 v[156:157], v[176:177], v[158:159]
	v_fma_f64 v[156:157], v[174:175], v[172:173], -v[156:157]
	v_mul_f64 v[174:175], v[174:175], v[158:159]
	v_fmac_f64_e32 v[174:175], v[176:177], v[172:173]
	v_add_f64 v[154:155], v[154:155], -v[174:175]
	ds_read2_b64 v[174:177], v166 offset0:8 offset1:9
	v_add_f64 v[152:153], v[152:153], -v[156:157]
	s_waitcnt lgkmcnt(0)
	v_mul_f64 v[156:157], v[176:177], v[158:159]
	v_fma_f64 v[156:157], v[174:175], v[172:173], -v[156:157]
	v_mul_f64 v[174:175], v[174:175], v[158:159]
	v_fmac_f64_e32 v[174:175], v[176:177], v[172:173]
	v_add_f64 v[150:151], v[150:151], -v[174:175]
	ds_read2_b64 v[174:177], v166 offset0:10 offset1:11
	v_add_f64 v[148:149], v[148:149], -v[156:157]
	;; [unrolled: 8-line block ×39, first 2 shown]
	s_waitcnt lgkmcnt(0)
	v_mul_f64 v[156:157], v[176:177], v[158:159]
	v_fma_f64 v[156:157], v[174:175], v[172:173], -v[156:157]
	v_mul_f64 v[174:175], v[174:175], v[158:159]
	v_fmac_f64_e32 v[174:175], v[176:177], v[172:173]
	v_add_f64 v[168:169], v[168:169], -v[156:157]
	v_add_f64 v[170:171], v[170:171], -v[174:175]
	v_mov_b64_e32 v[156:157], v[172:173]
	scratch_store_dwordx4 off, v[156:159], off ; 16-byte Folded Spill
.LBB85_28:
	s_or_b64 exec, exec, s[2:3]
	v_cmp_eq_u32_e32 vcc, 3, v164
	s_waitcnt vmcnt(63) expcnt(7) lgkmcnt(15)
	s_barrier
	s_and_saveexec_b64 s[4:5], vcc
	s_cbranch_execz .LBB85_35
; %bb.29:
	ds_write2_b64 v165, v[152:153], v[154:155] offset1:1
	ds_write2_b64 v166, v[148:149], v[150:151] offset0:8 offset1:9
	ds_write2_b64 v166, v[144:145], v[146:147] offset0:10 offset1:11
	;; [unrolled: 1-line block ×18, first 2 shown]
	s_waitcnt vmcnt(62)
	ds_write2_b64 v166, v[76:77], v[78:79] offset0:44 offset1:45
	s_waitcnt vmcnt(61)
	ds_write2_b64 v166, v[72:73], v[74:75] offset0:46 offset1:47
	;; [unrolled: 2-line block ×17, first 2 shown]
	ds_write2_b64 v166, v[8:9], v[10:11] offset0:78 offset1:79
	ds_write2_b64 v166, v[4:5], v[6:7] offset0:80 offset1:81
	;; [unrolled: 1-line block ×3, first 2 shown]
	s_waitcnt vmcnt(16)
	ds_write2_b64 v166, v[168:169], v[170:171] offset0:84 offset1:85
	ds_read2_b64 v[172:175], v165 offset1:1
	s_waitcnt lgkmcnt(0)
	v_cmp_neq_f64_e32 vcc, 0, v[172:173]
	v_cmp_neq_f64_e64 s[2:3], 0, v[174:175]
	s_or_b64 s[2:3], vcc, s[2:3]
	s_and_b64 exec, exec, s[2:3]
	s_cbranch_execz .LBB85_35
; %bb.30:
	v_cmp_ngt_f64_e64 s[2:3], |v[172:173]|, |v[174:175]|
                                        ; implicit-def: $vgpr176_vgpr177
	s_and_saveexec_b64 s[10:11], s[2:3]
	s_xor_b64 s[2:3], exec, s[10:11]
                                        ; implicit-def: $vgpr178_vgpr179
	s_cbranch_execz .LBB85_32
; %bb.31:
	v_div_scale_f64 v[176:177], s[10:11], v[174:175], v[174:175], v[172:173]
	v_rcp_f64_e32 v[178:179], v[176:177]
	v_div_scale_f64 v[180:181], vcc, v[172:173], v[174:175], v[172:173]
	v_fma_f64 v[182:183], -v[176:177], v[178:179], 1.0
	v_fmac_f64_e32 v[178:179], v[178:179], v[182:183]
	v_fma_f64 v[182:183], -v[176:177], v[178:179], 1.0
	v_fmac_f64_e32 v[178:179], v[178:179], v[182:183]
	v_mul_f64 v[182:183], v[180:181], v[178:179]
	v_fma_f64 v[176:177], -v[176:177], v[182:183], v[180:181]
	v_div_fmas_f64 v[176:177], v[176:177], v[178:179], v[182:183]
	v_div_fixup_f64 v[176:177], v[176:177], v[174:175], v[172:173]
	v_fmac_f64_e32 v[174:175], v[172:173], v[176:177]
	v_div_scale_f64 v[172:173], s[10:11], v[174:175], v[174:175], 1.0
	v_rcp_f64_e32 v[178:179], v[172:173]
	s_nop 0
	v_fma_f64 v[180:181], -v[172:173], v[178:179], 1.0
	v_fmac_f64_e32 v[178:179], v[178:179], v[180:181]
	v_fma_f64 v[180:181], -v[172:173], v[178:179], 1.0
	v_fmac_f64_e32 v[178:179], v[178:179], v[180:181]
	v_div_scale_f64 v[180:181], vcc, 1.0, v[174:175], 1.0
	v_mul_f64 v[182:183], v[180:181], v[178:179]
	v_fma_f64 v[172:173], -v[172:173], v[182:183], v[180:181]
	s_nop 1
	v_div_fmas_f64 v[172:173], v[172:173], v[178:179], v[182:183]
	v_div_fixup_f64 v[178:179], v[172:173], v[174:175], 1.0
	v_mul_f64 v[176:177], v[176:177], v[178:179]
	v_xor_b32_e32 v179, 0x80000000, v179
                                        ; implicit-def: $vgpr172_vgpr173
.LBB85_32:
	s_andn2_saveexec_b64 s[2:3], s[2:3]
	s_cbranch_execz .LBB85_34
; %bb.33:
	v_div_scale_f64 v[176:177], s[10:11], v[172:173], v[172:173], v[174:175]
	v_rcp_f64_e32 v[178:179], v[176:177]
	v_div_scale_f64 v[180:181], vcc, v[174:175], v[172:173], v[174:175]
	v_fma_f64 v[182:183], -v[176:177], v[178:179], 1.0
	v_fmac_f64_e32 v[178:179], v[178:179], v[182:183]
	v_fma_f64 v[182:183], -v[176:177], v[178:179], 1.0
	v_fmac_f64_e32 v[178:179], v[178:179], v[182:183]
	v_mul_f64 v[182:183], v[180:181], v[178:179]
	v_fma_f64 v[176:177], -v[176:177], v[182:183], v[180:181]
	v_div_fmas_f64 v[176:177], v[176:177], v[178:179], v[182:183]
	v_div_fixup_f64 v[178:179], v[176:177], v[172:173], v[174:175]
	v_fmac_f64_e32 v[172:173], v[174:175], v[178:179]
	v_div_scale_f64 v[174:175], s[10:11], v[172:173], v[172:173], 1.0
	v_rcp_f64_e32 v[176:177], v[174:175]
	s_nop 0
	v_fma_f64 v[180:181], -v[174:175], v[176:177], 1.0
	v_fmac_f64_e32 v[176:177], v[176:177], v[180:181]
	v_fma_f64 v[180:181], -v[174:175], v[176:177], 1.0
	v_fmac_f64_e32 v[176:177], v[176:177], v[180:181]
	v_div_scale_f64 v[180:181], vcc, 1.0, v[172:173], 1.0
	v_mul_f64 v[182:183], v[180:181], v[176:177]
	v_fma_f64 v[174:175], -v[174:175], v[182:183], v[180:181]
	s_nop 1
	v_div_fmas_f64 v[174:175], v[174:175], v[176:177], v[182:183]
	v_div_fixup_f64 v[176:177], v[174:175], v[172:173], 1.0
	v_mul_f64 v[178:179], v[178:179], -v[176:177]
.LBB85_34:
	s_or_b64 exec, exec, s[2:3]
	ds_write2_b64 v165, v[176:177], v[178:179] offset1:1
.LBB85_35:
	s_or_b64 exec, exec, s[4:5]
	s_waitcnt lgkmcnt(0)
	s_barrier
	ds_read2_b64 v[172:175], v165 offset1:1
	v_cmp_lt_u32_e32 vcc, 3, v164
	s_waitcnt lgkmcnt(0)
	scratch_store_dwordx4 off, v[172:175], off offset:440 ; 16-byte Folded Spill
	s_and_saveexec_b64 s[2:3], vcc
	s_cbranch_execz .LBB85_37
; %bb.36:
	scratch_load_dwordx4 v[174:177], off, off offset:440 ; 16-byte Folded Reload
	s_waitcnt vmcnt(0)
	v_mul_f64 v[172:173], v[176:177], v[154:155]
	v_mul_f64 v[154:155], v[174:175], v[154:155]
	v_fma_f64 v[172:173], v[174:175], v[152:153], -v[172:173]
	v_fmac_f64_e32 v[154:155], v[176:177], v[152:153]
	ds_read2_b64 v[174:177], v166 offset0:8 offset1:9
	s_waitcnt lgkmcnt(0)
	v_mul_f64 v[152:153], v[176:177], v[154:155]
	v_fma_f64 v[152:153], v[174:175], v[172:173], -v[152:153]
	v_mul_f64 v[174:175], v[174:175], v[154:155]
	v_fmac_f64_e32 v[174:175], v[176:177], v[172:173]
	v_add_f64 v[150:151], v[150:151], -v[174:175]
	ds_read2_b64 v[174:177], v166 offset0:10 offset1:11
	v_add_f64 v[148:149], v[148:149], -v[152:153]
	s_waitcnt lgkmcnt(0)
	v_mul_f64 v[152:153], v[176:177], v[154:155]
	v_fma_f64 v[152:153], v[174:175], v[172:173], -v[152:153]
	v_mul_f64 v[174:175], v[174:175], v[154:155]
	v_fmac_f64_e32 v[174:175], v[176:177], v[172:173]
	v_add_f64 v[146:147], v[146:147], -v[174:175]
	ds_read2_b64 v[174:177], v166 offset0:12 offset1:13
	v_add_f64 v[144:145], v[144:145], -v[152:153]
	;; [unrolled: 8-line block ×38, first 2 shown]
	s_waitcnt lgkmcnt(0)
	v_mul_f64 v[152:153], v[176:177], v[154:155]
	v_fma_f64 v[152:153], v[174:175], v[172:173], -v[152:153]
	v_mul_f64 v[174:175], v[174:175], v[154:155]
	v_fmac_f64_e32 v[174:175], v[176:177], v[172:173]
	v_add_f64 v[168:169], v[168:169], -v[152:153]
	v_add_f64 v[170:171], v[170:171], -v[174:175]
	v_mov_b64_e32 v[152:153], v[172:173]
.LBB85_37:
	s_or_b64 exec, exec, s[2:3]
	v_cmp_eq_u32_e32 vcc, 4, v164
	s_waitcnt vmcnt(63) expcnt(7) lgkmcnt(15)
	s_barrier
	s_and_saveexec_b64 s[4:5], vcc
	s_cbranch_execz .LBB85_44
; %bb.38:
	ds_write2_b64 v165, v[148:149], v[150:151] offset1:1
	ds_write2_b64 v166, v[144:145], v[146:147] offset0:10 offset1:11
	ds_write2_b64 v166, v[140:141], v[142:143] offset0:12 offset1:13
	;; [unrolled: 1-line block ×18, first 2 shown]
	s_waitcnt vmcnt(62)
	ds_write2_b64 v166, v[72:73], v[74:75] offset0:46 offset1:47
	s_waitcnt vmcnt(61)
	ds_write2_b64 v166, v[68:69], v[70:71] offset0:48 offset1:49
	;; [unrolled: 2-line block ×16, first 2 shown]
	ds_write2_b64 v166, v[8:9], v[10:11] offset0:78 offset1:79
	ds_write2_b64 v166, v[4:5], v[6:7] offset0:80 offset1:81
	;; [unrolled: 1-line block ×3, first 2 shown]
	s_waitcnt vmcnt(17)
	ds_write2_b64 v166, v[168:169], v[170:171] offset0:84 offset1:85
	ds_read2_b64 v[172:175], v165 offset1:1
	s_waitcnt lgkmcnt(0)
	v_cmp_neq_f64_e32 vcc, 0, v[172:173]
	v_cmp_neq_f64_e64 s[2:3], 0, v[174:175]
	s_or_b64 s[2:3], vcc, s[2:3]
	s_and_b64 exec, exec, s[2:3]
	s_cbranch_execz .LBB85_44
; %bb.39:
	v_cmp_ngt_f64_e64 s[2:3], |v[172:173]|, |v[174:175]|
                                        ; implicit-def: $vgpr176_vgpr177
	s_and_saveexec_b64 s[10:11], s[2:3]
	s_xor_b64 s[2:3], exec, s[10:11]
                                        ; implicit-def: $vgpr178_vgpr179
	s_cbranch_execz .LBB85_41
; %bb.40:
	v_div_scale_f64 v[176:177], s[10:11], v[174:175], v[174:175], v[172:173]
	v_rcp_f64_e32 v[178:179], v[176:177]
	v_div_scale_f64 v[180:181], vcc, v[172:173], v[174:175], v[172:173]
	v_fma_f64 v[182:183], -v[176:177], v[178:179], 1.0
	v_fmac_f64_e32 v[178:179], v[178:179], v[182:183]
	v_fma_f64 v[182:183], -v[176:177], v[178:179], 1.0
	v_fmac_f64_e32 v[178:179], v[178:179], v[182:183]
	v_mul_f64 v[182:183], v[180:181], v[178:179]
	v_fma_f64 v[176:177], -v[176:177], v[182:183], v[180:181]
	v_div_fmas_f64 v[176:177], v[176:177], v[178:179], v[182:183]
	v_div_fixup_f64 v[176:177], v[176:177], v[174:175], v[172:173]
	v_fmac_f64_e32 v[174:175], v[172:173], v[176:177]
	v_div_scale_f64 v[172:173], s[10:11], v[174:175], v[174:175], 1.0
	v_rcp_f64_e32 v[178:179], v[172:173]
	s_nop 0
	v_fma_f64 v[180:181], -v[172:173], v[178:179], 1.0
	v_fmac_f64_e32 v[178:179], v[178:179], v[180:181]
	v_fma_f64 v[180:181], -v[172:173], v[178:179], 1.0
	v_fmac_f64_e32 v[178:179], v[178:179], v[180:181]
	v_div_scale_f64 v[180:181], vcc, 1.0, v[174:175], 1.0
	v_mul_f64 v[182:183], v[180:181], v[178:179]
	v_fma_f64 v[172:173], -v[172:173], v[182:183], v[180:181]
	s_nop 1
	v_div_fmas_f64 v[172:173], v[172:173], v[178:179], v[182:183]
	v_div_fixup_f64 v[178:179], v[172:173], v[174:175], 1.0
	v_mul_f64 v[176:177], v[176:177], v[178:179]
	v_xor_b32_e32 v179, 0x80000000, v179
                                        ; implicit-def: $vgpr172_vgpr173
.LBB85_41:
	s_andn2_saveexec_b64 s[2:3], s[2:3]
	s_cbranch_execz .LBB85_43
; %bb.42:
	v_div_scale_f64 v[176:177], s[10:11], v[172:173], v[172:173], v[174:175]
	v_rcp_f64_e32 v[178:179], v[176:177]
	v_div_scale_f64 v[180:181], vcc, v[174:175], v[172:173], v[174:175]
	v_fma_f64 v[182:183], -v[176:177], v[178:179], 1.0
	v_fmac_f64_e32 v[178:179], v[178:179], v[182:183]
	v_fma_f64 v[182:183], -v[176:177], v[178:179], 1.0
	v_fmac_f64_e32 v[178:179], v[178:179], v[182:183]
	v_mul_f64 v[182:183], v[180:181], v[178:179]
	v_fma_f64 v[176:177], -v[176:177], v[182:183], v[180:181]
	v_div_fmas_f64 v[176:177], v[176:177], v[178:179], v[182:183]
	v_div_fixup_f64 v[178:179], v[176:177], v[172:173], v[174:175]
	v_fmac_f64_e32 v[172:173], v[174:175], v[178:179]
	v_div_scale_f64 v[174:175], s[10:11], v[172:173], v[172:173], 1.0
	v_rcp_f64_e32 v[176:177], v[174:175]
	s_nop 0
	v_fma_f64 v[180:181], -v[174:175], v[176:177], 1.0
	v_fmac_f64_e32 v[176:177], v[176:177], v[180:181]
	v_fma_f64 v[180:181], -v[174:175], v[176:177], 1.0
	v_fmac_f64_e32 v[176:177], v[176:177], v[180:181]
	v_div_scale_f64 v[180:181], vcc, 1.0, v[172:173], 1.0
	v_mul_f64 v[182:183], v[180:181], v[176:177]
	v_fma_f64 v[174:175], -v[174:175], v[182:183], v[180:181]
	s_nop 1
	v_div_fmas_f64 v[174:175], v[174:175], v[176:177], v[182:183]
	v_div_fixup_f64 v[176:177], v[174:175], v[172:173], 1.0
	v_mul_f64 v[178:179], v[178:179], -v[176:177]
.LBB85_43:
	s_or_b64 exec, exec, s[2:3]
	ds_write2_b64 v165, v[176:177], v[178:179] offset1:1
.LBB85_44:
	s_or_b64 exec, exec, s[4:5]
	s_waitcnt lgkmcnt(0)
	s_barrier
	ds_read2_b64 v[172:175], v165 offset1:1
	v_cmp_lt_u32_e32 vcc, 4, v164
	s_waitcnt lgkmcnt(0)
	scratch_store_dwordx4 off, v[172:175], off offset:456 ; 16-byte Folded Spill
	s_and_saveexec_b64 s[2:3], vcc
	s_cbranch_execz .LBB85_46
; %bb.45:
	scratch_load_dwordx4 v[174:177], off, off offset:456 ; 16-byte Folded Reload
	s_waitcnt vmcnt(0)
	v_mul_f64 v[172:173], v[176:177], v[150:151]
	v_mul_f64 v[150:151], v[174:175], v[150:151]
	v_fma_f64 v[172:173], v[174:175], v[148:149], -v[172:173]
	v_fmac_f64_e32 v[150:151], v[176:177], v[148:149]
	ds_read2_b64 v[174:177], v166 offset0:10 offset1:11
	s_waitcnt lgkmcnt(0)
	v_mul_f64 v[148:149], v[176:177], v[150:151]
	v_fma_f64 v[148:149], v[174:175], v[172:173], -v[148:149]
	v_mul_f64 v[174:175], v[174:175], v[150:151]
	v_fmac_f64_e32 v[174:175], v[176:177], v[172:173]
	v_add_f64 v[146:147], v[146:147], -v[174:175]
	ds_read2_b64 v[174:177], v166 offset0:12 offset1:13
	v_add_f64 v[144:145], v[144:145], -v[148:149]
	s_waitcnt lgkmcnt(0)
	v_mul_f64 v[148:149], v[176:177], v[150:151]
	v_fma_f64 v[148:149], v[174:175], v[172:173], -v[148:149]
	v_mul_f64 v[174:175], v[174:175], v[150:151]
	v_fmac_f64_e32 v[174:175], v[176:177], v[172:173]
	v_add_f64 v[142:143], v[142:143], -v[174:175]
	ds_read2_b64 v[174:177], v166 offset0:14 offset1:15
	v_add_f64 v[140:141], v[140:141], -v[148:149]
	;; [unrolled: 8-line block ×37, first 2 shown]
	s_waitcnt lgkmcnt(0)
	v_mul_f64 v[148:149], v[176:177], v[150:151]
	v_fma_f64 v[148:149], v[174:175], v[172:173], -v[148:149]
	v_mul_f64 v[174:175], v[174:175], v[150:151]
	v_fmac_f64_e32 v[174:175], v[176:177], v[172:173]
	v_add_f64 v[168:169], v[168:169], -v[148:149]
	v_add_f64 v[170:171], v[170:171], -v[174:175]
	v_mov_b64_e32 v[148:149], v[172:173]
.LBB85_46:
	s_or_b64 exec, exec, s[2:3]
	v_cmp_eq_u32_e32 vcc, 5, v164
	s_waitcnt vmcnt(63) expcnt(7) lgkmcnt(15)
	s_barrier
	s_and_saveexec_b64 s[4:5], vcc
	s_cbranch_execz .LBB85_53
; %bb.47:
	ds_write2_b64 v165, v[144:145], v[146:147] offset1:1
	ds_write2_b64 v166, v[140:141], v[142:143] offset0:12 offset1:13
	ds_write2_b64 v166, v[136:137], v[138:139] offset0:14 offset1:15
	;; [unrolled: 1-line block ×18, first 2 shown]
	s_waitcnt vmcnt(62)
	ds_write2_b64 v166, v[68:69], v[70:71] offset0:48 offset1:49
	s_waitcnt vmcnt(61)
	ds_write2_b64 v166, v[64:65], v[66:67] offset0:50 offset1:51
	;; [unrolled: 2-line block ×15, first 2 shown]
	ds_write2_b64 v166, v[8:9], v[10:11] offset0:78 offset1:79
	ds_write2_b64 v166, v[4:5], v[6:7] offset0:80 offset1:81
	;; [unrolled: 1-line block ×3, first 2 shown]
	s_waitcnt vmcnt(18)
	ds_write2_b64 v166, v[168:169], v[170:171] offset0:84 offset1:85
	ds_read2_b64 v[172:175], v165 offset1:1
	s_waitcnt lgkmcnt(0)
	v_cmp_neq_f64_e32 vcc, 0, v[172:173]
	v_cmp_neq_f64_e64 s[2:3], 0, v[174:175]
	s_or_b64 s[2:3], vcc, s[2:3]
	s_and_b64 exec, exec, s[2:3]
	s_cbranch_execz .LBB85_53
; %bb.48:
	v_cmp_ngt_f64_e64 s[2:3], |v[172:173]|, |v[174:175]|
                                        ; implicit-def: $vgpr176_vgpr177
	s_and_saveexec_b64 s[10:11], s[2:3]
	s_xor_b64 s[2:3], exec, s[10:11]
                                        ; implicit-def: $vgpr178_vgpr179
	s_cbranch_execz .LBB85_50
; %bb.49:
	v_div_scale_f64 v[176:177], s[10:11], v[174:175], v[174:175], v[172:173]
	v_rcp_f64_e32 v[178:179], v[176:177]
	v_div_scale_f64 v[180:181], vcc, v[172:173], v[174:175], v[172:173]
	v_fma_f64 v[182:183], -v[176:177], v[178:179], 1.0
	v_fmac_f64_e32 v[178:179], v[178:179], v[182:183]
	v_fma_f64 v[182:183], -v[176:177], v[178:179], 1.0
	v_fmac_f64_e32 v[178:179], v[178:179], v[182:183]
	v_mul_f64 v[182:183], v[180:181], v[178:179]
	v_fma_f64 v[176:177], -v[176:177], v[182:183], v[180:181]
	v_div_fmas_f64 v[176:177], v[176:177], v[178:179], v[182:183]
	v_div_fixup_f64 v[176:177], v[176:177], v[174:175], v[172:173]
	v_fmac_f64_e32 v[174:175], v[172:173], v[176:177]
	v_div_scale_f64 v[172:173], s[10:11], v[174:175], v[174:175], 1.0
	v_rcp_f64_e32 v[178:179], v[172:173]
	s_nop 0
	v_fma_f64 v[180:181], -v[172:173], v[178:179], 1.0
	v_fmac_f64_e32 v[178:179], v[178:179], v[180:181]
	v_fma_f64 v[180:181], -v[172:173], v[178:179], 1.0
	v_fmac_f64_e32 v[178:179], v[178:179], v[180:181]
	v_div_scale_f64 v[180:181], vcc, 1.0, v[174:175], 1.0
	v_mul_f64 v[182:183], v[180:181], v[178:179]
	v_fma_f64 v[172:173], -v[172:173], v[182:183], v[180:181]
	s_nop 1
	v_div_fmas_f64 v[172:173], v[172:173], v[178:179], v[182:183]
	v_div_fixup_f64 v[178:179], v[172:173], v[174:175], 1.0
	v_mul_f64 v[176:177], v[176:177], v[178:179]
	v_xor_b32_e32 v179, 0x80000000, v179
                                        ; implicit-def: $vgpr172_vgpr173
.LBB85_50:
	s_andn2_saveexec_b64 s[2:3], s[2:3]
	s_cbranch_execz .LBB85_52
; %bb.51:
	v_div_scale_f64 v[176:177], s[10:11], v[172:173], v[172:173], v[174:175]
	v_rcp_f64_e32 v[178:179], v[176:177]
	v_div_scale_f64 v[180:181], vcc, v[174:175], v[172:173], v[174:175]
	v_fma_f64 v[182:183], -v[176:177], v[178:179], 1.0
	v_fmac_f64_e32 v[178:179], v[178:179], v[182:183]
	v_fma_f64 v[182:183], -v[176:177], v[178:179], 1.0
	v_fmac_f64_e32 v[178:179], v[178:179], v[182:183]
	v_mul_f64 v[182:183], v[180:181], v[178:179]
	v_fma_f64 v[176:177], -v[176:177], v[182:183], v[180:181]
	v_div_fmas_f64 v[176:177], v[176:177], v[178:179], v[182:183]
	v_div_fixup_f64 v[178:179], v[176:177], v[172:173], v[174:175]
	v_fmac_f64_e32 v[172:173], v[174:175], v[178:179]
	v_div_scale_f64 v[174:175], s[10:11], v[172:173], v[172:173], 1.0
	v_rcp_f64_e32 v[176:177], v[174:175]
	s_nop 0
	v_fma_f64 v[180:181], -v[174:175], v[176:177], 1.0
	v_fmac_f64_e32 v[176:177], v[176:177], v[180:181]
	v_fma_f64 v[180:181], -v[174:175], v[176:177], 1.0
	v_fmac_f64_e32 v[176:177], v[176:177], v[180:181]
	v_div_scale_f64 v[180:181], vcc, 1.0, v[172:173], 1.0
	v_mul_f64 v[182:183], v[180:181], v[176:177]
	v_fma_f64 v[174:175], -v[174:175], v[182:183], v[180:181]
	s_nop 1
	v_div_fmas_f64 v[174:175], v[174:175], v[176:177], v[182:183]
	v_div_fixup_f64 v[176:177], v[174:175], v[172:173], 1.0
	v_mul_f64 v[178:179], v[178:179], -v[176:177]
.LBB85_52:
	s_or_b64 exec, exec, s[2:3]
	ds_write2_b64 v165, v[176:177], v[178:179] offset1:1
.LBB85_53:
	s_or_b64 exec, exec, s[4:5]
	s_waitcnt lgkmcnt(0)
	s_barrier
	ds_read2_b64 v[172:175], v165 offset1:1
	v_cmp_lt_u32_e32 vcc, 5, v164
	s_waitcnt lgkmcnt(0)
	scratch_store_dwordx4 off, v[172:175], off offset:472 ; 16-byte Folded Spill
	s_and_saveexec_b64 s[2:3], vcc
	s_cbranch_execz .LBB85_55
; %bb.54:
	scratch_load_dwordx4 v[174:177], off, off offset:472 ; 16-byte Folded Reload
	s_waitcnt vmcnt(0)
	v_mul_f64 v[172:173], v[176:177], v[146:147]
	v_mul_f64 v[146:147], v[174:175], v[146:147]
	v_fma_f64 v[172:173], v[174:175], v[144:145], -v[172:173]
	v_fmac_f64_e32 v[146:147], v[176:177], v[144:145]
	ds_read2_b64 v[174:177], v166 offset0:12 offset1:13
	s_waitcnt lgkmcnt(0)
	v_mul_f64 v[144:145], v[176:177], v[146:147]
	v_fma_f64 v[144:145], v[174:175], v[172:173], -v[144:145]
	v_mul_f64 v[174:175], v[174:175], v[146:147]
	v_fmac_f64_e32 v[174:175], v[176:177], v[172:173]
	v_add_f64 v[142:143], v[142:143], -v[174:175]
	ds_read2_b64 v[174:177], v166 offset0:14 offset1:15
	v_add_f64 v[140:141], v[140:141], -v[144:145]
	s_waitcnt lgkmcnt(0)
	v_mul_f64 v[144:145], v[176:177], v[146:147]
	v_fma_f64 v[144:145], v[174:175], v[172:173], -v[144:145]
	v_mul_f64 v[174:175], v[174:175], v[146:147]
	v_fmac_f64_e32 v[174:175], v[176:177], v[172:173]
	v_add_f64 v[138:139], v[138:139], -v[174:175]
	ds_read2_b64 v[174:177], v166 offset0:16 offset1:17
	v_add_f64 v[136:137], v[136:137], -v[144:145]
	;; [unrolled: 8-line block ×36, first 2 shown]
	s_waitcnt lgkmcnt(0)
	v_mul_f64 v[144:145], v[176:177], v[146:147]
	v_fma_f64 v[144:145], v[174:175], v[172:173], -v[144:145]
	v_mul_f64 v[174:175], v[174:175], v[146:147]
	v_fmac_f64_e32 v[174:175], v[176:177], v[172:173]
	v_add_f64 v[168:169], v[168:169], -v[144:145]
	v_add_f64 v[170:171], v[170:171], -v[174:175]
	v_mov_b64_e32 v[144:145], v[172:173]
.LBB85_55:
	s_or_b64 exec, exec, s[2:3]
	v_cmp_eq_u32_e32 vcc, 6, v164
	s_waitcnt vmcnt(63) expcnt(7) lgkmcnt(15)
	s_barrier
	s_and_saveexec_b64 s[4:5], vcc
	s_cbranch_execz .LBB85_62
; %bb.56:
	ds_write2_b64 v165, v[140:141], v[142:143] offset1:1
	ds_write2_b64 v166, v[136:137], v[138:139] offset0:14 offset1:15
	ds_write2_b64 v166, v[132:133], v[134:135] offset0:16 offset1:17
	;; [unrolled: 1-line block ×18, first 2 shown]
	s_waitcnt vmcnt(62)
	ds_write2_b64 v166, v[64:65], v[66:67] offset0:50 offset1:51
	s_waitcnt vmcnt(61)
	ds_write2_b64 v166, v[60:61], v[62:63] offset0:52 offset1:53
	;; [unrolled: 2-line block ×14, first 2 shown]
	ds_write2_b64 v166, v[8:9], v[10:11] offset0:78 offset1:79
	ds_write2_b64 v166, v[4:5], v[6:7] offset0:80 offset1:81
	;; [unrolled: 1-line block ×3, first 2 shown]
	s_waitcnt vmcnt(19)
	ds_write2_b64 v166, v[168:169], v[170:171] offset0:84 offset1:85
	ds_read2_b64 v[172:175], v165 offset1:1
	s_waitcnt lgkmcnt(0)
	v_cmp_neq_f64_e32 vcc, 0, v[172:173]
	v_cmp_neq_f64_e64 s[2:3], 0, v[174:175]
	s_or_b64 s[2:3], vcc, s[2:3]
	s_and_b64 exec, exec, s[2:3]
	s_cbranch_execz .LBB85_62
; %bb.57:
	v_cmp_ngt_f64_e64 s[2:3], |v[172:173]|, |v[174:175]|
                                        ; implicit-def: $vgpr176_vgpr177
	s_and_saveexec_b64 s[10:11], s[2:3]
	s_xor_b64 s[2:3], exec, s[10:11]
                                        ; implicit-def: $vgpr178_vgpr179
	s_cbranch_execz .LBB85_59
; %bb.58:
	v_div_scale_f64 v[176:177], s[10:11], v[174:175], v[174:175], v[172:173]
	v_rcp_f64_e32 v[178:179], v[176:177]
	v_div_scale_f64 v[180:181], vcc, v[172:173], v[174:175], v[172:173]
	v_fma_f64 v[182:183], -v[176:177], v[178:179], 1.0
	v_fmac_f64_e32 v[178:179], v[178:179], v[182:183]
	v_fma_f64 v[182:183], -v[176:177], v[178:179], 1.0
	v_fmac_f64_e32 v[178:179], v[178:179], v[182:183]
	v_mul_f64 v[182:183], v[180:181], v[178:179]
	v_fma_f64 v[176:177], -v[176:177], v[182:183], v[180:181]
	v_div_fmas_f64 v[176:177], v[176:177], v[178:179], v[182:183]
	v_div_fixup_f64 v[176:177], v[176:177], v[174:175], v[172:173]
	v_fmac_f64_e32 v[174:175], v[172:173], v[176:177]
	v_div_scale_f64 v[172:173], s[10:11], v[174:175], v[174:175], 1.0
	v_rcp_f64_e32 v[178:179], v[172:173]
	s_nop 0
	v_fma_f64 v[180:181], -v[172:173], v[178:179], 1.0
	v_fmac_f64_e32 v[178:179], v[178:179], v[180:181]
	v_fma_f64 v[180:181], -v[172:173], v[178:179], 1.0
	v_fmac_f64_e32 v[178:179], v[178:179], v[180:181]
	v_div_scale_f64 v[180:181], vcc, 1.0, v[174:175], 1.0
	v_mul_f64 v[182:183], v[180:181], v[178:179]
	v_fma_f64 v[172:173], -v[172:173], v[182:183], v[180:181]
	s_nop 1
	v_div_fmas_f64 v[172:173], v[172:173], v[178:179], v[182:183]
	v_div_fixup_f64 v[178:179], v[172:173], v[174:175], 1.0
	v_mul_f64 v[176:177], v[176:177], v[178:179]
	v_xor_b32_e32 v179, 0x80000000, v179
                                        ; implicit-def: $vgpr172_vgpr173
.LBB85_59:
	s_andn2_saveexec_b64 s[2:3], s[2:3]
	s_cbranch_execz .LBB85_61
; %bb.60:
	v_div_scale_f64 v[176:177], s[10:11], v[172:173], v[172:173], v[174:175]
	v_rcp_f64_e32 v[178:179], v[176:177]
	v_div_scale_f64 v[180:181], vcc, v[174:175], v[172:173], v[174:175]
	v_fma_f64 v[182:183], -v[176:177], v[178:179], 1.0
	v_fmac_f64_e32 v[178:179], v[178:179], v[182:183]
	v_fma_f64 v[182:183], -v[176:177], v[178:179], 1.0
	v_fmac_f64_e32 v[178:179], v[178:179], v[182:183]
	v_mul_f64 v[182:183], v[180:181], v[178:179]
	v_fma_f64 v[176:177], -v[176:177], v[182:183], v[180:181]
	v_div_fmas_f64 v[176:177], v[176:177], v[178:179], v[182:183]
	v_div_fixup_f64 v[178:179], v[176:177], v[172:173], v[174:175]
	v_fmac_f64_e32 v[172:173], v[174:175], v[178:179]
	v_div_scale_f64 v[174:175], s[10:11], v[172:173], v[172:173], 1.0
	v_rcp_f64_e32 v[176:177], v[174:175]
	s_nop 0
	v_fma_f64 v[180:181], -v[174:175], v[176:177], 1.0
	v_fmac_f64_e32 v[176:177], v[176:177], v[180:181]
	v_fma_f64 v[180:181], -v[174:175], v[176:177], 1.0
	v_fmac_f64_e32 v[176:177], v[176:177], v[180:181]
	v_div_scale_f64 v[180:181], vcc, 1.0, v[172:173], 1.0
	v_mul_f64 v[182:183], v[180:181], v[176:177]
	v_fma_f64 v[174:175], -v[174:175], v[182:183], v[180:181]
	s_nop 1
	v_div_fmas_f64 v[174:175], v[174:175], v[176:177], v[182:183]
	v_div_fixup_f64 v[176:177], v[174:175], v[172:173], 1.0
	v_mul_f64 v[178:179], v[178:179], -v[176:177]
.LBB85_61:
	s_or_b64 exec, exec, s[2:3]
	ds_write2_b64 v165, v[176:177], v[178:179] offset1:1
.LBB85_62:
	s_or_b64 exec, exec, s[4:5]
	s_waitcnt lgkmcnt(0)
	s_barrier
	ds_read2_b64 v[172:175], v165 offset1:1
	v_cmp_lt_u32_e32 vcc, 6, v164
	s_waitcnt lgkmcnt(0)
	scratch_store_dwordx4 off, v[172:175], off offset:488 ; 16-byte Folded Spill
	s_and_saveexec_b64 s[2:3], vcc
	s_cbranch_execz .LBB85_64
; %bb.63:
	scratch_load_dwordx4 v[174:177], off, off offset:488 ; 16-byte Folded Reload
	s_waitcnt vmcnt(0)
	v_mul_f64 v[172:173], v[176:177], v[142:143]
	v_mul_f64 v[142:143], v[174:175], v[142:143]
	v_fma_f64 v[172:173], v[174:175], v[140:141], -v[172:173]
	v_fmac_f64_e32 v[142:143], v[176:177], v[140:141]
	ds_read2_b64 v[174:177], v166 offset0:14 offset1:15
	s_waitcnt lgkmcnt(0)
	v_mul_f64 v[140:141], v[176:177], v[142:143]
	v_fma_f64 v[140:141], v[174:175], v[172:173], -v[140:141]
	v_mul_f64 v[174:175], v[174:175], v[142:143]
	v_fmac_f64_e32 v[174:175], v[176:177], v[172:173]
	v_add_f64 v[138:139], v[138:139], -v[174:175]
	ds_read2_b64 v[174:177], v166 offset0:16 offset1:17
	v_add_f64 v[136:137], v[136:137], -v[140:141]
	s_waitcnt lgkmcnt(0)
	v_mul_f64 v[140:141], v[176:177], v[142:143]
	v_fma_f64 v[140:141], v[174:175], v[172:173], -v[140:141]
	v_mul_f64 v[174:175], v[174:175], v[142:143]
	v_fmac_f64_e32 v[174:175], v[176:177], v[172:173]
	v_add_f64 v[134:135], v[134:135], -v[174:175]
	ds_read2_b64 v[174:177], v166 offset0:18 offset1:19
	v_add_f64 v[132:133], v[132:133], -v[140:141]
	;; [unrolled: 8-line block ×35, first 2 shown]
	s_waitcnt lgkmcnt(0)
	v_mul_f64 v[140:141], v[176:177], v[142:143]
	v_fma_f64 v[140:141], v[174:175], v[172:173], -v[140:141]
	v_mul_f64 v[174:175], v[174:175], v[142:143]
	v_fmac_f64_e32 v[174:175], v[176:177], v[172:173]
	v_add_f64 v[168:169], v[168:169], -v[140:141]
	v_add_f64 v[170:171], v[170:171], -v[174:175]
	v_mov_b64_e32 v[140:141], v[172:173]
.LBB85_64:
	s_or_b64 exec, exec, s[2:3]
	v_cmp_eq_u32_e32 vcc, 7, v164
	s_waitcnt vmcnt(63) expcnt(7) lgkmcnt(15)
	s_barrier
	s_and_saveexec_b64 s[4:5], vcc
	s_cbranch_execz .LBB85_71
; %bb.65:
	ds_write2_b64 v165, v[136:137], v[138:139] offset1:1
	ds_write2_b64 v166, v[132:133], v[134:135] offset0:16 offset1:17
	ds_write2_b64 v166, v[128:129], v[130:131] offset0:18 offset1:19
	;; [unrolled: 1-line block ×18, first 2 shown]
	s_waitcnt vmcnt(62)
	ds_write2_b64 v166, v[60:61], v[62:63] offset0:52 offset1:53
	s_waitcnt vmcnt(34)
	ds_write2_b64 v166, v[56:57], v[58:59] offset0:54 offset1:55
	;; [unrolled: 2-line block ×13, first 2 shown]
	ds_write2_b64 v166, v[8:9], v[10:11] offset0:78 offset1:79
	ds_write2_b64 v166, v[4:5], v[6:7] offset0:80 offset1:81
	;; [unrolled: 1-line block ×3, first 2 shown]
	s_waitcnt vmcnt(20)
	ds_write2_b64 v166, v[168:169], v[170:171] offset0:84 offset1:85
	ds_read2_b64 v[172:175], v165 offset1:1
	s_waitcnt lgkmcnt(0)
	v_cmp_neq_f64_e32 vcc, 0, v[172:173]
	v_cmp_neq_f64_e64 s[2:3], 0, v[174:175]
	s_or_b64 s[2:3], vcc, s[2:3]
	s_and_b64 exec, exec, s[2:3]
	s_cbranch_execz .LBB85_71
; %bb.66:
	v_cmp_ngt_f64_e64 s[2:3], |v[172:173]|, |v[174:175]|
                                        ; implicit-def: $vgpr176_vgpr177
	s_and_saveexec_b64 s[10:11], s[2:3]
	s_xor_b64 s[2:3], exec, s[10:11]
                                        ; implicit-def: $vgpr178_vgpr179
	s_cbranch_execz .LBB85_68
; %bb.67:
	v_div_scale_f64 v[176:177], s[10:11], v[174:175], v[174:175], v[172:173]
	v_rcp_f64_e32 v[178:179], v[176:177]
	v_div_scale_f64 v[180:181], vcc, v[172:173], v[174:175], v[172:173]
	v_fma_f64 v[182:183], -v[176:177], v[178:179], 1.0
	v_fmac_f64_e32 v[178:179], v[178:179], v[182:183]
	v_fma_f64 v[182:183], -v[176:177], v[178:179], 1.0
	v_fmac_f64_e32 v[178:179], v[178:179], v[182:183]
	v_mul_f64 v[182:183], v[180:181], v[178:179]
	v_fma_f64 v[176:177], -v[176:177], v[182:183], v[180:181]
	v_div_fmas_f64 v[176:177], v[176:177], v[178:179], v[182:183]
	v_div_fixup_f64 v[176:177], v[176:177], v[174:175], v[172:173]
	v_fmac_f64_e32 v[174:175], v[172:173], v[176:177]
	v_div_scale_f64 v[172:173], s[10:11], v[174:175], v[174:175], 1.0
	v_rcp_f64_e32 v[178:179], v[172:173]
	s_nop 0
	v_fma_f64 v[180:181], -v[172:173], v[178:179], 1.0
	v_fmac_f64_e32 v[178:179], v[178:179], v[180:181]
	v_fma_f64 v[180:181], -v[172:173], v[178:179], 1.0
	v_fmac_f64_e32 v[178:179], v[178:179], v[180:181]
	v_div_scale_f64 v[180:181], vcc, 1.0, v[174:175], 1.0
	v_mul_f64 v[182:183], v[180:181], v[178:179]
	v_fma_f64 v[172:173], -v[172:173], v[182:183], v[180:181]
	s_nop 1
	v_div_fmas_f64 v[172:173], v[172:173], v[178:179], v[182:183]
	v_div_fixup_f64 v[178:179], v[172:173], v[174:175], 1.0
	v_mul_f64 v[176:177], v[176:177], v[178:179]
	v_xor_b32_e32 v179, 0x80000000, v179
                                        ; implicit-def: $vgpr172_vgpr173
.LBB85_68:
	s_andn2_saveexec_b64 s[2:3], s[2:3]
	s_cbranch_execz .LBB85_70
; %bb.69:
	v_div_scale_f64 v[176:177], s[10:11], v[172:173], v[172:173], v[174:175]
	v_rcp_f64_e32 v[178:179], v[176:177]
	v_div_scale_f64 v[180:181], vcc, v[174:175], v[172:173], v[174:175]
	v_fma_f64 v[182:183], -v[176:177], v[178:179], 1.0
	v_fmac_f64_e32 v[178:179], v[178:179], v[182:183]
	v_fma_f64 v[182:183], -v[176:177], v[178:179], 1.0
	v_fmac_f64_e32 v[178:179], v[178:179], v[182:183]
	v_mul_f64 v[182:183], v[180:181], v[178:179]
	v_fma_f64 v[176:177], -v[176:177], v[182:183], v[180:181]
	v_div_fmas_f64 v[176:177], v[176:177], v[178:179], v[182:183]
	v_div_fixup_f64 v[178:179], v[176:177], v[172:173], v[174:175]
	v_fmac_f64_e32 v[172:173], v[174:175], v[178:179]
	v_div_scale_f64 v[174:175], s[10:11], v[172:173], v[172:173], 1.0
	v_rcp_f64_e32 v[176:177], v[174:175]
	s_nop 0
	v_fma_f64 v[180:181], -v[174:175], v[176:177], 1.0
	v_fmac_f64_e32 v[176:177], v[176:177], v[180:181]
	v_fma_f64 v[180:181], -v[174:175], v[176:177], 1.0
	v_fmac_f64_e32 v[176:177], v[176:177], v[180:181]
	v_div_scale_f64 v[180:181], vcc, 1.0, v[172:173], 1.0
	v_mul_f64 v[182:183], v[180:181], v[176:177]
	v_fma_f64 v[174:175], -v[174:175], v[182:183], v[180:181]
	s_nop 1
	v_div_fmas_f64 v[174:175], v[174:175], v[176:177], v[182:183]
	v_div_fixup_f64 v[176:177], v[174:175], v[172:173], 1.0
	v_mul_f64 v[178:179], v[178:179], -v[176:177]
.LBB85_70:
	s_or_b64 exec, exec, s[2:3]
	ds_write2_b64 v165, v[176:177], v[178:179] offset1:1
.LBB85_71:
	s_or_b64 exec, exec, s[4:5]
	s_waitcnt lgkmcnt(0)
	s_barrier
	ds_read2_b64 v[172:175], v165 offset1:1
	v_cmp_lt_u32_e32 vcc, 7, v164
	s_waitcnt lgkmcnt(0)
	scratch_store_dwordx4 off, v[172:175], off offset:504 ; 16-byte Folded Spill
	s_and_saveexec_b64 s[2:3], vcc
	s_cbranch_execz .LBB85_73
; %bb.72:
	scratch_load_dwordx4 v[174:177], off, off offset:504 ; 16-byte Folded Reload
	s_waitcnt vmcnt(0)
	v_mul_f64 v[172:173], v[176:177], v[138:139]
	v_mul_f64 v[138:139], v[174:175], v[138:139]
	v_fma_f64 v[172:173], v[174:175], v[136:137], -v[172:173]
	v_fmac_f64_e32 v[138:139], v[176:177], v[136:137]
	ds_read2_b64 v[174:177], v166 offset0:16 offset1:17
	s_waitcnt lgkmcnt(0)
	v_mul_f64 v[136:137], v[176:177], v[138:139]
	v_fma_f64 v[136:137], v[174:175], v[172:173], -v[136:137]
	v_mul_f64 v[174:175], v[174:175], v[138:139]
	v_fmac_f64_e32 v[174:175], v[176:177], v[172:173]
	v_add_f64 v[134:135], v[134:135], -v[174:175]
	ds_read2_b64 v[174:177], v166 offset0:18 offset1:19
	v_add_f64 v[132:133], v[132:133], -v[136:137]
	s_waitcnt lgkmcnt(0)
	v_mul_f64 v[136:137], v[176:177], v[138:139]
	v_fma_f64 v[136:137], v[174:175], v[172:173], -v[136:137]
	v_mul_f64 v[174:175], v[174:175], v[138:139]
	v_fmac_f64_e32 v[174:175], v[176:177], v[172:173]
	v_add_f64 v[130:131], v[130:131], -v[174:175]
	ds_read2_b64 v[174:177], v166 offset0:20 offset1:21
	v_add_f64 v[128:129], v[128:129], -v[136:137]
	;; [unrolled: 8-line block ×34, first 2 shown]
	s_waitcnt lgkmcnt(0)
	v_mul_f64 v[136:137], v[176:177], v[138:139]
	v_fma_f64 v[136:137], v[174:175], v[172:173], -v[136:137]
	v_mul_f64 v[174:175], v[174:175], v[138:139]
	v_fmac_f64_e32 v[174:175], v[176:177], v[172:173]
	v_add_f64 v[168:169], v[168:169], -v[136:137]
	v_add_f64 v[170:171], v[170:171], -v[174:175]
	v_mov_b64_e32 v[136:137], v[172:173]
.LBB85_73:
	s_or_b64 exec, exec, s[2:3]
	v_cmp_eq_u32_e32 vcc, 8, v164
	s_waitcnt vmcnt(63) expcnt(7) lgkmcnt(15)
	s_barrier
	s_and_saveexec_b64 s[4:5], vcc
	s_cbranch_execz .LBB85_80
; %bb.74:
	ds_write2_b64 v165, v[132:133], v[134:135] offset1:1
	ds_write2_b64 v166, v[128:129], v[130:131] offset0:18 offset1:19
	ds_write2_b64 v166, v[124:125], v[126:127] offset0:20 offset1:21
	;; [unrolled: 1-line block ×18, first 2 shown]
	s_waitcnt vmcnt(35)
	ds_write2_b64 v166, v[56:57], v[58:59] offset0:54 offset1:55
	s_waitcnt vmcnt(34)
	ds_write2_b64 v166, v[52:53], v[54:55] offset0:56 offset1:57
	;; [unrolled: 2-line block ×12, first 2 shown]
	ds_write2_b64 v166, v[8:9], v[10:11] offset0:78 offset1:79
	ds_write2_b64 v166, v[4:5], v[6:7] offset0:80 offset1:81
	ds_write2_b64 v166, v[0:1], v[2:3] offset0:82 offset1:83
	s_waitcnt vmcnt(21)
	ds_write2_b64 v166, v[168:169], v[170:171] offset0:84 offset1:85
	ds_read2_b64 v[172:175], v165 offset1:1
	s_waitcnt lgkmcnt(0)
	v_cmp_neq_f64_e32 vcc, 0, v[172:173]
	v_cmp_neq_f64_e64 s[2:3], 0, v[174:175]
	s_or_b64 s[2:3], vcc, s[2:3]
	s_and_b64 exec, exec, s[2:3]
	s_cbranch_execz .LBB85_80
; %bb.75:
	v_cmp_ngt_f64_e64 s[2:3], |v[172:173]|, |v[174:175]|
                                        ; implicit-def: $vgpr176_vgpr177
	s_and_saveexec_b64 s[10:11], s[2:3]
	s_xor_b64 s[2:3], exec, s[10:11]
                                        ; implicit-def: $vgpr178_vgpr179
	s_cbranch_execz .LBB85_77
; %bb.76:
	v_div_scale_f64 v[176:177], s[10:11], v[174:175], v[174:175], v[172:173]
	v_rcp_f64_e32 v[178:179], v[176:177]
	v_div_scale_f64 v[180:181], vcc, v[172:173], v[174:175], v[172:173]
	v_fma_f64 v[182:183], -v[176:177], v[178:179], 1.0
	v_fmac_f64_e32 v[178:179], v[178:179], v[182:183]
	v_fma_f64 v[182:183], -v[176:177], v[178:179], 1.0
	v_fmac_f64_e32 v[178:179], v[178:179], v[182:183]
	v_mul_f64 v[182:183], v[180:181], v[178:179]
	v_fma_f64 v[176:177], -v[176:177], v[182:183], v[180:181]
	v_div_fmas_f64 v[176:177], v[176:177], v[178:179], v[182:183]
	v_div_fixup_f64 v[176:177], v[176:177], v[174:175], v[172:173]
	v_fmac_f64_e32 v[174:175], v[172:173], v[176:177]
	v_div_scale_f64 v[172:173], s[10:11], v[174:175], v[174:175], 1.0
	v_rcp_f64_e32 v[178:179], v[172:173]
	s_nop 0
	v_fma_f64 v[180:181], -v[172:173], v[178:179], 1.0
	v_fmac_f64_e32 v[178:179], v[178:179], v[180:181]
	v_fma_f64 v[180:181], -v[172:173], v[178:179], 1.0
	v_fmac_f64_e32 v[178:179], v[178:179], v[180:181]
	v_div_scale_f64 v[180:181], vcc, 1.0, v[174:175], 1.0
	v_mul_f64 v[182:183], v[180:181], v[178:179]
	v_fma_f64 v[172:173], -v[172:173], v[182:183], v[180:181]
	s_nop 1
	v_div_fmas_f64 v[172:173], v[172:173], v[178:179], v[182:183]
	v_div_fixup_f64 v[178:179], v[172:173], v[174:175], 1.0
	v_mul_f64 v[176:177], v[176:177], v[178:179]
	v_xor_b32_e32 v179, 0x80000000, v179
                                        ; implicit-def: $vgpr172_vgpr173
.LBB85_77:
	s_andn2_saveexec_b64 s[2:3], s[2:3]
	s_cbranch_execz .LBB85_79
; %bb.78:
	v_div_scale_f64 v[176:177], s[10:11], v[172:173], v[172:173], v[174:175]
	v_rcp_f64_e32 v[178:179], v[176:177]
	v_div_scale_f64 v[180:181], vcc, v[174:175], v[172:173], v[174:175]
	v_fma_f64 v[182:183], -v[176:177], v[178:179], 1.0
	v_fmac_f64_e32 v[178:179], v[178:179], v[182:183]
	v_fma_f64 v[182:183], -v[176:177], v[178:179], 1.0
	v_fmac_f64_e32 v[178:179], v[178:179], v[182:183]
	v_mul_f64 v[182:183], v[180:181], v[178:179]
	v_fma_f64 v[176:177], -v[176:177], v[182:183], v[180:181]
	v_div_fmas_f64 v[176:177], v[176:177], v[178:179], v[182:183]
	v_div_fixup_f64 v[178:179], v[176:177], v[172:173], v[174:175]
	v_fmac_f64_e32 v[172:173], v[174:175], v[178:179]
	v_div_scale_f64 v[174:175], s[10:11], v[172:173], v[172:173], 1.0
	v_rcp_f64_e32 v[176:177], v[174:175]
	s_nop 0
	v_fma_f64 v[180:181], -v[174:175], v[176:177], 1.0
	v_fmac_f64_e32 v[176:177], v[176:177], v[180:181]
	v_fma_f64 v[180:181], -v[174:175], v[176:177], 1.0
	v_fmac_f64_e32 v[176:177], v[176:177], v[180:181]
	v_div_scale_f64 v[180:181], vcc, 1.0, v[172:173], 1.0
	v_mul_f64 v[182:183], v[180:181], v[176:177]
	v_fma_f64 v[174:175], -v[174:175], v[182:183], v[180:181]
	s_nop 1
	v_div_fmas_f64 v[174:175], v[174:175], v[176:177], v[182:183]
	v_div_fixup_f64 v[176:177], v[174:175], v[172:173], 1.0
	v_mul_f64 v[178:179], v[178:179], -v[176:177]
.LBB85_79:
	s_or_b64 exec, exec, s[2:3]
	ds_write2_b64 v165, v[176:177], v[178:179] offset1:1
.LBB85_80:
	s_or_b64 exec, exec, s[4:5]
	s_waitcnt lgkmcnt(0)
	s_barrier
	ds_read2_b64 v[172:175], v165 offset1:1
	v_cmp_lt_u32_e32 vcc, 8, v164
	s_waitcnt lgkmcnt(0)
	scratch_store_dwordx4 off, v[172:175], off offset:520 ; 16-byte Folded Spill
	s_and_saveexec_b64 s[2:3], vcc
	s_cbranch_execz .LBB85_82
; %bb.81:
	scratch_load_dwordx4 v[174:177], off, off offset:520 ; 16-byte Folded Reload
	s_waitcnt vmcnt(0)
	v_mul_f64 v[172:173], v[176:177], v[134:135]
	v_mul_f64 v[134:135], v[174:175], v[134:135]
	v_fma_f64 v[172:173], v[174:175], v[132:133], -v[172:173]
	v_fmac_f64_e32 v[134:135], v[176:177], v[132:133]
	ds_read2_b64 v[174:177], v166 offset0:18 offset1:19
	s_waitcnt lgkmcnt(0)
	v_mul_f64 v[132:133], v[176:177], v[134:135]
	v_fma_f64 v[132:133], v[174:175], v[172:173], -v[132:133]
	v_mul_f64 v[174:175], v[174:175], v[134:135]
	v_fmac_f64_e32 v[174:175], v[176:177], v[172:173]
	v_add_f64 v[130:131], v[130:131], -v[174:175]
	ds_read2_b64 v[174:177], v166 offset0:20 offset1:21
	v_add_f64 v[128:129], v[128:129], -v[132:133]
	s_waitcnt lgkmcnt(0)
	v_mul_f64 v[132:133], v[176:177], v[134:135]
	v_fma_f64 v[132:133], v[174:175], v[172:173], -v[132:133]
	v_mul_f64 v[174:175], v[174:175], v[134:135]
	v_fmac_f64_e32 v[174:175], v[176:177], v[172:173]
	v_add_f64 v[126:127], v[126:127], -v[174:175]
	ds_read2_b64 v[174:177], v166 offset0:22 offset1:23
	v_add_f64 v[124:125], v[124:125], -v[132:133]
	;; [unrolled: 8-line block ×33, first 2 shown]
	s_waitcnt lgkmcnt(0)
	v_mul_f64 v[132:133], v[176:177], v[134:135]
	v_fma_f64 v[132:133], v[174:175], v[172:173], -v[132:133]
	v_mul_f64 v[174:175], v[174:175], v[134:135]
	v_fmac_f64_e32 v[174:175], v[176:177], v[172:173]
	v_add_f64 v[168:169], v[168:169], -v[132:133]
	v_add_f64 v[170:171], v[170:171], -v[174:175]
	v_mov_b64_e32 v[132:133], v[172:173]
.LBB85_82:
	s_or_b64 exec, exec, s[2:3]
	v_cmp_eq_u32_e32 vcc, 9, v164
	s_waitcnt vmcnt(63) expcnt(7) lgkmcnt(15)
	s_barrier
	s_and_saveexec_b64 s[4:5], vcc
	s_cbranch_execz .LBB85_89
; %bb.83:
	ds_write2_b64 v165, v[128:129], v[130:131] offset1:1
	ds_write2_b64 v166, v[124:125], v[126:127] offset0:20 offset1:21
	ds_write2_b64 v166, v[120:121], v[122:123] offset0:22 offset1:23
	;; [unrolled: 1-line block ×17, first 2 shown]
	s_waitcnt vmcnt(36)
	ds_write2_b64 v166, v[56:57], v[58:59] offset0:54 offset1:55
	s_waitcnt vmcnt(35)
	ds_write2_b64 v166, v[52:53], v[54:55] offset0:56 offset1:57
	;; [unrolled: 2-line block ×12, first 2 shown]
	ds_write2_b64 v166, v[8:9], v[10:11] offset0:78 offset1:79
	ds_write2_b64 v166, v[4:5], v[6:7] offset0:80 offset1:81
	;; [unrolled: 1-line block ×3, first 2 shown]
	s_waitcnt vmcnt(22)
	ds_write2_b64 v166, v[168:169], v[170:171] offset0:84 offset1:85
	ds_read2_b64 v[172:175], v165 offset1:1
	s_waitcnt lgkmcnt(0)
	v_cmp_neq_f64_e32 vcc, 0, v[172:173]
	v_cmp_neq_f64_e64 s[2:3], 0, v[174:175]
	s_or_b64 s[2:3], vcc, s[2:3]
	s_and_b64 exec, exec, s[2:3]
	s_cbranch_execz .LBB85_89
; %bb.84:
	v_cmp_ngt_f64_e64 s[2:3], |v[172:173]|, |v[174:175]|
                                        ; implicit-def: $vgpr176_vgpr177
	s_and_saveexec_b64 s[10:11], s[2:3]
	s_xor_b64 s[2:3], exec, s[10:11]
                                        ; implicit-def: $vgpr178_vgpr179
	s_cbranch_execz .LBB85_86
; %bb.85:
	v_div_scale_f64 v[176:177], s[10:11], v[174:175], v[174:175], v[172:173]
	v_rcp_f64_e32 v[178:179], v[176:177]
	v_div_scale_f64 v[180:181], vcc, v[172:173], v[174:175], v[172:173]
	v_fma_f64 v[182:183], -v[176:177], v[178:179], 1.0
	v_fmac_f64_e32 v[178:179], v[178:179], v[182:183]
	v_fma_f64 v[182:183], -v[176:177], v[178:179], 1.0
	v_fmac_f64_e32 v[178:179], v[178:179], v[182:183]
	v_mul_f64 v[182:183], v[180:181], v[178:179]
	v_fma_f64 v[176:177], -v[176:177], v[182:183], v[180:181]
	v_div_fmas_f64 v[176:177], v[176:177], v[178:179], v[182:183]
	v_div_fixup_f64 v[176:177], v[176:177], v[174:175], v[172:173]
	v_fmac_f64_e32 v[174:175], v[172:173], v[176:177]
	v_div_scale_f64 v[172:173], s[10:11], v[174:175], v[174:175], 1.0
	v_rcp_f64_e32 v[178:179], v[172:173]
	s_nop 0
	v_fma_f64 v[180:181], -v[172:173], v[178:179], 1.0
	v_fmac_f64_e32 v[178:179], v[178:179], v[180:181]
	v_fma_f64 v[180:181], -v[172:173], v[178:179], 1.0
	v_fmac_f64_e32 v[178:179], v[178:179], v[180:181]
	v_div_scale_f64 v[180:181], vcc, 1.0, v[174:175], 1.0
	v_mul_f64 v[182:183], v[180:181], v[178:179]
	v_fma_f64 v[172:173], -v[172:173], v[182:183], v[180:181]
	s_nop 1
	v_div_fmas_f64 v[172:173], v[172:173], v[178:179], v[182:183]
	v_div_fixup_f64 v[178:179], v[172:173], v[174:175], 1.0
	v_mul_f64 v[176:177], v[176:177], v[178:179]
	v_xor_b32_e32 v179, 0x80000000, v179
                                        ; implicit-def: $vgpr172_vgpr173
.LBB85_86:
	s_andn2_saveexec_b64 s[2:3], s[2:3]
	s_cbranch_execz .LBB85_88
; %bb.87:
	v_div_scale_f64 v[176:177], s[10:11], v[172:173], v[172:173], v[174:175]
	v_rcp_f64_e32 v[178:179], v[176:177]
	v_div_scale_f64 v[180:181], vcc, v[174:175], v[172:173], v[174:175]
	v_fma_f64 v[182:183], -v[176:177], v[178:179], 1.0
	v_fmac_f64_e32 v[178:179], v[178:179], v[182:183]
	v_fma_f64 v[182:183], -v[176:177], v[178:179], 1.0
	v_fmac_f64_e32 v[178:179], v[178:179], v[182:183]
	v_mul_f64 v[182:183], v[180:181], v[178:179]
	v_fma_f64 v[176:177], -v[176:177], v[182:183], v[180:181]
	v_div_fmas_f64 v[176:177], v[176:177], v[178:179], v[182:183]
	v_div_fixup_f64 v[178:179], v[176:177], v[172:173], v[174:175]
	v_fmac_f64_e32 v[172:173], v[174:175], v[178:179]
	v_div_scale_f64 v[174:175], s[10:11], v[172:173], v[172:173], 1.0
	v_rcp_f64_e32 v[176:177], v[174:175]
	s_nop 0
	v_fma_f64 v[180:181], -v[174:175], v[176:177], 1.0
	v_fmac_f64_e32 v[176:177], v[176:177], v[180:181]
	v_fma_f64 v[180:181], -v[174:175], v[176:177], 1.0
	v_fmac_f64_e32 v[176:177], v[176:177], v[180:181]
	v_div_scale_f64 v[180:181], vcc, 1.0, v[172:173], 1.0
	v_mul_f64 v[182:183], v[180:181], v[176:177]
	v_fma_f64 v[174:175], -v[174:175], v[182:183], v[180:181]
	s_nop 1
	v_div_fmas_f64 v[174:175], v[174:175], v[176:177], v[182:183]
	v_div_fixup_f64 v[176:177], v[174:175], v[172:173], 1.0
	v_mul_f64 v[178:179], v[178:179], -v[176:177]
.LBB85_88:
	s_or_b64 exec, exec, s[2:3]
	ds_write2_b64 v165, v[176:177], v[178:179] offset1:1
.LBB85_89:
	s_or_b64 exec, exec, s[4:5]
	s_waitcnt lgkmcnt(0)
	s_barrier
	ds_read2_b64 v[172:175], v165 offset1:1
	v_cmp_lt_u32_e32 vcc, 9, v164
	s_waitcnt lgkmcnt(0)
	scratch_store_dwordx4 off, v[172:175], off offset:536 ; 16-byte Folded Spill
	s_and_saveexec_b64 s[2:3], vcc
	s_cbranch_execz .LBB85_91
; %bb.90:
	scratch_load_dwordx4 v[174:177], off, off offset:536 ; 16-byte Folded Reload
	s_waitcnt vmcnt(0)
	v_mul_f64 v[172:173], v[176:177], v[130:131]
	v_mul_f64 v[130:131], v[174:175], v[130:131]
	v_fma_f64 v[172:173], v[174:175], v[128:129], -v[172:173]
	v_fmac_f64_e32 v[130:131], v[176:177], v[128:129]
	ds_read2_b64 v[174:177], v166 offset0:20 offset1:21
	s_waitcnt lgkmcnt(0)
	v_mul_f64 v[128:129], v[176:177], v[130:131]
	v_fma_f64 v[128:129], v[174:175], v[172:173], -v[128:129]
	v_mul_f64 v[174:175], v[174:175], v[130:131]
	v_fmac_f64_e32 v[174:175], v[176:177], v[172:173]
	v_add_f64 v[126:127], v[126:127], -v[174:175]
	ds_read2_b64 v[174:177], v166 offset0:22 offset1:23
	v_add_f64 v[124:125], v[124:125], -v[128:129]
	s_waitcnt lgkmcnt(0)
	v_mul_f64 v[128:129], v[176:177], v[130:131]
	v_fma_f64 v[128:129], v[174:175], v[172:173], -v[128:129]
	v_mul_f64 v[174:175], v[174:175], v[130:131]
	v_fmac_f64_e32 v[174:175], v[176:177], v[172:173]
	v_add_f64 v[122:123], v[122:123], -v[174:175]
	ds_read2_b64 v[174:177], v166 offset0:24 offset1:25
	v_add_f64 v[120:121], v[120:121], -v[128:129]
	;; [unrolled: 8-line block ×32, first 2 shown]
	s_waitcnt lgkmcnt(0)
	v_mul_f64 v[128:129], v[176:177], v[130:131]
	v_fma_f64 v[128:129], v[174:175], v[172:173], -v[128:129]
	v_mul_f64 v[174:175], v[174:175], v[130:131]
	v_fmac_f64_e32 v[174:175], v[176:177], v[172:173]
	v_add_f64 v[168:169], v[168:169], -v[128:129]
	v_add_f64 v[170:171], v[170:171], -v[174:175]
	v_mov_b64_e32 v[128:129], v[172:173]
.LBB85_91:
	s_or_b64 exec, exec, s[2:3]
	v_cmp_eq_u32_e32 vcc, 10, v164
	s_waitcnt vmcnt(63) expcnt(7) lgkmcnt(15)
	s_barrier
	s_and_saveexec_b64 s[4:5], vcc
	s_cbranch_execz .LBB85_98
; %bb.92:
	ds_write2_b64 v165, v[124:125], v[126:127] offset1:1
	ds_write2_b64 v166, v[120:121], v[122:123] offset0:22 offset1:23
	ds_write2_b64 v166, v[116:117], v[118:119] offset0:24 offset1:25
	;; [unrolled: 1-line block ×16, first 2 shown]
	s_waitcnt vmcnt(37)
	ds_write2_b64 v166, v[56:57], v[58:59] offset0:54 offset1:55
	s_waitcnt vmcnt(36)
	ds_write2_b64 v166, v[52:53], v[54:55] offset0:56 offset1:57
	;; [unrolled: 2-line block ×12, first 2 shown]
	ds_write2_b64 v166, v[8:9], v[10:11] offset0:78 offset1:79
	ds_write2_b64 v166, v[4:5], v[6:7] offset0:80 offset1:81
	;; [unrolled: 1-line block ×3, first 2 shown]
	s_waitcnt vmcnt(23)
	ds_write2_b64 v166, v[168:169], v[170:171] offset0:84 offset1:85
	ds_read2_b64 v[172:175], v165 offset1:1
	s_waitcnt lgkmcnt(0)
	v_cmp_neq_f64_e32 vcc, 0, v[172:173]
	v_cmp_neq_f64_e64 s[2:3], 0, v[174:175]
	s_or_b64 s[2:3], vcc, s[2:3]
	s_and_b64 exec, exec, s[2:3]
	s_cbranch_execz .LBB85_98
; %bb.93:
	v_cmp_ngt_f64_e64 s[2:3], |v[172:173]|, |v[174:175]|
                                        ; implicit-def: $vgpr176_vgpr177
	s_and_saveexec_b64 s[10:11], s[2:3]
	s_xor_b64 s[2:3], exec, s[10:11]
                                        ; implicit-def: $vgpr178_vgpr179
	s_cbranch_execz .LBB85_95
; %bb.94:
	v_div_scale_f64 v[176:177], s[10:11], v[174:175], v[174:175], v[172:173]
	v_rcp_f64_e32 v[178:179], v[176:177]
	v_div_scale_f64 v[180:181], vcc, v[172:173], v[174:175], v[172:173]
	v_fma_f64 v[182:183], -v[176:177], v[178:179], 1.0
	v_fmac_f64_e32 v[178:179], v[178:179], v[182:183]
	v_fma_f64 v[182:183], -v[176:177], v[178:179], 1.0
	v_fmac_f64_e32 v[178:179], v[178:179], v[182:183]
	v_mul_f64 v[182:183], v[180:181], v[178:179]
	v_fma_f64 v[176:177], -v[176:177], v[182:183], v[180:181]
	v_div_fmas_f64 v[176:177], v[176:177], v[178:179], v[182:183]
	v_div_fixup_f64 v[176:177], v[176:177], v[174:175], v[172:173]
	v_fmac_f64_e32 v[174:175], v[172:173], v[176:177]
	v_div_scale_f64 v[172:173], s[10:11], v[174:175], v[174:175], 1.0
	v_rcp_f64_e32 v[178:179], v[172:173]
	s_nop 0
	v_fma_f64 v[180:181], -v[172:173], v[178:179], 1.0
	v_fmac_f64_e32 v[178:179], v[178:179], v[180:181]
	v_fma_f64 v[180:181], -v[172:173], v[178:179], 1.0
	v_fmac_f64_e32 v[178:179], v[178:179], v[180:181]
	v_div_scale_f64 v[180:181], vcc, 1.0, v[174:175], 1.0
	v_mul_f64 v[182:183], v[180:181], v[178:179]
	v_fma_f64 v[172:173], -v[172:173], v[182:183], v[180:181]
	s_nop 1
	v_div_fmas_f64 v[172:173], v[172:173], v[178:179], v[182:183]
	v_div_fixup_f64 v[178:179], v[172:173], v[174:175], 1.0
	v_mul_f64 v[176:177], v[176:177], v[178:179]
	v_xor_b32_e32 v179, 0x80000000, v179
                                        ; implicit-def: $vgpr172_vgpr173
.LBB85_95:
	s_andn2_saveexec_b64 s[2:3], s[2:3]
	s_cbranch_execz .LBB85_97
; %bb.96:
	v_div_scale_f64 v[176:177], s[10:11], v[172:173], v[172:173], v[174:175]
	v_rcp_f64_e32 v[178:179], v[176:177]
	v_div_scale_f64 v[180:181], vcc, v[174:175], v[172:173], v[174:175]
	v_fma_f64 v[182:183], -v[176:177], v[178:179], 1.0
	v_fmac_f64_e32 v[178:179], v[178:179], v[182:183]
	v_fma_f64 v[182:183], -v[176:177], v[178:179], 1.0
	v_fmac_f64_e32 v[178:179], v[178:179], v[182:183]
	v_mul_f64 v[182:183], v[180:181], v[178:179]
	v_fma_f64 v[176:177], -v[176:177], v[182:183], v[180:181]
	v_div_fmas_f64 v[176:177], v[176:177], v[178:179], v[182:183]
	v_div_fixup_f64 v[178:179], v[176:177], v[172:173], v[174:175]
	v_fmac_f64_e32 v[172:173], v[174:175], v[178:179]
	v_div_scale_f64 v[174:175], s[10:11], v[172:173], v[172:173], 1.0
	v_rcp_f64_e32 v[176:177], v[174:175]
	s_nop 0
	v_fma_f64 v[180:181], -v[174:175], v[176:177], 1.0
	v_fmac_f64_e32 v[176:177], v[176:177], v[180:181]
	v_fma_f64 v[180:181], -v[174:175], v[176:177], 1.0
	v_fmac_f64_e32 v[176:177], v[176:177], v[180:181]
	v_div_scale_f64 v[180:181], vcc, 1.0, v[172:173], 1.0
	v_mul_f64 v[182:183], v[180:181], v[176:177]
	v_fma_f64 v[174:175], -v[174:175], v[182:183], v[180:181]
	s_nop 1
	v_div_fmas_f64 v[174:175], v[174:175], v[176:177], v[182:183]
	v_div_fixup_f64 v[176:177], v[174:175], v[172:173], 1.0
	v_mul_f64 v[178:179], v[178:179], -v[176:177]
.LBB85_97:
	s_or_b64 exec, exec, s[2:3]
	ds_write2_b64 v165, v[176:177], v[178:179] offset1:1
.LBB85_98:
	s_or_b64 exec, exec, s[4:5]
	s_waitcnt lgkmcnt(0)
	s_barrier
	ds_read2_b64 v[172:175], v165 offset1:1
	v_cmp_lt_u32_e32 vcc, 10, v164
	s_waitcnt lgkmcnt(0)
	scratch_store_dwordx4 off, v[172:175], off offset:552 ; 16-byte Folded Spill
	s_and_saveexec_b64 s[2:3], vcc
	s_cbranch_execz .LBB85_100
; %bb.99:
	scratch_load_dwordx4 v[174:177], off, off offset:552 ; 16-byte Folded Reload
	s_waitcnt vmcnt(0)
	v_mul_f64 v[172:173], v[176:177], v[126:127]
	v_mul_f64 v[126:127], v[174:175], v[126:127]
	v_fma_f64 v[172:173], v[174:175], v[124:125], -v[172:173]
	v_fmac_f64_e32 v[126:127], v[176:177], v[124:125]
	ds_read2_b64 v[174:177], v166 offset0:22 offset1:23
	s_waitcnt lgkmcnt(0)
	v_mul_f64 v[124:125], v[176:177], v[126:127]
	v_fma_f64 v[124:125], v[174:175], v[172:173], -v[124:125]
	v_mul_f64 v[174:175], v[174:175], v[126:127]
	v_fmac_f64_e32 v[174:175], v[176:177], v[172:173]
	v_add_f64 v[122:123], v[122:123], -v[174:175]
	ds_read2_b64 v[174:177], v166 offset0:24 offset1:25
	v_add_f64 v[120:121], v[120:121], -v[124:125]
	s_waitcnt lgkmcnt(0)
	v_mul_f64 v[124:125], v[176:177], v[126:127]
	v_fma_f64 v[124:125], v[174:175], v[172:173], -v[124:125]
	v_mul_f64 v[174:175], v[174:175], v[126:127]
	v_fmac_f64_e32 v[174:175], v[176:177], v[172:173]
	v_add_f64 v[118:119], v[118:119], -v[174:175]
	ds_read2_b64 v[174:177], v166 offset0:26 offset1:27
	v_add_f64 v[116:117], v[116:117], -v[124:125]
	;; [unrolled: 8-line block ×31, first 2 shown]
	s_waitcnt lgkmcnt(0)
	v_mul_f64 v[124:125], v[176:177], v[126:127]
	v_fma_f64 v[124:125], v[174:175], v[172:173], -v[124:125]
	v_mul_f64 v[174:175], v[174:175], v[126:127]
	v_fmac_f64_e32 v[174:175], v[176:177], v[172:173]
	v_add_f64 v[168:169], v[168:169], -v[124:125]
	v_add_f64 v[170:171], v[170:171], -v[174:175]
	v_mov_b64_e32 v[124:125], v[172:173]
.LBB85_100:
	s_or_b64 exec, exec, s[2:3]
	v_cmp_eq_u32_e32 vcc, 11, v164
	s_waitcnt vmcnt(63) expcnt(7) lgkmcnt(15)
	s_barrier
	s_and_saveexec_b64 s[4:5], vcc
	s_cbranch_execz .LBB85_107
; %bb.101:
	ds_write2_b64 v165, v[120:121], v[122:123] offset1:1
	ds_write2_b64 v166, v[116:117], v[118:119] offset0:24 offset1:25
	ds_write2_b64 v166, v[112:113], v[114:115] offset0:26 offset1:27
	;; [unrolled: 1-line block ×15, first 2 shown]
	s_waitcnt vmcnt(38)
	ds_write2_b64 v166, v[56:57], v[58:59] offset0:54 offset1:55
	s_waitcnt vmcnt(37)
	ds_write2_b64 v166, v[52:53], v[54:55] offset0:56 offset1:57
	;; [unrolled: 2-line block ×12, first 2 shown]
	ds_write2_b64 v166, v[8:9], v[10:11] offset0:78 offset1:79
	ds_write2_b64 v166, v[4:5], v[6:7] offset0:80 offset1:81
	ds_write2_b64 v166, v[0:1], v[2:3] offset0:82 offset1:83
	s_waitcnt vmcnt(24)
	ds_write2_b64 v166, v[168:169], v[170:171] offset0:84 offset1:85
	ds_read2_b64 v[172:175], v165 offset1:1
	s_waitcnt lgkmcnt(0)
	v_cmp_neq_f64_e32 vcc, 0, v[172:173]
	v_cmp_neq_f64_e64 s[2:3], 0, v[174:175]
	s_or_b64 s[2:3], vcc, s[2:3]
	s_and_b64 exec, exec, s[2:3]
	s_cbranch_execz .LBB85_107
; %bb.102:
	v_cmp_ngt_f64_e64 s[2:3], |v[172:173]|, |v[174:175]|
                                        ; implicit-def: $vgpr176_vgpr177
	s_and_saveexec_b64 s[10:11], s[2:3]
	s_xor_b64 s[2:3], exec, s[10:11]
                                        ; implicit-def: $vgpr178_vgpr179
	s_cbranch_execz .LBB85_104
; %bb.103:
	v_div_scale_f64 v[176:177], s[10:11], v[174:175], v[174:175], v[172:173]
	v_rcp_f64_e32 v[178:179], v[176:177]
	v_div_scale_f64 v[180:181], vcc, v[172:173], v[174:175], v[172:173]
	v_fma_f64 v[182:183], -v[176:177], v[178:179], 1.0
	v_fmac_f64_e32 v[178:179], v[178:179], v[182:183]
	v_fma_f64 v[182:183], -v[176:177], v[178:179], 1.0
	v_fmac_f64_e32 v[178:179], v[178:179], v[182:183]
	v_mul_f64 v[182:183], v[180:181], v[178:179]
	v_fma_f64 v[176:177], -v[176:177], v[182:183], v[180:181]
	v_div_fmas_f64 v[176:177], v[176:177], v[178:179], v[182:183]
	v_div_fixup_f64 v[176:177], v[176:177], v[174:175], v[172:173]
	v_fmac_f64_e32 v[174:175], v[172:173], v[176:177]
	v_div_scale_f64 v[172:173], s[10:11], v[174:175], v[174:175], 1.0
	v_rcp_f64_e32 v[178:179], v[172:173]
	s_nop 0
	v_fma_f64 v[180:181], -v[172:173], v[178:179], 1.0
	v_fmac_f64_e32 v[178:179], v[178:179], v[180:181]
	v_fma_f64 v[180:181], -v[172:173], v[178:179], 1.0
	v_fmac_f64_e32 v[178:179], v[178:179], v[180:181]
	v_div_scale_f64 v[180:181], vcc, 1.0, v[174:175], 1.0
	v_mul_f64 v[182:183], v[180:181], v[178:179]
	v_fma_f64 v[172:173], -v[172:173], v[182:183], v[180:181]
	s_nop 1
	v_div_fmas_f64 v[172:173], v[172:173], v[178:179], v[182:183]
	v_div_fixup_f64 v[178:179], v[172:173], v[174:175], 1.0
	v_mul_f64 v[176:177], v[176:177], v[178:179]
	v_xor_b32_e32 v179, 0x80000000, v179
                                        ; implicit-def: $vgpr172_vgpr173
.LBB85_104:
	s_andn2_saveexec_b64 s[2:3], s[2:3]
	s_cbranch_execz .LBB85_106
; %bb.105:
	v_div_scale_f64 v[176:177], s[10:11], v[172:173], v[172:173], v[174:175]
	v_rcp_f64_e32 v[178:179], v[176:177]
	v_div_scale_f64 v[180:181], vcc, v[174:175], v[172:173], v[174:175]
	v_fma_f64 v[182:183], -v[176:177], v[178:179], 1.0
	v_fmac_f64_e32 v[178:179], v[178:179], v[182:183]
	v_fma_f64 v[182:183], -v[176:177], v[178:179], 1.0
	v_fmac_f64_e32 v[178:179], v[178:179], v[182:183]
	v_mul_f64 v[182:183], v[180:181], v[178:179]
	v_fma_f64 v[176:177], -v[176:177], v[182:183], v[180:181]
	v_div_fmas_f64 v[176:177], v[176:177], v[178:179], v[182:183]
	v_div_fixup_f64 v[178:179], v[176:177], v[172:173], v[174:175]
	v_fmac_f64_e32 v[172:173], v[174:175], v[178:179]
	v_div_scale_f64 v[174:175], s[10:11], v[172:173], v[172:173], 1.0
	v_rcp_f64_e32 v[176:177], v[174:175]
	s_nop 0
	v_fma_f64 v[180:181], -v[174:175], v[176:177], 1.0
	v_fmac_f64_e32 v[176:177], v[176:177], v[180:181]
	v_fma_f64 v[180:181], -v[174:175], v[176:177], 1.0
	v_fmac_f64_e32 v[176:177], v[176:177], v[180:181]
	v_div_scale_f64 v[180:181], vcc, 1.0, v[172:173], 1.0
	v_mul_f64 v[182:183], v[180:181], v[176:177]
	v_fma_f64 v[174:175], -v[174:175], v[182:183], v[180:181]
	s_nop 1
	v_div_fmas_f64 v[174:175], v[174:175], v[176:177], v[182:183]
	v_div_fixup_f64 v[176:177], v[174:175], v[172:173], 1.0
	v_mul_f64 v[178:179], v[178:179], -v[176:177]
.LBB85_106:
	s_or_b64 exec, exec, s[2:3]
	ds_write2_b64 v165, v[176:177], v[178:179] offset1:1
.LBB85_107:
	s_or_b64 exec, exec, s[4:5]
	s_waitcnt lgkmcnt(0)
	s_barrier
	ds_read2_b64 v[172:175], v165 offset1:1
	v_cmp_lt_u32_e32 vcc, 11, v164
	s_waitcnt lgkmcnt(0)
	scratch_store_dwordx4 off, v[172:175], off offset:568 ; 16-byte Folded Spill
	s_and_saveexec_b64 s[2:3], vcc
	s_cbranch_execz .LBB85_109
; %bb.108:
	scratch_load_dwordx4 v[174:177], off, off offset:568 ; 16-byte Folded Reload
	s_waitcnt vmcnt(0)
	v_mul_f64 v[172:173], v[176:177], v[122:123]
	v_mul_f64 v[122:123], v[174:175], v[122:123]
	v_fma_f64 v[172:173], v[174:175], v[120:121], -v[172:173]
	v_fmac_f64_e32 v[122:123], v[176:177], v[120:121]
	ds_read2_b64 v[174:177], v166 offset0:24 offset1:25
	s_waitcnt lgkmcnt(0)
	v_mul_f64 v[120:121], v[176:177], v[122:123]
	v_fma_f64 v[120:121], v[174:175], v[172:173], -v[120:121]
	v_mul_f64 v[174:175], v[174:175], v[122:123]
	v_fmac_f64_e32 v[174:175], v[176:177], v[172:173]
	v_add_f64 v[118:119], v[118:119], -v[174:175]
	ds_read2_b64 v[174:177], v166 offset0:26 offset1:27
	v_add_f64 v[116:117], v[116:117], -v[120:121]
	s_waitcnt lgkmcnt(0)
	v_mul_f64 v[120:121], v[176:177], v[122:123]
	v_fma_f64 v[120:121], v[174:175], v[172:173], -v[120:121]
	v_mul_f64 v[174:175], v[174:175], v[122:123]
	v_fmac_f64_e32 v[174:175], v[176:177], v[172:173]
	v_add_f64 v[114:115], v[114:115], -v[174:175]
	ds_read2_b64 v[174:177], v166 offset0:28 offset1:29
	v_add_f64 v[112:113], v[112:113], -v[120:121]
	;; [unrolled: 8-line block ×30, first 2 shown]
	s_waitcnt lgkmcnt(0)
	v_mul_f64 v[120:121], v[176:177], v[122:123]
	v_fma_f64 v[120:121], v[174:175], v[172:173], -v[120:121]
	v_mul_f64 v[174:175], v[174:175], v[122:123]
	v_fmac_f64_e32 v[174:175], v[176:177], v[172:173]
	v_add_f64 v[168:169], v[168:169], -v[120:121]
	v_add_f64 v[170:171], v[170:171], -v[174:175]
	v_mov_b64_e32 v[120:121], v[172:173]
.LBB85_109:
	s_or_b64 exec, exec, s[2:3]
	v_cmp_eq_u32_e32 vcc, 12, v164
	s_waitcnt vmcnt(63) expcnt(7) lgkmcnt(15)
	s_barrier
	s_and_saveexec_b64 s[4:5], vcc
	s_cbranch_execz .LBB85_116
; %bb.110:
	ds_write2_b64 v165, v[116:117], v[118:119] offset1:1
	ds_write2_b64 v166, v[112:113], v[114:115] offset0:26 offset1:27
	ds_write2_b64 v166, v[108:109], v[110:111] offset0:28 offset1:29
	;; [unrolled: 1-line block ×14, first 2 shown]
	s_waitcnt vmcnt(39)
	ds_write2_b64 v166, v[56:57], v[58:59] offset0:54 offset1:55
	s_waitcnt vmcnt(38)
	ds_write2_b64 v166, v[52:53], v[54:55] offset0:56 offset1:57
	;; [unrolled: 2-line block ×12, first 2 shown]
	ds_write2_b64 v166, v[8:9], v[10:11] offset0:78 offset1:79
	ds_write2_b64 v166, v[4:5], v[6:7] offset0:80 offset1:81
	;; [unrolled: 1-line block ×3, first 2 shown]
	s_waitcnt vmcnt(25)
	ds_write2_b64 v166, v[168:169], v[170:171] offset0:84 offset1:85
	ds_read2_b64 v[172:175], v165 offset1:1
	s_waitcnt lgkmcnt(0)
	v_cmp_neq_f64_e32 vcc, 0, v[172:173]
	v_cmp_neq_f64_e64 s[2:3], 0, v[174:175]
	s_or_b64 s[2:3], vcc, s[2:3]
	s_and_b64 exec, exec, s[2:3]
	s_cbranch_execz .LBB85_116
; %bb.111:
	v_cmp_ngt_f64_e64 s[2:3], |v[172:173]|, |v[174:175]|
                                        ; implicit-def: $vgpr176_vgpr177
	s_and_saveexec_b64 s[10:11], s[2:3]
	s_xor_b64 s[2:3], exec, s[10:11]
                                        ; implicit-def: $vgpr178_vgpr179
	s_cbranch_execz .LBB85_113
; %bb.112:
	v_div_scale_f64 v[176:177], s[10:11], v[174:175], v[174:175], v[172:173]
	v_rcp_f64_e32 v[178:179], v[176:177]
	v_div_scale_f64 v[180:181], vcc, v[172:173], v[174:175], v[172:173]
	v_fma_f64 v[182:183], -v[176:177], v[178:179], 1.0
	v_fmac_f64_e32 v[178:179], v[178:179], v[182:183]
	v_fma_f64 v[182:183], -v[176:177], v[178:179], 1.0
	v_fmac_f64_e32 v[178:179], v[178:179], v[182:183]
	v_mul_f64 v[182:183], v[180:181], v[178:179]
	v_fma_f64 v[176:177], -v[176:177], v[182:183], v[180:181]
	v_div_fmas_f64 v[176:177], v[176:177], v[178:179], v[182:183]
	v_div_fixup_f64 v[176:177], v[176:177], v[174:175], v[172:173]
	v_fmac_f64_e32 v[174:175], v[172:173], v[176:177]
	v_div_scale_f64 v[172:173], s[10:11], v[174:175], v[174:175], 1.0
	v_rcp_f64_e32 v[178:179], v[172:173]
	s_nop 0
	v_fma_f64 v[180:181], -v[172:173], v[178:179], 1.0
	v_fmac_f64_e32 v[178:179], v[178:179], v[180:181]
	v_fma_f64 v[180:181], -v[172:173], v[178:179], 1.0
	v_fmac_f64_e32 v[178:179], v[178:179], v[180:181]
	v_div_scale_f64 v[180:181], vcc, 1.0, v[174:175], 1.0
	v_mul_f64 v[182:183], v[180:181], v[178:179]
	v_fma_f64 v[172:173], -v[172:173], v[182:183], v[180:181]
	s_nop 1
	v_div_fmas_f64 v[172:173], v[172:173], v[178:179], v[182:183]
	v_div_fixup_f64 v[178:179], v[172:173], v[174:175], 1.0
	v_mul_f64 v[176:177], v[176:177], v[178:179]
	v_xor_b32_e32 v179, 0x80000000, v179
                                        ; implicit-def: $vgpr172_vgpr173
.LBB85_113:
	s_andn2_saveexec_b64 s[2:3], s[2:3]
	s_cbranch_execz .LBB85_115
; %bb.114:
	v_div_scale_f64 v[176:177], s[10:11], v[172:173], v[172:173], v[174:175]
	v_rcp_f64_e32 v[178:179], v[176:177]
	v_div_scale_f64 v[180:181], vcc, v[174:175], v[172:173], v[174:175]
	v_fma_f64 v[182:183], -v[176:177], v[178:179], 1.0
	v_fmac_f64_e32 v[178:179], v[178:179], v[182:183]
	v_fma_f64 v[182:183], -v[176:177], v[178:179], 1.0
	v_fmac_f64_e32 v[178:179], v[178:179], v[182:183]
	v_mul_f64 v[182:183], v[180:181], v[178:179]
	v_fma_f64 v[176:177], -v[176:177], v[182:183], v[180:181]
	v_div_fmas_f64 v[176:177], v[176:177], v[178:179], v[182:183]
	v_div_fixup_f64 v[178:179], v[176:177], v[172:173], v[174:175]
	v_fmac_f64_e32 v[172:173], v[174:175], v[178:179]
	v_div_scale_f64 v[174:175], s[10:11], v[172:173], v[172:173], 1.0
	v_rcp_f64_e32 v[176:177], v[174:175]
	s_nop 0
	v_fma_f64 v[180:181], -v[174:175], v[176:177], 1.0
	v_fmac_f64_e32 v[176:177], v[176:177], v[180:181]
	v_fma_f64 v[180:181], -v[174:175], v[176:177], 1.0
	v_fmac_f64_e32 v[176:177], v[176:177], v[180:181]
	v_div_scale_f64 v[180:181], vcc, 1.0, v[172:173], 1.0
	v_mul_f64 v[182:183], v[180:181], v[176:177]
	v_fma_f64 v[174:175], -v[174:175], v[182:183], v[180:181]
	s_nop 1
	v_div_fmas_f64 v[174:175], v[174:175], v[176:177], v[182:183]
	v_div_fixup_f64 v[176:177], v[174:175], v[172:173], 1.0
	v_mul_f64 v[178:179], v[178:179], -v[176:177]
.LBB85_115:
	s_or_b64 exec, exec, s[2:3]
	ds_write2_b64 v165, v[176:177], v[178:179] offset1:1
.LBB85_116:
	s_or_b64 exec, exec, s[4:5]
	s_waitcnt lgkmcnt(0)
	s_barrier
	ds_read2_b64 v[172:175], v165 offset1:1
	v_cmp_lt_u32_e32 vcc, 12, v164
	s_waitcnt lgkmcnt(0)
	scratch_store_dwordx4 off, v[172:175], off offset:584 ; 16-byte Folded Spill
	s_and_saveexec_b64 s[2:3], vcc
	s_cbranch_execz .LBB85_118
; %bb.117:
	scratch_load_dwordx4 v[174:177], off, off offset:584 ; 16-byte Folded Reload
	s_waitcnt vmcnt(0)
	v_mul_f64 v[172:173], v[176:177], v[118:119]
	v_mul_f64 v[118:119], v[174:175], v[118:119]
	v_fma_f64 v[172:173], v[174:175], v[116:117], -v[172:173]
	v_fmac_f64_e32 v[118:119], v[176:177], v[116:117]
	ds_read2_b64 v[174:177], v166 offset0:26 offset1:27
	s_waitcnt lgkmcnt(0)
	v_mul_f64 v[116:117], v[176:177], v[118:119]
	v_fma_f64 v[116:117], v[174:175], v[172:173], -v[116:117]
	v_mul_f64 v[174:175], v[174:175], v[118:119]
	v_fmac_f64_e32 v[174:175], v[176:177], v[172:173]
	v_add_f64 v[114:115], v[114:115], -v[174:175]
	ds_read2_b64 v[174:177], v166 offset0:28 offset1:29
	v_add_f64 v[112:113], v[112:113], -v[116:117]
	s_waitcnt lgkmcnt(0)
	v_mul_f64 v[116:117], v[176:177], v[118:119]
	v_fma_f64 v[116:117], v[174:175], v[172:173], -v[116:117]
	v_mul_f64 v[174:175], v[174:175], v[118:119]
	v_fmac_f64_e32 v[174:175], v[176:177], v[172:173]
	v_add_f64 v[110:111], v[110:111], -v[174:175]
	ds_read2_b64 v[174:177], v166 offset0:30 offset1:31
	v_add_f64 v[108:109], v[108:109], -v[116:117]
	;; [unrolled: 8-line block ×29, first 2 shown]
	s_waitcnt lgkmcnt(0)
	v_mul_f64 v[116:117], v[176:177], v[118:119]
	v_fma_f64 v[116:117], v[174:175], v[172:173], -v[116:117]
	v_mul_f64 v[174:175], v[174:175], v[118:119]
	v_fmac_f64_e32 v[174:175], v[176:177], v[172:173]
	v_add_f64 v[168:169], v[168:169], -v[116:117]
	v_add_f64 v[170:171], v[170:171], -v[174:175]
	v_mov_b64_e32 v[116:117], v[172:173]
.LBB85_118:
	s_or_b64 exec, exec, s[2:3]
	v_cmp_eq_u32_e32 vcc, 13, v164
	s_waitcnt vmcnt(63) expcnt(7) lgkmcnt(15)
	s_barrier
	s_and_saveexec_b64 s[4:5], vcc
	s_cbranch_execz .LBB85_125
; %bb.119:
	ds_write2_b64 v165, v[112:113], v[114:115] offset1:1
	ds_write2_b64 v166, v[108:109], v[110:111] offset0:28 offset1:29
	ds_write2_b64 v166, v[104:105], v[106:107] offset0:30 offset1:31
	ds_write2_b64 v166, v[100:101], v[102:103] offset0:32 offset1:33
	ds_write2_b64 v166, v[96:97], v[98:99] offset0:34 offset1:35
	ds_write2_b64 v166, v[92:93], v[94:95] offset0:36 offset1:37
	ds_write2_b64 v166, v[88:89], v[90:91] offset0:38 offset1:39
	ds_write2_b64 v166, v[84:85], v[86:87] offset0:40 offset1:41
	ds_write2_b64 v166, v[80:81], v[82:83] offset0:42 offset1:43
	ds_write2_b64 v166, v[76:77], v[78:79] offset0:44 offset1:45
	ds_write2_b64 v166, v[72:73], v[74:75] offset0:46 offset1:47
	ds_write2_b64 v166, v[68:69], v[70:71] offset0:48 offset1:49
	ds_write2_b64 v166, v[64:65], v[66:67] offset0:50 offset1:51
	ds_write2_b64 v166, v[60:61], v[62:63] offset0:52 offset1:53
	s_waitcnt vmcnt(40)
	ds_write2_b64 v166, v[56:57], v[58:59] offset0:54 offset1:55
	s_waitcnt vmcnt(39)
	ds_write2_b64 v166, v[52:53], v[54:55] offset0:56 offset1:57
	s_waitcnt vmcnt(38)
	ds_write2_b64 v166, v[48:49], v[50:51] offset0:58 offset1:59
	s_waitcnt vmcnt(37)
	ds_write2_b64 v166, v[44:45], v[46:47] offset0:60 offset1:61
	s_waitcnt vmcnt(36)
	ds_write2_b64 v166, v[40:41], v[42:43] offset0:62 offset1:63
	s_waitcnt vmcnt(35)
	ds_write2_b64 v166, v[36:37], v[38:39] offset0:64 offset1:65
	s_waitcnt vmcnt(34)
	ds_write2_b64 v166, v[32:33], v[34:35] offset0:66 offset1:67
	s_waitcnt vmcnt(33)
	ds_write2_b64 v166, v[28:29], v[30:31] offset0:68 offset1:69
	s_waitcnt vmcnt(32)
	ds_write2_b64 v166, v[24:25], v[26:27] offset0:70 offset1:71
	s_waitcnt vmcnt(31)
	ds_write2_b64 v166, v[20:21], v[22:23] offset0:72 offset1:73
	s_waitcnt vmcnt(30)
	ds_write2_b64 v166, v[16:17], v[18:19] offset0:74 offset1:75
	s_waitcnt vmcnt(29)
	ds_write2_b64 v166, v[12:13], v[14:15] offset0:76 offset1:77
	ds_write2_b64 v166, v[8:9], v[10:11] offset0:78 offset1:79
	ds_write2_b64 v166, v[4:5], v[6:7] offset0:80 offset1:81
	;; [unrolled: 1-line block ×3, first 2 shown]
	s_waitcnt vmcnt(26)
	ds_write2_b64 v166, v[168:169], v[170:171] offset0:84 offset1:85
	ds_read2_b64 v[172:175], v165 offset1:1
	s_waitcnt lgkmcnt(0)
	v_cmp_neq_f64_e32 vcc, 0, v[172:173]
	v_cmp_neq_f64_e64 s[2:3], 0, v[174:175]
	s_or_b64 s[2:3], vcc, s[2:3]
	s_and_b64 exec, exec, s[2:3]
	s_cbranch_execz .LBB85_125
; %bb.120:
	v_cmp_ngt_f64_e64 s[2:3], |v[172:173]|, |v[174:175]|
                                        ; implicit-def: $vgpr176_vgpr177
	s_and_saveexec_b64 s[10:11], s[2:3]
	s_xor_b64 s[2:3], exec, s[10:11]
                                        ; implicit-def: $vgpr178_vgpr179
	s_cbranch_execz .LBB85_122
; %bb.121:
	v_div_scale_f64 v[176:177], s[10:11], v[174:175], v[174:175], v[172:173]
	v_rcp_f64_e32 v[178:179], v[176:177]
	v_div_scale_f64 v[180:181], vcc, v[172:173], v[174:175], v[172:173]
	v_fma_f64 v[182:183], -v[176:177], v[178:179], 1.0
	v_fmac_f64_e32 v[178:179], v[178:179], v[182:183]
	v_fma_f64 v[182:183], -v[176:177], v[178:179], 1.0
	v_fmac_f64_e32 v[178:179], v[178:179], v[182:183]
	v_mul_f64 v[182:183], v[180:181], v[178:179]
	v_fma_f64 v[176:177], -v[176:177], v[182:183], v[180:181]
	v_div_fmas_f64 v[176:177], v[176:177], v[178:179], v[182:183]
	v_div_fixup_f64 v[176:177], v[176:177], v[174:175], v[172:173]
	v_fmac_f64_e32 v[174:175], v[172:173], v[176:177]
	v_div_scale_f64 v[172:173], s[10:11], v[174:175], v[174:175], 1.0
	v_rcp_f64_e32 v[178:179], v[172:173]
	s_nop 0
	v_fma_f64 v[180:181], -v[172:173], v[178:179], 1.0
	v_fmac_f64_e32 v[178:179], v[178:179], v[180:181]
	v_fma_f64 v[180:181], -v[172:173], v[178:179], 1.0
	v_fmac_f64_e32 v[178:179], v[178:179], v[180:181]
	v_div_scale_f64 v[180:181], vcc, 1.0, v[174:175], 1.0
	v_mul_f64 v[182:183], v[180:181], v[178:179]
	v_fma_f64 v[172:173], -v[172:173], v[182:183], v[180:181]
	s_nop 1
	v_div_fmas_f64 v[172:173], v[172:173], v[178:179], v[182:183]
	v_div_fixup_f64 v[178:179], v[172:173], v[174:175], 1.0
	v_mul_f64 v[176:177], v[176:177], v[178:179]
	v_xor_b32_e32 v179, 0x80000000, v179
                                        ; implicit-def: $vgpr172_vgpr173
.LBB85_122:
	s_andn2_saveexec_b64 s[2:3], s[2:3]
	s_cbranch_execz .LBB85_124
; %bb.123:
	v_div_scale_f64 v[176:177], s[10:11], v[172:173], v[172:173], v[174:175]
	v_rcp_f64_e32 v[178:179], v[176:177]
	v_div_scale_f64 v[180:181], vcc, v[174:175], v[172:173], v[174:175]
	v_fma_f64 v[182:183], -v[176:177], v[178:179], 1.0
	v_fmac_f64_e32 v[178:179], v[178:179], v[182:183]
	v_fma_f64 v[182:183], -v[176:177], v[178:179], 1.0
	v_fmac_f64_e32 v[178:179], v[178:179], v[182:183]
	v_mul_f64 v[182:183], v[180:181], v[178:179]
	v_fma_f64 v[176:177], -v[176:177], v[182:183], v[180:181]
	v_div_fmas_f64 v[176:177], v[176:177], v[178:179], v[182:183]
	v_div_fixup_f64 v[178:179], v[176:177], v[172:173], v[174:175]
	v_fmac_f64_e32 v[172:173], v[174:175], v[178:179]
	v_div_scale_f64 v[174:175], s[10:11], v[172:173], v[172:173], 1.0
	v_rcp_f64_e32 v[176:177], v[174:175]
	s_nop 0
	v_fma_f64 v[180:181], -v[174:175], v[176:177], 1.0
	v_fmac_f64_e32 v[176:177], v[176:177], v[180:181]
	v_fma_f64 v[180:181], -v[174:175], v[176:177], 1.0
	v_fmac_f64_e32 v[176:177], v[176:177], v[180:181]
	v_div_scale_f64 v[180:181], vcc, 1.0, v[172:173], 1.0
	v_mul_f64 v[182:183], v[180:181], v[176:177]
	v_fma_f64 v[174:175], -v[174:175], v[182:183], v[180:181]
	s_nop 1
	v_div_fmas_f64 v[174:175], v[174:175], v[176:177], v[182:183]
	v_div_fixup_f64 v[176:177], v[174:175], v[172:173], 1.0
	v_mul_f64 v[178:179], v[178:179], -v[176:177]
.LBB85_124:
	s_or_b64 exec, exec, s[2:3]
	ds_write2_b64 v165, v[176:177], v[178:179] offset1:1
.LBB85_125:
	s_or_b64 exec, exec, s[4:5]
	s_waitcnt lgkmcnt(0)
	s_barrier
	ds_read2_b64 v[172:175], v165 offset1:1
	v_cmp_lt_u32_e32 vcc, 13, v164
	s_waitcnt lgkmcnt(0)
	scratch_store_dwordx4 off, v[172:175], off offset:600 ; 16-byte Folded Spill
	s_and_saveexec_b64 s[2:3], vcc
	s_cbranch_execz .LBB85_127
; %bb.126:
	scratch_load_dwordx4 v[174:177], off, off offset:600 ; 16-byte Folded Reload
	s_waitcnt vmcnt(0)
	v_mul_f64 v[172:173], v[176:177], v[114:115]
	v_mul_f64 v[114:115], v[174:175], v[114:115]
	v_fma_f64 v[172:173], v[174:175], v[112:113], -v[172:173]
	v_fmac_f64_e32 v[114:115], v[176:177], v[112:113]
	ds_read2_b64 v[174:177], v166 offset0:28 offset1:29
	s_waitcnt lgkmcnt(0)
	v_mul_f64 v[112:113], v[176:177], v[114:115]
	v_fma_f64 v[112:113], v[174:175], v[172:173], -v[112:113]
	v_mul_f64 v[174:175], v[174:175], v[114:115]
	v_fmac_f64_e32 v[174:175], v[176:177], v[172:173]
	v_add_f64 v[110:111], v[110:111], -v[174:175]
	ds_read2_b64 v[174:177], v166 offset0:30 offset1:31
	v_add_f64 v[108:109], v[108:109], -v[112:113]
	s_waitcnt lgkmcnt(0)
	v_mul_f64 v[112:113], v[176:177], v[114:115]
	v_fma_f64 v[112:113], v[174:175], v[172:173], -v[112:113]
	v_mul_f64 v[174:175], v[174:175], v[114:115]
	v_fmac_f64_e32 v[174:175], v[176:177], v[172:173]
	v_add_f64 v[106:107], v[106:107], -v[174:175]
	ds_read2_b64 v[174:177], v166 offset0:32 offset1:33
	v_add_f64 v[104:105], v[104:105], -v[112:113]
	;; [unrolled: 8-line block ×28, first 2 shown]
	s_waitcnt lgkmcnt(0)
	v_mul_f64 v[112:113], v[176:177], v[114:115]
	v_fma_f64 v[112:113], v[174:175], v[172:173], -v[112:113]
	v_mul_f64 v[174:175], v[174:175], v[114:115]
	v_fmac_f64_e32 v[174:175], v[176:177], v[172:173]
	v_add_f64 v[168:169], v[168:169], -v[112:113]
	v_add_f64 v[170:171], v[170:171], -v[174:175]
	v_mov_b64_e32 v[112:113], v[172:173]
.LBB85_127:
	s_or_b64 exec, exec, s[2:3]
	v_cmp_eq_u32_e32 vcc, 14, v164
	s_waitcnt vmcnt(63) expcnt(7) lgkmcnt(15)
	s_barrier
	s_and_saveexec_b64 s[4:5], vcc
	s_cbranch_execz .LBB85_134
; %bb.128:
	ds_write2_b64 v165, v[108:109], v[110:111] offset1:1
	ds_write2_b64 v166, v[104:105], v[106:107] offset0:30 offset1:31
	ds_write2_b64 v166, v[100:101], v[102:103] offset0:32 offset1:33
	ds_write2_b64 v166, v[96:97], v[98:99] offset0:34 offset1:35
	ds_write2_b64 v166, v[92:93], v[94:95] offset0:36 offset1:37
	ds_write2_b64 v166, v[88:89], v[90:91] offset0:38 offset1:39
	ds_write2_b64 v166, v[84:85], v[86:87] offset0:40 offset1:41
	ds_write2_b64 v166, v[80:81], v[82:83] offset0:42 offset1:43
	ds_write2_b64 v166, v[76:77], v[78:79] offset0:44 offset1:45
	ds_write2_b64 v166, v[72:73], v[74:75] offset0:46 offset1:47
	ds_write2_b64 v166, v[68:69], v[70:71] offset0:48 offset1:49
	ds_write2_b64 v166, v[64:65], v[66:67] offset0:50 offset1:51
	ds_write2_b64 v166, v[60:61], v[62:63] offset0:52 offset1:53
	s_waitcnt vmcnt(41)
	ds_write2_b64 v166, v[56:57], v[58:59] offset0:54 offset1:55
	s_waitcnt vmcnt(40)
	ds_write2_b64 v166, v[52:53], v[54:55] offset0:56 offset1:57
	;; [unrolled: 2-line block ×12, first 2 shown]
	ds_write2_b64 v166, v[8:9], v[10:11] offset0:78 offset1:79
	ds_write2_b64 v166, v[4:5], v[6:7] offset0:80 offset1:81
	;; [unrolled: 1-line block ×3, first 2 shown]
	s_waitcnt vmcnt(27)
	ds_write2_b64 v166, v[168:169], v[170:171] offset0:84 offset1:85
	ds_read2_b64 v[172:175], v165 offset1:1
	s_waitcnt lgkmcnt(0)
	v_cmp_neq_f64_e32 vcc, 0, v[172:173]
	v_cmp_neq_f64_e64 s[2:3], 0, v[174:175]
	s_or_b64 s[2:3], vcc, s[2:3]
	s_and_b64 exec, exec, s[2:3]
	s_cbranch_execz .LBB85_134
; %bb.129:
	v_cmp_ngt_f64_e64 s[2:3], |v[172:173]|, |v[174:175]|
                                        ; implicit-def: $vgpr176_vgpr177
	s_and_saveexec_b64 s[10:11], s[2:3]
	s_xor_b64 s[2:3], exec, s[10:11]
                                        ; implicit-def: $vgpr178_vgpr179
	s_cbranch_execz .LBB85_131
; %bb.130:
	v_div_scale_f64 v[176:177], s[10:11], v[174:175], v[174:175], v[172:173]
	v_rcp_f64_e32 v[178:179], v[176:177]
	v_div_scale_f64 v[180:181], vcc, v[172:173], v[174:175], v[172:173]
	v_fma_f64 v[182:183], -v[176:177], v[178:179], 1.0
	v_fmac_f64_e32 v[178:179], v[178:179], v[182:183]
	v_fma_f64 v[182:183], -v[176:177], v[178:179], 1.0
	v_fmac_f64_e32 v[178:179], v[178:179], v[182:183]
	v_mul_f64 v[182:183], v[180:181], v[178:179]
	v_fma_f64 v[176:177], -v[176:177], v[182:183], v[180:181]
	v_div_fmas_f64 v[176:177], v[176:177], v[178:179], v[182:183]
	v_div_fixup_f64 v[176:177], v[176:177], v[174:175], v[172:173]
	v_fmac_f64_e32 v[174:175], v[172:173], v[176:177]
	v_div_scale_f64 v[172:173], s[10:11], v[174:175], v[174:175], 1.0
	v_rcp_f64_e32 v[178:179], v[172:173]
	s_nop 0
	v_fma_f64 v[180:181], -v[172:173], v[178:179], 1.0
	v_fmac_f64_e32 v[178:179], v[178:179], v[180:181]
	v_fma_f64 v[180:181], -v[172:173], v[178:179], 1.0
	v_fmac_f64_e32 v[178:179], v[178:179], v[180:181]
	v_div_scale_f64 v[180:181], vcc, 1.0, v[174:175], 1.0
	v_mul_f64 v[182:183], v[180:181], v[178:179]
	v_fma_f64 v[172:173], -v[172:173], v[182:183], v[180:181]
	s_nop 1
	v_div_fmas_f64 v[172:173], v[172:173], v[178:179], v[182:183]
	v_div_fixup_f64 v[178:179], v[172:173], v[174:175], 1.0
	v_mul_f64 v[176:177], v[176:177], v[178:179]
	v_xor_b32_e32 v179, 0x80000000, v179
                                        ; implicit-def: $vgpr172_vgpr173
.LBB85_131:
	s_andn2_saveexec_b64 s[2:3], s[2:3]
	s_cbranch_execz .LBB85_133
; %bb.132:
	v_div_scale_f64 v[176:177], s[10:11], v[172:173], v[172:173], v[174:175]
	v_rcp_f64_e32 v[178:179], v[176:177]
	v_div_scale_f64 v[180:181], vcc, v[174:175], v[172:173], v[174:175]
	v_fma_f64 v[182:183], -v[176:177], v[178:179], 1.0
	v_fmac_f64_e32 v[178:179], v[178:179], v[182:183]
	v_fma_f64 v[182:183], -v[176:177], v[178:179], 1.0
	v_fmac_f64_e32 v[178:179], v[178:179], v[182:183]
	v_mul_f64 v[182:183], v[180:181], v[178:179]
	v_fma_f64 v[176:177], -v[176:177], v[182:183], v[180:181]
	v_div_fmas_f64 v[176:177], v[176:177], v[178:179], v[182:183]
	v_div_fixup_f64 v[178:179], v[176:177], v[172:173], v[174:175]
	v_fmac_f64_e32 v[172:173], v[174:175], v[178:179]
	v_div_scale_f64 v[174:175], s[10:11], v[172:173], v[172:173], 1.0
	v_rcp_f64_e32 v[176:177], v[174:175]
	s_nop 0
	v_fma_f64 v[180:181], -v[174:175], v[176:177], 1.0
	v_fmac_f64_e32 v[176:177], v[176:177], v[180:181]
	v_fma_f64 v[180:181], -v[174:175], v[176:177], 1.0
	v_fmac_f64_e32 v[176:177], v[176:177], v[180:181]
	v_div_scale_f64 v[180:181], vcc, 1.0, v[172:173], 1.0
	v_mul_f64 v[182:183], v[180:181], v[176:177]
	v_fma_f64 v[174:175], -v[174:175], v[182:183], v[180:181]
	s_nop 1
	v_div_fmas_f64 v[174:175], v[174:175], v[176:177], v[182:183]
	v_div_fixup_f64 v[176:177], v[174:175], v[172:173], 1.0
	v_mul_f64 v[178:179], v[178:179], -v[176:177]
.LBB85_133:
	s_or_b64 exec, exec, s[2:3]
	ds_write2_b64 v165, v[176:177], v[178:179] offset1:1
.LBB85_134:
	s_or_b64 exec, exec, s[4:5]
	s_waitcnt lgkmcnt(0)
	s_barrier
	ds_read2_b64 v[172:175], v165 offset1:1
	v_cmp_lt_u32_e32 vcc, 14, v164
	s_waitcnt lgkmcnt(0)
	scratch_store_dwordx4 off, v[172:175], off offset:616 ; 16-byte Folded Spill
	s_and_saveexec_b64 s[2:3], vcc
	s_cbranch_execz .LBB85_136
; %bb.135:
	scratch_load_dwordx4 v[174:177], off, off offset:616 ; 16-byte Folded Reload
	s_waitcnt vmcnt(0)
	v_mul_f64 v[172:173], v[176:177], v[110:111]
	v_mul_f64 v[110:111], v[174:175], v[110:111]
	v_fma_f64 v[172:173], v[174:175], v[108:109], -v[172:173]
	v_fmac_f64_e32 v[110:111], v[176:177], v[108:109]
	ds_read2_b64 v[174:177], v166 offset0:30 offset1:31
	s_waitcnt lgkmcnt(0)
	v_mul_f64 v[108:109], v[176:177], v[110:111]
	v_fma_f64 v[108:109], v[174:175], v[172:173], -v[108:109]
	v_mul_f64 v[174:175], v[174:175], v[110:111]
	v_fmac_f64_e32 v[174:175], v[176:177], v[172:173]
	v_add_f64 v[106:107], v[106:107], -v[174:175]
	ds_read2_b64 v[174:177], v166 offset0:32 offset1:33
	v_add_f64 v[104:105], v[104:105], -v[108:109]
	s_waitcnt lgkmcnt(0)
	v_mul_f64 v[108:109], v[176:177], v[110:111]
	v_fma_f64 v[108:109], v[174:175], v[172:173], -v[108:109]
	v_mul_f64 v[174:175], v[174:175], v[110:111]
	v_fmac_f64_e32 v[174:175], v[176:177], v[172:173]
	v_add_f64 v[102:103], v[102:103], -v[174:175]
	ds_read2_b64 v[174:177], v166 offset0:34 offset1:35
	v_add_f64 v[100:101], v[100:101], -v[108:109]
	;; [unrolled: 8-line block ×27, first 2 shown]
	s_waitcnt lgkmcnt(0)
	v_mul_f64 v[108:109], v[176:177], v[110:111]
	v_fma_f64 v[108:109], v[174:175], v[172:173], -v[108:109]
	v_mul_f64 v[174:175], v[174:175], v[110:111]
	v_fmac_f64_e32 v[174:175], v[176:177], v[172:173]
	v_add_f64 v[168:169], v[168:169], -v[108:109]
	v_add_f64 v[170:171], v[170:171], -v[174:175]
	v_mov_b64_e32 v[108:109], v[172:173]
.LBB85_136:
	s_or_b64 exec, exec, s[2:3]
	v_cmp_eq_u32_e32 vcc, 15, v164
	s_waitcnt vmcnt(63) expcnt(7) lgkmcnt(15)
	s_barrier
	s_and_saveexec_b64 s[4:5], vcc
	s_cbranch_execz .LBB85_143
; %bb.137:
	ds_write2_b64 v165, v[104:105], v[106:107] offset1:1
	ds_write2_b64 v166, v[100:101], v[102:103] offset0:32 offset1:33
	ds_write2_b64 v166, v[96:97], v[98:99] offset0:34 offset1:35
	;; [unrolled: 1-line block ×11, first 2 shown]
	s_waitcnt vmcnt(42)
	ds_write2_b64 v166, v[56:57], v[58:59] offset0:54 offset1:55
	s_waitcnt vmcnt(41)
	ds_write2_b64 v166, v[52:53], v[54:55] offset0:56 offset1:57
	;; [unrolled: 2-line block ×12, first 2 shown]
	ds_write2_b64 v166, v[8:9], v[10:11] offset0:78 offset1:79
	ds_write2_b64 v166, v[4:5], v[6:7] offset0:80 offset1:81
	;; [unrolled: 1-line block ×3, first 2 shown]
	s_waitcnt vmcnt(28)
	ds_write2_b64 v166, v[168:169], v[170:171] offset0:84 offset1:85
	ds_read2_b64 v[172:175], v165 offset1:1
	s_waitcnt lgkmcnt(0)
	v_cmp_neq_f64_e32 vcc, 0, v[172:173]
	v_cmp_neq_f64_e64 s[2:3], 0, v[174:175]
	s_or_b64 s[2:3], vcc, s[2:3]
	s_and_b64 exec, exec, s[2:3]
	s_cbranch_execz .LBB85_143
; %bb.138:
	v_cmp_ngt_f64_e64 s[2:3], |v[172:173]|, |v[174:175]|
                                        ; implicit-def: $vgpr176_vgpr177
	s_and_saveexec_b64 s[10:11], s[2:3]
	s_xor_b64 s[2:3], exec, s[10:11]
                                        ; implicit-def: $vgpr178_vgpr179
	s_cbranch_execz .LBB85_140
; %bb.139:
	v_div_scale_f64 v[176:177], s[10:11], v[174:175], v[174:175], v[172:173]
	v_rcp_f64_e32 v[178:179], v[176:177]
	v_div_scale_f64 v[180:181], vcc, v[172:173], v[174:175], v[172:173]
	v_fma_f64 v[182:183], -v[176:177], v[178:179], 1.0
	v_fmac_f64_e32 v[178:179], v[178:179], v[182:183]
	v_fma_f64 v[182:183], -v[176:177], v[178:179], 1.0
	v_fmac_f64_e32 v[178:179], v[178:179], v[182:183]
	v_mul_f64 v[182:183], v[180:181], v[178:179]
	v_fma_f64 v[176:177], -v[176:177], v[182:183], v[180:181]
	v_div_fmas_f64 v[176:177], v[176:177], v[178:179], v[182:183]
	v_div_fixup_f64 v[176:177], v[176:177], v[174:175], v[172:173]
	v_fmac_f64_e32 v[174:175], v[172:173], v[176:177]
	v_div_scale_f64 v[172:173], s[10:11], v[174:175], v[174:175], 1.0
	v_rcp_f64_e32 v[178:179], v[172:173]
	s_nop 0
	v_fma_f64 v[180:181], -v[172:173], v[178:179], 1.0
	v_fmac_f64_e32 v[178:179], v[178:179], v[180:181]
	v_fma_f64 v[180:181], -v[172:173], v[178:179], 1.0
	v_fmac_f64_e32 v[178:179], v[178:179], v[180:181]
	v_div_scale_f64 v[180:181], vcc, 1.0, v[174:175], 1.0
	v_mul_f64 v[182:183], v[180:181], v[178:179]
	v_fma_f64 v[172:173], -v[172:173], v[182:183], v[180:181]
	s_nop 1
	v_div_fmas_f64 v[172:173], v[172:173], v[178:179], v[182:183]
	v_div_fixup_f64 v[178:179], v[172:173], v[174:175], 1.0
	v_mul_f64 v[176:177], v[176:177], v[178:179]
	v_xor_b32_e32 v179, 0x80000000, v179
                                        ; implicit-def: $vgpr172_vgpr173
.LBB85_140:
	s_andn2_saveexec_b64 s[2:3], s[2:3]
	s_cbranch_execz .LBB85_142
; %bb.141:
	v_div_scale_f64 v[176:177], s[10:11], v[172:173], v[172:173], v[174:175]
	v_rcp_f64_e32 v[178:179], v[176:177]
	v_div_scale_f64 v[180:181], vcc, v[174:175], v[172:173], v[174:175]
	v_fma_f64 v[182:183], -v[176:177], v[178:179], 1.0
	v_fmac_f64_e32 v[178:179], v[178:179], v[182:183]
	v_fma_f64 v[182:183], -v[176:177], v[178:179], 1.0
	v_fmac_f64_e32 v[178:179], v[178:179], v[182:183]
	v_mul_f64 v[182:183], v[180:181], v[178:179]
	v_fma_f64 v[176:177], -v[176:177], v[182:183], v[180:181]
	v_div_fmas_f64 v[176:177], v[176:177], v[178:179], v[182:183]
	v_div_fixup_f64 v[178:179], v[176:177], v[172:173], v[174:175]
	v_fmac_f64_e32 v[172:173], v[174:175], v[178:179]
	v_div_scale_f64 v[174:175], s[10:11], v[172:173], v[172:173], 1.0
	v_rcp_f64_e32 v[176:177], v[174:175]
	s_nop 0
	v_fma_f64 v[180:181], -v[174:175], v[176:177], 1.0
	v_fmac_f64_e32 v[176:177], v[176:177], v[180:181]
	v_fma_f64 v[180:181], -v[174:175], v[176:177], 1.0
	v_fmac_f64_e32 v[176:177], v[176:177], v[180:181]
	v_div_scale_f64 v[180:181], vcc, 1.0, v[172:173], 1.0
	v_mul_f64 v[182:183], v[180:181], v[176:177]
	v_fma_f64 v[174:175], -v[174:175], v[182:183], v[180:181]
	s_nop 1
	v_div_fmas_f64 v[174:175], v[174:175], v[176:177], v[182:183]
	v_div_fixup_f64 v[176:177], v[174:175], v[172:173], 1.0
	v_mul_f64 v[178:179], v[178:179], -v[176:177]
.LBB85_142:
	s_or_b64 exec, exec, s[2:3]
	ds_write2_b64 v165, v[176:177], v[178:179] offset1:1
.LBB85_143:
	s_or_b64 exec, exec, s[4:5]
	s_waitcnt lgkmcnt(0)
	s_barrier
	ds_read2_b64 v[172:175], v165 offset1:1
	v_cmp_lt_u32_e32 vcc, 15, v164
	s_waitcnt lgkmcnt(0)
	scratch_store_dwordx4 off, v[172:175], off offset:632 ; 16-byte Folded Spill
	s_and_saveexec_b64 s[2:3], vcc
	s_cbranch_execz .LBB85_145
; %bb.144:
	scratch_load_dwordx4 v[174:177], off, off offset:632 ; 16-byte Folded Reload
	s_waitcnt vmcnt(0)
	v_mul_f64 v[172:173], v[176:177], v[106:107]
	v_mul_f64 v[106:107], v[174:175], v[106:107]
	v_fma_f64 v[172:173], v[174:175], v[104:105], -v[172:173]
	v_fmac_f64_e32 v[106:107], v[176:177], v[104:105]
	ds_read2_b64 v[174:177], v166 offset0:32 offset1:33
	s_waitcnt lgkmcnt(0)
	v_mul_f64 v[104:105], v[176:177], v[106:107]
	v_fma_f64 v[104:105], v[174:175], v[172:173], -v[104:105]
	v_mul_f64 v[174:175], v[174:175], v[106:107]
	v_fmac_f64_e32 v[174:175], v[176:177], v[172:173]
	v_add_f64 v[102:103], v[102:103], -v[174:175]
	ds_read2_b64 v[174:177], v166 offset0:34 offset1:35
	v_add_f64 v[100:101], v[100:101], -v[104:105]
	s_waitcnt lgkmcnt(0)
	v_mul_f64 v[104:105], v[176:177], v[106:107]
	v_fma_f64 v[104:105], v[174:175], v[172:173], -v[104:105]
	v_mul_f64 v[174:175], v[174:175], v[106:107]
	v_fmac_f64_e32 v[174:175], v[176:177], v[172:173]
	v_add_f64 v[98:99], v[98:99], -v[174:175]
	ds_read2_b64 v[174:177], v166 offset0:36 offset1:37
	v_add_f64 v[96:97], v[96:97], -v[104:105]
	;; [unrolled: 8-line block ×26, first 2 shown]
	s_waitcnt lgkmcnt(0)
	v_mul_f64 v[104:105], v[176:177], v[106:107]
	v_fma_f64 v[104:105], v[174:175], v[172:173], -v[104:105]
	v_mul_f64 v[174:175], v[174:175], v[106:107]
	v_fmac_f64_e32 v[174:175], v[176:177], v[172:173]
	v_add_f64 v[168:169], v[168:169], -v[104:105]
	v_add_f64 v[170:171], v[170:171], -v[174:175]
	v_mov_b64_e32 v[104:105], v[172:173]
.LBB85_145:
	s_or_b64 exec, exec, s[2:3]
	v_cmp_eq_u32_e32 vcc, 16, v164
	s_waitcnt vmcnt(63) expcnt(7) lgkmcnt(15)
	s_barrier
	s_and_saveexec_b64 s[4:5], vcc
	s_cbranch_execz .LBB85_152
; %bb.146:
	ds_write2_b64 v165, v[100:101], v[102:103] offset1:1
	ds_write2_b64 v166, v[96:97], v[98:99] offset0:34 offset1:35
	ds_write2_b64 v166, v[92:93], v[94:95] offset0:36 offset1:37
	;; [unrolled: 1-line block ×10, first 2 shown]
	s_waitcnt vmcnt(43)
	ds_write2_b64 v166, v[56:57], v[58:59] offset0:54 offset1:55
	s_waitcnt vmcnt(42)
	ds_write2_b64 v166, v[52:53], v[54:55] offset0:56 offset1:57
	;; [unrolled: 2-line block ×12, first 2 shown]
	ds_write2_b64 v166, v[8:9], v[10:11] offset0:78 offset1:79
	ds_write2_b64 v166, v[4:5], v[6:7] offset0:80 offset1:81
	;; [unrolled: 1-line block ×3, first 2 shown]
	s_waitcnt vmcnt(29)
	ds_write2_b64 v166, v[168:169], v[170:171] offset0:84 offset1:85
	ds_read2_b64 v[172:175], v165 offset1:1
	s_waitcnt lgkmcnt(0)
	v_cmp_neq_f64_e32 vcc, 0, v[172:173]
	v_cmp_neq_f64_e64 s[2:3], 0, v[174:175]
	s_or_b64 s[2:3], vcc, s[2:3]
	s_and_b64 exec, exec, s[2:3]
	s_cbranch_execz .LBB85_152
; %bb.147:
	v_cmp_ngt_f64_e64 s[2:3], |v[172:173]|, |v[174:175]|
                                        ; implicit-def: $vgpr176_vgpr177
	s_and_saveexec_b64 s[10:11], s[2:3]
	s_xor_b64 s[2:3], exec, s[10:11]
                                        ; implicit-def: $vgpr178_vgpr179
	s_cbranch_execz .LBB85_149
; %bb.148:
	v_div_scale_f64 v[176:177], s[10:11], v[174:175], v[174:175], v[172:173]
	v_rcp_f64_e32 v[178:179], v[176:177]
	v_div_scale_f64 v[180:181], vcc, v[172:173], v[174:175], v[172:173]
	v_fma_f64 v[182:183], -v[176:177], v[178:179], 1.0
	v_fmac_f64_e32 v[178:179], v[178:179], v[182:183]
	v_fma_f64 v[182:183], -v[176:177], v[178:179], 1.0
	v_fmac_f64_e32 v[178:179], v[178:179], v[182:183]
	v_mul_f64 v[182:183], v[180:181], v[178:179]
	v_fma_f64 v[176:177], -v[176:177], v[182:183], v[180:181]
	v_div_fmas_f64 v[176:177], v[176:177], v[178:179], v[182:183]
	v_div_fixup_f64 v[176:177], v[176:177], v[174:175], v[172:173]
	v_fmac_f64_e32 v[174:175], v[172:173], v[176:177]
	v_div_scale_f64 v[172:173], s[10:11], v[174:175], v[174:175], 1.0
	v_rcp_f64_e32 v[178:179], v[172:173]
	s_nop 0
	v_fma_f64 v[180:181], -v[172:173], v[178:179], 1.0
	v_fmac_f64_e32 v[178:179], v[178:179], v[180:181]
	v_fma_f64 v[180:181], -v[172:173], v[178:179], 1.0
	v_fmac_f64_e32 v[178:179], v[178:179], v[180:181]
	v_div_scale_f64 v[180:181], vcc, 1.0, v[174:175], 1.0
	v_mul_f64 v[182:183], v[180:181], v[178:179]
	v_fma_f64 v[172:173], -v[172:173], v[182:183], v[180:181]
	s_nop 1
	v_div_fmas_f64 v[172:173], v[172:173], v[178:179], v[182:183]
	v_div_fixup_f64 v[178:179], v[172:173], v[174:175], 1.0
	v_mul_f64 v[176:177], v[176:177], v[178:179]
	v_xor_b32_e32 v179, 0x80000000, v179
                                        ; implicit-def: $vgpr172_vgpr173
.LBB85_149:
	s_andn2_saveexec_b64 s[2:3], s[2:3]
	s_cbranch_execz .LBB85_151
; %bb.150:
	v_div_scale_f64 v[176:177], s[10:11], v[172:173], v[172:173], v[174:175]
	v_rcp_f64_e32 v[178:179], v[176:177]
	v_div_scale_f64 v[180:181], vcc, v[174:175], v[172:173], v[174:175]
	v_fma_f64 v[182:183], -v[176:177], v[178:179], 1.0
	v_fmac_f64_e32 v[178:179], v[178:179], v[182:183]
	v_fma_f64 v[182:183], -v[176:177], v[178:179], 1.0
	v_fmac_f64_e32 v[178:179], v[178:179], v[182:183]
	v_mul_f64 v[182:183], v[180:181], v[178:179]
	v_fma_f64 v[176:177], -v[176:177], v[182:183], v[180:181]
	v_div_fmas_f64 v[176:177], v[176:177], v[178:179], v[182:183]
	v_div_fixup_f64 v[178:179], v[176:177], v[172:173], v[174:175]
	v_fmac_f64_e32 v[172:173], v[174:175], v[178:179]
	v_div_scale_f64 v[174:175], s[10:11], v[172:173], v[172:173], 1.0
	v_rcp_f64_e32 v[176:177], v[174:175]
	s_nop 0
	v_fma_f64 v[180:181], -v[174:175], v[176:177], 1.0
	v_fmac_f64_e32 v[176:177], v[176:177], v[180:181]
	v_fma_f64 v[180:181], -v[174:175], v[176:177], 1.0
	v_fmac_f64_e32 v[176:177], v[176:177], v[180:181]
	v_div_scale_f64 v[180:181], vcc, 1.0, v[172:173], 1.0
	v_mul_f64 v[182:183], v[180:181], v[176:177]
	v_fma_f64 v[174:175], -v[174:175], v[182:183], v[180:181]
	s_nop 1
	v_div_fmas_f64 v[174:175], v[174:175], v[176:177], v[182:183]
	v_div_fixup_f64 v[176:177], v[174:175], v[172:173], 1.0
	v_mul_f64 v[178:179], v[178:179], -v[176:177]
.LBB85_151:
	s_or_b64 exec, exec, s[2:3]
	ds_write2_b64 v165, v[176:177], v[178:179] offset1:1
.LBB85_152:
	s_or_b64 exec, exec, s[4:5]
	s_waitcnt lgkmcnt(0)
	s_barrier
	ds_read2_b64 v[172:175], v165 offset1:1
	v_cmp_lt_u32_e32 vcc, 16, v164
	s_waitcnt lgkmcnt(0)
	scratch_store_dwordx4 off, v[172:175], off offset:648 ; 16-byte Folded Spill
	s_and_saveexec_b64 s[2:3], vcc
	s_cbranch_execz .LBB85_154
; %bb.153:
	scratch_load_dwordx4 v[174:177], off, off offset:648 ; 16-byte Folded Reload
	s_waitcnt vmcnt(0)
	v_mul_f64 v[172:173], v[176:177], v[102:103]
	v_mul_f64 v[102:103], v[174:175], v[102:103]
	v_fma_f64 v[172:173], v[174:175], v[100:101], -v[172:173]
	v_fmac_f64_e32 v[102:103], v[176:177], v[100:101]
	ds_read2_b64 v[174:177], v166 offset0:34 offset1:35
	s_waitcnt lgkmcnt(0)
	v_mul_f64 v[100:101], v[176:177], v[102:103]
	v_fma_f64 v[100:101], v[174:175], v[172:173], -v[100:101]
	v_mul_f64 v[174:175], v[174:175], v[102:103]
	v_fmac_f64_e32 v[174:175], v[176:177], v[172:173]
	v_add_f64 v[98:99], v[98:99], -v[174:175]
	ds_read2_b64 v[174:177], v166 offset0:36 offset1:37
	v_add_f64 v[96:97], v[96:97], -v[100:101]
	s_waitcnt lgkmcnt(0)
	v_mul_f64 v[100:101], v[176:177], v[102:103]
	v_fma_f64 v[100:101], v[174:175], v[172:173], -v[100:101]
	v_mul_f64 v[174:175], v[174:175], v[102:103]
	v_fmac_f64_e32 v[174:175], v[176:177], v[172:173]
	v_add_f64 v[94:95], v[94:95], -v[174:175]
	ds_read2_b64 v[174:177], v166 offset0:38 offset1:39
	v_add_f64 v[92:93], v[92:93], -v[100:101]
	;; [unrolled: 8-line block ×25, first 2 shown]
	s_waitcnt lgkmcnt(0)
	v_mul_f64 v[100:101], v[176:177], v[102:103]
	v_fma_f64 v[100:101], v[174:175], v[172:173], -v[100:101]
	v_mul_f64 v[174:175], v[174:175], v[102:103]
	v_fmac_f64_e32 v[174:175], v[176:177], v[172:173]
	v_add_f64 v[168:169], v[168:169], -v[100:101]
	v_add_f64 v[170:171], v[170:171], -v[174:175]
	v_mov_b64_e32 v[100:101], v[172:173]
.LBB85_154:
	s_or_b64 exec, exec, s[2:3]
	v_cmp_eq_u32_e32 vcc, 17, v164
	s_waitcnt vmcnt(63) expcnt(7) lgkmcnt(15)
	s_barrier
	s_and_saveexec_b64 s[4:5], vcc
	s_cbranch_execz .LBB85_161
; %bb.155:
	ds_write2_b64 v165, v[96:97], v[98:99] offset1:1
	ds_write2_b64 v166, v[92:93], v[94:95] offset0:36 offset1:37
	ds_write2_b64 v166, v[88:89], v[90:91] offset0:38 offset1:39
	;; [unrolled: 1-line block ×9, first 2 shown]
	s_waitcnt vmcnt(44)
	ds_write2_b64 v166, v[56:57], v[58:59] offset0:54 offset1:55
	s_waitcnt vmcnt(43)
	ds_write2_b64 v166, v[52:53], v[54:55] offset0:56 offset1:57
	;; [unrolled: 2-line block ×12, first 2 shown]
	ds_write2_b64 v166, v[8:9], v[10:11] offset0:78 offset1:79
	ds_write2_b64 v166, v[4:5], v[6:7] offset0:80 offset1:81
	ds_write2_b64 v166, v[0:1], v[2:3] offset0:82 offset1:83
	s_waitcnt vmcnt(30)
	ds_write2_b64 v166, v[168:169], v[170:171] offset0:84 offset1:85
	ds_read2_b64 v[172:175], v165 offset1:1
	s_waitcnt lgkmcnt(0)
	v_cmp_neq_f64_e32 vcc, 0, v[172:173]
	v_cmp_neq_f64_e64 s[2:3], 0, v[174:175]
	s_or_b64 s[2:3], vcc, s[2:3]
	s_and_b64 exec, exec, s[2:3]
	s_cbranch_execz .LBB85_161
; %bb.156:
	v_cmp_ngt_f64_e64 s[2:3], |v[172:173]|, |v[174:175]|
                                        ; implicit-def: $vgpr176_vgpr177
	s_and_saveexec_b64 s[10:11], s[2:3]
	s_xor_b64 s[2:3], exec, s[10:11]
                                        ; implicit-def: $vgpr178_vgpr179
	s_cbranch_execz .LBB85_158
; %bb.157:
	v_div_scale_f64 v[176:177], s[10:11], v[174:175], v[174:175], v[172:173]
	v_rcp_f64_e32 v[178:179], v[176:177]
	v_div_scale_f64 v[180:181], vcc, v[172:173], v[174:175], v[172:173]
	v_fma_f64 v[182:183], -v[176:177], v[178:179], 1.0
	v_fmac_f64_e32 v[178:179], v[178:179], v[182:183]
	v_fma_f64 v[182:183], -v[176:177], v[178:179], 1.0
	v_fmac_f64_e32 v[178:179], v[178:179], v[182:183]
	v_mul_f64 v[182:183], v[180:181], v[178:179]
	v_fma_f64 v[176:177], -v[176:177], v[182:183], v[180:181]
	v_div_fmas_f64 v[176:177], v[176:177], v[178:179], v[182:183]
	v_div_fixup_f64 v[176:177], v[176:177], v[174:175], v[172:173]
	v_fmac_f64_e32 v[174:175], v[172:173], v[176:177]
	v_div_scale_f64 v[172:173], s[10:11], v[174:175], v[174:175], 1.0
	v_rcp_f64_e32 v[178:179], v[172:173]
	s_nop 0
	v_fma_f64 v[180:181], -v[172:173], v[178:179], 1.0
	v_fmac_f64_e32 v[178:179], v[178:179], v[180:181]
	v_fma_f64 v[180:181], -v[172:173], v[178:179], 1.0
	v_fmac_f64_e32 v[178:179], v[178:179], v[180:181]
	v_div_scale_f64 v[180:181], vcc, 1.0, v[174:175], 1.0
	v_mul_f64 v[182:183], v[180:181], v[178:179]
	v_fma_f64 v[172:173], -v[172:173], v[182:183], v[180:181]
	s_nop 1
	v_div_fmas_f64 v[172:173], v[172:173], v[178:179], v[182:183]
	v_div_fixup_f64 v[178:179], v[172:173], v[174:175], 1.0
	v_mul_f64 v[176:177], v[176:177], v[178:179]
	v_xor_b32_e32 v179, 0x80000000, v179
                                        ; implicit-def: $vgpr172_vgpr173
.LBB85_158:
	s_andn2_saveexec_b64 s[2:3], s[2:3]
	s_cbranch_execz .LBB85_160
; %bb.159:
	v_div_scale_f64 v[176:177], s[10:11], v[172:173], v[172:173], v[174:175]
	v_rcp_f64_e32 v[178:179], v[176:177]
	v_div_scale_f64 v[180:181], vcc, v[174:175], v[172:173], v[174:175]
	v_fma_f64 v[182:183], -v[176:177], v[178:179], 1.0
	v_fmac_f64_e32 v[178:179], v[178:179], v[182:183]
	v_fma_f64 v[182:183], -v[176:177], v[178:179], 1.0
	v_fmac_f64_e32 v[178:179], v[178:179], v[182:183]
	v_mul_f64 v[182:183], v[180:181], v[178:179]
	v_fma_f64 v[176:177], -v[176:177], v[182:183], v[180:181]
	v_div_fmas_f64 v[176:177], v[176:177], v[178:179], v[182:183]
	v_div_fixup_f64 v[178:179], v[176:177], v[172:173], v[174:175]
	v_fmac_f64_e32 v[172:173], v[174:175], v[178:179]
	v_div_scale_f64 v[174:175], s[10:11], v[172:173], v[172:173], 1.0
	v_rcp_f64_e32 v[176:177], v[174:175]
	s_nop 0
	v_fma_f64 v[180:181], -v[174:175], v[176:177], 1.0
	v_fmac_f64_e32 v[176:177], v[176:177], v[180:181]
	v_fma_f64 v[180:181], -v[174:175], v[176:177], 1.0
	v_fmac_f64_e32 v[176:177], v[176:177], v[180:181]
	v_div_scale_f64 v[180:181], vcc, 1.0, v[172:173], 1.0
	v_mul_f64 v[182:183], v[180:181], v[176:177]
	v_fma_f64 v[174:175], -v[174:175], v[182:183], v[180:181]
	s_nop 1
	v_div_fmas_f64 v[174:175], v[174:175], v[176:177], v[182:183]
	v_div_fixup_f64 v[176:177], v[174:175], v[172:173], 1.0
	v_mul_f64 v[178:179], v[178:179], -v[176:177]
.LBB85_160:
	s_or_b64 exec, exec, s[2:3]
	ds_write2_b64 v165, v[176:177], v[178:179] offset1:1
.LBB85_161:
	s_or_b64 exec, exec, s[4:5]
	s_waitcnt lgkmcnt(0)
	s_barrier
	ds_read2_b64 v[172:175], v165 offset1:1
	v_cmp_lt_u32_e32 vcc, 17, v164
	s_waitcnt lgkmcnt(0)
	scratch_store_dwordx4 off, v[172:175], off offset:664 ; 16-byte Folded Spill
	s_and_saveexec_b64 s[2:3], vcc
	s_cbranch_execz .LBB85_163
; %bb.162:
	scratch_load_dwordx4 v[174:177], off, off offset:664 ; 16-byte Folded Reload
	s_waitcnt vmcnt(0)
	v_mul_f64 v[172:173], v[176:177], v[98:99]
	v_mul_f64 v[98:99], v[174:175], v[98:99]
	v_fma_f64 v[172:173], v[174:175], v[96:97], -v[172:173]
	v_fmac_f64_e32 v[98:99], v[176:177], v[96:97]
	ds_read2_b64 v[174:177], v166 offset0:36 offset1:37
	s_waitcnt lgkmcnt(0)
	v_mul_f64 v[96:97], v[176:177], v[98:99]
	v_fma_f64 v[96:97], v[174:175], v[172:173], -v[96:97]
	v_mul_f64 v[174:175], v[174:175], v[98:99]
	v_fmac_f64_e32 v[174:175], v[176:177], v[172:173]
	v_add_f64 v[94:95], v[94:95], -v[174:175]
	ds_read2_b64 v[174:177], v166 offset0:38 offset1:39
	v_add_f64 v[92:93], v[92:93], -v[96:97]
	s_waitcnt lgkmcnt(0)
	v_mul_f64 v[96:97], v[176:177], v[98:99]
	v_fma_f64 v[96:97], v[174:175], v[172:173], -v[96:97]
	v_mul_f64 v[174:175], v[174:175], v[98:99]
	v_fmac_f64_e32 v[174:175], v[176:177], v[172:173]
	v_add_f64 v[90:91], v[90:91], -v[174:175]
	ds_read2_b64 v[174:177], v166 offset0:40 offset1:41
	v_add_f64 v[88:89], v[88:89], -v[96:97]
	;; [unrolled: 8-line block ×24, first 2 shown]
	s_waitcnt lgkmcnt(0)
	v_mul_f64 v[96:97], v[176:177], v[98:99]
	v_fma_f64 v[96:97], v[174:175], v[172:173], -v[96:97]
	v_mul_f64 v[174:175], v[174:175], v[98:99]
	v_fmac_f64_e32 v[174:175], v[176:177], v[172:173]
	v_add_f64 v[168:169], v[168:169], -v[96:97]
	v_add_f64 v[170:171], v[170:171], -v[174:175]
	v_mov_b64_e32 v[96:97], v[172:173]
.LBB85_163:
	s_or_b64 exec, exec, s[2:3]
	v_cmp_eq_u32_e32 vcc, 18, v164
	s_waitcnt vmcnt(63) expcnt(7) lgkmcnt(15)
	s_barrier
	s_and_saveexec_b64 s[4:5], vcc
	s_cbranch_execz .LBB85_170
; %bb.164:
	ds_write2_b64 v165, v[92:93], v[94:95] offset1:1
	ds_write2_b64 v166, v[88:89], v[90:91] offset0:38 offset1:39
	ds_write2_b64 v166, v[84:85], v[86:87] offset0:40 offset1:41
	;; [unrolled: 1-line block ×8, first 2 shown]
	s_waitcnt vmcnt(45)
	ds_write2_b64 v166, v[56:57], v[58:59] offset0:54 offset1:55
	s_waitcnt vmcnt(44)
	ds_write2_b64 v166, v[52:53], v[54:55] offset0:56 offset1:57
	;; [unrolled: 2-line block ×12, first 2 shown]
	ds_write2_b64 v166, v[8:9], v[10:11] offset0:78 offset1:79
	ds_write2_b64 v166, v[4:5], v[6:7] offset0:80 offset1:81
	;; [unrolled: 1-line block ×3, first 2 shown]
	s_waitcnt vmcnt(31)
	ds_write2_b64 v166, v[168:169], v[170:171] offset0:84 offset1:85
	ds_read2_b64 v[172:175], v165 offset1:1
	s_waitcnt lgkmcnt(0)
	v_cmp_neq_f64_e32 vcc, 0, v[172:173]
	v_cmp_neq_f64_e64 s[2:3], 0, v[174:175]
	s_or_b64 s[2:3], vcc, s[2:3]
	s_and_b64 exec, exec, s[2:3]
	s_cbranch_execz .LBB85_170
; %bb.165:
	v_cmp_ngt_f64_e64 s[2:3], |v[172:173]|, |v[174:175]|
                                        ; implicit-def: $vgpr176_vgpr177
	s_and_saveexec_b64 s[10:11], s[2:3]
	s_xor_b64 s[2:3], exec, s[10:11]
                                        ; implicit-def: $vgpr178_vgpr179
	s_cbranch_execz .LBB85_167
; %bb.166:
	v_div_scale_f64 v[176:177], s[10:11], v[174:175], v[174:175], v[172:173]
	v_rcp_f64_e32 v[178:179], v[176:177]
	v_div_scale_f64 v[180:181], vcc, v[172:173], v[174:175], v[172:173]
	v_fma_f64 v[182:183], -v[176:177], v[178:179], 1.0
	v_fmac_f64_e32 v[178:179], v[178:179], v[182:183]
	v_fma_f64 v[182:183], -v[176:177], v[178:179], 1.0
	v_fmac_f64_e32 v[178:179], v[178:179], v[182:183]
	v_mul_f64 v[182:183], v[180:181], v[178:179]
	v_fma_f64 v[176:177], -v[176:177], v[182:183], v[180:181]
	v_div_fmas_f64 v[176:177], v[176:177], v[178:179], v[182:183]
	v_div_fixup_f64 v[176:177], v[176:177], v[174:175], v[172:173]
	v_fmac_f64_e32 v[174:175], v[172:173], v[176:177]
	v_div_scale_f64 v[172:173], s[10:11], v[174:175], v[174:175], 1.0
	v_rcp_f64_e32 v[178:179], v[172:173]
	s_nop 0
	v_fma_f64 v[180:181], -v[172:173], v[178:179], 1.0
	v_fmac_f64_e32 v[178:179], v[178:179], v[180:181]
	v_fma_f64 v[180:181], -v[172:173], v[178:179], 1.0
	v_fmac_f64_e32 v[178:179], v[178:179], v[180:181]
	v_div_scale_f64 v[180:181], vcc, 1.0, v[174:175], 1.0
	v_mul_f64 v[182:183], v[180:181], v[178:179]
	v_fma_f64 v[172:173], -v[172:173], v[182:183], v[180:181]
	s_nop 1
	v_div_fmas_f64 v[172:173], v[172:173], v[178:179], v[182:183]
	v_div_fixup_f64 v[178:179], v[172:173], v[174:175], 1.0
	v_mul_f64 v[176:177], v[176:177], v[178:179]
	v_xor_b32_e32 v179, 0x80000000, v179
                                        ; implicit-def: $vgpr172_vgpr173
.LBB85_167:
	s_andn2_saveexec_b64 s[2:3], s[2:3]
	s_cbranch_execz .LBB85_169
; %bb.168:
	v_div_scale_f64 v[176:177], s[10:11], v[172:173], v[172:173], v[174:175]
	v_rcp_f64_e32 v[178:179], v[176:177]
	v_div_scale_f64 v[180:181], vcc, v[174:175], v[172:173], v[174:175]
	v_fma_f64 v[182:183], -v[176:177], v[178:179], 1.0
	v_fmac_f64_e32 v[178:179], v[178:179], v[182:183]
	v_fma_f64 v[182:183], -v[176:177], v[178:179], 1.0
	v_fmac_f64_e32 v[178:179], v[178:179], v[182:183]
	v_mul_f64 v[182:183], v[180:181], v[178:179]
	v_fma_f64 v[176:177], -v[176:177], v[182:183], v[180:181]
	v_div_fmas_f64 v[176:177], v[176:177], v[178:179], v[182:183]
	v_div_fixup_f64 v[178:179], v[176:177], v[172:173], v[174:175]
	v_fmac_f64_e32 v[172:173], v[174:175], v[178:179]
	v_div_scale_f64 v[174:175], s[10:11], v[172:173], v[172:173], 1.0
	v_rcp_f64_e32 v[176:177], v[174:175]
	s_nop 0
	v_fma_f64 v[180:181], -v[174:175], v[176:177], 1.0
	v_fmac_f64_e32 v[176:177], v[176:177], v[180:181]
	v_fma_f64 v[180:181], -v[174:175], v[176:177], 1.0
	v_fmac_f64_e32 v[176:177], v[176:177], v[180:181]
	v_div_scale_f64 v[180:181], vcc, 1.0, v[172:173], 1.0
	v_mul_f64 v[182:183], v[180:181], v[176:177]
	v_fma_f64 v[174:175], -v[174:175], v[182:183], v[180:181]
	s_nop 1
	v_div_fmas_f64 v[174:175], v[174:175], v[176:177], v[182:183]
	v_div_fixup_f64 v[176:177], v[174:175], v[172:173], 1.0
	v_mul_f64 v[178:179], v[178:179], -v[176:177]
.LBB85_169:
	s_or_b64 exec, exec, s[2:3]
	ds_write2_b64 v165, v[176:177], v[178:179] offset1:1
.LBB85_170:
	s_or_b64 exec, exec, s[4:5]
	s_waitcnt lgkmcnt(0)
	s_barrier
	ds_read2_b64 v[172:175], v165 offset1:1
	v_cmp_lt_u32_e32 vcc, 18, v164
	s_waitcnt lgkmcnt(0)
	scratch_store_dwordx4 off, v[172:175], off offset:680 ; 16-byte Folded Spill
	s_and_saveexec_b64 s[2:3], vcc
	s_cbranch_execz .LBB85_172
; %bb.171:
	scratch_load_dwordx4 v[174:177], off, off offset:680 ; 16-byte Folded Reload
	s_waitcnt vmcnt(0)
	v_mul_f64 v[172:173], v[176:177], v[94:95]
	v_mul_f64 v[94:95], v[174:175], v[94:95]
	v_fma_f64 v[172:173], v[174:175], v[92:93], -v[172:173]
	v_fmac_f64_e32 v[94:95], v[176:177], v[92:93]
	ds_read2_b64 v[174:177], v166 offset0:38 offset1:39
	s_waitcnt lgkmcnt(0)
	v_mul_f64 v[92:93], v[176:177], v[94:95]
	v_fma_f64 v[92:93], v[174:175], v[172:173], -v[92:93]
	v_mul_f64 v[174:175], v[174:175], v[94:95]
	v_fmac_f64_e32 v[174:175], v[176:177], v[172:173]
	v_add_f64 v[90:91], v[90:91], -v[174:175]
	ds_read2_b64 v[174:177], v166 offset0:40 offset1:41
	v_add_f64 v[88:89], v[88:89], -v[92:93]
	s_waitcnt lgkmcnt(0)
	v_mul_f64 v[92:93], v[176:177], v[94:95]
	v_fma_f64 v[92:93], v[174:175], v[172:173], -v[92:93]
	v_mul_f64 v[174:175], v[174:175], v[94:95]
	v_fmac_f64_e32 v[174:175], v[176:177], v[172:173]
	v_add_f64 v[86:87], v[86:87], -v[174:175]
	ds_read2_b64 v[174:177], v166 offset0:42 offset1:43
	v_add_f64 v[84:85], v[84:85], -v[92:93]
	;; [unrolled: 8-line block ×23, first 2 shown]
	s_waitcnt lgkmcnt(0)
	v_mul_f64 v[92:93], v[176:177], v[94:95]
	v_fma_f64 v[92:93], v[174:175], v[172:173], -v[92:93]
	v_mul_f64 v[174:175], v[174:175], v[94:95]
	v_fmac_f64_e32 v[174:175], v[176:177], v[172:173]
	v_add_f64 v[168:169], v[168:169], -v[92:93]
	v_add_f64 v[170:171], v[170:171], -v[174:175]
	v_mov_b64_e32 v[92:93], v[172:173]
.LBB85_172:
	s_or_b64 exec, exec, s[2:3]
	v_cmp_eq_u32_e32 vcc, 19, v164
	s_waitcnt vmcnt(63) expcnt(7) lgkmcnt(15)
	s_barrier
	s_and_saveexec_b64 s[4:5], vcc
	s_cbranch_execz .LBB85_179
; %bb.173:
	ds_write2_b64 v165, v[88:89], v[90:91] offset1:1
	ds_write2_b64 v166, v[84:85], v[86:87] offset0:40 offset1:41
	ds_write2_b64 v166, v[80:81], v[82:83] offset0:42 offset1:43
	;; [unrolled: 1-line block ×7, first 2 shown]
	s_waitcnt vmcnt(46)
	ds_write2_b64 v166, v[56:57], v[58:59] offset0:54 offset1:55
	s_waitcnt vmcnt(45)
	ds_write2_b64 v166, v[52:53], v[54:55] offset0:56 offset1:57
	;; [unrolled: 2-line block ×12, first 2 shown]
	ds_write2_b64 v166, v[8:9], v[10:11] offset0:78 offset1:79
	ds_write2_b64 v166, v[4:5], v[6:7] offset0:80 offset1:81
	;; [unrolled: 1-line block ×3, first 2 shown]
	s_waitcnt vmcnt(32)
	ds_write2_b64 v166, v[168:169], v[170:171] offset0:84 offset1:85
	ds_read2_b64 v[172:175], v165 offset1:1
	s_waitcnt lgkmcnt(0)
	v_cmp_neq_f64_e32 vcc, 0, v[172:173]
	v_cmp_neq_f64_e64 s[2:3], 0, v[174:175]
	s_or_b64 s[2:3], vcc, s[2:3]
	s_and_b64 exec, exec, s[2:3]
	s_cbranch_execz .LBB85_179
; %bb.174:
	v_cmp_ngt_f64_e64 s[2:3], |v[172:173]|, |v[174:175]|
                                        ; implicit-def: $vgpr176_vgpr177
	s_and_saveexec_b64 s[10:11], s[2:3]
	s_xor_b64 s[2:3], exec, s[10:11]
                                        ; implicit-def: $vgpr178_vgpr179
	s_cbranch_execz .LBB85_176
; %bb.175:
	v_div_scale_f64 v[176:177], s[10:11], v[174:175], v[174:175], v[172:173]
	v_rcp_f64_e32 v[178:179], v[176:177]
	v_div_scale_f64 v[180:181], vcc, v[172:173], v[174:175], v[172:173]
	v_fma_f64 v[182:183], -v[176:177], v[178:179], 1.0
	v_fmac_f64_e32 v[178:179], v[178:179], v[182:183]
	v_fma_f64 v[182:183], -v[176:177], v[178:179], 1.0
	v_fmac_f64_e32 v[178:179], v[178:179], v[182:183]
	v_mul_f64 v[182:183], v[180:181], v[178:179]
	v_fma_f64 v[176:177], -v[176:177], v[182:183], v[180:181]
	v_div_fmas_f64 v[176:177], v[176:177], v[178:179], v[182:183]
	v_div_fixup_f64 v[176:177], v[176:177], v[174:175], v[172:173]
	v_fmac_f64_e32 v[174:175], v[172:173], v[176:177]
	v_div_scale_f64 v[172:173], s[10:11], v[174:175], v[174:175], 1.0
	v_rcp_f64_e32 v[178:179], v[172:173]
	s_nop 0
	v_fma_f64 v[180:181], -v[172:173], v[178:179], 1.0
	v_fmac_f64_e32 v[178:179], v[178:179], v[180:181]
	v_fma_f64 v[180:181], -v[172:173], v[178:179], 1.0
	v_fmac_f64_e32 v[178:179], v[178:179], v[180:181]
	v_div_scale_f64 v[180:181], vcc, 1.0, v[174:175], 1.0
	v_mul_f64 v[182:183], v[180:181], v[178:179]
	v_fma_f64 v[172:173], -v[172:173], v[182:183], v[180:181]
	s_nop 1
	v_div_fmas_f64 v[172:173], v[172:173], v[178:179], v[182:183]
	v_div_fixup_f64 v[178:179], v[172:173], v[174:175], 1.0
	v_mul_f64 v[176:177], v[176:177], v[178:179]
	v_xor_b32_e32 v179, 0x80000000, v179
                                        ; implicit-def: $vgpr172_vgpr173
.LBB85_176:
	s_andn2_saveexec_b64 s[2:3], s[2:3]
	s_cbranch_execz .LBB85_178
; %bb.177:
	v_div_scale_f64 v[176:177], s[10:11], v[172:173], v[172:173], v[174:175]
	v_rcp_f64_e32 v[178:179], v[176:177]
	v_div_scale_f64 v[180:181], vcc, v[174:175], v[172:173], v[174:175]
	v_fma_f64 v[182:183], -v[176:177], v[178:179], 1.0
	v_fmac_f64_e32 v[178:179], v[178:179], v[182:183]
	v_fma_f64 v[182:183], -v[176:177], v[178:179], 1.0
	v_fmac_f64_e32 v[178:179], v[178:179], v[182:183]
	v_mul_f64 v[182:183], v[180:181], v[178:179]
	v_fma_f64 v[176:177], -v[176:177], v[182:183], v[180:181]
	v_div_fmas_f64 v[176:177], v[176:177], v[178:179], v[182:183]
	v_div_fixup_f64 v[178:179], v[176:177], v[172:173], v[174:175]
	v_fmac_f64_e32 v[172:173], v[174:175], v[178:179]
	v_div_scale_f64 v[174:175], s[10:11], v[172:173], v[172:173], 1.0
	v_rcp_f64_e32 v[176:177], v[174:175]
	s_nop 0
	v_fma_f64 v[180:181], -v[174:175], v[176:177], 1.0
	v_fmac_f64_e32 v[176:177], v[176:177], v[180:181]
	v_fma_f64 v[180:181], -v[174:175], v[176:177], 1.0
	v_fmac_f64_e32 v[176:177], v[176:177], v[180:181]
	v_div_scale_f64 v[180:181], vcc, 1.0, v[172:173], 1.0
	v_mul_f64 v[182:183], v[180:181], v[176:177]
	v_fma_f64 v[174:175], -v[174:175], v[182:183], v[180:181]
	s_nop 1
	v_div_fmas_f64 v[174:175], v[174:175], v[176:177], v[182:183]
	v_div_fixup_f64 v[176:177], v[174:175], v[172:173], 1.0
	v_mul_f64 v[178:179], v[178:179], -v[176:177]
.LBB85_178:
	s_or_b64 exec, exec, s[2:3]
	ds_write2_b64 v165, v[176:177], v[178:179] offset1:1
.LBB85_179:
	s_or_b64 exec, exec, s[4:5]
	s_waitcnt lgkmcnt(0)
	s_barrier
	ds_read2_b64 v[172:175], v165 offset1:1
	v_cmp_lt_u32_e32 vcc, 19, v164
	s_waitcnt lgkmcnt(0)
	scratch_store_dwordx4 off, v[172:175], off offset:696 ; 16-byte Folded Spill
	s_and_saveexec_b64 s[2:3], vcc
	s_cbranch_execz .LBB85_181
; %bb.180:
	scratch_load_dwordx4 v[174:177], off, off offset:696 ; 16-byte Folded Reload
	s_waitcnt vmcnt(0)
	v_mul_f64 v[172:173], v[176:177], v[90:91]
	v_mul_f64 v[90:91], v[174:175], v[90:91]
	v_fma_f64 v[172:173], v[174:175], v[88:89], -v[172:173]
	v_fmac_f64_e32 v[90:91], v[176:177], v[88:89]
	ds_read2_b64 v[174:177], v166 offset0:40 offset1:41
	s_waitcnt lgkmcnt(0)
	v_mul_f64 v[88:89], v[176:177], v[90:91]
	v_fma_f64 v[88:89], v[174:175], v[172:173], -v[88:89]
	v_mul_f64 v[174:175], v[174:175], v[90:91]
	v_fmac_f64_e32 v[174:175], v[176:177], v[172:173]
	v_add_f64 v[86:87], v[86:87], -v[174:175]
	ds_read2_b64 v[174:177], v166 offset0:42 offset1:43
	v_add_f64 v[84:85], v[84:85], -v[88:89]
	s_waitcnt lgkmcnt(0)
	v_mul_f64 v[88:89], v[176:177], v[90:91]
	v_fma_f64 v[88:89], v[174:175], v[172:173], -v[88:89]
	v_mul_f64 v[174:175], v[174:175], v[90:91]
	v_fmac_f64_e32 v[174:175], v[176:177], v[172:173]
	v_add_f64 v[82:83], v[82:83], -v[174:175]
	ds_read2_b64 v[174:177], v166 offset0:44 offset1:45
	v_add_f64 v[80:81], v[80:81], -v[88:89]
	;; [unrolled: 8-line block ×22, first 2 shown]
	s_waitcnt lgkmcnt(0)
	v_mul_f64 v[88:89], v[176:177], v[90:91]
	v_fma_f64 v[88:89], v[174:175], v[172:173], -v[88:89]
	v_mul_f64 v[174:175], v[174:175], v[90:91]
	v_fmac_f64_e32 v[174:175], v[176:177], v[172:173]
	v_add_f64 v[168:169], v[168:169], -v[88:89]
	v_add_f64 v[170:171], v[170:171], -v[174:175]
	v_mov_b64_e32 v[88:89], v[172:173]
.LBB85_181:
	s_or_b64 exec, exec, s[2:3]
	v_cmp_eq_u32_e32 vcc, 20, v164
	s_waitcnt vmcnt(63) expcnt(7) lgkmcnt(15)
	s_barrier
	s_and_saveexec_b64 s[4:5], vcc
	s_cbranch_execz .LBB85_188
; %bb.182:
	ds_write2_b64 v165, v[84:85], v[86:87] offset1:1
	ds_write2_b64 v166, v[80:81], v[82:83] offset0:42 offset1:43
	ds_write2_b64 v166, v[76:77], v[78:79] offset0:44 offset1:45
	ds_write2_b64 v166, v[72:73], v[74:75] offset0:46 offset1:47
	ds_write2_b64 v166, v[68:69], v[70:71] offset0:48 offset1:49
	ds_write2_b64 v166, v[64:65], v[66:67] offset0:50 offset1:51
	ds_write2_b64 v166, v[60:61], v[62:63] offset0:52 offset1:53
	s_waitcnt vmcnt(47)
	ds_write2_b64 v166, v[56:57], v[58:59] offset0:54 offset1:55
	s_waitcnt vmcnt(46)
	ds_write2_b64 v166, v[52:53], v[54:55] offset0:56 offset1:57
	;; [unrolled: 2-line block ×12, first 2 shown]
	ds_write2_b64 v166, v[8:9], v[10:11] offset0:78 offset1:79
	ds_write2_b64 v166, v[4:5], v[6:7] offset0:80 offset1:81
	;; [unrolled: 1-line block ×3, first 2 shown]
	s_waitcnt vmcnt(33)
	ds_write2_b64 v166, v[168:169], v[170:171] offset0:84 offset1:85
	ds_read2_b64 v[172:175], v165 offset1:1
	s_waitcnt lgkmcnt(0)
	v_cmp_neq_f64_e32 vcc, 0, v[172:173]
	v_cmp_neq_f64_e64 s[2:3], 0, v[174:175]
	s_or_b64 s[2:3], vcc, s[2:3]
	s_and_b64 exec, exec, s[2:3]
	s_cbranch_execz .LBB85_188
; %bb.183:
	v_cmp_ngt_f64_e64 s[2:3], |v[172:173]|, |v[174:175]|
                                        ; implicit-def: $vgpr176_vgpr177
	s_and_saveexec_b64 s[10:11], s[2:3]
	s_xor_b64 s[2:3], exec, s[10:11]
                                        ; implicit-def: $vgpr178_vgpr179
	s_cbranch_execz .LBB85_185
; %bb.184:
	v_div_scale_f64 v[176:177], s[10:11], v[174:175], v[174:175], v[172:173]
	v_rcp_f64_e32 v[178:179], v[176:177]
	v_div_scale_f64 v[180:181], vcc, v[172:173], v[174:175], v[172:173]
	v_fma_f64 v[182:183], -v[176:177], v[178:179], 1.0
	v_fmac_f64_e32 v[178:179], v[178:179], v[182:183]
	v_fma_f64 v[182:183], -v[176:177], v[178:179], 1.0
	v_fmac_f64_e32 v[178:179], v[178:179], v[182:183]
	v_mul_f64 v[182:183], v[180:181], v[178:179]
	v_fma_f64 v[176:177], -v[176:177], v[182:183], v[180:181]
	v_div_fmas_f64 v[176:177], v[176:177], v[178:179], v[182:183]
	v_div_fixup_f64 v[176:177], v[176:177], v[174:175], v[172:173]
	v_fmac_f64_e32 v[174:175], v[172:173], v[176:177]
	v_div_scale_f64 v[172:173], s[10:11], v[174:175], v[174:175], 1.0
	v_rcp_f64_e32 v[178:179], v[172:173]
	s_nop 0
	v_fma_f64 v[180:181], -v[172:173], v[178:179], 1.0
	v_fmac_f64_e32 v[178:179], v[178:179], v[180:181]
	v_fma_f64 v[180:181], -v[172:173], v[178:179], 1.0
	v_fmac_f64_e32 v[178:179], v[178:179], v[180:181]
	v_div_scale_f64 v[180:181], vcc, 1.0, v[174:175], 1.0
	v_mul_f64 v[182:183], v[180:181], v[178:179]
	v_fma_f64 v[172:173], -v[172:173], v[182:183], v[180:181]
	s_nop 1
	v_div_fmas_f64 v[172:173], v[172:173], v[178:179], v[182:183]
	v_div_fixup_f64 v[178:179], v[172:173], v[174:175], 1.0
	v_mul_f64 v[176:177], v[176:177], v[178:179]
	v_xor_b32_e32 v179, 0x80000000, v179
                                        ; implicit-def: $vgpr172_vgpr173
.LBB85_185:
	s_andn2_saveexec_b64 s[2:3], s[2:3]
	s_cbranch_execz .LBB85_187
; %bb.186:
	v_div_scale_f64 v[176:177], s[10:11], v[172:173], v[172:173], v[174:175]
	v_rcp_f64_e32 v[178:179], v[176:177]
	v_div_scale_f64 v[180:181], vcc, v[174:175], v[172:173], v[174:175]
	v_fma_f64 v[182:183], -v[176:177], v[178:179], 1.0
	v_fmac_f64_e32 v[178:179], v[178:179], v[182:183]
	v_fma_f64 v[182:183], -v[176:177], v[178:179], 1.0
	v_fmac_f64_e32 v[178:179], v[178:179], v[182:183]
	v_mul_f64 v[182:183], v[180:181], v[178:179]
	v_fma_f64 v[176:177], -v[176:177], v[182:183], v[180:181]
	v_div_fmas_f64 v[176:177], v[176:177], v[178:179], v[182:183]
	v_div_fixup_f64 v[178:179], v[176:177], v[172:173], v[174:175]
	v_fmac_f64_e32 v[172:173], v[174:175], v[178:179]
	v_div_scale_f64 v[174:175], s[10:11], v[172:173], v[172:173], 1.0
	v_rcp_f64_e32 v[176:177], v[174:175]
	s_nop 0
	v_fma_f64 v[180:181], -v[174:175], v[176:177], 1.0
	v_fmac_f64_e32 v[176:177], v[176:177], v[180:181]
	v_fma_f64 v[180:181], -v[174:175], v[176:177], 1.0
	v_fmac_f64_e32 v[176:177], v[176:177], v[180:181]
	v_div_scale_f64 v[180:181], vcc, 1.0, v[172:173], 1.0
	v_mul_f64 v[182:183], v[180:181], v[176:177]
	v_fma_f64 v[174:175], -v[174:175], v[182:183], v[180:181]
	s_nop 1
	v_div_fmas_f64 v[174:175], v[174:175], v[176:177], v[182:183]
	v_div_fixup_f64 v[176:177], v[174:175], v[172:173], 1.0
	v_mul_f64 v[178:179], v[178:179], -v[176:177]
.LBB85_187:
	s_or_b64 exec, exec, s[2:3]
	ds_write2_b64 v165, v[176:177], v[178:179] offset1:1
.LBB85_188:
	s_or_b64 exec, exec, s[4:5]
	s_waitcnt lgkmcnt(0)
	s_barrier
	ds_read2_b64 v[172:175], v165 offset1:1
	v_cmp_lt_u32_e32 vcc, 20, v164
	s_waitcnt lgkmcnt(0)
	scratch_store_dwordx4 off, v[172:175], off offset:712 ; 16-byte Folded Spill
	s_and_saveexec_b64 s[2:3], vcc
	s_cbranch_execz .LBB85_190
; %bb.189:
	scratch_load_dwordx4 v[174:177], off, off offset:712 ; 16-byte Folded Reload
	s_waitcnt vmcnt(0)
	v_mul_f64 v[172:173], v[176:177], v[86:87]
	v_mul_f64 v[86:87], v[174:175], v[86:87]
	v_fma_f64 v[172:173], v[174:175], v[84:85], -v[172:173]
	v_fmac_f64_e32 v[86:87], v[176:177], v[84:85]
	ds_read2_b64 v[174:177], v166 offset0:42 offset1:43
	s_waitcnt lgkmcnt(0)
	v_mul_f64 v[84:85], v[176:177], v[86:87]
	v_fma_f64 v[84:85], v[174:175], v[172:173], -v[84:85]
	v_mul_f64 v[174:175], v[174:175], v[86:87]
	v_fmac_f64_e32 v[174:175], v[176:177], v[172:173]
	v_add_f64 v[82:83], v[82:83], -v[174:175]
	ds_read2_b64 v[174:177], v166 offset0:44 offset1:45
	v_add_f64 v[80:81], v[80:81], -v[84:85]
	s_waitcnt lgkmcnt(0)
	v_mul_f64 v[84:85], v[176:177], v[86:87]
	v_fma_f64 v[84:85], v[174:175], v[172:173], -v[84:85]
	v_mul_f64 v[174:175], v[174:175], v[86:87]
	v_fmac_f64_e32 v[174:175], v[176:177], v[172:173]
	v_add_f64 v[78:79], v[78:79], -v[174:175]
	ds_read2_b64 v[174:177], v166 offset0:46 offset1:47
	v_add_f64 v[76:77], v[76:77], -v[84:85]
	;; [unrolled: 8-line block ×21, first 2 shown]
	s_waitcnt lgkmcnt(0)
	v_mul_f64 v[84:85], v[176:177], v[86:87]
	v_fma_f64 v[84:85], v[174:175], v[172:173], -v[84:85]
	v_mul_f64 v[174:175], v[174:175], v[86:87]
	v_fmac_f64_e32 v[174:175], v[176:177], v[172:173]
	v_add_f64 v[168:169], v[168:169], -v[84:85]
	v_add_f64 v[170:171], v[170:171], -v[174:175]
	v_mov_b64_e32 v[84:85], v[172:173]
.LBB85_190:
	s_or_b64 exec, exec, s[2:3]
	v_cmp_eq_u32_e32 vcc, 21, v164
	s_waitcnt vmcnt(63) expcnt(7) lgkmcnt(15)
	s_barrier
	s_and_saveexec_b64 s[4:5], vcc
	s_cbranch_execz .LBB85_197
; %bb.191:
	ds_write2_b64 v165, v[80:81], v[82:83] offset1:1
	ds_write2_b64 v166, v[76:77], v[78:79] offset0:44 offset1:45
	ds_write2_b64 v166, v[72:73], v[74:75] offset0:46 offset1:47
	;; [unrolled: 1-line block ×5, first 2 shown]
	s_waitcnt vmcnt(48)
	ds_write2_b64 v166, v[56:57], v[58:59] offset0:54 offset1:55
	s_waitcnt vmcnt(47)
	ds_write2_b64 v166, v[52:53], v[54:55] offset0:56 offset1:57
	;; [unrolled: 2-line block ×12, first 2 shown]
	ds_write2_b64 v166, v[8:9], v[10:11] offset0:78 offset1:79
	ds_write2_b64 v166, v[4:5], v[6:7] offset0:80 offset1:81
	;; [unrolled: 1-line block ×3, first 2 shown]
	s_waitcnt vmcnt(34)
	ds_write2_b64 v166, v[168:169], v[170:171] offset0:84 offset1:85
	ds_read2_b64 v[172:175], v165 offset1:1
	s_waitcnt lgkmcnt(0)
	v_cmp_neq_f64_e32 vcc, 0, v[172:173]
	v_cmp_neq_f64_e64 s[2:3], 0, v[174:175]
	s_or_b64 s[2:3], vcc, s[2:3]
	s_and_b64 exec, exec, s[2:3]
	s_cbranch_execz .LBB85_197
; %bb.192:
	v_cmp_ngt_f64_e64 s[2:3], |v[172:173]|, |v[174:175]|
                                        ; implicit-def: $vgpr176_vgpr177
	s_and_saveexec_b64 s[10:11], s[2:3]
	s_xor_b64 s[2:3], exec, s[10:11]
                                        ; implicit-def: $vgpr178_vgpr179
	s_cbranch_execz .LBB85_194
; %bb.193:
	v_div_scale_f64 v[176:177], s[10:11], v[174:175], v[174:175], v[172:173]
	v_rcp_f64_e32 v[178:179], v[176:177]
	v_div_scale_f64 v[180:181], vcc, v[172:173], v[174:175], v[172:173]
	v_fma_f64 v[182:183], -v[176:177], v[178:179], 1.0
	v_fmac_f64_e32 v[178:179], v[178:179], v[182:183]
	v_fma_f64 v[182:183], -v[176:177], v[178:179], 1.0
	v_fmac_f64_e32 v[178:179], v[178:179], v[182:183]
	v_mul_f64 v[182:183], v[180:181], v[178:179]
	v_fma_f64 v[176:177], -v[176:177], v[182:183], v[180:181]
	v_div_fmas_f64 v[176:177], v[176:177], v[178:179], v[182:183]
	v_div_fixup_f64 v[176:177], v[176:177], v[174:175], v[172:173]
	v_fmac_f64_e32 v[174:175], v[172:173], v[176:177]
	v_div_scale_f64 v[172:173], s[10:11], v[174:175], v[174:175], 1.0
	v_rcp_f64_e32 v[178:179], v[172:173]
	s_nop 0
	v_fma_f64 v[180:181], -v[172:173], v[178:179], 1.0
	v_fmac_f64_e32 v[178:179], v[178:179], v[180:181]
	v_fma_f64 v[180:181], -v[172:173], v[178:179], 1.0
	v_fmac_f64_e32 v[178:179], v[178:179], v[180:181]
	v_div_scale_f64 v[180:181], vcc, 1.0, v[174:175], 1.0
	v_mul_f64 v[182:183], v[180:181], v[178:179]
	v_fma_f64 v[172:173], -v[172:173], v[182:183], v[180:181]
	s_nop 1
	v_div_fmas_f64 v[172:173], v[172:173], v[178:179], v[182:183]
	v_div_fixup_f64 v[178:179], v[172:173], v[174:175], 1.0
	v_mul_f64 v[176:177], v[176:177], v[178:179]
	v_xor_b32_e32 v179, 0x80000000, v179
                                        ; implicit-def: $vgpr172_vgpr173
.LBB85_194:
	s_andn2_saveexec_b64 s[2:3], s[2:3]
	s_cbranch_execz .LBB85_196
; %bb.195:
	v_div_scale_f64 v[176:177], s[10:11], v[172:173], v[172:173], v[174:175]
	v_rcp_f64_e32 v[178:179], v[176:177]
	v_div_scale_f64 v[180:181], vcc, v[174:175], v[172:173], v[174:175]
	v_fma_f64 v[182:183], -v[176:177], v[178:179], 1.0
	v_fmac_f64_e32 v[178:179], v[178:179], v[182:183]
	v_fma_f64 v[182:183], -v[176:177], v[178:179], 1.0
	v_fmac_f64_e32 v[178:179], v[178:179], v[182:183]
	v_mul_f64 v[182:183], v[180:181], v[178:179]
	v_fma_f64 v[176:177], -v[176:177], v[182:183], v[180:181]
	v_div_fmas_f64 v[176:177], v[176:177], v[178:179], v[182:183]
	v_div_fixup_f64 v[178:179], v[176:177], v[172:173], v[174:175]
	v_fmac_f64_e32 v[172:173], v[174:175], v[178:179]
	v_div_scale_f64 v[174:175], s[10:11], v[172:173], v[172:173], 1.0
	v_rcp_f64_e32 v[176:177], v[174:175]
	s_nop 0
	v_fma_f64 v[180:181], -v[174:175], v[176:177], 1.0
	v_fmac_f64_e32 v[176:177], v[176:177], v[180:181]
	v_fma_f64 v[180:181], -v[174:175], v[176:177], 1.0
	v_fmac_f64_e32 v[176:177], v[176:177], v[180:181]
	v_div_scale_f64 v[180:181], vcc, 1.0, v[172:173], 1.0
	v_mul_f64 v[182:183], v[180:181], v[176:177]
	v_fma_f64 v[174:175], -v[174:175], v[182:183], v[180:181]
	s_nop 1
	v_div_fmas_f64 v[174:175], v[174:175], v[176:177], v[182:183]
	v_div_fixup_f64 v[176:177], v[174:175], v[172:173], 1.0
	v_mul_f64 v[178:179], v[178:179], -v[176:177]
.LBB85_196:
	s_or_b64 exec, exec, s[2:3]
	ds_write2_b64 v165, v[176:177], v[178:179] offset1:1
.LBB85_197:
	s_or_b64 exec, exec, s[4:5]
	s_waitcnt lgkmcnt(0)
	s_barrier
	ds_read2_b64 v[172:175], v165 offset1:1
	v_cmp_lt_u32_e32 vcc, 21, v164
	s_waitcnt lgkmcnt(0)
	scratch_store_dwordx4 off, v[172:175], off offset:728 ; 16-byte Folded Spill
	s_and_saveexec_b64 s[2:3], vcc
	s_cbranch_execz .LBB85_199
; %bb.198:
	scratch_load_dwordx4 v[174:177], off, off offset:728 ; 16-byte Folded Reload
	s_waitcnt vmcnt(0)
	v_mul_f64 v[172:173], v[176:177], v[82:83]
	v_mul_f64 v[82:83], v[174:175], v[82:83]
	v_fma_f64 v[172:173], v[174:175], v[80:81], -v[172:173]
	v_fmac_f64_e32 v[82:83], v[176:177], v[80:81]
	ds_read2_b64 v[174:177], v166 offset0:44 offset1:45
	s_waitcnt lgkmcnt(0)
	v_mul_f64 v[80:81], v[176:177], v[82:83]
	v_fma_f64 v[80:81], v[174:175], v[172:173], -v[80:81]
	v_mul_f64 v[174:175], v[174:175], v[82:83]
	v_fmac_f64_e32 v[174:175], v[176:177], v[172:173]
	v_add_f64 v[78:79], v[78:79], -v[174:175]
	ds_read2_b64 v[174:177], v166 offset0:46 offset1:47
	v_add_f64 v[76:77], v[76:77], -v[80:81]
	s_waitcnt lgkmcnt(0)
	v_mul_f64 v[80:81], v[176:177], v[82:83]
	v_fma_f64 v[80:81], v[174:175], v[172:173], -v[80:81]
	v_mul_f64 v[174:175], v[174:175], v[82:83]
	v_fmac_f64_e32 v[174:175], v[176:177], v[172:173]
	v_add_f64 v[74:75], v[74:75], -v[174:175]
	ds_read2_b64 v[174:177], v166 offset0:48 offset1:49
	v_add_f64 v[72:73], v[72:73], -v[80:81]
	;; [unrolled: 8-line block ×20, first 2 shown]
	s_waitcnt lgkmcnt(0)
	v_mul_f64 v[80:81], v[176:177], v[82:83]
	v_fma_f64 v[80:81], v[174:175], v[172:173], -v[80:81]
	v_mul_f64 v[174:175], v[174:175], v[82:83]
	v_fmac_f64_e32 v[174:175], v[176:177], v[172:173]
	v_add_f64 v[168:169], v[168:169], -v[80:81]
	v_add_f64 v[170:171], v[170:171], -v[174:175]
	v_mov_b64_e32 v[80:81], v[172:173]
.LBB85_199:
	s_or_b64 exec, exec, s[2:3]
	v_cmp_eq_u32_e32 vcc, 22, v164
	s_waitcnt vmcnt(63) expcnt(7) lgkmcnt(15)
	s_barrier
	s_and_saveexec_b64 s[4:5], vcc
	s_cbranch_execz .LBB85_206
; %bb.200:
	ds_write2_b64 v165, v[76:77], v[78:79] offset1:1
	ds_write2_b64 v166, v[72:73], v[74:75] offset0:46 offset1:47
	ds_write2_b64 v166, v[68:69], v[70:71] offset0:48 offset1:49
	;; [unrolled: 1-line block ×4, first 2 shown]
	s_waitcnt vmcnt(49)
	ds_write2_b64 v166, v[56:57], v[58:59] offset0:54 offset1:55
	s_waitcnt vmcnt(48)
	ds_write2_b64 v166, v[52:53], v[54:55] offset0:56 offset1:57
	;; [unrolled: 2-line block ×12, first 2 shown]
	ds_write2_b64 v166, v[8:9], v[10:11] offset0:78 offset1:79
	ds_write2_b64 v166, v[4:5], v[6:7] offset0:80 offset1:81
	;; [unrolled: 1-line block ×3, first 2 shown]
	s_waitcnt vmcnt(35)
	ds_write2_b64 v166, v[168:169], v[170:171] offset0:84 offset1:85
	ds_read2_b64 v[172:175], v165 offset1:1
	s_waitcnt lgkmcnt(0)
	v_cmp_neq_f64_e32 vcc, 0, v[172:173]
	v_cmp_neq_f64_e64 s[2:3], 0, v[174:175]
	s_or_b64 s[2:3], vcc, s[2:3]
	s_and_b64 exec, exec, s[2:3]
	s_cbranch_execz .LBB85_206
; %bb.201:
	v_cmp_ngt_f64_e64 s[2:3], |v[172:173]|, |v[174:175]|
                                        ; implicit-def: $vgpr176_vgpr177
	s_and_saveexec_b64 s[10:11], s[2:3]
	s_xor_b64 s[2:3], exec, s[10:11]
                                        ; implicit-def: $vgpr178_vgpr179
	s_cbranch_execz .LBB85_203
; %bb.202:
	v_div_scale_f64 v[176:177], s[10:11], v[174:175], v[174:175], v[172:173]
	v_rcp_f64_e32 v[178:179], v[176:177]
	v_div_scale_f64 v[180:181], vcc, v[172:173], v[174:175], v[172:173]
	v_fma_f64 v[182:183], -v[176:177], v[178:179], 1.0
	v_fmac_f64_e32 v[178:179], v[178:179], v[182:183]
	v_fma_f64 v[182:183], -v[176:177], v[178:179], 1.0
	v_fmac_f64_e32 v[178:179], v[178:179], v[182:183]
	v_mul_f64 v[182:183], v[180:181], v[178:179]
	v_fma_f64 v[176:177], -v[176:177], v[182:183], v[180:181]
	v_div_fmas_f64 v[176:177], v[176:177], v[178:179], v[182:183]
	v_div_fixup_f64 v[176:177], v[176:177], v[174:175], v[172:173]
	v_fmac_f64_e32 v[174:175], v[172:173], v[176:177]
	v_div_scale_f64 v[172:173], s[10:11], v[174:175], v[174:175], 1.0
	v_rcp_f64_e32 v[178:179], v[172:173]
	s_nop 0
	v_fma_f64 v[180:181], -v[172:173], v[178:179], 1.0
	v_fmac_f64_e32 v[178:179], v[178:179], v[180:181]
	v_fma_f64 v[180:181], -v[172:173], v[178:179], 1.0
	v_fmac_f64_e32 v[178:179], v[178:179], v[180:181]
	v_div_scale_f64 v[180:181], vcc, 1.0, v[174:175], 1.0
	v_mul_f64 v[182:183], v[180:181], v[178:179]
	v_fma_f64 v[172:173], -v[172:173], v[182:183], v[180:181]
	s_nop 1
	v_div_fmas_f64 v[172:173], v[172:173], v[178:179], v[182:183]
	v_div_fixup_f64 v[178:179], v[172:173], v[174:175], 1.0
	v_mul_f64 v[176:177], v[176:177], v[178:179]
	v_xor_b32_e32 v179, 0x80000000, v179
                                        ; implicit-def: $vgpr172_vgpr173
.LBB85_203:
	s_andn2_saveexec_b64 s[2:3], s[2:3]
	s_cbranch_execz .LBB85_205
; %bb.204:
	v_div_scale_f64 v[176:177], s[10:11], v[172:173], v[172:173], v[174:175]
	v_rcp_f64_e32 v[178:179], v[176:177]
	v_div_scale_f64 v[180:181], vcc, v[174:175], v[172:173], v[174:175]
	v_fma_f64 v[182:183], -v[176:177], v[178:179], 1.0
	v_fmac_f64_e32 v[178:179], v[178:179], v[182:183]
	v_fma_f64 v[182:183], -v[176:177], v[178:179], 1.0
	v_fmac_f64_e32 v[178:179], v[178:179], v[182:183]
	v_mul_f64 v[182:183], v[180:181], v[178:179]
	v_fma_f64 v[176:177], -v[176:177], v[182:183], v[180:181]
	v_div_fmas_f64 v[176:177], v[176:177], v[178:179], v[182:183]
	v_div_fixup_f64 v[178:179], v[176:177], v[172:173], v[174:175]
	v_fmac_f64_e32 v[172:173], v[174:175], v[178:179]
	v_div_scale_f64 v[174:175], s[10:11], v[172:173], v[172:173], 1.0
	v_rcp_f64_e32 v[176:177], v[174:175]
	s_nop 0
	v_fma_f64 v[180:181], -v[174:175], v[176:177], 1.0
	v_fmac_f64_e32 v[176:177], v[176:177], v[180:181]
	v_fma_f64 v[180:181], -v[174:175], v[176:177], 1.0
	v_fmac_f64_e32 v[176:177], v[176:177], v[180:181]
	v_div_scale_f64 v[180:181], vcc, 1.0, v[172:173], 1.0
	v_mul_f64 v[182:183], v[180:181], v[176:177]
	v_fma_f64 v[174:175], -v[174:175], v[182:183], v[180:181]
	s_nop 1
	v_div_fmas_f64 v[174:175], v[174:175], v[176:177], v[182:183]
	v_div_fixup_f64 v[176:177], v[174:175], v[172:173], 1.0
	v_mul_f64 v[178:179], v[178:179], -v[176:177]
.LBB85_205:
	s_or_b64 exec, exec, s[2:3]
	ds_write2_b64 v165, v[176:177], v[178:179] offset1:1
.LBB85_206:
	s_or_b64 exec, exec, s[4:5]
	s_waitcnt lgkmcnt(0)
	s_barrier
	ds_read2_b64 v[172:175], v165 offset1:1
	v_cmp_lt_u32_e32 vcc, 22, v164
	s_waitcnt lgkmcnt(0)
	scratch_store_dwordx4 off, v[172:175], off offset:744 ; 16-byte Folded Spill
	s_and_saveexec_b64 s[2:3], vcc
	s_cbranch_execz .LBB85_208
; %bb.207:
	scratch_load_dwordx4 v[174:177], off, off offset:744 ; 16-byte Folded Reload
	ds_read2_b64 v[180:183], v166 offset0:46 offset1:47
	s_waitcnt vmcnt(0)
	v_mul_f64 v[172:173], v[176:177], v[78:79]
	v_mul_f64 v[78:79], v[174:175], v[78:79]
	v_fmac_f64_e32 v[78:79], v[176:177], v[76:77]
	v_fma_f64 v[172:173], v[174:175], v[76:77], -v[172:173]
	s_waitcnt lgkmcnt(0)
	v_mul_f64 v[76:77], v[182:183], v[78:79]
	v_mul_f64 v[174:175], v[180:181], v[78:79]
	v_fma_f64 v[76:77], v[180:181], v[172:173], -v[76:77]
	v_fmac_f64_e32 v[174:175], v[182:183], v[172:173]
	ds_read2_b64 v[180:183], v166 offset0:48 offset1:49
	v_add_f64 v[72:73], v[72:73], -v[76:77]
	v_add_f64 v[74:75], v[74:75], -v[174:175]
	s_waitcnt lgkmcnt(0)
	v_mul_f64 v[76:77], v[182:183], v[78:79]
	v_mul_f64 v[174:175], v[180:181], v[78:79]
	v_fma_f64 v[76:77], v[180:181], v[172:173], -v[76:77]
	v_fmac_f64_e32 v[174:175], v[182:183], v[172:173]
	ds_read2_b64 v[180:183], v166 offset0:50 offset1:51
	v_add_f64 v[68:69], v[68:69], -v[76:77]
	v_add_f64 v[70:71], v[70:71], -v[174:175]
	;; [unrolled: 8-line block ×19, first 2 shown]
	s_waitcnt lgkmcnt(0)
	v_mul_f64 v[76:77], v[182:183], v[78:79]
	v_mul_f64 v[174:175], v[180:181], v[78:79]
	v_fma_f64 v[76:77], v[180:181], v[172:173], -v[76:77]
	v_fmac_f64_e32 v[174:175], v[182:183], v[172:173]
	v_add_f64 v[168:169], v[168:169], -v[76:77]
	v_add_f64 v[170:171], v[170:171], -v[174:175]
	v_mov_b64_e32 v[76:77], v[172:173]
.LBB85_208:
	s_or_b64 exec, exec, s[2:3]
	v_cmp_eq_u32_e32 vcc, 23, v164
	s_waitcnt vmcnt(63) expcnt(7) lgkmcnt(15)
	s_barrier
	s_and_saveexec_b64 s[4:5], vcc
	s_cbranch_execz .LBB85_215
; %bb.209:
	ds_write2_b64 v165, v[72:73], v[74:75] offset1:1
	ds_write2_b64 v166, v[68:69], v[70:71] offset0:48 offset1:49
	ds_write2_b64 v166, v[64:65], v[66:67] offset0:50 offset1:51
	ds_write2_b64 v166, v[60:61], v[62:63] offset0:52 offset1:53
	s_waitcnt vmcnt(50)
	ds_write2_b64 v166, v[56:57], v[58:59] offset0:54 offset1:55
	s_waitcnt vmcnt(49)
	ds_write2_b64 v166, v[52:53], v[54:55] offset0:56 offset1:57
	;; [unrolled: 2-line block ×12, first 2 shown]
	ds_write2_b64 v166, v[8:9], v[10:11] offset0:78 offset1:79
	ds_write2_b64 v166, v[4:5], v[6:7] offset0:80 offset1:81
	;; [unrolled: 1-line block ×3, first 2 shown]
	s_waitcnt vmcnt(36)
	ds_write2_b64 v166, v[168:169], v[170:171] offset0:84 offset1:85
	ds_read2_b64 v[172:175], v165 offset1:1
	s_waitcnt lgkmcnt(0)
	v_cmp_neq_f64_e32 vcc, 0, v[172:173]
	v_cmp_neq_f64_e64 s[2:3], 0, v[174:175]
	s_or_b64 s[2:3], vcc, s[2:3]
	s_and_b64 exec, exec, s[2:3]
	s_cbranch_execz .LBB85_215
; %bb.210:
	v_cmp_ngt_f64_e64 s[2:3], |v[172:173]|, |v[174:175]|
                                        ; implicit-def: $vgpr180_vgpr181
	s_and_saveexec_b64 s[10:11], s[2:3]
	s_xor_b64 s[2:3], exec, s[10:11]
                                        ; implicit-def: $vgpr182_vgpr183
	s_cbranch_execz .LBB85_212
; %bb.211:
	v_div_scale_f64 v[180:181], s[10:11], v[174:175], v[174:175], v[172:173]
	v_rcp_f64_e32 v[182:183], v[180:181]
	v_div_scale_f64 v[184:185], vcc, v[172:173], v[174:175], v[172:173]
	v_fma_f64 v[186:187], -v[180:181], v[182:183], 1.0
	v_fmac_f64_e32 v[182:183], v[182:183], v[186:187]
	v_fma_f64 v[186:187], -v[180:181], v[182:183], 1.0
	v_fmac_f64_e32 v[182:183], v[182:183], v[186:187]
	v_mul_f64 v[186:187], v[184:185], v[182:183]
	v_fma_f64 v[180:181], -v[180:181], v[186:187], v[184:185]
	v_div_fmas_f64 v[180:181], v[180:181], v[182:183], v[186:187]
	v_div_fixup_f64 v[180:181], v[180:181], v[174:175], v[172:173]
	v_fmac_f64_e32 v[174:175], v[172:173], v[180:181]
	v_div_scale_f64 v[172:173], s[10:11], v[174:175], v[174:175], 1.0
	v_rcp_f64_e32 v[182:183], v[172:173]
	s_nop 0
	v_fma_f64 v[184:185], -v[172:173], v[182:183], 1.0
	v_fmac_f64_e32 v[182:183], v[182:183], v[184:185]
	v_fma_f64 v[184:185], -v[172:173], v[182:183], 1.0
	v_fmac_f64_e32 v[182:183], v[182:183], v[184:185]
	v_div_scale_f64 v[184:185], vcc, 1.0, v[174:175], 1.0
	v_mul_f64 v[186:187], v[184:185], v[182:183]
	v_fma_f64 v[172:173], -v[172:173], v[186:187], v[184:185]
	s_nop 1
	v_div_fmas_f64 v[172:173], v[172:173], v[182:183], v[186:187]
	v_div_fixup_f64 v[182:183], v[172:173], v[174:175], 1.0
	v_mul_f64 v[180:181], v[180:181], v[182:183]
	v_xor_b32_e32 v183, 0x80000000, v183
                                        ; implicit-def: $vgpr172_vgpr173
.LBB85_212:
	s_andn2_saveexec_b64 s[2:3], s[2:3]
	s_cbranch_execz .LBB85_214
; %bb.213:
	v_div_scale_f64 v[180:181], s[10:11], v[172:173], v[172:173], v[174:175]
	v_rcp_f64_e32 v[182:183], v[180:181]
	v_div_scale_f64 v[184:185], vcc, v[174:175], v[172:173], v[174:175]
	v_fma_f64 v[186:187], -v[180:181], v[182:183], 1.0
	v_fmac_f64_e32 v[182:183], v[182:183], v[186:187]
	v_fma_f64 v[186:187], -v[180:181], v[182:183], 1.0
	v_fmac_f64_e32 v[182:183], v[182:183], v[186:187]
	v_mul_f64 v[186:187], v[184:185], v[182:183]
	v_fma_f64 v[180:181], -v[180:181], v[186:187], v[184:185]
	v_div_fmas_f64 v[180:181], v[180:181], v[182:183], v[186:187]
	v_div_fixup_f64 v[182:183], v[180:181], v[172:173], v[174:175]
	v_fmac_f64_e32 v[172:173], v[174:175], v[182:183]
	v_div_scale_f64 v[174:175], s[10:11], v[172:173], v[172:173], 1.0
	v_rcp_f64_e32 v[180:181], v[174:175]
	s_nop 0
	v_fma_f64 v[184:185], -v[174:175], v[180:181], 1.0
	v_fmac_f64_e32 v[180:181], v[180:181], v[184:185]
	v_fma_f64 v[184:185], -v[174:175], v[180:181], 1.0
	v_fmac_f64_e32 v[180:181], v[180:181], v[184:185]
	v_div_scale_f64 v[184:185], vcc, 1.0, v[172:173], 1.0
	v_mul_f64 v[186:187], v[184:185], v[180:181]
	v_fma_f64 v[174:175], -v[174:175], v[186:187], v[184:185]
	s_nop 1
	v_div_fmas_f64 v[174:175], v[174:175], v[180:181], v[186:187]
	v_div_fixup_f64 v[180:181], v[174:175], v[172:173], 1.0
	v_mul_f64 v[182:183], v[182:183], -v[180:181]
.LBB85_214:
	s_or_b64 exec, exec, s[2:3]
	ds_write2_b64 v165, v[180:181], v[182:183] offset1:1
.LBB85_215:
	s_or_b64 exec, exec, s[4:5]
	s_waitcnt lgkmcnt(0)
	s_barrier
	ds_read2_b64 v[180:183], v165 offset1:1
	v_cmp_lt_u32_e32 vcc, 23, v164
	s_and_saveexec_b64 s[2:3], vcc
	s_cbranch_execz .LBB85_217
; %bb.216:
	ds_read2_b64 v[184:187], v166 offset0:48 offset1:49
	s_waitcnt lgkmcnt(1)
	v_mul_f64 v[172:173], v[182:183], v[74:75]
	v_mul_f64 v[74:75], v[180:181], v[74:75]
	v_fmac_f64_e32 v[74:75], v[182:183], v[72:73]
	v_fma_f64 v[172:173], v[180:181], v[72:73], -v[172:173]
	s_waitcnt lgkmcnt(0)
	v_mul_f64 v[72:73], v[186:187], v[74:75]
	v_mul_f64 v[174:175], v[184:185], v[74:75]
	v_fma_f64 v[72:73], v[184:185], v[172:173], -v[72:73]
	v_fmac_f64_e32 v[174:175], v[186:187], v[172:173]
	ds_read2_b64 v[184:187], v166 offset0:50 offset1:51
	v_add_f64 v[68:69], v[68:69], -v[72:73]
	v_add_f64 v[70:71], v[70:71], -v[174:175]
	s_waitcnt lgkmcnt(0)
	v_mul_f64 v[72:73], v[186:187], v[74:75]
	v_mul_f64 v[174:175], v[184:185], v[74:75]
	v_fma_f64 v[72:73], v[184:185], v[172:173], -v[72:73]
	v_fmac_f64_e32 v[174:175], v[186:187], v[172:173]
	ds_read2_b64 v[184:187], v166 offset0:52 offset1:53
	v_add_f64 v[64:65], v[64:65], -v[72:73]
	v_add_f64 v[66:67], v[66:67], -v[174:175]
	;; [unrolled: 8-line block ×3, first 2 shown]
	s_waitcnt lgkmcnt(0)
	v_mul_f64 v[72:73], v[186:187], v[74:75]
	v_mul_f64 v[174:175], v[184:185], v[74:75]
	v_fma_f64 v[72:73], v[184:185], v[172:173], -v[72:73]
	v_fmac_f64_e32 v[174:175], v[186:187], v[172:173]
	ds_read2_b64 v[184:187], v166 offset0:56 offset1:57
	s_waitcnt vmcnt(50)
	v_add_f64 v[56:57], v[56:57], -v[72:73]
	v_add_f64 v[58:59], v[58:59], -v[174:175]
	s_waitcnt lgkmcnt(0)
	v_mul_f64 v[72:73], v[186:187], v[74:75]
	v_mul_f64 v[174:175], v[184:185], v[74:75]
	v_fma_f64 v[72:73], v[184:185], v[172:173], -v[72:73]
	v_fmac_f64_e32 v[174:175], v[186:187], v[172:173]
	ds_read2_b64 v[184:187], v166 offset0:58 offset1:59
	s_waitcnt vmcnt(49)
	v_add_f64 v[52:53], v[52:53], -v[72:73]
	v_add_f64 v[54:55], v[54:55], -v[174:175]
	;; [unrolled: 9-line block ×12, first 2 shown]
	s_waitcnt lgkmcnt(0)
	v_mul_f64 v[72:73], v[186:187], v[74:75]
	v_mul_f64 v[174:175], v[184:185], v[74:75]
	v_fma_f64 v[72:73], v[184:185], v[172:173], -v[72:73]
	v_fmac_f64_e32 v[174:175], v[186:187], v[172:173]
	ds_read2_b64 v[184:187], v166 offset0:80 offset1:81
	v_add_f64 v[8:9], v[8:9], -v[72:73]
	v_add_f64 v[10:11], v[10:11], -v[174:175]
	s_waitcnt lgkmcnt(0)
	v_mul_f64 v[72:73], v[186:187], v[74:75]
	v_mul_f64 v[174:175], v[184:185], v[74:75]
	v_fma_f64 v[72:73], v[184:185], v[172:173], -v[72:73]
	v_fmac_f64_e32 v[174:175], v[186:187], v[172:173]
	ds_read2_b64 v[184:187], v166 offset0:82 offset1:83
	v_add_f64 v[4:5], v[4:5], -v[72:73]
	v_add_f64 v[6:7], v[6:7], -v[174:175]
	;; [unrolled: 8-line block ×3, first 2 shown]
	s_waitcnt lgkmcnt(0)
	v_mul_f64 v[72:73], v[186:187], v[74:75]
	v_mul_f64 v[174:175], v[184:185], v[74:75]
	v_fma_f64 v[72:73], v[184:185], v[172:173], -v[72:73]
	v_fmac_f64_e32 v[174:175], v[186:187], v[172:173]
	s_waitcnt vmcnt(36)
	v_add_f64 v[168:169], v[168:169], -v[72:73]
	v_add_f64 v[170:171], v[170:171], -v[174:175]
	v_mov_b64_e32 v[72:73], v[172:173]
.LBB85_217:
	s_or_b64 exec, exec, s[2:3]
	v_cmp_eq_u32_e32 vcc, 24, v164
	s_waitcnt lgkmcnt(0)
	s_barrier
	s_and_saveexec_b64 s[4:5], vcc
	s_cbranch_execz .LBB85_224
; %bb.218:
	ds_write2_b64 v165, v[68:69], v[70:71] offset1:1
	ds_write2_b64 v166, v[64:65], v[66:67] offset0:50 offset1:51
	ds_write2_b64 v166, v[60:61], v[62:63] offset0:52 offset1:53
	s_waitcnt vmcnt(50)
	ds_write2_b64 v166, v[56:57], v[58:59] offset0:54 offset1:55
	s_waitcnt vmcnt(49)
	;; [unrolled: 2-line block ×12, first 2 shown]
	ds_write2_b64 v166, v[12:13], v[14:15] offset0:76 offset1:77
	ds_write2_b64 v166, v[8:9], v[10:11] offset0:78 offset1:79
	;; [unrolled: 1-line block ×4, first 2 shown]
	s_waitcnt vmcnt(36)
	ds_write2_b64 v166, v[168:169], v[170:171] offset0:84 offset1:85
	ds_read2_b64 v[172:175], v165 offset1:1
	s_waitcnt lgkmcnt(0)
	v_cmp_neq_f64_e32 vcc, 0, v[172:173]
	v_cmp_neq_f64_e64 s[2:3], 0, v[174:175]
	s_or_b64 s[2:3], vcc, s[2:3]
	s_and_b64 exec, exec, s[2:3]
	s_cbranch_execz .LBB85_224
; %bb.219:
	v_cmp_ngt_f64_e64 s[2:3], |v[172:173]|, |v[174:175]|
                                        ; implicit-def: $vgpr184_vgpr185
	s_and_saveexec_b64 s[10:11], s[2:3]
	s_xor_b64 s[2:3], exec, s[10:11]
                                        ; implicit-def: $vgpr186_vgpr187
	s_cbranch_execz .LBB85_221
; %bb.220:
	v_div_scale_f64 v[184:185], s[10:11], v[174:175], v[174:175], v[172:173]
	v_rcp_f64_e32 v[186:187], v[184:185]
	v_div_scale_f64 v[188:189], vcc, v[172:173], v[174:175], v[172:173]
	v_fma_f64 v[190:191], -v[184:185], v[186:187], 1.0
	v_fmac_f64_e32 v[186:187], v[186:187], v[190:191]
	v_fma_f64 v[190:191], -v[184:185], v[186:187], 1.0
	v_fmac_f64_e32 v[186:187], v[186:187], v[190:191]
	v_mul_f64 v[190:191], v[188:189], v[186:187]
	v_fma_f64 v[184:185], -v[184:185], v[190:191], v[188:189]
	v_div_fmas_f64 v[184:185], v[184:185], v[186:187], v[190:191]
	v_div_fixup_f64 v[184:185], v[184:185], v[174:175], v[172:173]
	v_fmac_f64_e32 v[174:175], v[172:173], v[184:185]
	v_div_scale_f64 v[172:173], s[10:11], v[174:175], v[174:175], 1.0
	v_rcp_f64_e32 v[186:187], v[172:173]
	s_nop 0
	v_fma_f64 v[188:189], -v[172:173], v[186:187], 1.0
	v_fmac_f64_e32 v[186:187], v[186:187], v[188:189]
	v_fma_f64 v[188:189], -v[172:173], v[186:187], 1.0
	v_fmac_f64_e32 v[186:187], v[186:187], v[188:189]
	v_div_scale_f64 v[188:189], vcc, 1.0, v[174:175], 1.0
	v_mul_f64 v[190:191], v[188:189], v[186:187]
	v_fma_f64 v[172:173], -v[172:173], v[190:191], v[188:189]
	s_nop 1
	v_div_fmas_f64 v[172:173], v[172:173], v[186:187], v[190:191]
	v_div_fixup_f64 v[186:187], v[172:173], v[174:175], 1.0
	v_mul_f64 v[184:185], v[184:185], v[186:187]
	v_xor_b32_e32 v187, 0x80000000, v187
                                        ; implicit-def: $vgpr172_vgpr173
.LBB85_221:
	s_andn2_saveexec_b64 s[2:3], s[2:3]
	s_cbranch_execz .LBB85_223
; %bb.222:
	v_div_scale_f64 v[184:185], s[10:11], v[172:173], v[172:173], v[174:175]
	v_rcp_f64_e32 v[186:187], v[184:185]
	v_div_scale_f64 v[188:189], vcc, v[174:175], v[172:173], v[174:175]
	v_fma_f64 v[190:191], -v[184:185], v[186:187], 1.0
	v_fmac_f64_e32 v[186:187], v[186:187], v[190:191]
	v_fma_f64 v[190:191], -v[184:185], v[186:187], 1.0
	v_fmac_f64_e32 v[186:187], v[186:187], v[190:191]
	v_mul_f64 v[190:191], v[188:189], v[186:187]
	v_fma_f64 v[184:185], -v[184:185], v[190:191], v[188:189]
	v_div_fmas_f64 v[184:185], v[184:185], v[186:187], v[190:191]
	v_div_fixup_f64 v[186:187], v[184:185], v[172:173], v[174:175]
	v_fmac_f64_e32 v[172:173], v[174:175], v[186:187]
	v_div_scale_f64 v[174:175], s[10:11], v[172:173], v[172:173], 1.0
	v_rcp_f64_e32 v[184:185], v[174:175]
	s_nop 0
	v_fma_f64 v[188:189], -v[174:175], v[184:185], 1.0
	v_fmac_f64_e32 v[184:185], v[184:185], v[188:189]
	v_fma_f64 v[188:189], -v[174:175], v[184:185], 1.0
	v_fmac_f64_e32 v[184:185], v[184:185], v[188:189]
	v_div_scale_f64 v[188:189], vcc, 1.0, v[172:173], 1.0
	v_mul_f64 v[190:191], v[188:189], v[184:185]
	v_fma_f64 v[174:175], -v[174:175], v[190:191], v[188:189]
	s_nop 1
	v_div_fmas_f64 v[174:175], v[174:175], v[184:185], v[190:191]
	v_div_fixup_f64 v[184:185], v[174:175], v[172:173], 1.0
	v_mul_f64 v[186:187], v[186:187], -v[184:185]
.LBB85_223:
	s_or_b64 exec, exec, s[2:3]
	ds_write2_b64 v165, v[184:185], v[186:187] offset1:1
.LBB85_224:
	s_or_b64 exec, exec, s[4:5]
	s_waitcnt lgkmcnt(0)
	s_barrier
	ds_read2_b64 v[184:187], v165 offset1:1
	v_cmp_lt_u32_e32 vcc, 24, v164
	s_and_saveexec_b64 s[2:3], vcc
	s_cbranch_execz .LBB85_226
; %bb.225:
	ds_read2_b64 v[188:191], v166 offset0:50 offset1:51
	s_waitcnt lgkmcnt(1)
	v_mul_f64 v[172:173], v[186:187], v[70:71]
	v_mul_f64 v[70:71], v[184:185], v[70:71]
	v_fmac_f64_e32 v[70:71], v[186:187], v[68:69]
	v_fma_f64 v[172:173], v[184:185], v[68:69], -v[172:173]
	s_waitcnt lgkmcnt(0)
	v_mul_f64 v[68:69], v[190:191], v[70:71]
	v_mul_f64 v[174:175], v[188:189], v[70:71]
	v_fma_f64 v[68:69], v[188:189], v[172:173], -v[68:69]
	v_fmac_f64_e32 v[174:175], v[190:191], v[172:173]
	ds_read2_b64 v[188:191], v166 offset0:52 offset1:53
	v_add_f64 v[64:65], v[64:65], -v[68:69]
	v_add_f64 v[66:67], v[66:67], -v[174:175]
	s_waitcnt lgkmcnt(0)
	v_mul_f64 v[68:69], v[190:191], v[70:71]
	v_mul_f64 v[174:175], v[188:189], v[70:71]
	v_fma_f64 v[68:69], v[188:189], v[172:173], -v[68:69]
	v_fmac_f64_e32 v[174:175], v[190:191], v[172:173]
	ds_read2_b64 v[188:191], v166 offset0:54 offset1:55
	v_add_f64 v[60:61], v[60:61], -v[68:69]
	v_add_f64 v[62:63], v[62:63], -v[174:175]
	s_waitcnt lgkmcnt(0)
	v_mul_f64 v[68:69], v[190:191], v[70:71]
	v_mul_f64 v[174:175], v[188:189], v[70:71]
	v_fma_f64 v[68:69], v[188:189], v[172:173], -v[68:69]
	v_fmac_f64_e32 v[174:175], v[190:191], v[172:173]
	ds_read2_b64 v[188:191], v166 offset0:56 offset1:57
	s_waitcnt vmcnt(50)
	v_add_f64 v[56:57], v[56:57], -v[68:69]
	v_add_f64 v[58:59], v[58:59], -v[174:175]
	s_waitcnt lgkmcnt(0)
	v_mul_f64 v[68:69], v[190:191], v[70:71]
	v_mul_f64 v[174:175], v[188:189], v[70:71]
	v_fma_f64 v[68:69], v[188:189], v[172:173], -v[68:69]
	v_fmac_f64_e32 v[174:175], v[190:191], v[172:173]
	ds_read2_b64 v[188:191], v166 offset0:58 offset1:59
	s_waitcnt vmcnt(49)
	;; [unrolled: 9-line block ×12, first 2 shown]
	v_add_f64 v[12:13], v[12:13], -v[68:69]
	v_add_f64 v[14:15], v[14:15], -v[174:175]
	s_waitcnt lgkmcnt(0)
	v_mul_f64 v[68:69], v[190:191], v[70:71]
	v_mul_f64 v[174:175], v[188:189], v[70:71]
	v_fma_f64 v[68:69], v[188:189], v[172:173], -v[68:69]
	v_fmac_f64_e32 v[174:175], v[190:191], v[172:173]
	ds_read2_b64 v[188:191], v166 offset0:80 offset1:81
	v_add_f64 v[8:9], v[8:9], -v[68:69]
	v_add_f64 v[10:11], v[10:11], -v[174:175]
	s_waitcnt lgkmcnt(0)
	v_mul_f64 v[68:69], v[190:191], v[70:71]
	v_mul_f64 v[174:175], v[188:189], v[70:71]
	v_fma_f64 v[68:69], v[188:189], v[172:173], -v[68:69]
	v_fmac_f64_e32 v[174:175], v[190:191], v[172:173]
	ds_read2_b64 v[188:191], v166 offset0:82 offset1:83
	;; [unrolled: 8-line block ×3, first 2 shown]
	v_add_f64 v[0:1], v[0:1], -v[68:69]
	v_add_f64 v[2:3], v[2:3], -v[174:175]
	s_waitcnt lgkmcnt(0)
	v_mul_f64 v[68:69], v[190:191], v[70:71]
	v_mul_f64 v[174:175], v[188:189], v[70:71]
	v_fma_f64 v[68:69], v[188:189], v[172:173], -v[68:69]
	v_fmac_f64_e32 v[174:175], v[190:191], v[172:173]
	s_waitcnt vmcnt(36)
	v_add_f64 v[168:169], v[168:169], -v[68:69]
	v_add_f64 v[170:171], v[170:171], -v[174:175]
	v_mov_b64_e32 v[68:69], v[172:173]
.LBB85_226:
	s_or_b64 exec, exec, s[2:3]
	v_cmp_eq_u32_e32 vcc, 25, v164
	s_waitcnt lgkmcnt(0)
	s_barrier
	s_and_saveexec_b64 s[4:5], vcc
	s_cbranch_execz .LBB85_233
; %bb.227:
	ds_write2_b64 v165, v[64:65], v[66:67] offset1:1
	ds_write2_b64 v166, v[60:61], v[62:63] offset0:52 offset1:53
	s_waitcnt vmcnt(50)
	ds_write2_b64 v166, v[56:57], v[58:59] offset0:54 offset1:55
	s_waitcnt vmcnt(49)
	;; [unrolled: 2-line block ×12, first 2 shown]
	ds_write2_b64 v166, v[12:13], v[14:15] offset0:76 offset1:77
	ds_write2_b64 v166, v[8:9], v[10:11] offset0:78 offset1:79
	;; [unrolled: 1-line block ×4, first 2 shown]
	s_waitcnt vmcnt(36)
	ds_write2_b64 v166, v[168:169], v[170:171] offset0:84 offset1:85
	ds_read2_b64 v[172:175], v165 offset1:1
	s_waitcnt lgkmcnt(0)
	v_cmp_neq_f64_e32 vcc, 0, v[172:173]
	v_cmp_neq_f64_e64 s[2:3], 0, v[174:175]
	s_or_b64 s[2:3], vcc, s[2:3]
	s_and_b64 exec, exec, s[2:3]
	s_cbranch_execz .LBB85_233
; %bb.228:
	v_cmp_ngt_f64_e64 s[2:3], |v[172:173]|, |v[174:175]|
                                        ; implicit-def: $vgpr188_vgpr189
	s_and_saveexec_b64 s[10:11], s[2:3]
	s_xor_b64 s[2:3], exec, s[10:11]
                                        ; implicit-def: $vgpr190_vgpr191
	s_cbranch_execz .LBB85_230
; %bb.229:
	v_div_scale_f64 v[188:189], s[10:11], v[174:175], v[174:175], v[172:173]
	v_rcp_f64_e32 v[190:191], v[188:189]
	v_div_scale_f64 v[192:193], vcc, v[172:173], v[174:175], v[172:173]
	v_fma_f64 v[194:195], -v[188:189], v[190:191], 1.0
	v_fmac_f64_e32 v[190:191], v[190:191], v[194:195]
	v_fma_f64 v[194:195], -v[188:189], v[190:191], 1.0
	v_fmac_f64_e32 v[190:191], v[190:191], v[194:195]
	v_mul_f64 v[194:195], v[192:193], v[190:191]
	v_fma_f64 v[188:189], -v[188:189], v[194:195], v[192:193]
	v_div_fmas_f64 v[188:189], v[188:189], v[190:191], v[194:195]
	v_div_fixup_f64 v[188:189], v[188:189], v[174:175], v[172:173]
	v_fmac_f64_e32 v[174:175], v[172:173], v[188:189]
	v_div_scale_f64 v[172:173], s[10:11], v[174:175], v[174:175], 1.0
	v_rcp_f64_e32 v[190:191], v[172:173]
	s_nop 0
	v_fma_f64 v[192:193], -v[172:173], v[190:191], 1.0
	v_fmac_f64_e32 v[190:191], v[190:191], v[192:193]
	v_fma_f64 v[192:193], -v[172:173], v[190:191], 1.0
	v_fmac_f64_e32 v[190:191], v[190:191], v[192:193]
	v_div_scale_f64 v[192:193], vcc, 1.0, v[174:175], 1.0
	v_mul_f64 v[194:195], v[192:193], v[190:191]
	v_fma_f64 v[172:173], -v[172:173], v[194:195], v[192:193]
	s_nop 1
	v_div_fmas_f64 v[172:173], v[172:173], v[190:191], v[194:195]
	v_div_fixup_f64 v[190:191], v[172:173], v[174:175], 1.0
	v_mul_f64 v[188:189], v[188:189], v[190:191]
	v_xor_b32_e32 v191, 0x80000000, v191
                                        ; implicit-def: $vgpr172_vgpr173
.LBB85_230:
	s_andn2_saveexec_b64 s[2:3], s[2:3]
	s_cbranch_execz .LBB85_232
; %bb.231:
	v_div_scale_f64 v[188:189], s[10:11], v[172:173], v[172:173], v[174:175]
	v_rcp_f64_e32 v[190:191], v[188:189]
	v_div_scale_f64 v[192:193], vcc, v[174:175], v[172:173], v[174:175]
	v_fma_f64 v[194:195], -v[188:189], v[190:191], 1.0
	v_fmac_f64_e32 v[190:191], v[190:191], v[194:195]
	v_fma_f64 v[194:195], -v[188:189], v[190:191], 1.0
	v_fmac_f64_e32 v[190:191], v[190:191], v[194:195]
	v_mul_f64 v[194:195], v[192:193], v[190:191]
	v_fma_f64 v[188:189], -v[188:189], v[194:195], v[192:193]
	v_div_fmas_f64 v[188:189], v[188:189], v[190:191], v[194:195]
	v_div_fixup_f64 v[190:191], v[188:189], v[172:173], v[174:175]
	v_fmac_f64_e32 v[172:173], v[174:175], v[190:191]
	v_div_scale_f64 v[174:175], s[10:11], v[172:173], v[172:173], 1.0
	v_rcp_f64_e32 v[188:189], v[174:175]
	s_nop 0
	v_fma_f64 v[192:193], -v[174:175], v[188:189], 1.0
	v_fmac_f64_e32 v[188:189], v[188:189], v[192:193]
	v_fma_f64 v[192:193], -v[174:175], v[188:189], 1.0
	v_fmac_f64_e32 v[188:189], v[188:189], v[192:193]
	v_div_scale_f64 v[192:193], vcc, 1.0, v[172:173], 1.0
	v_mul_f64 v[194:195], v[192:193], v[188:189]
	v_fma_f64 v[174:175], -v[174:175], v[194:195], v[192:193]
	s_nop 1
	v_div_fmas_f64 v[174:175], v[174:175], v[188:189], v[194:195]
	v_div_fixup_f64 v[188:189], v[174:175], v[172:173], 1.0
	v_mul_f64 v[190:191], v[190:191], -v[188:189]
.LBB85_232:
	s_or_b64 exec, exec, s[2:3]
	ds_write2_b64 v165, v[188:189], v[190:191] offset1:1
.LBB85_233:
	s_or_b64 exec, exec, s[4:5]
	s_waitcnt lgkmcnt(0)
	s_barrier
	ds_read2_b64 v[188:191], v165 offset1:1
	v_cmp_lt_u32_e32 vcc, 25, v164
	s_and_saveexec_b64 s[2:3], vcc
	s_cbranch_execz .LBB85_235
; %bb.234:
	ds_read2_b64 v[192:195], v166 offset0:52 offset1:53
	s_waitcnt lgkmcnt(1)
	v_mul_f64 v[172:173], v[190:191], v[66:67]
	v_mul_f64 v[66:67], v[188:189], v[66:67]
	v_fmac_f64_e32 v[66:67], v[190:191], v[64:65]
	v_fma_f64 v[172:173], v[188:189], v[64:65], -v[172:173]
	s_waitcnt lgkmcnt(0)
	v_mul_f64 v[64:65], v[194:195], v[66:67]
	v_mul_f64 v[174:175], v[192:193], v[66:67]
	v_fma_f64 v[64:65], v[192:193], v[172:173], -v[64:65]
	v_fmac_f64_e32 v[174:175], v[194:195], v[172:173]
	ds_read2_b64 v[192:195], v166 offset0:54 offset1:55
	v_add_f64 v[60:61], v[60:61], -v[64:65]
	v_add_f64 v[62:63], v[62:63], -v[174:175]
	s_waitcnt lgkmcnt(0)
	v_mul_f64 v[64:65], v[194:195], v[66:67]
	v_mul_f64 v[174:175], v[192:193], v[66:67]
	v_fma_f64 v[64:65], v[192:193], v[172:173], -v[64:65]
	v_fmac_f64_e32 v[174:175], v[194:195], v[172:173]
	ds_read2_b64 v[192:195], v166 offset0:56 offset1:57
	s_waitcnt vmcnt(50)
	v_add_f64 v[56:57], v[56:57], -v[64:65]
	v_add_f64 v[58:59], v[58:59], -v[174:175]
	s_waitcnt lgkmcnt(0)
	v_mul_f64 v[64:65], v[194:195], v[66:67]
	v_mul_f64 v[174:175], v[192:193], v[66:67]
	v_fma_f64 v[64:65], v[192:193], v[172:173], -v[64:65]
	v_fmac_f64_e32 v[174:175], v[194:195], v[172:173]
	ds_read2_b64 v[192:195], v166 offset0:58 offset1:59
	s_waitcnt vmcnt(49)
	;; [unrolled: 9-line block ×12, first 2 shown]
	v_add_f64 v[12:13], v[12:13], -v[64:65]
	v_add_f64 v[14:15], v[14:15], -v[174:175]
	s_waitcnt lgkmcnt(0)
	v_mul_f64 v[64:65], v[194:195], v[66:67]
	v_mul_f64 v[174:175], v[192:193], v[66:67]
	v_fma_f64 v[64:65], v[192:193], v[172:173], -v[64:65]
	v_fmac_f64_e32 v[174:175], v[194:195], v[172:173]
	ds_read2_b64 v[192:195], v166 offset0:80 offset1:81
	v_add_f64 v[8:9], v[8:9], -v[64:65]
	v_add_f64 v[10:11], v[10:11], -v[174:175]
	s_waitcnt lgkmcnt(0)
	v_mul_f64 v[64:65], v[194:195], v[66:67]
	v_mul_f64 v[174:175], v[192:193], v[66:67]
	v_fma_f64 v[64:65], v[192:193], v[172:173], -v[64:65]
	v_fmac_f64_e32 v[174:175], v[194:195], v[172:173]
	ds_read2_b64 v[192:195], v166 offset0:82 offset1:83
	;; [unrolled: 8-line block ×3, first 2 shown]
	v_add_f64 v[0:1], v[0:1], -v[64:65]
	v_add_f64 v[2:3], v[2:3], -v[174:175]
	s_waitcnt lgkmcnt(0)
	v_mul_f64 v[64:65], v[194:195], v[66:67]
	v_mul_f64 v[174:175], v[192:193], v[66:67]
	v_fma_f64 v[64:65], v[192:193], v[172:173], -v[64:65]
	v_fmac_f64_e32 v[174:175], v[194:195], v[172:173]
	s_waitcnt vmcnt(36)
	v_add_f64 v[168:169], v[168:169], -v[64:65]
	v_add_f64 v[170:171], v[170:171], -v[174:175]
	v_mov_b64_e32 v[64:65], v[172:173]
.LBB85_235:
	s_or_b64 exec, exec, s[2:3]
	v_cmp_eq_u32_e32 vcc, 26, v164
	s_waitcnt lgkmcnt(0)
	s_barrier
	s_and_saveexec_b64 s[4:5], vcc
	s_cbranch_execz .LBB85_242
; %bb.236:
	ds_write2_b64 v165, v[60:61], v[62:63] offset1:1
	s_waitcnt vmcnt(50)
	ds_write2_b64 v166, v[56:57], v[58:59] offset0:54 offset1:55
	s_waitcnt vmcnt(49)
	ds_write2_b64 v166, v[52:53], v[54:55] offset0:56 offset1:57
	s_waitcnt vmcnt(48)
	ds_write2_b64 v166, v[48:49], v[50:51] offset0:58 offset1:59
	s_waitcnt vmcnt(47)
	ds_write2_b64 v166, v[44:45], v[46:47] offset0:60 offset1:61
	s_waitcnt vmcnt(46)
	ds_write2_b64 v166, v[40:41], v[42:43] offset0:62 offset1:63
	s_waitcnt vmcnt(45)
	ds_write2_b64 v166, v[36:37], v[38:39] offset0:64 offset1:65
	s_waitcnt vmcnt(44)
	ds_write2_b64 v166, v[32:33], v[34:35] offset0:66 offset1:67
	s_waitcnt vmcnt(43)
	ds_write2_b64 v166, v[28:29], v[30:31] offset0:68 offset1:69
	s_waitcnt vmcnt(42)
	ds_write2_b64 v166, v[24:25], v[26:27] offset0:70 offset1:71
	s_waitcnt vmcnt(41)
	ds_write2_b64 v166, v[20:21], v[22:23] offset0:72 offset1:73
	s_waitcnt vmcnt(40)
	ds_write2_b64 v166, v[16:17], v[18:19] offset0:74 offset1:75
	s_waitcnt vmcnt(39)
	ds_write2_b64 v166, v[12:13], v[14:15] offset0:76 offset1:77
	ds_write2_b64 v166, v[8:9], v[10:11] offset0:78 offset1:79
	ds_write2_b64 v166, v[4:5], v[6:7] offset0:80 offset1:81
	;; [unrolled: 1-line block ×3, first 2 shown]
	s_waitcnt vmcnt(36)
	ds_write2_b64 v166, v[168:169], v[170:171] offset0:84 offset1:85
	ds_read2_b64 v[172:175], v165 offset1:1
	s_waitcnt lgkmcnt(0)
	v_cmp_neq_f64_e32 vcc, 0, v[172:173]
	v_cmp_neq_f64_e64 s[2:3], 0, v[174:175]
	s_or_b64 s[2:3], vcc, s[2:3]
	s_and_b64 exec, exec, s[2:3]
	s_cbranch_execz .LBB85_242
; %bb.237:
	v_cmp_ngt_f64_e64 s[2:3], |v[172:173]|, |v[174:175]|
                                        ; implicit-def: $vgpr192_vgpr193
	s_and_saveexec_b64 s[10:11], s[2:3]
	s_xor_b64 s[2:3], exec, s[10:11]
                                        ; implicit-def: $vgpr194_vgpr195
	s_cbranch_execz .LBB85_239
; %bb.238:
	v_div_scale_f64 v[192:193], s[10:11], v[174:175], v[174:175], v[172:173]
	v_rcp_f64_e32 v[194:195], v[192:193]
	v_div_scale_f64 v[196:197], vcc, v[172:173], v[174:175], v[172:173]
	v_fma_f64 v[198:199], -v[192:193], v[194:195], 1.0
	v_fmac_f64_e32 v[194:195], v[194:195], v[198:199]
	v_fma_f64 v[198:199], -v[192:193], v[194:195], 1.0
	v_fmac_f64_e32 v[194:195], v[194:195], v[198:199]
	v_mul_f64 v[198:199], v[196:197], v[194:195]
	v_fma_f64 v[192:193], -v[192:193], v[198:199], v[196:197]
	v_div_fmas_f64 v[192:193], v[192:193], v[194:195], v[198:199]
	v_div_fixup_f64 v[192:193], v[192:193], v[174:175], v[172:173]
	v_fmac_f64_e32 v[174:175], v[172:173], v[192:193]
	v_div_scale_f64 v[172:173], s[10:11], v[174:175], v[174:175], 1.0
	v_rcp_f64_e32 v[194:195], v[172:173]
	s_nop 0
	v_fma_f64 v[196:197], -v[172:173], v[194:195], 1.0
	v_fmac_f64_e32 v[194:195], v[194:195], v[196:197]
	v_fma_f64 v[196:197], -v[172:173], v[194:195], 1.0
	v_fmac_f64_e32 v[194:195], v[194:195], v[196:197]
	v_div_scale_f64 v[196:197], vcc, 1.0, v[174:175], 1.0
	v_mul_f64 v[198:199], v[196:197], v[194:195]
	v_fma_f64 v[172:173], -v[172:173], v[198:199], v[196:197]
	s_nop 1
	v_div_fmas_f64 v[172:173], v[172:173], v[194:195], v[198:199]
	v_div_fixup_f64 v[194:195], v[172:173], v[174:175], 1.0
	v_mul_f64 v[192:193], v[192:193], v[194:195]
	v_xor_b32_e32 v195, 0x80000000, v195
                                        ; implicit-def: $vgpr172_vgpr173
.LBB85_239:
	s_andn2_saveexec_b64 s[2:3], s[2:3]
	s_cbranch_execz .LBB85_241
; %bb.240:
	v_div_scale_f64 v[192:193], s[10:11], v[172:173], v[172:173], v[174:175]
	v_rcp_f64_e32 v[194:195], v[192:193]
	v_div_scale_f64 v[196:197], vcc, v[174:175], v[172:173], v[174:175]
	v_fma_f64 v[198:199], -v[192:193], v[194:195], 1.0
	v_fmac_f64_e32 v[194:195], v[194:195], v[198:199]
	v_fma_f64 v[198:199], -v[192:193], v[194:195], 1.0
	v_fmac_f64_e32 v[194:195], v[194:195], v[198:199]
	v_mul_f64 v[198:199], v[196:197], v[194:195]
	v_fma_f64 v[192:193], -v[192:193], v[198:199], v[196:197]
	v_div_fmas_f64 v[192:193], v[192:193], v[194:195], v[198:199]
	v_div_fixup_f64 v[194:195], v[192:193], v[172:173], v[174:175]
	v_fmac_f64_e32 v[172:173], v[174:175], v[194:195]
	v_div_scale_f64 v[174:175], s[10:11], v[172:173], v[172:173], 1.0
	v_rcp_f64_e32 v[192:193], v[174:175]
	s_nop 0
	v_fma_f64 v[196:197], -v[174:175], v[192:193], 1.0
	v_fmac_f64_e32 v[192:193], v[192:193], v[196:197]
	v_fma_f64 v[196:197], -v[174:175], v[192:193], 1.0
	v_fmac_f64_e32 v[192:193], v[192:193], v[196:197]
	v_div_scale_f64 v[196:197], vcc, 1.0, v[172:173], 1.0
	v_mul_f64 v[198:199], v[196:197], v[192:193]
	v_fma_f64 v[174:175], -v[174:175], v[198:199], v[196:197]
	s_nop 1
	v_div_fmas_f64 v[174:175], v[174:175], v[192:193], v[198:199]
	v_div_fixup_f64 v[192:193], v[174:175], v[172:173], 1.0
	v_mul_f64 v[194:195], v[194:195], -v[192:193]
.LBB85_241:
	s_or_b64 exec, exec, s[2:3]
	ds_write2_b64 v165, v[192:193], v[194:195] offset1:1
.LBB85_242:
	s_or_b64 exec, exec, s[4:5]
	s_waitcnt lgkmcnt(0)
	s_barrier
	ds_read2_b64 v[192:195], v165 offset1:1
	v_cmp_lt_u32_e32 vcc, 26, v164
	s_and_saveexec_b64 s[2:3], vcc
	s_cbranch_execz .LBB85_244
; %bb.243:
	ds_read2_b64 v[196:199], v166 offset0:54 offset1:55
	s_waitcnt lgkmcnt(1)
	v_mul_f64 v[172:173], v[192:193], v[62:63]
	v_fmac_f64_e32 v[172:173], v[194:195], v[60:61]
	v_mul_f64 v[62:63], v[194:195], v[62:63]
	v_fma_f64 v[60:61], v[192:193], v[60:61], -v[62:63]
	s_waitcnt lgkmcnt(0)
	v_mul_f64 v[62:63], v[198:199], v[172:173]
	v_mul_f64 v[174:175], v[196:197], v[172:173]
	v_fma_f64 v[62:63], v[196:197], v[60:61], -v[62:63]
	v_fmac_f64_e32 v[174:175], v[198:199], v[60:61]
	ds_read2_b64 v[196:199], v166 offset0:56 offset1:57
	s_waitcnt vmcnt(50)
	v_add_f64 v[56:57], v[56:57], -v[62:63]
	v_add_f64 v[58:59], v[58:59], -v[174:175]
	s_waitcnt lgkmcnt(0)
	v_mul_f64 v[62:63], v[198:199], v[172:173]
	v_mul_f64 v[174:175], v[196:197], v[172:173]
	v_fma_f64 v[62:63], v[196:197], v[60:61], -v[62:63]
	v_fmac_f64_e32 v[174:175], v[198:199], v[60:61]
	ds_read2_b64 v[196:199], v166 offset0:58 offset1:59
	s_waitcnt vmcnt(49)
	v_add_f64 v[52:53], v[52:53], -v[62:63]
	v_add_f64 v[54:55], v[54:55], -v[174:175]
	;; [unrolled: 9-line block ×12, first 2 shown]
	s_waitcnt lgkmcnt(0)
	v_mul_f64 v[62:63], v[198:199], v[172:173]
	v_mul_f64 v[174:175], v[196:197], v[172:173]
	v_fma_f64 v[62:63], v[196:197], v[60:61], -v[62:63]
	v_fmac_f64_e32 v[174:175], v[198:199], v[60:61]
	ds_read2_b64 v[196:199], v166 offset0:80 offset1:81
	v_add_f64 v[8:9], v[8:9], -v[62:63]
	v_add_f64 v[10:11], v[10:11], -v[174:175]
	s_waitcnt lgkmcnt(0)
	v_mul_f64 v[62:63], v[198:199], v[172:173]
	v_mul_f64 v[174:175], v[196:197], v[172:173]
	v_fma_f64 v[62:63], v[196:197], v[60:61], -v[62:63]
	v_fmac_f64_e32 v[174:175], v[198:199], v[60:61]
	ds_read2_b64 v[196:199], v166 offset0:82 offset1:83
	v_add_f64 v[4:5], v[4:5], -v[62:63]
	v_add_f64 v[6:7], v[6:7], -v[174:175]
	s_waitcnt lgkmcnt(0)
	v_mul_f64 v[62:63], v[198:199], v[172:173]
	v_mul_f64 v[174:175], v[196:197], v[172:173]
	v_fma_f64 v[62:63], v[196:197], v[60:61], -v[62:63]
	v_fmac_f64_e32 v[174:175], v[198:199], v[60:61]
	ds_read2_b64 v[196:199], v166 offset0:84 offset1:85
	v_add_f64 v[0:1], v[0:1], -v[62:63]
	v_add_f64 v[2:3], v[2:3], -v[174:175]
	s_waitcnt lgkmcnt(0)
	v_mul_f64 v[62:63], v[198:199], v[172:173]
	v_mul_f64 v[174:175], v[196:197], v[172:173]
	v_fma_f64 v[62:63], v[196:197], v[60:61], -v[62:63]
	v_fmac_f64_e32 v[174:175], v[198:199], v[60:61]
	s_waitcnt vmcnt(36)
	v_add_f64 v[168:169], v[168:169], -v[62:63]
	v_add_f64 v[170:171], v[170:171], -v[174:175]
	v_mov_b64_e32 v[62:63], v[172:173]
.LBB85_244:
	s_or_b64 exec, exec, s[2:3]
	v_cmp_eq_u32_e32 vcc, 27, v164
	s_waitcnt lgkmcnt(0)
	s_barrier
	s_and_saveexec_b64 s[4:5], vcc
	s_cbranch_execz .LBB85_251
; %bb.245:
	s_waitcnt vmcnt(50)
	ds_write2_b64 v165, v[56:57], v[58:59] offset1:1
	s_waitcnt vmcnt(49)
	ds_write2_b64 v166, v[52:53], v[54:55] offset0:56 offset1:57
	s_waitcnt vmcnt(48)
	ds_write2_b64 v166, v[48:49], v[50:51] offset0:58 offset1:59
	;; [unrolled: 2-line block ×11, first 2 shown]
	ds_write2_b64 v166, v[8:9], v[10:11] offset0:78 offset1:79
	ds_write2_b64 v166, v[4:5], v[6:7] offset0:80 offset1:81
	;; [unrolled: 1-line block ×3, first 2 shown]
	s_waitcnt vmcnt(36)
	ds_write2_b64 v166, v[168:169], v[170:171] offset0:84 offset1:85
	ds_read2_b64 v[172:175], v165 offset1:1
	s_waitcnt lgkmcnt(0)
	v_cmp_neq_f64_e32 vcc, 0, v[172:173]
	v_cmp_neq_f64_e64 s[2:3], 0, v[174:175]
	s_or_b64 s[2:3], vcc, s[2:3]
	s_and_b64 exec, exec, s[2:3]
	s_cbranch_execz .LBB85_251
; %bb.246:
	v_cmp_ngt_f64_e64 s[2:3], |v[172:173]|, |v[174:175]|
                                        ; implicit-def: $vgpr196_vgpr197
	s_and_saveexec_b64 s[10:11], s[2:3]
	s_xor_b64 s[2:3], exec, s[10:11]
                                        ; implicit-def: $vgpr198_vgpr199
	s_cbranch_execz .LBB85_248
; %bb.247:
	v_div_scale_f64 v[196:197], s[10:11], v[174:175], v[174:175], v[172:173]
	v_rcp_f64_e32 v[198:199], v[196:197]
	v_div_scale_f64 v[200:201], vcc, v[172:173], v[174:175], v[172:173]
	v_fma_f64 v[202:203], -v[196:197], v[198:199], 1.0
	v_fmac_f64_e32 v[198:199], v[198:199], v[202:203]
	v_fma_f64 v[202:203], -v[196:197], v[198:199], 1.0
	v_fmac_f64_e32 v[198:199], v[198:199], v[202:203]
	v_mul_f64 v[202:203], v[200:201], v[198:199]
	v_fma_f64 v[196:197], -v[196:197], v[202:203], v[200:201]
	v_div_fmas_f64 v[196:197], v[196:197], v[198:199], v[202:203]
	v_div_fixup_f64 v[196:197], v[196:197], v[174:175], v[172:173]
	v_fmac_f64_e32 v[174:175], v[172:173], v[196:197]
	v_div_scale_f64 v[172:173], s[10:11], v[174:175], v[174:175], 1.0
	v_rcp_f64_e32 v[198:199], v[172:173]
	s_nop 0
	v_fma_f64 v[200:201], -v[172:173], v[198:199], 1.0
	v_fmac_f64_e32 v[198:199], v[198:199], v[200:201]
	v_fma_f64 v[200:201], -v[172:173], v[198:199], 1.0
	v_fmac_f64_e32 v[198:199], v[198:199], v[200:201]
	v_div_scale_f64 v[200:201], vcc, 1.0, v[174:175], 1.0
	v_mul_f64 v[202:203], v[200:201], v[198:199]
	v_fma_f64 v[172:173], -v[172:173], v[202:203], v[200:201]
	s_nop 1
	v_div_fmas_f64 v[172:173], v[172:173], v[198:199], v[202:203]
	v_div_fixup_f64 v[198:199], v[172:173], v[174:175], 1.0
	v_mul_f64 v[196:197], v[196:197], v[198:199]
	v_xor_b32_e32 v199, 0x80000000, v199
                                        ; implicit-def: $vgpr172_vgpr173
.LBB85_248:
	s_andn2_saveexec_b64 s[2:3], s[2:3]
	s_cbranch_execz .LBB85_250
; %bb.249:
	v_div_scale_f64 v[196:197], s[10:11], v[172:173], v[172:173], v[174:175]
	v_rcp_f64_e32 v[198:199], v[196:197]
	v_div_scale_f64 v[200:201], vcc, v[174:175], v[172:173], v[174:175]
	v_fma_f64 v[202:203], -v[196:197], v[198:199], 1.0
	v_fmac_f64_e32 v[198:199], v[198:199], v[202:203]
	v_fma_f64 v[202:203], -v[196:197], v[198:199], 1.0
	v_fmac_f64_e32 v[198:199], v[198:199], v[202:203]
	v_mul_f64 v[202:203], v[200:201], v[198:199]
	v_fma_f64 v[196:197], -v[196:197], v[202:203], v[200:201]
	v_div_fmas_f64 v[196:197], v[196:197], v[198:199], v[202:203]
	v_div_fixup_f64 v[198:199], v[196:197], v[172:173], v[174:175]
	v_fmac_f64_e32 v[172:173], v[174:175], v[198:199]
	v_div_scale_f64 v[174:175], s[10:11], v[172:173], v[172:173], 1.0
	v_rcp_f64_e32 v[196:197], v[174:175]
	s_nop 0
	v_fma_f64 v[200:201], -v[174:175], v[196:197], 1.0
	v_fmac_f64_e32 v[196:197], v[196:197], v[200:201]
	v_fma_f64 v[200:201], -v[174:175], v[196:197], 1.0
	v_fmac_f64_e32 v[196:197], v[196:197], v[200:201]
	v_div_scale_f64 v[200:201], vcc, 1.0, v[172:173], 1.0
	v_mul_f64 v[202:203], v[200:201], v[196:197]
	v_fma_f64 v[174:175], -v[174:175], v[202:203], v[200:201]
	s_nop 1
	v_div_fmas_f64 v[174:175], v[174:175], v[196:197], v[202:203]
	v_div_fixup_f64 v[196:197], v[174:175], v[172:173], 1.0
	v_mul_f64 v[198:199], v[198:199], -v[196:197]
.LBB85_250:
	s_or_b64 exec, exec, s[2:3]
	ds_write2_b64 v165, v[196:197], v[198:199] offset1:1
.LBB85_251:
	s_or_b64 exec, exec, s[4:5]
	s_waitcnt lgkmcnt(0)
	s_barrier
	ds_read2_b64 v[196:199], v165 offset1:1
	v_cmp_lt_u32_e32 vcc, 27, v164
	s_and_saveexec_b64 s[2:3], vcc
	s_cbranch_execz .LBB85_253
; %bb.252:
	ds_read2_b64 v[200:203], v166 offset0:56 offset1:57
	s_waitcnt vmcnt(50) lgkmcnt(1)
	v_mul_f64 v[172:173], v[196:197], v[58:59]
	v_fmac_f64_e32 v[172:173], v[198:199], v[56:57]
	v_mul_f64 v[58:59], v[198:199], v[58:59]
	v_fma_f64 v[56:57], v[196:197], v[56:57], -v[58:59]
	s_waitcnt lgkmcnt(0)
	v_mul_f64 v[58:59], v[202:203], v[172:173]
	v_mul_f64 v[174:175], v[200:201], v[172:173]
	v_fma_f64 v[58:59], v[200:201], v[56:57], -v[58:59]
	v_fmac_f64_e32 v[174:175], v[202:203], v[56:57]
	ds_read2_b64 v[200:203], v166 offset0:58 offset1:59
	s_waitcnt vmcnt(49)
	v_add_f64 v[52:53], v[52:53], -v[58:59]
	v_add_f64 v[54:55], v[54:55], -v[174:175]
	s_waitcnt lgkmcnt(0)
	v_mul_f64 v[58:59], v[202:203], v[172:173]
	v_mul_f64 v[174:175], v[200:201], v[172:173]
	v_fma_f64 v[58:59], v[200:201], v[56:57], -v[58:59]
	v_fmac_f64_e32 v[174:175], v[202:203], v[56:57]
	ds_read2_b64 v[200:203], v166 offset0:60 offset1:61
	s_waitcnt vmcnt(48)
	v_add_f64 v[48:49], v[48:49], -v[58:59]
	v_add_f64 v[50:51], v[50:51], -v[174:175]
	;; [unrolled: 9-line block ×11, first 2 shown]
	s_waitcnt lgkmcnt(0)
	v_mul_f64 v[58:59], v[202:203], v[172:173]
	v_mul_f64 v[174:175], v[200:201], v[172:173]
	v_fma_f64 v[58:59], v[200:201], v[56:57], -v[58:59]
	v_fmac_f64_e32 v[174:175], v[202:203], v[56:57]
	ds_read2_b64 v[200:203], v166 offset0:80 offset1:81
	v_add_f64 v[8:9], v[8:9], -v[58:59]
	v_add_f64 v[10:11], v[10:11], -v[174:175]
	s_waitcnt lgkmcnt(0)
	v_mul_f64 v[58:59], v[202:203], v[172:173]
	v_mul_f64 v[174:175], v[200:201], v[172:173]
	v_fma_f64 v[58:59], v[200:201], v[56:57], -v[58:59]
	v_fmac_f64_e32 v[174:175], v[202:203], v[56:57]
	ds_read2_b64 v[200:203], v166 offset0:82 offset1:83
	v_add_f64 v[4:5], v[4:5], -v[58:59]
	v_add_f64 v[6:7], v[6:7], -v[174:175]
	;; [unrolled: 8-line block ×3, first 2 shown]
	s_waitcnt lgkmcnt(0)
	v_mul_f64 v[58:59], v[202:203], v[172:173]
	v_mul_f64 v[174:175], v[200:201], v[172:173]
	v_fma_f64 v[58:59], v[200:201], v[56:57], -v[58:59]
	v_fmac_f64_e32 v[174:175], v[202:203], v[56:57]
	s_waitcnt vmcnt(36)
	v_add_f64 v[168:169], v[168:169], -v[58:59]
	v_add_f64 v[170:171], v[170:171], -v[174:175]
	v_mov_b64_e32 v[58:59], v[172:173]
.LBB85_253:
	s_or_b64 exec, exec, s[2:3]
	v_cmp_eq_u32_e32 vcc, 28, v164
	s_waitcnt lgkmcnt(0)
	s_barrier
	s_and_saveexec_b64 s[4:5], vcc
	s_cbranch_execz .LBB85_260
; %bb.254:
	s_waitcnt vmcnt(49)
	ds_write2_b64 v165, v[52:53], v[54:55] offset1:1
	s_waitcnt vmcnt(48)
	ds_write2_b64 v166, v[48:49], v[50:51] offset0:58 offset1:59
	s_waitcnt vmcnt(47)
	ds_write2_b64 v166, v[44:45], v[46:47] offset0:60 offset1:61
	;; [unrolled: 2-line block ×10, first 2 shown]
	ds_write2_b64 v166, v[8:9], v[10:11] offset0:78 offset1:79
	ds_write2_b64 v166, v[4:5], v[6:7] offset0:80 offset1:81
	;; [unrolled: 1-line block ×3, first 2 shown]
	s_waitcnt vmcnt(36)
	ds_write2_b64 v166, v[168:169], v[170:171] offset0:84 offset1:85
	ds_read2_b64 v[172:175], v165 offset1:1
	s_waitcnt lgkmcnt(0)
	v_cmp_neq_f64_e32 vcc, 0, v[172:173]
	v_cmp_neq_f64_e64 s[2:3], 0, v[174:175]
	s_or_b64 s[2:3], vcc, s[2:3]
	s_and_b64 exec, exec, s[2:3]
	s_cbranch_execz .LBB85_260
; %bb.255:
	v_cmp_ngt_f64_e64 s[2:3], |v[172:173]|, |v[174:175]|
                                        ; implicit-def: $vgpr200_vgpr201
	s_and_saveexec_b64 s[10:11], s[2:3]
	s_xor_b64 s[2:3], exec, s[10:11]
                                        ; implicit-def: $vgpr202_vgpr203
	s_cbranch_execz .LBB85_257
; %bb.256:
	v_div_scale_f64 v[200:201], s[10:11], v[174:175], v[174:175], v[172:173]
	v_rcp_f64_e32 v[202:203], v[200:201]
	v_div_scale_f64 v[204:205], vcc, v[172:173], v[174:175], v[172:173]
	v_fma_f64 v[206:207], -v[200:201], v[202:203], 1.0
	v_fmac_f64_e32 v[202:203], v[202:203], v[206:207]
	v_fma_f64 v[206:207], -v[200:201], v[202:203], 1.0
	v_fmac_f64_e32 v[202:203], v[202:203], v[206:207]
	v_mul_f64 v[206:207], v[204:205], v[202:203]
	v_fma_f64 v[200:201], -v[200:201], v[206:207], v[204:205]
	v_div_fmas_f64 v[200:201], v[200:201], v[202:203], v[206:207]
	v_div_fixup_f64 v[200:201], v[200:201], v[174:175], v[172:173]
	v_fmac_f64_e32 v[174:175], v[172:173], v[200:201]
	v_div_scale_f64 v[172:173], s[10:11], v[174:175], v[174:175], 1.0
	v_rcp_f64_e32 v[202:203], v[172:173]
	s_nop 0
	v_fma_f64 v[204:205], -v[172:173], v[202:203], 1.0
	v_fmac_f64_e32 v[202:203], v[202:203], v[204:205]
	v_fma_f64 v[204:205], -v[172:173], v[202:203], 1.0
	v_fmac_f64_e32 v[202:203], v[202:203], v[204:205]
	v_div_scale_f64 v[204:205], vcc, 1.0, v[174:175], 1.0
	v_mul_f64 v[206:207], v[204:205], v[202:203]
	v_fma_f64 v[172:173], -v[172:173], v[206:207], v[204:205]
	s_nop 1
	v_div_fmas_f64 v[172:173], v[172:173], v[202:203], v[206:207]
	v_div_fixup_f64 v[202:203], v[172:173], v[174:175], 1.0
	v_mul_f64 v[200:201], v[200:201], v[202:203]
	v_xor_b32_e32 v203, 0x80000000, v203
                                        ; implicit-def: $vgpr172_vgpr173
.LBB85_257:
	s_andn2_saveexec_b64 s[2:3], s[2:3]
	s_cbranch_execz .LBB85_259
; %bb.258:
	v_div_scale_f64 v[200:201], s[10:11], v[172:173], v[172:173], v[174:175]
	v_rcp_f64_e32 v[202:203], v[200:201]
	v_div_scale_f64 v[204:205], vcc, v[174:175], v[172:173], v[174:175]
	v_fma_f64 v[206:207], -v[200:201], v[202:203], 1.0
	v_fmac_f64_e32 v[202:203], v[202:203], v[206:207]
	v_fma_f64 v[206:207], -v[200:201], v[202:203], 1.0
	v_fmac_f64_e32 v[202:203], v[202:203], v[206:207]
	v_mul_f64 v[206:207], v[204:205], v[202:203]
	v_fma_f64 v[200:201], -v[200:201], v[206:207], v[204:205]
	v_div_fmas_f64 v[200:201], v[200:201], v[202:203], v[206:207]
	v_div_fixup_f64 v[202:203], v[200:201], v[172:173], v[174:175]
	v_fmac_f64_e32 v[172:173], v[174:175], v[202:203]
	v_div_scale_f64 v[174:175], s[10:11], v[172:173], v[172:173], 1.0
	v_rcp_f64_e32 v[200:201], v[174:175]
	s_nop 0
	v_fma_f64 v[204:205], -v[174:175], v[200:201], 1.0
	v_fmac_f64_e32 v[200:201], v[200:201], v[204:205]
	v_fma_f64 v[204:205], -v[174:175], v[200:201], 1.0
	v_fmac_f64_e32 v[200:201], v[200:201], v[204:205]
	v_div_scale_f64 v[204:205], vcc, 1.0, v[172:173], 1.0
	v_mul_f64 v[206:207], v[204:205], v[200:201]
	v_fma_f64 v[174:175], -v[174:175], v[206:207], v[204:205]
	s_nop 1
	v_div_fmas_f64 v[174:175], v[174:175], v[200:201], v[206:207]
	v_div_fixup_f64 v[200:201], v[174:175], v[172:173], 1.0
	v_mul_f64 v[202:203], v[202:203], -v[200:201]
.LBB85_259:
	s_or_b64 exec, exec, s[2:3]
	ds_write2_b64 v165, v[200:201], v[202:203] offset1:1
.LBB85_260:
	s_or_b64 exec, exec, s[4:5]
	s_waitcnt lgkmcnt(0)
	s_barrier
	ds_read2_b64 v[200:203], v165 offset1:1
	v_cmp_lt_u32_e32 vcc, 28, v164
	s_and_saveexec_b64 s[2:3], vcc
	s_cbranch_execz .LBB85_262
; %bb.261:
	ds_read2_b64 v[204:207], v166 offset0:58 offset1:59
	s_waitcnt vmcnt(49) lgkmcnt(1)
	v_mul_f64 v[172:173], v[200:201], v[54:55]
	v_fmac_f64_e32 v[172:173], v[202:203], v[52:53]
	v_mul_f64 v[54:55], v[202:203], v[54:55]
	v_fma_f64 v[52:53], v[200:201], v[52:53], -v[54:55]
	s_waitcnt lgkmcnt(0)
	v_mul_f64 v[54:55], v[206:207], v[172:173]
	v_mul_f64 v[174:175], v[204:205], v[172:173]
	v_fma_f64 v[54:55], v[204:205], v[52:53], -v[54:55]
	v_fmac_f64_e32 v[174:175], v[206:207], v[52:53]
	ds_read2_b64 v[204:207], v166 offset0:60 offset1:61
	s_waitcnt vmcnt(48)
	v_add_f64 v[48:49], v[48:49], -v[54:55]
	v_add_f64 v[50:51], v[50:51], -v[174:175]
	s_waitcnt lgkmcnt(0)
	v_mul_f64 v[54:55], v[206:207], v[172:173]
	v_mul_f64 v[174:175], v[204:205], v[172:173]
	v_fma_f64 v[54:55], v[204:205], v[52:53], -v[54:55]
	v_fmac_f64_e32 v[174:175], v[206:207], v[52:53]
	ds_read2_b64 v[204:207], v166 offset0:62 offset1:63
	s_waitcnt vmcnt(47)
	v_add_f64 v[44:45], v[44:45], -v[54:55]
	v_add_f64 v[46:47], v[46:47], -v[174:175]
	s_waitcnt lgkmcnt(0)
	v_mul_f64 v[54:55], v[206:207], v[172:173]
	v_mul_f64 v[174:175], v[204:205], v[172:173]
	v_fma_f64 v[54:55], v[204:205], v[52:53], -v[54:55]
	v_fmac_f64_e32 v[174:175], v[206:207], v[52:53]
	ds_read2_b64 v[204:207], v166 offset0:64 offset1:65
	s_waitcnt vmcnt(46)
	v_add_f64 v[40:41], v[40:41], -v[54:55]
	v_add_f64 v[42:43], v[42:43], -v[174:175]
	s_waitcnt lgkmcnt(0)
	v_mul_f64 v[54:55], v[206:207], v[172:173]
	v_mul_f64 v[174:175], v[204:205], v[172:173]
	v_fma_f64 v[54:55], v[204:205], v[52:53], -v[54:55]
	v_fmac_f64_e32 v[174:175], v[206:207], v[52:53]
	ds_read2_b64 v[204:207], v166 offset0:66 offset1:67
	s_waitcnt vmcnt(45)
	v_add_f64 v[36:37], v[36:37], -v[54:55]
	v_add_f64 v[38:39], v[38:39], -v[174:175]
	s_waitcnt lgkmcnt(0)
	v_mul_f64 v[54:55], v[206:207], v[172:173]
	v_mul_f64 v[174:175], v[204:205], v[172:173]
	v_fma_f64 v[54:55], v[204:205], v[52:53], -v[54:55]
	v_fmac_f64_e32 v[174:175], v[206:207], v[52:53]
	ds_read2_b64 v[204:207], v166 offset0:68 offset1:69
	s_waitcnt vmcnt(44)
	v_add_f64 v[32:33], v[32:33], -v[54:55]
	v_add_f64 v[34:35], v[34:35], -v[174:175]
	s_waitcnt lgkmcnt(0)
	v_mul_f64 v[54:55], v[206:207], v[172:173]
	v_mul_f64 v[174:175], v[204:205], v[172:173]
	v_fma_f64 v[54:55], v[204:205], v[52:53], -v[54:55]
	v_fmac_f64_e32 v[174:175], v[206:207], v[52:53]
	ds_read2_b64 v[204:207], v166 offset0:70 offset1:71
	s_waitcnt vmcnt(43)
	v_add_f64 v[28:29], v[28:29], -v[54:55]
	v_add_f64 v[30:31], v[30:31], -v[174:175]
	s_waitcnt lgkmcnt(0)
	v_mul_f64 v[54:55], v[206:207], v[172:173]
	v_mul_f64 v[174:175], v[204:205], v[172:173]
	v_fma_f64 v[54:55], v[204:205], v[52:53], -v[54:55]
	v_fmac_f64_e32 v[174:175], v[206:207], v[52:53]
	ds_read2_b64 v[204:207], v166 offset0:72 offset1:73
	s_waitcnt vmcnt(42)
	v_add_f64 v[24:25], v[24:25], -v[54:55]
	v_add_f64 v[26:27], v[26:27], -v[174:175]
	s_waitcnt lgkmcnt(0)
	v_mul_f64 v[54:55], v[206:207], v[172:173]
	v_mul_f64 v[174:175], v[204:205], v[172:173]
	v_fma_f64 v[54:55], v[204:205], v[52:53], -v[54:55]
	v_fmac_f64_e32 v[174:175], v[206:207], v[52:53]
	ds_read2_b64 v[204:207], v166 offset0:74 offset1:75
	s_waitcnt vmcnt(41)
	v_add_f64 v[20:21], v[20:21], -v[54:55]
	v_add_f64 v[22:23], v[22:23], -v[174:175]
	s_waitcnt lgkmcnt(0)
	v_mul_f64 v[54:55], v[206:207], v[172:173]
	v_mul_f64 v[174:175], v[204:205], v[172:173]
	v_fma_f64 v[54:55], v[204:205], v[52:53], -v[54:55]
	v_fmac_f64_e32 v[174:175], v[206:207], v[52:53]
	ds_read2_b64 v[204:207], v166 offset0:76 offset1:77
	s_waitcnt vmcnt(40)
	v_add_f64 v[16:17], v[16:17], -v[54:55]
	v_add_f64 v[18:19], v[18:19], -v[174:175]
	s_waitcnt lgkmcnt(0)
	v_mul_f64 v[54:55], v[206:207], v[172:173]
	v_mul_f64 v[174:175], v[204:205], v[172:173]
	v_fma_f64 v[54:55], v[204:205], v[52:53], -v[54:55]
	v_fmac_f64_e32 v[174:175], v[206:207], v[52:53]
	ds_read2_b64 v[204:207], v166 offset0:78 offset1:79
	s_waitcnt vmcnt(39)
	v_add_f64 v[12:13], v[12:13], -v[54:55]
	v_add_f64 v[14:15], v[14:15], -v[174:175]
	s_waitcnt lgkmcnt(0)
	v_mul_f64 v[54:55], v[206:207], v[172:173]
	v_mul_f64 v[174:175], v[204:205], v[172:173]
	v_fma_f64 v[54:55], v[204:205], v[52:53], -v[54:55]
	v_fmac_f64_e32 v[174:175], v[206:207], v[52:53]
	ds_read2_b64 v[204:207], v166 offset0:80 offset1:81
	v_add_f64 v[8:9], v[8:9], -v[54:55]
	v_add_f64 v[10:11], v[10:11], -v[174:175]
	s_waitcnt lgkmcnt(0)
	v_mul_f64 v[54:55], v[206:207], v[172:173]
	v_mul_f64 v[174:175], v[204:205], v[172:173]
	v_fma_f64 v[54:55], v[204:205], v[52:53], -v[54:55]
	v_fmac_f64_e32 v[174:175], v[206:207], v[52:53]
	ds_read2_b64 v[204:207], v166 offset0:82 offset1:83
	v_add_f64 v[4:5], v[4:5], -v[54:55]
	v_add_f64 v[6:7], v[6:7], -v[174:175]
	;; [unrolled: 8-line block ×3, first 2 shown]
	s_waitcnt lgkmcnt(0)
	v_mul_f64 v[54:55], v[206:207], v[172:173]
	v_mul_f64 v[174:175], v[204:205], v[172:173]
	v_fma_f64 v[54:55], v[204:205], v[52:53], -v[54:55]
	v_fmac_f64_e32 v[174:175], v[206:207], v[52:53]
	s_waitcnt vmcnt(36)
	v_add_f64 v[168:169], v[168:169], -v[54:55]
	v_add_f64 v[170:171], v[170:171], -v[174:175]
	v_mov_b64_e32 v[54:55], v[172:173]
.LBB85_262:
	s_or_b64 exec, exec, s[2:3]
	v_cmp_eq_u32_e32 vcc, 29, v164
	s_waitcnt lgkmcnt(0)
	s_barrier
	s_and_saveexec_b64 s[4:5], vcc
	s_cbranch_execz .LBB85_269
; %bb.263:
	s_waitcnt vmcnt(48)
	ds_write2_b64 v165, v[48:49], v[50:51] offset1:1
	s_waitcnt vmcnt(47)
	ds_write2_b64 v166, v[44:45], v[46:47] offset0:60 offset1:61
	s_waitcnt vmcnt(46)
	ds_write2_b64 v166, v[40:41], v[42:43] offset0:62 offset1:63
	;; [unrolled: 2-line block ×9, first 2 shown]
	ds_write2_b64 v166, v[8:9], v[10:11] offset0:78 offset1:79
	ds_write2_b64 v166, v[4:5], v[6:7] offset0:80 offset1:81
	;; [unrolled: 1-line block ×3, first 2 shown]
	s_waitcnt vmcnt(36)
	ds_write2_b64 v166, v[168:169], v[170:171] offset0:84 offset1:85
	ds_read2_b64 v[172:175], v165 offset1:1
	s_waitcnt lgkmcnt(0)
	v_cmp_neq_f64_e32 vcc, 0, v[172:173]
	v_cmp_neq_f64_e64 s[2:3], 0, v[174:175]
	s_or_b64 s[2:3], vcc, s[2:3]
	s_and_b64 exec, exec, s[2:3]
	s_cbranch_execz .LBB85_269
; %bb.264:
	v_cmp_ngt_f64_e64 s[2:3], |v[172:173]|, |v[174:175]|
                                        ; implicit-def: $vgpr204_vgpr205
	s_and_saveexec_b64 s[10:11], s[2:3]
	s_xor_b64 s[2:3], exec, s[10:11]
                                        ; implicit-def: $vgpr206_vgpr207
	s_cbranch_execz .LBB85_266
; %bb.265:
	v_div_scale_f64 v[204:205], s[10:11], v[174:175], v[174:175], v[172:173]
	v_rcp_f64_e32 v[206:207], v[204:205]
	v_div_scale_f64 v[208:209], vcc, v[172:173], v[174:175], v[172:173]
	v_fma_f64 v[210:211], -v[204:205], v[206:207], 1.0
	v_fmac_f64_e32 v[206:207], v[206:207], v[210:211]
	v_fma_f64 v[210:211], -v[204:205], v[206:207], 1.0
	v_fmac_f64_e32 v[206:207], v[206:207], v[210:211]
	v_mul_f64 v[210:211], v[208:209], v[206:207]
	v_fma_f64 v[204:205], -v[204:205], v[210:211], v[208:209]
	v_div_fmas_f64 v[204:205], v[204:205], v[206:207], v[210:211]
	v_div_fixup_f64 v[204:205], v[204:205], v[174:175], v[172:173]
	v_fmac_f64_e32 v[174:175], v[172:173], v[204:205]
	v_div_scale_f64 v[172:173], s[10:11], v[174:175], v[174:175], 1.0
	v_rcp_f64_e32 v[206:207], v[172:173]
	s_nop 0
	v_fma_f64 v[208:209], -v[172:173], v[206:207], 1.0
	v_fmac_f64_e32 v[206:207], v[206:207], v[208:209]
	v_fma_f64 v[208:209], -v[172:173], v[206:207], 1.0
	v_fmac_f64_e32 v[206:207], v[206:207], v[208:209]
	v_div_scale_f64 v[208:209], vcc, 1.0, v[174:175], 1.0
	v_mul_f64 v[210:211], v[208:209], v[206:207]
	v_fma_f64 v[172:173], -v[172:173], v[210:211], v[208:209]
	s_nop 1
	v_div_fmas_f64 v[172:173], v[172:173], v[206:207], v[210:211]
	v_div_fixup_f64 v[206:207], v[172:173], v[174:175], 1.0
	v_mul_f64 v[204:205], v[204:205], v[206:207]
	v_xor_b32_e32 v207, 0x80000000, v207
                                        ; implicit-def: $vgpr172_vgpr173
.LBB85_266:
	s_andn2_saveexec_b64 s[2:3], s[2:3]
	s_cbranch_execz .LBB85_268
; %bb.267:
	v_div_scale_f64 v[204:205], s[10:11], v[172:173], v[172:173], v[174:175]
	v_rcp_f64_e32 v[206:207], v[204:205]
	v_div_scale_f64 v[208:209], vcc, v[174:175], v[172:173], v[174:175]
	v_fma_f64 v[210:211], -v[204:205], v[206:207], 1.0
	v_fmac_f64_e32 v[206:207], v[206:207], v[210:211]
	v_fma_f64 v[210:211], -v[204:205], v[206:207], 1.0
	v_fmac_f64_e32 v[206:207], v[206:207], v[210:211]
	v_mul_f64 v[210:211], v[208:209], v[206:207]
	v_fma_f64 v[204:205], -v[204:205], v[210:211], v[208:209]
	v_div_fmas_f64 v[204:205], v[204:205], v[206:207], v[210:211]
	v_div_fixup_f64 v[206:207], v[204:205], v[172:173], v[174:175]
	v_fmac_f64_e32 v[172:173], v[174:175], v[206:207]
	v_div_scale_f64 v[174:175], s[10:11], v[172:173], v[172:173], 1.0
	v_rcp_f64_e32 v[204:205], v[174:175]
	s_nop 0
	v_fma_f64 v[208:209], -v[174:175], v[204:205], 1.0
	v_fmac_f64_e32 v[204:205], v[204:205], v[208:209]
	v_fma_f64 v[208:209], -v[174:175], v[204:205], 1.0
	v_fmac_f64_e32 v[204:205], v[204:205], v[208:209]
	v_div_scale_f64 v[208:209], vcc, 1.0, v[172:173], 1.0
	v_mul_f64 v[210:211], v[208:209], v[204:205]
	v_fma_f64 v[174:175], -v[174:175], v[210:211], v[208:209]
	s_nop 1
	v_div_fmas_f64 v[174:175], v[174:175], v[204:205], v[210:211]
	v_div_fixup_f64 v[204:205], v[174:175], v[172:173], 1.0
	v_mul_f64 v[206:207], v[206:207], -v[204:205]
.LBB85_268:
	s_or_b64 exec, exec, s[2:3]
	ds_write2_b64 v165, v[204:205], v[206:207] offset1:1
.LBB85_269:
	s_or_b64 exec, exec, s[4:5]
	s_waitcnt lgkmcnt(0)
	s_barrier
	ds_read2_b64 v[204:207], v165 offset1:1
	v_cmp_lt_u32_e32 vcc, 29, v164
	s_and_saveexec_b64 s[2:3], vcc
	s_cbranch_execz .LBB85_271
; %bb.270:
	ds_read2_b64 v[208:211], v166 offset0:60 offset1:61
	s_waitcnt vmcnt(48) lgkmcnt(1)
	v_mul_f64 v[172:173], v[204:205], v[50:51]
	v_fmac_f64_e32 v[172:173], v[206:207], v[48:49]
	v_mul_f64 v[50:51], v[206:207], v[50:51]
	v_fma_f64 v[48:49], v[204:205], v[48:49], -v[50:51]
	s_waitcnt lgkmcnt(0)
	v_mul_f64 v[50:51], v[210:211], v[172:173]
	v_mul_f64 v[174:175], v[208:209], v[172:173]
	v_fma_f64 v[50:51], v[208:209], v[48:49], -v[50:51]
	v_fmac_f64_e32 v[174:175], v[210:211], v[48:49]
	ds_read2_b64 v[208:211], v166 offset0:62 offset1:63
	s_waitcnt vmcnt(47)
	v_add_f64 v[44:45], v[44:45], -v[50:51]
	v_add_f64 v[46:47], v[46:47], -v[174:175]
	s_waitcnt lgkmcnt(0)
	v_mul_f64 v[50:51], v[210:211], v[172:173]
	v_mul_f64 v[174:175], v[208:209], v[172:173]
	v_fma_f64 v[50:51], v[208:209], v[48:49], -v[50:51]
	v_fmac_f64_e32 v[174:175], v[210:211], v[48:49]
	ds_read2_b64 v[208:211], v166 offset0:64 offset1:65
	s_waitcnt vmcnt(46)
	v_add_f64 v[40:41], v[40:41], -v[50:51]
	v_add_f64 v[42:43], v[42:43], -v[174:175]
	;; [unrolled: 9-line block ×9, first 2 shown]
	s_waitcnt lgkmcnt(0)
	v_mul_f64 v[50:51], v[210:211], v[172:173]
	v_mul_f64 v[174:175], v[208:209], v[172:173]
	v_fma_f64 v[50:51], v[208:209], v[48:49], -v[50:51]
	v_fmac_f64_e32 v[174:175], v[210:211], v[48:49]
	ds_read2_b64 v[208:211], v166 offset0:80 offset1:81
	v_add_f64 v[8:9], v[8:9], -v[50:51]
	v_add_f64 v[10:11], v[10:11], -v[174:175]
	s_waitcnt lgkmcnt(0)
	v_mul_f64 v[50:51], v[210:211], v[172:173]
	v_mul_f64 v[174:175], v[208:209], v[172:173]
	v_fma_f64 v[50:51], v[208:209], v[48:49], -v[50:51]
	v_fmac_f64_e32 v[174:175], v[210:211], v[48:49]
	ds_read2_b64 v[208:211], v166 offset0:82 offset1:83
	v_add_f64 v[4:5], v[4:5], -v[50:51]
	v_add_f64 v[6:7], v[6:7], -v[174:175]
	;; [unrolled: 8-line block ×3, first 2 shown]
	s_waitcnt lgkmcnt(0)
	v_mul_f64 v[50:51], v[210:211], v[172:173]
	v_mul_f64 v[174:175], v[208:209], v[172:173]
	v_fma_f64 v[50:51], v[208:209], v[48:49], -v[50:51]
	v_fmac_f64_e32 v[174:175], v[210:211], v[48:49]
	s_waitcnt vmcnt(36)
	v_add_f64 v[168:169], v[168:169], -v[50:51]
	v_add_f64 v[170:171], v[170:171], -v[174:175]
	v_mov_b64_e32 v[50:51], v[172:173]
.LBB85_271:
	s_or_b64 exec, exec, s[2:3]
	v_cmp_eq_u32_e32 vcc, 30, v164
	s_waitcnt lgkmcnt(0)
	s_barrier
	s_and_saveexec_b64 s[4:5], vcc
	s_cbranch_execz .LBB85_278
; %bb.272:
	s_waitcnt vmcnt(47)
	ds_write2_b64 v165, v[44:45], v[46:47] offset1:1
	s_waitcnt vmcnt(46)
	ds_write2_b64 v166, v[40:41], v[42:43] offset0:62 offset1:63
	s_waitcnt vmcnt(45)
	ds_write2_b64 v166, v[36:37], v[38:39] offset0:64 offset1:65
	;; [unrolled: 2-line block ×8, first 2 shown]
	ds_write2_b64 v166, v[8:9], v[10:11] offset0:78 offset1:79
	ds_write2_b64 v166, v[4:5], v[6:7] offset0:80 offset1:81
	;; [unrolled: 1-line block ×3, first 2 shown]
	s_waitcnt vmcnt(36)
	ds_write2_b64 v166, v[168:169], v[170:171] offset0:84 offset1:85
	ds_read2_b64 v[172:175], v165 offset1:1
	s_waitcnt lgkmcnt(0)
	v_cmp_neq_f64_e32 vcc, 0, v[172:173]
	v_cmp_neq_f64_e64 s[2:3], 0, v[174:175]
	s_or_b64 s[2:3], vcc, s[2:3]
	s_and_b64 exec, exec, s[2:3]
	s_cbranch_execz .LBB85_278
; %bb.273:
	v_cmp_ngt_f64_e64 s[2:3], |v[172:173]|, |v[174:175]|
                                        ; implicit-def: $vgpr208_vgpr209
	s_and_saveexec_b64 s[10:11], s[2:3]
	s_xor_b64 s[2:3], exec, s[10:11]
                                        ; implicit-def: $vgpr210_vgpr211
	s_cbranch_execz .LBB85_275
; %bb.274:
	v_div_scale_f64 v[208:209], s[10:11], v[174:175], v[174:175], v[172:173]
	v_rcp_f64_e32 v[210:211], v[208:209]
	v_div_scale_f64 v[212:213], vcc, v[172:173], v[174:175], v[172:173]
	v_fma_f64 v[214:215], -v[208:209], v[210:211], 1.0
	v_fmac_f64_e32 v[210:211], v[210:211], v[214:215]
	v_fma_f64 v[214:215], -v[208:209], v[210:211], 1.0
	v_fmac_f64_e32 v[210:211], v[210:211], v[214:215]
	v_mul_f64 v[214:215], v[212:213], v[210:211]
	v_fma_f64 v[208:209], -v[208:209], v[214:215], v[212:213]
	v_div_fmas_f64 v[208:209], v[208:209], v[210:211], v[214:215]
	v_div_fixup_f64 v[208:209], v[208:209], v[174:175], v[172:173]
	v_fmac_f64_e32 v[174:175], v[172:173], v[208:209]
	v_div_scale_f64 v[172:173], s[10:11], v[174:175], v[174:175], 1.0
	v_rcp_f64_e32 v[210:211], v[172:173]
	s_nop 0
	v_fma_f64 v[212:213], -v[172:173], v[210:211], 1.0
	v_fmac_f64_e32 v[210:211], v[210:211], v[212:213]
	v_fma_f64 v[212:213], -v[172:173], v[210:211], 1.0
	v_fmac_f64_e32 v[210:211], v[210:211], v[212:213]
	v_div_scale_f64 v[212:213], vcc, 1.0, v[174:175], 1.0
	v_mul_f64 v[214:215], v[212:213], v[210:211]
	v_fma_f64 v[172:173], -v[172:173], v[214:215], v[212:213]
	s_nop 1
	v_div_fmas_f64 v[172:173], v[172:173], v[210:211], v[214:215]
	v_div_fixup_f64 v[210:211], v[172:173], v[174:175], 1.0
	v_mul_f64 v[208:209], v[208:209], v[210:211]
	v_xor_b32_e32 v211, 0x80000000, v211
                                        ; implicit-def: $vgpr172_vgpr173
.LBB85_275:
	s_andn2_saveexec_b64 s[2:3], s[2:3]
	s_cbranch_execz .LBB85_277
; %bb.276:
	v_div_scale_f64 v[208:209], s[10:11], v[172:173], v[172:173], v[174:175]
	v_rcp_f64_e32 v[210:211], v[208:209]
	v_div_scale_f64 v[212:213], vcc, v[174:175], v[172:173], v[174:175]
	v_fma_f64 v[214:215], -v[208:209], v[210:211], 1.0
	v_fmac_f64_e32 v[210:211], v[210:211], v[214:215]
	v_fma_f64 v[214:215], -v[208:209], v[210:211], 1.0
	v_fmac_f64_e32 v[210:211], v[210:211], v[214:215]
	v_mul_f64 v[214:215], v[212:213], v[210:211]
	v_fma_f64 v[208:209], -v[208:209], v[214:215], v[212:213]
	v_div_fmas_f64 v[208:209], v[208:209], v[210:211], v[214:215]
	v_div_fixup_f64 v[210:211], v[208:209], v[172:173], v[174:175]
	v_fmac_f64_e32 v[172:173], v[174:175], v[210:211]
	v_div_scale_f64 v[174:175], s[10:11], v[172:173], v[172:173], 1.0
	v_rcp_f64_e32 v[208:209], v[174:175]
	s_nop 0
	v_fma_f64 v[212:213], -v[174:175], v[208:209], 1.0
	v_fmac_f64_e32 v[208:209], v[208:209], v[212:213]
	v_fma_f64 v[212:213], -v[174:175], v[208:209], 1.0
	v_fmac_f64_e32 v[208:209], v[208:209], v[212:213]
	v_div_scale_f64 v[212:213], vcc, 1.0, v[172:173], 1.0
	v_mul_f64 v[214:215], v[212:213], v[208:209]
	v_fma_f64 v[174:175], -v[174:175], v[214:215], v[212:213]
	s_nop 1
	v_div_fmas_f64 v[174:175], v[174:175], v[208:209], v[214:215]
	v_div_fixup_f64 v[208:209], v[174:175], v[172:173], 1.0
	v_mul_f64 v[210:211], v[210:211], -v[208:209]
.LBB85_277:
	s_or_b64 exec, exec, s[2:3]
	ds_write2_b64 v165, v[208:209], v[210:211] offset1:1
.LBB85_278:
	s_or_b64 exec, exec, s[4:5]
	s_waitcnt lgkmcnt(0)
	s_barrier
	ds_read2_b64 v[208:211], v165 offset1:1
	v_cmp_lt_u32_e32 vcc, 30, v164
	s_and_saveexec_b64 s[2:3], vcc
	s_cbranch_execz .LBB85_280
; %bb.279:
	ds_read2_b64 v[212:215], v166 offset0:62 offset1:63
	s_waitcnt vmcnt(47) lgkmcnt(1)
	v_mul_f64 v[172:173], v[208:209], v[46:47]
	v_fmac_f64_e32 v[172:173], v[210:211], v[44:45]
	v_mul_f64 v[46:47], v[210:211], v[46:47]
	v_fma_f64 v[44:45], v[208:209], v[44:45], -v[46:47]
	s_waitcnt lgkmcnt(0)
	v_mul_f64 v[46:47], v[214:215], v[172:173]
	v_mul_f64 v[174:175], v[212:213], v[172:173]
	v_fma_f64 v[46:47], v[212:213], v[44:45], -v[46:47]
	v_fmac_f64_e32 v[174:175], v[214:215], v[44:45]
	ds_read2_b64 v[212:215], v166 offset0:64 offset1:65
	s_waitcnt vmcnt(46)
	v_add_f64 v[40:41], v[40:41], -v[46:47]
	v_add_f64 v[42:43], v[42:43], -v[174:175]
	s_waitcnt lgkmcnt(0)
	v_mul_f64 v[46:47], v[214:215], v[172:173]
	v_mul_f64 v[174:175], v[212:213], v[172:173]
	v_fma_f64 v[46:47], v[212:213], v[44:45], -v[46:47]
	v_fmac_f64_e32 v[174:175], v[214:215], v[44:45]
	ds_read2_b64 v[212:215], v166 offset0:66 offset1:67
	s_waitcnt vmcnt(45)
	v_add_f64 v[36:37], v[36:37], -v[46:47]
	v_add_f64 v[38:39], v[38:39], -v[174:175]
	;; [unrolled: 9-line block ×8, first 2 shown]
	s_waitcnt lgkmcnt(0)
	v_mul_f64 v[46:47], v[214:215], v[172:173]
	v_mul_f64 v[174:175], v[212:213], v[172:173]
	v_fma_f64 v[46:47], v[212:213], v[44:45], -v[46:47]
	v_fmac_f64_e32 v[174:175], v[214:215], v[44:45]
	ds_read2_b64 v[212:215], v166 offset0:80 offset1:81
	v_add_f64 v[8:9], v[8:9], -v[46:47]
	v_add_f64 v[10:11], v[10:11], -v[174:175]
	s_waitcnt lgkmcnt(0)
	v_mul_f64 v[46:47], v[214:215], v[172:173]
	v_mul_f64 v[174:175], v[212:213], v[172:173]
	v_fma_f64 v[46:47], v[212:213], v[44:45], -v[46:47]
	v_fmac_f64_e32 v[174:175], v[214:215], v[44:45]
	ds_read2_b64 v[212:215], v166 offset0:82 offset1:83
	v_add_f64 v[4:5], v[4:5], -v[46:47]
	v_add_f64 v[6:7], v[6:7], -v[174:175]
	;; [unrolled: 8-line block ×3, first 2 shown]
	s_waitcnt lgkmcnt(0)
	v_mul_f64 v[46:47], v[214:215], v[172:173]
	v_mul_f64 v[174:175], v[212:213], v[172:173]
	v_fma_f64 v[46:47], v[212:213], v[44:45], -v[46:47]
	v_fmac_f64_e32 v[174:175], v[214:215], v[44:45]
	s_waitcnt vmcnt(36)
	v_add_f64 v[168:169], v[168:169], -v[46:47]
	v_add_f64 v[170:171], v[170:171], -v[174:175]
	v_mov_b64_e32 v[46:47], v[172:173]
.LBB85_280:
	s_or_b64 exec, exec, s[2:3]
	v_cmp_eq_u32_e32 vcc, 31, v164
	s_waitcnt lgkmcnt(0)
	s_barrier
	s_and_saveexec_b64 s[4:5], vcc
	s_cbranch_execz .LBB85_287
; %bb.281:
	s_waitcnt vmcnt(46)
	ds_write2_b64 v165, v[40:41], v[42:43] offset1:1
	s_waitcnt vmcnt(45)
	ds_write2_b64 v166, v[36:37], v[38:39] offset0:64 offset1:65
	s_waitcnt vmcnt(44)
	ds_write2_b64 v166, v[32:33], v[34:35] offset0:66 offset1:67
	;; [unrolled: 2-line block ×7, first 2 shown]
	ds_write2_b64 v166, v[8:9], v[10:11] offset0:78 offset1:79
	ds_write2_b64 v166, v[4:5], v[6:7] offset0:80 offset1:81
	;; [unrolled: 1-line block ×3, first 2 shown]
	s_waitcnt vmcnt(36)
	ds_write2_b64 v166, v[168:169], v[170:171] offset0:84 offset1:85
	ds_read2_b64 v[172:175], v165 offset1:1
	s_waitcnt lgkmcnt(0)
	v_cmp_neq_f64_e32 vcc, 0, v[172:173]
	v_cmp_neq_f64_e64 s[2:3], 0, v[174:175]
	s_or_b64 s[2:3], vcc, s[2:3]
	s_and_b64 exec, exec, s[2:3]
	s_cbranch_execz .LBB85_287
; %bb.282:
	v_cmp_ngt_f64_e64 s[2:3], |v[172:173]|, |v[174:175]|
                                        ; implicit-def: $vgpr212_vgpr213
	s_and_saveexec_b64 s[10:11], s[2:3]
	s_xor_b64 s[2:3], exec, s[10:11]
                                        ; implicit-def: $vgpr214_vgpr215
	s_cbranch_execz .LBB85_284
; %bb.283:
	v_div_scale_f64 v[212:213], s[10:11], v[174:175], v[174:175], v[172:173]
	v_rcp_f64_e32 v[214:215], v[212:213]
	v_div_scale_f64 v[216:217], vcc, v[172:173], v[174:175], v[172:173]
	v_fma_f64 v[218:219], -v[212:213], v[214:215], 1.0
	v_fmac_f64_e32 v[214:215], v[214:215], v[218:219]
	v_fma_f64 v[218:219], -v[212:213], v[214:215], 1.0
	v_fmac_f64_e32 v[214:215], v[214:215], v[218:219]
	v_mul_f64 v[218:219], v[216:217], v[214:215]
	v_fma_f64 v[212:213], -v[212:213], v[218:219], v[216:217]
	v_div_fmas_f64 v[212:213], v[212:213], v[214:215], v[218:219]
	v_div_fixup_f64 v[212:213], v[212:213], v[174:175], v[172:173]
	v_fmac_f64_e32 v[174:175], v[172:173], v[212:213]
	v_div_scale_f64 v[172:173], s[10:11], v[174:175], v[174:175], 1.0
	v_rcp_f64_e32 v[214:215], v[172:173]
	s_nop 0
	v_fma_f64 v[216:217], -v[172:173], v[214:215], 1.0
	v_fmac_f64_e32 v[214:215], v[214:215], v[216:217]
	v_fma_f64 v[216:217], -v[172:173], v[214:215], 1.0
	v_fmac_f64_e32 v[214:215], v[214:215], v[216:217]
	v_div_scale_f64 v[216:217], vcc, 1.0, v[174:175], 1.0
	v_mul_f64 v[218:219], v[216:217], v[214:215]
	v_fma_f64 v[172:173], -v[172:173], v[218:219], v[216:217]
	s_nop 1
	v_div_fmas_f64 v[172:173], v[172:173], v[214:215], v[218:219]
	v_div_fixup_f64 v[214:215], v[172:173], v[174:175], 1.0
	v_mul_f64 v[212:213], v[212:213], v[214:215]
	v_xor_b32_e32 v215, 0x80000000, v215
                                        ; implicit-def: $vgpr172_vgpr173
.LBB85_284:
	s_andn2_saveexec_b64 s[2:3], s[2:3]
	s_cbranch_execz .LBB85_286
; %bb.285:
	v_div_scale_f64 v[212:213], s[10:11], v[172:173], v[172:173], v[174:175]
	v_rcp_f64_e32 v[214:215], v[212:213]
	v_div_scale_f64 v[216:217], vcc, v[174:175], v[172:173], v[174:175]
	v_fma_f64 v[218:219], -v[212:213], v[214:215], 1.0
	v_fmac_f64_e32 v[214:215], v[214:215], v[218:219]
	v_fma_f64 v[218:219], -v[212:213], v[214:215], 1.0
	v_fmac_f64_e32 v[214:215], v[214:215], v[218:219]
	v_mul_f64 v[218:219], v[216:217], v[214:215]
	v_fma_f64 v[212:213], -v[212:213], v[218:219], v[216:217]
	v_div_fmas_f64 v[212:213], v[212:213], v[214:215], v[218:219]
	v_div_fixup_f64 v[214:215], v[212:213], v[172:173], v[174:175]
	v_fmac_f64_e32 v[172:173], v[174:175], v[214:215]
	v_div_scale_f64 v[174:175], s[10:11], v[172:173], v[172:173], 1.0
	v_rcp_f64_e32 v[212:213], v[174:175]
	s_nop 0
	v_fma_f64 v[216:217], -v[174:175], v[212:213], 1.0
	v_fmac_f64_e32 v[212:213], v[212:213], v[216:217]
	v_fma_f64 v[216:217], -v[174:175], v[212:213], 1.0
	v_fmac_f64_e32 v[212:213], v[212:213], v[216:217]
	v_div_scale_f64 v[216:217], vcc, 1.0, v[172:173], 1.0
	v_mul_f64 v[218:219], v[216:217], v[212:213]
	v_fma_f64 v[174:175], -v[174:175], v[218:219], v[216:217]
	s_nop 1
	v_div_fmas_f64 v[174:175], v[174:175], v[212:213], v[218:219]
	v_div_fixup_f64 v[212:213], v[174:175], v[172:173], 1.0
	v_mul_f64 v[214:215], v[214:215], -v[212:213]
.LBB85_286:
	s_or_b64 exec, exec, s[2:3]
	ds_write2_b64 v165, v[212:213], v[214:215] offset1:1
.LBB85_287:
	s_or_b64 exec, exec, s[4:5]
	s_waitcnt lgkmcnt(0)
	s_barrier
	ds_read2_b64 v[212:215], v165 offset1:1
	v_cmp_lt_u32_e32 vcc, 31, v164
	s_and_saveexec_b64 s[2:3], vcc
	s_cbranch_execz .LBB85_289
; %bb.288:
	ds_read2_b64 v[216:219], v166 offset0:64 offset1:65
	s_waitcnt vmcnt(46) lgkmcnt(1)
	v_mul_f64 v[172:173], v[212:213], v[42:43]
	v_fmac_f64_e32 v[172:173], v[214:215], v[40:41]
	v_mul_f64 v[42:43], v[214:215], v[42:43]
	v_fma_f64 v[40:41], v[212:213], v[40:41], -v[42:43]
	s_waitcnt lgkmcnt(0)
	v_mul_f64 v[42:43], v[218:219], v[172:173]
	v_mul_f64 v[174:175], v[216:217], v[172:173]
	v_fma_f64 v[42:43], v[216:217], v[40:41], -v[42:43]
	v_fmac_f64_e32 v[174:175], v[218:219], v[40:41]
	ds_read2_b64 v[216:219], v166 offset0:66 offset1:67
	s_waitcnt vmcnt(45)
	v_add_f64 v[36:37], v[36:37], -v[42:43]
	v_add_f64 v[38:39], v[38:39], -v[174:175]
	s_waitcnt lgkmcnt(0)
	v_mul_f64 v[42:43], v[218:219], v[172:173]
	v_mul_f64 v[174:175], v[216:217], v[172:173]
	v_fma_f64 v[42:43], v[216:217], v[40:41], -v[42:43]
	v_fmac_f64_e32 v[174:175], v[218:219], v[40:41]
	ds_read2_b64 v[216:219], v166 offset0:68 offset1:69
	s_waitcnt vmcnt(44)
	v_add_f64 v[32:33], v[32:33], -v[42:43]
	v_add_f64 v[34:35], v[34:35], -v[174:175]
	;; [unrolled: 9-line block ×7, first 2 shown]
	s_waitcnt lgkmcnt(0)
	v_mul_f64 v[42:43], v[218:219], v[172:173]
	v_mul_f64 v[174:175], v[216:217], v[172:173]
	v_fma_f64 v[42:43], v[216:217], v[40:41], -v[42:43]
	v_fmac_f64_e32 v[174:175], v[218:219], v[40:41]
	ds_read2_b64 v[216:219], v166 offset0:80 offset1:81
	v_add_f64 v[8:9], v[8:9], -v[42:43]
	v_add_f64 v[10:11], v[10:11], -v[174:175]
	s_waitcnt lgkmcnt(0)
	v_mul_f64 v[42:43], v[218:219], v[172:173]
	v_mul_f64 v[174:175], v[216:217], v[172:173]
	v_fma_f64 v[42:43], v[216:217], v[40:41], -v[42:43]
	v_fmac_f64_e32 v[174:175], v[218:219], v[40:41]
	ds_read2_b64 v[216:219], v166 offset0:82 offset1:83
	v_add_f64 v[4:5], v[4:5], -v[42:43]
	v_add_f64 v[6:7], v[6:7], -v[174:175]
	;; [unrolled: 8-line block ×3, first 2 shown]
	s_waitcnt lgkmcnt(0)
	v_mul_f64 v[42:43], v[218:219], v[172:173]
	v_mul_f64 v[174:175], v[216:217], v[172:173]
	v_fma_f64 v[42:43], v[216:217], v[40:41], -v[42:43]
	v_fmac_f64_e32 v[174:175], v[218:219], v[40:41]
	s_waitcnt vmcnt(36)
	v_add_f64 v[168:169], v[168:169], -v[42:43]
	v_add_f64 v[170:171], v[170:171], -v[174:175]
	v_mov_b64_e32 v[42:43], v[172:173]
.LBB85_289:
	s_or_b64 exec, exec, s[2:3]
	v_cmp_eq_u32_e32 vcc, 32, v164
	s_waitcnt lgkmcnt(0)
	s_barrier
	s_and_saveexec_b64 s[4:5], vcc
	s_cbranch_execz .LBB85_296
; %bb.290:
	s_waitcnt vmcnt(45)
	ds_write2_b64 v165, v[36:37], v[38:39] offset1:1
	s_waitcnt vmcnt(44)
	ds_write2_b64 v166, v[32:33], v[34:35] offset0:66 offset1:67
	s_waitcnt vmcnt(43)
	ds_write2_b64 v166, v[28:29], v[30:31] offset0:68 offset1:69
	;; [unrolled: 2-line block ×6, first 2 shown]
	ds_write2_b64 v166, v[8:9], v[10:11] offset0:78 offset1:79
	ds_write2_b64 v166, v[4:5], v[6:7] offset0:80 offset1:81
	;; [unrolled: 1-line block ×3, first 2 shown]
	s_waitcnt vmcnt(36)
	ds_write2_b64 v166, v[168:169], v[170:171] offset0:84 offset1:85
	ds_read2_b64 v[172:175], v165 offset1:1
	s_waitcnt lgkmcnt(0)
	v_cmp_neq_f64_e32 vcc, 0, v[172:173]
	v_cmp_neq_f64_e64 s[2:3], 0, v[174:175]
	s_or_b64 s[2:3], vcc, s[2:3]
	s_and_b64 exec, exec, s[2:3]
	s_cbranch_execz .LBB85_296
; %bb.291:
	v_cmp_ngt_f64_e64 s[2:3], |v[172:173]|, |v[174:175]|
                                        ; implicit-def: $vgpr216_vgpr217
	s_and_saveexec_b64 s[10:11], s[2:3]
	s_xor_b64 s[2:3], exec, s[10:11]
                                        ; implicit-def: $vgpr218_vgpr219
	s_cbranch_execz .LBB85_293
; %bb.292:
	v_div_scale_f64 v[216:217], s[10:11], v[174:175], v[174:175], v[172:173]
	v_rcp_f64_e32 v[218:219], v[216:217]
	v_div_scale_f64 v[220:221], vcc, v[172:173], v[174:175], v[172:173]
	v_fma_f64 v[222:223], -v[216:217], v[218:219], 1.0
	v_fmac_f64_e32 v[218:219], v[218:219], v[222:223]
	v_fma_f64 v[222:223], -v[216:217], v[218:219], 1.0
	v_fmac_f64_e32 v[218:219], v[218:219], v[222:223]
	v_mul_f64 v[222:223], v[220:221], v[218:219]
	v_fma_f64 v[216:217], -v[216:217], v[222:223], v[220:221]
	v_div_fmas_f64 v[216:217], v[216:217], v[218:219], v[222:223]
	v_div_fixup_f64 v[216:217], v[216:217], v[174:175], v[172:173]
	v_fmac_f64_e32 v[174:175], v[172:173], v[216:217]
	v_div_scale_f64 v[172:173], s[10:11], v[174:175], v[174:175], 1.0
	v_rcp_f64_e32 v[218:219], v[172:173]
	s_nop 0
	v_fma_f64 v[220:221], -v[172:173], v[218:219], 1.0
	v_fmac_f64_e32 v[218:219], v[218:219], v[220:221]
	v_fma_f64 v[220:221], -v[172:173], v[218:219], 1.0
	v_fmac_f64_e32 v[218:219], v[218:219], v[220:221]
	v_div_scale_f64 v[220:221], vcc, 1.0, v[174:175], 1.0
	v_mul_f64 v[222:223], v[220:221], v[218:219]
	v_fma_f64 v[172:173], -v[172:173], v[222:223], v[220:221]
	s_nop 1
	v_div_fmas_f64 v[172:173], v[172:173], v[218:219], v[222:223]
	v_div_fixup_f64 v[218:219], v[172:173], v[174:175], 1.0
	v_mul_f64 v[216:217], v[216:217], v[218:219]
	v_xor_b32_e32 v219, 0x80000000, v219
                                        ; implicit-def: $vgpr172_vgpr173
.LBB85_293:
	s_andn2_saveexec_b64 s[2:3], s[2:3]
	s_cbranch_execz .LBB85_295
; %bb.294:
	v_div_scale_f64 v[216:217], s[10:11], v[172:173], v[172:173], v[174:175]
	v_rcp_f64_e32 v[218:219], v[216:217]
	v_div_scale_f64 v[220:221], vcc, v[174:175], v[172:173], v[174:175]
	v_fma_f64 v[222:223], -v[216:217], v[218:219], 1.0
	v_fmac_f64_e32 v[218:219], v[218:219], v[222:223]
	v_fma_f64 v[222:223], -v[216:217], v[218:219], 1.0
	v_fmac_f64_e32 v[218:219], v[218:219], v[222:223]
	v_mul_f64 v[222:223], v[220:221], v[218:219]
	v_fma_f64 v[216:217], -v[216:217], v[222:223], v[220:221]
	v_div_fmas_f64 v[216:217], v[216:217], v[218:219], v[222:223]
	v_div_fixup_f64 v[218:219], v[216:217], v[172:173], v[174:175]
	v_fmac_f64_e32 v[172:173], v[174:175], v[218:219]
	v_div_scale_f64 v[174:175], s[10:11], v[172:173], v[172:173], 1.0
	v_rcp_f64_e32 v[216:217], v[174:175]
	s_nop 0
	v_fma_f64 v[220:221], -v[174:175], v[216:217], 1.0
	v_fmac_f64_e32 v[216:217], v[216:217], v[220:221]
	v_fma_f64 v[220:221], -v[174:175], v[216:217], 1.0
	v_fmac_f64_e32 v[216:217], v[216:217], v[220:221]
	v_div_scale_f64 v[220:221], vcc, 1.0, v[172:173], 1.0
	v_mul_f64 v[222:223], v[220:221], v[216:217]
	v_fma_f64 v[174:175], -v[174:175], v[222:223], v[220:221]
	s_nop 1
	v_div_fmas_f64 v[174:175], v[174:175], v[216:217], v[222:223]
	v_div_fixup_f64 v[216:217], v[174:175], v[172:173], 1.0
	v_mul_f64 v[218:219], v[218:219], -v[216:217]
.LBB85_295:
	s_or_b64 exec, exec, s[2:3]
	ds_write2_b64 v165, v[216:217], v[218:219] offset1:1
.LBB85_296:
	s_or_b64 exec, exec, s[4:5]
	s_waitcnt lgkmcnt(0)
	s_barrier
	ds_read2_b64 v[160:163], v165 offset1:1
	v_cmp_lt_u32_e32 vcc, 32, v164
	s_and_saveexec_b64 s[2:3], vcc
	s_cbranch_execz .LBB85_298
; %bb.297:
	ds_read2_b64 v[220:223], v166 offset0:66 offset1:67
	s_waitcnt vmcnt(45) lgkmcnt(1)
	v_mul_f64 v[172:173], v[160:161], v[38:39]
	v_fmac_f64_e32 v[172:173], v[162:163], v[36:37]
	v_mul_f64 v[38:39], v[162:163], v[38:39]
	v_fma_f64 v[36:37], v[160:161], v[36:37], -v[38:39]
	s_waitcnt lgkmcnt(0)
	v_mul_f64 v[38:39], v[222:223], v[172:173]
	v_mul_f64 v[174:175], v[220:221], v[172:173]
	v_fma_f64 v[38:39], v[220:221], v[36:37], -v[38:39]
	v_fmac_f64_e32 v[174:175], v[222:223], v[36:37]
	ds_read2_b64 v[220:223], v166 offset0:68 offset1:69
	s_waitcnt vmcnt(44)
	v_add_f64 v[32:33], v[32:33], -v[38:39]
	v_add_f64 v[34:35], v[34:35], -v[174:175]
	s_waitcnt lgkmcnt(0)
	v_mul_f64 v[38:39], v[222:223], v[172:173]
	v_mul_f64 v[174:175], v[220:221], v[172:173]
	v_fma_f64 v[38:39], v[220:221], v[36:37], -v[38:39]
	v_fmac_f64_e32 v[174:175], v[222:223], v[36:37]
	ds_read2_b64 v[220:223], v166 offset0:70 offset1:71
	s_waitcnt vmcnt(43)
	v_add_f64 v[28:29], v[28:29], -v[38:39]
	v_add_f64 v[30:31], v[30:31], -v[174:175]
	;; [unrolled: 9-line block ×6, first 2 shown]
	s_waitcnt lgkmcnt(0)
	v_mul_f64 v[38:39], v[222:223], v[172:173]
	v_mul_f64 v[174:175], v[220:221], v[172:173]
	v_fma_f64 v[38:39], v[220:221], v[36:37], -v[38:39]
	v_fmac_f64_e32 v[174:175], v[222:223], v[36:37]
	ds_read2_b64 v[220:223], v166 offset0:80 offset1:81
	v_add_f64 v[8:9], v[8:9], -v[38:39]
	v_add_f64 v[10:11], v[10:11], -v[174:175]
	s_waitcnt lgkmcnt(0)
	v_mul_f64 v[38:39], v[222:223], v[172:173]
	v_mul_f64 v[174:175], v[220:221], v[172:173]
	v_fma_f64 v[38:39], v[220:221], v[36:37], -v[38:39]
	v_fmac_f64_e32 v[174:175], v[222:223], v[36:37]
	ds_read2_b64 v[220:223], v166 offset0:82 offset1:83
	v_add_f64 v[4:5], v[4:5], -v[38:39]
	v_add_f64 v[6:7], v[6:7], -v[174:175]
	;; [unrolled: 8-line block ×3, first 2 shown]
	s_waitcnt lgkmcnt(0)
	v_mul_f64 v[38:39], v[222:223], v[172:173]
	v_mul_f64 v[174:175], v[220:221], v[172:173]
	v_fma_f64 v[38:39], v[220:221], v[36:37], -v[38:39]
	v_fmac_f64_e32 v[174:175], v[222:223], v[36:37]
	s_waitcnt vmcnt(36)
	v_add_f64 v[168:169], v[168:169], -v[38:39]
	v_add_f64 v[170:171], v[170:171], -v[174:175]
	v_mov_b64_e32 v[38:39], v[172:173]
.LBB85_298:
	s_or_b64 exec, exec, s[2:3]
	v_cmp_eq_u32_e32 vcc, 33, v164
	s_waitcnt lgkmcnt(0)
	s_barrier
	s_and_saveexec_b64 s[4:5], vcc
	s_cbranch_execz .LBB85_305
; %bb.299:
	s_waitcnt vmcnt(44)
	ds_write2_b64 v165, v[32:33], v[34:35] offset1:1
	s_waitcnt vmcnt(43)
	ds_write2_b64 v166, v[28:29], v[30:31] offset0:68 offset1:69
	s_waitcnt vmcnt(42)
	ds_write2_b64 v166, v[24:25], v[26:27] offset0:70 offset1:71
	;; [unrolled: 2-line block ×5, first 2 shown]
	ds_write2_b64 v166, v[8:9], v[10:11] offset0:78 offset1:79
	ds_write2_b64 v166, v[4:5], v[6:7] offset0:80 offset1:81
	;; [unrolled: 1-line block ×3, first 2 shown]
	s_waitcnt vmcnt(36)
	ds_write2_b64 v166, v[168:169], v[170:171] offset0:84 offset1:85
	ds_read2_b64 v[172:175], v165 offset1:1
	s_waitcnt lgkmcnt(0)
	v_cmp_neq_f64_e32 vcc, 0, v[172:173]
	v_cmp_neq_f64_e64 s[2:3], 0, v[174:175]
	s_or_b64 s[2:3], vcc, s[2:3]
	s_and_b64 exec, exec, s[2:3]
	s_cbranch_execz .LBB85_305
; %bb.300:
	v_cmp_ngt_f64_e64 s[2:3], |v[172:173]|, |v[174:175]|
                                        ; implicit-def: $vgpr220_vgpr221
	s_and_saveexec_b64 s[10:11], s[2:3]
	s_xor_b64 s[2:3], exec, s[10:11]
                                        ; implicit-def: $vgpr222_vgpr223
	s_cbranch_execz .LBB85_302
; %bb.301:
	v_div_scale_f64 v[220:221], s[10:11], v[174:175], v[174:175], v[172:173]
	v_rcp_f64_e32 v[222:223], v[220:221]
	v_div_scale_f64 v[224:225], vcc, v[172:173], v[174:175], v[172:173]
	v_fma_f64 v[226:227], -v[220:221], v[222:223], 1.0
	v_fmac_f64_e32 v[222:223], v[222:223], v[226:227]
	v_fma_f64 v[226:227], -v[220:221], v[222:223], 1.0
	v_fmac_f64_e32 v[222:223], v[222:223], v[226:227]
	v_mul_f64 v[226:227], v[224:225], v[222:223]
	v_fma_f64 v[220:221], -v[220:221], v[226:227], v[224:225]
	v_div_fmas_f64 v[220:221], v[220:221], v[222:223], v[226:227]
	v_div_fixup_f64 v[220:221], v[220:221], v[174:175], v[172:173]
	v_fmac_f64_e32 v[174:175], v[172:173], v[220:221]
	v_div_scale_f64 v[172:173], s[10:11], v[174:175], v[174:175], 1.0
	v_rcp_f64_e32 v[222:223], v[172:173]
	s_nop 0
	v_fma_f64 v[224:225], -v[172:173], v[222:223], 1.0
	v_fmac_f64_e32 v[222:223], v[222:223], v[224:225]
	v_fma_f64 v[224:225], -v[172:173], v[222:223], 1.0
	v_fmac_f64_e32 v[222:223], v[222:223], v[224:225]
	v_div_scale_f64 v[224:225], vcc, 1.0, v[174:175], 1.0
	v_mul_f64 v[226:227], v[224:225], v[222:223]
	v_fma_f64 v[172:173], -v[172:173], v[226:227], v[224:225]
	s_nop 1
	v_div_fmas_f64 v[172:173], v[172:173], v[222:223], v[226:227]
	v_div_fixup_f64 v[222:223], v[172:173], v[174:175], 1.0
	v_mul_f64 v[220:221], v[220:221], v[222:223]
	v_xor_b32_e32 v223, 0x80000000, v223
                                        ; implicit-def: $vgpr172_vgpr173
.LBB85_302:
	s_andn2_saveexec_b64 s[2:3], s[2:3]
	s_cbranch_execz .LBB85_304
; %bb.303:
	v_div_scale_f64 v[220:221], s[10:11], v[172:173], v[172:173], v[174:175]
	v_rcp_f64_e32 v[222:223], v[220:221]
	v_div_scale_f64 v[224:225], vcc, v[174:175], v[172:173], v[174:175]
	v_fma_f64 v[226:227], -v[220:221], v[222:223], 1.0
	v_fmac_f64_e32 v[222:223], v[222:223], v[226:227]
	v_fma_f64 v[226:227], -v[220:221], v[222:223], 1.0
	v_fmac_f64_e32 v[222:223], v[222:223], v[226:227]
	v_mul_f64 v[226:227], v[224:225], v[222:223]
	v_fma_f64 v[220:221], -v[220:221], v[226:227], v[224:225]
	v_div_fmas_f64 v[220:221], v[220:221], v[222:223], v[226:227]
	v_div_fixup_f64 v[222:223], v[220:221], v[172:173], v[174:175]
	v_fmac_f64_e32 v[172:173], v[174:175], v[222:223]
	v_div_scale_f64 v[174:175], s[10:11], v[172:173], v[172:173], 1.0
	v_rcp_f64_e32 v[220:221], v[174:175]
	s_nop 0
	v_fma_f64 v[224:225], -v[174:175], v[220:221], 1.0
	v_fmac_f64_e32 v[220:221], v[220:221], v[224:225]
	v_fma_f64 v[224:225], -v[174:175], v[220:221], 1.0
	v_fmac_f64_e32 v[220:221], v[220:221], v[224:225]
	v_div_scale_f64 v[224:225], vcc, 1.0, v[172:173], 1.0
	v_mul_f64 v[226:227], v[224:225], v[220:221]
	v_fma_f64 v[174:175], -v[174:175], v[226:227], v[224:225]
	s_nop 1
	v_div_fmas_f64 v[174:175], v[174:175], v[220:221], v[226:227]
	v_div_fixup_f64 v[220:221], v[174:175], v[172:173], 1.0
	v_mul_f64 v[222:223], v[222:223], -v[220:221]
.LBB85_304:
	s_or_b64 exec, exec, s[2:3]
	ds_write2_b64 v165, v[220:221], v[222:223] offset1:1
.LBB85_305:
	s_or_b64 exec, exec, s[4:5]
	s_waitcnt lgkmcnt(0)
	s_barrier
	ds_read2_b64 v[156:159], v165 offset1:1
	v_cmp_lt_u32_e32 vcc, 33, v164
	s_and_saveexec_b64 s[2:3], vcc
	s_cbranch_execz .LBB85_307
; %bb.306:
	ds_read2_b64 v[224:227], v166 offset0:68 offset1:69
	s_waitcnt vmcnt(44) lgkmcnt(1)
	v_mul_f64 v[172:173], v[156:157], v[34:35]
	v_fmac_f64_e32 v[172:173], v[158:159], v[32:33]
	v_mul_f64 v[34:35], v[158:159], v[34:35]
	v_fma_f64 v[32:33], v[156:157], v[32:33], -v[34:35]
	s_waitcnt lgkmcnt(0)
	v_mul_f64 v[34:35], v[226:227], v[172:173]
	v_mul_f64 v[174:175], v[224:225], v[172:173]
	v_fma_f64 v[34:35], v[224:225], v[32:33], -v[34:35]
	v_fmac_f64_e32 v[174:175], v[226:227], v[32:33]
	ds_read2_b64 v[224:227], v166 offset0:70 offset1:71
	s_waitcnt vmcnt(43)
	v_add_f64 v[28:29], v[28:29], -v[34:35]
	v_add_f64 v[30:31], v[30:31], -v[174:175]
	s_waitcnt lgkmcnt(0)
	v_mul_f64 v[34:35], v[226:227], v[172:173]
	v_mul_f64 v[174:175], v[224:225], v[172:173]
	v_fma_f64 v[34:35], v[224:225], v[32:33], -v[34:35]
	v_fmac_f64_e32 v[174:175], v[226:227], v[32:33]
	ds_read2_b64 v[224:227], v166 offset0:72 offset1:73
	s_waitcnt vmcnt(42)
	v_add_f64 v[24:25], v[24:25], -v[34:35]
	v_add_f64 v[26:27], v[26:27], -v[174:175]
	;; [unrolled: 9-line block ×5, first 2 shown]
	s_waitcnt lgkmcnt(0)
	v_mul_f64 v[34:35], v[226:227], v[172:173]
	v_mul_f64 v[174:175], v[224:225], v[172:173]
	v_fma_f64 v[34:35], v[224:225], v[32:33], -v[34:35]
	v_fmac_f64_e32 v[174:175], v[226:227], v[32:33]
	ds_read2_b64 v[224:227], v166 offset0:80 offset1:81
	v_add_f64 v[8:9], v[8:9], -v[34:35]
	v_add_f64 v[10:11], v[10:11], -v[174:175]
	s_waitcnt lgkmcnt(0)
	v_mul_f64 v[34:35], v[226:227], v[172:173]
	v_mul_f64 v[174:175], v[224:225], v[172:173]
	v_fma_f64 v[34:35], v[224:225], v[32:33], -v[34:35]
	v_fmac_f64_e32 v[174:175], v[226:227], v[32:33]
	ds_read2_b64 v[224:227], v166 offset0:82 offset1:83
	v_add_f64 v[4:5], v[4:5], -v[34:35]
	v_add_f64 v[6:7], v[6:7], -v[174:175]
	;; [unrolled: 8-line block ×3, first 2 shown]
	s_waitcnt lgkmcnt(0)
	v_mul_f64 v[34:35], v[226:227], v[172:173]
	v_mul_f64 v[174:175], v[224:225], v[172:173]
	v_fma_f64 v[34:35], v[224:225], v[32:33], -v[34:35]
	v_fmac_f64_e32 v[174:175], v[226:227], v[32:33]
	s_waitcnt vmcnt(36)
	v_add_f64 v[168:169], v[168:169], -v[34:35]
	v_add_f64 v[170:171], v[170:171], -v[174:175]
	v_mov_b64_e32 v[34:35], v[172:173]
.LBB85_307:
	s_or_b64 exec, exec, s[2:3]
	v_cmp_eq_u32_e32 vcc, 34, v164
	s_waitcnt lgkmcnt(0)
	s_barrier
	s_and_saveexec_b64 s[4:5], vcc
	s_cbranch_execz .LBB85_314
; %bb.308:
	s_waitcnt vmcnt(43)
	ds_write2_b64 v165, v[28:29], v[30:31] offset1:1
	s_waitcnt vmcnt(42)
	ds_write2_b64 v166, v[24:25], v[26:27] offset0:70 offset1:71
	s_waitcnt vmcnt(41)
	ds_write2_b64 v166, v[20:21], v[22:23] offset0:72 offset1:73
	;; [unrolled: 2-line block ×4, first 2 shown]
	ds_write2_b64 v166, v[8:9], v[10:11] offset0:78 offset1:79
	ds_write2_b64 v166, v[4:5], v[6:7] offset0:80 offset1:81
	;; [unrolled: 1-line block ×3, first 2 shown]
	s_waitcnt vmcnt(36)
	ds_write2_b64 v166, v[168:169], v[170:171] offset0:84 offset1:85
	ds_read2_b64 v[172:175], v165 offset1:1
	s_waitcnt lgkmcnt(0)
	v_cmp_neq_f64_e32 vcc, 0, v[172:173]
	v_cmp_neq_f64_e64 s[2:3], 0, v[174:175]
	s_or_b64 s[2:3], vcc, s[2:3]
	s_and_b64 exec, exec, s[2:3]
	s_cbranch_execz .LBB85_314
; %bb.309:
	v_cmp_ngt_f64_e64 s[2:3], |v[172:173]|, |v[174:175]|
                                        ; implicit-def: $vgpr224_vgpr225
	s_and_saveexec_b64 s[10:11], s[2:3]
	s_xor_b64 s[2:3], exec, s[10:11]
                                        ; implicit-def: $vgpr226_vgpr227
	s_cbranch_execz .LBB85_311
; %bb.310:
	v_div_scale_f64 v[224:225], s[10:11], v[174:175], v[174:175], v[172:173]
	v_rcp_f64_e32 v[226:227], v[224:225]
	v_div_scale_f64 v[228:229], vcc, v[172:173], v[174:175], v[172:173]
	v_fma_f64 v[230:231], -v[224:225], v[226:227], 1.0
	v_fmac_f64_e32 v[226:227], v[226:227], v[230:231]
	v_fma_f64 v[230:231], -v[224:225], v[226:227], 1.0
	v_fmac_f64_e32 v[226:227], v[226:227], v[230:231]
	v_mul_f64 v[230:231], v[228:229], v[226:227]
	v_fma_f64 v[224:225], -v[224:225], v[230:231], v[228:229]
	v_div_fmas_f64 v[224:225], v[224:225], v[226:227], v[230:231]
	v_div_fixup_f64 v[224:225], v[224:225], v[174:175], v[172:173]
	v_fmac_f64_e32 v[174:175], v[172:173], v[224:225]
	v_div_scale_f64 v[172:173], s[10:11], v[174:175], v[174:175], 1.0
	v_rcp_f64_e32 v[226:227], v[172:173]
	s_nop 0
	v_fma_f64 v[228:229], -v[172:173], v[226:227], 1.0
	v_fmac_f64_e32 v[226:227], v[226:227], v[228:229]
	v_fma_f64 v[228:229], -v[172:173], v[226:227], 1.0
	v_fmac_f64_e32 v[226:227], v[226:227], v[228:229]
	v_div_scale_f64 v[228:229], vcc, 1.0, v[174:175], 1.0
	v_mul_f64 v[230:231], v[228:229], v[226:227]
	v_fma_f64 v[172:173], -v[172:173], v[230:231], v[228:229]
	s_nop 1
	v_div_fmas_f64 v[172:173], v[172:173], v[226:227], v[230:231]
	v_div_fixup_f64 v[226:227], v[172:173], v[174:175], 1.0
	v_mul_f64 v[224:225], v[224:225], v[226:227]
	v_xor_b32_e32 v227, 0x80000000, v227
                                        ; implicit-def: $vgpr172_vgpr173
.LBB85_311:
	s_andn2_saveexec_b64 s[2:3], s[2:3]
	s_cbranch_execz .LBB85_313
; %bb.312:
	v_div_scale_f64 v[224:225], s[10:11], v[172:173], v[172:173], v[174:175]
	v_rcp_f64_e32 v[226:227], v[224:225]
	v_div_scale_f64 v[228:229], vcc, v[174:175], v[172:173], v[174:175]
	v_fma_f64 v[230:231], -v[224:225], v[226:227], 1.0
	v_fmac_f64_e32 v[226:227], v[226:227], v[230:231]
	v_fma_f64 v[230:231], -v[224:225], v[226:227], 1.0
	v_fmac_f64_e32 v[226:227], v[226:227], v[230:231]
	v_mul_f64 v[230:231], v[228:229], v[226:227]
	v_fma_f64 v[224:225], -v[224:225], v[230:231], v[228:229]
	v_div_fmas_f64 v[224:225], v[224:225], v[226:227], v[230:231]
	v_div_fixup_f64 v[226:227], v[224:225], v[172:173], v[174:175]
	v_fmac_f64_e32 v[172:173], v[174:175], v[226:227]
	v_div_scale_f64 v[174:175], s[10:11], v[172:173], v[172:173], 1.0
	v_rcp_f64_e32 v[224:225], v[174:175]
	s_nop 0
	v_fma_f64 v[228:229], -v[174:175], v[224:225], 1.0
	v_fmac_f64_e32 v[224:225], v[224:225], v[228:229]
	v_fma_f64 v[228:229], -v[174:175], v[224:225], 1.0
	v_fmac_f64_e32 v[224:225], v[224:225], v[228:229]
	v_div_scale_f64 v[228:229], vcc, 1.0, v[172:173], 1.0
	v_mul_f64 v[230:231], v[228:229], v[224:225]
	v_fma_f64 v[174:175], -v[174:175], v[230:231], v[228:229]
	s_nop 1
	v_div_fmas_f64 v[174:175], v[174:175], v[224:225], v[230:231]
	v_div_fixup_f64 v[224:225], v[174:175], v[172:173], 1.0
	v_mul_f64 v[226:227], v[226:227], -v[224:225]
.LBB85_313:
	s_or_b64 exec, exec, s[2:3]
	ds_write2_b64 v165, v[224:225], v[226:227] offset1:1
.LBB85_314:
	s_or_b64 exec, exec, s[4:5]
	s_waitcnt lgkmcnt(0)
	s_barrier
	ds_read2_b64 v[224:227], v165 offset1:1
	v_cmp_lt_u32_e32 vcc, 34, v164
	s_and_saveexec_b64 s[2:3], vcc
	s_cbranch_execz .LBB85_316
; %bb.315:
	ds_read2_b64 v[228:231], v166 offset0:70 offset1:71
	s_waitcnt vmcnt(43) lgkmcnt(1)
	v_mul_f64 v[172:173], v[224:225], v[30:31]
	v_fmac_f64_e32 v[172:173], v[226:227], v[28:29]
	v_mul_f64 v[30:31], v[226:227], v[30:31]
	v_fma_f64 v[28:29], v[224:225], v[28:29], -v[30:31]
	s_waitcnt lgkmcnt(0)
	v_mul_f64 v[30:31], v[230:231], v[172:173]
	v_mul_f64 v[174:175], v[228:229], v[172:173]
	v_fma_f64 v[30:31], v[228:229], v[28:29], -v[30:31]
	v_fmac_f64_e32 v[174:175], v[230:231], v[28:29]
	ds_read2_b64 v[228:231], v166 offset0:72 offset1:73
	s_waitcnt vmcnt(42)
	v_add_f64 v[24:25], v[24:25], -v[30:31]
	v_add_f64 v[26:27], v[26:27], -v[174:175]
	s_waitcnt lgkmcnt(0)
	v_mul_f64 v[30:31], v[230:231], v[172:173]
	v_mul_f64 v[174:175], v[228:229], v[172:173]
	v_fma_f64 v[30:31], v[228:229], v[28:29], -v[30:31]
	v_fmac_f64_e32 v[174:175], v[230:231], v[28:29]
	ds_read2_b64 v[228:231], v166 offset0:74 offset1:75
	s_waitcnt vmcnt(41)
	v_add_f64 v[20:21], v[20:21], -v[30:31]
	v_add_f64 v[22:23], v[22:23], -v[174:175]
	;; [unrolled: 9-line block ×4, first 2 shown]
	s_waitcnt lgkmcnt(0)
	v_mul_f64 v[30:31], v[230:231], v[172:173]
	v_mul_f64 v[174:175], v[228:229], v[172:173]
	v_fma_f64 v[30:31], v[228:229], v[28:29], -v[30:31]
	v_fmac_f64_e32 v[174:175], v[230:231], v[28:29]
	ds_read2_b64 v[228:231], v166 offset0:80 offset1:81
	v_add_f64 v[8:9], v[8:9], -v[30:31]
	v_add_f64 v[10:11], v[10:11], -v[174:175]
	s_waitcnt lgkmcnt(0)
	v_mul_f64 v[30:31], v[230:231], v[172:173]
	v_mul_f64 v[174:175], v[228:229], v[172:173]
	v_fma_f64 v[30:31], v[228:229], v[28:29], -v[30:31]
	v_fmac_f64_e32 v[174:175], v[230:231], v[28:29]
	ds_read2_b64 v[228:231], v166 offset0:82 offset1:83
	v_add_f64 v[4:5], v[4:5], -v[30:31]
	v_add_f64 v[6:7], v[6:7], -v[174:175]
	;; [unrolled: 8-line block ×3, first 2 shown]
	s_waitcnt lgkmcnt(0)
	v_mul_f64 v[30:31], v[230:231], v[172:173]
	v_mul_f64 v[174:175], v[228:229], v[172:173]
	v_fma_f64 v[30:31], v[228:229], v[28:29], -v[30:31]
	v_fmac_f64_e32 v[174:175], v[230:231], v[28:29]
	s_waitcnt vmcnt(36)
	v_add_f64 v[168:169], v[168:169], -v[30:31]
	v_add_f64 v[170:171], v[170:171], -v[174:175]
	v_mov_b64_e32 v[30:31], v[172:173]
.LBB85_316:
	s_or_b64 exec, exec, s[2:3]
	v_cmp_eq_u32_e32 vcc, 35, v164
	s_waitcnt lgkmcnt(0)
	s_barrier
	s_and_saveexec_b64 s[4:5], vcc
	s_cbranch_execz .LBB85_323
; %bb.317:
	s_waitcnt vmcnt(42)
	ds_write2_b64 v165, v[24:25], v[26:27] offset1:1
	s_waitcnt vmcnt(41)
	ds_write2_b64 v166, v[20:21], v[22:23] offset0:72 offset1:73
	s_waitcnt vmcnt(40)
	ds_write2_b64 v166, v[16:17], v[18:19] offset0:74 offset1:75
	;; [unrolled: 2-line block ×3, first 2 shown]
	ds_write2_b64 v166, v[8:9], v[10:11] offset0:78 offset1:79
	ds_write2_b64 v166, v[4:5], v[6:7] offset0:80 offset1:81
	;; [unrolled: 1-line block ×3, first 2 shown]
	s_waitcnt vmcnt(36)
	ds_write2_b64 v166, v[168:169], v[170:171] offset0:84 offset1:85
	ds_read2_b64 v[172:175], v165 offset1:1
	s_waitcnt lgkmcnt(0)
	v_cmp_neq_f64_e32 vcc, 0, v[172:173]
	v_cmp_neq_f64_e64 s[2:3], 0, v[174:175]
	s_or_b64 s[2:3], vcc, s[2:3]
	s_and_b64 exec, exec, s[2:3]
	s_cbranch_execz .LBB85_323
; %bb.318:
	v_cmp_ngt_f64_e64 s[2:3], |v[172:173]|, |v[174:175]|
                                        ; implicit-def: $vgpr228_vgpr229
	s_and_saveexec_b64 s[10:11], s[2:3]
	s_xor_b64 s[2:3], exec, s[10:11]
                                        ; implicit-def: $vgpr230_vgpr231
	s_cbranch_execz .LBB85_320
; %bb.319:
	v_div_scale_f64 v[228:229], s[10:11], v[174:175], v[174:175], v[172:173]
	v_rcp_f64_e32 v[230:231], v[228:229]
	v_div_scale_f64 v[232:233], vcc, v[172:173], v[174:175], v[172:173]
	v_fma_f64 v[234:235], -v[228:229], v[230:231], 1.0
	v_fmac_f64_e32 v[230:231], v[230:231], v[234:235]
	v_fma_f64 v[234:235], -v[228:229], v[230:231], 1.0
	v_fmac_f64_e32 v[230:231], v[230:231], v[234:235]
	v_mul_f64 v[234:235], v[232:233], v[230:231]
	v_fma_f64 v[228:229], -v[228:229], v[234:235], v[232:233]
	v_div_fmas_f64 v[228:229], v[228:229], v[230:231], v[234:235]
	v_div_fixup_f64 v[228:229], v[228:229], v[174:175], v[172:173]
	v_fmac_f64_e32 v[174:175], v[172:173], v[228:229]
	v_div_scale_f64 v[172:173], s[10:11], v[174:175], v[174:175], 1.0
	v_rcp_f64_e32 v[230:231], v[172:173]
	s_nop 0
	v_fma_f64 v[232:233], -v[172:173], v[230:231], 1.0
	v_fmac_f64_e32 v[230:231], v[230:231], v[232:233]
	v_fma_f64 v[232:233], -v[172:173], v[230:231], 1.0
	v_fmac_f64_e32 v[230:231], v[230:231], v[232:233]
	v_div_scale_f64 v[232:233], vcc, 1.0, v[174:175], 1.0
	v_mul_f64 v[234:235], v[232:233], v[230:231]
	v_fma_f64 v[172:173], -v[172:173], v[234:235], v[232:233]
	s_nop 1
	v_div_fmas_f64 v[172:173], v[172:173], v[230:231], v[234:235]
	v_div_fixup_f64 v[230:231], v[172:173], v[174:175], 1.0
	v_mul_f64 v[228:229], v[228:229], v[230:231]
	v_xor_b32_e32 v231, 0x80000000, v231
                                        ; implicit-def: $vgpr172_vgpr173
.LBB85_320:
	s_andn2_saveexec_b64 s[2:3], s[2:3]
	s_cbranch_execz .LBB85_322
; %bb.321:
	v_div_scale_f64 v[228:229], s[10:11], v[172:173], v[172:173], v[174:175]
	v_rcp_f64_e32 v[230:231], v[228:229]
	v_div_scale_f64 v[232:233], vcc, v[174:175], v[172:173], v[174:175]
	v_fma_f64 v[234:235], -v[228:229], v[230:231], 1.0
	v_fmac_f64_e32 v[230:231], v[230:231], v[234:235]
	v_fma_f64 v[234:235], -v[228:229], v[230:231], 1.0
	v_fmac_f64_e32 v[230:231], v[230:231], v[234:235]
	v_mul_f64 v[234:235], v[232:233], v[230:231]
	v_fma_f64 v[228:229], -v[228:229], v[234:235], v[232:233]
	v_div_fmas_f64 v[228:229], v[228:229], v[230:231], v[234:235]
	v_div_fixup_f64 v[230:231], v[228:229], v[172:173], v[174:175]
	v_fmac_f64_e32 v[172:173], v[174:175], v[230:231]
	v_div_scale_f64 v[174:175], s[10:11], v[172:173], v[172:173], 1.0
	v_rcp_f64_e32 v[228:229], v[174:175]
	s_nop 0
	v_fma_f64 v[232:233], -v[174:175], v[228:229], 1.0
	v_fmac_f64_e32 v[228:229], v[228:229], v[232:233]
	v_fma_f64 v[232:233], -v[174:175], v[228:229], 1.0
	v_fmac_f64_e32 v[228:229], v[228:229], v[232:233]
	v_div_scale_f64 v[232:233], vcc, 1.0, v[172:173], 1.0
	v_mul_f64 v[234:235], v[232:233], v[228:229]
	v_fma_f64 v[174:175], -v[174:175], v[234:235], v[232:233]
	s_nop 1
	v_div_fmas_f64 v[174:175], v[174:175], v[228:229], v[234:235]
	v_div_fixup_f64 v[228:229], v[174:175], v[172:173], 1.0
	v_mul_f64 v[230:231], v[230:231], -v[228:229]
.LBB85_322:
	s_or_b64 exec, exec, s[2:3]
	ds_write2_b64 v165, v[228:229], v[230:231] offset1:1
.LBB85_323:
	s_or_b64 exec, exec, s[4:5]
	s_waitcnt lgkmcnt(0)
	s_barrier
	ds_read2_b64 v[228:231], v165 offset1:1
	v_cmp_lt_u32_e32 vcc, 35, v164
	s_and_saveexec_b64 s[2:3], vcc
	s_cbranch_execz .LBB85_325
; %bb.324:
	ds_read2_b64 v[232:235], v166 offset0:72 offset1:73
	s_waitcnt vmcnt(42) lgkmcnt(1)
	v_mul_f64 v[172:173], v[228:229], v[26:27]
	v_fmac_f64_e32 v[172:173], v[230:231], v[24:25]
	v_mul_f64 v[26:27], v[230:231], v[26:27]
	v_fma_f64 v[24:25], v[228:229], v[24:25], -v[26:27]
	s_waitcnt lgkmcnt(0)
	v_mul_f64 v[26:27], v[234:235], v[172:173]
	v_mul_f64 v[174:175], v[232:233], v[172:173]
	v_fma_f64 v[26:27], v[232:233], v[24:25], -v[26:27]
	v_fmac_f64_e32 v[174:175], v[234:235], v[24:25]
	ds_read2_b64 v[232:235], v166 offset0:74 offset1:75
	s_waitcnt vmcnt(41)
	v_add_f64 v[20:21], v[20:21], -v[26:27]
	v_add_f64 v[22:23], v[22:23], -v[174:175]
	s_waitcnt lgkmcnt(0)
	v_mul_f64 v[26:27], v[234:235], v[172:173]
	v_mul_f64 v[174:175], v[232:233], v[172:173]
	v_fma_f64 v[26:27], v[232:233], v[24:25], -v[26:27]
	v_fmac_f64_e32 v[174:175], v[234:235], v[24:25]
	ds_read2_b64 v[232:235], v166 offset0:76 offset1:77
	s_waitcnt vmcnt(40)
	v_add_f64 v[16:17], v[16:17], -v[26:27]
	v_add_f64 v[18:19], v[18:19], -v[174:175]
	;; [unrolled: 9-line block ×3, first 2 shown]
	s_waitcnt lgkmcnt(0)
	v_mul_f64 v[26:27], v[234:235], v[172:173]
	v_mul_f64 v[174:175], v[232:233], v[172:173]
	v_fma_f64 v[26:27], v[232:233], v[24:25], -v[26:27]
	v_fmac_f64_e32 v[174:175], v[234:235], v[24:25]
	ds_read2_b64 v[232:235], v166 offset0:80 offset1:81
	v_add_f64 v[8:9], v[8:9], -v[26:27]
	v_add_f64 v[10:11], v[10:11], -v[174:175]
	s_waitcnt lgkmcnt(0)
	v_mul_f64 v[26:27], v[234:235], v[172:173]
	v_mul_f64 v[174:175], v[232:233], v[172:173]
	v_fma_f64 v[26:27], v[232:233], v[24:25], -v[26:27]
	v_fmac_f64_e32 v[174:175], v[234:235], v[24:25]
	ds_read2_b64 v[232:235], v166 offset0:82 offset1:83
	v_add_f64 v[4:5], v[4:5], -v[26:27]
	v_add_f64 v[6:7], v[6:7], -v[174:175]
	;; [unrolled: 8-line block ×3, first 2 shown]
	s_waitcnt lgkmcnt(0)
	v_mul_f64 v[26:27], v[234:235], v[172:173]
	v_mul_f64 v[174:175], v[232:233], v[172:173]
	v_fma_f64 v[26:27], v[232:233], v[24:25], -v[26:27]
	v_fmac_f64_e32 v[174:175], v[234:235], v[24:25]
	s_waitcnt vmcnt(36)
	v_add_f64 v[168:169], v[168:169], -v[26:27]
	v_add_f64 v[170:171], v[170:171], -v[174:175]
	v_mov_b64_e32 v[26:27], v[172:173]
.LBB85_325:
	s_or_b64 exec, exec, s[2:3]
	v_cmp_eq_u32_e32 vcc, 36, v164
	s_waitcnt lgkmcnt(0)
	s_barrier
	s_and_saveexec_b64 s[4:5], vcc
	s_cbranch_execz .LBB85_332
; %bb.326:
	s_waitcnt vmcnt(41)
	ds_write2_b64 v165, v[20:21], v[22:23] offset1:1
	s_waitcnt vmcnt(40)
	ds_write2_b64 v166, v[16:17], v[18:19] offset0:74 offset1:75
	s_waitcnt vmcnt(39)
	ds_write2_b64 v166, v[12:13], v[14:15] offset0:76 offset1:77
	ds_write2_b64 v166, v[8:9], v[10:11] offset0:78 offset1:79
	;; [unrolled: 1-line block ×4, first 2 shown]
	s_waitcnt vmcnt(36)
	ds_write2_b64 v166, v[168:169], v[170:171] offset0:84 offset1:85
	ds_read2_b64 v[172:175], v165 offset1:1
	s_waitcnt lgkmcnt(0)
	v_cmp_neq_f64_e32 vcc, 0, v[172:173]
	v_cmp_neq_f64_e64 s[2:3], 0, v[174:175]
	s_or_b64 s[2:3], vcc, s[2:3]
	s_and_b64 exec, exec, s[2:3]
	s_cbranch_execz .LBB85_332
; %bb.327:
	v_cmp_ngt_f64_e64 s[2:3], |v[172:173]|, |v[174:175]|
                                        ; implicit-def: $vgpr232_vgpr233
	s_and_saveexec_b64 s[10:11], s[2:3]
	s_xor_b64 s[2:3], exec, s[10:11]
                                        ; implicit-def: $vgpr234_vgpr235
	s_cbranch_execz .LBB85_329
; %bb.328:
	v_div_scale_f64 v[232:233], s[10:11], v[174:175], v[174:175], v[172:173]
	v_rcp_f64_e32 v[234:235], v[232:233]
	v_div_scale_f64 v[236:237], vcc, v[172:173], v[174:175], v[172:173]
	v_fma_f64 v[238:239], -v[232:233], v[234:235], 1.0
	v_fmac_f64_e32 v[234:235], v[234:235], v[238:239]
	v_fma_f64 v[238:239], -v[232:233], v[234:235], 1.0
	v_fmac_f64_e32 v[234:235], v[234:235], v[238:239]
	v_mul_f64 v[238:239], v[236:237], v[234:235]
	v_fma_f64 v[232:233], -v[232:233], v[238:239], v[236:237]
	v_div_fmas_f64 v[232:233], v[232:233], v[234:235], v[238:239]
	v_div_fixup_f64 v[232:233], v[232:233], v[174:175], v[172:173]
	v_fmac_f64_e32 v[174:175], v[172:173], v[232:233]
	v_div_scale_f64 v[172:173], s[10:11], v[174:175], v[174:175], 1.0
	v_rcp_f64_e32 v[234:235], v[172:173]
	s_nop 0
	v_fma_f64 v[236:237], -v[172:173], v[234:235], 1.0
	v_fmac_f64_e32 v[234:235], v[234:235], v[236:237]
	v_fma_f64 v[236:237], -v[172:173], v[234:235], 1.0
	v_fmac_f64_e32 v[234:235], v[234:235], v[236:237]
	v_div_scale_f64 v[236:237], vcc, 1.0, v[174:175], 1.0
	v_mul_f64 v[238:239], v[236:237], v[234:235]
	v_fma_f64 v[172:173], -v[172:173], v[238:239], v[236:237]
	s_nop 1
	v_div_fmas_f64 v[172:173], v[172:173], v[234:235], v[238:239]
	v_div_fixup_f64 v[234:235], v[172:173], v[174:175], 1.0
	v_mul_f64 v[232:233], v[232:233], v[234:235]
	v_xor_b32_e32 v235, 0x80000000, v235
                                        ; implicit-def: $vgpr172_vgpr173
.LBB85_329:
	s_andn2_saveexec_b64 s[2:3], s[2:3]
	s_cbranch_execz .LBB85_331
; %bb.330:
	v_div_scale_f64 v[232:233], s[10:11], v[172:173], v[172:173], v[174:175]
	v_rcp_f64_e32 v[234:235], v[232:233]
	v_div_scale_f64 v[236:237], vcc, v[174:175], v[172:173], v[174:175]
	v_fma_f64 v[238:239], -v[232:233], v[234:235], 1.0
	v_fmac_f64_e32 v[234:235], v[234:235], v[238:239]
	v_fma_f64 v[238:239], -v[232:233], v[234:235], 1.0
	v_fmac_f64_e32 v[234:235], v[234:235], v[238:239]
	v_mul_f64 v[238:239], v[236:237], v[234:235]
	v_fma_f64 v[232:233], -v[232:233], v[238:239], v[236:237]
	v_div_fmas_f64 v[232:233], v[232:233], v[234:235], v[238:239]
	v_div_fixup_f64 v[234:235], v[232:233], v[172:173], v[174:175]
	v_fmac_f64_e32 v[172:173], v[174:175], v[234:235]
	v_div_scale_f64 v[174:175], s[10:11], v[172:173], v[172:173], 1.0
	v_rcp_f64_e32 v[232:233], v[174:175]
	s_nop 0
	v_fma_f64 v[236:237], -v[174:175], v[232:233], 1.0
	v_fmac_f64_e32 v[232:233], v[232:233], v[236:237]
	v_fma_f64 v[236:237], -v[174:175], v[232:233], 1.0
	v_fmac_f64_e32 v[232:233], v[232:233], v[236:237]
	v_div_scale_f64 v[236:237], vcc, 1.0, v[172:173], 1.0
	v_mul_f64 v[238:239], v[236:237], v[232:233]
	v_fma_f64 v[174:175], -v[174:175], v[238:239], v[236:237]
	s_nop 1
	v_div_fmas_f64 v[174:175], v[174:175], v[232:233], v[238:239]
	v_div_fixup_f64 v[232:233], v[174:175], v[172:173], 1.0
	v_mul_f64 v[234:235], v[234:235], -v[232:233]
.LBB85_331:
	s_or_b64 exec, exec, s[2:3]
	ds_write2_b64 v165, v[232:233], v[234:235] offset1:1
.LBB85_332:
	s_or_b64 exec, exec, s[4:5]
	s_waitcnt lgkmcnt(0)
	s_barrier
	ds_read2_b64 v[232:235], v165 offset1:1
	v_cmp_lt_u32_e32 vcc, 36, v164
	s_and_saveexec_b64 s[2:3], vcc
	s_cbranch_execz .LBB85_334
; %bb.333:
	ds_read2_b64 v[172:175], v166 offset0:74 offset1:75
	s_waitcnt vmcnt(41) lgkmcnt(1)
	v_mul_f64 v[236:237], v[232:233], v[22:23]
	v_fmac_f64_e32 v[236:237], v[234:235], v[20:21]
	v_mul_f64 v[22:23], v[234:235], v[22:23]
	v_fma_f64 v[20:21], v[232:233], v[20:21], -v[22:23]
	s_waitcnt lgkmcnt(0)
	v_mul_f64 v[22:23], v[174:175], v[236:237]
	v_fma_f64 v[22:23], v[172:173], v[20:21], -v[22:23]
	v_mul_f64 v[172:173], v[172:173], v[236:237]
	v_fmac_f64_e32 v[172:173], v[174:175], v[20:21]
	s_waitcnt vmcnt(40)
	v_add_f64 v[18:19], v[18:19], -v[172:173]
	ds_read2_b64 v[172:175], v166 offset0:76 offset1:77
	v_add_f64 v[16:17], v[16:17], -v[22:23]
	s_waitcnt lgkmcnt(0)
	v_mul_f64 v[22:23], v[174:175], v[236:237]
	v_fma_f64 v[22:23], v[172:173], v[20:21], -v[22:23]
	v_mul_f64 v[172:173], v[172:173], v[236:237]
	v_fmac_f64_e32 v[172:173], v[174:175], v[20:21]
	s_waitcnt vmcnt(39)
	v_add_f64 v[14:15], v[14:15], -v[172:173]
	ds_read2_b64 v[172:175], v166 offset0:78 offset1:79
	v_add_f64 v[12:13], v[12:13], -v[22:23]
	s_waitcnt lgkmcnt(0)
	v_mul_f64 v[22:23], v[174:175], v[236:237]
	v_fma_f64 v[22:23], v[172:173], v[20:21], -v[22:23]
	v_mul_f64 v[172:173], v[172:173], v[236:237]
	v_fmac_f64_e32 v[172:173], v[174:175], v[20:21]
	v_add_f64 v[10:11], v[10:11], -v[172:173]
	ds_read2_b64 v[172:175], v166 offset0:80 offset1:81
	v_add_f64 v[8:9], v[8:9], -v[22:23]
	s_waitcnt lgkmcnt(0)
	v_mul_f64 v[22:23], v[174:175], v[236:237]
	v_fma_f64 v[22:23], v[172:173], v[20:21], -v[22:23]
	v_mul_f64 v[172:173], v[172:173], v[236:237]
	v_fmac_f64_e32 v[172:173], v[174:175], v[20:21]
	;; [unrolled: 8-line block ×4, first 2 shown]
	s_waitcnt vmcnt(36)
	v_add_f64 v[168:169], v[168:169], -v[22:23]
	v_add_f64 v[170:171], v[170:171], -v[172:173]
	v_mov_b64_e32 v[22:23], v[236:237]
.LBB85_334:
	s_or_b64 exec, exec, s[2:3]
	v_cmp_eq_u32_e32 vcc, 37, v164
	s_waitcnt lgkmcnt(0)
	s_barrier
	s_and_saveexec_b64 s[4:5], vcc
	s_cbranch_execz .LBB85_341
; %bb.335:
	s_waitcnt vmcnt(40)
	ds_write2_b64 v165, v[16:17], v[18:19] offset1:1
	s_waitcnt vmcnt(39)
	ds_write2_b64 v166, v[12:13], v[14:15] offset0:76 offset1:77
	ds_write2_b64 v166, v[8:9], v[10:11] offset0:78 offset1:79
	;; [unrolled: 1-line block ×4, first 2 shown]
	s_waitcnt vmcnt(36)
	ds_write2_b64 v166, v[168:169], v[170:171] offset0:84 offset1:85
	ds_read2_b64 v[172:175], v165 offset1:1
	s_waitcnt lgkmcnt(0)
	v_cmp_neq_f64_e32 vcc, 0, v[172:173]
	v_cmp_neq_f64_e64 s[2:3], 0, v[174:175]
	s_or_b64 s[2:3], vcc, s[2:3]
	s_and_b64 exec, exec, s[2:3]
	s_cbranch_execz .LBB85_341
; %bb.336:
	v_cmp_ngt_f64_e64 s[2:3], |v[172:173]|, |v[174:175]|
                                        ; implicit-def: $vgpr236_vgpr237
	s_and_saveexec_b64 s[10:11], s[2:3]
	s_xor_b64 s[2:3], exec, s[10:11]
                                        ; implicit-def: $vgpr238_vgpr239
	s_cbranch_execz .LBB85_338
; %bb.337:
	v_div_scale_f64 v[236:237], s[10:11], v[174:175], v[174:175], v[172:173]
	v_rcp_f64_e32 v[238:239], v[236:237]
	v_div_scale_f64 v[240:241], vcc, v[172:173], v[174:175], v[172:173]
	v_fma_f64 v[242:243], -v[236:237], v[238:239], 1.0
	v_fmac_f64_e32 v[238:239], v[238:239], v[242:243]
	v_fma_f64 v[242:243], -v[236:237], v[238:239], 1.0
	v_fmac_f64_e32 v[238:239], v[238:239], v[242:243]
	v_mul_f64 v[242:243], v[240:241], v[238:239]
	v_fma_f64 v[236:237], -v[236:237], v[242:243], v[240:241]
	v_div_fmas_f64 v[236:237], v[236:237], v[238:239], v[242:243]
	v_div_fixup_f64 v[236:237], v[236:237], v[174:175], v[172:173]
	v_fmac_f64_e32 v[174:175], v[172:173], v[236:237]
	v_div_scale_f64 v[172:173], s[10:11], v[174:175], v[174:175], 1.0
	v_rcp_f64_e32 v[238:239], v[172:173]
	s_nop 0
	v_fma_f64 v[240:241], -v[172:173], v[238:239], 1.0
	v_fmac_f64_e32 v[238:239], v[238:239], v[240:241]
	v_fma_f64 v[240:241], -v[172:173], v[238:239], 1.0
	v_fmac_f64_e32 v[238:239], v[238:239], v[240:241]
	v_div_scale_f64 v[240:241], vcc, 1.0, v[174:175], 1.0
	v_mul_f64 v[242:243], v[240:241], v[238:239]
	v_fma_f64 v[172:173], -v[172:173], v[242:243], v[240:241]
	s_nop 1
	v_div_fmas_f64 v[172:173], v[172:173], v[238:239], v[242:243]
	v_div_fixup_f64 v[238:239], v[172:173], v[174:175], 1.0
	v_mul_f64 v[236:237], v[236:237], v[238:239]
	v_xor_b32_e32 v239, 0x80000000, v239
                                        ; implicit-def: $vgpr172_vgpr173
.LBB85_338:
	s_andn2_saveexec_b64 s[2:3], s[2:3]
	s_cbranch_execz .LBB85_340
; %bb.339:
	v_div_scale_f64 v[236:237], s[10:11], v[172:173], v[172:173], v[174:175]
	v_rcp_f64_e32 v[238:239], v[236:237]
	v_div_scale_f64 v[240:241], vcc, v[174:175], v[172:173], v[174:175]
	v_fma_f64 v[242:243], -v[236:237], v[238:239], 1.0
	v_fmac_f64_e32 v[238:239], v[238:239], v[242:243]
	v_fma_f64 v[242:243], -v[236:237], v[238:239], 1.0
	v_fmac_f64_e32 v[238:239], v[238:239], v[242:243]
	v_mul_f64 v[242:243], v[240:241], v[238:239]
	v_fma_f64 v[236:237], -v[236:237], v[242:243], v[240:241]
	v_div_fmas_f64 v[236:237], v[236:237], v[238:239], v[242:243]
	v_div_fixup_f64 v[238:239], v[236:237], v[172:173], v[174:175]
	v_fmac_f64_e32 v[172:173], v[174:175], v[238:239]
	v_div_scale_f64 v[174:175], s[10:11], v[172:173], v[172:173], 1.0
	v_rcp_f64_e32 v[236:237], v[174:175]
	s_nop 0
	v_fma_f64 v[240:241], -v[174:175], v[236:237], 1.0
	v_fmac_f64_e32 v[236:237], v[236:237], v[240:241]
	v_fma_f64 v[240:241], -v[174:175], v[236:237], 1.0
	v_fmac_f64_e32 v[236:237], v[236:237], v[240:241]
	v_div_scale_f64 v[240:241], vcc, 1.0, v[172:173], 1.0
	v_mul_f64 v[242:243], v[240:241], v[236:237]
	v_fma_f64 v[174:175], -v[174:175], v[242:243], v[240:241]
	s_nop 1
	v_div_fmas_f64 v[174:175], v[174:175], v[236:237], v[242:243]
	v_div_fixup_f64 v[236:237], v[174:175], v[172:173], 1.0
	v_mul_f64 v[238:239], v[238:239], -v[236:237]
.LBB85_340:
	s_or_b64 exec, exec, s[2:3]
	ds_write2_b64 v165, v[236:237], v[238:239] offset1:1
.LBB85_341:
	s_or_b64 exec, exec, s[4:5]
	s_waitcnt lgkmcnt(0)
	s_barrier
	ds_read2_b64 v[236:239], v165 offset1:1
	v_cmp_lt_u32_e32 vcc, 37, v164
	s_and_saveexec_b64 s[2:3], vcc
	s_cbranch_execz .LBB85_343
; %bb.342:
	ds_read2_b64 v[172:175], v166 offset0:76 offset1:77
	s_waitcnt vmcnt(40) lgkmcnt(1)
	v_mul_f64 v[240:241], v[236:237], v[18:19]
	v_fmac_f64_e32 v[240:241], v[238:239], v[16:17]
	v_mul_f64 v[18:19], v[238:239], v[18:19]
	v_fma_f64 v[16:17], v[236:237], v[16:17], -v[18:19]
	s_waitcnt lgkmcnt(0)
	v_mul_f64 v[18:19], v[174:175], v[240:241]
	v_fma_f64 v[18:19], v[172:173], v[16:17], -v[18:19]
	v_mul_f64 v[172:173], v[172:173], v[240:241]
	v_fmac_f64_e32 v[172:173], v[174:175], v[16:17]
	s_waitcnt vmcnt(39)
	v_add_f64 v[14:15], v[14:15], -v[172:173]
	ds_read2_b64 v[172:175], v166 offset0:78 offset1:79
	v_add_f64 v[12:13], v[12:13], -v[18:19]
	s_waitcnt lgkmcnt(0)
	v_mul_f64 v[18:19], v[174:175], v[240:241]
	v_fma_f64 v[18:19], v[172:173], v[16:17], -v[18:19]
	v_mul_f64 v[172:173], v[172:173], v[240:241]
	v_fmac_f64_e32 v[172:173], v[174:175], v[16:17]
	v_add_f64 v[10:11], v[10:11], -v[172:173]
	ds_read2_b64 v[172:175], v166 offset0:80 offset1:81
	v_add_f64 v[8:9], v[8:9], -v[18:19]
	s_waitcnt lgkmcnt(0)
	v_mul_f64 v[18:19], v[174:175], v[240:241]
	v_fma_f64 v[18:19], v[172:173], v[16:17], -v[18:19]
	v_mul_f64 v[172:173], v[172:173], v[240:241]
	v_fmac_f64_e32 v[172:173], v[174:175], v[16:17]
	;; [unrolled: 8-line block ×4, first 2 shown]
	s_waitcnt vmcnt(36)
	v_add_f64 v[168:169], v[168:169], -v[18:19]
	v_add_f64 v[170:171], v[170:171], -v[172:173]
	v_mov_b64_e32 v[18:19], v[240:241]
.LBB85_343:
	s_or_b64 exec, exec, s[2:3]
	v_cmp_eq_u32_e32 vcc, 38, v164
	s_waitcnt lgkmcnt(0)
	s_barrier
	s_and_saveexec_b64 s[4:5], vcc
	s_cbranch_execz .LBB85_350
; %bb.344:
	s_waitcnt vmcnt(39)
	ds_write2_b64 v165, v[12:13], v[14:15] offset1:1
	ds_write2_b64 v166, v[8:9], v[10:11] offset0:78 offset1:79
	ds_write2_b64 v166, v[4:5], v[6:7] offset0:80 offset1:81
	;; [unrolled: 1-line block ×3, first 2 shown]
	s_waitcnt vmcnt(36)
	ds_write2_b64 v166, v[168:169], v[170:171] offset0:84 offset1:85
	ds_read2_b64 v[172:175], v165 offset1:1
	s_waitcnt lgkmcnt(0)
	v_cmp_neq_f64_e32 vcc, 0, v[172:173]
	v_cmp_neq_f64_e64 s[2:3], 0, v[174:175]
	s_or_b64 s[2:3], vcc, s[2:3]
	s_and_b64 exec, exec, s[2:3]
	s_cbranch_execz .LBB85_350
; %bb.345:
	v_cmp_ngt_f64_e64 s[2:3], |v[172:173]|, |v[174:175]|
                                        ; implicit-def: $vgpr240_vgpr241
	s_and_saveexec_b64 s[10:11], s[2:3]
	s_xor_b64 s[2:3], exec, s[10:11]
                                        ; implicit-def: $vgpr242_vgpr243
	s_cbranch_execz .LBB85_347
; %bb.346:
	v_div_scale_f64 v[240:241], s[10:11], v[174:175], v[174:175], v[172:173]
	v_rcp_f64_e32 v[242:243], v[240:241]
	v_div_scale_f64 v[244:245], vcc, v[172:173], v[174:175], v[172:173]
	v_fma_f64 v[246:247], -v[240:241], v[242:243], 1.0
	v_fmac_f64_e32 v[242:243], v[242:243], v[246:247]
	v_fma_f64 v[246:247], -v[240:241], v[242:243], 1.0
	v_fmac_f64_e32 v[242:243], v[242:243], v[246:247]
	v_mul_f64 v[246:247], v[244:245], v[242:243]
	v_fma_f64 v[240:241], -v[240:241], v[246:247], v[244:245]
	v_div_fmas_f64 v[240:241], v[240:241], v[242:243], v[246:247]
	v_div_fixup_f64 v[240:241], v[240:241], v[174:175], v[172:173]
	v_fmac_f64_e32 v[174:175], v[172:173], v[240:241]
	v_div_scale_f64 v[172:173], s[10:11], v[174:175], v[174:175], 1.0
	v_rcp_f64_e32 v[242:243], v[172:173]
	s_nop 0
	v_fma_f64 v[244:245], -v[172:173], v[242:243], 1.0
	v_fmac_f64_e32 v[242:243], v[242:243], v[244:245]
	v_fma_f64 v[244:245], -v[172:173], v[242:243], 1.0
	v_fmac_f64_e32 v[242:243], v[242:243], v[244:245]
	v_div_scale_f64 v[244:245], vcc, 1.0, v[174:175], 1.0
	v_mul_f64 v[246:247], v[244:245], v[242:243]
	v_fma_f64 v[172:173], -v[172:173], v[246:247], v[244:245]
	s_nop 1
	v_div_fmas_f64 v[172:173], v[172:173], v[242:243], v[246:247]
	v_div_fixup_f64 v[242:243], v[172:173], v[174:175], 1.0
	v_mul_f64 v[240:241], v[240:241], v[242:243]
	v_xor_b32_e32 v243, 0x80000000, v243
                                        ; implicit-def: $vgpr172_vgpr173
.LBB85_347:
	s_andn2_saveexec_b64 s[2:3], s[2:3]
	s_cbranch_execz .LBB85_349
; %bb.348:
	v_div_scale_f64 v[240:241], s[10:11], v[172:173], v[172:173], v[174:175]
	v_rcp_f64_e32 v[242:243], v[240:241]
	v_div_scale_f64 v[244:245], vcc, v[174:175], v[172:173], v[174:175]
	v_fma_f64 v[246:247], -v[240:241], v[242:243], 1.0
	v_fmac_f64_e32 v[242:243], v[242:243], v[246:247]
	v_fma_f64 v[246:247], -v[240:241], v[242:243], 1.0
	v_fmac_f64_e32 v[242:243], v[242:243], v[246:247]
	v_mul_f64 v[246:247], v[244:245], v[242:243]
	v_fma_f64 v[240:241], -v[240:241], v[246:247], v[244:245]
	v_div_fmas_f64 v[240:241], v[240:241], v[242:243], v[246:247]
	v_div_fixup_f64 v[242:243], v[240:241], v[172:173], v[174:175]
	v_fmac_f64_e32 v[172:173], v[174:175], v[242:243]
	v_div_scale_f64 v[174:175], s[10:11], v[172:173], v[172:173], 1.0
	v_rcp_f64_e32 v[240:241], v[174:175]
	s_nop 0
	v_fma_f64 v[244:245], -v[174:175], v[240:241], 1.0
	v_fmac_f64_e32 v[240:241], v[240:241], v[244:245]
	v_fma_f64 v[244:245], -v[174:175], v[240:241], 1.0
	v_fmac_f64_e32 v[240:241], v[240:241], v[244:245]
	v_div_scale_f64 v[244:245], vcc, 1.0, v[172:173], 1.0
	v_mul_f64 v[246:247], v[244:245], v[240:241]
	v_fma_f64 v[174:175], -v[174:175], v[246:247], v[244:245]
	s_nop 1
	v_div_fmas_f64 v[174:175], v[174:175], v[240:241], v[246:247]
	v_div_fixup_f64 v[240:241], v[174:175], v[172:173], 1.0
	v_mul_f64 v[242:243], v[242:243], -v[240:241]
.LBB85_349:
	s_or_b64 exec, exec, s[2:3]
	ds_write2_b64 v165, v[240:241], v[242:243] offset1:1
.LBB85_350:
	s_or_b64 exec, exec, s[4:5]
	s_waitcnt lgkmcnt(0)
	s_barrier
	ds_read2_b64 v[240:243], v165 offset1:1
	v_cmp_lt_u32_e32 vcc, 38, v164
	s_and_saveexec_b64 s[2:3], vcc
	s_cbranch_execz .LBB85_352
; %bb.351:
	ds_read2_b64 v[172:175], v166 offset0:78 offset1:79
	s_waitcnt vmcnt(39) lgkmcnt(1)
	v_mul_f64 v[244:245], v[240:241], v[14:15]
	v_fmac_f64_e32 v[244:245], v[242:243], v[12:13]
	v_mul_f64 v[14:15], v[242:243], v[14:15]
	v_fma_f64 v[12:13], v[240:241], v[12:13], -v[14:15]
	s_waitcnt lgkmcnt(0)
	v_mul_f64 v[14:15], v[174:175], v[244:245]
	v_fma_f64 v[14:15], v[172:173], v[12:13], -v[14:15]
	v_mul_f64 v[172:173], v[172:173], v[244:245]
	v_fmac_f64_e32 v[172:173], v[174:175], v[12:13]
	v_add_f64 v[10:11], v[10:11], -v[172:173]
	ds_read2_b64 v[172:175], v166 offset0:80 offset1:81
	v_add_f64 v[8:9], v[8:9], -v[14:15]
	s_waitcnt lgkmcnt(0)
	v_mul_f64 v[14:15], v[174:175], v[244:245]
	v_fma_f64 v[14:15], v[172:173], v[12:13], -v[14:15]
	v_mul_f64 v[172:173], v[172:173], v[244:245]
	v_fmac_f64_e32 v[172:173], v[174:175], v[12:13]
	v_add_f64 v[6:7], v[6:7], -v[172:173]
	ds_read2_b64 v[172:175], v166 offset0:82 offset1:83
	v_add_f64 v[4:5], v[4:5], -v[14:15]
	;; [unrolled: 8-line block ×3, first 2 shown]
	s_waitcnt lgkmcnt(0)
	v_mul_f64 v[14:15], v[174:175], v[244:245]
	v_fma_f64 v[14:15], v[172:173], v[12:13], -v[14:15]
	v_mul_f64 v[172:173], v[172:173], v[244:245]
	v_fmac_f64_e32 v[172:173], v[174:175], v[12:13]
	s_waitcnt vmcnt(36)
	v_add_f64 v[168:169], v[168:169], -v[14:15]
	v_add_f64 v[170:171], v[170:171], -v[172:173]
	v_mov_b64_e32 v[14:15], v[244:245]
.LBB85_352:
	s_or_b64 exec, exec, s[2:3]
	v_cmp_eq_u32_e32 vcc, 39, v164
	s_waitcnt lgkmcnt(0)
	s_barrier
	s_and_saveexec_b64 s[4:5], vcc
	s_cbranch_execz .LBB85_359
; %bb.353:
	ds_write2_b64 v165, v[8:9], v[10:11] offset1:1
	ds_write2_b64 v166, v[4:5], v[6:7] offset0:80 offset1:81
	ds_write2_b64 v166, v[0:1], v[2:3] offset0:82 offset1:83
	s_waitcnt vmcnt(36)
	ds_write2_b64 v166, v[168:169], v[170:171] offset0:84 offset1:85
	ds_read2_b64 v[172:175], v165 offset1:1
	s_waitcnt lgkmcnt(0)
	v_cmp_neq_f64_e32 vcc, 0, v[172:173]
	v_cmp_neq_f64_e64 s[2:3], 0, v[174:175]
	s_or_b64 s[2:3], vcc, s[2:3]
	s_and_b64 exec, exec, s[2:3]
	s_cbranch_execz .LBB85_359
; %bb.354:
	v_cmp_ngt_f64_e64 s[2:3], |v[172:173]|, |v[174:175]|
                                        ; implicit-def: $vgpr244_vgpr245
	s_and_saveexec_b64 s[10:11], s[2:3]
	s_xor_b64 s[2:3], exec, s[10:11]
                                        ; implicit-def: $vgpr246_vgpr247
	s_cbranch_execz .LBB85_356
; %bb.355:
	v_div_scale_f64 v[244:245], s[10:11], v[174:175], v[174:175], v[172:173]
	v_rcp_f64_e32 v[246:247], v[244:245]
	v_div_scale_f64 v[248:249], vcc, v[172:173], v[174:175], v[172:173]
	v_fma_f64 v[250:251], -v[244:245], v[246:247], 1.0
	v_fmac_f64_e32 v[246:247], v[246:247], v[250:251]
	v_fma_f64 v[250:251], -v[244:245], v[246:247], 1.0
	v_fmac_f64_e32 v[246:247], v[246:247], v[250:251]
	v_mul_f64 v[250:251], v[248:249], v[246:247]
	v_fma_f64 v[244:245], -v[244:245], v[250:251], v[248:249]
	v_div_fmas_f64 v[244:245], v[244:245], v[246:247], v[250:251]
	v_div_fixup_f64 v[244:245], v[244:245], v[174:175], v[172:173]
	v_fmac_f64_e32 v[174:175], v[172:173], v[244:245]
	v_div_scale_f64 v[172:173], s[10:11], v[174:175], v[174:175], 1.0
	v_rcp_f64_e32 v[246:247], v[172:173]
	s_nop 0
	v_fma_f64 v[248:249], -v[172:173], v[246:247], 1.0
	v_fmac_f64_e32 v[246:247], v[246:247], v[248:249]
	v_fma_f64 v[248:249], -v[172:173], v[246:247], 1.0
	v_fmac_f64_e32 v[246:247], v[246:247], v[248:249]
	v_div_scale_f64 v[248:249], vcc, 1.0, v[174:175], 1.0
	v_mul_f64 v[250:251], v[248:249], v[246:247]
	v_fma_f64 v[172:173], -v[172:173], v[250:251], v[248:249]
	s_nop 1
	v_div_fmas_f64 v[172:173], v[172:173], v[246:247], v[250:251]
	v_div_fixup_f64 v[246:247], v[172:173], v[174:175], 1.0
	v_mul_f64 v[244:245], v[244:245], v[246:247]
	v_xor_b32_e32 v247, 0x80000000, v247
                                        ; implicit-def: $vgpr172_vgpr173
.LBB85_356:
	s_andn2_saveexec_b64 s[2:3], s[2:3]
	s_cbranch_execz .LBB85_358
; %bb.357:
	v_div_scale_f64 v[244:245], s[10:11], v[172:173], v[172:173], v[174:175]
	v_rcp_f64_e32 v[246:247], v[244:245]
	v_div_scale_f64 v[248:249], vcc, v[174:175], v[172:173], v[174:175]
	v_fma_f64 v[250:251], -v[244:245], v[246:247], 1.0
	v_fmac_f64_e32 v[246:247], v[246:247], v[250:251]
	v_fma_f64 v[250:251], -v[244:245], v[246:247], 1.0
	v_fmac_f64_e32 v[246:247], v[246:247], v[250:251]
	v_mul_f64 v[250:251], v[248:249], v[246:247]
	v_fma_f64 v[244:245], -v[244:245], v[250:251], v[248:249]
	v_div_fmas_f64 v[244:245], v[244:245], v[246:247], v[250:251]
	v_div_fixup_f64 v[246:247], v[244:245], v[172:173], v[174:175]
	v_fmac_f64_e32 v[172:173], v[174:175], v[246:247]
	v_div_scale_f64 v[174:175], s[10:11], v[172:173], v[172:173], 1.0
	v_rcp_f64_e32 v[244:245], v[174:175]
	s_nop 0
	v_fma_f64 v[248:249], -v[174:175], v[244:245], 1.0
	v_fmac_f64_e32 v[244:245], v[244:245], v[248:249]
	v_fma_f64 v[248:249], -v[174:175], v[244:245], 1.0
	v_fmac_f64_e32 v[244:245], v[244:245], v[248:249]
	v_div_scale_f64 v[248:249], vcc, 1.0, v[172:173], 1.0
	v_mul_f64 v[250:251], v[248:249], v[244:245]
	v_fma_f64 v[174:175], -v[174:175], v[250:251], v[248:249]
	s_nop 1
	v_div_fmas_f64 v[174:175], v[174:175], v[244:245], v[250:251]
	v_div_fixup_f64 v[244:245], v[174:175], v[172:173], 1.0
	v_mul_f64 v[246:247], v[246:247], -v[244:245]
.LBB85_358:
	s_or_b64 exec, exec, s[2:3]
	ds_write2_b64 v165, v[244:245], v[246:247] offset1:1
.LBB85_359:
	s_or_b64 exec, exec, s[4:5]
	s_waitcnt lgkmcnt(0)
	s_barrier
	ds_read2_b64 v[244:247], v165 offset1:1
	v_cmp_lt_u32_e32 vcc, 39, v164
	s_and_saveexec_b64 s[2:3], vcc
	s_cbranch_execz .LBB85_361
; %bb.360:
	ds_read2_b64 v[172:175], v166 offset0:80 offset1:81
	s_waitcnt lgkmcnt(1)
	v_mul_f64 v[248:249], v[244:245], v[10:11]
	v_fmac_f64_e32 v[248:249], v[246:247], v[8:9]
	v_mul_f64 v[10:11], v[246:247], v[10:11]
	v_fma_f64 v[8:9], v[244:245], v[8:9], -v[10:11]
	s_waitcnt lgkmcnt(0)
	v_mul_f64 v[10:11], v[174:175], v[248:249]
	v_fma_f64 v[10:11], v[172:173], v[8:9], -v[10:11]
	v_mul_f64 v[172:173], v[172:173], v[248:249]
	v_fmac_f64_e32 v[172:173], v[174:175], v[8:9]
	v_add_f64 v[6:7], v[6:7], -v[172:173]
	ds_read2_b64 v[172:175], v166 offset0:82 offset1:83
	v_add_f64 v[4:5], v[4:5], -v[10:11]
	s_waitcnt lgkmcnt(0)
	v_mul_f64 v[10:11], v[174:175], v[248:249]
	v_fma_f64 v[10:11], v[172:173], v[8:9], -v[10:11]
	v_mul_f64 v[172:173], v[172:173], v[248:249]
	v_fmac_f64_e32 v[172:173], v[174:175], v[8:9]
	v_add_f64 v[2:3], v[2:3], -v[172:173]
	ds_read2_b64 v[172:175], v166 offset0:84 offset1:85
	v_add_f64 v[0:1], v[0:1], -v[10:11]
	s_waitcnt lgkmcnt(0)
	v_mul_f64 v[10:11], v[174:175], v[248:249]
	v_fma_f64 v[10:11], v[172:173], v[8:9], -v[10:11]
	v_mul_f64 v[172:173], v[172:173], v[248:249]
	v_fmac_f64_e32 v[172:173], v[174:175], v[8:9]
	s_waitcnt vmcnt(36)
	v_add_f64 v[168:169], v[168:169], -v[10:11]
	v_add_f64 v[170:171], v[170:171], -v[172:173]
	v_mov_b64_e32 v[10:11], v[248:249]
.LBB85_361:
	s_or_b64 exec, exec, s[2:3]
	v_cmp_eq_u32_e32 vcc, 40, v164
	s_waitcnt lgkmcnt(0)
	s_barrier
	s_and_saveexec_b64 s[4:5], vcc
	s_cbranch_execz .LBB85_368
; %bb.362:
	ds_write2_b64 v165, v[4:5], v[6:7] offset1:1
	ds_write2_b64 v166, v[0:1], v[2:3] offset0:82 offset1:83
	s_waitcnt vmcnt(36)
	ds_write2_b64 v166, v[168:169], v[170:171] offset0:84 offset1:85
	ds_read2_b64 v[172:175], v165 offset1:1
	s_waitcnt lgkmcnt(0)
	v_cmp_neq_f64_e32 vcc, 0, v[172:173]
	v_cmp_neq_f64_e64 s[2:3], 0, v[174:175]
	s_or_b64 s[2:3], vcc, s[2:3]
	s_and_b64 exec, exec, s[2:3]
	s_cbranch_execz .LBB85_368
; %bb.363:
	v_cmp_ngt_f64_e64 s[2:3], |v[172:173]|, |v[174:175]|
                                        ; implicit-def: $vgpr248_vgpr249
	s_and_saveexec_b64 s[10:11], s[2:3]
	s_xor_b64 s[2:3], exec, s[10:11]
                                        ; implicit-def: $vgpr250_vgpr251
	s_cbranch_execz .LBB85_365
; %bb.364:
	v_div_scale_f64 v[248:249], s[10:11], v[174:175], v[174:175], v[172:173]
	v_rcp_f64_e32 v[250:251], v[248:249]
	v_div_scale_f64 v[252:253], vcc, v[172:173], v[174:175], v[172:173]
	v_fma_f64 v[254:255], -v[248:249], v[250:251], 1.0
	v_fmac_f64_e32 v[250:251], v[250:251], v[254:255]
	v_fma_f64 v[254:255], -v[248:249], v[250:251], 1.0
	v_fmac_f64_e32 v[250:251], v[250:251], v[254:255]
	v_mul_f64 v[254:255], v[252:253], v[250:251]
	v_fma_f64 v[248:249], -v[248:249], v[254:255], v[252:253]
	v_div_fmas_f64 v[248:249], v[248:249], v[250:251], v[254:255]
	v_div_fixup_f64 v[248:249], v[248:249], v[174:175], v[172:173]
	v_fmac_f64_e32 v[174:175], v[172:173], v[248:249]
	v_div_scale_f64 v[172:173], s[10:11], v[174:175], v[174:175], 1.0
	v_rcp_f64_e32 v[250:251], v[172:173]
	s_nop 0
	v_fma_f64 v[252:253], -v[172:173], v[250:251], 1.0
	v_fmac_f64_e32 v[250:251], v[250:251], v[252:253]
	v_fma_f64 v[252:253], -v[172:173], v[250:251], 1.0
	v_fmac_f64_e32 v[250:251], v[250:251], v[252:253]
	v_div_scale_f64 v[252:253], vcc, 1.0, v[174:175], 1.0
	v_mul_f64 v[254:255], v[252:253], v[250:251]
	v_fma_f64 v[172:173], -v[172:173], v[254:255], v[252:253]
	s_nop 1
	v_div_fmas_f64 v[172:173], v[172:173], v[250:251], v[254:255]
	v_div_fixup_f64 v[250:251], v[172:173], v[174:175], 1.0
	v_mul_f64 v[248:249], v[248:249], v[250:251]
	v_xor_b32_e32 v251, 0x80000000, v251
                                        ; implicit-def: $vgpr172_vgpr173
.LBB85_365:
	s_andn2_saveexec_b64 s[2:3], s[2:3]
	s_cbranch_execz .LBB85_367
; %bb.366:
	v_div_scale_f64 v[248:249], s[10:11], v[172:173], v[172:173], v[174:175]
	v_rcp_f64_e32 v[250:251], v[248:249]
	v_div_scale_f64 v[252:253], vcc, v[174:175], v[172:173], v[174:175]
	v_fma_f64 v[254:255], -v[248:249], v[250:251], 1.0
	v_fmac_f64_e32 v[250:251], v[250:251], v[254:255]
	v_fma_f64 v[254:255], -v[248:249], v[250:251], 1.0
	v_fmac_f64_e32 v[250:251], v[250:251], v[254:255]
	v_mul_f64 v[254:255], v[252:253], v[250:251]
	v_fma_f64 v[248:249], -v[248:249], v[254:255], v[252:253]
	v_div_fmas_f64 v[248:249], v[248:249], v[250:251], v[254:255]
	v_div_fixup_f64 v[250:251], v[248:249], v[172:173], v[174:175]
	v_fmac_f64_e32 v[172:173], v[174:175], v[250:251]
	v_div_scale_f64 v[174:175], s[10:11], v[172:173], v[172:173], 1.0
	v_rcp_f64_e32 v[248:249], v[174:175]
	s_nop 0
	v_fma_f64 v[252:253], -v[174:175], v[248:249], 1.0
	v_fmac_f64_e32 v[248:249], v[248:249], v[252:253]
	v_fma_f64 v[252:253], -v[174:175], v[248:249], 1.0
	v_fmac_f64_e32 v[248:249], v[248:249], v[252:253]
	v_div_scale_f64 v[252:253], vcc, 1.0, v[172:173], 1.0
	v_mul_f64 v[254:255], v[252:253], v[248:249]
	v_fma_f64 v[174:175], -v[174:175], v[254:255], v[252:253]
	s_nop 1
	v_div_fmas_f64 v[174:175], v[174:175], v[248:249], v[254:255]
	v_div_fixup_f64 v[248:249], v[174:175], v[172:173], 1.0
	v_mul_f64 v[250:251], v[250:251], -v[248:249]
.LBB85_367:
	s_or_b64 exec, exec, s[2:3]
	ds_write2_b64 v165, v[248:249], v[250:251] offset1:1
.LBB85_368:
	s_or_b64 exec, exec, s[4:5]
	s_waitcnt lgkmcnt(0)
	s_barrier
	ds_read2_b64 v[248:251], v165 offset1:1
	v_cmp_lt_u32_e32 vcc, 40, v164
	s_and_saveexec_b64 s[2:3], vcc
	s_cbranch_execz .LBB85_370
; %bb.369:
	ds_read2_b64 v[172:175], v166 offset0:82 offset1:83
	s_waitcnt lgkmcnt(1)
	v_mul_f64 v[252:253], v[248:249], v[6:7]
	v_fmac_f64_e32 v[252:253], v[250:251], v[4:5]
	v_mul_f64 v[6:7], v[250:251], v[6:7]
	v_fma_f64 v[4:5], v[248:249], v[4:5], -v[6:7]
	s_waitcnt lgkmcnt(0)
	v_mul_f64 v[6:7], v[174:175], v[252:253]
	v_fma_f64 v[6:7], v[172:173], v[4:5], -v[6:7]
	v_mul_f64 v[172:173], v[172:173], v[252:253]
	v_fmac_f64_e32 v[172:173], v[174:175], v[4:5]
	v_add_f64 v[2:3], v[2:3], -v[172:173]
	ds_read2_b64 v[172:175], v166 offset0:84 offset1:85
	v_add_f64 v[0:1], v[0:1], -v[6:7]
	s_waitcnt lgkmcnt(0)
	v_mul_f64 v[6:7], v[174:175], v[252:253]
	v_fma_f64 v[6:7], v[172:173], v[4:5], -v[6:7]
	v_mul_f64 v[172:173], v[172:173], v[252:253]
	v_fmac_f64_e32 v[172:173], v[174:175], v[4:5]
	s_waitcnt vmcnt(36)
	v_add_f64 v[168:169], v[168:169], -v[6:7]
	v_add_f64 v[170:171], v[170:171], -v[172:173]
	v_mov_b64_e32 v[6:7], v[252:253]
.LBB85_370:
	s_or_b64 exec, exec, s[2:3]
	v_cmp_eq_u32_e32 vcc, 41, v164
	s_waitcnt lgkmcnt(0)
	s_barrier
	s_and_saveexec_b64 s[4:5], vcc
	s_cbranch_execz .LBB85_377
; %bb.371:
	ds_write2_b64 v165, v[0:1], v[2:3] offset1:1
	s_waitcnt vmcnt(36)
	ds_write2_b64 v166, v[168:169], v[170:171] offset0:84 offset1:85
	ds_read2_b64 v[172:175], v165 offset1:1
	s_waitcnt lgkmcnt(0)
	v_cmp_neq_f64_e32 vcc, 0, v[172:173]
	v_cmp_neq_f64_e64 s[2:3], 0, v[174:175]
	s_or_b64 s[2:3], vcc, s[2:3]
	s_and_b64 exec, exec, s[2:3]
	s_cbranch_execz .LBB85_377
; %bb.372:
	v_cmp_ngt_f64_e64 s[2:3], |v[172:173]|, |v[174:175]|
                                        ; implicit-def: $vgpr252_vgpr253
	s_and_saveexec_b64 s[10:11], s[2:3]
	s_xor_b64 s[2:3], exec, s[10:11]
                                        ; implicit-def: $vgpr254_vgpr255
	s_cbranch_execz .LBB85_374
; %bb.373:
	v_div_scale_f64 v[252:253], s[10:11], v[174:175], v[174:175], v[172:173]
	v_rcp_f64_e32 v[254:255], v[252:253]
	v_div_scale_f64 v[176:177], vcc, v[172:173], v[174:175], v[172:173]
	v_fma_f64 v[178:179], -v[252:253], v[254:255], 1.0
	v_fmac_f64_e32 v[254:255], v[254:255], v[178:179]
	v_fma_f64 v[178:179], -v[252:253], v[254:255], 1.0
	v_fmac_f64_e32 v[254:255], v[254:255], v[178:179]
	v_mul_f64 v[178:179], v[176:177], v[254:255]
	v_fma_f64 v[176:177], -v[252:253], v[178:179], v[176:177]
	v_div_fmas_f64 v[176:177], v[176:177], v[254:255], v[178:179]
	v_div_fixup_f64 v[176:177], v[176:177], v[174:175], v[172:173]
	v_fmac_f64_e32 v[174:175], v[172:173], v[176:177]
	v_div_scale_f64 v[172:173], s[10:11], v[174:175], v[174:175], 1.0
	v_rcp_f64_e32 v[178:179], v[172:173]
	s_nop 0
	v_fma_f64 v[252:253], -v[172:173], v[178:179], 1.0
	v_fmac_f64_e32 v[178:179], v[178:179], v[252:253]
	v_fma_f64 v[252:253], -v[172:173], v[178:179], 1.0
	v_fmac_f64_e32 v[178:179], v[178:179], v[252:253]
	v_div_scale_f64 v[252:253], vcc, 1.0, v[174:175], 1.0
	v_mul_f64 v[254:255], v[252:253], v[178:179]
	v_fma_f64 v[172:173], -v[172:173], v[254:255], v[252:253]
	s_nop 1
	v_div_fmas_f64 v[172:173], v[172:173], v[178:179], v[254:255]
	v_div_fixup_f64 v[254:255], v[172:173], v[174:175], 1.0
	v_mul_f64 v[252:253], v[176:177], v[254:255]
	v_xor_b32_e32 v255, 0x80000000, v255
                                        ; implicit-def: $vgpr172_vgpr173
.LBB85_374:
	s_andn2_saveexec_b64 s[2:3], s[2:3]
	s_cbranch_execz .LBB85_376
; %bb.375:
	v_div_scale_f64 v[176:177], s[10:11], v[172:173], v[172:173], v[174:175]
	v_rcp_f64_e32 v[178:179], v[176:177]
	v_div_scale_f64 v[252:253], vcc, v[174:175], v[172:173], v[174:175]
	v_fma_f64 v[254:255], -v[176:177], v[178:179], 1.0
	v_fmac_f64_e32 v[178:179], v[178:179], v[254:255]
	v_fma_f64 v[254:255], -v[176:177], v[178:179], 1.0
	v_fmac_f64_e32 v[178:179], v[178:179], v[254:255]
	v_mul_f64 v[254:255], v[252:253], v[178:179]
	v_fma_f64 v[176:177], -v[176:177], v[254:255], v[252:253]
	v_div_fmas_f64 v[176:177], v[176:177], v[178:179], v[254:255]
	v_div_fixup_f64 v[176:177], v[176:177], v[172:173], v[174:175]
	v_fmac_f64_e32 v[172:173], v[174:175], v[176:177]
	v_div_scale_f64 v[174:175], s[10:11], v[172:173], v[172:173], 1.0
	v_rcp_f64_e32 v[178:179], v[174:175]
	s_nop 0
	v_fma_f64 v[252:253], -v[174:175], v[178:179], 1.0
	v_fmac_f64_e32 v[178:179], v[178:179], v[252:253]
	v_fma_f64 v[252:253], -v[174:175], v[178:179], 1.0
	v_fmac_f64_e32 v[178:179], v[178:179], v[252:253]
	v_div_scale_f64 v[252:253], vcc, 1.0, v[172:173], 1.0
	v_mul_f64 v[254:255], v[252:253], v[178:179]
	v_fma_f64 v[174:175], -v[174:175], v[254:255], v[252:253]
	s_nop 1
	v_div_fmas_f64 v[174:175], v[174:175], v[178:179], v[254:255]
	v_div_fixup_f64 v[252:253], v[174:175], v[172:173], 1.0
	v_mul_f64 v[254:255], v[176:177], -v[252:253]
.LBB85_376:
	s_or_b64 exec, exec, s[2:3]
	ds_write2_b64 v165, v[252:253], v[254:255] offset1:1
.LBB85_377:
	s_or_b64 exec, exec, s[4:5]
	s_waitcnt lgkmcnt(0)
	s_barrier
	ds_read2_b64 v[252:255], v165 offset1:1
	v_cmp_lt_u32_e32 vcc, 41, v164
	s_and_saveexec_b64 s[2:3], vcc
	s_cbranch_execz .LBB85_379
; %bb.378:
	ds_read2_b64 v[172:175], v166 offset0:84 offset1:85
	s_waitcnt lgkmcnt(1)
	v_mul_f64 v[166:167], v[252:253], v[2:3]
	v_mul_f64 v[2:3], v[254:255], v[2:3]
	v_fmac_f64_e32 v[166:167], v[254:255], v[0:1]
	v_fma_f64 v[0:1], v[252:253], v[0:1], -v[2:3]
	s_waitcnt lgkmcnt(0)
	v_mul_f64 v[2:3], v[174:175], v[166:167]
	v_fma_f64 v[2:3], v[172:173], v[0:1], -v[2:3]
	v_mul_f64 v[172:173], v[172:173], v[166:167]
	v_fmac_f64_e32 v[172:173], v[174:175], v[0:1]
	s_waitcnt vmcnt(36)
	v_add_f64 v[168:169], v[168:169], -v[2:3]
	v_add_f64 v[170:171], v[170:171], -v[172:173]
	v_mov_b64_e32 v[2:3], v[166:167]
.LBB85_379:
	s_or_b64 exec, exec, s[2:3]
	v_cmp_eq_u32_e32 vcc, 42, v164
	s_waitcnt lgkmcnt(0)
	s_barrier
	s_and_saveexec_b64 s[4:5], vcc
	s_cbranch_execz .LBB85_386
; %bb.380:
	s_waitcnt vmcnt(36)
	v_cmp_neq_f64_e32 vcc, 0, v[168:169]
	v_cmp_neq_f64_e64 s[2:3], 0, v[170:171]
	s_or_b64 s[2:3], vcc, s[2:3]
	ds_write2_b64 v165, v[168:169], v[170:171] offset1:1
	s_and_b64 exec, exec, s[2:3]
	s_cbranch_execz .LBB85_386
; %bb.381:
	v_cmp_ngt_f64_e64 s[2:3], |v[168:169]|, |v[170:171]|
                                        ; implicit-def: $vgpr172_vgpr173
	s_and_saveexec_b64 s[10:11], s[2:3]
	s_xor_b64 s[2:3], exec, s[10:11]
                                        ; implicit-def: $vgpr174_vgpr175
	s_cbranch_execz .LBB85_383
; %bb.382:
	v_div_scale_f64 v[166:167], s[10:11], v[170:171], v[170:171], v[168:169]
	v_rcp_f64_e32 v[172:173], v[166:167]
	v_div_scale_f64 v[174:175], vcc, v[168:169], v[170:171], v[168:169]
	v_mov_b64_e32 v[216:217], v[214:215]
	v_fma_f64 v[176:177], -v[166:167], v[172:173], 1.0
	v_fmac_f64_e32 v[172:173], v[172:173], v[176:177]
	v_fma_f64 v[176:177], -v[166:167], v[172:173], 1.0
	v_fmac_f64_e32 v[172:173], v[172:173], v[176:177]
	v_mul_f64 v[176:177], v[174:175], v[172:173]
	v_fma_f64 v[166:167], -v[166:167], v[176:177], v[174:175]
	v_div_fmas_f64 v[166:167], v[166:167], v[172:173], v[176:177]
	v_div_fixup_f64 v[166:167], v[166:167], v[170:171], v[168:169]
	v_fma_f64 v[172:173], v[168:169], v[166:167], v[170:171]
	v_div_scale_f64 v[174:175], s[10:11], v[172:173], v[172:173], 1.0
	v_rcp_f64_e32 v[176:177], v[174:175]
	v_mov_b64_e32 v[214:215], v[212:213]
	v_mov_b64_e32 v[212:213], v[210:211]
	v_mov_b64_e32 v[210:211], v[208:209]
	v_mov_b64_e32 v[208:209], v[206:207]
	v_mov_b64_e32 v[206:207], v[204:205]
	v_mov_b64_e32 v[204:205], v[202:203]
	v_mov_b64_e32 v[202:203], v[200:201]
	v_mov_b64_e32 v[200:201], v[198:199]
	v_fma_f64 v[178:179], -v[174:175], v[176:177], 1.0
	v_mov_b64_e32 v[198:199], v[196:197]
	v_mov_b64_e32 v[196:197], v[194:195]
	v_fmac_f64_e32 v[176:177], v[176:177], v[178:179]
	v_mov_b64_e32 v[194:195], v[192:193]
	v_mov_b64_e32 v[192:193], v[190:191]
	v_fma_f64 v[178:179], -v[174:175], v[176:177], 1.0
	v_mov_b64_e32 v[190:191], v[188:189]
	v_mov_b64_e32 v[188:189], v[186:187]
	v_fmac_f64_e32 v[176:177], v[176:177], v[178:179]
	v_div_scale_f64 v[178:179], vcc, 1.0, v[172:173], 1.0
	v_mov_b64_e32 v[186:187], v[184:185]
	v_mov_b64_e32 v[184:185], v[182:183]
	;; [unrolled: 1-line block ×3, first 2 shown]
	v_mul_f64 v[180:181], v[178:179], v[176:177]
	v_fma_f64 v[174:175], -v[174:175], v[180:181], v[178:179]
	v_div_fmas_f64 v[174:175], v[174:175], v[176:177], v[180:181]
	v_mov_b64_e32 v[180:181], v[182:183]
	v_mov_b64_e32 v[182:183], v[184:185]
	;; [unrolled: 1-line block ×17, first 2 shown]
	v_div_fixup_f64 v[174:175], v[174:175], v[172:173], 1.0
	v_mov_b64_e32 v[214:215], v[216:217]
	v_mul_f64 v[172:173], v[166:167], v[174:175]
	v_xor_b32_e32 v175, 0x80000000, v175
.LBB85_383:
	s_andn2_saveexec_b64 s[2:3], s[2:3]
	s_cbranch_execz .LBB85_385
; %bb.384:
	v_div_scale_f64 v[166:167], s[10:11], v[168:169], v[168:169], v[170:171]
	v_rcp_f64_e32 v[172:173], v[166:167]
	v_div_scale_f64 v[174:175], vcc, v[170:171], v[168:169], v[170:171]
	v_mov_b64_e32 v[216:217], v[214:215]
	v_fma_f64 v[176:177], -v[166:167], v[172:173], 1.0
	v_fmac_f64_e32 v[172:173], v[172:173], v[176:177]
	v_fma_f64 v[176:177], -v[166:167], v[172:173], 1.0
	v_fmac_f64_e32 v[172:173], v[172:173], v[176:177]
	v_mul_f64 v[176:177], v[174:175], v[172:173]
	v_fma_f64 v[166:167], -v[166:167], v[176:177], v[174:175]
	v_div_fmas_f64 v[166:167], v[166:167], v[172:173], v[176:177]
	v_div_fixup_f64 v[166:167], v[166:167], v[168:169], v[170:171]
	v_fma_f64 v[172:173], v[170:171], v[166:167], v[168:169]
	v_div_scale_f64 v[174:175], s[10:11], v[172:173], v[172:173], 1.0
	v_rcp_f64_e32 v[176:177], v[174:175]
	v_mov_b64_e32 v[214:215], v[212:213]
	v_mov_b64_e32 v[212:213], v[210:211]
	;; [unrolled: 1-line block ×8, first 2 shown]
	v_fma_f64 v[178:179], -v[174:175], v[176:177], 1.0
	v_mov_b64_e32 v[198:199], v[196:197]
	v_mov_b64_e32 v[196:197], v[194:195]
	v_fmac_f64_e32 v[176:177], v[176:177], v[178:179]
	v_mov_b64_e32 v[194:195], v[192:193]
	v_mov_b64_e32 v[192:193], v[190:191]
	v_fma_f64 v[178:179], -v[174:175], v[176:177], 1.0
	v_mov_b64_e32 v[190:191], v[188:189]
	v_mov_b64_e32 v[188:189], v[186:187]
	v_fmac_f64_e32 v[176:177], v[176:177], v[178:179]
	v_div_scale_f64 v[178:179], vcc, 1.0, v[172:173], 1.0
	v_mov_b64_e32 v[186:187], v[184:185]
	v_mov_b64_e32 v[184:185], v[182:183]
	v_mov_b64_e32 v[182:183], v[180:181]
	v_mul_f64 v[180:181], v[178:179], v[176:177]
	v_fma_f64 v[174:175], -v[174:175], v[180:181], v[178:179]
	v_div_fmas_f64 v[174:175], v[174:175], v[176:177], v[180:181]
	v_mov_b64_e32 v[180:181], v[182:183]
	v_mov_b64_e32 v[182:183], v[184:185]
	;; [unrolled: 1-line block ×17, first 2 shown]
	v_div_fixup_f64 v[172:173], v[174:175], v[172:173], 1.0
	v_mov_b64_e32 v[214:215], v[216:217]
	v_mul_f64 v[174:175], v[166:167], -v[172:173]
.LBB85_385:
	s_or_b64 exec, exec, s[2:3]
	ds_write2_b64 v165, v[172:173], v[174:175] offset1:1
.LBB85_386:
	s_or_b64 exec, exec, s[4:5]
	s_waitcnt lgkmcnt(0)
	s_barrier
	ds_read2_b64 v[172:175], v165 offset1:1
	s_waitcnt lgkmcnt(0)
	s_barrier
	s_and_saveexec_b64 s[2:3], s[0:1]
	s_cbranch_execz .LBB85_389
; %bb.387:
	scratch_load_dwordx4 v[176:179], off, off offset:392 ; 16-byte Folded Reload
	v_mov_b32_e32 v166, s6
	v_mov_b32_e32 v167, s7
	s_waitcnt vmcnt(0)
	v_cmp_eq_f64_e32 vcc, 0, v[176:177]
	v_cmp_eq_f64_e64 s[0:1], 0, v[178:179]
	scratch_load_dwordx4 v[176:179], off, off offset:408 ; 16-byte Folded Reload
	s_and_b64 s[4:5], vcc, s[0:1]
	v_cndmask_b32_e64 v165, 0, 1, s[4:5]
	s_waitcnt vmcnt(0)
	v_cmp_neq_f64_e32 vcc, 0, v[176:177]
	v_cmp_neq_f64_e64 s[0:1], 0, v[178:179]
	scratch_load_dwordx4 v[176:179], off, off offset:424 ; 16-byte Folded Reload
	s_or_b64 s[0:1], vcc, s[0:1]
	s_or_b64 vcc, s[0:1], s[4:5]
	v_cndmask_b32_e32 v165, 2, v165, vcc
	s_waitcnt vmcnt(0)
	v_cmp_eq_f64_e32 vcc, 0, v[176:177]
	v_cmp_eq_f64_e64 s[0:1], 0, v[178:179]
	scratch_load_dwordx4 v[176:179], off, off offset:440 ; 16-byte Folded Reload
	s_and_b64 s[0:1], vcc, s[0:1]
	v_cmp_eq_u32_e32 vcc, 0, v165
	s_and_b64 s[0:1], s[0:1], vcc
	v_cndmask_b32_e64 v165, v165, 3, s[0:1]
	s_waitcnt vmcnt(0)
	v_cmp_eq_f64_e32 vcc, 0, v[176:177]
	v_cmp_eq_f64_e64 s[0:1], 0, v[178:179]
	scratch_load_dwordx4 v[176:179], off, off offset:456 ; 16-byte Folded Reload
	s_and_b64 s[0:1], vcc, s[0:1]
	v_cmp_eq_u32_e32 vcc, 0, v165
	s_and_b64 s[0:1], s[0:1], vcc
	v_cndmask_b32_e64 v165, v165, 4, s[0:1]
	;; [unrolled: 8-line block ×20, first 2 shown]
	s_waitcnt vmcnt(0)
	v_cmp_eq_f64_e32 vcc, 0, v[176:177]
	scratch_load_dwordx2 v[176:177], off, off offset:760 ; 8-byte Folded Reload
	v_cmp_eq_f64_e64 s[0:1], 0, v[178:179]
	s_and_b64 s[0:1], vcc, s[0:1]
	v_cmp_eq_u32_e32 vcc, 0, v165
	s_and_b64 s[0:1], s[0:1], vcc
	v_cndmask_b32_e64 v165, v165, 23, s[0:1]
	v_cmp_eq_f64_e32 vcc, 0, v[180:181]
	v_cmp_eq_f64_e64 s[0:1], 0, v[182:183]
	s_and_b64 s[0:1], vcc, s[0:1]
	v_cmp_eq_u32_e32 vcc, 0, v165
	s_and_b64 s[0:1], s[0:1], vcc
	v_cndmask_b32_e64 v165, v165, 24, s[0:1]
	v_cmp_eq_f64_e32 vcc, 0, v[184:185]
	v_cmp_eq_f64_e64 s[0:1], 0, v[186:187]
	s_and_b64 s[0:1], vcc, s[0:1]
	v_cmp_eq_u32_e32 vcc, 0, v165
	s_and_b64 s[0:1], s[0:1], vcc
	v_cndmask_b32_e64 v165, v165, 25, s[0:1]
	v_cmp_eq_f64_e32 vcc, 0, v[188:189]
	v_cmp_eq_f64_e64 s[0:1], 0, v[190:191]
	s_and_b64 s[0:1], vcc, s[0:1]
	v_cmp_eq_u32_e32 vcc, 0, v165
	s_and_b64 s[0:1], s[0:1], vcc
	v_cndmask_b32_e64 v165, v165, 26, s[0:1]
	v_cmp_eq_f64_e32 vcc, 0, v[192:193]
	v_cmp_eq_f64_e64 s[0:1], 0, v[194:195]
	s_and_b64 s[0:1], vcc, s[0:1]
	v_cmp_eq_u32_e32 vcc, 0, v165
	s_and_b64 s[0:1], s[0:1], vcc
	v_cndmask_b32_e64 v165, v165, 27, s[0:1]
	v_cmp_eq_f64_e32 vcc, 0, v[196:197]
	v_cmp_eq_f64_e64 s[0:1], 0, v[198:199]
	s_and_b64 s[0:1], vcc, s[0:1]
	v_cmp_eq_u32_e32 vcc, 0, v165
	s_and_b64 s[0:1], s[0:1], vcc
	v_cndmask_b32_e64 v165, v165, 28, s[0:1]
	v_cmp_eq_f64_e32 vcc, 0, v[200:201]
	v_cmp_eq_f64_e64 s[0:1], 0, v[202:203]
	s_and_b64 s[0:1], vcc, s[0:1]
	v_cmp_eq_u32_e32 vcc, 0, v165
	s_and_b64 s[0:1], s[0:1], vcc
	v_cndmask_b32_e64 v165, v165, 29, s[0:1]
	v_cmp_eq_f64_e32 vcc, 0, v[204:205]
	v_cmp_eq_f64_e64 s[0:1], 0, v[206:207]
	s_and_b64 s[0:1], vcc, s[0:1]
	v_cmp_eq_u32_e32 vcc, 0, v165
	s_and_b64 s[0:1], s[0:1], vcc
	v_cndmask_b32_e64 v165, v165, 30, s[0:1]
	v_cmp_eq_f64_e32 vcc, 0, v[208:209]
	v_cmp_eq_f64_e64 s[0:1], 0, v[210:211]
	s_and_b64 s[0:1], vcc, s[0:1]
	v_cmp_eq_u32_e32 vcc, 0, v165
	s_and_b64 s[0:1], s[0:1], vcc
	v_cndmask_b32_e64 v165, v165, 31, s[0:1]
	v_cmp_eq_f64_e32 vcc, 0, v[212:213]
	v_cmp_eq_f64_e64 s[0:1], 0, v[214:215]
	s_and_b64 s[0:1], vcc, s[0:1]
	v_cmp_eq_u32_e32 vcc, 0, v165
	s_and_b64 s[0:1], s[0:1], vcc
	v_cndmask_b32_e64 v165, v165, 32, s[0:1]
	v_cmp_eq_f64_e32 vcc, 0, v[160:161]
	v_cmp_eq_f64_e64 s[0:1], 0, v[162:163]
	s_and_b64 s[0:1], vcc, s[0:1]
	v_cmp_eq_u32_e32 vcc, 0, v165
	s_and_b64 s[0:1], s[0:1], vcc
	v_cndmask_b32_e64 v165, v165, 33, s[0:1]
	v_cmp_eq_f64_e32 vcc, 0, v[156:157]
	v_cmp_eq_f64_e64 s[0:1], 0, v[158:159]
	s_and_b64 s[0:1], vcc, s[0:1]
	v_cmp_eq_u32_e32 vcc, 0, v165
	s_and_b64 s[0:1], s[0:1], vcc
	v_cndmask_b32_e64 v165, v165, 34, s[0:1]
	v_cmp_eq_f64_e32 vcc, 0, v[224:225]
	v_cmp_eq_f64_e64 s[0:1], 0, v[226:227]
	s_and_b64 s[0:1], vcc, s[0:1]
	v_cmp_eq_u32_e32 vcc, 0, v165
	s_and_b64 s[0:1], s[0:1], vcc
	v_cndmask_b32_e64 v165, v165, 35, s[0:1]
	v_cmp_eq_f64_e32 vcc, 0, v[228:229]
	v_cmp_eq_f64_e64 s[0:1], 0, v[230:231]
	s_waitcnt vmcnt(0)
	v_lshl_add_u64 v[176:177], v[176:177], 2, v[166:167]
	global_load_dword v166, v[176:177], off
	s_and_b64 s[0:1], vcc, s[0:1]
	v_cmp_eq_u32_e32 vcc, 0, v165
	s_and_b64 s[0:1], s[0:1], vcc
	v_cndmask_b32_e64 v165, v165, 36, s[0:1]
	v_cmp_eq_f64_e32 vcc, 0, v[232:233]
	v_cmp_eq_f64_e64 s[0:1], 0, v[234:235]
	s_and_b64 s[0:1], vcc, s[0:1]
	v_cmp_eq_u32_e32 vcc, 0, v165
	s_and_b64 s[0:1], s[0:1], vcc
	v_cndmask_b32_e64 v165, v165, 37, s[0:1]
	v_cmp_eq_f64_e32 vcc, 0, v[236:237]
	v_cmp_eq_f64_e64 s[0:1], 0, v[238:239]
	;; [unrolled: 6-line block ×7, first 2 shown]
	s_and_b64 s[0:1], vcc, s[0:1]
	v_cmp_eq_u32_e32 vcc, 0, v165
	s_and_b64 s[0:1], s[0:1], vcc
	v_cndmask_b32_e64 v165, v165, 43, s[0:1]
	v_cmp_ne_u32_e64 s[0:1], 0, v165
	s_waitcnt vmcnt(0)
	v_cmp_eq_u32_e32 vcc, 0, v166
	s_and_b64 s[0:1], vcc, s[0:1]
	s_and_b64 exec, exec, s[0:1]
	s_cbranch_execz .LBB85_389
; %bb.388:
	v_add_u32_e32 v165, s9, v165
	global_store_dword v[176:177], v165, off
.LBB85_389:
	s_or_b64 exec, exec, s[2:3]
	v_cmp_lt_u32_e32 vcc, 42, v164
	s_waitcnt vmcnt(36)
	v_mul_f64 v[164:165], v[174:175], v[170:171]
	v_mul_f64 v[166:167], v[172:173], v[170:171]
	v_fma_f64 v[164:165], v[172:173], v[168:169], -v[164:165]
	v_fmac_f64_e32 v[166:167], v[174:175], v[168:169]
	v_cndmask_b32_e32 v167, v171, v167, vcc
	v_cndmask_b32_e32 v166, v170, v166, vcc
	;; [unrolled: 1-line block ×4, first 2 shown]
	scratch_load_dwordx2 v[168:169], off, off offset:48 ; 8-byte Folded Reload
	scratch_load_dwordx4 v[170:173], off, off offset:32 ; 16-byte Folded Reload
	s_waitcnt vmcnt(0)
	global_store_dwordx4 v[168:169], v[170:173], off
	scratch_load_dwordx2 v[168:169], off, off offset:384 ; 8-byte Folded Reload
	s_nop 0
	scratch_load_dwordx4 v[156:159], off, off offset:16 ; 16-byte Folded Reload
	s_waitcnt vmcnt(0)
	global_store_dwordx4 v[168:169], v[156:159], off
	scratch_load_dwordx2 v[160:161], off, off offset:56 ; 8-byte Folded Reload
	s_nop 0
	scratch_load_dwordx4 v[156:159], off, off ; 16-byte Folded Reload
	s_waitcnt vmcnt(0)
	global_store_dwordx4 v[160:161], v[156:159], off
	scratch_load_dwordx2 v[156:157], off, off offset:64 ; 8-byte Folded Reload
	s_waitcnt vmcnt(0)
	global_store_dwordx4 v[156:157], v[152:155], off
	scratch_load_dwordx2 v[152:153], off, off offset:72 ; 8-byte Folded Reload
	;; [unrolled: 3-line block ×40, first 2 shown]
	s_waitcnt vmcnt(0)
	global_store_dwordx4 v[0:1], v[164:167], off
.LBB85_390:
	s_endpgm
	.section	.rodata,"a",@progbits
	.p2align	6, 0x0
	.amdhsa_kernel _ZN9rocsolver6v33100L23getf2_npvt_small_kernelILi43E19rocblas_complex_numIdEiiPS3_EEvT1_T3_lS5_lPT2_S5_S5_
		.amdhsa_group_segment_fixed_size 0
		.amdhsa_private_segment_fixed_size 772
		.amdhsa_kernarg_size 312
		.amdhsa_user_sgpr_count 2
		.amdhsa_user_sgpr_dispatch_ptr 0
		.amdhsa_user_sgpr_queue_ptr 0
		.amdhsa_user_sgpr_kernarg_segment_ptr 1
		.amdhsa_user_sgpr_dispatch_id 0
		.amdhsa_user_sgpr_kernarg_preload_length 0
		.amdhsa_user_sgpr_kernarg_preload_offset 0
		.amdhsa_user_sgpr_private_segment_size 0
		.amdhsa_uses_dynamic_stack 0
		.amdhsa_enable_private_segment 1
		.amdhsa_system_sgpr_workgroup_id_x 1
		.amdhsa_system_sgpr_workgroup_id_y 1
		.amdhsa_system_sgpr_workgroup_id_z 0
		.amdhsa_system_sgpr_workgroup_info 0
		.amdhsa_system_vgpr_workitem_id 1
		.amdhsa_next_free_vgpr 256
		.amdhsa_next_free_sgpr 16
		.amdhsa_accum_offset 256
		.amdhsa_reserve_vcc 1
		.amdhsa_float_round_mode_32 0
		.amdhsa_float_round_mode_16_64 0
		.amdhsa_float_denorm_mode_32 3
		.amdhsa_float_denorm_mode_16_64 3
		.amdhsa_dx10_clamp 1
		.amdhsa_ieee_mode 1
		.amdhsa_fp16_overflow 0
		.amdhsa_tg_split 0
		.amdhsa_exception_fp_ieee_invalid_op 0
		.amdhsa_exception_fp_denorm_src 0
		.amdhsa_exception_fp_ieee_div_zero 0
		.amdhsa_exception_fp_ieee_overflow 0
		.amdhsa_exception_fp_ieee_underflow 0
		.amdhsa_exception_fp_ieee_inexact 0
		.amdhsa_exception_int_div_zero 0
	.end_amdhsa_kernel
	.section	.text._ZN9rocsolver6v33100L23getf2_npvt_small_kernelILi43E19rocblas_complex_numIdEiiPS3_EEvT1_T3_lS5_lPT2_S5_S5_,"axG",@progbits,_ZN9rocsolver6v33100L23getf2_npvt_small_kernelILi43E19rocblas_complex_numIdEiiPS3_EEvT1_T3_lS5_lPT2_S5_S5_,comdat
.Lfunc_end85:
	.size	_ZN9rocsolver6v33100L23getf2_npvt_small_kernelILi43E19rocblas_complex_numIdEiiPS3_EEvT1_T3_lS5_lPT2_S5_S5_, .Lfunc_end85-_ZN9rocsolver6v33100L23getf2_npvt_small_kernelILi43E19rocblas_complex_numIdEiiPS3_EEvT1_T3_lS5_lPT2_S5_S5_
                                        ; -- End function
	.set _ZN9rocsolver6v33100L23getf2_npvt_small_kernelILi43E19rocblas_complex_numIdEiiPS3_EEvT1_T3_lS5_lPT2_S5_S5_.num_vgpr, 256
	.set _ZN9rocsolver6v33100L23getf2_npvt_small_kernelILi43E19rocblas_complex_numIdEiiPS3_EEvT1_T3_lS5_lPT2_S5_S5_.num_agpr, 0
	.set _ZN9rocsolver6v33100L23getf2_npvt_small_kernelILi43E19rocblas_complex_numIdEiiPS3_EEvT1_T3_lS5_lPT2_S5_S5_.numbered_sgpr, 16
	.set _ZN9rocsolver6v33100L23getf2_npvt_small_kernelILi43E19rocblas_complex_numIdEiiPS3_EEvT1_T3_lS5_lPT2_S5_S5_.num_named_barrier, 0
	.set _ZN9rocsolver6v33100L23getf2_npvt_small_kernelILi43E19rocblas_complex_numIdEiiPS3_EEvT1_T3_lS5_lPT2_S5_S5_.private_seg_size, 772
	.set _ZN9rocsolver6v33100L23getf2_npvt_small_kernelILi43E19rocblas_complex_numIdEiiPS3_EEvT1_T3_lS5_lPT2_S5_S5_.uses_vcc, 1
	.set _ZN9rocsolver6v33100L23getf2_npvt_small_kernelILi43E19rocblas_complex_numIdEiiPS3_EEvT1_T3_lS5_lPT2_S5_S5_.uses_flat_scratch, 0
	.set _ZN9rocsolver6v33100L23getf2_npvt_small_kernelILi43E19rocblas_complex_numIdEiiPS3_EEvT1_T3_lS5_lPT2_S5_S5_.has_dyn_sized_stack, 0
	.set _ZN9rocsolver6v33100L23getf2_npvt_small_kernelILi43E19rocblas_complex_numIdEiiPS3_EEvT1_T3_lS5_lPT2_S5_S5_.has_recursion, 0
	.set _ZN9rocsolver6v33100L23getf2_npvt_small_kernelILi43E19rocblas_complex_numIdEiiPS3_EEvT1_T3_lS5_lPT2_S5_S5_.has_indirect_call, 0
	.section	.AMDGPU.csdata,"",@progbits
; Kernel info:
; codeLenInByte = 87860
; TotalNumSgprs: 22
; NumVgprs: 256
; NumAgprs: 0
; TotalNumVgprs: 256
; ScratchSize: 772
; MemoryBound: 1
; FloatMode: 240
; IeeeMode: 1
; LDSByteSize: 0 bytes/workgroup (compile time only)
; SGPRBlocks: 2
; VGPRBlocks: 31
; NumSGPRsForWavesPerEU: 22
; NumVGPRsForWavesPerEU: 256
; AccumOffset: 256
; Occupancy: 2
; WaveLimiterHint : 0
; COMPUTE_PGM_RSRC2:SCRATCH_EN: 1
; COMPUTE_PGM_RSRC2:USER_SGPR: 2
; COMPUTE_PGM_RSRC2:TRAP_HANDLER: 0
; COMPUTE_PGM_RSRC2:TGID_X_EN: 1
; COMPUTE_PGM_RSRC2:TGID_Y_EN: 1
; COMPUTE_PGM_RSRC2:TGID_Z_EN: 0
; COMPUTE_PGM_RSRC2:TIDIG_COMP_CNT: 1
; COMPUTE_PGM_RSRC3_GFX90A:ACCUM_OFFSET: 63
; COMPUTE_PGM_RSRC3_GFX90A:TG_SPLIT: 0
	.section	.text._ZN9rocsolver6v33100L18getf2_small_kernelILi44E19rocblas_complex_numIdEiiPS3_EEvT1_T3_lS5_lPS5_llPT2_S5_S5_S7_l,"axG",@progbits,_ZN9rocsolver6v33100L18getf2_small_kernelILi44E19rocblas_complex_numIdEiiPS3_EEvT1_T3_lS5_lPS5_llPT2_S5_S5_S7_l,comdat
	.globl	_ZN9rocsolver6v33100L18getf2_small_kernelILi44E19rocblas_complex_numIdEiiPS3_EEvT1_T3_lS5_lPS5_llPT2_S5_S5_S7_l ; -- Begin function _ZN9rocsolver6v33100L18getf2_small_kernelILi44E19rocblas_complex_numIdEiiPS3_EEvT1_T3_lS5_lPS5_llPT2_S5_S5_S7_l
	.p2align	8
	.type	_ZN9rocsolver6v33100L18getf2_small_kernelILi44E19rocblas_complex_numIdEiiPS3_EEvT1_T3_lS5_lPS5_llPT2_S5_S5_S7_l,@function
_ZN9rocsolver6v33100L18getf2_small_kernelILi44E19rocblas_complex_numIdEiiPS3_EEvT1_T3_lS5_lPS5_llPT2_S5_S5_S7_l: ; @_ZN9rocsolver6v33100L18getf2_small_kernelILi44E19rocblas_complex_numIdEiiPS3_EEvT1_T3_lS5_lPS5_llPT2_S5_S5_S7_l
; %bb.0:
	s_load_dword s2, s[0:1], 0x6c
	s_load_dwordx2 s[12:13], s[0:1], 0x48
	v_bfe_u32 v176, v0, 10, 10
	s_waitcnt lgkmcnt(0)
	s_lshr_b32 s2, s2, 16
	s_mul_i32 s3, s3, s2
	v_add_u32_e32 v182, s3, v176
	v_cmp_gt_i32_e32 vcc, s12, v182
	s_and_saveexec_b64 s[2:3], vcc
	s_cbranch_execz .LBB86_925
; %bb.1:
	s_load_dwordx4 s[4:7], s[0:1], 0x50
	v_ashrrev_i32_e32 v183, 31, v182
	v_mov_b64_e32 v[184:185], 0
	s_waitcnt lgkmcnt(0)
	s_cmp_eq_u64 s[4:5], 0
	s_cselect_b64 s[14:15], -1, 0
	s_and_b64 vcc, exec, s[14:15]
	s_cbranch_vccnz .LBB86_3
; %bb.2:
	v_mul_lo_u32 v1, s7, v182
	v_mul_lo_u32 v4, s6, v183
	v_mad_u64_u32 v[2:3], s[2:3], s6, v182, 0
	v_add3_u32 v3, v3, v4, v1
	v_lshl_add_u64 v[184:185], v[2:3], 2, s[4:5]
.LBB86_3:
	s_load_dwordx4 s[16:19], s[0:1], 0x8
	s_load_dwordx8 s[4:11], s[0:1], 0x20
	s_load_dword s2, s[0:1], 0x18
	s_load_dword s20, s[0:1], 0x0
	v_and_b32_e32 v191, 0x3ff, v0
	s_waitcnt lgkmcnt(0)
	v_mov_b32_e32 v2, s16
	v_mul_lo_u32 v1, s5, v182
	v_mul_lo_u32 v6, s4, v183
	v_mad_u64_u32 v[4:5], s[4:5], s4, v182, 0
	v_mov_b32_e32 v3, s17
	v_add3_u32 v5, v5, v6, v1
	v_lshl_add_u64 v[2:3], v[4:5], 4, v[2:3]
	s_add_i32 s12, s2, s2
	v_lshl_add_u64 v[180:181], s[18:19], 4, v[2:3]
	v_add_u32_e32 v2, s12, v191
	v_add_u32_e32 v4, s2, v2
	;; [unrolled: 1-line block ×3, first 2 shown]
	v_lshlrev_b32_e32 v186, 4, v191
	v_mov_b32_e32 v187, 0
	v_add_u32_e32 v8, s2, v6
	v_lshl_add_u64 v[0:1], v[180:181], 0, v[186:187]
	s_ashr_i32 s3, s2, 31
	v_ashrrev_i32_e32 v9, 31, v8
	v_add_u32_e32 v12, s2, v8
	v_lshl_add_u64 v[10:11], s[2:3], 4, v[0:1]
	global_load_dwordx4 v[116:119], v[0:1], off
	global_load_dwordx4 v[108:111], v[10:11], off
	v_lshl_add_u64 v[0:1], v[8:9], 4, v[180:181]
	v_ashrrev_i32_e32 v13, 31, v12
	v_add_u32_e32 v8, s2, v12
	v_lshl_add_u64 v[10:11], v[12:13], 4, v[180:181]
	v_add_u32_e32 v12, s2, v8
	v_add_u32_e32 v14, s2, v12
	;; [unrolled: 1-line block ×15, first 2 shown]
	v_ashrrev_i32_e32 v41, 31, v40
	v_lshl_add_u64 v[42:43], v[40:41], 4, v[180:181]
	v_add_u32_e32 v40, s2, v40
	v_ashrrev_i32_e32 v41, 31, v40
	v_lshl_add_u64 v[44:45], v[40:41], 4, v[180:181]
	v_add_u32_e32 v40, s2, v40
	;; [unrolled: 3-line block ×20, first 2 shown]
	v_ashrrev_i32_e32 v41, 31, v40
	v_ashrrev_i32_e32 v3, 31, v2
	;; [unrolled: 1-line block ×19, first 2 shown]
	v_lshl_add_u64 v[210:211], v[40:41], 4, v[180:181]
	v_add_u32_e32 v40, s2, v40
	v_lshl_add_u64 v[2:3], v[2:3], 4, v[180:181]
	v_lshl_add_u64 v[4:5], v[4:5], 4, v[180:181]
	;; [unrolled: 1-line block ×18, first 2 shown]
	v_ashrrev_i32_e32 v41, 31, v40
	v_lshl_add_u64 v[212:213], v[40:41], 4, v[180:181]
	global_load_dwordx4 v[168:171], v[2:3], off
	global_load_dwordx4 v[164:167], v[4:5], off
	global_load_dwordx4 v[160:163], v[6:7], off
	global_load_dwordx4 v[156:159], v[0:1], off
	global_load_dwordx4 v[152:155], v[10:11], off
	global_load_dwordx4 v[148:151], v[8:9], off
                                        ; kill: killed $vgpr2_vgpr3
                                        ; kill: killed $vgpr4_vgpr5
                                        ; kill: killed $vgpr6_vgpr7
                                        ; kill: killed $vgpr0_vgpr1
                                        ; kill: killed $vgpr10_vgpr11
                                        ; kill: killed $vgpr8_vgpr9
	global_load_dwordx4 v[144:147], v[12:13], off
	global_load_dwordx4 v[140:143], v[14:15], off
	;; [unrolled: 1-line block ×3, first 2 shown]
                                        ; kill: killed $vgpr12_vgpr13
                                        ; kill: killed $vgpr14_vgpr15
                                        ; kill: killed $vgpr16_vgpr17
	global_load_dwordx4 v[132:135], v[18:19], off
	global_load_dwordx4 v[128:131], v[20:21], off
                                        ; kill: killed $vgpr18_vgpr19
                                        ; kill: killed $vgpr20_vgpr21
	global_load_dwordx4 v[124:127], v[22:23], off
	global_load_dwordx4 v[120:123], v[24:25], off
	;; [unrolled: 1-line block ×16, first 2 shown]
	s_nop 0
	global_load_dwordx4 v[52:55], v[172:173], off
	global_load_dwordx4 v[48:51], v[174:175], off
	;; [unrolled: 1-line block ×15, first 2 shown]
	s_load_dwordx2 s[4:5], s[0:1], 0x40
	s_max_i32 s0, s20, 44
	v_mul_lo_u32 v189, s0, v176
	v_lshl_add_u32 v188, v189, 4, 0
	v_add_u32_e32 v176, v188, v186
	s_waitcnt vmcnt(43)
	ds_write2_b64 v176, v[116:117], v[118:119] offset1:1
	s_waitcnt lgkmcnt(0)
	s_barrier
	ds_read2_b64 v[176:179], v188 offset1:1
	s_cmp_lt_i32 s20, 2
	v_lshlrev_b32_e32 v192, 4, v189
	s_cbranch_scc1 .LBB86_6
; %bb.4:
	v_add3_u32 v186, v192, 0, 16
	s_mov_b32 s16, 1
	v_mov_b32_e32 v187, 0
.LBB86_5:                               ; =>This Inner Loop Header: Depth=1
	ds_read2_b64 v[194:197], v186 offset1:1
	s_waitcnt lgkmcnt(1)
	v_xor_b32_e32 v189, 0x80000000, v177
	v_xor_b32_e32 v190, 0x80000000, v179
	v_cmp_gt_f64_e32 vcc, 0, v[178:179]
	v_cmp_gt_f64_e64 s[0:1], 0, v[176:177]
	v_mov_b32_e32 v198, v176
	v_mov_b32_e32 v200, v178
	v_cndmask_b32_e64 v199, v177, v189, s[0:1]
	v_cndmask_b32_e32 v201, v179, v190, vcc
	s_waitcnt lgkmcnt(0)
	v_xor_b32_e32 v189, 0x80000000, v195
	v_xor_b32_e32 v190, 0x80000000, v197
	v_cmp_gt_f64_e32 vcc, 0, v[196:197]
	v_cmp_gt_f64_e64 s[0:1], 0, v[194:195]
	v_add_f64 v[198:199], v[198:199], v[200:201]
	v_mov_b32_e32 v200, v194
	v_mov_b32_e32 v202, v196
	v_cndmask_b32_e64 v201, v195, v189, s[0:1]
	v_cndmask_b32_e32 v203, v197, v190, vcc
	v_add_f64 v[200:201], v[200:201], v[202:203]
	v_mov_b32_e32 v193, s16
	s_add_i32 s16, s16, 1
	v_cmp_lt_f64_e32 vcc, v[198:199], v[200:201]
	v_add_u32_e32 v186, 16, v186
	s_cmp_eq_u32 s20, s16
	v_cndmask_b32_e32 v177, v177, v195, vcc
	v_cndmask_b32_e32 v176, v176, v194, vcc
	;; [unrolled: 1-line block ×5, first 2 shown]
	s_cbranch_scc0 .LBB86_5
.LBB86_6:
	s_waitcnt lgkmcnt(0)
	v_cmp_neq_f64_e32 vcc, 0, v[176:177]
	v_cmp_neq_f64_e64 s[0:1], 0, v[178:179]
	s_or_b64 s[16:17], vcc, s[0:1]
	v_mov_b32_e32 v190, 1
	v_mov_b32_e32 v193, 1
	s_and_saveexec_b64 s[0:1], s[16:17]
	s_cbranch_execz .LBB86_12
; %bb.7:
	v_cmp_ngt_f64_e64 s[16:17], |v[176:177]|, |v[178:179]|
	s_and_saveexec_b64 s[18:19], s[16:17]
	s_xor_b64 s[16:17], exec, s[18:19]
	s_cbranch_execz .LBB86_9
; %bb.8:
	v_div_scale_f64 v[194:195], s[18:19], v[178:179], v[178:179], v[176:177]
	v_rcp_f64_e32 v[196:197], v[194:195]
	v_div_scale_f64 v[198:199], vcc, v[176:177], v[178:179], v[176:177]
	v_fma_f64 v[200:201], -v[194:195], v[196:197], 1.0
	v_fmac_f64_e32 v[196:197], v[196:197], v[200:201]
	v_fma_f64 v[200:201], -v[194:195], v[196:197], 1.0
	v_fmac_f64_e32 v[196:197], v[196:197], v[200:201]
	v_mul_f64 v[200:201], v[198:199], v[196:197]
	v_fma_f64 v[194:195], -v[194:195], v[200:201], v[198:199]
	v_div_fmas_f64 v[194:195], v[194:195], v[196:197], v[200:201]
	v_div_fixup_f64 v[194:195], v[194:195], v[178:179], v[176:177]
	v_fmac_f64_e32 v[178:179], v[176:177], v[194:195]
	v_div_scale_f64 v[176:177], s[18:19], v[178:179], v[178:179], 1.0
	v_rcp_f64_e32 v[196:197], v[176:177]
	s_nop 0
	v_fma_f64 v[198:199], -v[176:177], v[196:197], 1.0
	v_fmac_f64_e32 v[196:197], v[196:197], v[198:199]
	v_fma_f64 v[198:199], -v[176:177], v[196:197], 1.0
	v_fmac_f64_e32 v[196:197], v[196:197], v[198:199]
	v_div_scale_f64 v[198:199], vcc, 1.0, v[178:179], 1.0
	v_mul_f64 v[200:201], v[198:199], v[196:197]
	v_fma_f64 v[176:177], -v[176:177], v[200:201], v[198:199]
	s_nop 1
	v_div_fmas_f64 v[176:177], v[176:177], v[196:197], v[200:201]
	v_div_fixup_f64 v[178:179], v[176:177], v[178:179], 1.0
	v_mul_f64 v[176:177], v[194:195], v[178:179]
	v_xor_b32_e32 v179, 0x80000000, v179
.LBB86_9:
	s_andn2_saveexec_b64 s[16:17], s[16:17]
	s_cbranch_execz .LBB86_11
; %bb.10:
	v_div_scale_f64 v[194:195], s[18:19], v[176:177], v[176:177], v[178:179]
	v_rcp_f64_e32 v[196:197], v[194:195]
	v_div_scale_f64 v[198:199], vcc, v[178:179], v[176:177], v[178:179]
	v_fma_f64 v[200:201], -v[194:195], v[196:197], 1.0
	v_fmac_f64_e32 v[196:197], v[196:197], v[200:201]
	v_fma_f64 v[200:201], -v[194:195], v[196:197], 1.0
	v_fmac_f64_e32 v[196:197], v[196:197], v[200:201]
	v_mul_f64 v[200:201], v[198:199], v[196:197]
	v_fma_f64 v[194:195], -v[194:195], v[200:201], v[198:199]
	v_div_fmas_f64 v[194:195], v[194:195], v[196:197], v[200:201]
	v_div_fixup_f64 v[194:195], v[194:195], v[176:177], v[178:179]
	v_fmac_f64_e32 v[176:177], v[178:179], v[194:195]
	v_div_scale_f64 v[178:179], s[18:19], v[176:177], v[176:177], 1.0
	v_rcp_f64_e32 v[196:197], v[178:179]
	s_nop 0
	v_fma_f64 v[198:199], -v[178:179], v[196:197], 1.0
	v_fmac_f64_e32 v[196:197], v[196:197], v[198:199]
	v_fma_f64 v[198:199], -v[178:179], v[196:197], 1.0
	v_fmac_f64_e32 v[196:197], v[196:197], v[198:199]
	v_div_scale_f64 v[198:199], vcc, 1.0, v[176:177], 1.0
	v_mul_f64 v[200:201], v[198:199], v[196:197]
	v_fma_f64 v[178:179], -v[178:179], v[200:201], v[198:199]
	s_nop 1
	v_div_fmas_f64 v[178:179], v[178:179], v[196:197], v[200:201]
	v_div_fixup_f64 v[176:177], v[178:179], v[176:177], 1.0
	v_mul_f64 v[178:179], v[194:195], -v[176:177]
.LBB86_11:
	s_or_b64 exec, exec, s[16:17]
	v_mov_b32_e32 v193, 0
	v_mov_b32_e32 v190, 2
.LBB86_12:
	s_or_b64 exec, exec, s[0:1]
	v_cmp_ne_u32_e32 vcc, v191, v187
	s_and_saveexec_b64 s[0:1], vcc
	s_xor_b64 s[0:1], exec, s[0:1]
	s_cbranch_execz .LBB86_18
; %bb.13:
	v_cmp_eq_u32_e32 vcc, 0, v191
	s_and_saveexec_b64 s[16:17], vcc
	s_cbranch_execz .LBB86_17
; %bb.14:
	v_cmp_ne_u32_e32 vcc, 0, v187
	s_xor_b64 s[18:19], s[14:15], -1
	s_and_b64 s[22:23], s[18:19], vcc
	s_and_saveexec_b64 s[18:19], s[22:23]
	s_cbranch_execz .LBB86_16
; %bb.15:
	v_ashrrev_i32_e32 v195, 31, v187
	v_mov_b32_e32 v194, v187
	v_lshl_add_u64 v[194:195], v[194:195], 2, v[184:185]
	global_load_dword v186, v[194:195], off
	global_load_dword v189, v[184:185], off
	s_waitcnt vmcnt(1)
	global_store_dword v[184:185], v186, off
	s_waitcnt vmcnt(1)
	global_store_dword v[194:195], v189, off
.LBB86_16:
	s_or_b64 exec, exec, s[18:19]
	v_mov_b32_e32 v191, v187
.LBB86_17:
	s_or_b64 exec, exec, s[16:17]
.LBB86_18:
	s_or_saveexec_b64 s[0:1], s[0:1]
	v_mov_b32_e32 v189, v191
	s_xor_b64 exec, exec, s[0:1]
	s_cbranch_execz .LBB86_20
; %bb.19:
	v_mov_b32_e32 v189, 0
	s_waitcnt vmcnt(42)
	ds_write2_b64 v188, v[108:109], v[110:111] offset0:2 offset1:3
	s_waitcnt vmcnt(41)
	ds_write2_b64 v188, v[168:169], v[170:171] offset0:4 offset1:5
	;; [unrolled: 2-line block ×43, first 2 shown]
.LBB86_20:
	s_or_b64 exec, exec, s[0:1]
	v_cmp_lt_i32_e32 vcc, 0, v189
	s_waitcnt lgkmcnt(0)
	s_barrier
	s_and_saveexec_b64 s[0:1], vcc
	s_cbranch_execz .LBB86_22
; %bb.21:
	ds_read2_b64 v[194:197], v188 offset0:2 offset1:3
	v_mul_f64 v[186:187], v[178:179], v[118:119]
	v_mul_f64 v[118:119], v[176:177], v[118:119]
	v_fmac_f64_e32 v[118:119], v[178:179], v[116:117]
	v_fma_f64 v[186:187], v[176:177], v[116:117], -v[186:187]
	ds_read2_b64 v[176:179], v188 offset0:4 offset1:5
	s_waitcnt lgkmcnt(1)
	v_mul_f64 v[116:117], v[196:197], v[118:119]
	v_fma_f64 v[116:117], v[194:195], v[186:187], -v[116:117]
	v_mul_f64 v[194:195], v[194:195], v[118:119]
	v_fmac_f64_e32 v[194:195], v[196:197], v[186:187]
	s_waitcnt vmcnt(42)
	v_add_f64 v[110:111], v[110:111], -v[194:195]
	ds_read2_b64 v[194:197], v188 offset0:6 offset1:7
	v_add_f64 v[108:109], v[108:109], -v[116:117]
	s_waitcnt lgkmcnt(1)
	v_mul_f64 v[116:117], v[178:179], v[118:119]
	v_fma_f64 v[116:117], v[176:177], v[186:187], -v[116:117]
	v_mul_f64 v[176:177], v[176:177], v[118:119]
	v_fmac_f64_e32 v[176:177], v[178:179], v[186:187]
	s_waitcnt vmcnt(41)
	v_add_f64 v[168:169], v[168:169], -v[116:117]
	v_add_f64 v[170:171], v[170:171], -v[176:177]
	ds_read2_b64 v[176:179], v188 offset0:8 offset1:9
	s_waitcnt lgkmcnt(1)
	v_mul_f64 v[116:117], v[196:197], v[118:119]
	v_fma_f64 v[116:117], v[194:195], v[186:187], -v[116:117]
	v_mul_f64 v[194:195], v[194:195], v[118:119]
	v_fmac_f64_e32 v[194:195], v[196:197], v[186:187]
	s_waitcnt vmcnt(40)
	v_add_f64 v[166:167], v[166:167], -v[194:195]
	ds_read2_b64 v[194:197], v188 offset0:10 offset1:11
	v_add_f64 v[164:165], v[164:165], -v[116:117]
	s_waitcnt lgkmcnt(1)
	v_mul_f64 v[116:117], v[178:179], v[118:119]
	v_fma_f64 v[116:117], v[176:177], v[186:187], -v[116:117]
	v_mul_f64 v[176:177], v[176:177], v[118:119]
	v_fmac_f64_e32 v[176:177], v[178:179], v[186:187]
	s_waitcnt vmcnt(39)
	v_add_f64 v[160:161], v[160:161], -v[116:117]
	v_add_f64 v[162:163], v[162:163], -v[176:177]
	;; [unrolled: 18-line block ×21, first 2 shown]
	s_waitcnt lgkmcnt(0)
	v_mul_f64 v[116:117], v[196:197], v[118:119]
	v_mul_f64 v[176:177], v[194:195], v[118:119]
	v_fma_f64 v[116:117], v[194:195], v[186:187], -v[116:117]
	v_fmac_f64_e32 v[176:177], v[196:197], v[186:187]
	s_waitcnt vmcnt(0)
	v_add_f64 v[172:173], v[172:173], -v[116:117]
	v_add_f64 v[174:175], v[174:175], -v[176:177]
	v_mov_b64_e32 v[116:117], v[186:187]
.LBB86_22:
	s_or_b64 exec, exec, s[0:1]
	v_lshl_add_u32 v176, v189, 4, v188
	s_barrier
	s_waitcnt vmcnt(42)
	ds_write2_b64 v176, v[108:109], v[110:111] offset1:1
	s_waitcnt lgkmcnt(0)
	s_barrier
	ds_read2_b64 v[176:179], v188 offset0:2 offset1:3
	s_cmp_lt_i32 s20, 3
	v_mov_b32_e32 v186, 1
	s_cbranch_scc1 .LBB86_25
; %bb.23:
	v_add3_u32 v187, v192, 0, 32
	s_mov_b32 s16, 2
	v_mov_b32_e32 v186, 1
.LBB86_24:                              ; =>This Inner Loop Header: Depth=1
	ds_read2_b64 v[194:197], v187 offset1:1
	s_waitcnt lgkmcnt(1)
	v_xor_b32_e32 v199, 0x80000000, v177
	v_xor_b32_e32 v201, 0x80000000, v179
	v_cmp_gt_f64_e32 vcc, 0, v[178:179]
	v_cmp_gt_f64_e64 s[0:1], 0, v[176:177]
	v_mov_b32_e32 v198, v176
	v_mov_b32_e32 v200, v178
	v_cndmask_b32_e64 v199, v177, v199, s[0:1]
	v_cndmask_b32_e32 v201, v179, v201, vcc
	v_add_f64 v[198:199], v[198:199], v[200:201]
	s_waitcnt lgkmcnt(0)
	v_xor_b32_e32 v201, 0x80000000, v195
	v_xor_b32_e32 v203, 0x80000000, v197
	v_cmp_gt_f64_e32 vcc, 0, v[196:197]
	v_cmp_gt_f64_e64 s[0:1], 0, v[194:195]
	v_mov_b32_e32 v200, v194
	v_mov_b32_e32 v202, v196
	v_cndmask_b32_e64 v201, v195, v201, s[0:1]
	v_cndmask_b32_e32 v203, v197, v203, vcc
	v_add_f64 v[200:201], v[200:201], v[202:203]
	v_mov_b32_e32 v204, s16
	s_add_i32 s16, s16, 1
	v_cmp_lt_f64_e32 vcc, v[198:199], v[200:201]
	v_add_u32_e32 v187, 16, v187
	s_cmp_lg_u32 s20, s16
	v_cndmask_b32_e32 v177, v177, v195, vcc
	v_cndmask_b32_e32 v176, v176, v194, vcc
	;; [unrolled: 1-line block ×5, first 2 shown]
	s_cbranch_scc1 .LBB86_24
.LBB86_25:
	s_waitcnt lgkmcnt(0)
	v_cmp_neq_f64_e32 vcc, 0, v[176:177]
	v_cmp_neq_f64_e64 s[0:1], 0, v[178:179]
	s_or_b64 s[16:17], vcc, s[0:1]
	s_and_saveexec_b64 s[0:1], s[16:17]
	s_cbranch_execz .LBB86_31
; %bb.26:
	v_cmp_ngt_f64_e64 s[16:17], |v[176:177]|, |v[178:179]|
	s_and_saveexec_b64 s[18:19], s[16:17]
	s_xor_b64 s[16:17], exec, s[18:19]
	s_cbranch_execz .LBB86_28
; %bb.27:
	v_div_scale_f64 v[194:195], s[18:19], v[178:179], v[178:179], v[176:177]
	v_rcp_f64_e32 v[196:197], v[194:195]
	v_div_scale_f64 v[198:199], vcc, v[176:177], v[178:179], v[176:177]
	v_fma_f64 v[200:201], -v[194:195], v[196:197], 1.0
	v_fmac_f64_e32 v[196:197], v[196:197], v[200:201]
	v_fma_f64 v[200:201], -v[194:195], v[196:197], 1.0
	v_fmac_f64_e32 v[196:197], v[196:197], v[200:201]
	v_mul_f64 v[200:201], v[198:199], v[196:197]
	v_fma_f64 v[194:195], -v[194:195], v[200:201], v[198:199]
	v_div_fmas_f64 v[194:195], v[194:195], v[196:197], v[200:201]
	v_div_fixup_f64 v[194:195], v[194:195], v[178:179], v[176:177]
	v_fmac_f64_e32 v[178:179], v[176:177], v[194:195]
	v_div_scale_f64 v[176:177], s[18:19], v[178:179], v[178:179], 1.0
	v_rcp_f64_e32 v[196:197], v[176:177]
	s_nop 0
	v_fma_f64 v[198:199], -v[176:177], v[196:197], 1.0
	v_fmac_f64_e32 v[196:197], v[196:197], v[198:199]
	v_fma_f64 v[198:199], -v[176:177], v[196:197], 1.0
	v_fmac_f64_e32 v[196:197], v[196:197], v[198:199]
	v_div_scale_f64 v[198:199], vcc, 1.0, v[178:179], 1.0
	v_mul_f64 v[200:201], v[198:199], v[196:197]
	v_fma_f64 v[176:177], -v[176:177], v[200:201], v[198:199]
	s_nop 1
	v_div_fmas_f64 v[176:177], v[176:177], v[196:197], v[200:201]
	v_div_fixup_f64 v[178:179], v[176:177], v[178:179], 1.0
	v_mul_f64 v[176:177], v[194:195], v[178:179]
	v_xor_b32_e32 v179, 0x80000000, v179
.LBB86_28:
	s_andn2_saveexec_b64 s[16:17], s[16:17]
	s_cbranch_execz .LBB86_30
; %bb.29:
	v_div_scale_f64 v[194:195], s[18:19], v[176:177], v[176:177], v[178:179]
	v_rcp_f64_e32 v[196:197], v[194:195]
	v_div_scale_f64 v[198:199], vcc, v[178:179], v[176:177], v[178:179]
	v_fma_f64 v[200:201], -v[194:195], v[196:197], 1.0
	v_fmac_f64_e32 v[196:197], v[196:197], v[200:201]
	v_fma_f64 v[200:201], -v[194:195], v[196:197], 1.0
	v_fmac_f64_e32 v[196:197], v[196:197], v[200:201]
	v_mul_f64 v[200:201], v[198:199], v[196:197]
	v_fma_f64 v[194:195], -v[194:195], v[200:201], v[198:199]
	v_div_fmas_f64 v[194:195], v[194:195], v[196:197], v[200:201]
	v_div_fixup_f64 v[194:195], v[194:195], v[176:177], v[178:179]
	v_fmac_f64_e32 v[176:177], v[178:179], v[194:195]
	v_div_scale_f64 v[178:179], s[18:19], v[176:177], v[176:177], 1.0
	v_rcp_f64_e32 v[196:197], v[178:179]
	s_nop 0
	v_fma_f64 v[198:199], -v[178:179], v[196:197], 1.0
	v_fmac_f64_e32 v[196:197], v[196:197], v[198:199]
	v_fma_f64 v[198:199], -v[178:179], v[196:197], 1.0
	v_fmac_f64_e32 v[196:197], v[196:197], v[198:199]
	v_div_scale_f64 v[198:199], vcc, 1.0, v[176:177], 1.0
	v_mul_f64 v[200:201], v[198:199], v[196:197]
	v_fma_f64 v[178:179], -v[178:179], v[200:201], v[198:199]
	s_nop 1
	v_div_fmas_f64 v[178:179], v[178:179], v[196:197], v[200:201]
	v_div_fixup_f64 v[176:177], v[178:179], v[176:177], 1.0
	v_mul_f64 v[178:179], v[194:195], -v[176:177]
.LBB86_30:
	s_or_b64 exec, exec, s[16:17]
	v_mov_b32_e32 v190, v193
.LBB86_31:
	s_or_b64 exec, exec, s[0:1]
	v_cmp_ne_u32_e32 vcc, v189, v186
	s_and_saveexec_b64 s[0:1], vcc
	s_xor_b64 s[0:1], exec, s[0:1]
	s_cbranch_execz .LBB86_37
; %bb.32:
	v_cmp_eq_u32_e32 vcc, 1, v189
	s_and_saveexec_b64 s[16:17], vcc
	s_cbranch_execz .LBB86_36
; %bb.33:
	v_cmp_ne_u32_e32 vcc, 1, v186
	s_xor_b64 s[18:19], s[14:15], -1
	s_and_b64 s[22:23], s[18:19], vcc
	s_and_saveexec_b64 s[18:19], s[22:23]
	s_cbranch_execz .LBB86_35
; %bb.34:
	v_ashrrev_i32_e32 v187, 31, v186
	v_lshl_add_u64 v[194:195], v[186:187], 2, v[184:185]
	global_load_dword v187, v[194:195], off
	global_load_dword v189, v[184:185], off offset:4
	s_waitcnt vmcnt(1)
	global_store_dword v[184:185], v187, off offset:4
	s_waitcnt vmcnt(1)
	global_store_dword v[194:195], v189, off
.LBB86_35:
	s_or_b64 exec, exec, s[18:19]
	v_mov_b32_e32 v189, v186
	v_mov_b32_e32 v191, v186
.LBB86_36:
	s_or_b64 exec, exec, s[16:17]
.LBB86_37:
	s_andn2_saveexec_b64 s[0:1], s[0:1]
	s_cbranch_execz .LBB86_39
; %bb.38:
	v_mov_b32_e32 v189, 1
	s_waitcnt vmcnt(41)
	ds_write2_b64 v188, v[168:169], v[170:171] offset0:4 offset1:5
	s_waitcnt vmcnt(40)
	ds_write2_b64 v188, v[164:165], v[166:167] offset0:6 offset1:7
	;; [unrolled: 2-line block ×42, first 2 shown]
.LBB86_39:
	s_or_b64 exec, exec, s[0:1]
	v_cmp_lt_i32_e32 vcc, 1, v189
	s_waitcnt lgkmcnt(0)
	s_barrier
	s_and_saveexec_b64 s[0:1], vcc
	s_cbranch_execz .LBB86_41
; %bb.40:
	ds_read2_b64 v[194:197], v188 offset0:4 offset1:5
	v_mul_f64 v[186:187], v[178:179], v[110:111]
	v_mul_f64 v[110:111], v[176:177], v[110:111]
	v_fma_f64 v[186:187], v[176:177], v[108:109], -v[186:187]
	v_fmac_f64_e32 v[110:111], v[178:179], v[108:109]
	ds_read2_b64 v[176:179], v188 offset0:6 offset1:7
	s_waitcnt lgkmcnt(1)
	v_mul_f64 v[108:109], v[196:197], v[110:111]
	v_fma_f64 v[108:109], v[194:195], v[186:187], -v[108:109]
	v_mul_f64 v[194:195], v[194:195], v[110:111]
	v_fmac_f64_e32 v[194:195], v[196:197], v[186:187]
	s_waitcnt vmcnt(41)
	v_add_f64 v[168:169], v[168:169], -v[108:109]
	s_waitcnt lgkmcnt(0)
	v_mul_f64 v[108:109], v[178:179], v[110:111]
	v_add_f64 v[170:171], v[170:171], -v[194:195]
	v_fma_f64 v[108:109], v[176:177], v[186:187], -v[108:109]
	v_mul_f64 v[176:177], v[176:177], v[110:111]
	ds_read2_b64 v[194:197], v188 offset0:8 offset1:9
	v_fmac_f64_e32 v[176:177], v[178:179], v[186:187]
	s_waitcnt vmcnt(40)
	v_add_f64 v[166:167], v[166:167], -v[176:177]
	ds_read2_b64 v[176:179], v188 offset0:10 offset1:11
	v_add_f64 v[164:165], v[164:165], -v[108:109]
	s_waitcnt lgkmcnt(1)
	v_mul_f64 v[108:109], v[196:197], v[110:111]
	v_fma_f64 v[108:109], v[194:195], v[186:187], -v[108:109]
	v_mul_f64 v[194:195], v[194:195], v[110:111]
	v_fmac_f64_e32 v[194:195], v[196:197], v[186:187]
	s_waitcnt vmcnt(39)
	v_add_f64 v[160:161], v[160:161], -v[108:109]
	s_waitcnt lgkmcnt(0)
	v_mul_f64 v[108:109], v[178:179], v[110:111]
	v_add_f64 v[162:163], v[162:163], -v[194:195]
	v_fma_f64 v[108:109], v[176:177], v[186:187], -v[108:109]
	v_mul_f64 v[176:177], v[176:177], v[110:111]
	ds_read2_b64 v[194:197], v188 offset0:12 offset1:13
	v_fmac_f64_e32 v[176:177], v[178:179], v[186:187]
	s_waitcnt vmcnt(38)
	v_add_f64 v[158:159], v[158:159], -v[176:177]
	ds_read2_b64 v[176:179], v188 offset0:14 offset1:15
	v_add_f64 v[156:157], v[156:157], -v[108:109]
	;; [unrolled: 18-line block ×20, first 2 shown]
	s_waitcnt lgkmcnt(1)
	v_mul_f64 v[108:109], v[196:197], v[110:111]
	v_fma_f64 v[108:109], v[194:195], v[186:187], -v[108:109]
	s_waitcnt vmcnt(1)
	v_add_f64 v[0:1], v[0:1], -v[108:109]
	s_waitcnt lgkmcnt(0)
	v_mul_f64 v[108:109], v[178:179], v[110:111]
	v_mul_f64 v[194:195], v[194:195], v[110:111]
	v_fma_f64 v[108:109], v[176:177], v[186:187], -v[108:109]
	v_mul_f64 v[176:177], v[176:177], v[110:111]
	v_fmac_f64_e32 v[194:195], v[196:197], v[186:187]
	v_fmac_f64_e32 v[176:177], v[178:179], v[186:187]
	v_add_f64 v[2:3], v[2:3], -v[194:195]
	s_waitcnt vmcnt(0)
	v_add_f64 v[172:173], v[172:173], -v[108:109]
	v_add_f64 v[174:175], v[174:175], -v[176:177]
	v_mov_b64_e32 v[108:109], v[186:187]
.LBB86_41:
	s_or_b64 exec, exec, s[0:1]
	v_lshl_add_u32 v176, v189, 4, v188
	s_barrier
	s_waitcnt vmcnt(41)
	ds_write2_b64 v176, v[168:169], v[170:171] offset1:1
	s_waitcnt lgkmcnt(0)
	s_barrier
	ds_read2_b64 v[176:179], v188 offset0:4 offset1:5
	s_cmp_lt_i32 s20, 4
	v_mov_b32_e32 v186, 2
	s_cbranch_scc1 .LBB86_44
; %bb.42:
	v_add3_u32 v187, v192, 0, 48
	s_mov_b32 s16, 3
	v_mov_b32_e32 v186, 2
.LBB86_43:                              ; =>This Inner Loop Header: Depth=1
	ds_read2_b64 v[194:197], v187 offset1:1
	s_waitcnt lgkmcnt(1)
	v_xor_b32_e32 v193, 0x80000000, v177
	v_xor_b32_e32 v201, 0x80000000, v179
	v_cmp_gt_f64_e32 vcc, 0, v[178:179]
	v_cmp_gt_f64_e64 s[0:1], 0, v[176:177]
	v_mov_b32_e32 v198, v176
	v_mov_b32_e32 v200, v178
	v_cndmask_b32_e64 v199, v177, v193, s[0:1]
	v_cndmask_b32_e32 v201, v179, v201, vcc
	s_waitcnt lgkmcnt(0)
	v_xor_b32_e32 v193, 0x80000000, v195
	v_xor_b32_e32 v203, 0x80000000, v197
	v_cmp_gt_f64_e32 vcc, 0, v[196:197]
	v_cmp_gt_f64_e64 s[0:1], 0, v[194:195]
	v_add_f64 v[198:199], v[198:199], v[200:201]
	v_mov_b32_e32 v200, v194
	v_mov_b32_e32 v202, v196
	v_cndmask_b32_e64 v201, v195, v193, s[0:1]
	v_cndmask_b32_e32 v203, v197, v203, vcc
	v_add_f64 v[200:201], v[200:201], v[202:203]
	v_mov_b32_e32 v204, s16
	s_add_i32 s16, s16, 1
	v_cmp_lt_f64_e32 vcc, v[198:199], v[200:201]
	v_add_u32_e32 v187, 16, v187
	s_cmp_lg_u32 s20, s16
	v_cndmask_b32_e32 v177, v177, v195, vcc
	v_cndmask_b32_e32 v176, v176, v194, vcc
	;; [unrolled: 1-line block ×5, first 2 shown]
	s_cbranch_scc1 .LBB86_43
.LBB86_44:
	s_waitcnt lgkmcnt(0)
	v_cmp_eq_f64_e32 vcc, 0, v[176:177]
	v_cmp_eq_f64_e64 s[0:1], 0, v[178:179]
	s_and_b64 s[0:1], vcc, s[0:1]
	s_and_saveexec_b64 s[16:17], s[0:1]
	s_xor_b64 s[0:1], exec, s[16:17]
; %bb.45:
	v_cmp_ne_u32_e32 vcc, 0, v190
	s_nop 1
	v_cndmask_b32_e32 v190, 3, v190, vcc
; %bb.46:
	s_andn2_saveexec_b64 s[0:1], s[0:1]
	s_cbranch_execz .LBB86_52
; %bb.47:
	v_cmp_ngt_f64_e64 s[16:17], |v[176:177]|, |v[178:179]|
	s_and_saveexec_b64 s[18:19], s[16:17]
	s_xor_b64 s[16:17], exec, s[18:19]
	s_cbranch_execz .LBB86_49
; %bb.48:
	v_div_scale_f64 v[194:195], s[18:19], v[178:179], v[178:179], v[176:177]
	v_rcp_f64_e32 v[196:197], v[194:195]
	v_div_scale_f64 v[198:199], vcc, v[176:177], v[178:179], v[176:177]
	v_fma_f64 v[200:201], -v[194:195], v[196:197], 1.0
	v_fmac_f64_e32 v[196:197], v[196:197], v[200:201]
	v_fma_f64 v[200:201], -v[194:195], v[196:197], 1.0
	v_fmac_f64_e32 v[196:197], v[196:197], v[200:201]
	v_mul_f64 v[200:201], v[198:199], v[196:197]
	v_fma_f64 v[194:195], -v[194:195], v[200:201], v[198:199]
	v_div_fmas_f64 v[194:195], v[194:195], v[196:197], v[200:201]
	v_div_fixup_f64 v[194:195], v[194:195], v[178:179], v[176:177]
	v_fmac_f64_e32 v[178:179], v[176:177], v[194:195]
	v_div_scale_f64 v[176:177], s[18:19], v[178:179], v[178:179], 1.0
	v_rcp_f64_e32 v[196:197], v[176:177]
	s_nop 0
	v_fma_f64 v[198:199], -v[176:177], v[196:197], 1.0
	v_fmac_f64_e32 v[196:197], v[196:197], v[198:199]
	v_fma_f64 v[198:199], -v[176:177], v[196:197], 1.0
	v_fmac_f64_e32 v[196:197], v[196:197], v[198:199]
	v_div_scale_f64 v[198:199], vcc, 1.0, v[178:179], 1.0
	v_mul_f64 v[200:201], v[198:199], v[196:197]
	v_fma_f64 v[176:177], -v[176:177], v[200:201], v[198:199]
	s_nop 1
	v_div_fmas_f64 v[176:177], v[176:177], v[196:197], v[200:201]
	v_div_fixup_f64 v[178:179], v[176:177], v[178:179], 1.0
	v_mul_f64 v[176:177], v[194:195], v[178:179]
	v_xor_b32_e32 v179, 0x80000000, v179
.LBB86_49:
	s_andn2_saveexec_b64 s[16:17], s[16:17]
	s_cbranch_execz .LBB86_51
; %bb.50:
	v_div_scale_f64 v[194:195], s[18:19], v[176:177], v[176:177], v[178:179]
	v_rcp_f64_e32 v[196:197], v[194:195]
	v_div_scale_f64 v[198:199], vcc, v[178:179], v[176:177], v[178:179]
	v_fma_f64 v[200:201], -v[194:195], v[196:197], 1.0
	v_fmac_f64_e32 v[196:197], v[196:197], v[200:201]
	v_fma_f64 v[200:201], -v[194:195], v[196:197], 1.0
	v_fmac_f64_e32 v[196:197], v[196:197], v[200:201]
	v_mul_f64 v[200:201], v[198:199], v[196:197]
	v_fma_f64 v[194:195], -v[194:195], v[200:201], v[198:199]
	v_div_fmas_f64 v[194:195], v[194:195], v[196:197], v[200:201]
	v_div_fixup_f64 v[194:195], v[194:195], v[176:177], v[178:179]
	v_fmac_f64_e32 v[176:177], v[178:179], v[194:195]
	v_div_scale_f64 v[178:179], s[18:19], v[176:177], v[176:177], 1.0
	v_rcp_f64_e32 v[196:197], v[178:179]
	s_nop 0
	v_fma_f64 v[198:199], -v[178:179], v[196:197], 1.0
	v_fmac_f64_e32 v[196:197], v[196:197], v[198:199]
	v_fma_f64 v[198:199], -v[178:179], v[196:197], 1.0
	v_fmac_f64_e32 v[196:197], v[196:197], v[198:199]
	v_div_scale_f64 v[198:199], vcc, 1.0, v[176:177], 1.0
	v_mul_f64 v[200:201], v[198:199], v[196:197]
	v_fma_f64 v[178:179], -v[178:179], v[200:201], v[198:199]
	s_nop 1
	v_div_fmas_f64 v[178:179], v[178:179], v[196:197], v[200:201]
	v_div_fixup_f64 v[176:177], v[178:179], v[176:177], 1.0
	v_mul_f64 v[178:179], v[194:195], -v[176:177]
.LBB86_51:
	s_or_b64 exec, exec, s[16:17]
.LBB86_52:
	s_or_b64 exec, exec, s[0:1]
	v_cmp_ne_u32_e32 vcc, v189, v186
	s_and_saveexec_b64 s[0:1], vcc
	s_xor_b64 s[0:1], exec, s[0:1]
	s_cbranch_execz .LBB86_58
; %bb.53:
	v_cmp_eq_u32_e32 vcc, 2, v189
	s_and_saveexec_b64 s[16:17], vcc
	s_cbranch_execz .LBB86_57
; %bb.54:
	v_cmp_ne_u32_e32 vcc, 2, v186
	s_xor_b64 s[18:19], s[14:15], -1
	s_and_b64 s[22:23], s[18:19], vcc
	s_and_saveexec_b64 s[18:19], s[22:23]
	s_cbranch_execz .LBB86_56
; %bb.55:
	v_ashrrev_i32_e32 v187, 31, v186
	v_lshl_add_u64 v[194:195], v[186:187], 2, v[184:185]
	global_load_dword v187, v[194:195], off
	global_load_dword v189, v[184:185], off offset:8
	s_waitcnt vmcnt(1)
	global_store_dword v[184:185], v187, off offset:8
	s_waitcnt vmcnt(1)
	global_store_dword v[194:195], v189, off
.LBB86_56:
	s_or_b64 exec, exec, s[18:19]
	v_mov_b32_e32 v189, v186
	v_mov_b32_e32 v191, v186
.LBB86_57:
	s_or_b64 exec, exec, s[16:17]
.LBB86_58:
	s_andn2_saveexec_b64 s[0:1], s[0:1]
	s_cbranch_execz .LBB86_60
; %bb.59:
	v_mov_b32_e32 v189, 2
	s_waitcnt vmcnt(40)
	ds_write2_b64 v188, v[164:165], v[166:167] offset0:6 offset1:7
	s_waitcnt vmcnt(39)
	ds_write2_b64 v188, v[160:161], v[162:163] offset0:8 offset1:9
	;; [unrolled: 2-line block ×41, first 2 shown]
.LBB86_60:
	s_or_b64 exec, exec, s[0:1]
	v_cmp_lt_i32_e32 vcc, 2, v189
	s_waitcnt lgkmcnt(0)
	s_barrier
	s_and_saveexec_b64 s[0:1], vcc
	s_cbranch_execz .LBB86_62
; %bb.61:
	ds_read2_b64 v[194:197], v188 offset0:6 offset1:7
	v_mul_f64 v[186:187], v[178:179], v[170:171]
	v_mul_f64 v[170:171], v[176:177], v[170:171]
	v_fmac_f64_e32 v[170:171], v[178:179], v[168:169]
	v_fma_f64 v[186:187], v[176:177], v[168:169], -v[186:187]
	ds_read2_b64 v[176:179], v188 offset0:8 offset1:9
	s_waitcnt lgkmcnt(1)
	v_mul_f64 v[168:169], v[196:197], v[170:171]
	v_fma_f64 v[168:169], v[194:195], v[186:187], -v[168:169]
	v_mul_f64 v[194:195], v[194:195], v[170:171]
	v_fmac_f64_e32 v[194:195], v[196:197], v[186:187]
	s_waitcnt vmcnt(40)
	v_add_f64 v[166:167], v[166:167], -v[194:195]
	ds_read2_b64 v[194:197], v188 offset0:10 offset1:11
	v_add_f64 v[164:165], v[164:165], -v[168:169]
	s_waitcnt lgkmcnt(1)
	v_mul_f64 v[168:169], v[178:179], v[170:171]
	v_fma_f64 v[168:169], v[176:177], v[186:187], -v[168:169]
	v_mul_f64 v[176:177], v[176:177], v[170:171]
	v_fmac_f64_e32 v[176:177], v[178:179], v[186:187]
	s_waitcnt vmcnt(39)
	v_add_f64 v[160:161], v[160:161], -v[168:169]
	v_add_f64 v[162:163], v[162:163], -v[176:177]
	ds_read2_b64 v[176:179], v188 offset0:12 offset1:13
	s_waitcnt lgkmcnt(1)
	v_mul_f64 v[168:169], v[196:197], v[170:171]
	v_fma_f64 v[168:169], v[194:195], v[186:187], -v[168:169]
	v_mul_f64 v[194:195], v[194:195], v[170:171]
	v_fmac_f64_e32 v[194:195], v[196:197], v[186:187]
	s_waitcnt vmcnt(38)
	v_add_f64 v[158:159], v[158:159], -v[194:195]
	ds_read2_b64 v[194:197], v188 offset0:14 offset1:15
	v_add_f64 v[156:157], v[156:157], -v[168:169]
	s_waitcnt lgkmcnt(1)
	v_mul_f64 v[168:169], v[178:179], v[170:171]
	v_fma_f64 v[168:169], v[176:177], v[186:187], -v[168:169]
	v_mul_f64 v[176:177], v[176:177], v[170:171]
	v_fmac_f64_e32 v[176:177], v[178:179], v[186:187]
	s_waitcnt vmcnt(37)
	v_add_f64 v[152:153], v[152:153], -v[168:169]
	v_add_f64 v[154:155], v[154:155], -v[176:177]
	;; [unrolled: 18-line block ×20, first 2 shown]
	s_waitcnt lgkmcnt(0)
	v_mul_f64 v[168:169], v[196:197], v[170:171]
	v_mul_f64 v[176:177], v[194:195], v[170:171]
	v_fma_f64 v[168:169], v[194:195], v[186:187], -v[168:169]
	v_fmac_f64_e32 v[176:177], v[196:197], v[186:187]
	s_waitcnt vmcnt(0)
	v_add_f64 v[172:173], v[172:173], -v[168:169]
	v_add_f64 v[174:175], v[174:175], -v[176:177]
	v_mov_b64_e32 v[168:169], v[186:187]
.LBB86_62:
	s_or_b64 exec, exec, s[0:1]
	v_lshl_add_u32 v176, v189, 4, v188
	s_barrier
	s_waitcnt vmcnt(40)
	ds_write2_b64 v176, v[164:165], v[166:167] offset1:1
	s_waitcnt lgkmcnt(0)
	s_barrier
	ds_read2_b64 v[176:179], v188 offset0:6 offset1:7
	s_mov_b32 s16, 4
	s_cmp_lt_i32 s20, 5
	v_mov_b32_e32 v186, 3
	s_cbranch_scc1 .LBB86_65
; %bb.63:
	v_add3_u32 v187, v192, 0, 64
	v_mov_b32_e32 v186, 3
.LBB86_64:                              ; =>This Inner Loop Header: Depth=1
	ds_read2_b64 v[192:195], v187 offset1:1
	s_waitcnt lgkmcnt(1)
	v_xor_b32_e32 v197, 0x80000000, v177
	v_xor_b32_e32 v199, 0x80000000, v179
	v_cmp_gt_f64_e32 vcc, 0, v[178:179]
	v_cmp_gt_f64_e64 s[0:1], 0, v[176:177]
	v_mov_b32_e32 v196, v176
	v_mov_b32_e32 v198, v178
	v_cndmask_b32_e64 v197, v177, v197, s[0:1]
	v_cndmask_b32_e32 v199, v179, v199, vcc
	v_add_f64 v[196:197], v[196:197], v[198:199]
	s_waitcnt lgkmcnt(0)
	v_xor_b32_e32 v199, 0x80000000, v193
	v_xor_b32_e32 v201, 0x80000000, v195
	v_cmp_gt_f64_e32 vcc, 0, v[194:195]
	v_cmp_gt_f64_e64 s[0:1], 0, v[192:193]
	v_mov_b32_e32 v198, v192
	v_mov_b32_e32 v200, v194
	v_cndmask_b32_e64 v199, v193, v199, s[0:1]
	v_cndmask_b32_e32 v201, v195, v201, vcc
	v_add_f64 v[198:199], v[198:199], v[200:201]
	v_mov_b32_e32 v202, s16
	s_add_i32 s16, s16, 1
	v_cmp_lt_f64_e32 vcc, v[196:197], v[198:199]
	v_add_u32_e32 v187, 16, v187
	s_cmp_lg_u32 s20, s16
	v_cndmask_b32_e32 v177, v177, v193, vcc
	v_cndmask_b32_e32 v176, v176, v192, vcc
	;; [unrolled: 1-line block ×5, first 2 shown]
	s_cbranch_scc1 .LBB86_64
.LBB86_65:
	s_waitcnt lgkmcnt(0)
	v_cmp_eq_f64_e32 vcc, 0, v[176:177]
	v_cmp_eq_f64_e64 s[0:1], 0, v[178:179]
	s_and_b64 s[0:1], vcc, s[0:1]
	s_and_saveexec_b64 s[16:17], s[0:1]
	s_xor_b64 s[0:1], exec, s[16:17]
; %bb.66:
	v_cmp_ne_u32_e32 vcc, 0, v190
	s_nop 1
	v_cndmask_b32_e32 v190, 4, v190, vcc
; %bb.67:
	s_andn2_saveexec_b64 s[0:1], s[0:1]
	s_cbranch_execz .LBB86_73
; %bb.68:
	v_cmp_ngt_f64_e64 s[16:17], |v[176:177]|, |v[178:179]|
	s_and_saveexec_b64 s[18:19], s[16:17]
	s_xor_b64 s[16:17], exec, s[18:19]
	s_cbranch_execz .LBB86_70
; %bb.69:
	v_div_scale_f64 v[192:193], s[18:19], v[178:179], v[178:179], v[176:177]
	v_rcp_f64_e32 v[194:195], v[192:193]
	v_div_scale_f64 v[196:197], vcc, v[176:177], v[178:179], v[176:177]
	v_fma_f64 v[198:199], -v[192:193], v[194:195], 1.0
	v_fmac_f64_e32 v[194:195], v[194:195], v[198:199]
	v_fma_f64 v[198:199], -v[192:193], v[194:195], 1.0
	v_fmac_f64_e32 v[194:195], v[194:195], v[198:199]
	v_mul_f64 v[198:199], v[196:197], v[194:195]
	v_fma_f64 v[192:193], -v[192:193], v[198:199], v[196:197]
	v_div_fmas_f64 v[192:193], v[192:193], v[194:195], v[198:199]
	v_div_fixup_f64 v[192:193], v[192:193], v[178:179], v[176:177]
	v_fmac_f64_e32 v[178:179], v[176:177], v[192:193]
	v_div_scale_f64 v[176:177], s[18:19], v[178:179], v[178:179], 1.0
	v_rcp_f64_e32 v[194:195], v[176:177]
	s_nop 0
	v_fma_f64 v[196:197], -v[176:177], v[194:195], 1.0
	v_fmac_f64_e32 v[194:195], v[194:195], v[196:197]
	v_fma_f64 v[196:197], -v[176:177], v[194:195], 1.0
	v_fmac_f64_e32 v[194:195], v[194:195], v[196:197]
	v_div_scale_f64 v[196:197], vcc, 1.0, v[178:179], 1.0
	v_mul_f64 v[198:199], v[196:197], v[194:195]
	v_fma_f64 v[176:177], -v[176:177], v[198:199], v[196:197]
	s_nop 1
	v_div_fmas_f64 v[176:177], v[176:177], v[194:195], v[198:199]
	v_div_fixup_f64 v[178:179], v[176:177], v[178:179], 1.0
	v_mul_f64 v[176:177], v[192:193], v[178:179]
	v_xor_b32_e32 v179, 0x80000000, v179
.LBB86_70:
	s_andn2_saveexec_b64 s[16:17], s[16:17]
	s_cbranch_execz .LBB86_72
; %bb.71:
	v_div_scale_f64 v[192:193], s[18:19], v[176:177], v[176:177], v[178:179]
	v_rcp_f64_e32 v[194:195], v[192:193]
	v_div_scale_f64 v[196:197], vcc, v[178:179], v[176:177], v[178:179]
	v_fma_f64 v[198:199], -v[192:193], v[194:195], 1.0
	v_fmac_f64_e32 v[194:195], v[194:195], v[198:199]
	v_fma_f64 v[198:199], -v[192:193], v[194:195], 1.0
	v_fmac_f64_e32 v[194:195], v[194:195], v[198:199]
	v_mul_f64 v[198:199], v[196:197], v[194:195]
	v_fma_f64 v[192:193], -v[192:193], v[198:199], v[196:197]
	v_div_fmas_f64 v[192:193], v[192:193], v[194:195], v[198:199]
	v_div_fixup_f64 v[192:193], v[192:193], v[176:177], v[178:179]
	v_fmac_f64_e32 v[176:177], v[178:179], v[192:193]
	v_div_scale_f64 v[178:179], s[18:19], v[176:177], v[176:177], 1.0
	v_rcp_f64_e32 v[194:195], v[178:179]
	s_nop 0
	v_fma_f64 v[196:197], -v[178:179], v[194:195], 1.0
	v_fmac_f64_e32 v[194:195], v[194:195], v[196:197]
	v_fma_f64 v[196:197], -v[178:179], v[194:195], 1.0
	v_fmac_f64_e32 v[194:195], v[194:195], v[196:197]
	v_div_scale_f64 v[196:197], vcc, 1.0, v[176:177], 1.0
	v_mul_f64 v[198:199], v[196:197], v[194:195]
	v_fma_f64 v[178:179], -v[178:179], v[198:199], v[196:197]
	s_nop 1
	v_div_fmas_f64 v[178:179], v[178:179], v[194:195], v[198:199]
	v_div_fixup_f64 v[176:177], v[178:179], v[176:177], 1.0
	v_mul_f64 v[178:179], v[192:193], -v[176:177]
.LBB86_72:
	s_or_b64 exec, exec, s[16:17]
.LBB86_73:
	s_or_b64 exec, exec, s[0:1]
	v_cmp_ne_u32_e32 vcc, v189, v186
	s_and_saveexec_b64 s[0:1], vcc
	s_xor_b64 s[0:1], exec, s[0:1]
	s_cbranch_execz .LBB86_79
; %bb.74:
	v_cmp_eq_u32_e32 vcc, 3, v189
	s_and_saveexec_b64 s[16:17], vcc
	s_cbranch_execz .LBB86_78
; %bb.75:
	v_cmp_ne_u32_e32 vcc, 3, v186
	s_xor_b64 s[18:19], s[14:15], -1
	s_and_b64 s[22:23], s[18:19], vcc
	s_and_saveexec_b64 s[18:19], s[22:23]
	s_cbranch_execz .LBB86_77
; %bb.76:
	v_ashrrev_i32_e32 v187, 31, v186
	v_lshl_add_u64 v[192:193], v[186:187], 2, v[184:185]
	global_load_dword v187, v[192:193], off
	global_load_dword v189, v[184:185], off offset:12
	s_waitcnt vmcnt(1)
	global_store_dword v[184:185], v187, off offset:12
	s_waitcnt vmcnt(1)
	global_store_dword v[192:193], v189, off
.LBB86_77:
	s_or_b64 exec, exec, s[18:19]
	v_mov_b32_e32 v189, v186
	v_mov_b32_e32 v191, v186
.LBB86_78:
	s_or_b64 exec, exec, s[16:17]
.LBB86_79:
	s_andn2_saveexec_b64 s[0:1], s[0:1]
	s_cbranch_execz .LBB86_81
; %bb.80:
	v_mov_b32_e32 v189, 3
	s_waitcnt vmcnt(39)
	ds_write2_b64 v188, v[160:161], v[162:163] offset0:8 offset1:9
	s_waitcnt vmcnt(38)
	ds_write2_b64 v188, v[156:157], v[158:159] offset0:10 offset1:11
	;; [unrolled: 2-line block ×40, first 2 shown]
.LBB86_81:
	s_or_b64 exec, exec, s[0:1]
	v_cmp_lt_i32_e32 vcc, 3, v189
	s_waitcnt lgkmcnt(0)
	s_barrier
	s_and_saveexec_b64 s[0:1], vcc
	s_cbranch_execz .LBB86_83
; %bb.82:
	ds_read2_b64 v[192:195], v188 offset0:8 offset1:9
	v_mul_f64 v[186:187], v[178:179], v[166:167]
	v_mul_f64 v[166:167], v[176:177], v[166:167]
	v_fma_f64 v[186:187], v[176:177], v[164:165], -v[186:187]
	v_fmac_f64_e32 v[166:167], v[178:179], v[164:165]
	ds_read2_b64 v[176:179], v188 offset0:10 offset1:11
	s_waitcnt lgkmcnt(1)
	v_mul_f64 v[164:165], v[194:195], v[166:167]
	v_fma_f64 v[164:165], v[192:193], v[186:187], -v[164:165]
	v_mul_f64 v[192:193], v[192:193], v[166:167]
	v_fmac_f64_e32 v[192:193], v[194:195], v[186:187]
	s_waitcnt vmcnt(39)
	v_add_f64 v[160:161], v[160:161], -v[164:165]
	s_waitcnt lgkmcnt(0)
	v_mul_f64 v[164:165], v[178:179], v[166:167]
	v_add_f64 v[162:163], v[162:163], -v[192:193]
	v_fma_f64 v[164:165], v[176:177], v[186:187], -v[164:165]
	v_mul_f64 v[176:177], v[176:177], v[166:167]
	ds_read2_b64 v[192:195], v188 offset0:12 offset1:13
	v_fmac_f64_e32 v[176:177], v[178:179], v[186:187]
	s_waitcnt vmcnt(38)
	v_add_f64 v[158:159], v[158:159], -v[176:177]
	ds_read2_b64 v[176:179], v188 offset0:14 offset1:15
	v_add_f64 v[156:157], v[156:157], -v[164:165]
	s_waitcnt lgkmcnt(1)
	v_mul_f64 v[164:165], v[194:195], v[166:167]
	v_fma_f64 v[164:165], v[192:193], v[186:187], -v[164:165]
	v_mul_f64 v[192:193], v[192:193], v[166:167]
	v_fmac_f64_e32 v[192:193], v[194:195], v[186:187]
	s_waitcnt vmcnt(37)
	v_add_f64 v[152:153], v[152:153], -v[164:165]
	s_waitcnt lgkmcnt(0)
	v_mul_f64 v[164:165], v[178:179], v[166:167]
	v_add_f64 v[154:155], v[154:155], -v[192:193]
	v_fma_f64 v[164:165], v[176:177], v[186:187], -v[164:165]
	v_mul_f64 v[176:177], v[176:177], v[166:167]
	ds_read2_b64 v[192:195], v188 offset0:16 offset1:17
	v_fmac_f64_e32 v[176:177], v[178:179], v[186:187]
	s_waitcnt vmcnt(36)
	v_add_f64 v[150:151], v[150:151], -v[176:177]
	ds_read2_b64 v[176:179], v188 offset0:18 offset1:19
	v_add_f64 v[148:149], v[148:149], -v[164:165]
	;; [unrolled: 18-line block ×19, first 2 shown]
	s_waitcnt lgkmcnt(1)
	v_mul_f64 v[164:165], v[194:195], v[166:167]
	v_fma_f64 v[164:165], v[192:193], v[186:187], -v[164:165]
	s_waitcnt vmcnt(1)
	v_add_f64 v[0:1], v[0:1], -v[164:165]
	s_waitcnt lgkmcnt(0)
	v_mul_f64 v[164:165], v[178:179], v[166:167]
	v_mul_f64 v[192:193], v[192:193], v[166:167]
	v_fma_f64 v[164:165], v[176:177], v[186:187], -v[164:165]
	v_mul_f64 v[176:177], v[176:177], v[166:167]
	v_fmac_f64_e32 v[192:193], v[194:195], v[186:187]
	v_fmac_f64_e32 v[176:177], v[178:179], v[186:187]
	v_add_f64 v[2:3], v[2:3], -v[192:193]
	s_waitcnt vmcnt(0)
	v_add_f64 v[172:173], v[172:173], -v[164:165]
	v_add_f64 v[174:175], v[174:175], -v[176:177]
	v_mov_b64_e32 v[164:165], v[186:187]
.LBB86_83:
	s_or_b64 exec, exec, s[0:1]
	v_lshl_add_u32 v176, v189, 4, v188
	s_barrier
	s_waitcnt vmcnt(39)
	ds_write2_b64 v176, v[160:161], v[162:163] offset1:1
	s_waitcnt lgkmcnt(0)
	s_barrier
	ds_read2_b64 v[176:179], v188 offset0:8 offset1:9
	s_cmp_lt_i32 s20, 6
	v_mov_b32_e32 v186, 4
	s_cbranch_scc1 .LBB86_86
; %bb.84:
	v_mov_b32_e32 v186, 4
	v_add_u32_e32 v187, 0x50, v188
	s_mov_b32 s16, 5
.LBB86_85:                              ; =>This Inner Loop Header: Depth=1
	ds_read2_b64 v[192:195], v187 offset1:1
	s_waitcnt lgkmcnt(1)
	v_xor_b32_e32 v197, 0x80000000, v177
	v_xor_b32_e32 v199, 0x80000000, v179
	v_cmp_gt_f64_e32 vcc, 0, v[178:179]
	v_cmp_gt_f64_e64 s[0:1], 0, v[176:177]
	v_mov_b32_e32 v196, v176
	v_mov_b32_e32 v198, v178
	v_cndmask_b32_e64 v197, v177, v197, s[0:1]
	v_cndmask_b32_e32 v199, v179, v199, vcc
	v_add_f64 v[196:197], v[196:197], v[198:199]
	s_waitcnt lgkmcnt(0)
	v_xor_b32_e32 v199, 0x80000000, v193
	v_xor_b32_e32 v201, 0x80000000, v195
	v_cmp_gt_f64_e32 vcc, 0, v[194:195]
	v_cmp_gt_f64_e64 s[0:1], 0, v[192:193]
	v_mov_b32_e32 v198, v192
	v_mov_b32_e32 v200, v194
	v_cndmask_b32_e64 v199, v193, v199, s[0:1]
	v_cndmask_b32_e32 v201, v195, v201, vcc
	v_add_f64 v[198:199], v[198:199], v[200:201]
	v_mov_b32_e32 v202, s16
	s_add_i32 s16, s16, 1
	v_cmp_lt_f64_e32 vcc, v[196:197], v[198:199]
	v_add_u32_e32 v187, 16, v187
	s_cmp_lg_u32 s20, s16
	v_cndmask_b32_e32 v177, v177, v193, vcc
	v_cndmask_b32_e32 v176, v176, v192, vcc
	;; [unrolled: 1-line block ×5, first 2 shown]
	s_cbranch_scc1 .LBB86_85
.LBB86_86:
	s_waitcnt lgkmcnt(0)
	v_cmp_eq_f64_e32 vcc, 0, v[176:177]
	v_cmp_eq_f64_e64 s[0:1], 0, v[178:179]
	s_and_b64 s[0:1], vcc, s[0:1]
	s_and_saveexec_b64 s[16:17], s[0:1]
	s_xor_b64 s[0:1], exec, s[16:17]
; %bb.87:
	v_cmp_ne_u32_e32 vcc, 0, v190
	s_nop 1
	v_cndmask_b32_e32 v190, 5, v190, vcc
; %bb.88:
	s_andn2_saveexec_b64 s[0:1], s[0:1]
	s_cbranch_execz .LBB86_94
; %bb.89:
	v_cmp_ngt_f64_e64 s[16:17], |v[176:177]|, |v[178:179]|
	s_and_saveexec_b64 s[18:19], s[16:17]
	s_xor_b64 s[16:17], exec, s[18:19]
	s_cbranch_execz .LBB86_91
; %bb.90:
	v_div_scale_f64 v[192:193], s[18:19], v[178:179], v[178:179], v[176:177]
	v_rcp_f64_e32 v[194:195], v[192:193]
	v_div_scale_f64 v[196:197], vcc, v[176:177], v[178:179], v[176:177]
	v_fma_f64 v[198:199], -v[192:193], v[194:195], 1.0
	v_fmac_f64_e32 v[194:195], v[194:195], v[198:199]
	v_fma_f64 v[198:199], -v[192:193], v[194:195], 1.0
	v_fmac_f64_e32 v[194:195], v[194:195], v[198:199]
	v_mul_f64 v[198:199], v[196:197], v[194:195]
	v_fma_f64 v[192:193], -v[192:193], v[198:199], v[196:197]
	v_div_fmas_f64 v[192:193], v[192:193], v[194:195], v[198:199]
	v_div_fixup_f64 v[192:193], v[192:193], v[178:179], v[176:177]
	v_fmac_f64_e32 v[178:179], v[176:177], v[192:193]
	v_div_scale_f64 v[176:177], s[18:19], v[178:179], v[178:179], 1.0
	v_rcp_f64_e32 v[194:195], v[176:177]
	s_nop 0
	v_fma_f64 v[196:197], -v[176:177], v[194:195], 1.0
	v_fmac_f64_e32 v[194:195], v[194:195], v[196:197]
	v_fma_f64 v[196:197], -v[176:177], v[194:195], 1.0
	v_fmac_f64_e32 v[194:195], v[194:195], v[196:197]
	v_div_scale_f64 v[196:197], vcc, 1.0, v[178:179], 1.0
	v_mul_f64 v[198:199], v[196:197], v[194:195]
	v_fma_f64 v[176:177], -v[176:177], v[198:199], v[196:197]
	s_nop 1
	v_div_fmas_f64 v[176:177], v[176:177], v[194:195], v[198:199]
	v_div_fixup_f64 v[178:179], v[176:177], v[178:179], 1.0
	v_mul_f64 v[176:177], v[192:193], v[178:179]
	v_xor_b32_e32 v179, 0x80000000, v179
.LBB86_91:
	s_andn2_saveexec_b64 s[16:17], s[16:17]
	s_cbranch_execz .LBB86_93
; %bb.92:
	v_div_scale_f64 v[192:193], s[18:19], v[176:177], v[176:177], v[178:179]
	v_rcp_f64_e32 v[194:195], v[192:193]
	v_div_scale_f64 v[196:197], vcc, v[178:179], v[176:177], v[178:179]
	v_fma_f64 v[198:199], -v[192:193], v[194:195], 1.0
	v_fmac_f64_e32 v[194:195], v[194:195], v[198:199]
	v_fma_f64 v[198:199], -v[192:193], v[194:195], 1.0
	v_fmac_f64_e32 v[194:195], v[194:195], v[198:199]
	v_mul_f64 v[198:199], v[196:197], v[194:195]
	v_fma_f64 v[192:193], -v[192:193], v[198:199], v[196:197]
	v_div_fmas_f64 v[192:193], v[192:193], v[194:195], v[198:199]
	v_div_fixup_f64 v[192:193], v[192:193], v[176:177], v[178:179]
	v_fmac_f64_e32 v[176:177], v[178:179], v[192:193]
	v_div_scale_f64 v[178:179], s[18:19], v[176:177], v[176:177], 1.0
	v_rcp_f64_e32 v[194:195], v[178:179]
	s_nop 0
	v_fma_f64 v[196:197], -v[178:179], v[194:195], 1.0
	v_fmac_f64_e32 v[194:195], v[194:195], v[196:197]
	v_fma_f64 v[196:197], -v[178:179], v[194:195], 1.0
	v_fmac_f64_e32 v[194:195], v[194:195], v[196:197]
	v_div_scale_f64 v[196:197], vcc, 1.0, v[176:177], 1.0
	v_mul_f64 v[198:199], v[196:197], v[194:195]
	v_fma_f64 v[178:179], -v[178:179], v[198:199], v[196:197]
	s_nop 1
	v_div_fmas_f64 v[178:179], v[178:179], v[194:195], v[198:199]
	v_div_fixup_f64 v[176:177], v[178:179], v[176:177], 1.0
	v_mul_f64 v[178:179], v[192:193], -v[176:177]
.LBB86_93:
	s_or_b64 exec, exec, s[16:17]
.LBB86_94:
	s_or_b64 exec, exec, s[0:1]
	v_cmp_ne_u32_e32 vcc, v189, v186
	s_and_saveexec_b64 s[0:1], vcc
	s_xor_b64 s[0:1], exec, s[0:1]
	s_cbranch_execz .LBB86_100
; %bb.95:
	v_cmp_eq_u32_e32 vcc, 4, v189
	s_and_saveexec_b64 s[16:17], vcc
	s_cbranch_execz .LBB86_99
; %bb.96:
	v_cmp_ne_u32_e32 vcc, 4, v186
	s_xor_b64 s[18:19], s[14:15], -1
	s_and_b64 s[22:23], s[18:19], vcc
	s_and_saveexec_b64 s[18:19], s[22:23]
	s_cbranch_execz .LBB86_98
; %bb.97:
	v_ashrrev_i32_e32 v187, 31, v186
	v_lshl_add_u64 v[192:193], v[186:187], 2, v[184:185]
	global_load_dword v187, v[192:193], off
	global_load_dword v189, v[184:185], off offset:16
	s_waitcnt vmcnt(1)
	global_store_dword v[184:185], v187, off offset:16
	s_waitcnt vmcnt(1)
	global_store_dword v[192:193], v189, off
.LBB86_98:
	s_or_b64 exec, exec, s[18:19]
	v_mov_b32_e32 v189, v186
	v_mov_b32_e32 v191, v186
.LBB86_99:
	s_or_b64 exec, exec, s[16:17]
.LBB86_100:
	s_andn2_saveexec_b64 s[0:1], s[0:1]
	s_cbranch_execz .LBB86_102
; %bb.101:
	v_mov_b32_e32 v189, 4
	s_waitcnt vmcnt(38)
	ds_write2_b64 v188, v[156:157], v[158:159] offset0:10 offset1:11
	s_waitcnt vmcnt(37)
	ds_write2_b64 v188, v[152:153], v[154:155] offset0:12 offset1:13
	;; [unrolled: 2-line block ×39, first 2 shown]
.LBB86_102:
	s_or_b64 exec, exec, s[0:1]
	v_cmp_lt_i32_e32 vcc, 4, v189
	s_waitcnt lgkmcnt(0)
	s_barrier
	s_and_saveexec_b64 s[0:1], vcc
	s_cbranch_execz .LBB86_104
; %bb.103:
	ds_read2_b64 v[192:195], v188 offset0:10 offset1:11
	v_mul_f64 v[186:187], v[178:179], v[162:163]
	v_mul_f64 v[162:163], v[176:177], v[162:163]
	v_fmac_f64_e32 v[162:163], v[178:179], v[160:161]
	v_fma_f64 v[186:187], v[176:177], v[160:161], -v[186:187]
	ds_read2_b64 v[176:179], v188 offset0:12 offset1:13
	s_waitcnt lgkmcnt(1)
	v_mul_f64 v[160:161], v[194:195], v[162:163]
	v_fma_f64 v[160:161], v[192:193], v[186:187], -v[160:161]
	v_mul_f64 v[192:193], v[192:193], v[162:163]
	v_fmac_f64_e32 v[192:193], v[194:195], v[186:187]
	s_waitcnt vmcnt(38)
	v_add_f64 v[158:159], v[158:159], -v[192:193]
	ds_read2_b64 v[192:195], v188 offset0:14 offset1:15
	v_add_f64 v[156:157], v[156:157], -v[160:161]
	s_waitcnt lgkmcnt(1)
	v_mul_f64 v[160:161], v[178:179], v[162:163]
	v_fma_f64 v[160:161], v[176:177], v[186:187], -v[160:161]
	v_mul_f64 v[176:177], v[176:177], v[162:163]
	v_fmac_f64_e32 v[176:177], v[178:179], v[186:187]
	s_waitcnt vmcnt(37)
	v_add_f64 v[152:153], v[152:153], -v[160:161]
	v_add_f64 v[154:155], v[154:155], -v[176:177]
	ds_read2_b64 v[176:179], v188 offset0:16 offset1:17
	s_waitcnt lgkmcnt(1)
	v_mul_f64 v[160:161], v[194:195], v[162:163]
	v_fma_f64 v[160:161], v[192:193], v[186:187], -v[160:161]
	v_mul_f64 v[192:193], v[192:193], v[162:163]
	v_fmac_f64_e32 v[192:193], v[194:195], v[186:187]
	s_waitcnt vmcnt(36)
	v_add_f64 v[150:151], v[150:151], -v[192:193]
	ds_read2_b64 v[192:195], v188 offset0:18 offset1:19
	v_add_f64 v[148:149], v[148:149], -v[160:161]
	s_waitcnt lgkmcnt(1)
	v_mul_f64 v[160:161], v[178:179], v[162:163]
	v_fma_f64 v[160:161], v[176:177], v[186:187], -v[160:161]
	v_mul_f64 v[176:177], v[176:177], v[162:163]
	v_fmac_f64_e32 v[176:177], v[178:179], v[186:187]
	s_waitcnt vmcnt(35)
	v_add_f64 v[144:145], v[144:145], -v[160:161]
	v_add_f64 v[146:147], v[146:147], -v[176:177]
	;; [unrolled: 18-line block ×19, first 2 shown]
	s_waitcnt lgkmcnt(0)
	v_mul_f64 v[160:161], v[194:195], v[162:163]
	v_mul_f64 v[176:177], v[192:193], v[162:163]
	v_fma_f64 v[160:161], v[192:193], v[186:187], -v[160:161]
	v_fmac_f64_e32 v[176:177], v[194:195], v[186:187]
	s_waitcnt vmcnt(0)
	v_add_f64 v[172:173], v[172:173], -v[160:161]
	v_add_f64 v[174:175], v[174:175], -v[176:177]
	v_mov_b64_e32 v[160:161], v[186:187]
.LBB86_104:
	s_or_b64 exec, exec, s[0:1]
	v_lshl_add_u32 v176, v189, 4, v188
	s_barrier
	s_waitcnt vmcnt(38)
	ds_write2_b64 v176, v[156:157], v[158:159] offset1:1
	s_waitcnt lgkmcnt(0)
	s_barrier
	ds_read2_b64 v[176:179], v188 offset0:10 offset1:11
	s_cmp_lt_i32 s20, 7
	v_mov_b32_e32 v186, 5
	s_cbranch_scc1 .LBB86_107
; %bb.105:
	v_add_u32_e32 v187, 0x60, v188
	s_mov_b32 s16, 6
	v_mov_b32_e32 v186, 5
.LBB86_106:                             ; =>This Inner Loop Header: Depth=1
	ds_read2_b64 v[192:195], v187 offset1:1
	s_waitcnt lgkmcnt(1)
	v_xor_b32_e32 v197, 0x80000000, v177
	v_xor_b32_e32 v199, 0x80000000, v179
	v_cmp_gt_f64_e32 vcc, 0, v[178:179]
	v_cmp_gt_f64_e64 s[0:1], 0, v[176:177]
	v_mov_b32_e32 v196, v176
	v_mov_b32_e32 v198, v178
	v_cndmask_b32_e64 v197, v177, v197, s[0:1]
	v_cndmask_b32_e32 v199, v179, v199, vcc
	v_add_f64 v[196:197], v[196:197], v[198:199]
	s_waitcnt lgkmcnt(0)
	v_xor_b32_e32 v199, 0x80000000, v193
	v_xor_b32_e32 v201, 0x80000000, v195
	v_cmp_gt_f64_e32 vcc, 0, v[194:195]
	v_cmp_gt_f64_e64 s[0:1], 0, v[192:193]
	v_mov_b32_e32 v198, v192
	v_mov_b32_e32 v200, v194
	v_cndmask_b32_e64 v199, v193, v199, s[0:1]
	v_cndmask_b32_e32 v201, v195, v201, vcc
	v_add_f64 v[198:199], v[198:199], v[200:201]
	v_mov_b32_e32 v202, s16
	s_add_i32 s16, s16, 1
	v_cmp_lt_f64_e32 vcc, v[196:197], v[198:199]
	v_add_u32_e32 v187, 16, v187
	s_cmp_lg_u32 s20, s16
	v_cndmask_b32_e32 v177, v177, v193, vcc
	v_cndmask_b32_e32 v176, v176, v192, vcc
	;; [unrolled: 1-line block ×5, first 2 shown]
	s_cbranch_scc1 .LBB86_106
.LBB86_107:
	s_waitcnt lgkmcnt(0)
	v_cmp_eq_f64_e32 vcc, 0, v[176:177]
	v_cmp_eq_f64_e64 s[0:1], 0, v[178:179]
	s_and_b64 s[0:1], vcc, s[0:1]
	s_and_saveexec_b64 s[16:17], s[0:1]
	s_xor_b64 s[0:1], exec, s[16:17]
; %bb.108:
	v_cmp_ne_u32_e32 vcc, 0, v190
	s_nop 1
	v_cndmask_b32_e32 v190, 6, v190, vcc
; %bb.109:
	s_andn2_saveexec_b64 s[0:1], s[0:1]
	s_cbranch_execz .LBB86_115
; %bb.110:
	v_cmp_ngt_f64_e64 s[16:17], |v[176:177]|, |v[178:179]|
	s_and_saveexec_b64 s[18:19], s[16:17]
	s_xor_b64 s[16:17], exec, s[18:19]
	s_cbranch_execz .LBB86_112
; %bb.111:
	v_div_scale_f64 v[192:193], s[18:19], v[178:179], v[178:179], v[176:177]
	v_rcp_f64_e32 v[194:195], v[192:193]
	v_div_scale_f64 v[196:197], vcc, v[176:177], v[178:179], v[176:177]
	v_fma_f64 v[198:199], -v[192:193], v[194:195], 1.0
	v_fmac_f64_e32 v[194:195], v[194:195], v[198:199]
	v_fma_f64 v[198:199], -v[192:193], v[194:195], 1.0
	v_fmac_f64_e32 v[194:195], v[194:195], v[198:199]
	v_mul_f64 v[198:199], v[196:197], v[194:195]
	v_fma_f64 v[192:193], -v[192:193], v[198:199], v[196:197]
	v_div_fmas_f64 v[192:193], v[192:193], v[194:195], v[198:199]
	v_div_fixup_f64 v[192:193], v[192:193], v[178:179], v[176:177]
	v_fmac_f64_e32 v[178:179], v[176:177], v[192:193]
	v_div_scale_f64 v[176:177], s[18:19], v[178:179], v[178:179], 1.0
	v_rcp_f64_e32 v[194:195], v[176:177]
	s_nop 0
	v_fma_f64 v[196:197], -v[176:177], v[194:195], 1.0
	v_fmac_f64_e32 v[194:195], v[194:195], v[196:197]
	v_fma_f64 v[196:197], -v[176:177], v[194:195], 1.0
	v_fmac_f64_e32 v[194:195], v[194:195], v[196:197]
	v_div_scale_f64 v[196:197], vcc, 1.0, v[178:179], 1.0
	v_mul_f64 v[198:199], v[196:197], v[194:195]
	v_fma_f64 v[176:177], -v[176:177], v[198:199], v[196:197]
	s_nop 1
	v_div_fmas_f64 v[176:177], v[176:177], v[194:195], v[198:199]
	v_div_fixup_f64 v[178:179], v[176:177], v[178:179], 1.0
	v_mul_f64 v[176:177], v[192:193], v[178:179]
	v_xor_b32_e32 v179, 0x80000000, v179
.LBB86_112:
	s_andn2_saveexec_b64 s[16:17], s[16:17]
	s_cbranch_execz .LBB86_114
; %bb.113:
	v_div_scale_f64 v[192:193], s[18:19], v[176:177], v[176:177], v[178:179]
	v_rcp_f64_e32 v[194:195], v[192:193]
	v_div_scale_f64 v[196:197], vcc, v[178:179], v[176:177], v[178:179]
	v_fma_f64 v[198:199], -v[192:193], v[194:195], 1.0
	v_fmac_f64_e32 v[194:195], v[194:195], v[198:199]
	v_fma_f64 v[198:199], -v[192:193], v[194:195], 1.0
	v_fmac_f64_e32 v[194:195], v[194:195], v[198:199]
	v_mul_f64 v[198:199], v[196:197], v[194:195]
	v_fma_f64 v[192:193], -v[192:193], v[198:199], v[196:197]
	v_div_fmas_f64 v[192:193], v[192:193], v[194:195], v[198:199]
	v_div_fixup_f64 v[192:193], v[192:193], v[176:177], v[178:179]
	v_fmac_f64_e32 v[176:177], v[178:179], v[192:193]
	v_div_scale_f64 v[178:179], s[18:19], v[176:177], v[176:177], 1.0
	v_rcp_f64_e32 v[194:195], v[178:179]
	s_nop 0
	v_fma_f64 v[196:197], -v[178:179], v[194:195], 1.0
	v_fmac_f64_e32 v[194:195], v[194:195], v[196:197]
	v_fma_f64 v[196:197], -v[178:179], v[194:195], 1.0
	v_fmac_f64_e32 v[194:195], v[194:195], v[196:197]
	v_div_scale_f64 v[196:197], vcc, 1.0, v[176:177], 1.0
	v_mul_f64 v[198:199], v[196:197], v[194:195]
	v_fma_f64 v[178:179], -v[178:179], v[198:199], v[196:197]
	s_nop 1
	v_div_fmas_f64 v[178:179], v[178:179], v[194:195], v[198:199]
	v_div_fixup_f64 v[176:177], v[178:179], v[176:177], 1.0
	v_mul_f64 v[178:179], v[192:193], -v[176:177]
.LBB86_114:
	s_or_b64 exec, exec, s[16:17]
.LBB86_115:
	s_or_b64 exec, exec, s[0:1]
	v_cmp_ne_u32_e32 vcc, v189, v186
	s_and_saveexec_b64 s[0:1], vcc
	s_xor_b64 s[0:1], exec, s[0:1]
	s_cbranch_execz .LBB86_121
; %bb.116:
	v_cmp_eq_u32_e32 vcc, 5, v189
	s_and_saveexec_b64 s[16:17], vcc
	s_cbranch_execz .LBB86_120
; %bb.117:
	v_cmp_ne_u32_e32 vcc, 5, v186
	s_xor_b64 s[18:19], s[14:15], -1
	s_and_b64 s[22:23], s[18:19], vcc
	s_and_saveexec_b64 s[18:19], s[22:23]
	s_cbranch_execz .LBB86_119
; %bb.118:
	v_ashrrev_i32_e32 v187, 31, v186
	v_lshl_add_u64 v[192:193], v[186:187], 2, v[184:185]
	global_load_dword v187, v[192:193], off
	global_load_dword v189, v[184:185], off offset:20
	s_waitcnt vmcnt(1)
	global_store_dword v[184:185], v187, off offset:20
	s_waitcnt vmcnt(1)
	global_store_dword v[192:193], v189, off
.LBB86_119:
	s_or_b64 exec, exec, s[18:19]
	v_mov_b32_e32 v189, v186
	v_mov_b32_e32 v191, v186
.LBB86_120:
	s_or_b64 exec, exec, s[16:17]
.LBB86_121:
	s_andn2_saveexec_b64 s[0:1], s[0:1]
	s_cbranch_execz .LBB86_123
; %bb.122:
	v_mov_b32_e32 v189, 5
	s_waitcnt vmcnt(37)
	ds_write2_b64 v188, v[152:153], v[154:155] offset0:12 offset1:13
	s_waitcnt vmcnt(36)
	ds_write2_b64 v188, v[148:149], v[150:151] offset0:14 offset1:15
	;; [unrolled: 2-line block ×38, first 2 shown]
.LBB86_123:
	s_or_b64 exec, exec, s[0:1]
	v_cmp_lt_i32_e32 vcc, 5, v189
	s_waitcnt lgkmcnt(0)
	s_barrier
	s_and_saveexec_b64 s[0:1], vcc
	s_cbranch_execz .LBB86_125
; %bb.124:
	ds_read2_b64 v[192:195], v188 offset0:12 offset1:13
	v_mul_f64 v[186:187], v[178:179], v[158:159]
	v_mul_f64 v[158:159], v[176:177], v[158:159]
	v_fma_f64 v[186:187], v[176:177], v[156:157], -v[186:187]
	v_fmac_f64_e32 v[158:159], v[178:179], v[156:157]
	ds_read2_b64 v[176:179], v188 offset0:14 offset1:15
	s_waitcnt lgkmcnt(1)
	v_mul_f64 v[156:157], v[194:195], v[158:159]
	v_fma_f64 v[156:157], v[192:193], v[186:187], -v[156:157]
	v_mul_f64 v[192:193], v[192:193], v[158:159]
	v_fmac_f64_e32 v[192:193], v[194:195], v[186:187]
	s_waitcnt vmcnt(37)
	v_add_f64 v[152:153], v[152:153], -v[156:157]
	s_waitcnt lgkmcnt(0)
	v_mul_f64 v[156:157], v[178:179], v[158:159]
	v_add_f64 v[154:155], v[154:155], -v[192:193]
	v_fma_f64 v[156:157], v[176:177], v[186:187], -v[156:157]
	v_mul_f64 v[176:177], v[176:177], v[158:159]
	ds_read2_b64 v[192:195], v188 offset0:16 offset1:17
	v_fmac_f64_e32 v[176:177], v[178:179], v[186:187]
	s_waitcnt vmcnt(36)
	v_add_f64 v[150:151], v[150:151], -v[176:177]
	ds_read2_b64 v[176:179], v188 offset0:18 offset1:19
	v_add_f64 v[148:149], v[148:149], -v[156:157]
	s_waitcnt lgkmcnt(1)
	v_mul_f64 v[156:157], v[194:195], v[158:159]
	v_fma_f64 v[156:157], v[192:193], v[186:187], -v[156:157]
	v_mul_f64 v[192:193], v[192:193], v[158:159]
	v_fmac_f64_e32 v[192:193], v[194:195], v[186:187]
	s_waitcnt vmcnt(35)
	v_add_f64 v[144:145], v[144:145], -v[156:157]
	s_waitcnt lgkmcnt(0)
	v_mul_f64 v[156:157], v[178:179], v[158:159]
	v_add_f64 v[146:147], v[146:147], -v[192:193]
	v_fma_f64 v[156:157], v[176:177], v[186:187], -v[156:157]
	v_mul_f64 v[176:177], v[176:177], v[158:159]
	ds_read2_b64 v[192:195], v188 offset0:20 offset1:21
	v_fmac_f64_e32 v[176:177], v[178:179], v[186:187]
	s_waitcnt vmcnt(34)
	v_add_f64 v[142:143], v[142:143], -v[176:177]
	ds_read2_b64 v[176:179], v188 offset0:22 offset1:23
	v_add_f64 v[140:141], v[140:141], -v[156:157]
	;; [unrolled: 18-line block ×18, first 2 shown]
	s_waitcnt lgkmcnt(1)
	v_mul_f64 v[156:157], v[194:195], v[158:159]
	v_fma_f64 v[156:157], v[192:193], v[186:187], -v[156:157]
	s_waitcnt vmcnt(1)
	v_add_f64 v[0:1], v[0:1], -v[156:157]
	s_waitcnt lgkmcnt(0)
	v_mul_f64 v[156:157], v[178:179], v[158:159]
	v_mul_f64 v[192:193], v[192:193], v[158:159]
	v_fma_f64 v[156:157], v[176:177], v[186:187], -v[156:157]
	v_mul_f64 v[176:177], v[176:177], v[158:159]
	v_fmac_f64_e32 v[192:193], v[194:195], v[186:187]
	v_fmac_f64_e32 v[176:177], v[178:179], v[186:187]
	v_add_f64 v[2:3], v[2:3], -v[192:193]
	s_waitcnt vmcnt(0)
	v_add_f64 v[172:173], v[172:173], -v[156:157]
	v_add_f64 v[174:175], v[174:175], -v[176:177]
	v_mov_b64_e32 v[156:157], v[186:187]
.LBB86_125:
	s_or_b64 exec, exec, s[0:1]
	v_lshl_add_u32 v176, v189, 4, v188
	s_barrier
	s_waitcnt vmcnt(37)
	ds_write2_b64 v176, v[152:153], v[154:155] offset1:1
	s_waitcnt lgkmcnt(0)
	s_barrier
	ds_read2_b64 v[176:179], v188 offset0:12 offset1:13
	s_cmp_lt_i32 s20, 8
	v_mov_b32_e32 v186, 6
	s_cbranch_scc1 .LBB86_128
; %bb.126:
	v_add_u32_e32 v187, 0x70, v188
	s_mov_b32 s16, 7
	v_mov_b32_e32 v186, 6
.LBB86_127:                             ; =>This Inner Loop Header: Depth=1
	ds_read2_b64 v[192:195], v187 offset1:1
	s_waitcnt lgkmcnt(1)
	v_xor_b32_e32 v197, 0x80000000, v177
	v_xor_b32_e32 v199, 0x80000000, v179
	v_cmp_gt_f64_e32 vcc, 0, v[178:179]
	v_cmp_gt_f64_e64 s[0:1], 0, v[176:177]
	v_mov_b32_e32 v196, v176
	v_mov_b32_e32 v198, v178
	v_cndmask_b32_e64 v197, v177, v197, s[0:1]
	v_cndmask_b32_e32 v199, v179, v199, vcc
	v_add_f64 v[196:197], v[196:197], v[198:199]
	s_waitcnt lgkmcnt(0)
	v_xor_b32_e32 v199, 0x80000000, v193
	v_xor_b32_e32 v201, 0x80000000, v195
	v_cmp_gt_f64_e32 vcc, 0, v[194:195]
	v_cmp_gt_f64_e64 s[0:1], 0, v[192:193]
	v_mov_b32_e32 v198, v192
	v_mov_b32_e32 v200, v194
	v_cndmask_b32_e64 v199, v193, v199, s[0:1]
	v_cndmask_b32_e32 v201, v195, v201, vcc
	v_add_f64 v[198:199], v[198:199], v[200:201]
	v_mov_b32_e32 v202, s16
	s_add_i32 s16, s16, 1
	v_cmp_lt_f64_e32 vcc, v[196:197], v[198:199]
	v_add_u32_e32 v187, 16, v187
	s_cmp_lg_u32 s20, s16
	v_cndmask_b32_e32 v177, v177, v193, vcc
	v_cndmask_b32_e32 v176, v176, v192, vcc
	;; [unrolled: 1-line block ×5, first 2 shown]
	s_cbranch_scc1 .LBB86_127
.LBB86_128:
	s_waitcnt lgkmcnt(0)
	v_cmp_eq_f64_e32 vcc, 0, v[176:177]
	v_cmp_eq_f64_e64 s[0:1], 0, v[178:179]
	s_and_b64 s[0:1], vcc, s[0:1]
	s_and_saveexec_b64 s[16:17], s[0:1]
	s_xor_b64 s[0:1], exec, s[16:17]
; %bb.129:
	v_cmp_ne_u32_e32 vcc, 0, v190
	s_nop 1
	v_cndmask_b32_e32 v190, 7, v190, vcc
; %bb.130:
	s_andn2_saveexec_b64 s[0:1], s[0:1]
	s_cbranch_execz .LBB86_136
; %bb.131:
	v_cmp_ngt_f64_e64 s[16:17], |v[176:177]|, |v[178:179]|
	s_and_saveexec_b64 s[18:19], s[16:17]
	s_xor_b64 s[16:17], exec, s[18:19]
	s_cbranch_execz .LBB86_133
; %bb.132:
	v_div_scale_f64 v[192:193], s[18:19], v[178:179], v[178:179], v[176:177]
	v_rcp_f64_e32 v[194:195], v[192:193]
	v_div_scale_f64 v[196:197], vcc, v[176:177], v[178:179], v[176:177]
	v_fma_f64 v[198:199], -v[192:193], v[194:195], 1.0
	v_fmac_f64_e32 v[194:195], v[194:195], v[198:199]
	v_fma_f64 v[198:199], -v[192:193], v[194:195], 1.0
	v_fmac_f64_e32 v[194:195], v[194:195], v[198:199]
	v_mul_f64 v[198:199], v[196:197], v[194:195]
	v_fma_f64 v[192:193], -v[192:193], v[198:199], v[196:197]
	v_div_fmas_f64 v[192:193], v[192:193], v[194:195], v[198:199]
	v_div_fixup_f64 v[192:193], v[192:193], v[178:179], v[176:177]
	v_fmac_f64_e32 v[178:179], v[176:177], v[192:193]
	v_div_scale_f64 v[176:177], s[18:19], v[178:179], v[178:179], 1.0
	v_rcp_f64_e32 v[194:195], v[176:177]
	s_nop 0
	v_fma_f64 v[196:197], -v[176:177], v[194:195], 1.0
	v_fmac_f64_e32 v[194:195], v[194:195], v[196:197]
	v_fma_f64 v[196:197], -v[176:177], v[194:195], 1.0
	v_fmac_f64_e32 v[194:195], v[194:195], v[196:197]
	v_div_scale_f64 v[196:197], vcc, 1.0, v[178:179], 1.0
	v_mul_f64 v[198:199], v[196:197], v[194:195]
	v_fma_f64 v[176:177], -v[176:177], v[198:199], v[196:197]
	s_nop 1
	v_div_fmas_f64 v[176:177], v[176:177], v[194:195], v[198:199]
	v_div_fixup_f64 v[178:179], v[176:177], v[178:179], 1.0
	v_mul_f64 v[176:177], v[192:193], v[178:179]
	v_xor_b32_e32 v179, 0x80000000, v179
.LBB86_133:
	s_andn2_saveexec_b64 s[16:17], s[16:17]
	s_cbranch_execz .LBB86_135
; %bb.134:
	v_div_scale_f64 v[192:193], s[18:19], v[176:177], v[176:177], v[178:179]
	v_rcp_f64_e32 v[194:195], v[192:193]
	v_div_scale_f64 v[196:197], vcc, v[178:179], v[176:177], v[178:179]
	v_fma_f64 v[198:199], -v[192:193], v[194:195], 1.0
	v_fmac_f64_e32 v[194:195], v[194:195], v[198:199]
	v_fma_f64 v[198:199], -v[192:193], v[194:195], 1.0
	v_fmac_f64_e32 v[194:195], v[194:195], v[198:199]
	v_mul_f64 v[198:199], v[196:197], v[194:195]
	v_fma_f64 v[192:193], -v[192:193], v[198:199], v[196:197]
	v_div_fmas_f64 v[192:193], v[192:193], v[194:195], v[198:199]
	v_div_fixup_f64 v[192:193], v[192:193], v[176:177], v[178:179]
	v_fmac_f64_e32 v[176:177], v[178:179], v[192:193]
	v_div_scale_f64 v[178:179], s[18:19], v[176:177], v[176:177], 1.0
	v_rcp_f64_e32 v[194:195], v[178:179]
	s_nop 0
	v_fma_f64 v[196:197], -v[178:179], v[194:195], 1.0
	v_fmac_f64_e32 v[194:195], v[194:195], v[196:197]
	v_fma_f64 v[196:197], -v[178:179], v[194:195], 1.0
	v_fmac_f64_e32 v[194:195], v[194:195], v[196:197]
	v_div_scale_f64 v[196:197], vcc, 1.0, v[176:177], 1.0
	v_mul_f64 v[198:199], v[196:197], v[194:195]
	v_fma_f64 v[178:179], -v[178:179], v[198:199], v[196:197]
	s_nop 1
	v_div_fmas_f64 v[178:179], v[178:179], v[194:195], v[198:199]
	v_div_fixup_f64 v[176:177], v[178:179], v[176:177], 1.0
	v_mul_f64 v[178:179], v[192:193], -v[176:177]
.LBB86_135:
	s_or_b64 exec, exec, s[16:17]
.LBB86_136:
	s_or_b64 exec, exec, s[0:1]
	v_cmp_ne_u32_e32 vcc, v189, v186
	s_and_saveexec_b64 s[0:1], vcc
	s_xor_b64 s[0:1], exec, s[0:1]
	s_cbranch_execz .LBB86_142
; %bb.137:
	v_cmp_eq_u32_e32 vcc, 6, v189
	s_and_saveexec_b64 s[16:17], vcc
	s_cbranch_execz .LBB86_141
; %bb.138:
	v_cmp_ne_u32_e32 vcc, 6, v186
	s_xor_b64 s[18:19], s[14:15], -1
	s_and_b64 s[22:23], s[18:19], vcc
	s_and_saveexec_b64 s[18:19], s[22:23]
	s_cbranch_execz .LBB86_140
; %bb.139:
	v_ashrrev_i32_e32 v187, 31, v186
	v_lshl_add_u64 v[192:193], v[186:187], 2, v[184:185]
	global_load_dword v187, v[192:193], off
	global_load_dword v189, v[184:185], off offset:24
	s_waitcnt vmcnt(1)
	global_store_dword v[184:185], v187, off offset:24
	s_waitcnt vmcnt(1)
	global_store_dword v[192:193], v189, off
.LBB86_140:
	s_or_b64 exec, exec, s[18:19]
	v_mov_b32_e32 v189, v186
	v_mov_b32_e32 v191, v186
.LBB86_141:
	s_or_b64 exec, exec, s[16:17]
.LBB86_142:
	s_andn2_saveexec_b64 s[0:1], s[0:1]
	s_cbranch_execz .LBB86_144
; %bb.143:
	v_mov_b32_e32 v189, 6
	s_waitcnt vmcnt(36)
	ds_write2_b64 v188, v[148:149], v[150:151] offset0:14 offset1:15
	s_waitcnt vmcnt(35)
	ds_write2_b64 v188, v[144:145], v[146:147] offset0:16 offset1:17
	;; [unrolled: 2-line block ×37, first 2 shown]
.LBB86_144:
	s_or_b64 exec, exec, s[0:1]
	v_cmp_lt_i32_e32 vcc, 6, v189
	s_waitcnt lgkmcnt(0)
	s_barrier
	s_and_saveexec_b64 s[0:1], vcc
	s_cbranch_execz .LBB86_146
; %bb.145:
	ds_read2_b64 v[192:195], v188 offset0:14 offset1:15
	v_mul_f64 v[186:187], v[178:179], v[154:155]
	v_mul_f64 v[154:155], v[176:177], v[154:155]
	v_fmac_f64_e32 v[154:155], v[178:179], v[152:153]
	v_fma_f64 v[186:187], v[176:177], v[152:153], -v[186:187]
	ds_read2_b64 v[176:179], v188 offset0:16 offset1:17
	s_waitcnt lgkmcnt(1)
	v_mul_f64 v[152:153], v[194:195], v[154:155]
	v_fma_f64 v[152:153], v[192:193], v[186:187], -v[152:153]
	v_mul_f64 v[192:193], v[192:193], v[154:155]
	v_fmac_f64_e32 v[192:193], v[194:195], v[186:187]
	s_waitcnt vmcnt(36)
	v_add_f64 v[150:151], v[150:151], -v[192:193]
	ds_read2_b64 v[192:195], v188 offset0:18 offset1:19
	v_add_f64 v[148:149], v[148:149], -v[152:153]
	s_waitcnt lgkmcnt(1)
	v_mul_f64 v[152:153], v[178:179], v[154:155]
	v_fma_f64 v[152:153], v[176:177], v[186:187], -v[152:153]
	v_mul_f64 v[176:177], v[176:177], v[154:155]
	v_fmac_f64_e32 v[176:177], v[178:179], v[186:187]
	s_waitcnt vmcnt(35)
	v_add_f64 v[144:145], v[144:145], -v[152:153]
	v_add_f64 v[146:147], v[146:147], -v[176:177]
	ds_read2_b64 v[176:179], v188 offset0:20 offset1:21
	s_waitcnt lgkmcnt(1)
	v_mul_f64 v[152:153], v[194:195], v[154:155]
	v_fma_f64 v[152:153], v[192:193], v[186:187], -v[152:153]
	v_mul_f64 v[192:193], v[192:193], v[154:155]
	v_fmac_f64_e32 v[192:193], v[194:195], v[186:187]
	s_waitcnt vmcnt(34)
	v_add_f64 v[142:143], v[142:143], -v[192:193]
	ds_read2_b64 v[192:195], v188 offset0:22 offset1:23
	v_add_f64 v[140:141], v[140:141], -v[152:153]
	s_waitcnt lgkmcnt(1)
	v_mul_f64 v[152:153], v[178:179], v[154:155]
	v_fma_f64 v[152:153], v[176:177], v[186:187], -v[152:153]
	v_mul_f64 v[176:177], v[176:177], v[154:155]
	v_fmac_f64_e32 v[176:177], v[178:179], v[186:187]
	s_waitcnt vmcnt(33)
	v_add_f64 v[136:137], v[136:137], -v[152:153]
	v_add_f64 v[138:139], v[138:139], -v[176:177]
	;; [unrolled: 18-line block ×18, first 2 shown]
	s_waitcnt lgkmcnt(0)
	v_mul_f64 v[152:153], v[194:195], v[154:155]
	v_mul_f64 v[176:177], v[192:193], v[154:155]
	v_fma_f64 v[152:153], v[192:193], v[186:187], -v[152:153]
	v_fmac_f64_e32 v[176:177], v[194:195], v[186:187]
	s_waitcnt vmcnt(0)
	v_add_f64 v[172:173], v[172:173], -v[152:153]
	v_add_f64 v[174:175], v[174:175], -v[176:177]
	v_mov_b64_e32 v[152:153], v[186:187]
.LBB86_146:
	s_or_b64 exec, exec, s[0:1]
	v_lshl_add_u32 v176, v189, 4, v188
	s_barrier
	s_waitcnt vmcnt(36)
	ds_write2_b64 v176, v[148:149], v[150:151] offset1:1
	s_waitcnt lgkmcnt(0)
	s_barrier
	ds_read2_b64 v[176:179], v188 offset0:14 offset1:15
	s_cmp_lt_i32 s20, 9
	v_mov_b32_e32 v186, 7
	s_cbranch_scc1 .LBB86_149
; %bb.147:
	v_add_u32_e32 v187, 0x80, v188
	s_mov_b32 s16, 8
	v_mov_b32_e32 v186, 7
.LBB86_148:                             ; =>This Inner Loop Header: Depth=1
	ds_read2_b64 v[192:195], v187 offset1:1
	s_waitcnt lgkmcnt(1)
	v_xor_b32_e32 v197, 0x80000000, v177
	v_xor_b32_e32 v199, 0x80000000, v179
	v_cmp_gt_f64_e32 vcc, 0, v[178:179]
	v_cmp_gt_f64_e64 s[0:1], 0, v[176:177]
	v_mov_b32_e32 v196, v176
	v_mov_b32_e32 v198, v178
	v_cndmask_b32_e64 v197, v177, v197, s[0:1]
	v_cndmask_b32_e32 v199, v179, v199, vcc
	v_add_f64 v[196:197], v[196:197], v[198:199]
	s_waitcnt lgkmcnt(0)
	v_xor_b32_e32 v199, 0x80000000, v193
	v_xor_b32_e32 v201, 0x80000000, v195
	v_cmp_gt_f64_e32 vcc, 0, v[194:195]
	v_cmp_gt_f64_e64 s[0:1], 0, v[192:193]
	v_mov_b32_e32 v198, v192
	v_mov_b32_e32 v200, v194
	v_cndmask_b32_e64 v199, v193, v199, s[0:1]
	v_cndmask_b32_e32 v201, v195, v201, vcc
	v_add_f64 v[198:199], v[198:199], v[200:201]
	v_mov_b32_e32 v202, s16
	s_add_i32 s16, s16, 1
	v_cmp_lt_f64_e32 vcc, v[196:197], v[198:199]
	v_add_u32_e32 v187, 16, v187
	s_cmp_lg_u32 s20, s16
	v_cndmask_b32_e32 v177, v177, v193, vcc
	v_cndmask_b32_e32 v176, v176, v192, vcc
	;; [unrolled: 1-line block ×5, first 2 shown]
	s_cbranch_scc1 .LBB86_148
.LBB86_149:
	s_waitcnt lgkmcnt(0)
	v_cmp_eq_f64_e32 vcc, 0, v[176:177]
	v_cmp_eq_f64_e64 s[0:1], 0, v[178:179]
	s_and_b64 s[0:1], vcc, s[0:1]
	s_and_saveexec_b64 s[16:17], s[0:1]
	s_xor_b64 s[0:1], exec, s[16:17]
; %bb.150:
	v_cmp_ne_u32_e32 vcc, 0, v190
	s_nop 1
	v_cndmask_b32_e32 v190, 8, v190, vcc
; %bb.151:
	s_andn2_saveexec_b64 s[0:1], s[0:1]
	s_cbranch_execz .LBB86_157
; %bb.152:
	v_cmp_ngt_f64_e64 s[16:17], |v[176:177]|, |v[178:179]|
	s_and_saveexec_b64 s[18:19], s[16:17]
	s_xor_b64 s[16:17], exec, s[18:19]
	s_cbranch_execz .LBB86_154
; %bb.153:
	v_div_scale_f64 v[192:193], s[18:19], v[178:179], v[178:179], v[176:177]
	v_rcp_f64_e32 v[194:195], v[192:193]
	v_div_scale_f64 v[196:197], vcc, v[176:177], v[178:179], v[176:177]
	v_fma_f64 v[198:199], -v[192:193], v[194:195], 1.0
	v_fmac_f64_e32 v[194:195], v[194:195], v[198:199]
	v_fma_f64 v[198:199], -v[192:193], v[194:195], 1.0
	v_fmac_f64_e32 v[194:195], v[194:195], v[198:199]
	v_mul_f64 v[198:199], v[196:197], v[194:195]
	v_fma_f64 v[192:193], -v[192:193], v[198:199], v[196:197]
	v_div_fmas_f64 v[192:193], v[192:193], v[194:195], v[198:199]
	v_div_fixup_f64 v[192:193], v[192:193], v[178:179], v[176:177]
	v_fmac_f64_e32 v[178:179], v[176:177], v[192:193]
	v_div_scale_f64 v[176:177], s[18:19], v[178:179], v[178:179], 1.0
	v_rcp_f64_e32 v[194:195], v[176:177]
	s_nop 0
	v_fma_f64 v[196:197], -v[176:177], v[194:195], 1.0
	v_fmac_f64_e32 v[194:195], v[194:195], v[196:197]
	v_fma_f64 v[196:197], -v[176:177], v[194:195], 1.0
	v_fmac_f64_e32 v[194:195], v[194:195], v[196:197]
	v_div_scale_f64 v[196:197], vcc, 1.0, v[178:179], 1.0
	v_mul_f64 v[198:199], v[196:197], v[194:195]
	v_fma_f64 v[176:177], -v[176:177], v[198:199], v[196:197]
	s_nop 1
	v_div_fmas_f64 v[176:177], v[176:177], v[194:195], v[198:199]
	v_div_fixup_f64 v[178:179], v[176:177], v[178:179], 1.0
	v_mul_f64 v[176:177], v[192:193], v[178:179]
	v_xor_b32_e32 v179, 0x80000000, v179
.LBB86_154:
	s_andn2_saveexec_b64 s[16:17], s[16:17]
	s_cbranch_execz .LBB86_156
; %bb.155:
	v_div_scale_f64 v[192:193], s[18:19], v[176:177], v[176:177], v[178:179]
	v_rcp_f64_e32 v[194:195], v[192:193]
	v_div_scale_f64 v[196:197], vcc, v[178:179], v[176:177], v[178:179]
	v_fma_f64 v[198:199], -v[192:193], v[194:195], 1.0
	v_fmac_f64_e32 v[194:195], v[194:195], v[198:199]
	v_fma_f64 v[198:199], -v[192:193], v[194:195], 1.0
	v_fmac_f64_e32 v[194:195], v[194:195], v[198:199]
	v_mul_f64 v[198:199], v[196:197], v[194:195]
	v_fma_f64 v[192:193], -v[192:193], v[198:199], v[196:197]
	v_div_fmas_f64 v[192:193], v[192:193], v[194:195], v[198:199]
	v_div_fixup_f64 v[192:193], v[192:193], v[176:177], v[178:179]
	v_fmac_f64_e32 v[176:177], v[178:179], v[192:193]
	v_div_scale_f64 v[178:179], s[18:19], v[176:177], v[176:177], 1.0
	v_rcp_f64_e32 v[194:195], v[178:179]
	s_nop 0
	v_fma_f64 v[196:197], -v[178:179], v[194:195], 1.0
	v_fmac_f64_e32 v[194:195], v[194:195], v[196:197]
	v_fma_f64 v[196:197], -v[178:179], v[194:195], 1.0
	v_fmac_f64_e32 v[194:195], v[194:195], v[196:197]
	v_div_scale_f64 v[196:197], vcc, 1.0, v[176:177], 1.0
	v_mul_f64 v[198:199], v[196:197], v[194:195]
	v_fma_f64 v[178:179], -v[178:179], v[198:199], v[196:197]
	s_nop 1
	v_div_fmas_f64 v[178:179], v[178:179], v[194:195], v[198:199]
	v_div_fixup_f64 v[176:177], v[178:179], v[176:177], 1.0
	v_mul_f64 v[178:179], v[192:193], -v[176:177]
.LBB86_156:
	s_or_b64 exec, exec, s[16:17]
.LBB86_157:
	s_or_b64 exec, exec, s[0:1]
	v_cmp_ne_u32_e32 vcc, v189, v186
	s_and_saveexec_b64 s[0:1], vcc
	s_xor_b64 s[0:1], exec, s[0:1]
	s_cbranch_execz .LBB86_163
; %bb.158:
	v_cmp_eq_u32_e32 vcc, 7, v189
	s_and_saveexec_b64 s[16:17], vcc
	s_cbranch_execz .LBB86_162
; %bb.159:
	v_cmp_ne_u32_e32 vcc, 7, v186
	s_xor_b64 s[18:19], s[14:15], -1
	s_and_b64 s[22:23], s[18:19], vcc
	s_and_saveexec_b64 s[18:19], s[22:23]
	s_cbranch_execz .LBB86_161
; %bb.160:
	v_ashrrev_i32_e32 v187, 31, v186
	v_lshl_add_u64 v[192:193], v[186:187], 2, v[184:185]
	global_load_dword v187, v[192:193], off
	global_load_dword v189, v[184:185], off offset:28
	s_waitcnt vmcnt(1)
	global_store_dword v[184:185], v187, off offset:28
	s_waitcnt vmcnt(1)
	global_store_dword v[192:193], v189, off
.LBB86_161:
	s_or_b64 exec, exec, s[18:19]
	v_mov_b32_e32 v189, v186
	v_mov_b32_e32 v191, v186
.LBB86_162:
	s_or_b64 exec, exec, s[16:17]
.LBB86_163:
	s_andn2_saveexec_b64 s[0:1], s[0:1]
	s_cbranch_execz .LBB86_165
; %bb.164:
	v_mov_b32_e32 v189, 7
	s_waitcnt vmcnt(35)
	ds_write2_b64 v188, v[144:145], v[146:147] offset0:16 offset1:17
	s_waitcnt vmcnt(34)
	ds_write2_b64 v188, v[140:141], v[142:143] offset0:18 offset1:19
	;; [unrolled: 2-line block ×36, first 2 shown]
.LBB86_165:
	s_or_b64 exec, exec, s[0:1]
	v_cmp_lt_i32_e32 vcc, 7, v189
	s_waitcnt lgkmcnt(0)
	s_barrier
	s_and_saveexec_b64 s[0:1], vcc
	s_cbranch_execz .LBB86_167
; %bb.166:
	ds_read2_b64 v[192:195], v188 offset0:16 offset1:17
	v_mul_f64 v[186:187], v[178:179], v[150:151]
	v_mul_f64 v[150:151], v[176:177], v[150:151]
	v_fma_f64 v[186:187], v[176:177], v[148:149], -v[186:187]
	v_fmac_f64_e32 v[150:151], v[178:179], v[148:149]
	ds_read2_b64 v[176:179], v188 offset0:18 offset1:19
	s_waitcnt lgkmcnt(1)
	v_mul_f64 v[148:149], v[194:195], v[150:151]
	v_fma_f64 v[148:149], v[192:193], v[186:187], -v[148:149]
	v_mul_f64 v[192:193], v[192:193], v[150:151]
	v_fmac_f64_e32 v[192:193], v[194:195], v[186:187]
	s_waitcnt vmcnt(35)
	v_add_f64 v[144:145], v[144:145], -v[148:149]
	s_waitcnt lgkmcnt(0)
	v_mul_f64 v[148:149], v[178:179], v[150:151]
	v_add_f64 v[146:147], v[146:147], -v[192:193]
	v_fma_f64 v[148:149], v[176:177], v[186:187], -v[148:149]
	v_mul_f64 v[176:177], v[176:177], v[150:151]
	ds_read2_b64 v[192:195], v188 offset0:20 offset1:21
	v_fmac_f64_e32 v[176:177], v[178:179], v[186:187]
	s_waitcnt vmcnt(34)
	v_add_f64 v[142:143], v[142:143], -v[176:177]
	ds_read2_b64 v[176:179], v188 offset0:22 offset1:23
	v_add_f64 v[140:141], v[140:141], -v[148:149]
	s_waitcnt lgkmcnt(1)
	v_mul_f64 v[148:149], v[194:195], v[150:151]
	v_fma_f64 v[148:149], v[192:193], v[186:187], -v[148:149]
	v_mul_f64 v[192:193], v[192:193], v[150:151]
	v_fmac_f64_e32 v[192:193], v[194:195], v[186:187]
	s_waitcnt vmcnt(33)
	v_add_f64 v[136:137], v[136:137], -v[148:149]
	s_waitcnt lgkmcnt(0)
	v_mul_f64 v[148:149], v[178:179], v[150:151]
	v_add_f64 v[138:139], v[138:139], -v[192:193]
	v_fma_f64 v[148:149], v[176:177], v[186:187], -v[148:149]
	v_mul_f64 v[176:177], v[176:177], v[150:151]
	ds_read2_b64 v[192:195], v188 offset0:24 offset1:25
	v_fmac_f64_e32 v[176:177], v[178:179], v[186:187]
	s_waitcnt vmcnt(32)
	v_add_f64 v[134:135], v[134:135], -v[176:177]
	ds_read2_b64 v[176:179], v188 offset0:26 offset1:27
	v_add_f64 v[132:133], v[132:133], -v[148:149]
	;; [unrolled: 18-line block ×17, first 2 shown]
	s_waitcnt lgkmcnt(1)
	v_mul_f64 v[148:149], v[194:195], v[150:151]
	v_fma_f64 v[148:149], v[192:193], v[186:187], -v[148:149]
	s_waitcnt vmcnt(1)
	v_add_f64 v[0:1], v[0:1], -v[148:149]
	s_waitcnt lgkmcnt(0)
	v_mul_f64 v[148:149], v[178:179], v[150:151]
	v_mul_f64 v[192:193], v[192:193], v[150:151]
	v_fma_f64 v[148:149], v[176:177], v[186:187], -v[148:149]
	v_mul_f64 v[176:177], v[176:177], v[150:151]
	v_fmac_f64_e32 v[192:193], v[194:195], v[186:187]
	v_fmac_f64_e32 v[176:177], v[178:179], v[186:187]
	v_add_f64 v[2:3], v[2:3], -v[192:193]
	s_waitcnt vmcnt(0)
	v_add_f64 v[172:173], v[172:173], -v[148:149]
	v_add_f64 v[174:175], v[174:175], -v[176:177]
	v_mov_b64_e32 v[148:149], v[186:187]
.LBB86_167:
	s_or_b64 exec, exec, s[0:1]
	v_lshl_add_u32 v176, v189, 4, v188
	s_barrier
	s_waitcnt vmcnt(35)
	ds_write2_b64 v176, v[144:145], v[146:147] offset1:1
	s_waitcnt lgkmcnt(0)
	s_barrier
	ds_read2_b64 v[176:179], v188 offset0:16 offset1:17
	s_cmp_lt_i32 s20, 10
	v_mov_b32_e32 v186, 8
	s_cbranch_scc1 .LBB86_170
; %bb.168:
	v_add_u32_e32 v187, 0x90, v188
	s_mov_b32 s16, 9
	v_mov_b32_e32 v186, 8
.LBB86_169:                             ; =>This Inner Loop Header: Depth=1
	ds_read2_b64 v[192:195], v187 offset1:1
	s_waitcnt lgkmcnt(1)
	v_xor_b32_e32 v197, 0x80000000, v177
	v_xor_b32_e32 v199, 0x80000000, v179
	v_cmp_gt_f64_e32 vcc, 0, v[178:179]
	v_cmp_gt_f64_e64 s[0:1], 0, v[176:177]
	v_mov_b32_e32 v196, v176
	v_mov_b32_e32 v198, v178
	v_cndmask_b32_e64 v197, v177, v197, s[0:1]
	v_cndmask_b32_e32 v199, v179, v199, vcc
	v_add_f64 v[196:197], v[196:197], v[198:199]
	s_waitcnt lgkmcnt(0)
	v_xor_b32_e32 v199, 0x80000000, v193
	v_xor_b32_e32 v201, 0x80000000, v195
	v_cmp_gt_f64_e32 vcc, 0, v[194:195]
	v_cmp_gt_f64_e64 s[0:1], 0, v[192:193]
	v_mov_b32_e32 v198, v192
	v_mov_b32_e32 v200, v194
	v_cndmask_b32_e64 v199, v193, v199, s[0:1]
	v_cndmask_b32_e32 v201, v195, v201, vcc
	v_add_f64 v[198:199], v[198:199], v[200:201]
	v_mov_b32_e32 v202, s16
	s_add_i32 s16, s16, 1
	v_cmp_lt_f64_e32 vcc, v[196:197], v[198:199]
	v_add_u32_e32 v187, 16, v187
	s_cmp_lg_u32 s20, s16
	v_cndmask_b32_e32 v177, v177, v193, vcc
	v_cndmask_b32_e32 v176, v176, v192, vcc
	;; [unrolled: 1-line block ×5, first 2 shown]
	s_cbranch_scc1 .LBB86_169
.LBB86_170:
	s_waitcnt lgkmcnt(0)
	v_cmp_eq_f64_e32 vcc, 0, v[176:177]
	v_cmp_eq_f64_e64 s[0:1], 0, v[178:179]
	s_and_b64 s[0:1], vcc, s[0:1]
	s_and_saveexec_b64 s[16:17], s[0:1]
	s_xor_b64 s[0:1], exec, s[16:17]
; %bb.171:
	v_cmp_ne_u32_e32 vcc, 0, v190
	s_nop 1
	v_cndmask_b32_e32 v190, 9, v190, vcc
; %bb.172:
	s_andn2_saveexec_b64 s[0:1], s[0:1]
	s_cbranch_execz .LBB86_178
; %bb.173:
	v_cmp_ngt_f64_e64 s[16:17], |v[176:177]|, |v[178:179]|
	s_and_saveexec_b64 s[18:19], s[16:17]
	s_xor_b64 s[16:17], exec, s[18:19]
	s_cbranch_execz .LBB86_175
; %bb.174:
	v_div_scale_f64 v[192:193], s[18:19], v[178:179], v[178:179], v[176:177]
	v_rcp_f64_e32 v[194:195], v[192:193]
	v_div_scale_f64 v[196:197], vcc, v[176:177], v[178:179], v[176:177]
	v_fma_f64 v[198:199], -v[192:193], v[194:195], 1.0
	v_fmac_f64_e32 v[194:195], v[194:195], v[198:199]
	v_fma_f64 v[198:199], -v[192:193], v[194:195], 1.0
	v_fmac_f64_e32 v[194:195], v[194:195], v[198:199]
	v_mul_f64 v[198:199], v[196:197], v[194:195]
	v_fma_f64 v[192:193], -v[192:193], v[198:199], v[196:197]
	v_div_fmas_f64 v[192:193], v[192:193], v[194:195], v[198:199]
	v_div_fixup_f64 v[192:193], v[192:193], v[178:179], v[176:177]
	v_fmac_f64_e32 v[178:179], v[176:177], v[192:193]
	v_div_scale_f64 v[176:177], s[18:19], v[178:179], v[178:179], 1.0
	v_rcp_f64_e32 v[194:195], v[176:177]
	s_nop 0
	v_fma_f64 v[196:197], -v[176:177], v[194:195], 1.0
	v_fmac_f64_e32 v[194:195], v[194:195], v[196:197]
	v_fma_f64 v[196:197], -v[176:177], v[194:195], 1.0
	v_fmac_f64_e32 v[194:195], v[194:195], v[196:197]
	v_div_scale_f64 v[196:197], vcc, 1.0, v[178:179], 1.0
	v_mul_f64 v[198:199], v[196:197], v[194:195]
	v_fma_f64 v[176:177], -v[176:177], v[198:199], v[196:197]
	s_nop 1
	v_div_fmas_f64 v[176:177], v[176:177], v[194:195], v[198:199]
	v_div_fixup_f64 v[178:179], v[176:177], v[178:179], 1.0
	v_mul_f64 v[176:177], v[192:193], v[178:179]
	v_xor_b32_e32 v179, 0x80000000, v179
.LBB86_175:
	s_andn2_saveexec_b64 s[16:17], s[16:17]
	s_cbranch_execz .LBB86_177
; %bb.176:
	v_div_scale_f64 v[192:193], s[18:19], v[176:177], v[176:177], v[178:179]
	v_rcp_f64_e32 v[194:195], v[192:193]
	v_div_scale_f64 v[196:197], vcc, v[178:179], v[176:177], v[178:179]
	v_fma_f64 v[198:199], -v[192:193], v[194:195], 1.0
	v_fmac_f64_e32 v[194:195], v[194:195], v[198:199]
	v_fma_f64 v[198:199], -v[192:193], v[194:195], 1.0
	v_fmac_f64_e32 v[194:195], v[194:195], v[198:199]
	v_mul_f64 v[198:199], v[196:197], v[194:195]
	v_fma_f64 v[192:193], -v[192:193], v[198:199], v[196:197]
	v_div_fmas_f64 v[192:193], v[192:193], v[194:195], v[198:199]
	v_div_fixup_f64 v[192:193], v[192:193], v[176:177], v[178:179]
	v_fmac_f64_e32 v[176:177], v[178:179], v[192:193]
	v_div_scale_f64 v[178:179], s[18:19], v[176:177], v[176:177], 1.0
	v_rcp_f64_e32 v[194:195], v[178:179]
	s_nop 0
	v_fma_f64 v[196:197], -v[178:179], v[194:195], 1.0
	v_fmac_f64_e32 v[194:195], v[194:195], v[196:197]
	v_fma_f64 v[196:197], -v[178:179], v[194:195], 1.0
	v_fmac_f64_e32 v[194:195], v[194:195], v[196:197]
	v_div_scale_f64 v[196:197], vcc, 1.0, v[176:177], 1.0
	v_mul_f64 v[198:199], v[196:197], v[194:195]
	v_fma_f64 v[178:179], -v[178:179], v[198:199], v[196:197]
	s_nop 1
	v_div_fmas_f64 v[178:179], v[178:179], v[194:195], v[198:199]
	v_div_fixup_f64 v[176:177], v[178:179], v[176:177], 1.0
	v_mul_f64 v[178:179], v[192:193], -v[176:177]
.LBB86_177:
	s_or_b64 exec, exec, s[16:17]
.LBB86_178:
	s_or_b64 exec, exec, s[0:1]
	v_cmp_ne_u32_e32 vcc, v189, v186
	s_and_saveexec_b64 s[0:1], vcc
	s_xor_b64 s[0:1], exec, s[0:1]
	s_cbranch_execz .LBB86_184
; %bb.179:
	v_cmp_eq_u32_e32 vcc, 8, v189
	s_and_saveexec_b64 s[16:17], vcc
	s_cbranch_execz .LBB86_183
; %bb.180:
	v_cmp_ne_u32_e32 vcc, 8, v186
	s_xor_b64 s[18:19], s[14:15], -1
	s_and_b64 s[22:23], s[18:19], vcc
	s_and_saveexec_b64 s[18:19], s[22:23]
	s_cbranch_execz .LBB86_182
; %bb.181:
	v_ashrrev_i32_e32 v187, 31, v186
	v_lshl_add_u64 v[192:193], v[186:187], 2, v[184:185]
	global_load_dword v187, v[192:193], off
	global_load_dword v189, v[184:185], off offset:32
	s_waitcnt vmcnt(1)
	global_store_dword v[184:185], v187, off offset:32
	s_waitcnt vmcnt(1)
	global_store_dword v[192:193], v189, off
.LBB86_182:
	s_or_b64 exec, exec, s[18:19]
	v_mov_b32_e32 v189, v186
	v_mov_b32_e32 v191, v186
.LBB86_183:
	s_or_b64 exec, exec, s[16:17]
.LBB86_184:
	s_andn2_saveexec_b64 s[0:1], s[0:1]
	s_cbranch_execz .LBB86_186
; %bb.185:
	v_mov_b32_e32 v189, 8
	s_waitcnt vmcnt(34)
	ds_write2_b64 v188, v[140:141], v[142:143] offset0:18 offset1:19
	s_waitcnt vmcnt(33)
	ds_write2_b64 v188, v[136:137], v[138:139] offset0:20 offset1:21
	;; [unrolled: 2-line block ×35, first 2 shown]
.LBB86_186:
	s_or_b64 exec, exec, s[0:1]
	v_cmp_lt_i32_e32 vcc, 8, v189
	s_waitcnt lgkmcnt(0)
	s_barrier
	s_and_saveexec_b64 s[0:1], vcc
	s_cbranch_execz .LBB86_188
; %bb.187:
	ds_read2_b64 v[192:195], v188 offset0:18 offset1:19
	v_mul_f64 v[186:187], v[178:179], v[146:147]
	v_mul_f64 v[146:147], v[176:177], v[146:147]
	v_fmac_f64_e32 v[146:147], v[178:179], v[144:145]
	v_fma_f64 v[186:187], v[176:177], v[144:145], -v[186:187]
	ds_read2_b64 v[176:179], v188 offset0:20 offset1:21
	s_waitcnt lgkmcnt(1)
	v_mul_f64 v[144:145], v[194:195], v[146:147]
	v_fma_f64 v[144:145], v[192:193], v[186:187], -v[144:145]
	v_mul_f64 v[192:193], v[192:193], v[146:147]
	v_fmac_f64_e32 v[192:193], v[194:195], v[186:187]
	s_waitcnt vmcnt(34)
	v_add_f64 v[142:143], v[142:143], -v[192:193]
	ds_read2_b64 v[192:195], v188 offset0:22 offset1:23
	v_add_f64 v[140:141], v[140:141], -v[144:145]
	s_waitcnt lgkmcnt(1)
	v_mul_f64 v[144:145], v[178:179], v[146:147]
	v_fma_f64 v[144:145], v[176:177], v[186:187], -v[144:145]
	v_mul_f64 v[176:177], v[176:177], v[146:147]
	v_fmac_f64_e32 v[176:177], v[178:179], v[186:187]
	s_waitcnt vmcnt(33)
	v_add_f64 v[136:137], v[136:137], -v[144:145]
	v_add_f64 v[138:139], v[138:139], -v[176:177]
	ds_read2_b64 v[176:179], v188 offset0:24 offset1:25
	s_waitcnt lgkmcnt(1)
	v_mul_f64 v[144:145], v[194:195], v[146:147]
	v_fma_f64 v[144:145], v[192:193], v[186:187], -v[144:145]
	v_mul_f64 v[192:193], v[192:193], v[146:147]
	v_fmac_f64_e32 v[192:193], v[194:195], v[186:187]
	s_waitcnt vmcnt(32)
	v_add_f64 v[134:135], v[134:135], -v[192:193]
	ds_read2_b64 v[192:195], v188 offset0:26 offset1:27
	v_add_f64 v[132:133], v[132:133], -v[144:145]
	s_waitcnt lgkmcnt(1)
	v_mul_f64 v[144:145], v[178:179], v[146:147]
	v_fma_f64 v[144:145], v[176:177], v[186:187], -v[144:145]
	v_mul_f64 v[176:177], v[176:177], v[146:147]
	v_fmac_f64_e32 v[176:177], v[178:179], v[186:187]
	s_waitcnt vmcnt(31)
	v_add_f64 v[128:129], v[128:129], -v[144:145]
	v_add_f64 v[130:131], v[130:131], -v[176:177]
	;; [unrolled: 18-line block ×17, first 2 shown]
	s_waitcnt lgkmcnt(0)
	v_mul_f64 v[144:145], v[194:195], v[146:147]
	v_mul_f64 v[176:177], v[192:193], v[146:147]
	v_fma_f64 v[144:145], v[192:193], v[186:187], -v[144:145]
	v_fmac_f64_e32 v[176:177], v[194:195], v[186:187]
	s_waitcnt vmcnt(0)
	v_add_f64 v[172:173], v[172:173], -v[144:145]
	v_add_f64 v[174:175], v[174:175], -v[176:177]
	v_mov_b64_e32 v[144:145], v[186:187]
.LBB86_188:
	s_or_b64 exec, exec, s[0:1]
	v_lshl_add_u32 v176, v189, 4, v188
	s_barrier
	s_waitcnt vmcnt(34)
	ds_write2_b64 v176, v[140:141], v[142:143] offset1:1
	s_waitcnt lgkmcnt(0)
	s_barrier
	ds_read2_b64 v[176:179], v188 offset0:18 offset1:19
	s_cmp_lt_i32 s20, 11
	v_mov_b32_e32 v186, 9
	s_cbranch_scc1 .LBB86_191
; %bb.189:
	v_add_u32_e32 v187, 0xa0, v188
	s_mov_b32 s16, 10
	v_mov_b32_e32 v186, 9
.LBB86_190:                             ; =>This Inner Loop Header: Depth=1
	ds_read2_b64 v[192:195], v187 offset1:1
	s_waitcnt lgkmcnt(1)
	v_xor_b32_e32 v197, 0x80000000, v177
	v_xor_b32_e32 v199, 0x80000000, v179
	v_cmp_gt_f64_e32 vcc, 0, v[178:179]
	v_cmp_gt_f64_e64 s[0:1], 0, v[176:177]
	v_mov_b32_e32 v196, v176
	v_mov_b32_e32 v198, v178
	v_cndmask_b32_e64 v197, v177, v197, s[0:1]
	v_cndmask_b32_e32 v199, v179, v199, vcc
	v_add_f64 v[196:197], v[196:197], v[198:199]
	s_waitcnt lgkmcnt(0)
	v_xor_b32_e32 v199, 0x80000000, v193
	v_xor_b32_e32 v201, 0x80000000, v195
	v_cmp_gt_f64_e32 vcc, 0, v[194:195]
	v_cmp_gt_f64_e64 s[0:1], 0, v[192:193]
	v_mov_b32_e32 v198, v192
	v_mov_b32_e32 v200, v194
	v_cndmask_b32_e64 v199, v193, v199, s[0:1]
	v_cndmask_b32_e32 v201, v195, v201, vcc
	v_add_f64 v[198:199], v[198:199], v[200:201]
	v_mov_b32_e32 v202, s16
	s_add_i32 s16, s16, 1
	v_cmp_lt_f64_e32 vcc, v[196:197], v[198:199]
	v_add_u32_e32 v187, 16, v187
	s_cmp_lg_u32 s20, s16
	v_cndmask_b32_e32 v177, v177, v193, vcc
	v_cndmask_b32_e32 v176, v176, v192, vcc
	;; [unrolled: 1-line block ×5, first 2 shown]
	s_cbranch_scc1 .LBB86_190
.LBB86_191:
	s_waitcnt lgkmcnt(0)
	v_cmp_eq_f64_e32 vcc, 0, v[176:177]
	v_cmp_eq_f64_e64 s[0:1], 0, v[178:179]
	s_and_b64 s[0:1], vcc, s[0:1]
	s_and_saveexec_b64 s[16:17], s[0:1]
	s_xor_b64 s[0:1], exec, s[16:17]
; %bb.192:
	v_cmp_ne_u32_e32 vcc, 0, v190
	s_nop 1
	v_cndmask_b32_e32 v190, 10, v190, vcc
; %bb.193:
	s_andn2_saveexec_b64 s[0:1], s[0:1]
	s_cbranch_execz .LBB86_199
; %bb.194:
	v_cmp_ngt_f64_e64 s[16:17], |v[176:177]|, |v[178:179]|
	s_and_saveexec_b64 s[18:19], s[16:17]
	s_xor_b64 s[16:17], exec, s[18:19]
	s_cbranch_execz .LBB86_196
; %bb.195:
	v_div_scale_f64 v[192:193], s[18:19], v[178:179], v[178:179], v[176:177]
	v_rcp_f64_e32 v[194:195], v[192:193]
	v_div_scale_f64 v[196:197], vcc, v[176:177], v[178:179], v[176:177]
	v_fma_f64 v[198:199], -v[192:193], v[194:195], 1.0
	v_fmac_f64_e32 v[194:195], v[194:195], v[198:199]
	v_fma_f64 v[198:199], -v[192:193], v[194:195], 1.0
	v_fmac_f64_e32 v[194:195], v[194:195], v[198:199]
	v_mul_f64 v[198:199], v[196:197], v[194:195]
	v_fma_f64 v[192:193], -v[192:193], v[198:199], v[196:197]
	v_div_fmas_f64 v[192:193], v[192:193], v[194:195], v[198:199]
	v_div_fixup_f64 v[192:193], v[192:193], v[178:179], v[176:177]
	v_fmac_f64_e32 v[178:179], v[176:177], v[192:193]
	v_div_scale_f64 v[176:177], s[18:19], v[178:179], v[178:179], 1.0
	v_rcp_f64_e32 v[194:195], v[176:177]
	s_nop 0
	v_fma_f64 v[196:197], -v[176:177], v[194:195], 1.0
	v_fmac_f64_e32 v[194:195], v[194:195], v[196:197]
	v_fma_f64 v[196:197], -v[176:177], v[194:195], 1.0
	v_fmac_f64_e32 v[194:195], v[194:195], v[196:197]
	v_div_scale_f64 v[196:197], vcc, 1.0, v[178:179], 1.0
	v_mul_f64 v[198:199], v[196:197], v[194:195]
	v_fma_f64 v[176:177], -v[176:177], v[198:199], v[196:197]
	s_nop 1
	v_div_fmas_f64 v[176:177], v[176:177], v[194:195], v[198:199]
	v_div_fixup_f64 v[178:179], v[176:177], v[178:179], 1.0
	v_mul_f64 v[176:177], v[192:193], v[178:179]
	v_xor_b32_e32 v179, 0x80000000, v179
.LBB86_196:
	s_andn2_saveexec_b64 s[16:17], s[16:17]
	s_cbranch_execz .LBB86_198
; %bb.197:
	v_div_scale_f64 v[192:193], s[18:19], v[176:177], v[176:177], v[178:179]
	v_rcp_f64_e32 v[194:195], v[192:193]
	v_div_scale_f64 v[196:197], vcc, v[178:179], v[176:177], v[178:179]
	v_fma_f64 v[198:199], -v[192:193], v[194:195], 1.0
	v_fmac_f64_e32 v[194:195], v[194:195], v[198:199]
	v_fma_f64 v[198:199], -v[192:193], v[194:195], 1.0
	v_fmac_f64_e32 v[194:195], v[194:195], v[198:199]
	v_mul_f64 v[198:199], v[196:197], v[194:195]
	v_fma_f64 v[192:193], -v[192:193], v[198:199], v[196:197]
	v_div_fmas_f64 v[192:193], v[192:193], v[194:195], v[198:199]
	v_div_fixup_f64 v[192:193], v[192:193], v[176:177], v[178:179]
	v_fmac_f64_e32 v[176:177], v[178:179], v[192:193]
	v_div_scale_f64 v[178:179], s[18:19], v[176:177], v[176:177], 1.0
	v_rcp_f64_e32 v[194:195], v[178:179]
	s_nop 0
	v_fma_f64 v[196:197], -v[178:179], v[194:195], 1.0
	v_fmac_f64_e32 v[194:195], v[194:195], v[196:197]
	v_fma_f64 v[196:197], -v[178:179], v[194:195], 1.0
	v_fmac_f64_e32 v[194:195], v[194:195], v[196:197]
	v_div_scale_f64 v[196:197], vcc, 1.0, v[176:177], 1.0
	v_mul_f64 v[198:199], v[196:197], v[194:195]
	v_fma_f64 v[178:179], -v[178:179], v[198:199], v[196:197]
	s_nop 1
	v_div_fmas_f64 v[178:179], v[178:179], v[194:195], v[198:199]
	v_div_fixup_f64 v[176:177], v[178:179], v[176:177], 1.0
	v_mul_f64 v[178:179], v[192:193], -v[176:177]
.LBB86_198:
	s_or_b64 exec, exec, s[16:17]
.LBB86_199:
	s_or_b64 exec, exec, s[0:1]
	v_cmp_ne_u32_e32 vcc, v189, v186
	s_and_saveexec_b64 s[0:1], vcc
	s_xor_b64 s[0:1], exec, s[0:1]
	s_cbranch_execz .LBB86_205
; %bb.200:
	v_cmp_eq_u32_e32 vcc, 9, v189
	s_and_saveexec_b64 s[16:17], vcc
	s_cbranch_execz .LBB86_204
; %bb.201:
	v_cmp_ne_u32_e32 vcc, 9, v186
	s_xor_b64 s[18:19], s[14:15], -1
	s_and_b64 s[22:23], s[18:19], vcc
	s_and_saveexec_b64 s[18:19], s[22:23]
	s_cbranch_execz .LBB86_203
; %bb.202:
	v_ashrrev_i32_e32 v187, 31, v186
	v_lshl_add_u64 v[192:193], v[186:187], 2, v[184:185]
	global_load_dword v187, v[192:193], off
	global_load_dword v189, v[184:185], off offset:36
	s_waitcnt vmcnt(1)
	global_store_dword v[184:185], v187, off offset:36
	s_waitcnt vmcnt(1)
	global_store_dword v[192:193], v189, off
.LBB86_203:
	s_or_b64 exec, exec, s[18:19]
	v_mov_b32_e32 v189, v186
	v_mov_b32_e32 v191, v186
.LBB86_204:
	s_or_b64 exec, exec, s[16:17]
.LBB86_205:
	s_andn2_saveexec_b64 s[0:1], s[0:1]
	s_cbranch_execz .LBB86_207
; %bb.206:
	v_mov_b32_e32 v189, 9
	s_waitcnt vmcnt(33)
	ds_write2_b64 v188, v[136:137], v[138:139] offset0:20 offset1:21
	s_waitcnt vmcnt(32)
	ds_write2_b64 v188, v[132:133], v[134:135] offset0:22 offset1:23
	;; [unrolled: 2-line block ×34, first 2 shown]
.LBB86_207:
	s_or_b64 exec, exec, s[0:1]
	v_cmp_lt_i32_e32 vcc, 9, v189
	s_waitcnt lgkmcnt(0)
	s_barrier
	s_and_saveexec_b64 s[0:1], vcc
	s_cbranch_execz .LBB86_209
; %bb.208:
	ds_read2_b64 v[192:195], v188 offset0:20 offset1:21
	v_mul_f64 v[186:187], v[178:179], v[142:143]
	v_mul_f64 v[142:143], v[176:177], v[142:143]
	v_fma_f64 v[186:187], v[176:177], v[140:141], -v[186:187]
	v_fmac_f64_e32 v[142:143], v[178:179], v[140:141]
	ds_read2_b64 v[176:179], v188 offset0:22 offset1:23
	s_waitcnt lgkmcnt(1)
	v_mul_f64 v[140:141], v[194:195], v[142:143]
	v_fma_f64 v[140:141], v[192:193], v[186:187], -v[140:141]
	v_mul_f64 v[192:193], v[192:193], v[142:143]
	v_fmac_f64_e32 v[192:193], v[194:195], v[186:187]
	s_waitcnt vmcnt(33)
	v_add_f64 v[136:137], v[136:137], -v[140:141]
	s_waitcnt lgkmcnt(0)
	v_mul_f64 v[140:141], v[178:179], v[142:143]
	v_add_f64 v[138:139], v[138:139], -v[192:193]
	v_fma_f64 v[140:141], v[176:177], v[186:187], -v[140:141]
	v_mul_f64 v[176:177], v[176:177], v[142:143]
	ds_read2_b64 v[192:195], v188 offset0:24 offset1:25
	v_fmac_f64_e32 v[176:177], v[178:179], v[186:187]
	s_waitcnt vmcnt(32)
	v_add_f64 v[134:135], v[134:135], -v[176:177]
	ds_read2_b64 v[176:179], v188 offset0:26 offset1:27
	v_add_f64 v[132:133], v[132:133], -v[140:141]
	s_waitcnt lgkmcnt(1)
	v_mul_f64 v[140:141], v[194:195], v[142:143]
	v_fma_f64 v[140:141], v[192:193], v[186:187], -v[140:141]
	v_mul_f64 v[192:193], v[192:193], v[142:143]
	v_fmac_f64_e32 v[192:193], v[194:195], v[186:187]
	s_waitcnt vmcnt(31)
	v_add_f64 v[128:129], v[128:129], -v[140:141]
	s_waitcnt lgkmcnt(0)
	v_mul_f64 v[140:141], v[178:179], v[142:143]
	v_add_f64 v[130:131], v[130:131], -v[192:193]
	v_fma_f64 v[140:141], v[176:177], v[186:187], -v[140:141]
	v_mul_f64 v[176:177], v[176:177], v[142:143]
	ds_read2_b64 v[192:195], v188 offset0:28 offset1:29
	v_fmac_f64_e32 v[176:177], v[178:179], v[186:187]
	s_waitcnt vmcnt(30)
	v_add_f64 v[126:127], v[126:127], -v[176:177]
	ds_read2_b64 v[176:179], v188 offset0:30 offset1:31
	v_add_f64 v[124:125], v[124:125], -v[140:141]
	;; [unrolled: 18-line block ×16, first 2 shown]
	s_waitcnt lgkmcnt(1)
	v_mul_f64 v[140:141], v[194:195], v[142:143]
	v_fma_f64 v[140:141], v[192:193], v[186:187], -v[140:141]
	s_waitcnt vmcnt(1)
	v_add_f64 v[0:1], v[0:1], -v[140:141]
	s_waitcnt lgkmcnt(0)
	v_mul_f64 v[140:141], v[178:179], v[142:143]
	v_mul_f64 v[192:193], v[192:193], v[142:143]
	v_fma_f64 v[140:141], v[176:177], v[186:187], -v[140:141]
	v_mul_f64 v[176:177], v[176:177], v[142:143]
	v_fmac_f64_e32 v[192:193], v[194:195], v[186:187]
	v_fmac_f64_e32 v[176:177], v[178:179], v[186:187]
	v_add_f64 v[2:3], v[2:3], -v[192:193]
	s_waitcnt vmcnt(0)
	v_add_f64 v[172:173], v[172:173], -v[140:141]
	v_add_f64 v[174:175], v[174:175], -v[176:177]
	v_mov_b64_e32 v[140:141], v[186:187]
.LBB86_209:
	s_or_b64 exec, exec, s[0:1]
	v_lshl_add_u32 v176, v189, 4, v188
	s_barrier
	s_waitcnt vmcnt(33)
	ds_write2_b64 v176, v[136:137], v[138:139] offset1:1
	s_waitcnt lgkmcnt(0)
	s_barrier
	ds_read2_b64 v[176:179], v188 offset0:20 offset1:21
	s_cmp_lt_i32 s20, 12
	v_mov_b32_e32 v186, 10
	s_cbranch_scc1 .LBB86_212
; %bb.210:
	v_add_u32_e32 v187, 0xb0, v188
	s_mov_b32 s16, 11
	v_mov_b32_e32 v186, 10
.LBB86_211:                             ; =>This Inner Loop Header: Depth=1
	ds_read2_b64 v[192:195], v187 offset1:1
	s_waitcnt lgkmcnt(1)
	v_xor_b32_e32 v197, 0x80000000, v177
	v_xor_b32_e32 v199, 0x80000000, v179
	v_cmp_gt_f64_e32 vcc, 0, v[178:179]
	v_cmp_gt_f64_e64 s[0:1], 0, v[176:177]
	v_mov_b32_e32 v196, v176
	v_mov_b32_e32 v198, v178
	v_cndmask_b32_e64 v197, v177, v197, s[0:1]
	v_cndmask_b32_e32 v199, v179, v199, vcc
	v_add_f64 v[196:197], v[196:197], v[198:199]
	s_waitcnt lgkmcnt(0)
	v_xor_b32_e32 v199, 0x80000000, v193
	v_xor_b32_e32 v201, 0x80000000, v195
	v_cmp_gt_f64_e32 vcc, 0, v[194:195]
	v_cmp_gt_f64_e64 s[0:1], 0, v[192:193]
	v_mov_b32_e32 v198, v192
	v_mov_b32_e32 v200, v194
	v_cndmask_b32_e64 v199, v193, v199, s[0:1]
	v_cndmask_b32_e32 v201, v195, v201, vcc
	v_add_f64 v[198:199], v[198:199], v[200:201]
	v_mov_b32_e32 v202, s16
	s_add_i32 s16, s16, 1
	v_cmp_lt_f64_e32 vcc, v[196:197], v[198:199]
	v_add_u32_e32 v187, 16, v187
	s_cmp_lg_u32 s20, s16
	v_cndmask_b32_e32 v177, v177, v193, vcc
	v_cndmask_b32_e32 v176, v176, v192, vcc
	;; [unrolled: 1-line block ×5, first 2 shown]
	s_cbranch_scc1 .LBB86_211
.LBB86_212:
	s_waitcnt lgkmcnt(0)
	v_cmp_eq_f64_e32 vcc, 0, v[176:177]
	v_cmp_eq_f64_e64 s[0:1], 0, v[178:179]
	s_and_b64 s[0:1], vcc, s[0:1]
	s_and_saveexec_b64 s[16:17], s[0:1]
	s_xor_b64 s[0:1], exec, s[16:17]
; %bb.213:
	v_cmp_ne_u32_e32 vcc, 0, v190
	s_nop 1
	v_cndmask_b32_e32 v190, 11, v190, vcc
; %bb.214:
	s_andn2_saveexec_b64 s[0:1], s[0:1]
	s_cbranch_execz .LBB86_220
; %bb.215:
	v_cmp_ngt_f64_e64 s[16:17], |v[176:177]|, |v[178:179]|
	s_and_saveexec_b64 s[18:19], s[16:17]
	s_xor_b64 s[16:17], exec, s[18:19]
	s_cbranch_execz .LBB86_217
; %bb.216:
	v_div_scale_f64 v[192:193], s[18:19], v[178:179], v[178:179], v[176:177]
	v_rcp_f64_e32 v[194:195], v[192:193]
	v_div_scale_f64 v[196:197], vcc, v[176:177], v[178:179], v[176:177]
	v_fma_f64 v[198:199], -v[192:193], v[194:195], 1.0
	v_fmac_f64_e32 v[194:195], v[194:195], v[198:199]
	v_fma_f64 v[198:199], -v[192:193], v[194:195], 1.0
	v_fmac_f64_e32 v[194:195], v[194:195], v[198:199]
	v_mul_f64 v[198:199], v[196:197], v[194:195]
	v_fma_f64 v[192:193], -v[192:193], v[198:199], v[196:197]
	v_div_fmas_f64 v[192:193], v[192:193], v[194:195], v[198:199]
	v_div_fixup_f64 v[192:193], v[192:193], v[178:179], v[176:177]
	v_fmac_f64_e32 v[178:179], v[176:177], v[192:193]
	v_div_scale_f64 v[176:177], s[18:19], v[178:179], v[178:179], 1.0
	v_rcp_f64_e32 v[194:195], v[176:177]
	s_nop 0
	v_fma_f64 v[196:197], -v[176:177], v[194:195], 1.0
	v_fmac_f64_e32 v[194:195], v[194:195], v[196:197]
	v_fma_f64 v[196:197], -v[176:177], v[194:195], 1.0
	v_fmac_f64_e32 v[194:195], v[194:195], v[196:197]
	v_div_scale_f64 v[196:197], vcc, 1.0, v[178:179], 1.0
	v_mul_f64 v[198:199], v[196:197], v[194:195]
	v_fma_f64 v[176:177], -v[176:177], v[198:199], v[196:197]
	s_nop 1
	v_div_fmas_f64 v[176:177], v[176:177], v[194:195], v[198:199]
	v_div_fixup_f64 v[178:179], v[176:177], v[178:179], 1.0
	v_mul_f64 v[176:177], v[192:193], v[178:179]
	v_xor_b32_e32 v179, 0x80000000, v179
.LBB86_217:
	s_andn2_saveexec_b64 s[16:17], s[16:17]
	s_cbranch_execz .LBB86_219
; %bb.218:
	v_div_scale_f64 v[192:193], s[18:19], v[176:177], v[176:177], v[178:179]
	v_rcp_f64_e32 v[194:195], v[192:193]
	v_div_scale_f64 v[196:197], vcc, v[178:179], v[176:177], v[178:179]
	v_fma_f64 v[198:199], -v[192:193], v[194:195], 1.0
	v_fmac_f64_e32 v[194:195], v[194:195], v[198:199]
	v_fma_f64 v[198:199], -v[192:193], v[194:195], 1.0
	v_fmac_f64_e32 v[194:195], v[194:195], v[198:199]
	v_mul_f64 v[198:199], v[196:197], v[194:195]
	v_fma_f64 v[192:193], -v[192:193], v[198:199], v[196:197]
	v_div_fmas_f64 v[192:193], v[192:193], v[194:195], v[198:199]
	v_div_fixup_f64 v[192:193], v[192:193], v[176:177], v[178:179]
	v_fmac_f64_e32 v[176:177], v[178:179], v[192:193]
	v_div_scale_f64 v[178:179], s[18:19], v[176:177], v[176:177], 1.0
	v_rcp_f64_e32 v[194:195], v[178:179]
	s_nop 0
	v_fma_f64 v[196:197], -v[178:179], v[194:195], 1.0
	v_fmac_f64_e32 v[194:195], v[194:195], v[196:197]
	v_fma_f64 v[196:197], -v[178:179], v[194:195], 1.0
	v_fmac_f64_e32 v[194:195], v[194:195], v[196:197]
	v_div_scale_f64 v[196:197], vcc, 1.0, v[176:177], 1.0
	v_mul_f64 v[198:199], v[196:197], v[194:195]
	v_fma_f64 v[178:179], -v[178:179], v[198:199], v[196:197]
	s_nop 1
	v_div_fmas_f64 v[178:179], v[178:179], v[194:195], v[198:199]
	v_div_fixup_f64 v[176:177], v[178:179], v[176:177], 1.0
	v_mul_f64 v[178:179], v[192:193], -v[176:177]
.LBB86_219:
	s_or_b64 exec, exec, s[16:17]
.LBB86_220:
	s_or_b64 exec, exec, s[0:1]
	v_cmp_ne_u32_e32 vcc, v189, v186
	s_and_saveexec_b64 s[0:1], vcc
	s_xor_b64 s[0:1], exec, s[0:1]
	s_cbranch_execz .LBB86_226
; %bb.221:
	v_cmp_eq_u32_e32 vcc, 10, v189
	s_and_saveexec_b64 s[16:17], vcc
	s_cbranch_execz .LBB86_225
; %bb.222:
	v_cmp_ne_u32_e32 vcc, 10, v186
	s_xor_b64 s[18:19], s[14:15], -1
	s_and_b64 s[22:23], s[18:19], vcc
	s_and_saveexec_b64 s[18:19], s[22:23]
	s_cbranch_execz .LBB86_224
; %bb.223:
	v_ashrrev_i32_e32 v187, 31, v186
	v_lshl_add_u64 v[192:193], v[186:187], 2, v[184:185]
	global_load_dword v187, v[192:193], off
	global_load_dword v189, v[184:185], off offset:40
	s_waitcnt vmcnt(1)
	global_store_dword v[184:185], v187, off offset:40
	s_waitcnt vmcnt(1)
	global_store_dword v[192:193], v189, off
.LBB86_224:
	s_or_b64 exec, exec, s[18:19]
	v_mov_b32_e32 v189, v186
	v_mov_b32_e32 v191, v186
.LBB86_225:
	s_or_b64 exec, exec, s[16:17]
.LBB86_226:
	s_andn2_saveexec_b64 s[0:1], s[0:1]
	s_cbranch_execz .LBB86_228
; %bb.227:
	v_mov_b32_e32 v189, 10
	s_waitcnt vmcnt(32)
	ds_write2_b64 v188, v[132:133], v[134:135] offset0:22 offset1:23
	s_waitcnt vmcnt(31)
	ds_write2_b64 v188, v[128:129], v[130:131] offset0:24 offset1:25
	;; [unrolled: 2-line block ×33, first 2 shown]
.LBB86_228:
	s_or_b64 exec, exec, s[0:1]
	v_cmp_lt_i32_e32 vcc, 10, v189
	s_waitcnt lgkmcnt(0)
	s_barrier
	s_and_saveexec_b64 s[0:1], vcc
	s_cbranch_execz .LBB86_230
; %bb.229:
	ds_read2_b64 v[192:195], v188 offset0:22 offset1:23
	v_mul_f64 v[186:187], v[178:179], v[138:139]
	v_mul_f64 v[138:139], v[176:177], v[138:139]
	v_fmac_f64_e32 v[138:139], v[178:179], v[136:137]
	v_fma_f64 v[186:187], v[176:177], v[136:137], -v[186:187]
	ds_read2_b64 v[176:179], v188 offset0:24 offset1:25
	s_waitcnt lgkmcnt(1)
	v_mul_f64 v[136:137], v[194:195], v[138:139]
	v_fma_f64 v[136:137], v[192:193], v[186:187], -v[136:137]
	v_mul_f64 v[192:193], v[192:193], v[138:139]
	v_fmac_f64_e32 v[192:193], v[194:195], v[186:187]
	s_waitcnt vmcnt(32)
	v_add_f64 v[134:135], v[134:135], -v[192:193]
	ds_read2_b64 v[192:195], v188 offset0:26 offset1:27
	v_add_f64 v[132:133], v[132:133], -v[136:137]
	s_waitcnt lgkmcnt(1)
	v_mul_f64 v[136:137], v[178:179], v[138:139]
	v_fma_f64 v[136:137], v[176:177], v[186:187], -v[136:137]
	v_mul_f64 v[176:177], v[176:177], v[138:139]
	v_fmac_f64_e32 v[176:177], v[178:179], v[186:187]
	s_waitcnt vmcnt(31)
	v_add_f64 v[128:129], v[128:129], -v[136:137]
	v_add_f64 v[130:131], v[130:131], -v[176:177]
	ds_read2_b64 v[176:179], v188 offset0:28 offset1:29
	s_waitcnt lgkmcnt(1)
	v_mul_f64 v[136:137], v[194:195], v[138:139]
	v_fma_f64 v[136:137], v[192:193], v[186:187], -v[136:137]
	v_mul_f64 v[192:193], v[192:193], v[138:139]
	v_fmac_f64_e32 v[192:193], v[194:195], v[186:187]
	s_waitcnt vmcnt(30)
	v_add_f64 v[126:127], v[126:127], -v[192:193]
	ds_read2_b64 v[192:195], v188 offset0:30 offset1:31
	v_add_f64 v[124:125], v[124:125], -v[136:137]
	s_waitcnt lgkmcnt(1)
	v_mul_f64 v[136:137], v[178:179], v[138:139]
	v_fma_f64 v[136:137], v[176:177], v[186:187], -v[136:137]
	v_mul_f64 v[176:177], v[176:177], v[138:139]
	v_fmac_f64_e32 v[176:177], v[178:179], v[186:187]
	s_waitcnt vmcnt(29)
	v_add_f64 v[120:121], v[120:121], -v[136:137]
	v_add_f64 v[122:123], v[122:123], -v[176:177]
	;; [unrolled: 18-line block ×16, first 2 shown]
	s_waitcnt lgkmcnt(0)
	v_mul_f64 v[136:137], v[194:195], v[138:139]
	v_mul_f64 v[176:177], v[192:193], v[138:139]
	v_fma_f64 v[136:137], v[192:193], v[186:187], -v[136:137]
	v_fmac_f64_e32 v[176:177], v[194:195], v[186:187]
	s_waitcnt vmcnt(0)
	v_add_f64 v[172:173], v[172:173], -v[136:137]
	v_add_f64 v[174:175], v[174:175], -v[176:177]
	v_mov_b64_e32 v[136:137], v[186:187]
.LBB86_230:
	s_or_b64 exec, exec, s[0:1]
	v_lshl_add_u32 v176, v189, 4, v188
	s_barrier
	s_waitcnt vmcnt(32)
	ds_write2_b64 v176, v[132:133], v[134:135] offset1:1
	s_waitcnt lgkmcnt(0)
	s_barrier
	ds_read2_b64 v[176:179], v188 offset0:22 offset1:23
	s_cmp_lt_i32 s20, 13
	v_mov_b32_e32 v186, 11
	s_cbranch_scc1 .LBB86_233
; %bb.231:
	v_add_u32_e32 v187, 0xc0, v188
	s_mov_b32 s16, 12
	v_mov_b32_e32 v186, 11
.LBB86_232:                             ; =>This Inner Loop Header: Depth=1
	ds_read2_b64 v[192:195], v187 offset1:1
	s_waitcnt lgkmcnt(1)
	v_xor_b32_e32 v197, 0x80000000, v177
	v_xor_b32_e32 v199, 0x80000000, v179
	v_cmp_gt_f64_e32 vcc, 0, v[178:179]
	v_cmp_gt_f64_e64 s[0:1], 0, v[176:177]
	v_mov_b32_e32 v196, v176
	v_mov_b32_e32 v198, v178
	v_cndmask_b32_e64 v197, v177, v197, s[0:1]
	v_cndmask_b32_e32 v199, v179, v199, vcc
	v_add_f64 v[196:197], v[196:197], v[198:199]
	s_waitcnt lgkmcnt(0)
	v_xor_b32_e32 v199, 0x80000000, v193
	v_xor_b32_e32 v201, 0x80000000, v195
	v_cmp_gt_f64_e32 vcc, 0, v[194:195]
	v_cmp_gt_f64_e64 s[0:1], 0, v[192:193]
	v_mov_b32_e32 v198, v192
	v_mov_b32_e32 v200, v194
	v_cndmask_b32_e64 v199, v193, v199, s[0:1]
	v_cndmask_b32_e32 v201, v195, v201, vcc
	v_add_f64 v[198:199], v[198:199], v[200:201]
	v_mov_b32_e32 v202, s16
	s_add_i32 s16, s16, 1
	v_cmp_lt_f64_e32 vcc, v[196:197], v[198:199]
	v_add_u32_e32 v187, 16, v187
	s_cmp_lg_u32 s20, s16
	v_cndmask_b32_e32 v177, v177, v193, vcc
	v_cndmask_b32_e32 v176, v176, v192, vcc
	;; [unrolled: 1-line block ×5, first 2 shown]
	s_cbranch_scc1 .LBB86_232
.LBB86_233:
	s_waitcnt lgkmcnt(0)
	v_cmp_eq_f64_e32 vcc, 0, v[176:177]
	v_cmp_eq_f64_e64 s[0:1], 0, v[178:179]
	s_and_b64 s[0:1], vcc, s[0:1]
	s_and_saveexec_b64 s[16:17], s[0:1]
	s_xor_b64 s[0:1], exec, s[16:17]
; %bb.234:
	v_cmp_ne_u32_e32 vcc, 0, v190
	s_nop 1
	v_cndmask_b32_e32 v190, 12, v190, vcc
; %bb.235:
	s_andn2_saveexec_b64 s[0:1], s[0:1]
	s_cbranch_execz .LBB86_241
; %bb.236:
	v_cmp_ngt_f64_e64 s[16:17], |v[176:177]|, |v[178:179]|
	s_and_saveexec_b64 s[18:19], s[16:17]
	s_xor_b64 s[16:17], exec, s[18:19]
	s_cbranch_execz .LBB86_238
; %bb.237:
	v_div_scale_f64 v[192:193], s[18:19], v[178:179], v[178:179], v[176:177]
	v_rcp_f64_e32 v[194:195], v[192:193]
	v_div_scale_f64 v[196:197], vcc, v[176:177], v[178:179], v[176:177]
	v_fma_f64 v[198:199], -v[192:193], v[194:195], 1.0
	v_fmac_f64_e32 v[194:195], v[194:195], v[198:199]
	v_fma_f64 v[198:199], -v[192:193], v[194:195], 1.0
	v_fmac_f64_e32 v[194:195], v[194:195], v[198:199]
	v_mul_f64 v[198:199], v[196:197], v[194:195]
	v_fma_f64 v[192:193], -v[192:193], v[198:199], v[196:197]
	v_div_fmas_f64 v[192:193], v[192:193], v[194:195], v[198:199]
	v_div_fixup_f64 v[192:193], v[192:193], v[178:179], v[176:177]
	v_fmac_f64_e32 v[178:179], v[176:177], v[192:193]
	v_div_scale_f64 v[176:177], s[18:19], v[178:179], v[178:179], 1.0
	v_rcp_f64_e32 v[194:195], v[176:177]
	s_nop 0
	v_fma_f64 v[196:197], -v[176:177], v[194:195], 1.0
	v_fmac_f64_e32 v[194:195], v[194:195], v[196:197]
	v_fma_f64 v[196:197], -v[176:177], v[194:195], 1.0
	v_fmac_f64_e32 v[194:195], v[194:195], v[196:197]
	v_div_scale_f64 v[196:197], vcc, 1.0, v[178:179], 1.0
	v_mul_f64 v[198:199], v[196:197], v[194:195]
	v_fma_f64 v[176:177], -v[176:177], v[198:199], v[196:197]
	s_nop 1
	v_div_fmas_f64 v[176:177], v[176:177], v[194:195], v[198:199]
	v_div_fixup_f64 v[178:179], v[176:177], v[178:179], 1.0
	v_mul_f64 v[176:177], v[192:193], v[178:179]
	v_xor_b32_e32 v179, 0x80000000, v179
.LBB86_238:
	s_andn2_saveexec_b64 s[16:17], s[16:17]
	s_cbranch_execz .LBB86_240
; %bb.239:
	v_div_scale_f64 v[192:193], s[18:19], v[176:177], v[176:177], v[178:179]
	v_rcp_f64_e32 v[194:195], v[192:193]
	v_div_scale_f64 v[196:197], vcc, v[178:179], v[176:177], v[178:179]
	v_fma_f64 v[198:199], -v[192:193], v[194:195], 1.0
	v_fmac_f64_e32 v[194:195], v[194:195], v[198:199]
	v_fma_f64 v[198:199], -v[192:193], v[194:195], 1.0
	v_fmac_f64_e32 v[194:195], v[194:195], v[198:199]
	v_mul_f64 v[198:199], v[196:197], v[194:195]
	v_fma_f64 v[192:193], -v[192:193], v[198:199], v[196:197]
	v_div_fmas_f64 v[192:193], v[192:193], v[194:195], v[198:199]
	v_div_fixup_f64 v[192:193], v[192:193], v[176:177], v[178:179]
	v_fmac_f64_e32 v[176:177], v[178:179], v[192:193]
	v_div_scale_f64 v[178:179], s[18:19], v[176:177], v[176:177], 1.0
	v_rcp_f64_e32 v[194:195], v[178:179]
	s_nop 0
	v_fma_f64 v[196:197], -v[178:179], v[194:195], 1.0
	v_fmac_f64_e32 v[194:195], v[194:195], v[196:197]
	v_fma_f64 v[196:197], -v[178:179], v[194:195], 1.0
	v_fmac_f64_e32 v[194:195], v[194:195], v[196:197]
	v_div_scale_f64 v[196:197], vcc, 1.0, v[176:177], 1.0
	v_mul_f64 v[198:199], v[196:197], v[194:195]
	v_fma_f64 v[178:179], -v[178:179], v[198:199], v[196:197]
	s_nop 1
	v_div_fmas_f64 v[178:179], v[178:179], v[194:195], v[198:199]
	v_div_fixup_f64 v[176:177], v[178:179], v[176:177], 1.0
	v_mul_f64 v[178:179], v[192:193], -v[176:177]
.LBB86_240:
	s_or_b64 exec, exec, s[16:17]
.LBB86_241:
	s_or_b64 exec, exec, s[0:1]
	v_cmp_ne_u32_e32 vcc, v189, v186
	s_and_saveexec_b64 s[0:1], vcc
	s_xor_b64 s[0:1], exec, s[0:1]
	s_cbranch_execz .LBB86_247
; %bb.242:
	v_cmp_eq_u32_e32 vcc, 11, v189
	s_and_saveexec_b64 s[16:17], vcc
	s_cbranch_execz .LBB86_246
; %bb.243:
	v_cmp_ne_u32_e32 vcc, 11, v186
	s_xor_b64 s[18:19], s[14:15], -1
	s_and_b64 s[22:23], s[18:19], vcc
	s_and_saveexec_b64 s[18:19], s[22:23]
	s_cbranch_execz .LBB86_245
; %bb.244:
	v_ashrrev_i32_e32 v187, 31, v186
	v_lshl_add_u64 v[192:193], v[186:187], 2, v[184:185]
	global_load_dword v187, v[192:193], off
	global_load_dword v189, v[184:185], off offset:44
	s_waitcnt vmcnt(1)
	global_store_dword v[184:185], v187, off offset:44
	s_waitcnt vmcnt(1)
	global_store_dword v[192:193], v189, off
.LBB86_245:
	s_or_b64 exec, exec, s[18:19]
	v_mov_b32_e32 v189, v186
	v_mov_b32_e32 v191, v186
.LBB86_246:
	s_or_b64 exec, exec, s[16:17]
.LBB86_247:
	s_andn2_saveexec_b64 s[0:1], s[0:1]
	s_cbranch_execz .LBB86_249
; %bb.248:
	v_mov_b32_e32 v189, 11
	s_waitcnt vmcnt(31)
	ds_write2_b64 v188, v[128:129], v[130:131] offset0:24 offset1:25
	s_waitcnt vmcnt(30)
	ds_write2_b64 v188, v[124:125], v[126:127] offset0:26 offset1:27
	;; [unrolled: 2-line block ×32, first 2 shown]
.LBB86_249:
	s_or_b64 exec, exec, s[0:1]
	v_cmp_lt_i32_e32 vcc, 11, v189
	s_waitcnt lgkmcnt(0)
	s_barrier
	s_and_saveexec_b64 s[0:1], vcc
	s_cbranch_execz .LBB86_251
; %bb.250:
	ds_read2_b64 v[192:195], v188 offset0:24 offset1:25
	v_mul_f64 v[186:187], v[178:179], v[134:135]
	v_mul_f64 v[134:135], v[176:177], v[134:135]
	v_fma_f64 v[186:187], v[176:177], v[132:133], -v[186:187]
	v_fmac_f64_e32 v[134:135], v[178:179], v[132:133]
	ds_read2_b64 v[176:179], v188 offset0:26 offset1:27
	s_waitcnt lgkmcnt(1)
	v_mul_f64 v[132:133], v[194:195], v[134:135]
	v_fma_f64 v[132:133], v[192:193], v[186:187], -v[132:133]
	v_mul_f64 v[192:193], v[192:193], v[134:135]
	v_fmac_f64_e32 v[192:193], v[194:195], v[186:187]
	s_waitcnt vmcnt(31)
	v_add_f64 v[128:129], v[128:129], -v[132:133]
	s_waitcnt lgkmcnt(0)
	v_mul_f64 v[132:133], v[178:179], v[134:135]
	v_add_f64 v[130:131], v[130:131], -v[192:193]
	v_fma_f64 v[132:133], v[176:177], v[186:187], -v[132:133]
	v_mul_f64 v[176:177], v[176:177], v[134:135]
	ds_read2_b64 v[192:195], v188 offset0:28 offset1:29
	v_fmac_f64_e32 v[176:177], v[178:179], v[186:187]
	s_waitcnt vmcnt(30)
	v_add_f64 v[126:127], v[126:127], -v[176:177]
	ds_read2_b64 v[176:179], v188 offset0:30 offset1:31
	v_add_f64 v[124:125], v[124:125], -v[132:133]
	s_waitcnt lgkmcnt(1)
	v_mul_f64 v[132:133], v[194:195], v[134:135]
	v_fma_f64 v[132:133], v[192:193], v[186:187], -v[132:133]
	v_mul_f64 v[192:193], v[192:193], v[134:135]
	v_fmac_f64_e32 v[192:193], v[194:195], v[186:187]
	s_waitcnt vmcnt(29)
	v_add_f64 v[120:121], v[120:121], -v[132:133]
	s_waitcnt lgkmcnt(0)
	v_mul_f64 v[132:133], v[178:179], v[134:135]
	v_add_f64 v[122:123], v[122:123], -v[192:193]
	v_fma_f64 v[132:133], v[176:177], v[186:187], -v[132:133]
	v_mul_f64 v[176:177], v[176:177], v[134:135]
	ds_read2_b64 v[192:195], v188 offset0:32 offset1:33
	v_fmac_f64_e32 v[176:177], v[178:179], v[186:187]
	s_waitcnt vmcnt(28)
	v_add_f64 v[114:115], v[114:115], -v[176:177]
	ds_read2_b64 v[176:179], v188 offset0:34 offset1:35
	v_add_f64 v[112:113], v[112:113], -v[132:133]
	;; [unrolled: 18-line block ×15, first 2 shown]
	s_waitcnt lgkmcnt(1)
	v_mul_f64 v[132:133], v[194:195], v[134:135]
	v_fma_f64 v[132:133], v[192:193], v[186:187], -v[132:133]
	s_waitcnt vmcnt(1)
	v_add_f64 v[0:1], v[0:1], -v[132:133]
	s_waitcnt lgkmcnt(0)
	v_mul_f64 v[132:133], v[178:179], v[134:135]
	v_mul_f64 v[192:193], v[192:193], v[134:135]
	v_fma_f64 v[132:133], v[176:177], v[186:187], -v[132:133]
	v_mul_f64 v[176:177], v[176:177], v[134:135]
	v_fmac_f64_e32 v[192:193], v[194:195], v[186:187]
	v_fmac_f64_e32 v[176:177], v[178:179], v[186:187]
	v_add_f64 v[2:3], v[2:3], -v[192:193]
	s_waitcnt vmcnt(0)
	v_add_f64 v[172:173], v[172:173], -v[132:133]
	v_add_f64 v[174:175], v[174:175], -v[176:177]
	v_mov_b64_e32 v[132:133], v[186:187]
.LBB86_251:
	s_or_b64 exec, exec, s[0:1]
	v_lshl_add_u32 v176, v189, 4, v188
	s_barrier
	s_waitcnt vmcnt(31)
	ds_write2_b64 v176, v[128:129], v[130:131] offset1:1
	s_waitcnt lgkmcnt(0)
	s_barrier
	ds_read2_b64 v[176:179], v188 offset0:24 offset1:25
	s_cmp_lt_i32 s20, 14
	v_mov_b32_e32 v186, 12
	s_cbranch_scc1 .LBB86_254
; %bb.252:
	v_add_u32_e32 v187, 0xd0, v188
	s_mov_b32 s16, 13
	v_mov_b32_e32 v186, 12
.LBB86_253:                             ; =>This Inner Loop Header: Depth=1
	ds_read2_b64 v[192:195], v187 offset1:1
	s_waitcnt lgkmcnt(1)
	v_xor_b32_e32 v197, 0x80000000, v177
	v_xor_b32_e32 v199, 0x80000000, v179
	v_cmp_gt_f64_e32 vcc, 0, v[178:179]
	v_cmp_gt_f64_e64 s[0:1], 0, v[176:177]
	v_mov_b32_e32 v196, v176
	v_mov_b32_e32 v198, v178
	v_cndmask_b32_e64 v197, v177, v197, s[0:1]
	v_cndmask_b32_e32 v199, v179, v199, vcc
	v_add_f64 v[196:197], v[196:197], v[198:199]
	s_waitcnt lgkmcnt(0)
	v_xor_b32_e32 v199, 0x80000000, v193
	v_xor_b32_e32 v201, 0x80000000, v195
	v_cmp_gt_f64_e32 vcc, 0, v[194:195]
	v_cmp_gt_f64_e64 s[0:1], 0, v[192:193]
	v_mov_b32_e32 v198, v192
	v_mov_b32_e32 v200, v194
	v_cndmask_b32_e64 v199, v193, v199, s[0:1]
	v_cndmask_b32_e32 v201, v195, v201, vcc
	v_add_f64 v[198:199], v[198:199], v[200:201]
	v_mov_b32_e32 v202, s16
	s_add_i32 s16, s16, 1
	v_cmp_lt_f64_e32 vcc, v[196:197], v[198:199]
	v_add_u32_e32 v187, 16, v187
	s_cmp_lg_u32 s20, s16
	v_cndmask_b32_e32 v177, v177, v193, vcc
	v_cndmask_b32_e32 v176, v176, v192, vcc
	v_cndmask_b32_e32 v179, v179, v195, vcc
	v_cndmask_b32_e32 v178, v178, v194, vcc
	v_cndmask_b32_e32 v186, v186, v202, vcc
	s_cbranch_scc1 .LBB86_253
.LBB86_254:
	s_waitcnt lgkmcnt(0)
	v_cmp_eq_f64_e32 vcc, 0, v[176:177]
	v_cmp_eq_f64_e64 s[0:1], 0, v[178:179]
	s_and_b64 s[0:1], vcc, s[0:1]
	s_and_saveexec_b64 s[16:17], s[0:1]
	s_xor_b64 s[0:1], exec, s[16:17]
; %bb.255:
	v_cmp_ne_u32_e32 vcc, 0, v190
	s_nop 1
	v_cndmask_b32_e32 v190, 13, v190, vcc
; %bb.256:
	s_andn2_saveexec_b64 s[0:1], s[0:1]
	s_cbranch_execz .LBB86_262
; %bb.257:
	v_cmp_ngt_f64_e64 s[16:17], |v[176:177]|, |v[178:179]|
	s_and_saveexec_b64 s[18:19], s[16:17]
	s_xor_b64 s[16:17], exec, s[18:19]
	s_cbranch_execz .LBB86_259
; %bb.258:
	v_div_scale_f64 v[192:193], s[18:19], v[178:179], v[178:179], v[176:177]
	v_rcp_f64_e32 v[194:195], v[192:193]
	v_div_scale_f64 v[196:197], vcc, v[176:177], v[178:179], v[176:177]
	v_fma_f64 v[198:199], -v[192:193], v[194:195], 1.0
	v_fmac_f64_e32 v[194:195], v[194:195], v[198:199]
	v_fma_f64 v[198:199], -v[192:193], v[194:195], 1.0
	v_fmac_f64_e32 v[194:195], v[194:195], v[198:199]
	v_mul_f64 v[198:199], v[196:197], v[194:195]
	v_fma_f64 v[192:193], -v[192:193], v[198:199], v[196:197]
	v_div_fmas_f64 v[192:193], v[192:193], v[194:195], v[198:199]
	v_div_fixup_f64 v[192:193], v[192:193], v[178:179], v[176:177]
	v_fmac_f64_e32 v[178:179], v[176:177], v[192:193]
	v_div_scale_f64 v[176:177], s[18:19], v[178:179], v[178:179], 1.0
	v_rcp_f64_e32 v[194:195], v[176:177]
	s_nop 0
	v_fma_f64 v[196:197], -v[176:177], v[194:195], 1.0
	v_fmac_f64_e32 v[194:195], v[194:195], v[196:197]
	v_fma_f64 v[196:197], -v[176:177], v[194:195], 1.0
	v_fmac_f64_e32 v[194:195], v[194:195], v[196:197]
	v_div_scale_f64 v[196:197], vcc, 1.0, v[178:179], 1.0
	v_mul_f64 v[198:199], v[196:197], v[194:195]
	v_fma_f64 v[176:177], -v[176:177], v[198:199], v[196:197]
	s_nop 1
	v_div_fmas_f64 v[176:177], v[176:177], v[194:195], v[198:199]
	v_div_fixup_f64 v[178:179], v[176:177], v[178:179], 1.0
	v_mul_f64 v[176:177], v[192:193], v[178:179]
	v_xor_b32_e32 v179, 0x80000000, v179
.LBB86_259:
	s_andn2_saveexec_b64 s[16:17], s[16:17]
	s_cbranch_execz .LBB86_261
; %bb.260:
	v_div_scale_f64 v[192:193], s[18:19], v[176:177], v[176:177], v[178:179]
	v_rcp_f64_e32 v[194:195], v[192:193]
	v_div_scale_f64 v[196:197], vcc, v[178:179], v[176:177], v[178:179]
	v_fma_f64 v[198:199], -v[192:193], v[194:195], 1.0
	v_fmac_f64_e32 v[194:195], v[194:195], v[198:199]
	v_fma_f64 v[198:199], -v[192:193], v[194:195], 1.0
	v_fmac_f64_e32 v[194:195], v[194:195], v[198:199]
	v_mul_f64 v[198:199], v[196:197], v[194:195]
	v_fma_f64 v[192:193], -v[192:193], v[198:199], v[196:197]
	v_div_fmas_f64 v[192:193], v[192:193], v[194:195], v[198:199]
	v_div_fixup_f64 v[192:193], v[192:193], v[176:177], v[178:179]
	v_fmac_f64_e32 v[176:177], v[178:179], v[192:193]
	v_div_scale_f64 v[178:179], s[18:19], v[176:177], v[176:177], 1.0
	v_rcp_f64_e32 v[194:195], v[178:179]
	s_nop 0
	v_fma_f64 v[196:197], -v[178:179], v[194:195], 1.0
	v_fmac_f64_e32 v[194:195], v[194:195], v[196:197]
	v_fma_f64 v[196:197], -v[178:179], v[194:195], 1.0
	v_fmac_f64_e32 v[194:195], v[194:195], v[196:197]
	v_div_scale_f64 v[196:197], vcc, 1.0, v[176:177], 1.0
	v_mul_f64 v[198:199], v[196:197], v[194:195]
	v_fma_f64 v[178:179], -v[178:179], v[198:199], v[196:197]
	s_nop 1
	v_div_fmas_f64 v[178:179], v[178:179], v[194:195], v[198:199]
	v_div_fixup_f64 v[176:177], v[178:179], v[176:177], 1.0
	v_mul_f64 v[178:179], v[192:193], -v[176:177]
.LBB86_261:
	s_or_b64 exec, exec, s[16:17]
.LBB86_262:
	s_or_b64 exec, exec, s[0:1]
	v_cmp_ne_u32_e32 vcc, v189, v186
	s_and_saveexec_b64 s[0:1], vcc
	s_xor_b64 s[0:1], exec, s[0:1]
	s_cbranch_execz .LBB86_268
; %bb.263:
	v_cmp_eq_u32_e32 vcc, 12, v189
	s_and_saveexec_b64 s[16:17], vcc
	s_cbranch_execz .LBB86_267
; %bb.264:
	v_cmp_ne_u32_e32 vcc, 12, v186
	s_xor_b64 s[18:19], s[14:15], -1
	s_and_b64 s[22:23], s[18:19], vcc
	s_and_saveexec_b64 s[18:19], s[22:23]
	s_cbranch_execz .LBB86_266
; %bb.265:
	v_ashrrev_i32_e32 v187, 31, v186
	v_lshl_add_u64 v[192:193], v[186:187], 2, v[184:185]
	global_load_dword v187, v[192:193], off
	global_load_dword v189, v[184:185], off offset:48
	s_waitcnt vmcnt(1)
	global_store_dword v[184:185], v187, off offset:48
	s_waitcnt vmcnt(1)
	global_store_dword v[192:193], v189, off
.LBB86_266:
	s_or_b64 exec, exec, s[18:19]
	v_mov_b32_e32 v189, v186
	v_mov_b32_e32 v191, v186
.LBB86_267:
	s_or_b64 exec, exec, s[16:17]
.LBB86_268:
	s_andn2_saveexec_b64 s[0:1], s[0:1]
	s_cbranch_execz .LBB86_270
; %bb.269:
	v_mov_b32_e32 v189, 12
	s_waitcnt vmcnt(30)
	ds_write2_b64 v188, v[124:125], v[126:127] offset0:26 offset1:27
	s_waitcnt vmcnt(29)
	ds_write2_b64 v188, v[120:121], v[122:123] offset0:28 offset1:29
	s_waitcnt vmcnt(28)
	ds_write2_b64 v188, v[112:113], v[114:115] offset0:30 offset1:31
	s_waitcnt vmcnt(27)
	ds_write2_b64 v188, v[104:105], v[106:107] offset0:32 offset1:33
	s_waitcnt vmcnt(26)
	ds_write2_b64 v188, v[100:101], v[102:103] offset0:34 offset1:35
	s_waitcnt vmcnt(25)
	ds_write2_b64 v188, v[96:97], v[98:99] offset0:36 offset1:37
	s_waitcnt vmcnt(24)
	ds_write2_b64 v188, v[92:93], v[94:95] offset0:38 offset1:39
	s_waitcnt vmcnt(23)
	ds_write2_b64 v188, v[88:89], v[90:91] offset0:40 offset1:41
	s_waitcnt vmcnt(22)
	ds_write2_b64 v188, v[84:85], v[86:87] offset0:42 offset1:43
	s_waitcnt vmcnt(21)
	ds_write2_b64 v188, v[80:81], v[82:83] offset0:44 offset1:45
	s_waitcnt vmcnt(20)
	ds_write2_b64 v188, v[76:77], v[78:79] offset0:46 offset1:47
	s_waitcnt vmcnt(19)
	ds_write2_b64 v188, v[72:73], v[74:75] offset0:48 offset1:49
	s_waitcnt vmcnt(18)
	ds_write2_b64 v188, v[68:69], v[70:71] offset0:50 offset1:51
	s_waitcnt vmcnt(17)
	ds_write2_b64 v188, v[64:65], v[66:67] offset0:52 offset1:53
	s_waitcnt vmcnt(16)
	ds_write2_b64 v188, v[60:61], v[62:63] offset0:54 offset1:55
	s_waitcnt vmcnt(15)
	ds_write2_b64 v188, v[56:57], v[58:59] offset0:56 offset1:57
	s_waitcnt vmcnt(14)
	ds_write2_b64 v188, v[52:53], v[54:55] offset0:58 offset1:59
	s_waitcnt vmcnt(13)
	ds_write2_b64 v188, v[48:49], v[50:51] offset0:60 offset1:61
	s_waitcnt vmcnt(12)
	ds_write2_b64 v188, v[44:45], v[46:47] offset0:62 offset1:63
	s_waitcnt vmcnt(11)
	ds_write2_b64 v188, v[40:41], v[42:43] offset0:64 offset1:65
	s_waitcnt vmcnt(10)
	ds_write2_b64 v188, v[36:37], v[38:39] offset0:66 offset1:67
	s_waitcnt vmcnt(9)
	ds_write2_b64 v188, v[32:33], v[34:35] offset0:68 offset1:69
	s_waitcnt vmcnt(8)
	ds_write2_b64 v188, v[28:29], v[30:31] offset0:70 offset1:71
	s_waitcnt vmcnt(7)
	ds_write2_b64 v188, v[24:25], v[26:27] offset0:72 offset1:73
	s_waitcnt vmcnt(6)
	ds_write2_b64 v188, v[20:21], v[22:23] offset0:74 offset1:75
	s_waitcnt vmcnt(5)
	ds_write2_b64 v188, v[16:17], v[18:19] offset0:76 offset1:77
	s_waitcnt vmcnt(4)
	ds_write2_b64 v188, v[12:13], v[14:15] offset0:78 offset1:79
	s_waitcnt vmcnt(3)
	ds_write2_b64 v188, v[8:9], v[10:11] offset0:80 offset1:81
	s_waitcnt vmcnt(2)
	ds_write2_b64 v188, v[4:5], v[6:7] offset0:82 offset1:83
	s_waitcnt vmcnt(1)
	ds_write2_b64 v188, v[0:1], v[2:3] offset0:84 offset1:85
	s_waitcnt vmcnt(0)
	ds_write2_b64 v188, v[172:173], v[174:175] offset0:86 offset1:87
.LBB86_270:
	s_or_b64 exec, exec, s[0:1]
	v_cmp_lt_i32_e32 vcc, 12, v189
	s_waitcnt lgkmcnt(0)
	s_barrier
	s_and_saveexec_b64 s[0:1], vcc
	s_cbranch_execz .LBB86_272
; %bb.271:
	ds_read2_b64 v[192:195], v188 offset0:26 offset1:27
	v_mul_f64 v[186:187], v[178:179], v[130:131]
	v_mul_f64 v[130:131], v[176:177], v[130:131]
	v_fmac_f64_e32 v[130:131], v[178:179], v[128:129]
	v_fma_f64 v[186:187], v[176:177], v[128:129], -v[186:187]
	ds_read2_b64 v[176:179], v188 offset0:28 offset1:29
	s_waitcnt lgkmcnt(1)
	v_mul_f64 v[128:129], v[194:195], v[130:131]
	v_fma_f64 v[128:129], v[192:193], v[186:187], -v[128:129]
	v_mul_f64 v[192:193], v[192:193], v[130:131]
	v_fmac_f64_e32 v[192:193], v[194:195], v[186:187]
	s_waitcnt vmcnt(30)
	v_add_f64 v[126:127], v[126:127], -v[192:193]
	ds_read2_b64 v[192:195], v188 offset0:30 offset1:31
	v_add_f64 v[124:125], v[124:125], -v[128:129]
	s_waitcnt lgkmcnt(1)
	v_mul_f64 v[128:129], v[178:179], v[130:131]
	v_fma_f64 v[128:129], v[176:177], v[186:187], -v[128:129]
	v_mul_f64 v[176:177], v[176:177], v[130:131]
	v_fmac_f64_e32 v[176:177], v[178:179], v[186:187]
	s_waitcnt vmcnt(29)
	v_add_f64 v[120:121], v[120:121], -v[128:129]
	v_add_f64 v[122:123], v[122:123], -v[176:177]
	ds_read2_b64 v[176:179], v188 offset0:32 offset1:33
	s_waitcnt lgkmcnt(1)
	v_mul_f64 v[128:129], v[194:195], v[130:131]
	v_fma_f64 v[128:129], v[192:193], v[186:187], -v[128:129]
	v_mul_f64 v[192:193], v[192:193], v[130:131]
	v_fmac_f64_e32 v[192:193], v[194:195], v[186:187]
	s_waitcnt vmcnt(28)
	v_add_f64 v[114:115], v[114:115], -v[192:193]
	ds_read2_b64 v[192:195], v188 offset0:34 offset1:35
	v_add_f64 v[112:113], v[112:113], -v[128:129]
	s_waitcnt lgkmcnt(1)
	v_mul_f64 v[128:129], v[178:179], v[130:131]
	v_fma_f64 v[128:129], v[176:177], v[186:187], -v[128:129]
	v_mul_f64 v[176:177], v[176:177], v[130:131]
	v_fmac_f64_e32 v[176:177], v[178:179], v[186:187]
	s_waitcnt vmcnt(27)
	v_add_f64 v[104:105], v[104:105], -v[128:129]
	v_add_f64 v[106:107], v[106:107], -v[176:177]
	;; [unrolled: 18-line block ×15, first 2 shown]
	s_waitcnt lgkmcnt(0)
	v_mul_f64 v[128:129], v[194:195], v[130:131]
	v_mul_f64 v[176:177], v[192:193], v[130:131]
	v_fma_f64 v[128:129], v[192:193], v[186:187], -v[128:129]
	v_fmac_f64_e32 v[176:177], v[194:195], v[186:187]
	s_waitcnt vmcnt(0)
	v_add_f64 v[172:173], v[172:173], -v[128:129]
	v_add_f64 v[174:175], v[174:175], -v[176:177]
	v_mov_b64_e32 v[128:129], v[186:187]
.LBB86_272:
	s_or_b64 exec, exec, s[0:1]
	v_lshl_add_u32 v176, v189, 4, v188
	s_barrier
	s_waitcnt vmcnt(30)
	ds_write2_b64 v176, v[124:125], v[126:127] offset1:1
	s_waitcnt lgkmcnt(0)
	s_barrier
	ds_read2_b64 v[176:179], v188 offset0:26 offset1:27
	s_cmp_lt_i32 s20, 15
	v_mov_b32_e32 v186, 13
	s_cbranch_scc1 .LBB86_275
; %bb.273:
	v_add_u32_e32 v187, 0xe0, v188
	s_mov_b32 s16, 14
	v_mov_b32_e32 v186, 13
.LBB86_274:                             ; =>This Inner Loop Header: Depth=1
	ds_read2_b64 v[192:195], v187 offset1:1
	s_waitcnt lgkmcnt(1)
	v_xor_b32_e32 v197, 0x80000000, v177
	v_xor_b32_e32 v199, 0x80000000, v179
	v_cmp_gt_f64_e32 vcc, 0, v[178:179]
	v_cmp_gt_f64_e64 s[0:1], 0, v[176:177]
	v_mov_b32_e32 v196, v176
	v_mov_b32_e32 v198, v178
	v_cndmask_b32_e64 v197, v177, v197, s[0:1]
	v_cndmask_b32_e32 v199, v179, v199, vcc
	v_add_f64 v[196:197], v[196:197], v[198:199]
	s_waitcnt lgkmcnt(0)
	v_xor_b32_e32 v199, 0x80000000, v193
	v_xor_b32_e32 v201, 0x80000000, v195
	v_cmp_gt_f64_e32 vcc, 0, v[194:195]
	v_cmp_gt_f64_e64 s[0:1], 0, v[192:193]
	v_mov_b32_e32 v198, v192
	v_mov_b32_e32 v200, v194
	v_cndmask_b32_e64 v199, v193, v199, s[0:1]
	v_cndmask_b32_e32 v201, v195, v201, vcc
	v_add_f64 v[198:199], v[198:199], v[200:201]
	v_mov_b32_e32 v202, s16
	s_add_i32 s16, s16, 1
	v_cmp_lt_f64_e32 vcc, v[196:197], v[198:199]
	v_add_u32_e32 v187, 16, v187
	s_cmp_lg_u32 s20, s16
	v_cndmask_b32_e32 v177, v177, v193, vcc
	v_cndmask_b32_e32 v176, v176, v192, vcc
	;; [unrolled: 1-line block ×5, first 2 shown]
	s_cbranch_scc1 .LBB86_274
.LBB86_275:
	s_waitcnt lgkmcnt(0)
	v_cmp_eq_f64_e32 vcc, 0, v[176:177]
	v_cmp_eq_f64_e64 s[0:1], 0, v[178:179]
	s_and_b64 s[0:1], vcc, s[0:1]
	s_and_saveexec_b64 s[16:17], s[0:1]
	s_xor_b64 s[0:1], exec, s[16:17]
; %bb.276:
	v_cmp_ne_u32_e32 vcc, 0, v190
	s_nop 1
	v_cndmask_b32_e32 v190, 14, v190, vcc
; %bb.277:
	s_andn2_saveexec_b64 s[0:1], s[0:1]
	s_cbranch_execz .LBB86_283
; %bb.278:
	v_cmp_ngt_f64_e64 s[16:17], |v[176:177]|, |v[178:179]|
	s_and_saveexec_b64 s[18:19], s[16:17]
	s_xor_b64 s[16:17], exec, s[18:19]
	s_cbranch_execz .LBB86_280
; %bb.279:
	v_div_scale_f64 v[192:193], s[18:19], v[178:179], v[178:179], v[176:177]
	v_rcp_f64_e32 v[194:195], v[192:193]
	v_div_scale_f64 v[196:197], vcc, v[176:177], v[178:179], v[176:177]
	v_fma_f64 v[198:199], -v[192:193], v[194:195], 1.0
	v_fmac_f64_e32 v[194:195], v[194:195], v[198:199]
	v_fma_f64 v[198:199], -v[192:193], v[194:195], 1.0
	v_fmac_f64_e32 v[194:195], v[194:195], v[198:199]
	v_mul_f64 v[198:199], v[196:197], v[194:195]
	v_fma_f64 v[192:193], -v[192:193], v[198:199], v[196:197]
	v_div_fmas_f64 v[192:193], v[192:193], v[194:195], v[198:199]
	v_div_fixup_f64 v[192:193], v[192:193], v[178:179], v[176:177]
	v_fmac_f64_e32 v[178:179], v[176:177], v[192:193]
	v_div_scale_f64 v[176:177], s[18:19], v[178:179], v[178:179], 1.0
	v_rcp_f64_e32 v[194:195], v[176:177]
	s_nop 0
	v_fma_f64 v[196:197], -v[176:177], v[194:195], 1.0
	v_fmac_f64_e32 v[194:195], v[194:195], v[196:197]
	v_fma_f64 v[196:197], -v[176:177], v[194:195], 1.0
	v_fmac_f64_e32 v[194:195], v[194:195], v[196:197]
	v_div_scale_f64 v[196:197], vcc, 1.0, v[178:179], 1.0
	v_mul_f64 v[198:199], v[196:197], v[194:195]
	v_fma_f64 v[176:177], -v[176:177], v[198:199], v[196:197]
	s_nop 1
	v_div_fmas_f64 v[176:177], v[176:177], v[194:195], v[198:199]
	v_div_fixup_f64 v[178:179], v[176:177], v[178:179], 1.0
	v_mul_f64 v[176:177], v[192:193], v[178:179]
	v_xor_b32_e32 v179, 0x80000000, v179
.LBB86_280:
	s_andn2_saveexec_b64 s[16:17], s[16:17]
	s_cbranch_execz .LBB86_282
; %bb.281:
	v_div_scale_f64 v[192:193], s[18:19], v[176:177], v[176:177], v[178:179]
	v_rcp_f64_e32 v[194:195], v[192:193]
	v_div_scale_f64 v[196:197], vcc, v[178:179], v[176:177], v[178:179]
	v_fma_f64 v[198:199], -v[192:193], v[194:195], 1.0
	v_fmac_f64_e32 v[194:195], v[194:195], v[198:199]
	v_fma_f64 v[198:199], -v[192:193], v[194:195], 1.0
	v_fmac_f64_e32 v[194:195], v[194:195], v[198:199]
	v_mul_f64 v[198:199], v[196:197], v[194:195]
	v_fma_f64 v[192:193], -v[192:193], v[198:199], v[196:197]
	v_div_fmas_f64 v[192:193], v[192:193], v[194:195], v[198:199]
	v_div_fixup_f64 v[192:193], v[192:193], v[176:177], v[178:179]
	v_fmac_f64_e32 v[176:177], v[178:179], v[192:193]
	v_div_scale_f64 v[178:179], s[18:19], v[176:177], v[176:177], 1.0
	v_rcp_f64_e32 v[194:195], v[178:179]
	s_nop 0
	v_fma_f64 v[196:197], -v[178:179], v[194:195], 1.0
	v_fmac_f64_e32 v[194:195], v[194:195], v[196:197]
	v_fma_f64 v[196:197], -v[178:179], v[194:195], 1.0
	v_fmac_f64_e32 v[194:195], v[194:195], v[196:197]
	v_div_scale_f64 v[196:197], vcc, 1.0, v[176:177], 1.0
	v_mul_f64 v[198:199], v[196:197], v[194:195]
	v_fma_f64 v[178:179], -v[178:179], v[198:199], v[196:197]
	s_nop 1
	v_div_fmas_f64 v[178:179], v[178:179], v[194:195], v[198:199]
	v_div_fixup_f64 v[176:177], v[178:179], v[176:177], 1.0
	v_mul_f64 v[178:179], v[192:193], -v[176:177]
.LBB86_282:
	s_or_b64 exec, exec, s[16:17]
.LBB86_283:
	s_or_b64 exec, exec, s[0:1]
	v_cmp_ne_u32_e32 vcc, v189, v186
	s_and_saveexec_b64 s[0:1], vcc
	s_xor_b64 s[0:1], exec, s[0:1]
	s_cbranch_execz .LBB86_289
; %bb.284:
	v_cmp_eq_u32_e32 vcc, 13, v189
	s_and_saveexec_b64 s[16:17], vcc
	s_cbranch_execz .LBB86_288
; %bb.285:
	v_cmp_ne_u32_e32 vcc, 13, v186
	s_xor_b64 s[18:19], s[14:15], -1
	s_and_b64 s[22:23], s[18:19], vcc
	s_and_saveexec_b64 s[18:19], s[22:23]
	s_cbranch_execz .LBB86_287
; %bb.286:
	v_ashrrev_i32_e32 v187, 31, v186
	v_lshl_add_u64 v[192:193], v[186:187], 2, v[184:185]
	global_load_dword v187, v[192:193], off
	global_load_dword v189, v[184:185], off offset:52
	s_waitcnt vmcnt(1)
	global_store_dword v[184:185], v187, off offset:52
	s_waitcnt vmcnt(1)
	global_store_dword v[192:193], v189, off
.LBB86_287:
	s_or_b64 exec, exec, s[18:19]
	v_mov_b32_e32 v189, v186
	v_mov_b32_e32 v191, v186
.LBB86_288:
	s_or_b64 exec, exec, s[16:17]
.LBB86_289:
	s_andn2_saveexec_b64 s[0:1], s[0:1]
	s_cbranch_execz .LBB86_291
; %bb.290:
	v_mov_b32_e32 v189, 13
	s_waitcnt vmcnt(29)
	ds_write2_b64 v188, v[120:121], v[122:123] offset0:28 offset1:29
	s_waitcnt vmcnt(28)
	ds_write2_b64 v188, v[112:113], v[114:115] offset0:30 offset1:31
	;; [unrolled: 2-line block ×30, first 2 shown]
.LBB86_291:
	s_or_b64 exec, exec, s[0:1]
	v_cmp_lt_i32_e32 vcc, 13, v189
	s_waitcnt lgkmcnt(0)
	s_barrier
	s_and_saveexec_b64 s[0:1], vcc
	s_cbranch_execz .LBB86_293
; %bb.292:
	ds_read2_b64 v[192:195], v188 offset0:28 offset1:29
	v_mul_f64 v[186:187], v[178:179], v[126:127]
	v_mul_f64 v[126:127], v[176:177], v[126:127]
	v_fma_f64 v[186:187], v[176:177], v[124:125], -v[186:187]
	v_fmac_f64_e32 v[126:127], v[178:179], v[124:125]
	ds_read2_b64 v[176:179], v188 offset0:30 offset1:31
	s_waitcnt lgkmcnt(1)
	v_mul_f64 v[124:125], v[194:195], v[126:127]
	v_fma_f64 v[124:125], v[192:193], v[186:187], -v[124:125]
	v_mul_f64 v[192:193], v[192:193], v[126:127]
	v_fmac_f64_e32 v[192:193], v[194:195], v[186:187]
	s_waitcnt vmcnt(29)
	v_add_f64 v[120:121], v[120:121], -v[124:125]
	s_waitcnt lgkmcnt(0)
	v_mul_f64 v[124:125], v[178:179], v[126:127]
	v_add_f64 v[122:123], v[122:123], -v[192:193]
	v_fma_f64 v[124:125], v[176:177], v[186:187], -v[124:125]
	v_mul_f64 v[176:177], v[176:177], v[126:127]
	ds_read2_b64 v[192:195], v188 offset0:32 offset1:33
	v_fmac_f64_e32 v[176:177], v[178:179], v[186:187]
	s_waitcnt vmcnt(28)
	v_add_f64 v[114:115], v[114:115], -v[176:177]
	ds_read2_b64 v[176:179], v188 offset0:34 offset1:35
	v_add_f64 v[112:113], v[112:113], -v[124:125]
	s_waitcnt lgkmcnt(1)
	v_mul_f64 v[124:125], v[194:195], v[126:127]
	v_fma_f64 v[124:125], v[192:193], v[186:187], -v[124:125]
	v_mul_f64 v[192:193], v[192:193], v[126:127]
	v_fmac_f64_e32 v[192:193], v[194:195], v[186:187]
	s_waitcnt vmcnt(27)
	v_add_f64 v[104:105], v[104:105], -v[124:125]
	s_waitcnt lgkmcnt(0)
	v_mul_f64 v[124:125], v[178:179], v[126:127]
	v_add_f64 v[106:107], v[106:107], -v[192:193]
	v_fma_f64 v[124:125], v[176:177], v[186:187], -v[124:125]
	v_mul_f64 v[176:177], v[176:177], v[126:127]
	ds_read2_b64 v[192:195], v188 offset0:36 offset1:37
	v_fmac_f64_e32 v[176:177], v[178:179], v[186:187]
	s_waitcnt vmcnt(26)
	v_add_f64 v[102:103], v[102:103], -v[176:177]
	ds_read2_b64 v[176:179], v188 offset0:38 offset1:39
	v_add_f64 v[100:101], v[100:101], -v[124:125]
	;; [unrolled: 18-line block ×14, first 2 shown]
	s_waitcnt lgkmcnt(1)
	v_mul_f64 v[124:125], v[194:195], v[126:127]
	v_fma_f64 v[124:125], v[192:193], v[186:187], -v[124:125]
	s_waitcnt vmcnt(1)
	v_add_f64 v[0:1], v[0:1], -v[124:125]
	s_waitcnt lgkmcnt(0)
	v_mul_f64 v[124:125], v[178:179], v[126:127]
	v_mul_f64 v[192:193], v[192:193], v[126:127]
	v_fma_f64 v[124:125], v[176:177], v[186:187], -v[124:125]
	v_mul_f64 v[176:177], v[176:177], v[126:127]
	v_fmac_f64_e32 v[192:193], v[194:195], v[186:187]
	v_fmac_f64_e32 v[176:177], v[178:179], v[186:187]
	v_add_f64 v[2:3], v[2:3], -v[192:193]
	s_waitcnt vmcnt(0)
	v_add_f64 v[172:173], v[172:173], -v[124:125]
	v_add_f64 v[174:175], v[174:175], -v[176:177]
	v_mov_b64_e32 v[124:125], v[186:187]
.LBB86_293:
	s_or_b64 exec, exec, s[0:1]
	v_lshl_add_u32 v176, v189, 4, v188
	s_barrier
	s_waitcnt vmcnt(29)
	ds_write2_b64 v176, v[120:121], v[122:123] offset1:1
	s_waitcnt lgkmcnt(0)
	s_barrier
	ds_read2_b64 v[176:179], v188 offset0:28 offset1:29
	s_cmp_lt_i32 s20, 16
	v_mov_b32_e32 v186, 14
	s_cbranch_scc1 .LBB86_296
; %bb.294:
	v_add_u32_e32 v187, 0xf0, v188
	s_mov_b32 s16, 15
	v_mov_b32_e32 v186, 14
.LBB86_295:                             ; =>This Inner Loop Header: Depth=1
	ds_read2_b64 v[192:195], v187 offset1:1
	s_waitcnt lgkmcnt(1)
	v_xor_b32_e32 v197, 0x80000000, v177
	v_xor_b32_e32 v199, 0x80000000, v179
	v_cmp_gt_f64_e32 vcc, 0, v[178:179]
	v_cmp_gt_f64_e64 s[0:1], 0, v[176:177]
	v_mov_b32_e32 v196, v176
	v_mov_b32_e32 v198, v178
	v_cndmask_b32_e64 v197, v177, v197, s[0:1]
	v_cndmask_b32_e32 v199, v179, v199, vcc
	v_add_f64 v[196:197], v[196:197], v[198:199]
	s_waitcnt lgkmcnt(0)
	v_xor_b32_e32 v199, 0x80000000, v193
	v_xor_b32_e32 v201, 0x80000000, v195
	v_cmp_gt_f64_e32 vcc, 0, v[194:195]
	v_cmp_gt_f64_e64 s[0:1], 0, v[192:193]
	v_mov_b32_e32 v198, v192
	v_mov_b32_e32 v200, v194
	v_cndmask_b32_e64 v199, v193, v199, s[0:1]
	v_cndmask_b32_e32 v201, v195, v201, vcc
	v_add_f64 v[198:199], v[198:199], v[200:201]
	v_mov_b32_e32 v202, s16
	s_add_i32 s16, s16, 1
	v_cmp_lt_f64_e32 vcc, v[196:197], v[198:199]
	v_add_u32_e32 v187, 16, v187
	s_cmp_lg_u32 s20, s16
	v_cndmask_b32_e32 v177, v177, v193, vcc
	v_cndmask_b32_e32 v176, v176, v192, vcc
	;; [unrolled: 1-line block ×5, first 2 shown]
	s_cbranch_scc1 .LBB86_295
.LBB86_296:
	s_waitcnt lgkmcnt(0)
	v_cmp_eq_f64_e32 vcc, 0, v[176:177]
	v_cmp_eq_f64_e64 s[0:1], 0, v[178:179]
	s_and_b64 s[0:1], vcc, s[0:1]
	s_and_saveexec_b64 s[16:17], s[0:1]
	s_xor_b64 s[0:1], exec, s[16:17]
; %bb.297:
	v_cmp_ne_u32_e32 vcc, 0, v190
	s_nop 1
	v_cndmask_b32_e32 v190, 15, v190, vcc
; %bb.298:
	s_andn2_saveexec_b64 s[0:1], s[0:1]
	s_cbranch_execz .LBB86_304
; %bb.299:
	v_cmp_ngt_f64_e64 s[16:17], |v[176:177]|, |v[178:179]|
	s_and_saveexec_b64 s[18:19], s[16:17]
	s_xor_b64 s[16:17], exec, s[18:19]
	s_cbranch_execz .LBB86_301
; %bb.300:
	v_div_scale_f64 v[192:193], s[18:19], v[178:179], v[178:179], v[176:177]
	v_rcp_f64_e32 v[194:195], v[192:193]
	v_div_scale_f64 v[196:197], vcc, v[176:177], v[178:179], v[176:177]
	v_fma_f64 v[198:199], -v[192:193], v[194:195], 1.0
	v_fmac_f64_e32 v[194:195], v[194:195], v[198:199]
	v_fma_f64 v[198:199], -v[192:193], v[194:195], 1.0
	v_fmac_f64_e32 v[194:195], v[194:195], v[198:199]
	v_mul_f64 v[198:199], v[196:197], v[194:195]
	v_fma_f64 v[192:193], -v[192:193], v[198:199], v[196:197]
	v_div_fmas_f64 v[192:193], v[192:193], v[194:195], v[198:199]
	v_div_fixup_f64 v[192:193], v[192:193], v[178:179], v[176:177]
	v_fmac_f64_e32 v[178:179], v[176:177], v[192:193]
	v_div_scale_f64 v[176:177], s[18:19], v[178:179], v[178:179], 1.0
	v_rcp_f64_e32 v[194:195], v[176:177]
	s_nop 0
	v_fma_f64 v[196:197], -v[176:177], v[194:195], 1.0
	v_fmac_f64_e32 v[194:195], v[194:195], v[196:197]
	v_fma_f64 v[196:197], -v[176:177], v[194:195], 1.0
	v_fmac_f64_e32 v[194:195], v[194:195], v[196:197]
	v_div_scale_f64 v[196:197], vcc, 1.0, v[178:179], 1.0
	v_mul_f64 v[198:199], v[196:197], v[194:195]
	v_fma_f64 v[176:177], -v[176:177], v[198:199], v[196:197]
	s_nop 1
	v_div_fmas_f64 v[176:177], v[176:177], v[194:195], v[198:199]
	v_div_fixup_f64 v[178:179], v[176:177], v[178:179], 1.0
	v_mul_f64 v[176:177], v[192:193], v[178:179]
	v_xor_b32_e32 v179, 0x80000000, v179
.LBB86_301:
	s_andn2_saveexec_b64 s[16:17], s[16:17]
	s_cbranch_execz .LBB86_303
; %bb.302:
	v_div_scale_f64 v[192:193], s[18:19], v[176:177], v[176:177], v[178:179]
	v_rcp_f64_e32 v[194:195], v[192:193]
	v_div_scale_f64 v[196:197], vcc, v[178:179], v[176:177], v[178:179]
	v_fma_f64 v[198:199], -v[192:193], v[194:195], 1.0
	v_fmac_f64_e32 v[194:195], v[194:195], v[198:199]
	v_fma_f64 v[198:199], -v[192:193], v[194:195], 1.0
	v_fmac_f64_e32 v[194:195], v[194:195], v[198:199]
	v_mul_f64 v[198:199], v[196:197], v[194:195]
	v_fma_f64 v[192:193], -v[192:193], v[198:199], v[196:197]
	v_div_fmas_f64 v[192:193], v[192:193], v[194:195], v[198:199]
	v_div_fixup_f64 v[192:193], v[192:193], v[176:177], v[178:179]
	v_fmac_f64_e32 v[176:177], v[178:179], v[192:193]
	v_div_scale_f64 v[178:179], s[18:19], v[176:177], v[176:177], 1.0
	v_rcp_f64_e32 v[194:195], v[178:179]
	s_nop 0
	v_fma_f64 v[196:197], -v[178:179], v[194:195], 1.0
	v_fmac_f64_e32 v[194:195], v[194:195], v[196:197]
	v_fma_f64 v[196:197], -v[178:179], v[194:195], 1.0
	v_fmac_f64_e32 v[194:195], v[194:195], v[196:197]
	v_div_scale_f64 v[196:197], vcc, 1.0, v[176:177], 1.0
	v_mul_f64 v[198:199], v[196:197], v[194:195]
	v_fma_f64 v[178:179], -v[178:179], v[198:199], v[196:197]
	s_nop 1
	v_div_fmas_f64 v[178:179], v[178:179], v[194:195], v[198:199]
	v_div_fixup_f64 v[176:177], v[178:179], v[176:177], 1.0
	v_mul_f64 v[178:179], v[192:193], -v[176:177]
.LBB86_303:
	s_or_b64 exec, exec, s[16:17]
.LBB86_304:
	s_or_b64 exec, exec, s[0:1]
	v_cmp_ne_u32_e32 vcc, v189, v186
	s_and_saveexec_b64 s[0:1], vcc
	s_xor_b64 s[0:1], exec, s[0:1]
	s_cbranch_execz .LBB86_310
; %bb.305:
	v_cmp_eq_u32_e32 vcc, 14, v189
	s_and_saveexec_b64 s[16:17], vcc
	s_cbranch_execz .LBB86_309
; %bb.306:
	v_cmp_ne_u32_e32 vcc, 14, v186
	s_xor_b64 s[18:19], s[14:15], -1
	s_and_b64 s[22:23], s[18:19], vcc
	s_and_saveexec_b64 s[18:19], s[22:23]
	s_cbranch_execz .LBB86_308
; %bb.307:
	v_ashrrev_i32_e32 v187, 31, v186
	v_lshl_add_u64 v[192:193], v[186:187], 2, v[184:185]
	global_load_dword v187, v[192:193], off
	global_load_dword v189, v[184:185], off offset:56
	s_waitcnt vmcnt(1)
	global_store_dword v[184:185], v187, off offset:56
	s_waitcnt vmcnt(1)
	global_store_dword v[192:193], v189, off
.LBB86_308:
	s_or_b64 exec, exec, s[18:19]
	v_mov_b32_e32 v189, v186
	v_mov_b32_e32 v191, v186
.LBB86_309:
	s_or_b64 exec, exec, s[16:17]
.LBB86_310:
	s_andn2_saveexec_b64 s[0:1], s[0:1]
	s_cbranch_execz .LBB86_312
; %bb.311:
	v_mov_b32_e32 v189, 14
	s_waitcnt vmcnt(28)
	ds_write2_b64 v188, v[112:113], v[114:115] offset0:30 offset1:31
	s_waitcnt vmcnt(27)
	ds_write2_b64 v188, v[104:105], v[106:107] offset0:32 offset1:33
	;; [unrolled: 2-line block ×29, first 2 shown]
.LBB86_312:
	s_or_b64 exec, exec, s[0:1]
	v_cmp_lt_i32_e32 vcc, 14, v189
	s_waitcnt lgkmcnt(0)
	s_barrier
	s_and_saveexec_b64 s[0:1], vcc
	s_cbranch_execz .LBB86_314
; %bb.313:
	ds_read2_b64 v[192:195], v188 offset0:30 offset1:31
	v_mul_f64 v[186:187], v[178:179], v[122:123]
	v_mul_f64 v[122:123], v[176:177], v[122:123]
	v_fmac_f64_e32 v[122:123], v[178:179], v[120:121]
	v_fma_f64 v[186:187], v[176:177], v[120:121], -v[186:187]
	ds_read2_b64 v[176:179], v188 offset0:32 offset1:33
	s_waitcnt lgkmcnt(1)
	v_mul_f64 v[120:121], v[194:195], v[122:123]
	v_fma_f64 v[120:121], v[192:193], v[186:187], -v[120:121]
	v_mul_f64 v[192:193], v[192:193], v[122:123]
	v_fmac_f64_e32 v[192:193], v[194:195], v[186:187]
	s_waitcnt vmcnt(28)
	v_add_f64 v[114:115], v[114:115], -v[192:193]
	ds_read2_b64 v[192:195], v188 offset0:34 offset1:35
	v_add_f64 v[112:113], v[112:113], -v[120:121]
	s_waitcnt lgkmcnt(1)
	v_mul_f64 v[120:121], v[178:179], v[122:123]
	v_fma_f64 v[120:121], v[176:177], v[186:187], -v[120:121]
	v_mul_f64 v[176:177], v[176:177], v[122:123]
	v_fmac_f64_e32 v[176:177], v[178:179], v[186:187]
	s_waitcnt vmcnt(27)
	v_add_f64 v[104:105], v[104:105], -v[120:121]
	v_add_f64 v[106:107], v[106:107], -v[176:177]
	ds_read2_b64 v[176:179], v188 offset0:36 offset1:37
	s_waitcnt lgkmcnt(1)
	v_mul_f64 v[120:121], v[194:195], v[122:123]
	v_fma_f64 v[120:121], v[192:193], v[186:187], -v[120:121]
	v_mul_f64 v[192:193], v[192:193], v[122:123]
	v_fmac_f64_e32 v[192:193], v[194:195], v[186:187]
	s_waitcnt vmcnt(26)
	v_add_f64 v[102:103], v[102:103], -v[192:193]
	ds_read2_b64 v[192:195], v188 offset0:38 offset1:39
	v_add_f64 v[100:101], v[100:101], -v[120:121]
	s_waitcnt lgkmcnt(1)
	v_mul_f64 v[120:121], v[178:179], v[122:123]
	v_fma_f64 v[120:121], v[176:177], v[186:187], -v[120:121]
	v_mul_f64 v[176:177], v[176:177], v[122:123]
	v_fmac_f64_e32 v[176:177], v[178:179], v[186:187]
	s_waitcnt vmcnt(25)
	v_add_f64 v[96:97], v[96:97], -v[120:121]
	v_add_f64 v[98:99], v[98:99], -v[176:177]
	;; [unrolled: 18-line block ×14, first 2 shown]
	s_waitcnt lgkmcnt(0)
	v_mul_f64 v[120:121], v[194:195], v[122:123]
	v_mul_f64 v[176:177], v[192:193], v[122:123]
	v_fma_f64 v[120:121], v[192:193], v[186:187], -v[120:121]
	v_fmac_f64_e32 v[176:177], v[194:195], v[186:187]
	s_waitcnt vmcnt(0)
	v_add_f64 v[172:173], v[172:173], -v[120:121]
	v_add_f64 v[174:175], v[174:175], -v[176:177]
	v_mov_b64_e32 v[120:121], v[186:187]
.LBB86_314:
	s_or_b64 exec, exec, s[0:1]
	v_lshl_add_u32 v176, v189, 4, v188
	s_barrier
	s_waitcnt vmcnt(28)
	ds_write2_b64 v176, v[112:113], v[114:115] offset1:1
	s_waitcnt lgkmcnt(0)
	s_barrier
	ds_read2_b64 v[176:179], v188 offset0:30 offset1:31
	s_cmp_lt_i32 s20, 17
	v_mov_b32_e32 v186, 15
	s_cbranch_scc1 .LBB86_317
; %bb.315:
	v_add_u32_e32 v187, 0x100, v188
	s_mov_b32 s16, 16
	v_mov_b32_e32 v186, 15
.LBB86_316:                             ; =>This Inner Loop Header: Depth=1
	ds_read2_b64 v[192:195], v187 offset1:1
	s_waitcnt lgkmcnt(1)
	v_xor_b32_e32 v197, 0x80000000, v177
	v_xor_b32_e32 v199, 0x80000000, v179
	v_cmp_gt_f64_e32 vcc, 0, v[178:179]
	v_cmp_gt_f64_e64 s[0:1], 0, v[176:177]
	v_mov_b32_e32 v196, v176
	v_mov_b32_e32 v198, v178
	v_cndmask_b32_e64 v197, v177, v197, s[0:1]
	v_cndmask_b32_e32 v199, v179, v199, vcc
	v_add_f64 v[196:197], v[196:197], v[198:199]
	s_waitcnt lgkmcnt(0)
	v_xor_b32_e32 v199, 0x80000000, v193
	v_xor_b32_e32 v201, 0x80000000, v195
	v_cmp_gt_f64_e32 vcc, 0, v[194:195]
	v_cmp_gt_f64_e64 s[0:1], 0, v[192:193]
	v_mov_b32_e32 v198, v192
	v_mov_b32_e32 v200, v194
	v_cndmask_b32_e64 v199, v193, v199, s[0:1]
	v_cndmask_b32_e32 v201, v195, v201, vcc
	v_add_f64 v[198:199], v[198:199], v[200:201]
	v_mov_b32_e32 v202, s16
	s_add_i32 s16, s16, 1
	v_cmp_lt_f64_e32 vcc, v[196:197], v[198:199]
	v_add_u32_e32 v187, 16, v187
	s_cmp_lg_u32 s20, s16
	v_cndmask_b32_e32 v177, v177, v193, vcc
	v_cndmask_b32_e32 v176, v176, v192, vcc
	;; [unrolled: 1-line block ×5, first 2 shown]
	s_cbranch_scc1 .LBB86_316
.LBB86_317:
	s_waitcnt lgkmcnt(0)
	v_cmp_eq_f64_e32 vcc, 0, v[176:177]
	v_cmp_eq_f64_e64 s[0:1], 0, v[178:179]
	s_and_b64 s[0:1], vcc, s[0:1]
	s_and_saveexec_b64 s[16:17], s[0:1]
	s_xor_b64 s[0:1], exec, s[16:17]
; %bb.318:
	v_cmp_ne_u32_e32 vcc, 0, v190
	s_nop 1
	v_cndmask_b32_e32 v190, 16, v190, vcc
; %bb.319:
	s_andn2_saveexec_b64 s[0:1], s[0:1]
	s_cbranch_execz .LBB86_325
; %bb.320:
	v_cmp_ngt_f64_e64 s[16:17], |v[176:177]|, |v[178:179]|
	s_and_saveexec_b64 s[18:19], s[16:17]
	s_xor_b64 s[16:17], exec, s[18:19]
	s_cbranch_execz .LBB86_322
; %bb.321:
	v_div_scale_f64 v[192:193], s[18:19], v[178:179], v[178:179], v[176:177]
	v_rcp_f64_e32 v[194:195], v[192:193]
	v_div_scale_f64 v[196:197], vcc, v[176:177], v[178:179], v[176:177]
	v_fma_f64 v[198:199], -v[192:193], v[194:195], 1.0
	v_fmac_f64_e32 v[194:195], v[194:195], v[198:199]
	v_fma_f64 v[198:199], -v[192:193], v[194:195], 1.0
	v_fmac_f64_e32 v[194:195], v[194:195], v[198:199]
	v_mul_f64 v[198:199], v[196:197], v[194:195]
	v_fma_f64 v[192:193], -v[192:193], v[198:199], v[196:197]
	v_div_fmas_f64 v[192:193], v[192:193], v[194:195], v[198:199]
	v_div_fixup_f64 v[192:193], v[192:193], v[178:179], v[176:177]
	v_fmac_f64_e32 v[178:179], v[176:177], v[192:193]
	v_div_scale_f64 v[176:177], s[18:19], v[178:179], v[178:179], 1.0
	v_rcp_f64_e32 v[194:195], v[176:177]
	s_nop 0
	v_fma_f64 v[196:197], -v[176:177], v[194:195], 1.0
	v_fmac_f64_e32 v[194:195], v[194:195], v[196:197]
	v_fma_f64 v[196:197], -v[176:177], v[194:195], 1.0
	v_fmac_f64_e32 v[194:195], v[194:195], v[196:197]
	v_div_scale_f64 v[196:197], vcc, 1.0, v[178:179], 1.0
	v_mul_f64 v[198:199], v[196:197], v[194:195]
	v_fma_f64 v[176:177], -v[176:177], v[198:199], v[196:197]
	s_nop 1
	v_div_fmas_f64 v[176:177], v[176:177], v[194:195], v[198:199]
	v_div_fixup_f64 v[178:179], v[176:177], v[178:179], 1.0
	v_mul_f64 v[176:177], v[192:193], v[178:179]
	v_xor_b32_e32 v179, 0x80000000, v179
.LBB86_322:
	s_andn2_saveexec_b64 s[16:17], s[16:17]
	s_cbranch_execz .LBB86_324
; %bb.323:
	v_div_scale_f64 v[192:193], s[18:19], v[176:177], v[176:177], v[178:179]
	v_rcp_f64_e32 v[194:195], v[192:193]
	v_div_scale_f64 v[196:197], vcc, v[178:179], v[176:177], v[178:179]
	v_fma_f64 v[198:199], -v[192:193], v[194:195], 1.0
	v_fmac_f64_e32 v[194:195], v[194:195], v[198:199]
	v_fma_f64 v[198:199], -v[192:193], v[194:195], 1.0
	v_fmac_f64_e32 v[194:195], v[194:195], v[198:199]
	v_mul_f64 v[198:199], v[196:197], v[194:195]
	v_fma_f64 v[192:193], -v[192:193], v[198:199], v[196:197]
	v_div_fmas_f64 v[192:193], v[192:193], v[194:195], v[198:199]
	v_div_fixup_f64 v[192:193], v[192:193], v[176:177], v[178:179]
	v_fmac_f64_e32 v[176:177], v[178:179], v[192:193]
	v_div_scale_f64 v[178:179], s[18:19], v[176:177], v[176:177], 1.0
	v_rcp_f64_e32 v[194:195], v[178:179]
	s_nop 0
	v_fma_f64 v[196:197], -v[178:179], v[194:195], 1.0
	v_fmac_f64_e32 v[194:195], v[194:195], v[196:197]
	v_fma_f64 v[196:197], -v[178:179], v[194:195], 1.0
	v_fmac_f64_e32 v[194:195], v[194:195], v[196:197]
	v_div_scale_f64 v[196:197], vcc, 1.0, v[176:177], 1.0
	v_mul_f64 v[198:199], v[196:197], v[194:195]
	v_fma_f64 v[178:179], -v[178:179], v[198:199], v[196:197]
	s_nop 1
	v_div_fmas_f64 v[178:179], v[178:179], v[194:195], v[198:199]
	v_div_fixup_f64 v[176:177], v[178:179], v[176:177], 1.0
	v_mul_f64 v[178:179], v[192:193], -v[176:177]
.LBB86_324:
	s_or_b64 exec, exec, s[16:17]
.LBB86_325:
	s_or_b64 exec, exec, s[0:1]
	v_cmp_ne_u32_e32 vcc, v189, v186
	s_and_saveexec_b64 s[0:1], vcc
	s_xor_b64 s[0:1], exec, s[0:1]
	s_cbranch_execz .LBB86_331
; %bb.326:
	v_cmp_eq_u32_e32 vcc, 15, v189
	s_and_saveexec_b64 s[16:17], vcc
	s_cbranch_execz .LBB86_330
; %bb.327:
	v_cmp_ne_u32_e32 vcc, 15, v186
	s_xor_b64 s[18:19], s[14:15], -1
	s_and_b64 s[22:23], s[18:19], vcc
	s_and_saveexec_b64 s[18:19], s[22:23]
	s_cbranch_execz .LBB86_329
; %bb.328:
	v_ashrrev_i32_e32 v187, 31, v186
	v_lshl_add_u64 v[192:193], v[186:187], 2, v[184:185]
	global_load_dword v187, v[192:193], off
	global_load_dword v189, v[184:185], off offset:60
	s_waitcnt vmcnt(1)
	global_store_dword v[184:185], v187, off offset:60
	s_waitcnt vmcnt(1)
	global_store_dword v[192:193], v189, off
.LBB86_329:
	s_or_b64 exec, exec, s[18:19]
	v_mov_b32_e32 v189, v186
	v_mov_b32_e32 v191, v186
.LBB86_330:
	s_or_b64 exec, exec, s[16:17]
.LBB86_331:
	s_andn2_saveexec_b64 s[0:1], s[0:1]
	s_cbranch_execz .LBB86_333
; %bb.332:
	v_mov_b32_e32 v189, 15
	s_waitcnt vmcnt(27)
	ds_write2_b64 v188, v[104:105], v[106:107] offset0:32 offset1:33
	s_waitcnt vmcnt(26)
	ds_write2_b64 v188, v[100:101], v[102:103] offset0:34 offset1:35
	s_waitcnt vmcnt(25)
	ds_write2_b64 v188, v[96:97], v[98:99] offset0:36 offset1:37
	s_waitcnt vmcnt(24)
	ds_write2_b64 v188, v[92:93], v[94:95] offset0:38 offset1:39
	s_waitcnt vmcnt(23)
	ds_write2_b64 v188, v[88:89], v[90:91] offset0:40 offset1:41
	s_waitcnt vmcnt(22)
	ds_write2_b64 v188, v[84:85], v[86:87] offset0:42 offset1:43
	s_waitcnt vmcnt(21)
	ds_write2_b64 v188, v[80:81], v[82:83] offset0:44 offset1:45
	s_waitcnt vmcnt(20)
	ds_write2_b64 v188, v[76:77], v[78:79] offset0:46 offset1:47
	s_waitcnt vmcnt(19)
	ds_write2_b64 v188, v[72:73], v[74:75] offset0:48 offset1:49
	s_waitcnt vmcnt(18)
	ds_write2_b64 v188, v[68:69], v[70:71] offset0:50 offset1:51
	s_waitcnt vmcnt(17)
	ds_write2_b64 v188, v[64:65], v[66:67] offset0:52 offset1:53
	s_waitcnt vmcnt(16)
	ds_write2_b64 v188, v[60:61], v[62:63] offset0:54 offset1:55
	s_waitcnt vmcnt(15)
	ds_write2_b64 v188, v[56:57], v[58:59] offset0:56 offset1:57
	s_waitcnt vmcnt(14)
	ds_write2_b64 v188, v[52:53], v[54:55] offset0:58 offset1:59
	s_waitcnt vmcnt(13)
	ds_write2_b64 v188, v[48:49], v[50:51] offset0:60 offset1:61
	s_waitcnt vmcnt(12)
	ds_write2_b64 v188, v[44:45], v[46:47] offset0:62 offset1:63
	s_waitcnt vmcnt(11)
	ds_write2_b64 v188, v[40:41], v[42:43] offset0:64 offset1:65
	s_waitcnt vmcnt(10)
	ds_write2_b64 v188, v[36:37], v[38:39] offset0:66 offset1:67
	s_waitcnt vmcnt(9)
	ds_write2_b64 v188, v[32:33], v[34:35] offset0:68 offset1:69
	s_waitcnt vmcnt(8)
	ds_write2_b64 v188, v[28:29], v[30:31] offset0:70 offset1:71
	s_waitcnt vmcnt(7)
	ds_write2_b64 v188, v[24:25], v[26:27] offset0:72 offset1:73
	s_waitcnt vmcnt(6)
	ds_write2_b64 v188, v[20:21], v[22:23] offset0:74 offset1:75
	s_waitcnt vmcnt(5)
	ds_write2_b64 v188, v[16:17], v[18:19] offset0:76 offset1:77
	s_waitcnt vmcnt(4)
	ds_write2_b64 v188, v[12:13], v[14:15] offset0:78 offset1:79
	s_waitcnt vmcnt(3)
	ds_write2_b64 v188, v[8:9], v[10:11] offset0:80 offset1:81
	s_waitcnt vmcnt(2)
	ds_write2_b64 v188, v[4:5], v[6:7] offset0:82 offset1:83
	s_waitcnt vmcnt(1)
	ds_write2_b64 v188, v[0:1], v[2:3] offset0:84 offset1:85
	s_waitcnt vmcnt(0)
	ds_write2_b64 v188, v[172:173], v[174:175] offset0:86 offset1:87
.LBB86_333:
	s_or_b64 exec, exec, s[0:1]
	v_cmp_lt_i32_e32 vcc, 15, v189
	s_waitcnt lgkmcnt(0)
	s_barrier
	s_and_saveexec_b64 s[0:1], vcc
	s_cbranch_execz .LBB86_335
; %bb.334:
	ds_read2_b64 v[192:195], v188 offset0:32 offset1:33
	v_mul_f64 v[186:187], v[178:179], v[114:115]
	v_mul_f64 v[114:115], v[176:177], v[114:115]
	v_fma_f64 v[186:187], v[176:177], v[112:113], -v[186:187]
	v_fmac_f64_e32 v[114:115], v[178:179], v[112:113]
	ds_read2_b64 v[176:179], v188 offset0:34 offset1:35
	s_waitcnt lgkmcnt(1)
	v_mul_f64 v[112:113], v[194:195], v[114:115]
	v_fma_f64 v[112:113], v[192:193], v[186:187], -v[112:113]
	v_mul_f64 v[192:193], v[192:193], v[114:115]
	v_fmac_f64_e32 v[192:193], v[194:195], v[186:187]
	s_waitcnt vmcnt(27)
	v_add_f64 v[104:105], v[104:105], -v[112:113]
	s_waitcnt lgkmcnt(0)
	v_mul_f64 v[112:113], v[178:179], v[114:115]
	v_add_f64 v[106:107], v[106:107], -v[192:193]
	v_fma_f64 v[112:113], v[176:177], v[186:187], -v[112:113]
	v_mul_f64 v[176:177], v[176:177], v[114:115]
	ds_read2_b64 v[192:195], v188 offset0:36 offset1:37
	v_fmac_f64_e32 v[176:177], v[178:179], v[186:187]
	s_waitcnt vmcnt(26)
	v_add_f64 v[102:103], v[102:103], -v[176:177]
	ds_read2_b64 v[176:179], v188 offset0:38 offset1:39
	v_add_f64 v[100:101], v[100:101], -v[112:113]
	s_waitcnt lgkmcnt(1)
	v_mul_f64 v[112:113], v[194:195], v[114:115]
	v_fma_f64 v[112:113], v[192:193], v[186:187], -v[112:113]
	v_mul_f64 v[192:193], v[192:193], v[114:115]
	v_fmac_f64_e32 v[192:193], v[194:195], v[186:187]
	s_waitcnt vmcnt(25)
	v_add_f64 v[96:97], v[96:97], -v[112:113]
	s_waitcnt lgkmcnt(0)
	v_mul_f64 v[112:113], v[178:179], v[114:115]
	v_add_f64 v[98:99], v[98:99], -v[192:193]
	v_fma_f64 v[112:113], v[176:177], v[186:187], -v[112:113]
	v_mul_f64 v[176:177], v[176:177], v[114:115]
	ds_read2_b64 v[192:195], v188 offset0:40 offset1:41
	v_fmac_f64_e32 v[176:177], v[178:179], v[186:187]
	s_waitcnt vmcnt(24)
	v_add_f64 v[94:95], v[94:95], -v[176:177]
	ds_read2_b64 v[176:179], v188 offset0:42 offset1:43
	v_add_f64 v[92:93], v[92:93], -v[112:113]
	;; [unrolled: 18-line block ×13, first 2 shown]
	s_waitcnt lgkmcnt(1)
	v_mul_f64 v[112:113], v[194:195], v[114:115]
	v_fma_f64 v[112:113], v[192:193], v[186:187], -v[112:113]
	s_waitcnt vmcnt(1)
	v_add_f64 v[0:1], v[0:1], -v[112:113]
	s_waitcnt lgkmcnt(0)
	v_mul_f64 v[112:113], v[178:179], v[114:115]
	v_mul_f64 v[192:193], v[192:193], v[114:115]
	v_fma_f64 v[112:113], v[176:177], v[186:187], -v[112:113]
	v_mul_f64 v[176:177], v[176:177], v[114:115]
	v_fmac_f64_e32 v[192:193], v[194:195], v[186:187]
	v_fmac_f64_e32 v[176:177], v[178:179], v[186:187]
	v_add_f64 v[2:3], v[2:3], -v[192:193]
	s_waitcnt vmcnt(0)
	v_add_f64 v[172:173], v[172:173], -v[112:113]
	v_add_f64 v[174:175], v[174:175], -v[176:177]
	v_mov_b64_e32 v[112:113], v[186:187]
.LBB86_335:
	s_or_b64 exec, exec, s[0:1]
	v_lshl_add_u32 v176, v189, 4, v188
	s_barrier
	s_waitcnt vmcnt(27)
	ds_write2_b64 v176, v[104:105], v[106:107] offset1:1
	s_waitcnt lgkmcnt(0)
	s_barrier
	ds_read2_b64 v[176:179], v188 offset0:32 offset1:33
	s_cmp_lt_i32 s20, 18
	v_mov_b32_e32 v186, 16
	s_cbranch_scc1 .LBB86_338
; %bb.336:
	v_add_u32_e32 v187, 0x110, v188
	s_mov_b32 s16, 17
	v_mov_b32_e32 v186, 16
.LBB86_337:                             ; =>This Inner Loop Header: Depth=1
	ds_read2_b64 v[192:195], v187 offset1:1
	s_waitcnt lgkmcnt(1)
	v_xor_b32_e32 v197, 0x80000000, v177
	v_xor_b32_e32 v199, 0x80000000, v179
	v_cmp_gt_f64_e32 vcc, 0, v[178:179]
	v_cmp_gt_f64_e64 s[0:1], 0, v[176:177]
	v_mov_b32_e32 v196, v176
	v_mov_b32_e32 v198, v178
	v_cndmask_b32_e64 v197, v177, v197, s[0:1]
	v_cndmask_b32_e32 v199, v179, v199, vcc
	v_add_f64 v[196:197], v[196:197], v[198:199]
	s_waitcnt lgkmcnt(0)
	v_xor_b32_e32 v199, 0x80000000, v193
	v_xor_b32_e32 v201, 0x80000000, v195
	v_cmp_gt_f64_e32 vcc, 0, v[194:195]
	v_cmp_gt_f64_e64 s[0:1], 0, v[192:193]
	v_mov_b32_e32 v198, v192
	v_mov_b32_e32 v200, v194
	v_cndmask_b32_e64 v199, v193, v199, s[0:1]
	v_cndmask_b32_e32 v201, v195, v201, vcc
	v_add_f64 v[198:199], v[198:199], v[200:201]
	v_mov_b32_e32 v202, s16
	s_add_i32 s16, s16, 1
	v_cmp_lt_f64_e32 vcc, v[196:197], v[198:199]
	v_add_u32_e32 v187, 16, v187
	s_cmp_lg_u32 s20, s16
	v_cndmask_b32_e32 v177, v177, v193, vcc
	v_cndmask_b32_e32 v176, v176, v192, vcc
	;; [unrolled: 1-line block ×5, first 2 shown]
	s_cbranch_scc1 .LBB86_337
.LBB86_338:
	s_waitcnt lgkmcnt(0)
	v_cmp_eq_f64_e32 vcc, 0, v[176:177]
	v_cmp_eq_f64_e64 s[0:1], 0, v[178:179]
	s_and_b64 s[0:1], vcc, s[0:1]
	s_and_saveexec_b64 s[16:17], s[0:1]
	s_xor_b64 s[0:1], exec, s[16:17]
; %bb.339:
	v_cmp_ne_u32_e32 vcc, 0, v190
	s_nop 1
	v_cndmask_b32_e32 v190, 17, v190, vcc
; %bb.340:
	s_andn2_saveexec_b64 s[0:1], s[0:1]
	s_cbranch_execz .LBB86_346
; %bb.341:
	v_cmp_ngt_f64_e64 s[16:17], |v[176:177]|, |v[178:179]|
	s_and_saveexec_b64 s[18:19], s[16:17]
	s_xor_b64 s[16:17], exec, s[18:19]
	s_cbranch_execz .LBB86_343
; %bb.342:
	v_div_scale_f64 v[192:193], s[18:19], v[178:179], v[178:179], v[176:177]
	v_rcp_f64_e32 v[194:195], v[192:193]
	v_div_scale_f64 v[196:197], vcc, v[176:177], v[178:179], v[176:177]
	v_fma_f64 v[198:199], -v[192:193], v[194:195], 1.0
	v_fmac_f64_e32 v[194:195], v[194:195], v[198:199]
	v_fma_f64 v[198:199], -v[192:193], v[194:195], 1.0
	v_fmac_f64_e32 v[194:195], v[194:195], v[198:199]
	v_mul_f64 v[198:199], v[196:197], v[194:195]
	v_fma_f64 v[192:193], -v[192:193], v[198:199], v[196:197]
	v_div_fmas_f64 v[192:193], v[192:193], v[194:195], v[198:199]
	v_div_fixup_f64 v[192:193], v[192:193], v[178:179], v[176:177]
	v_fmac_f64_e32 v[178:179], v[176:177], v[192:193]
	v_div_scale_f64 v[176:177], s[18:19], v[178:179], v[178:179], 1.0
	v_rcp_f64_e32 v[194:195], v[176:177]
	s_nop 0
	v_fma_f64 v[196:197], -v[176:177], v[194:195], 1.0
	v_fmac_f64_e32 v[194:195], v[194:195], v[196:197]
	v_fma_f64 v[196:197], -v[176:177], v[194:195], 1.0
	v_fmac_f64_e32 v[194:195], v[194:195], v[196:197]
	v_div_scale_f64 v[196:197], vcc, 1.0, v[178:179], 1.0
	v_mul_f64 v[198:199], v[196:197], v[194:195]
	v_fma_f64 v[176:177], -v[176:177], v[198:199], v[196:197]
	s_nop 1
	v_div_fmas_f64 v[176:177], v[176:177], v[194:195], v[198:199]
	v_div_fixup_f64 v[178:179], v[176:177], v[178:179], 1.0
	v_mul_f64 v[176:177], v[192:193], v[178:179]
	v_xor_b32_e32 v179, 0x80000000, v179
.LBB86_343:
	s_andn2_saveexec_b64 s[16:17], s[16:17]
	s_cbranch_execz .LBB86_345
; %bb.344:
	v_div_scale_f64 v[192:193], s[18:19], v[176:177], v[176:177], v[178:179]
	v_rcp_f64_e32 v[194:195], v[192:193]
	v_div_scale_f64 v[196:197], vcc, v[178:179], v[176:177], v[178:179]
	v_fma_f64 v[198:199], -v[192:193], v[194:195], 1.0
	v_fmac_f64_e32 v[194:195], v[194:195], v[198:199]
	v_fma_f64 v[198:199], -v[192:193], v[194:195], 1.0
	v_fmac_f64_e32 v[194:195], v[194:195], v[198:199]
	v_mul_f64 v[198:199], v[196:197], v[194:195]
	v_fma_f64 v[192:193], -v[192:193], v[198:199], v[196:197]
	v_div_fmas_f64 v[192:193], v[192:193], v[194:195], v[198:199]
	v_div_fixup_f64 v[192:193], v[192:193], v[176:177], v[178:179]
	v_fmac_f64_e32 v[176:177], v[178:179], v[192:193]
	v_div_scale_f64 v[178:179], s[18:19], v[176:177], v[176:177], 1.0
	v_rcp_f64_e32 v[194:195], v[178:179]
	s_nop 0
	v_fma_f64 v[196:197], -v[178:179], v[194:195], 1.0
	v_fmac_f64_e32 v[194:195], v[194:195], v[196:197]
	v_fma_f64 v[196:197], -v[178:179], v[194:195], 1.0
	v_fmac_f64_e32 v[194:195], v[194:195], v[196:197]
	v_div_scale_f64 v[196:197], vcc, 1.0, v[176:177], 1.0
	v_mul_f64 v[198:199], v[196:197], v[194:195]
	v_fma_f64 v[178:179], -v[178:179], v[198:199], v[196:197]
	s_nop 1
	v_div_fmas_f64 v[178:179], v[178:179], v[194:195], v[198:199]
	v_div_fixup_f64 v[176:177], v[178:179], v[176:177], 1.0
	v_mul_f64 v[178:179], v[192:193], -v[176:177]
.LBB86_345:
	s_or_b64 exec, exec, s[16:17]
.LBB86_346:
	s_or_b64 exec, exec, s[0:1]
	v_cmp_ne_u32_e32 vcc, v189, v186
	s_and_saveexec_b64 s[0:1], vcc
	s_xor_b64 s[0:1], exec, s[0:1]
	s_cbranch_execz .LBB86_352
; %bb.347:
	v_cmp_eq_u32_e32 vcc, 16, v189
	s_and_saveexec_b64 s[16:17], vcc
	s_cbranch_execz .LBB86_351
; %bb.348:
	v_cmp_ne_u32_e32 vcc, 16, v186
	s_xor_b64 s[18:19], s[14:15], -1
	s_and_b64 s[22:23], s[18:19], vcc
	s_and_saveexec_b64 s[18:19], s[22:23]
	s_cbranch_execz .LBB86_350
; %bb.349:
	v_ashrrev_i32_e32 v187, 31, v186
	v_lshl_add_u64 v[192:193], v[186:187], 2, v[184:185]
	global_load_dword v187, v[192:193], off
	global_load_dword v189, v[184:185], off offset:64
	s_waitcnt vmcnt(1)
	global_store_dword v[184:185], v187, off offset:64
	s_waitcnt vmcnt(1)
	global_store_dword v[192:193], v189, off
.LBB86_350:
	s_or_b64 exec, exec, s[18:19]
	v_mov_b32_e32 v189, v186
	v_mov_b32_e32 v191, v186
.LBB86_351:
	s_or_b64 exec, exec, s[16:17]
.LBB86_352:
	s_andn2_saveexec_b64 s[0:1], s[0:1]
	s_cbranch_execz .LBB86_354
; %bb.353:
	v_mov_b32_e32 v189, 16
	s_waitcnt vmcnt(26)
	ds_write2_b64 v188, v[100:101], v[102:103] offset0:34 offset1:35
	s_waitcnt vmcnt(25)
	ds_write2_b64 v188, v[96:97], v[98:99] offset0:36 offset1:37
	;; [unrolled: 2-line block ×27, first 2 shown]
.LBB86_354:
	s_or_b64 exec, exec, s[0:1]
	v_cmp_lt_i32_e32 vcc, 16, v189
	s_waitcnt lgkmcnt(0)
	s_barrier
	s_and_saveexec_b64 s[0:1], vcc
	s_cbranch_execz .LBB86_356
; %bb.355:
	ds_read2_b64 v[192:195], v188 offset0:34 offset1:35
	v_mul_f64 v[186:187], v[178:179], v[106:107]
	v_mul_f64 v[106:107], v[176:177], v[106:107]
	v_fmac_f64_e32 v[106:107], v[178:179], v[104:105]
	v_fma_f64 v[186:187], v[176:177], v[104:105], -v[186:187]
	ds_read2_b64 v[176:179], v188 offset0:36 offset1:37
	s_waitcnt lgkmcnt(1)
	v_mul_f64 v[104:105], v[194:195], v[106:107]
	v_fma_f64 v[104:105], v[192:193], v[186:187], -v[104:105]
	v_mul_f64 v[192:193], v[192:193], v[106:107]
	v_fmac_f64_e32 v[192:193], v[194:195], v[186:187]
	s_waitcnt vmcnt(26)
	v_add_f64 v[102:103], v[102:103], -v[192:193]
	ds_read2_b64 v[192:195], v188 offset0:38 offset1:39
	v_add_f64 v[100:101], v[100:101], -v[104:105]
	s_waitcnt lgkmcnt(1)
	v_mul_f64 v[104:105], v[178:179], v[106:107]
	v_fma_f64 v[104:105], v[176:177], v[186:187], -v[104:105]
	v_mul_f64 v[176:177], v[176:177], v[106:107]
	v_fmac_f64_e32 v[176:177], v[178:179], v[186:187]
	s_waitcnt vmcnt(25)
	v_add_f64 v[96:97], v[96:97], -v[104:105]
	v_add_f64 v[98:99], v[98:99], -v[176:177]
	ds_read2_b64 v[176:179], v188 offset0:40 offset1:41
	s_waitcnt lgkmcnt(1)
	v_mul_f64 v[104:105], v[194:195], v[106:107]
	v_fma_f64 v[104:105], v[192:193], v[186:187], -v[104:105]
	v_mul_f64 v[192:193], v[192:193], v[106:107]
	v_fmac_f64_e32 v[192:193], v[194:195], v[186:187]
	s_waitcnt vmcnt(24)
	v_add_f64 v[94:95], v[94:95], -v[192:193]
	ds_read2_b64 v[192:195], v188 offset0:42 offset1:43
	v_add_f64 v[92:93], v[92:93], -v[104:105]
	s_waitcnt lgkmcnt(1)
	v_mul_f64 v[104:105], v[178:179], v[106:107]
	v_fma_f64 v[104:105], v[176:177], v[186:187], -v[104:105]
	v_mul_f64 v[176:177], v[176:177], v[106:107]
	v_fmac_f64_e32 v[176:177], v[178:179], v[186:187]
	s_waitcnt vmcnt(23)
	v_add_f64 v[88:89], v[88:89], -v[104:105]
	v_add_f64 v[90:91], v[90:91], -v[176:177]
	;; [unrolled: 18-line block ×13, first 2 shown]
	s_waitcnt lgkmcnt(0)
	v_mul_f64 v[104:105], v[194:195], v[106:107]
	v_mul_f64 v[176:177], v[192:193], v[106:107]
	v_fma_f64 v[104:105], v[192:193], v[186:187], -v[104:105]
	v_fmac_f64_e32 v[176:177], v[194:195], v[186:187]
	s_waitcnt vmcnt(0)
	v_add_f64 v[172:173], v[172:173], -v[104:105]
	v_add_f64 v[174:175], v[174:175], -v[176:177]
	v_mov_b64_e32 v[104:105], v[186:187]
.LBB86_356:
	s_or_b64 exec, exec, s[0:1]
	v_lshl_add_u32 v176, v189, 4, v188
	s_barrier
	s_waitcnt vmcnt(26)
	ds_write2_b64 v176, v[100:101], v[102:103] offset1:1
	s_waitcnt lgkmcnt(0)
	s_barrier
	ds_read2_b64 v[176:179], v188 offset0:34 offset1:35
	s_cmp_lt_i32 s20, 19
	v_mov_b32_e32 v186, 17
	s_cbranch_scc1 .LBB86_359
; %bb.357:
	v_add_u32_e32 v187, 0x120, v188
	s_mov_b32 s16, 18
	v_mov_b32_e32 v186, 17
.LBB86_358:                             ; =>This Inner Loop Header: Depth=1
	ds_read2_b64 v[192:195], v187 offset1:1
	s_waitcnt lgkmcnt(1)
	v_xor_b32_e32 v197, 0x80000000, v177
	v_xor_b32_e32 v199, 0x80000000, v179
	v_cmp_gt_f64_e32 vcc, 0, v[178:179]
	v_cmp_gt_f64_e64 s[0:1], 0, v[176:177]
	v_mov_b32_e32 v196, v176
	v_mov_b32_e32 v198, v178
	v_cndmask_b32_e64 v197, v177, v197, s[0:1]
	v_cndmask_b32_e32 v199, v179, v199, vcc
	v_add_f64 v[196:197], v[196:197], v[198:199]
	s_waitcnt lgkmcnt(0)
	v_xor_b32_e32 v199, 0x80000000, v193
	v_xor_b32_e32 v201, 0x80000000, v195
	v_cmp_gt_f64_e32 vcc, 0, v[194:195]
	v_cmp_gt_f64_e64 s[0:1], 0, v[192:193]
	v_mov_b32_e32 v198, v192
	v_mov_b32_e32 v200, v194
	v_cndmask_b32_e64 v199, v193, v199, s[0:1]
	v_cndmask_b32_e32 v201, v195, v201, vcc
	v_add_f64 v[198:199], v[198:199], v[200:201]
	v_mov_b32_e32 v202, s16
	s_add_i32 s16, s16, 1
	v_cmp_lt_f64_e32 vcc, v[196:197], v[198:199]
	v_add_u32_e32 v187, 16, v187
	s_cmp_lg_u32 s20, s16
	v_cndmask_b32_e32 v177, v177, v193, vcc
	v_cndmask_b32_e32 v176, v176, v192, vcc
	;; [unrolled: 1-line block ×5, first 2 shown]
	s_cbranch_scc1 .LBB86_358
.LBB86_359:
	s_waitcnt lgkmcnt(0)
	v_cmp_eq_f64_e32 vcc, 0, v[176:177]
	v_cmp_eq_f64_e64 s[0:1], 0, v[178:179]
	s_and_b64 s[0:1], vcc, s[0:1]
	s_and_saveexec_b64 s[16:17], s[0:1]
	s_xor_b64 s[0:1], exec, s[16:17]
; %bb.360:
	v_cmp_ne_u32_e32 vcc, 0, v190
	s_nop 1
	v_cndmask_b32_e32 v190, 18, v190, vcc
; %bb.361:
	s_andn2_saveexec_b64 s[0:1], s[0:1]
	s_cbranch_execz .LBB86_367
; %bb.362:
	v_cmp_ngt_f64_e64 s[16:17], |v[176:177]|, |v[178:179]|
	s_and_saveexec_b64 s[18:19], s[16:17]
	s_xor_b64 s[16:17], exec, s[18:19]
	s_cbranch_execz .LBB86_364
; %bb.363:
	v_div_scale_f64 v[192:193], s[18:19], v[178:179], v[178:179], v[176:177]
	v_rcp_f64_e32 v[194:195], v[192:193]
	v_div_scale_f64 v[196:197], vcc, v[176:177], v[178:179], v[176:177]
	v_fma_f64 v[198:199], -v[192:193], v[194:195], 1.0
	v_fmac_f64_e32 v[194:195], v[194:195], v[198:199]
	v_fma_f64 v[198:199], -v[192:193], v[194:195], 1.0
	v_fmac_f64_e32 v[194:195], v[194:195], v[198:199]
	v_mul_f64 v[198:199], v[196:197], v[194:195]
	v_fma_f64 v[192:193], -v[192:193], v[198:199], v[196:197]
	v_div_fmas_f64 v[192:193], v[192:193], v[194:195], v[198:199]
	v_div_fixup_f64 v[192:193], v[192:193], v[178:179], v[176:177]
	v_fmac_f64_e32 v[178:179], v[176:177], v[192:193]
	v_div_scale_f64 v[176:177], s[18:19], v[178:179], v[178:179], 1.0
	v_rcp_f64_e32 v[194:195], v[176:177]
	s_nop 0
	v_fma_f64 v[196:197], -v[176:177], v[194:195], 1.0
	v_fmac_f64_e32 v[194:195], v[194:195], v[196:197]
	v_fma_f64 v[196:197], -v[176:177], v[194:195], 1.0
	v_fmac_f64_e32 v[194:195], v[194:195], v[196:197]
	v_div_scale_f64 v[196:197], vcc, 1.0, v[178:179], 1.0
	v_mul_f64 v[198:199], v[196:197], v[194:195]
	v_fma_f64 v[176:177], -v[176:177], v[198:199], v[196:197]
	s_nop 1
	v_div_fmas_f64 v[176:177], v[176:177], v[194:195], v[198:199]
	v_div_fixup_f64 v[178:179], v[176:177], v[178:179], 1.0
	v_mul_f64 v[176:177], v[192:193], v[178:179]
	v_xor_b32_e32 v179, 0x80000000, v179
.LBB86_364:
	s_andn2_saveexec_b64 s[16:17], s[16:17]
	s_cbranch_execz .LBB86_366
; %bb.365:
	v_div_scale_f64 v[192:193], s[18:19], v[176:177], v[176:177], v[178:179]
	v_rcp_f64_e32 v[194:195], v[192:193]
	v_div_scale_f64 v[196:197], vcc, v[178:179], v[176:177], v[178:179]
	v_fma_f64 v[198:199], -v[192:193], v[194:195], 1.0
	v_fmac_f64_e32 v[194:195], v[194:195], v[198:199]
	v_fma_f64 v[198:199], -v[192:193], v[194:195], 1.0
	v_fmac_f64_e32 v[194:195], v[194:195], v[198:199]
	v_mul_f64 v[198:199], v[196:197], v[194:195]
	v_fma_f64 v[192:193], -v[192:193], v[198:199], v[196:197]
	v_div_fmas_f64 v[192:193], v[192:193], v[194:195], v[198:199]
	v_div_fixup_f64 v[192:193], v[192:193], v[176:177], v[178:179]
	v_fmac_f64_e32 v[176:177], v[178:179], v[192:193]
	v_div_scale_f64 v[178:179], s[18:19], v[176:177], v[176:177], 1.0
	v_rcp_f64_e32 v[194:195], v[178:179]
	s_nop 0
	v_fma_f64 v[196:197], -v[178:179], v[194:195], 1.0
	v_fmac_f64_e32 v[194:195], v[194:195], v[196:197]
	v_fma_f64 v[196:197], -v[178:179], v[194:195], 1.0
	v_fmac_f64_e32 v[194:195], v[194:195], v[196:197]
	v_div_scale_f64 v[196:197], vcc, 1.0, v[176:177], 1.0
	v_mul_f64 v[198:199], v[196:197], v[194:195]
	v_fma_f64 v[178:179], -v[178:179], v[198:199], v[196:197]
	s_nop 1
	v_div_fmas_f64 v[178:179], v[178:179], v[194:195], v[198:199]
	v_div_fixup_f64 v[176:177], v[178:179], v[176:177], 1.0
	v_mul_f64 v[178:179], v[192:193], -v[176:177]
.LBB86_366:
	s_or_b64 exec, exec, s[16:17]
.LBB86_367:
	s_or_b64 exec, exec, s[0:1]
	v_cmp_ne_u32_e32 vcc, v189, v186
	s_and_saveexec_b64 s[0:1], vcc
	s_xor_b64 s[0:1], exec, s[0:1]
	s_cbranch_execz .LBB86_373
; %bb.368:
	v_cmp_eq_u32_e32 vcc, 17, v189
	s_and_saveexec_b64 s[16:17], vcc
	s_cbranch_execz .LBB86_372
; %bb.369:
	v_cmp_ne_u32_e32 vcc, 17, v186
	s_xor_b64 s[18:19], s[14:15], -1
	s_and_b64 s[22:23], s[18:19], vcc
	s_and_saveexec_b64 s[18:19], s[22:23]
	s_cbranch_execz .LBB86_371
; %bb.370:
	v_ashrrev_i32_e32 v187, 31, v186
	v_lshl_add_u64 v[192:193], v[186:187], 2, v[184:185]
	global_load_dword v187, v[192:193], off
	global_load_dword v189, v[184:185], off offset:68
	s_waitcnt vmcnt(1)
	global_store_dword v[184:185], v187, off offset:68
	s_waitcnt vmcnt(1)
	global_store_dword v[192:193], v189, off
.LBB86_371:
	s_or_b64 exec, exec, s[18:19]
	v_mov_b32_e32 v189, v186
	v_mov_b32_e32 v191, v186
.LBB86_372:
	s_or_b64 exec, exec, s[16:17]
.LBB86_373:
	s_andn2_saveexec_b64 s[0:1], s[0:1]
	s_cbranch_execz .LBB86_375
; %bb.374:
	v_mov_b32_e32 v189, 17
	s_waitcnt vmcnt(25)
	ds_write2_b64 v188, v[96:97], v[98:99] offset0:36 offset1:37
	s_waitcnt vmcnt(24)
	ds_write2_b64 v188, v[92:93], v[94:95] offset0:38 offset1:39
	;; [unrolled: 2-line block ×26, first 2 shown]
.LBB86_375:
	s_or_b64 exec, exec, s[0:1]
	v_cmp_lt_i32_e32 vcc, 17, v189
	s_waitcnt lgkmcnt(0)
	s_barrier
	s_and_saveexec_b64 s[0:1], vcc
	s_cbranch_execz .LBB86_377
; %bb.376:
	ds_read2_b64 v[192:195], v188 offset0:36 offset1:37
	v_mul_f64 v[186:187], v[178:179], v[102:103]
	v_mul_f64 v[102:103], v[176:177], v[102:103]
	v_fma_f64 v[186:187], v[176:177], v[100:101], -v[186:187]
	v_fmac_f64_e32 v[102:103], v[178:179], v[100:101]
	ds_read2_b64 v[176:179], v188 offset0:38 offset1:39
	s_waitcnt lgkmcnt(1)
	v_mul_f64 v[100:101], v[194:195], v[102:103]
	v_fma_f64 v[100:101], v[192:193], v[186:187], -v[100:101]
	v_mul_f64 v[192:193], v[192:193], v[102:103]
	v_fmac_f64_e32 v[192:193], v[194:195], v[186:187]
	s_waitcnt vmcnt(25)
	v_add_f64 v[96:97], v[96:97], -v[100:101]
	s_waitcnt lgkmcnt(0)
	v_mul_f64 v[100:101], v[178:179], v[102:103]
	v_add_f64 v[98:99], v[98:99], -v[192:193]
	v_fma_f64 v[100:101], v[176:177], v[186:187], -v[100:101]
	v_mul_f64 v[176:177], v[176:177], v[102:103]
	ds_read2_b64 v[192:195], v188 offset0:40 offset1:41
	v_fmac_f64_e32 v[176:177], v[178:179], v[186:187]
	s_waitcnt vmcnt(24)
	v_add_f64 v[94:95], v[94:95], -v[176:177]
	ds_read2_b64 v[176:179], v188 offset0:42 offset1:43
	v_add_f64 v[92:93], v[92:93], -v[100:101]
	s_waitcnt lgkmcnt(1)
	v_mul_f64 v[100:101], v[194:195], v[102:103]
	v_fma_f64 v[100:101], v[192:193], v[186:187], -v[100:101]
	v_mul_f64 v[192:193], v[192:193], v[102:103]
	v_fmac_f64_e32 v[192:193], v[194:195], v[186:187]
	s_waitcnt vmcnt(23)
	v_add_f64 v[88:89], v[88:89], -v[100:101]
	s_waitcnt lgkmcnt(0)
	v_mul_f64 v[100:101], v[178:179], v[102:103]
	v_add_f64 v[90:91], v[90:91], -v[192:193]
	v_fma_f64 v[100:101], v[176:177], v[186:187], -v[100:101]
	v_mul_f64 v[176:177], v[176:177], v[102:103]
	ds_read2_b64 v[192:195], v188 offset0:44 offset1:45
	v_fmac_f64_e32 v[176:177], v[178:179], v[186:187]
	s_waitcnt vmcnt(22)
	v_add_f64 v[86:87], v[86:87], -v[176:177]
	ds_read2_b64 v[176:179], v188 offset0:46 offset1:47
	v_add_f64 v[84:85], v[84:85], -v[100:101]
	;; [unrolled: 18-line block ×12, first 2 shown]
	s_waitcnt lgkmcnt(1)
	v_mul_f64 v[100:101], v[194:195], v[102:103]
	v_fma_f64 v[100:101], v[192:193], v[186:187], -v[100:101]
	s_waitcnt vmcnt(1)
	v_add_f64 v[0:1], v[0:1], -v[100:101]
	s_waitcnt lgkmcnt(0)
	v_mul_f64 v[100:101], v[178:179], v[102:103]
	v_mul_f64 v[192:193], v[192:193], v[102:103]
	v_fma_f64 v[100:101], v[176:177], v[186:187], -v[100:101]
	v_mul_f64 v[176:177], v[176:177], v[102:103]
	v_fmac_f64_e32 v[192:193], v[194:195], v[186:187]
	v_fmac_f64_e32 v[176:177], v[178:179], v[186:187]
	v_add_f64 v[2:3], v[2:3], -v[192:193]
	s_waitcnt vmcnt(0)
	v_add_f64 v[172:173], v[172:173], -v[100:101]
	v_add_f64 v[174:175], v[174:175], -v[176:177]
	v_mov_b64_e32 v[100:101], v[186:187]
.LBB86_377:
	s_or_b64 exec, exec, s[0:1]
	v_lshl_add_u32 v176, v189, 4, v188
	s_barrier
	s_waitcnt vmcnt(25)
	ds_write2_b64 v176, v[96:97], v[98:99] offset1:1
	s_waitcnt lgkmcnt(0)
	s_barrier
	ds_read2_b64 v[176:179], v188 offset0:36 offset1:37
	s_cmp_lt_i32 s20, 20
	v_mov_b32_e32 v186, 18
	s_cbranch_scc1 .LBB86_380
; %bb.378:
	v_add_u32_e32 v187, 0x130, v188
	s_mov_b32 s16, 19
	v_mov_b32_e32 v186, 18
.LBB86_379:                             ; =>This Inner Loop Header: Depth=1
	ds_read2_b64 v[192:195], v187 offset1:1
	s_waitcnt lgkmcnt(1)
	v_xor_b32_e32 v197, 0x80000000, v177
	v_xor_b32_e32 v199, 0x80000000, v179
	v_cmp_gt_f64_e32 vcc, 0, v[178:179]
	v_cmp_gt_f64_e64 s[0:1], 0, v[176:177]
	v_mov_b32_e32 v196, v176
	v_mov_b32_e32 v198, v178
	v_cndmask_b32_e64 v197, v177, v197, s[0:1]
	v_cndmask_b32_e32 v199, v179, v199, vcc
	v_add_f64 v[196:197], v[196:197], v[198:199]
	s_waitcnt lgkmcnt(0)
	v_xor_b32_e32 v199, 0x80000000, v193
	v_xor_b32_e32 v201, 0x80000000, v195
	v_cmp_gt_f64_e32 vcc, 0, v[194:195]
	v_cmp_gt_f64_e64 s[0:1], 0, v[192:193]
	v_mov_b32_e32 v198, v192
	v_mov_b32_e32 v200, v194
	v_cndmask_b32_e64 v199, v193, v199, s[0:1]
	v_cndmask_b32_e32 v201, v195, v201, vcc
	v_add_f64 v[198:199], v[198:199], v[200:201]
	v_mov_b32_e32 v202, s16
	s_add_i32 s16, s16, 1
	v_cmp_lt_f64_e32 vcc, v[196:197], v[198:199]
	v_add_u32_e32 v187, 16, v187
	s_cmp_lg_u32 s20, s16
	v_cndmask_b32_e32 v177, v177, v193, vcc
	v_cndmask_b32_e32 v176, v176, v192, vcc
	;; [unrolled: 1-line block ×5, first 2 shown]
	s_cbranch_scc1 .LBB86_379
.LBB86_380:
	s_waitcnt lgkmcnt(0)
	v_cmp_eq_f64_e32 vcc, 0, v[176:177]
	v_cmp_eq_f64_e64 s[0:1], 0, v[178:179]
	s_and_b64 s[0:1], vcc, s[0:1]
	s_and_saveexec_b64 s[16:17], s[0:1]
	s_xor_b64 s[0:1], exec, s[16:17]
; %bb.381:
	v_cmp_ne_u32_e32 vcc, 0, v190
	s_nop 1
	v_cndmask_b32_e32 v190, 19, v190, vcc
; %bb.382:
	s_andn2_saveexec_b64 s[0:1], s[0:1]
	s_cbranch_execz .LBB86_388
; %bb.383:
	v_cmp_ngt_f64_e64 s[16:17], |v[176:177]|, |v[178:179]|
	s_and_saveexec_b64 s[18:19], s[16:17]
	s_xor_b64 s[16:17], exec, s[18:19]
	s_cbranch_execz .LBB86_385
; %bb.384:
	v_div_scale_f64 v[192:193], s[18:19], v[178:179], v[178:179], v[176:177]
	v_rcp_f64_e32 v[194:195], v[192:193]
	v_div_scale_f64 v[196:197], vcc, v[176:177], v[178:179], v[176:177]
	v_fma_f64 v[198:199], -v[192:193], v[194:195], 1.0
	v_fmac_f64_e32 v[194:195], v[194:195], v[198:199]
	v_fma_f64 v[198:199], -v[192:193], v[194:195], 1.0
	v_fmac_f64_e32 v[194:195], v[194:195], v[198:199]
	v_mul_f64 v[198:199], v[196:197], v[194:195]
	v_fma_f64 v[192:193], -v[192:193], v[198:199], v[196:197]
	v_div_fmas_f64 v[192:193], v[192:193], v[194:195], v[198:199]
	v_div_fixup_f64 v[192:193], v[192:193], v[178:179], v[176:177]
	v_fmac_f64_e32 v[178:179], v[176:177], v[192:193]
	v_div_scale_f64 v[176:177], s[18:19], v[178:179], v[178:179], 1.0
	v_rcp_f64_e32 v[194:195], v[176:177]
	s_nop 0
	v_fma_f64 v[196:197], -v[176:177], v[194:195], 1.0
	v_fmac_f64_e32 v[194:195], v[194:195], v[196:197]
	v_fma_f64 v[196:197], -v[176:177], v[194:195], 1.0
	v_fmac_f64_e32 v[194:195], v[194:195], v[196:197]
	v_div_scale_f64 v[196:197], vcc, 1.0, v[178:179], 1.0
	v_mul_f64 v[198:199], v[196:197], v[194:195]
	v_fma_f64 v[176:177], -v[176:177], v[198:199], v[196:197]
	s_nop 1
	v_div_fmas_f64 v[176:177], v[176:177], v[194:195], v[198:199]
	v_div_fixup_f64 v[178:179], v[176:177], v[178:179], 1.0
	v_mul_f64 v[176:177], v[192:193], v[178:179]
	v_xor_b32_e32 v179, 0x80000000, v179
.LBB86_385:
	s_andn2_saveexec_b64 s[16:17], s[16:17]
	s_cbranch_execz .LBB86_387
; %bb.386:
	v_div_scale_f64 v[192:193], s[18:19], v[176:177], v[176:177], v[178:179]
	v_rcp_f64_e32 v[194:195], v[192:193]
	v_div_scale_f64 v[196:197], vcc, v[178:179], v[176:177], v[178:179]
	v_fma_f64 v[198:199], -v[192:193], v[194:195], 1.0
	v_fmac_f64_e32 v[194:195], v[194:195], v[198:199]
	v_fma_f64 v[198:199], -v[192:193], v[194:195], 1.0
	v_fmac_f64_e32 v[194:195], v[194:195], v[198:199]
	v_mul_f64 v[198:199], v[196:197], v[194:195]
	v_fma_f64 v[192:193], -v[192:193], v[198:199], v[196:197]
	v_div_fmas_f64 v[192:193], v[192:193], v[194:195], v[198:199]
	v_div_fixup_f64 v[192:193], v[192:193], v[176:177], v[178:179]
	v_fmac_f64_e32 v[176:177], v[178:179], v[192:193]
	v_div_scale_f64 v[178:179], s[18:19], v[176:177], v[176:177], 1.0
	v_rcp_f64_e32 v[194:195], v[178:179]
	s_nop 0
	v_fma_f64 v[196:197], -v[178:179], v[194:195], 1.0
	v_fmac_f64_e32 v[194:195], v[194:195], v[196:197]
	v_fma_f64 v[196:197], -v[178:179], v[194:195], 1.0
	v_fmac_f64_e32 v[194:195], v[194:195], v[196:197]
	v_div_scale_f64 v[196:197], vcc, 1.0, v[176:177], 1.0
	v_mul_f64 v[198:199], v[196:197], v[194:195]
	v_fma_f64 v[178:179], -v[178:179], v[198:199], v[196:197]
	s_nop 1
	v_div_fmas_f64 v[178:179], v[178:179], v[194:195], v[198:199]
	v_div_fixup_f64 v[176:177], v[178:179], v[176:177], 1.0
	v_mul_f64 v[178:179], v[192:193], -v[176:177]
.LBB86_387:
	s_or_b64 exec, exec, s[16:17]
.LBB86_388:
	s_or_b64 exec, exec, s[0:1]
	v_cmp_ne_u32_e32 vcc, v189, v186
	s_and_saveexec_b64 s[0:1], vcc
	s_xor_b64 s[0:1], exec, s[0:1]
	s_cbranch_execz .LBB86_394
; %bb.389:
	v_cmp_eq_u32_e32 vcc, 18, v189
	s_and_saveexec_b64 s[16:17], vcc
	s_cbranch_execz .LBB86_393
; %bb.390:
	v_cmp_ne_u32_e32 vcc, 18, v186
	s_xor_b64 s[18:19], s[14:15], -1
	s_and_b64 s[22:23], s[18:19], vcc
	s_and_saveexec_b64 s[18:19], s[22:23]
	s_cbranch_execz .LBB86_392
; %bb.391:
	v_ashrrev_i32_e32 v187, 31, v186
	v_lshl_add_u64 v[192:193], v[186:187], 2, v[184:185]
	global_load_dword v187, v[192:193], off
	global_load_dword v189, v[184:185], off offset:72
	s_waitcnt vmcnt(1)
	global_store_dword v[184:185], v187, off offset:72
	s_waitcnt vmcnt(1)
	global_store_dword v[192:193], v189, off
.LBB86_392:
	s_or_b64 exec, exec, s[18:19]
	v_mov_b32_e32 v189, v186
	v_mov_b32_e32 v191, v186
.LBB86_393:
	s_or_b64 exec, exec, s[16:17]
.LBB86_394:
	s_andn2_saveexec_b64 s[0:1], s[0:1]
	s_cbranch_execz .LBB86_396
; %bb.395:
	v_mov_b32_e32 v189, 18
	s_waitcnt vmcnt(24)
	ds_write2_b64 v188, v[92:93], v[94:95] offset0:38 offset1:39
	s_waitcnt vmcnt(23)
	ds_write2_b64 v188, v[88:89], v[90:91] offset0:40 offset1:41
	;; [unrolled: 2-line block ×25, first 2 shown]
.LBB86_396:
	s_or_b64 exec, exec, s[0:1]
	v_cmp_lt_i32_e32 vcc, 18, v189
	s_waitcnt lgkmcnt(0)
	s_barrier
	s_and_saveexec_b64 s[0:1], vcc
	s_cbranch_execz .LBB86_398
; %bb.397:
	ds_read2_b64 v[192:195], v188 offset0:38 offset1:39
	v_mul_f64 v[186:187], v[178:179], v[98:99]
	v_mul_f64 v[98:99], v[176:177], v[98:99]
	v_fmac_f64_e32 v[98:99], v[178:179], v[96:97]
	v_fma_f64 v[186:187], v[176:177], v[96:97], -v[186:187]
	ds_read2_b64 v[176:179], v188 offset0:40 offset1:41
	s_waitcnt lgkmcnt(1)
	v_mul_f64 v[96:97], v[194:195], v[98:99]
	v_fma_f64 v[96:97], v[192:193], v[186:187], -v[96:97]
	v_mul_f64 v[192:193], v[192:193], v[98:99]
	v_fmac_f64_e32 v[192:193], v[194:195], v[186:187]
	s_waitcnt vmcnt(24)
	v_add_f64 v[94:95], v[94:95], -v[192:193]
	ds_read2_b64 v[192:195], v188 offset0:42 offset1:43
	v_add_f64 v[92:93], v[92:93], -v[96:97]
	s_waitcnt lgkmcnt(1)
	v_mul_f64 v[96:97], v[178:179], v[98:99]
	v_fma_f64 v[96:97], v[176:177], v[186:187], -v[96:97]
	v_mul_f64 v[176:177], v[176:177], v[98:99]
	v_fmac_f64_e32 v[176:177], v[178:179], v[186:187]
	s_waitcnt vmcnt(23)
	v_add_f64 v[88:89], v[88:89], -v[96:97]
	v_add_f64 v[90:91], v[90:91], -v[176:177]
	ds_read2_b64 v[176:179], v188 offset0:44 offset1:45
	s_waitcnt lgkmcnt(1)
	v_mul_f64 v[96:97], v[194:195], v[98:99]
	v_fma_f64 v[96:97], v[192:193], v[186:187], -v[96:97]
	v_mul_f64 v[192:193], v[192:193], v[98:99]
	v_fmac_f64_e32 v[192:193], v[194:195], v[186:187]
	s_waitcnt vmcnt(22)
	v_add_f64 v[86:87], v[86:87], -v[192:193]
	ds_read2_b64 v[192:195], v188 offset0:46 offset1:47
	v_add_f64 v[84:85], v[84:85], -v[96:97]
	s_waitcnt lgkmcnt(1)
	v_mul_f64 v[96:97], v[178:179], v[98:99]
	v_fma_f64 v[96:97], v[176:177], v[186:187], -v[96:97]
	v_mul_f64 v[176:177], v[176:177], v[98:99]
	v_fmac_f64_e32 v[176:177], v[178:179], v[186:187]
	s_waitcnt vmcnt(21)
	v_add_f64 v[80:81], v[80:81], -v[96:97]
	v_add_f64 v[82:83], v[82:83], -v[176:177]
	;; [unrolled: 18-line block ×12, first 2 shown]
	s_waitcnt lgkmcnt(0)
	v_mul_f64 v[96:97], v[194:195], v[98:99]
	v_mul_f64 v[176:177], v[192:193], v[98:99]
	v_fma_f64 v[96:97], v[192:193], v[186:187], -v[96:97]
	v_fmac_f64_e32 v[176:177], v[194:195], v[186:187]
	s_waitcnt vmcnt(0)
	v_add_f64 v[172:173], v[172:173], -v[96:97]
	v_add_f64 v[174:175], v[174:175], -v[176:177]
	v_mov_b64_e32 v[96:97], v[186:187]
.LBB86_398:
	s_or_b64 exec, exec, s[0:1]
	v_lshl_add_u32 v176, v189, 4, v188
	s_barrier
	s_waitcnt vmcnt(24)
	ds_write2_b64 v176, v[92:93], v[94:95] offset1:1
	s_waitcnt lgkmcnt(0)
	s_barrier
	ds_read2_b64 v[176:179], v188 offset0:38 offset1:39
	s_cmp_lt_i32 s20, 21
	v_mov_b32_e32 v186, 19
	s_cbranch_scc1 .LBB86_401
; %bb.399:
	v_add_u32_e32 v187, 0x140, v188
	s_mov_b32 s16, 20
	v_mov_b32_e32 v186, 19
.LBB86_400:                             ; =>This Inner Loop Header: Depth=1
	ds_read2_b64 v[192:195], v187 offset1:1
	s_waitcnt lgkmcnt(1)
	v_xor_b32_e32 v197, 0x80000000, v177
	v_xor_b32_e32 v199, 0x80000000, v179
	v_cmp_gt_f64_e32 vcc, 0, v[178:179]
	v_cmp_gt_f64_e64 s[0:1], 0, v[176:177]
	v_mov_b32_e32 v196, v176
	v_mov_b32_e32 v198, v178
	v_cndmask_b32_e64 v197, v177, v197, s[0:1]
	v_cndmask_b32_e32 v199, v179, v199, vcc
	v_add_f64 v[196:197], v[196:197], v[198:199]
	s_waitcnt lgkmcnt(0)
	v_xor_b32_e32 v199, 0x80000000, v193
	v_xor_b32_e32 v201, 0x80000000, v195
	v_cmp_gt_f64_e32 vcc, 0, v[194:195]
	v_cmp_gt_f64_e64 s[0:1], 0, v[192:193]
	v_mov_b32_e32 v198, v192
	v_mov_b32_e32 v200, v194
	v_cndmask_b32_e64 v199, v193, v199, s[0:1]
	v_cndmask_b32_e32 v201, v195, v201, vcc
	v_add_f64 v[198:199], v[198:199], v[200:201]
	v_mov_b32_e32 v202, s16
	s_add_i32 s16, s16, 1
	v_cmp_lt_f64_e32 vcc, v[196:197], v[198:199]
	v_add_u32_e32 v187, 16, v187
	s_cmp_lg_u32 s20, s16
	v_cndmask_b32_e32 v177, v177, v193, vcc
	v_cndmask_b32_e32 v176, v176, v192, vcc
	;; [unrolled: 1-line block ×5, first 2 shown]
	s_cbranch_scc1 .LBB86_400
.LBB86_401:
	s_waitcnt lgkmcnt(0)
	v_cmp_eq_f64_e32 vcc, 0, v[176:177]
	v_cmp_eq_f64_e64 s[0:1], 0, v[178:179]
	s_and_b64 s[0:1], vcc, s[0:1]
	s_and_saveexec_b64 s[16:17], s[0:1]
	s_xor_b64 s[0:1], exec, s[16:17]
; %bb.402:
	v_cmp_ne_u32_e32 vcc, 0, v190
	s_nop 1
	v_cndmask_b32_e32 v190, 20, v190, vcc
; %bb.403:
	s_andn2_saveexec_b64 s[0:1], s[0:1]
	s_cbranch_execz .LBB86_409
; %bb.404:
	v_cmp_ngt_f64_e64 s[16:17], |v[176:177]|, |v[178:179]|
	s_and_saveexec_b64 s[18:19], s[16:17]
	s_xor_b64 s[16:17], exec, s[18:19]
	s_cbranch_execz .LBB86_406
; %bb.405:
	v_div_scale_f64 v[192:193], s[18:19], v[178:179], v[178:179], v[176:177]
	v_rcp_f64_e32 v[194:195], v[192:193]
	v_div_scale_f64 v[196:197], vcc, v[176:177], v[178:179], v[176:177]
	v_fma_f64 v[198:199], -v[192:193], v[194:195], 1.0
	v_fmac_f64_e32 v[194:195], v[194:195], v[198:199]
	v_fma_f64 v[198:199], -v[192:193], v[194:195], 1.0
	v_fmac_f64_e32 v[194:195], v[194:195], v[198:199]
	v_mul_f64 v[198:199], v[196:197], v[194:195]
	v_fma_f64 v[192:193], -v[192:193], v[198:199], v[196:197]
	v_div_fmas_f64 v[192:193], v[192:193], v[194:195], v[198:199]
	v_div_fixup_f64 v[192:193], v[192:193], v[178:179], v[176:177]
	v_fmac_f64_e32 v[178:179], v[176:177], v[192:193]
	v_div_scale_f64 v[176:177], s[18:19], v[178:179], v[178:179], 1.0
	v_rcp_f64_e32 v[194:195], v[176:177]
	s_nop 0
	v_fma_f64 v[196:197], -v[176:177], v[194:195], 1.0
	v_fmac_f64_e32 v[194:195], v[194:195], v[196:197]
	v_fma_f64 v[196:197], -v[176:177], v[194:195], 1.0
	v_fmac_f64_e32 v[194:195], v[194:195], v[196:197]
	v_div_scale_f64 v[196:197], vcc, 1.0, v[178:179], 1.0
	v_mul_f64 v[198:199], v[196:197], v[194:195]
	v_fma_f64 v[176:177], -v[176:177], v[198:199], v[196:197]
	s_nop 1
	v_div_fmas_f64 v[176:177], v[176:177], v[194:195], v[198:199]
	v_div_fixup_f64 v[178:179], v[176:177], v[178:179], 1.0
	v_mul_f64 v[176:177], v[192:193], v[178:179]
	v_xor_b32_e32 v179, 0x80000000, v179
.LBB86_406:
	s_andn2_saveexec_b64 s[16:17], s[16:17]
	s_cbranch_execz .LBB86_408
; %bb.407:
	v_div_scale_f64 v[192:193], s[18:19], v[176:177], v[176:177], v[178:179]
	v_rcp_f64_e32 v[194:195], v[192:193]
	v_div_scale_f64 v[196:197], vcc, v[178:179], v[176:177], v[178:179]
	v_fma_f64 v[198:199], -v[192:193], v[194:195], 1.0
	v_fmac_f64_e32 v[194:195], v[194:195], v[198:199]
	v_fma_f64 v[198:199], -v[192:193], v[194:195], 1.0
	v_fmac_f64_e32 v[194:195], v[194:195], v[198:199]
	v_mul_f64 v[198:199], v[196:197], v[194:195]
	v_fma_f64 v[192:193], -v[192:193], v[198:199], v[196:197]
	v_div_fmas_f64 v[192:193], v[192:193], v[194:195], v[198:199]
	v_div_fixup_f64 v[192:193], v[192:193], v[176:177], v[178:179]
	v_fmac_f64_e32 v[176:177], v[178:179], v[192:193]
	v_div_scale_f64 v[178:179], s[18:19], v[176:177], v[176:177], 1.0
	v_rcp_f64_e32 v[194:195], v[178:179]
	s_nop 0
	v_fma_f64 v[196:197], -v[178:179], v[194:195], 1.0
	v_fmac_f64_e32 v[194:195], v[194:195], v[196:197]
	v_fma_f64 v[196:197], -v[178:179], v[194:195], 1.0
	v_fmac_f64_e32 v[194:195], v[194:195], v[196:197]
	v_div_scale_f64 v[196:197], vcc, 1.0, v[176:177], 1.0
	v_mul_f64 v[198:199], v[196:197], v[194:195]
	v_fma_f64 v[178:179], -v[178:179], v[198:199], v[196:197]
	s_nop 1
	v_div_fmas_f64 v[178:179], v[178:179], v[194:195], v[198:199]
	v_div_fixup_f64 v[176:177], v[178:179], v[176:177], 1.0
	v_mul_f64 v[178:179], v[192:193], -v[176:177]
.LBB86_408:
	s_or_b64 exec, exec, s[16:17]
.LBB86_409:
	s_or_b64 exec, exec, s[0:1]
	v_cmp_ne_u32_e32 vcc, v189, v186
	s_and_saveexec_b64 s[0:1], vcc
	s_xor_b64 s[0:1], exec, s[0:1]
	s_cbranch_execz .LBB86_415
; %bb.410:
	v_cmp_eq_u32_e32 vcc, 19, v189
	s_and_saveexec_b64 s[16:17], vcc
	s_cbranch_execz .LBB86_414
; %bb.411:
	v_cmp_ne_u32_e32 vcc, 19, v186
	s_xor_b64 s[18:19], s[14:15], -1
	s_and_b64 s[22:23], s[18:19], vcc
	s_and_saveexec_b64 s[18:19], s[22:23]
	s_cbranch_execz .LBB86_413
; %bb.412:
	v_ashrrev_i32_e32 v187, 31, v186
	v_lshl_add_u64 v[192:193], v[186:187], 2, v[184:185]
	global_load_dword v187, v[192:193], off
	global_load_dword v189, v[184:185], off offset:76
	s_waitcnt vmcnt(1)
	global_store_dword v[184:185], v187, off offset:76
	s_waitcnt vmcnt(1)
	global_store_dword v[192:193], v189, off
.LBB86_413:
	s_or_b64 exec, exec, s[18:19]
	v_mov_b32_e32 v189, v186
	v_mov_b32_e32 v191, v186
.LBB86_414:
	s_or_b64 exec, exec, s[16:17]
.LBB86_415:
	s_andn2_saveexec_b64 s[0:1], s[0:1]
	s_cbranch_execz .LBB86_417
; %bb.416:
	v_mov_b32_e32 v189, 19
	s_waitcnt vmcnt(23)
	ds_write2_b64 v188, v[88:89], v[90:91] offset0:40 offset1:41
	s_waitcnt vmcnt(22)
	ds_write2_b64 v188, v[84:85], v[86:87] offset0:42 offset1:43
	;; [unrolled: 2-line block ×24, first 2 shown]
.LBB86_417:
	s_or_b64 exec, exec, s[0:1]
	v_cmp_lt_i32_e32 vcc, 19, v189
	s_waitcnt lgkmcnt(0)
	s_barrier
	s_and_saveexec_b64 s[0:1], vcc
	s_cbranch_execz .LBB86_419
; %bb.418:
	ds_read2_b64 v[192:195], v188 offset0:40 offset1:41
	v_mul_f64 v[186:187], v[178:179], v[94:95]
	v_mul_f64 v[94:95], v[176:177], v[94:95]
	v_fma_f64 v[186:187], v[176:177], v[92:93], -v[186:187]
	v_fmac_f64_e32 v[94:95], v[178:179], v[92:93]
	ds_read2_b64 v[176:179], v188 offset0:42 offset1:43
	s_waitcnt lgkmcnt(1)
	v_mul_f64 v[92:93], v[194:195], v[94:95]
	v_fma_f64 v[92:93], v[192:193], v[186:187], -v[92:93]
	v_mul_f64 v[192:193], v[192:193], v[94:95]
	v_fmac_f64_e32 v[192:193], v[194:195], v[186:187]
	s_waitcnt vmcnt(23)
	v_add_f64 v[88:89], v[88:89], -v[92:93]
	s_waitcnt lgkmcnt(0)
	v_mul_f64 v[92:93], v[178:179], v[94:95]
	v_add_f64 v[90:91], v[90:91], -v[192:193]
	v_fma_f64 v[92:93], v[176:177], v[186:187], -v[92:93]
	v_mul_f64 v[176:177], v[176:177], v[94:95]
	ds_read2_b64 v[192:195], v188 offset0:44 offset1:45
	v_fmac_f64_e32 v[176:177], v[178:179], v[186:187]
	s_waitcnt vmcnt(22)
	v_add_f64 v[86:87], v[86:87], -v[176:177]
	ds_read2_b64 v[176:179], v188 offset0:46 offset1:47
	v_add_f64 v[84:85], v[84:85], -v[92:93]
	s_waitcnt lgkmcnt(1)
	v_mul_f64 v[92:93], v[194:195], v[94:95]
	v_fma_f64 v[92:93], v[192:193], v[186:187], -v[92:93]
	v_mul_f64 v[192:193], v[192:193], v[94:95]
	v_fmac_f64_e32 v[192:193], v[194:195], v[186:187]
	s_waitcnt vmcnt(21)
	v_add_f64 v[80:81], v[80:81], -v[92:93]
	s_waitcnt lgkmcnt(0)
	v_mul_f64 v[92:93], v[178:179], v[94:95]
	v_add_f64 v[82:83], v[82:83], -v[192:193]
	v_fma_f64 v[92:93], v[176:177], v[186:187], -v[92:93]
	v_mul_f64 v[176:177], v[176:177], v[94:95]
	ds_read2_b64 v[192:195], v188 offset0:48 offset1:49
	v_fmac_f64_e32 v[176:177], v[178:179], v[186:187]
	s_waitcnt vmcnt(20)
	v_add_f64 v[78:79], v[78:79], -v[176:177]
	ds_read2_b64 v[176:179], v188 offset0:50 offset1:51
	v_add_f64 v[76:77], v[76:77], -v[92:93]
	s_waitcnt lgkmcnt(1)
	v_mul_f64 v[92:93], v[194:195], v[94:95]
	v_fma_f64 v[92:93], v[192:193], v[186:187], -v[92:93]
	v_mul_f64 v[192:193], v[192:193], v[94:95]
	v_fmac_f64_e32 v[192:193], v[194:195], v[186:187]
	s_waitcnt vmcnt(19)
	v_add_f64 v[72:73], v[72:73], -v[92:93]
	s_waitcnt lgkmcnt(0)
	v_mul_f64 v[92:93], v[178:179], v[94:95]
	v_add_f64 v[74:75], v[74:75], -v[192:193]
	v_fma_f64 v[92:93], v[176:177], v[186:187], -v[92:93]
	v_mul_f64 v[176:177], v[176:177], v[94:95]
	ds_read2_b64 v[192:195], v188 offset0:52 offset1:53
	v_fmac_f64_e32 v[176:177], v[178:179], v[186:187]
	s_waitcnt vmcnt(18)
	v_add_f64 v[70:71], v[70:71], -v[176:177]
	ds_read2_b64 v[176:179], v188 offset0:54 offset1:55
	v_add_f64 v[68:69], v[68:69], -v[92:93]
	s_waitcnt lgkmcnt(1)
	v_mul_f64 v[92:93], v[194:195], v[94:95]
	v_fma_f64 v[92:93], v[192:193], v[186:187], -v[92:93]
	v_mul_f64 v[192:193], v[192:193], v[94:95]
	v_fmac_f64_e32 v[192:193], v[194:195], v[186:187]
	s_waitcnt vmcnt(17)
	v_add_f64 v[64:65], v[64:65], -v[92:93]
	s_waitcnt lgkmcnt(0)
	v_mul_f64 v[92:93], v[178:179], v[94:95]
	v_add_f64 v[66:67], v[66:67], -v[192:193]
	v_fma_f64 v[92:93], v[176:177], v[186:187], -v[92:93]
	v_mul_f64 v[176:177], v[176:177], v[94:95]
	ds_read2_b64 v[192:195], v188 offset0:56 offset1:57
	v_fmac_f64_e32 v[176:177], v[178:179], v[186:187]
	s_waitcnt vmcnt(16)
	v_add_f64 v[62:63], v[62:63], -v[176:177]
	ds_read2_b64 v[176:179], v188 offset0:58 offset1:59
	v_add_f64 v[60:61], v[60:61], -v[92:93]
	s_waitcnt lgkmcnt(1)
	v_mul_f64 v[92:93], v[194:195], v[94:95]
	v_fma_f64 v[92:93], v[192:193], v[186:187], -v[92:93]
	v_mul_f64 v[192:193], v[192:193], v[94:95]
	v_fmac_f64_e32 v[192:193], v[194:195], v[186:187]
	s_waitcnt vmcnt(15)
	v_add_f64 v[56:57], v[56:57], -v[92:93]
	s_waitcnt lgkmcnt(0)
	v_mul_f64 v[92:93], v[178:179], v[94:95]
	v_add_f64 v[58:59], v[58:59], -v[192:193]
	v_fma_f64 v[92:93], v[176:177], v[186:187], -v[92:93]
	v_mul_f64 v[176:177], v[176:177], v[94:95]
	ds_read2_b64 v[192:195], v188 offset0:60 offset1:61
	v_fmac_f64_e32 v[176:177], v[178:179], v[186:187]
	s_waitcnt vmcnt(14)
	v_add_f64 v[54:55], v[54:55], -v[176:177]
	ds_read2_b64 v[176:179], v188 offset0:62 offset1:63
	v_add_f64 v[52:53], v[52:53], -v[92:93]
	s_waitcnt lgkmcnt(1)
	v_mul_f64 v[92:93], v[194:195], v[94:95]
	v_fma_f64 v[92:93], v[192:193], v[186:187], -v[92:93]
	v_mul_f64 v[192:193], v[192:193], v[94:95]
	v_fmac_f64_e32 v[192:193], v[194:195], v[186:187]
	s_waitcnt vmcnt(13)
	v_add_f64 v[48:49], v[48:49], -v[92:93]
	s_waitcnt lgkmcnt(0)
	v_mul_f64 v[92:93], v[178:179], v[94:95]
	v_add_f64 v[50:51], v[50:51], -v[192:193]
	v_fma_f64 v[92:93], v[176:177], v[186:187], -v[92:93]
	v_mul_f64 v[176:177], v[176:177], v[94:95]
	ds_read2_b64 v[192:195], v188 offset0:64 offset1:65
	v_fmac_f64_e32 v[176:177], v[178:179], v[186:187]
	s_waitcnt vmcnt(12)
	v_add_f64 v[46:47], v[46:47], -v[176:177]
	ds_read2_b64 v[176:179], v188 offset0:66 offset1:67
	v_add_f64 v[44:45], v[44:45], -v[92:93]
	s_waitcnt lgkmcnt(1)
	v_mul_f64 v[92:93], v[194:195], v[94:95]
	v_fma_f64 v[92:93], v[192:193], v[186:187], -v[92:93]
	v_mul_f64 v[192:193], v[192:193], v[94:95]
	v_fmac_f64_e32 v[192:193], v[194:195], v[186:187]
	s_waitcnt vmcnt(11)
	v_add_f64 v[40:41], v[40:41], -v[92:93]
	s_waitcnt lgkmcnt(0)
	v_mul_f64 v[92:93], v[178:179], v[94:95]
	v_add_f64 v[42:43], v[42:43], -v[192:193]
	v_fma_f64 v[92:93], v[176:177], v[186:187], -v[92:93]
	v_mul_f64 v[176:177], v[176:177], v[94:95]
	ds_read2_b64 v[192:195], v188 offset0:68 offset1:69
	v_fmac_f64_e32 v[176:177], v[178:179], v[186:187]
	s_waitcnt vmcnt(10)
	v_add_f64 v[38:39], v[38:39], -v[176:177]
	ds_read2_b64 v[176:179], v188 offset0:70 offset1:71
	v_add_f64 v[36:37], v[36:37], -v[92:93]
	s_waitcnt lgkmcnt(1)
	v_mul_f64 v[92:93], v[194:195], v[94:95]
	v_fma_f64 v[92:93], v[192:193], v[186:187], -v[92:93]
	v_mul_f64 v[192:193], v[192:193], v[94:95]
	v_fmac_f64_e32 v[192:193], v[194:195], v[186:187]
	s_waitcnt vmcnt(9)
	v_add_f64 v[32:33], v[32:33], -v[92:93]
	s_waitcnt lgkmcnt(0)
	v_mul_f64 v[92:93], v[178:179], v[94:95]
	v_add_f64 v[34:35], v[34:35], -v[192:193]
	v_fma_f64 v[92:93], v[176:177], v[186:187], -v[92:93]
	v_mul_f64 v[176:177], v[176:177], v[94:95]
	ds_read2_b64 v[192:195], v188 offset0:72 offset1:73
	v_fmac_f64_e32 v[176:177], v[178:179], v[186:187]
	s_waitcnt vmcnt(8)
	v_add_f64 v[30:31], v[30:31], -v[176:177]
	ds_read2_b64 v[176:179], v188 offset0:74 offset1:75
	v_add_f64 v[28:29], v[28:29], -v[92:93]
	s_waitcnt lgkmcnt(1)
	v_mul_f64 v[92:93], v[194:195], v[94:95]
	v_fma_f64 v[92:93], v[192:193], v[186:187], -v[92:93]
	v_mul_f64 v[192:193], v[192:193], v[94:95]
	v_fmac_f64_e32 v[192:193], v[194:195], v[186:187]
	s_waitcnt vmcnt(7)
	v_add_f64 v[24:25], v[24:25], -v[92:93]
	s_waitcnt lgkmcnt(0)
	v_mul_f64 v[92:93], v[178:179], v[94:95]
	v_add_f64 v[26:27], v[26:27], -v[192:193]
	v_fma_f64 v[92:93], v[176:177], v[186:187], -v[92:93]
	v_mul_f64 v[176:177], v[176:177], v[94:95]
	ds_read2_b64 v[192:195], v188 offset0:76 offset1:77
	v_fmac_f64_e32 v[176:177], v[178:179], v[186:187]
	s_waitcnt vmcnt(6)
	v_add_f64 v[22:23], v[22:23], -v[176:177]
	ds_read2_b64 v[176:179], v188 offset0:78 offset1:79
	v_add_f64 v[20:21], v[20:21], -v[92:93]
	s_waitcnt lgkmcnt(1)
	v_mul_f64 v[92:93], v[194:195], v[94:95]
	v_fma_f64 v[92:93], v[192:193], v[186:187], -v[92:93]
	v_mul_f64 v[192:193], v[192:193], v[94:95]
	v_fmac_f64_e32 v[192:193], v[194:195], v[186:187]
	s_waitcnt vmcnt(5)
	v_add_f64 v[16:17], v[16:17], -v[92:93]
	s_waitcnt lgkmcnt(0)
	v_mul_f64 v[92:93], v[178:179], v[94:95]
	v_add_f64 v[18:19], v[18:19], -v[192:193]
	v_fma_f64 v[92:93], v[176:177], v[186:187], -v[92:93]
	v_mul_f64 v[176:177], v[176:177], v[94:95]
	ds_read2_b64 v[192:195], v188 offset0:80 offset1:81
	v_fmac_f64_e32 v[176:177], v[178:179], v[186:187]
	s_waitcnt vmcnt(4)
	v_add_f64 v[14:15], v[14:15], -v[176:177]
	ds_read2_b64 v[176:179], v188 offset0:82 offset1:83
	v_add_f64 v[12:13], v[12:13], -v[92:93]
	s_waitcnt lgkmcnt(1)
	v_mul_f64 v[92:93], v[194:195], v[94:95]
	v_fma_f64 v[92:93], v[192:193], v[186:187], -v[92:93]
	v_mul_f64 v[192:193], v[192:193], v[94:95]
	v_fmac_f64_e32 v[192:193], v[194:195], v[186:187]
	s_waitcnt vmcnt(3)
	v_add_f64 v[8:9], v[8:9], -v[92:93]
	s_waitcnt lgkmcnt(0)
	v_mul_f64 v[92:93], v[178:179], v[94:95]
	v_add_f64 v[10:11], v[10:11], -v[192:193]
	v_fma_f64 v[92:93], v[176:177], v[186:187], -v[92:93]
	v_mul_f64 v[176:177], v[176:177], v[94:95]
	ds_read2_b64 v[192:195], v188 offset0:84 offset1:85
	v_fmac_f64_e32 v[176:177], v[178:179], v[186:187]
	s_waitcnt vmcnt(2)
	v_add_f64 v[6:7], v[6:7], -v[176:177]
	ds_read2_b64 v[176:179], v188 offset0:86 offset1:87
	v_add_f64 v[4:5], v[4:5], -v[92:93]
	s_waitcnt lgkmcnt(1)
	v_mul_f64 v[92:93], v[194:195], v[94:95]
	v_fma_f64 v[92:93], v[192:193], v[186:187], -v[92:93]
	s_waitcnt vmcnt(1)
	v_add_f64 v[0:1], v[0:1], -v[92:93]
	s_waitcnt lgkmcnt(0)
	v_mul_f64 v[92:93], v[178:179], v[94:95]
	v_mul_f64 v[192:193], v[192:193], v[94:95]
	v_fma_f64 v[92:93], v[176:177], v[186:187], -v[92:93]
	v_mul_f64 v[176:177], v[176:177], v[94:95]
	v_fmac_f64_e32 v[192:193], v[194:195], v[186:187]
	v_fmac_f64_e32 v[176:177], v[178:179], v[186:187]
	v_add_f64 v[2:3], v[2:3], -v[192:193]
	s_waitcnt vmcnt(0)
	v_add_f64 v[172:173], v[172:173], -v[92:93]
	v_add_f64 v[174:175], v[174:175], -v[176:177]
	v_mov_b64_e32 v[92:93], v[186:187]
.LBB86_419:
	s_or_b64 exec, exec, s[0:1]
	v_lshl_add_u32 v176, v189, 4, v188
	s_barrier
	s_waitcnt vmcnt(23)
	ds_write2_b64 v176, v[88:89], v[90:91] offset1:1
	s_waitcnt lgkmcnt(0)
	s_barrier
	ds_read2_b64 v[176:179], v188 offset0:40 offset1:41
	s_cmp_lt_i32 s20, 22
	v_mov_b32_e32 v186, 20
	s_cbranch_scc1 .LBB86_422
; %bb.420:
	v_add_u32_e32 v187, 0x150, v188
	s_mov_b32 s16, 21
	v_mov_b32_e32 v186, 20
.LBB86_421:                             ; =>This Inner Loop Header: Depth=1
	ds_read2_b64 v[192:195], v187 offset1:1
	s_waitcnt lgkmcnt(1)
	v_xor_b32_e32 v197, 0x80000000, v177
	v_xor_b32_e32 v199, 0x80000000, v179
	v_cmp_gt_f64_e32 vcc, 0, v[178:179]
	v_cmp_gt_f64_e64 s[0:1], 0, v[176:177]
	v_mov_b32_e32 v196, v176
	v_mov_b32_e32 v198, v178
	v_cndmask_b32_e64 v197, v177, v197, s[0:1]
	v_cndmask_b32_e32 v199, v179, v199, vcc
	v_add_f64 v[196:197], v[196:197], v[198:199]
	s_waitcnt lgkmcnt(0)
	v_xor_b32_e32 v199, 0x80000000, v193
	v_xor_b32_e32 v201, 0x80000000, v195
	v_cmp_gt_f64_e32 vcc, 0, v[194:195]
	v_cmp_gt_f64_e64 s[0:1], 0, v[192:193]
	v_mov_b32_e32 v198, v192
	v_mov_b32_e32 v200, v194
	v_cndmask_b32_e64 v199, v193, v199, s[0:1]
	v_cndmask_b32_e32 v201, v195, v201, vcc
	v_add_f64 v[198:199], v[198:199], v[200:201]
	v_mov_b32_e32 v202, s16
	s_add_i32 s16, s16, 1
	v_cmp_lt_f64_e32 vcc, v[196:197], v[198:199]
	v_add_u32_e32 v187, 16, v187
	s_cmp_lg_u32 s20, s16
	v_cndmask_b32_e32 v177, v177, v193, vcc
	v_cndmask_b32_e32 v176, v176, v192, vcc
	;; [unrolled: 1-line block ×5, first 2 shown]
	s_cbranch_scc1 .LBB86_421
.LBB86_422:
	s_waitcnt lgkmcnt(0)
	v_cmp_eq_f64_e32 vcc, 0, v[176:177]
	v_cmp_eq_f64_e64 s[0:1], 0, v[178:179]
	s_and_b64 s[0:1], vcc, s[0:1]
	s_and_saveexec_b64 s[16:17], s[0:1]
	s_xor_b64 s[0:1], exec, s[16:17]
; %bb.423:
	v_cmp_ne_u32_e32 vcc, 0, v190
	s_nop 1
	v_cndmask_b32_e32 v190, 21, v190, vcc
; %bb.424:
	s_andn2_saveexec_b64 s[0:1], s[0:1]
	s_cbranch_execz .LBB86_430
; %bb.425:
	v_cmp_ngt_f64_e64 s[16:17], |v[176:177]|, |v[178:179]|
	s_and_saveexec_b64 s[18:19], s[16:17]
	s_xor_b64 s[16:17], exec, s[18:19]
	s_cbranch_execz .LBB86_427
; %bb.426:
	v_div_scale_f64 v[192:193], s[18:19], v[178:179], v[178:179], v[176:177]
	v_rcp_f64_e32 v[194:195], v[192:193]
	v_div_scale_f64 v[196:197], vcc, v[176:177], v[178:179], v[176:177]
	v_fma_f64 v[198:199], -v[192:193], v[194:195], 1.0
	v_fmac_f64_e32 v[194:195], v[194:195], v[198:199]
	v_fma_f64 v[198:199], -v[192:193], v[194:195], 1.0
	v_fmac_f64_e32 v[194:195], v[194:195], v[198:199]
	v_mul_f64 v[198:199], v[196:197], v[194:195]
	v_fma_f64 v[192:193], -v[192:193], v[198:199], v[196:197]
	v_div_fmas_f64 v[192:193], v[192:193], v[194:195], v[198:199]
	v_div_fixup_f64 v[192:193], v[192:193], v[178:179], v[176:177]
	v_fmac_f64_e32 v[178:179], v[176:177], v[192:193]
	v_div_scale_f64 v[176:177], s[18:19], v[178:179], v[178:179], 1.0
	v_rcp_f64_e32 v[194:195], v[176:177]
	s_nop 0
	v_fma_f64 v[196:197], -v[176:177], v[194:195], 1.0
	v_fmac_f64_e32 v[194:195], v[194:195], v[196:197]
	v_fma_f64 v[196:197], -v[176:177], v[194:195], 1.0
	v_fmac_f64_e32 v[194:195], v[194:195], v[196:197]
	v_div_scale_f64 v[196:197], vcc, 1.0, v[178:179], 1.0
	v_mul_f64 v[198:199], v[196:197], v[194:195]
	v_fma_f64 v[176:177], -v[176:177], v[198:199], v[196:197]
	s_nop 1
	v_div_fmas_f64 v[176:177], v[176:177], v[194:195], v[198:199]
	v_div_fixup_f64 v[178:179], v[176:177], v[178:179], 1.0
	v_mul_f64 v[176:177], v[192:193], v[178:179]
	v_xor_b32_e32 v179, 0x80000000, v179
.LBB86_427:
	s_andn2_saveexec_b64 s[16:17], s[16:17]
	s_cbranch_execz .LBB86_429
; %bb.428:
	v_div_scale_f64 v[192:193], s[18:19], v[176:177], v[176:177], v[178:179]
	v_rcp_f64_e32 v[194:195], v[192:193]
	v_div_scale_f64 v[196:197], vcc, v[178:179], v[176:177], v[178:179]
	v_fma_f64 v[198:199], -v[192:193], v[194:195], 1.0
	v_fmac_f64_e32 v[194:195], v[194:195], v[198:199]
	v_fma_f64 v[198:199], -v[192:193], v[194:195], 1.0
	v_fmac_f64_e32 v[194:195], v[194:195], v[198:199]
	v_mul_f64 v[198:199], v[196:197], v[194:195]
	v_fma_f64 v[192:193], -v[192:193], v[198:199], v[196:197]
	v_div_fmas_f64 v[192:193], v[192:193], v[194:195], v[198:199]
	v_div_fixup_f64 v[192:193], v[192:193], v[176:177], v[178:179]
	v_fmac_f64_e32 v[176:177], v[178:179], v[192:193]
	v_div_scale_f64 v[178:179], s[18:19], v[176:177], v[176:177], 1.0
	v_rcp_f64_e32 v[194:195], v[178:179]
	s_nop 0
	v_fma_f64 v[196:197], -v[178:179], v[194:195], 1.0
	v_fmac_f64_e32 v[194:195], v[194:195], v[196:197]
	v_fma_f64 v[196:197], -v[178:179], v[194:195], 1.0
	v_fmac_f64_e32 v[194:195], v[194:195], v[196:197]
	v_div_scale_f64 v[196:197], vcc, 1.0, v[176:177], 1.0
	v_mul_f64 v[198:199], v[196:197], v[194:195]
	v_fma_f64 v[178:179], -v[178:179], v[198:199], v[196:197]
	s_nop 1
	v_div_fmas_f64 v[178:179], v[178:179], v[194:195], v[198:199]
	v_div_fixup_f64 v[176:177], v[178:179], v[176:177], 1.0
	v_mul_f64 v[178:179], v[192:193], -v[176:177]
.LBB86_429:
	s_or_b64 exec, exec, s[16:17]
.LBB86_430:
	s_or_b64 exec, exec, s[0:1]
	v_cmp_ne_u32_e32 vcc, v189, v186
	s_and_saveexec_b64 s[0:1], vcc
	s_xor_b64 s[0:1], exec, s[0:1]
	s_cbranch_execz .LBB86_436
; %bb.431:
	v_cmp_eq_u32_e32 vcc, 20, v189
	s_and_saveexec_b64 s[16:17], vcc
	s_cbranch_execz .LBB86_435
; %bb.432:
	v_cmp_ne_u32_e32 vcc, 20, v186
	s_xor_b64 s[18:19], s[14:15], -1
	s_and_b64 s[22:23], s[18:19], vcc
	s_and_saveexec_b64 s[18:19], s[22:23]
	s_cbranch_execz .LBB86_434
; %bb.433:
	v_ashrrev_i32_e32 v187, 31, v186
	v_lshl_add_u64 v[192:193], v[186:187], 2, v[184:185]
	global_load_dword v187, v[192:193], off
	global_load_dword v189, v[184:185], off offset:80
	s_waitcnt vmcnt(1)
	global_store_dword v[184:185], v187, off offset:80
	s_waitcnt vmcnt(1)
	global_store_dword v[192:193], v189, off
.LBB86_434:
	s_or_b64 exec, exec, s[18:19]
	v_mov_b32_e32 v189, v186
	v_mov_b32_e32 v191, v186
.LBB86_435:
	s_or_b64 exec, exec, s[16:17]
.LBB86_436:
	s_andn2_saveexec_b64 s[0:1], s[0:1]
	s_cbranch_execz .LBB86_438
; %bb.437:
	v_mov_b32_e32 v189, 20
	s_waitcnt vmcnt(22)
	ds_write2_b64 v188, v[84:85], v[86:87] offset0:42 offset1:43
	s_waitcnt vmcnt(21)
	ds_write2_b64 v188, v[80:81], v[82:83] offset0:44 offset1:45
	;; [unrolled: 2-line block ×23, first 2 shown]
.LBB86_438:
	s_or_b64 exec, exec, s[0:1]
	v_cmp_lt_i32_e32 vcc, 20, v189
	s_waitcnt lgkmcnt(0)
	s_barrier
	s_and_saveexec_b64 s[0:1], vcc
	s_cbranch_execz .LBB86_440
; %bb.439:
	ds_read2_b64 v[192:195], v188 offset0:42 offset1:43
	v_mul_f64 v[186:187], v[178:179], v[90:91]
	v_mul_f64 v[90:91], v[176:177], v[90:91]
	v_fmac_f64_e32 v[90:91], v[178:179], v[88:89]
	v_fma_f64 v[186:187], v[176:177], v[88:89], -v[186:187]
	ds_read2_b64 v[176:179], v188 offset0:44 offset1:45
	s_waitcnt lgkmcnt(1)
	v_mul_f64 v[88:89], v[194:195], v[90:91]
	v_fma_f64 v[88:89], v[192:193], v[186:187], -v[88:89]
	v_mul_f64 v[192:193], v[192:193], v[90:91]
	v_fmac_f64_e32 v[192:193], v[194:195], v[186:187]
	s_waitcnt vmcnt(22)
	v_add_f64 v[86:87], v[86:87], -v[192:193]
	ds_read2_b64 v[192:195], v188 offset0:46 offset1:47
	v_add_f64 v[84:85], v[84:85], -v[88:89]
	s_waitcnt lgkmcnt(1)
	v_mul_f64 v[88:89], v[178:179], v[90:91]
	v_fma_f64 v[88:89], v[176:177], v[186:187], -v[88:89]
	v_mul_f64 v[176:177], v[176:177], v[90:91]
	v_fmac_f64_e32 v[176:177], v[178:179], v[186:187]
	s_waitcnt vmcnt(21)
	v_add_f64 v[80:81], v[80:81], -v[88:89]
	v_add_f64 v[82:83], v[82:83], -v[176:177]
	ds_read2_b64 v[176:179], v188 offset0:48 offset1:49
	s_waitcnt lgkmcnt(1)
	v_mul_f64 v[88:89], v[194:195], v[90:91]
	v_fma_f64 v[88:89], v[192:193], v[186:187], -v[88:89]
	v_mul_f64 v[192:193], v[192:193], v[90:91]
	v_fmac_f64_e32 v[192:193], v[194:195], v[186:187]
	s_waitcnt vmcnt(20)
	v_add_f64 v[78:79], v[78:79], -v[192:193]
	ds_read2_b64 v[192:195], v188 offset0:50 offset1:51
	v_add_f64 v[76:77], v[76:77], -v[88:89]
	s_waitcnt lgkmcnt(1)
	v_mul_f64 v[88:89], v[178:179], v[90:91]
	v_fma_f64 v[88:89], v[176:177], v[186:187], -v[88:89]
	v_mul_f64 v[176:177], v[176:177], v[90:91]
	v_fmac_f64_e32 v[176:177], v[178:179], v[186:187]
	s_waitcnt vmcnt(19)
	v_add_f64 v[72:73], v[72:73], -v[88:89]
	v_add_f64 v[74:75], v[74:75], -v[176:177]
	;; [unrolled: 18-line block ×11, first 2 shown]
	s_waitcnt lgkmcnt(0)
	v_mul_f64 v[88:89], v[194:195], v[90:91]
	v_mul_f64 v[176:177], v[192:193], v[90:91]
	v_fma_f64 v[88:89], v[192:193], v[186:187], -v[88:89]
	v_fmac_f64_e32 v[176:177], v[194:195], v[186:187]
	s_waitcnt vmcnt(0)
	v_add_f64 v[172:173], v[172:173], -v[88:89]
	v_add_f64 v[174:175], v[174:175], -v[176:177]
	v_mov_b64_e32 v[88:89], v[186:187]
.LBB86_440:
	s_or_b64 exec, exec, s[0:1]
	v_lshl_add_u32 v176, v189, 4, v188
	s_barrier
	s_waitcnt vmcnt(22)
	ds_write2_b64 v176, v[84:85], v[86:87] offset1:1
	s_waitcnt lgkmcnt(0)
	s_barrier
	ds_read2_b64 v[176:179], v188 offset0:42 offset1:43
	s_cmp_lt_i32 s20, 23
	v_mov_b32_e32 v186, 21
	s_cbranch_scc1 .LBB86_443
; %bb.441:
	v_add_u32_e32 v187, 0x160, v188
	s_mov_b32 s16, 22
	v_mov_b32_e32 v186, 21
.LBB86_442:                             ; =>This Inner Loop Header: Depth=1
	ds_read2_b64 v[192:195], v187 offset1:1
	s_waitcnt lgkmcnt(1)
	v_xor_b32_e32 v197, 0x80000000, v177
	v_xor_b32_e32 v199, 0x80000000, v179
	v_cmp_gt_f64_e32 vcc, 0, v[178:179]
	v_cmp_gt_f64_e64 s[0:1], 0, v[176:177]
	v_mov_b32_e32 v196, v176
	v_mov_b32_e32 v198, v178
	v_cndmask_b32_e64 v197, v177, v197, s[0:1]
	v_cndmask_b32_e32 v199, v179, v199, vcc
	v_add_f64 v[196:197], v[196:197], v[198:199]
	s_waitcnt lgkmcnt(0)
	v_xor_b32_e32 v199, 0x80000000, v193
	v_xor_b32_e32 v201, 0x80000000, v195
	v_cmp_gt_f64_e32 vcc, 0, v[194:195]
	v_cmp_gt_f64_e64 s[0:1], 0, v[192:193]
	v_mov_b32_e32 v198, v192
	v_mov_b32_e32 v200, v194
	v_cndmask_b32_e64 v199, v193, v199, s[0:1]
	v_cndmask_b32_e32 v201, v195, v201, vcc
	v_add_f64 v[198:199], v[198:199], v[200:201]
	v_mov_b32_e32 v202, s16
	s_add_i32 s16, s16, 1
	v_cmp_lt_f64_e32 vcc, v[196:197], v[198:199]
	v_add_u32_e32 v187, 16, v187
	s_cmp_lg_u32 s20, s16
	v_cndmask_b32_e32 v177, v177, v193, vcc
	v_cndmask_b32_e32 v176, v176, v192, vcc
	;; [unrolled: 1-line block ×5, first 2 shown]
	s_cbranch_scc1 .LBB86_442
.LBB86_443:
	s_waitcnt lgkmcnt(0)
	v_cmp_eq_f64_e32 vcc, 0, v[176:177]
	v_cmp_eq_f64_e64 s[0:1], 0, v[178:179]
	s_and_b64 s[0:1], vcc, s[0:1]
	s_and_saveexec_b64 s[16:17], s[0:1]
	s_xor_b64 s[0:1], exec, s[16:17]
; %bb.444:
	v_cmp_ne_u32_e32 vcc, 0, v190
	s_nop 1
	v_cndmask_b32_e32 v190, 22, v190, vcc
; %bb.445:
	s_andn2_saveexec_b64 s[0:1], s[0:1]
	s_cbranch_execz .LBB86_451
; %bb.446:
	v_cmp_ngt_f64_e64 s[16:17], |v[176:177]|, |v[178:179]|
	s_and_saveexec_b64 s[18:19], s[16:17]
	s_xor_b64 s[16:17], exec, s[18:19]
	s_cbranch_execz .LBB86_448
; %bb.447:
	v_div_scale_f64 v[192:193], s[18:19], v[178:179], v[178:179], v[176:177]
	v_rcp_f64_e32 v[194:195], v[192:193]
	v_div_scale_f64 v[196:197], vcc, v[176:177], v[178:179], v[176:177]
	v_fma_f64 v[198:199], -v[192:193], v[194:195], 1.0
	v_fmac_f64_e32 v[194:195], v[194:195], v[198:199]
	v_fma_f64 v[198:199], -v[192:193], v[194:195], 1.0
	v_fmac_f64_e32 v[194:195], v[194:195], v[198:199]
	v_mul_f64 v[198:199], v[196:197], v[194:195]
	v_fma_f64 v[192:193], -v[192:193], v[198:199], v[196:197]
	v_div_fmas_f64 v[192:193], v[192:193], v[194:195], v[198:199]
	v_div_fixup_f64 v[192:193], v[192:193], v[178:179], v[176:177]
	v_fmac_f64_e32 v[178:179], v[176:177], v[192:193]
	v_div_scale_f64 v[176:177], s[18:19], v[178:179], v[178:179], 1.0
	v_rcp_f64_e32 v[194:195], v[176:177]
	s_nop 0
	v_fma_f64 v[196:197], -v[176:177], v[194:195], 1.0
	v_fmac_f64_e32 v[194:195], v[194:195], v[196:197]
	v_fma_f64 v[196:197], -v[176:177], v[194:195], 1.0
	v_fmac_f64_e32 v[194:195], v[194:195], v[196:197]
	v_div_scale_f64 v[196:197], vcc, 1.0, v[178:179], 1.0
	v_mul_f64 v[198:199], v[196:197], v[194:195]
	v_fma_f64 v[176:177], -v[176:177], v[198:199], v[196:197]
	s_nop 1
	v_div_fmas_f64 v[176:177], v[176:177], v[194:195], v[198:199]
	v_div_fixup_f64 v[178:179], v[176:177], v[178:179], 1.0
	v_mul_f64 v[176:177], v[192:193], v[178:179]
	v_xor_b32_e32 v179, 0x80000000, v179
.LBB86_448:
	s_andn2_saveexec_b64 s[16:17], s[16:17]
	s_cbranch_execz .LBB86_450
; %bb.449:
	v_div_scale_f64 v[192:193], s[18:19], v[176:177], v[176:177], v[178:179]
	v_rcp_f64_e32 v[194:195], v[192:193]
	v_div_scale_f64 v[196:197], vcc, v[178:179], v[176:177], v[178:179]
	v_fma_f64 v[198:199], -v[192:193], v[194:195], 1.0
	v_fmac_f64_e32 v[194:195], v[194:195], v[198:199]
	v_fma_f64 v[198:199], -v[192:193], v[194:195], 1.0
	v_fmac_f64_e32 v[194:195], v[194:195], v[198:199]
	v_mul_f64 v[198:199], v[196:197], v[194:195]
	v_fma_f64 v[192:193], -v[192:193], v[198:199], v[196:197]
	v_div_fmas_f64 v[192:193], v[192:193], v[194:195], v[198:199]
	v_div_fixup_f64 v[192:193], v[192:193], v[176:177], v[178:179]
	v_fmac_f64_e32 v[176:177], v[178:179], v[192:193]
	v_div_scale_f64 v[178:179], s[18:19], v[176:177], v[176:177], 1.0
	v_rcp_f64_e32 v[194:195], v[178:179]
	s_nop 0
	v_fma_f64 v[196:197], -v[178:179], v[194:195], 1.0
	v_fmac_f64_e32 v[194:195], v[194:195], v[196:197]
	v_fma_f64 v[196:197], -v[178:179], v[194:195], 1.0
	v_fmac_f64_e32 v[194:195], v[194:195], v[196:197]
	v_div_scale_f64 v[196:197], vcc, 1.0, v[176:177], 1.0
	v_mul_f64 v[198:199], v[196:197], v[194:195]
	v_fma_f64 v[178:179], -v[178:179], v[198:199], v[196:197]
	s_nop 1
	v_div_fmas_f64 v[178:179], v[178:179], v[194:195], v[198:199]
	v_div_fixup_f64 v[176:177], v[178:179], v[176:177], 1.0
	v_mul_f64 v[178:179], v[192:193], -v[176:177]
.LBB86_450:
	s_or_b64 exec, exec, s[16:17]
.LBB86_451:
	s_or_b64 exec, exec, s[0:1]
	v_cmp_ne_u32_e32 vcc, v189, v186
	s_and_saveexec_b64 s[0:1], vcc
	s_xor_b64 s[0:1], exec, s[0:1]
	s_cbranch_execz .LBB86_457
; %bb.452:
	v_cmp_eq_u32_e32 vcc, 21, v189
	s_and_saveexec_b64 s[16:17], vcc
	s_cbranch_execz .LBB86_456
; %bb.453:
	v_cmp_ne_u32_e32 vcc, 21, v186
	s_xor_b64 s[18:19], s[14:15], -1
	s_and_b64 s[22:23], s[18:19], vcc
	s_and_saveexec_b64 s[18:19], s[22:23]
	s_cbranch_execz .LBB86_455
; %bb.454:
	v_ashrrev_i32_e32 v187, 31, v186
	v_lshl_add_u64 v[192:193], v[186:187], 2, v[184:185]
	global_load_dword v187, v[192:193], off
	global_load_dword v189, v[184:185], off offset:84
	s_waitcnt vmcnt(1)
	global_store_dword v[184:185], v187, off offset:84
	s_waitcnt vmcnt(1)
	global_store_dword v[192:193], v189, off
.LBB86_455:
	s_or_b64 exec, exec, s[18:19]
	v_mov_b32_e32 v189, v186
	v_mov_b32_e32 v191, v186
.LBB86_456:
	s_or_b64 exec, exec, s[16:17]
.LBB86_457:
	s_andn2_saveexec_b64 s[0:1], s[0:1]
	s_cbranch_execz .LBB86_459
; %bb.458:
	v_mov_b32_e32 v189, 21
	s_waitcnt vmcnt(21)
	ds_write2_b64 v188, v[80:81], v[82:83] offset0:44 offset1:45
	s_waitcnt vmcnt(20)
	ds_write2_b64 v188, v[76:77], v[78:79] offset0:46 offset1:47
	;; [unrolled: 2-line block ×22, first 2 shown]
.LBB86_459:
	s_or_b64 exec, exec, s[0:1]
	v_cmp_lt_i32_e32 vcc, 21, v189
	s_waitcnt lgkmcnt(0)
	s_barrier
	s_and_saveexec_b64 s[0:1], vcc
	s_cbranch_execz .LBB86_461
; %bb.460:
	ds_read2_b64 v[192:195], v188 offset0:44 offset1:45
	v_mul_f64 v[186:187], v[178:179], v[86:87]
	v_mul_f64 v[86:87], v[176:177], v[86:87]
	v_fma_f64 v[186:187], v[176:177], v[84:85], -v[186:187]
	v_fmac_f64_e32 v[86:87], v[178:179], v[84:85]
	ds_read2_b64 v[176:179], v188 offset0:46 offset1:47
	s_waitcnt lgkmcnt(1)
	v_mul_f64 v[84:85], v[194:195], v[86:87]
	v_fma_f64 v[84:85], v[192:193], v[186:187], -v[84:85]
	v_mul_f64 v[192:193], v[192:193], v[86:87]
	v_fmac_f64_e32 v[192:193], v[194:195], v[186:187]
	s_waitcnt vmcnt(21)
	v_add_f64 v[80:81], v[80:81], -v[84:85]
	s_waitcnt lgkmcnt(0)
	v_mul_f64 v[84:85], v[178:179], v[86:87]
	v_add_f64 v[82:83], v[82:83], -v[192:193]
	v_fma_f64 v[84:85], v[176:177], v[186:187], -v[84:85]
	v_mul_f64 v[176:177], v[176:177], v[86:87]
	ds_read2_b64 v[192:195], v188 offset0:48 offset1:49
	v_fmac_f64_e32 v[176:177], v[178:179], v[186:187]
	s_waitcnt vmcnt(20)
	v_add_f64 v[78:79], v[78:79], -v[176:177]
	ds_read2_b64 v[176:179], v188 offset0:50 offset1:51
	v_add_f64 v[76:77], v[76:77], -v[84:85]
	s_waitcnt lgkmcnt(1)
	v_mul_f64 v[84:85], v[194:195], v[86:87]
	v_fma_f64 v[84:85], v[192:193], v[186:187], -v[84:85]
	v_mul_f64 v[192:193], v[192:193], v[86:87]
	v_fmac_f64_e32 v[192:193], v[194:195], v[186:187]
	s_waitcnt vmcnt(19)
	v_add_f64 v[72:73], v[72:73], -v[84:85]
	s_waitcnt lgkmcnt(0)
	v_mul_f64 v[84:85], v[178:179], v[86:87]
	v_add_f64 v[74:75], v[74:75], -v[192:193]
	v_fma_f64 v[84:85], v[176:177], v[186:187], -v[84:85]
	v_mul_f64 v[176:177], v[176:177], v[86:87]
	ds_read2_b64 v[192:195], v188 offset0:52 offset1:53
	v_fmac_f64_e32 v[176:177], v[178:179], v[186:187]
	s_waitcnt vmcnt(18)
	v_add_f64 v[70:71], v[70:71], -v[176:177]
	ds_read2_b64 v[176:179], v188 offset0:54 offset1:55
	v_add_f64 v[68:69], v[68:69], -v[84:85]
	;; [unrolled: 18-line block ×10, first 2 shown]
	s_waitcnt lgkmcnt(1)
	v_mul_f64 v[84:85], v[194:195], v[86:87]
	v_fma_f64 v[84:85], v[192:193], v[186:187], -v[84:85]
	s_waitcnt vmcnt(1)
	v_add_f64 v[0:1], v[0:1], -v[84:85]
	s_waitcnt lgkmcnt(0)
	v_mul_f64 v[84:85], v[178:179], v[86:87]
	v_mul_f64 v[192:193], v[192:193], v[86:87]
	v_fma_f64 v[84:85], v[176:177], v[186:187], -v[84:85]
	v_mul_f64 v[176:177], v[176:177], v[86:87]
	v_fmac_f64_e32 v[192:193], v[194:195], v[186:187]
	v_fmac_f64_e32 v[176:177], v[178:179], v[186:187]
	v_add_f64 v[2:3], v[2:3], -v[192:193]
	s_waitcnt vmcnt(0)
	v_add_f64 v[172:173], v[172:173], -v[84:85]
	v_add_f64 v[174:175], v[174:175], -v[176:177]
	v_mov_b64_e32 v[84:85], v[186:187]
.LBB86_461:
	s_or_b64 exec, exec, s[0:1]
	v_lshl_add_u32 v176, v189, 4, v188
	s_barrier
	s_waitcnt vmcnt(21)
	ds_write2_b64 v176, v[80:81], v[82:83] offset1:1
	s_waitcnt lgkmcnt(0)
	s_barrier
	ds_read2_b64 v[176:179], v188 offset0:44 offset1:45
	s_cmp_lt_i32 s20, 24
	v_mov_b32_e32 v186, 22
	s_cbranch_scc1 .LBB86_464
; %bb.462:
	v_add_u32_e32 v187, 0x170, v188
	s_mov_b32 s16, 23
	v_mov_b32_e32 v186, 22
.LBB86_463:                             ; =>This Inner Loop Header: Depth=1
	ds_read2_b64 v[192:195], v187 offset1:1
	s_waitcnt lgkmcnt(1)
	v_xor_b32_e32 v197, 0x80000000, v177
	v_xor_b32_e32 v199, 0x80000000, v179
	v_cmp_gt_f64_e32 vcc, 0, v[178:179]
	v_cmp_gt_f64_e64 s[0:1], 0, v[176:177]
	v_mov_b32_e32 v196, v176
	v_mov_b32_e32 v198, v178
	v_cndmask_b32_e64 v197, v177, v197, s[0:1]
	v_cndmask_b32_e32 v199, v179, v199, vcc
	v_add_f64 v[196:197], v[196:197], v[198:199]
	s_waitcnt lgkmcnt(0)
	v_xor_b32_e32 v199, 0x80000000, v193
	v_xor_b32_e32 v201, 0x80000000, v195
	v_cmp_gt_f64_e32 vcc, 0, v[194:195]
	v_cmp_gt_f64_e64 s[0:1], 0, v[192:193]
	v_mov_b32_e32 v198, v192
	v_mov_b32_e32 v200, v194
	v_cndmask_b32_e64 v199, v193, v199, s[0:1]
	v_cndmask_b32_e32 v201, v195, v201, vcc
	v_add_f64 v[198:199], v[198:199], v[200:201]
	v_mov_b32_e32 v202, s16
	s_add_i32 s16, s16, 1
	v_cmp_lt_f64_e32 vcc, v[196:197], v[198:199]
	v_add_u32_e32 v187, 16, v187
	s_cmp_lg_u32 s20, s16
	v_cndmask_b32_e32 v177, v177, v193, vcc
	v_cndmask_b32_e32 v176, v176, v192, vcc
	;; [unrolled: 1-line block ×5, first 2 shown]
	s_cbranch_scc1 .LBB86_463
.LBB86_464:
	s_waitcnt lgkmcnt(0)
	v_cmp_eq_f64_e32 vcc, 0, v[176:177]
	v_cmp_eq_f64_e64 s[0:1], 0, v[178:179]
	s_and_b64 s[0:1], vcc, s[0:1]
	s_and_saveexec_b64 s[16:17], s[0:1]
	s_xor_b64 s[0:1], exec, s[16:17]
; %bb.465:
	v_cmp_ne_u32_e32 vcc, 0, v190
	s_nop 1
	v_cndmask_b32_e32 v190, 23, v190, vcc
; %bb.466:
	s_andn2_saveexec_b64 s[0:1], s[0:1]
	s_cbranch_execz .LBB86_472
; %bb.467:
	v_cmp_ngt_f64_e64 s[16:17], |v[176:177]|, |v[178:179]|
	s_and_saveexec_b64 s[18:19], s[16:17]
	s_xor_b64 s[16:17], exec, s[18:19]
	s_cbranch_execz .LBB86_469
; %bb.468:
	v_div_scale_f64 v[192:193], s[18:19], v[178:179], v[178:179], v[176:177]
	v_rcp_f64_e32 v[194:195], v[192:193]
	v_div_scale_f64 v[196:197], vcc, v[176:177], v[178:179], v[176:177]
	v_fma_f64 v[198:199], -v[192:193], v[194:195], 1.0
	v_fmac_f64_e32 v[194:195], v[194:195], v[198:199]
	v_fma_f64 v[198:199], -v[192:193], v[194:195], 1.0
	v_fmac_f64_e32 v[194:195], v[194:195], v[198:199]
	v_mul_f64 v[198:199], v[196:197], v[194:195]
	v_fma_f64 v[192:193], -v[192:193], v[198:199], v[196:197]
	v_div_fmas_f64 v[192:193], v[192:193], v[194:195], v[198:199]
	v_div_fixup_f64 v[192:193], v[192:193], v[178:179], v[176:177]
	v_fmac_f64_e32 v[178:179], v[176:177], v[192:193]
	v_div_scale_f64 v[176:177], s[18:19], v[178:179], v[178:179], 1.0
	v_rcp_f64_e32 v[194:195], v[176:177]
	s_nop 0
	v_fma_f64 v[196:197], -v[176:177], v[194:195], 1.0
	v_fmac_f64_e32 v[194:195], v[194:195], v[196:197]
	v_fma_f64 v[196:197], -v[176:177], v[194:195], 1.0
	v_fmac_f64_e32 v[194:195], v[194:195], v[196:197]
	v_div_scale_f64 v[196:197], vcc, 1.0, v[178:179], 1.0
	v_mul_f64 v[198:199], v[196:197], v[194:195]
	v_fma_f64 v[176:177], -v[176:177], v[198:199], v[196:197]
	s_nop 1
	v_div_fmas_f64 v[176:177], v[176:177], v[194:195], v[198:199]
	v_div_fixup_f64 v[178:179], v[176:177], v[178:179], 1.0
	v_mul_f64 v[176:177], v[192:193], v[178:179]
	v_xor_b32_e32 v179, 0x80000000, v179
.LBB86_469:
	s_andn2_saveexec_b64 s[16:17], s[16:17]
	s_cbranch_execz .LBB86_471
; %bb.470:
	v_div_scale_f64 v[192:193], s[18:19], v[176:177], v[176:177], v[178:179]
	v_rcp_f64_e32 v[194:195], v[192:193]
	v_div_scale_f64 v[196:197], vcc, v[178:179], v[176:177], v[178:179]
	v_fma_f64 v[198:199], -v[192:193], v[194:195], 1.0
	v_fmac_f64_e32 v[194:195], v[194:195], v[198:199]
	v_fma_f64 v[198:199], -v[192:193], v[194:195], 1.0
	v_fmac_f64_e32 v[194:195], v[194:195], v[198:199]
	v_mul_f64 v[198:199], v[196:197], v[194:195]
	v_fma_f64 v[192:193], -v[192:193], v[198:199], v[196:197]
	v_div_fmas_f64 v[192:193], v[192:193], v[194:195], v[198:199]
	v_div_fixup_f64 v[192:193], v[192:193], v[176:177], v[178:179]
	v_fmac_f64_e32 v[176:177], v[178:179], v[192:193]
	v_div_scale_f64 v[178:179], s[18:19], v[176:177], v[176:177], 1.0
	v_rcp_f64_e32 v[194:195], v[178:179]
	s_nop 0
	v_fma_f64 v[196:197], -v[178:179], v[194:195], 1.0
	v_fmac_f64_e32 v[194:195], v[194:195], v[196:197]
	v_fma_f64 v[196:197], -v[178:179], v[194:195], 1.0
	v_fmac_f64_e32 v[194:195], v[194:195], v[196:197]
	v_div_scale_f64 v[196:197], vcc, 1.0, v[176:177], 1.0
	v_mul_f64 v[198:199], v[196:197], v[194:195]
	v_fma_f64 v[178:179], -v[178:179], v[198:199], v[196:197]
	s_nop 1
	v_div_fmas_f64 v[178:179], v[178:179], v[194:195], v[198:199]
	v_div_fixup_f64 v[176:177], v[178:179], v[176:177], 1.0
	v_mul_f64 v[178:179], v[192:193], -v[176:177]
.LBB86_471:
	s_or_b64 exec, exec, s[16:17]
.LBB86_472:
	s_or_b64 exec, exec, s[0:1]
	v_cmp_ne_u32_e32 vcc, v189, v186
	s_and_saveexec_b64 s[0:1], vcc
	s_xor_b64 s[0:1], exec, s[0:1]
	s_cbranch_execz .LBB86_478
; %bb.473:
	v_cmp_eq_u32_e32 vcc, 22, v189
	s_and_saveexec_b64 s[16:17], vcc
	s_cbranch_execz .LBB86_477
; %bb.474:
	v_cmp_ne_u32_e32 vcc, 22, v186
	s_xor_b64 s[18:19], s[14:15], -1
	s_and_b64 s[22:23], s[18:19], vcc
	s_and_saveexec_b64 s[18:19], s[22:23]
	s_cbranch_execz .LBB86_476
; %bb.475:
	v_ashrrev_i32_e32 v187, 31, v186
	v_lshl_add_u64 v[192:193], v[186:187], 2, v[184:185]
	global_load_dword v187, v[192:193], off
	global_load_dword v189, v[184:185], off offset:88
	s_waitcnt vmcnt(1)
	global_store_dword v[184:185], v187, off offset:88
	s_waitcnt vmcnt(1)
	global_store_dword v[192:193], v189, off
.LBB86_476:
	s_or_b64 exec, exec, s[18:19]
	v_mov_b32_e32 v189, v186
	v_mov_b32_e32 v191, v186
.LBB86_477:
	s_or_b64 exec, exec, s[16:17]
.LBB86_478:
	s_andn2_saveexec_b64 s[0:1], s[0:1]
	s_cbranch_execz .LBB86_480
; %bb.479:
	v_mov_b32_e32 v189, 22
	s_waitcnt vmcnt(20)
	ds_write2_b64 v188, v[76:77], v[78:79] offset0:46 offset1:47
	s_waitcnt vmcnt(19)
	ds_write2_b64 v188, v[72:73], v[74:75] offset0:48 offset1:49
	;; [unrolled: 2-line block ×21, first 2 shown]
.LBB86_480:
	s_or_b64 exec, exec, s[0:1]
	v_cmp_lt_i32_e32 vcc, 22, v189
	s_waitcnt lgkmcnt(0)
	s_barrier
	s_and_saveexec_b64 s[0:1], vcc
	s_cbranch_execz .LBB86_482
; %bb.481:
	ds_read2_b64 v[192:195], v188 offset0:46 offset1:47
	v_mul_f64 v[186:187], v[178:179], v[82:83]
	v_mul_f64 v[82:83], v[176:177], v[82:83]
	v_fmac_f64_e32 v[82:83], v[178:179], v[80:81]
	v_fma_f64 v[186:187], v[176:177], v[80:81], -v[186:187]
	ds_read2_b64 v[176:179], v188 offset0:48 offset1:49
	s_waitcnt lgkmcnt(1)
	v_mul_f64 v[80:81], v[194:195], v[82:83]
	v_fma_f64 v[80:81], v[192:193], v[186:187], -v[80:81]
	v_mul_f64 v[192:193], v[192:193], v[82:83]
	v_fmac_f64_e32 v[192:193], v[194:195], v[186:187]
	s_waitcnt vmcnt(20)
	v_add_f64 v[78:79], v[78:79], -v[192:193]
	ds_read2_b64 v[192:195], v188 offset0:50 offset1:51
	v_add_f64 v[76:77], v[76:77], -v[80:81]
	s_waitcnt lgkmcnt(1)
	v_mul_f64 v[80:81], v[178:179], v[82:83]
	v_fma_f64 v[80:81], v[176:177], v[186:187], -v[80:81]
	v_mul_f64 v[176:177], v[176:177], v[82:83]
	v_fmac_f64_e32 v[176:177], v[178:179], v[186:187]
	s_waitcnt vmcnt(19)
	v_add_f64 v[72:73], v[72:73], -v[80:81]
	v_add_f64 v[74:75], v[74:75], -v[176:177]
	ds_read2_b64 v[176:179], v188 offset0:52 offset1:53
	s_waitcnt lgkmcnt(1)
	v_mul_f64 v[80:81], v[194:195], v[82:83]
	v_fma_f64 v[80:81], v[192:193], v[186:187], -v[80:81]
	v_mul_f64 v[192:193], v[192:193], v[82:83]
	v_fmac_f64_e32 v[192:193], v[194:195], v[186:187]
	s_waitcnt vmcnt(18)
	v_add_f64 v[70:71], v[70:71], -v[192:193]
	ds_read2_b64 v[192:195], v188 offset0:54 offset1:55
	v_add_f64 v[68:69], v[68:69], -v[80:81]
	s_waitcnt lgkmcnt(1)
	v_mul_f64 v[80:81], v[178:179], v[82:83]
	v_fma_f64 v[80:81], v[176:177], v[186:187], -v[80:81]
	v_mul_f64 v[176:177], v[176:177], v[82:83]
	v_fmac_f64_e32 v[176:177], v[178:179], v[186:187]
	s_waitcnt vmcnt(17)
	v_add_f64 v[64:65], v[64:65], -v[80:81]
	v_add_f64 v[66:67], v[66:67], -v[176:177]
	;; [unrolled: 18-line block ×10, first 2 shown]
	s_waitcnt lgkmcnt(0)
	v_mul_f64 v[80:81], v[194:195], v[82:83]
	v_mul_f64 v[176:177], v[192:193], v[82:83]
	v_fma_f64 v[80:81], v[192:193], v[186:187], -v[80:81]
	v_fmac_f64_e32 v[176:177], v[194:195], v[186:187]
	s_waitcnt vmcnt(0)
	v_add_f64 v[172:173], v[172:173], -v[80:81]
	v_add_f64 v[174:175], v[174:175], -v[176:177]
	v_mov_b64_e32 v[80:81], v[186:187]
.LBB86_482:
	s_or_b64 exec, exec, s[0:1]
	v_lshl_add_u32 v176, v189, 4, v188
	s_barrier
	s_waitcnt vmcnt(20)
	ds_write2_b64 v176, v[76:77], v[78:79] offset1:1
	s_waitcnt lgkmcnt(0)
	s_barrier
	ds_read2_b64 v[176:179], v188 offset0:46 offset1:47
	s_cmp_lt_i32 s20, 25
	v_mov_b32_e32 v186, 23
	s_cbranch_scc1 .LBB86_485
; %bb.483:
	v_add_u32_e32 v187, 0x180, v188
	s_mov_b32 s16, 24
	v_mov_b32_e32 v186, 23
.LBB86_484:                             ; =>This Inner Loop Header: Depth=1
	ds_read2_b64 v[192:195], v187 offset1:1
	s_waitcnt lgkmcnt(1)
	v_xor_b32_e32 v197, 0x80000000, v177
	v_xor_b32_e32 v199, 0x80000000, v179
	v_cmp_gt_f64_e32 vcc, 0, v[178:179]
	v_cmp_gt_f64_e64 s[0:1], 0, v[176:177]
	v_mov_b32_e32 v196, v176
	v_mov_b32_e32 v198, v178
	v_cndmask_b32_e64 v197, v177, v197, s[0:1]
	v_cndmask_b32_e32 v199, v179, v199, vcc
	v_add_f64 v[196:197], v[196:197], v[198:199]
	s_waitcnt lgkmcnt(0)
	v_xor_b32_e32 v199, 0x80000000, v193
	v_xor_b32_e32 v201, 0x80000000, v195
	v_cmp_gt_f64_e32 vcc, 0, v[194:195]
	v_cmp_gt_f64_e64 s[0:1], 0, v[192:193]
	v_mov_b32_e32 v198, v192
	v_mov_b32_e32 v200, v194
	v_cndmask_b32_e64 v199, v193, v199, s[0:1]
	v_cndmask_b32_e32 v201, v195, v201, vcc
	v_add_f64 v[198:199], v[198:199], v[200:201]
	v_mov_b32_e32 v202, s16
	s_add_i32 s16, s16, 1
	v_cmp_lt_f64_e32 vcc, v[196:197], v[198:199]
	v_add_u32_e32 v187, 16, v187
	s_cmp_lg_u32 s20, s16
	v_cndmask_b32_e32 v177, v177, v193, vcc
	v_cndmask_b32_e32 v176, v176, v192, vcc
	;; [unrolled: 1-line block ×5, first 2 shown]
	s_cbranch_scc1 .LBB86_484
.LBB86_485:
	s_waitcnt lgkmcnt(0)
	v_cmp_eq_f64_e32 vcc, 0, v[176:177]
	v_cmp_eq_f64_e64 s[0:1], 0, v[178:179]
	s_and_b64 s[0:1], vcc, s[0:1]
	s_and_saveexec_b64 s[16:17], s[0:1]
	s_xor_b64 s[0:1], exec, s[16:17]
; %bb.486:
	v_cmp_ne_u32_e32 vcc, 0, v190
	s_nop 1
	v_cndmask_b32_e32 v190, 24, v190, vcc
; %bb.487:
	s_andn2_saveexec_b64 s[0:1], s[0:1]
	s_cbranch_execz .LBB86_493
; %bb.488:
	v_cmp_ngt_f64_e64 s[16:17], |v[176:177]|, |v[178:179]|
	s_and_saveexec_b64 s[18:19], s[16:17]
	s_xor_b64 s[16:17], exec, s[18:19]
	s_cbranch_execz .LBB86_490
; %bb.489:
	v_div_scale_f64 v[192:193], s[18:19], v[178:179], v[178:179], v[176:177]
	v_rcp_f64_e32 v[194:195], v[192:193]
	v_div_scale_f64 v[196:197], vcc, v[176:177], v[178:179], v[176:177]
	v_fma_f64 v[198:199], -v[192:193], v[194:195], 1.0
	v_fmac_f64_e32 v[194:195], v[194:195], v[198:199]
	v_fma_f64 v[198:199], -v[192:193], v[194:195], 1.0
	v_fmac_f64_e32 v[194:195], v[194:195], v[198:199]
	v_mul_f64 v[198:199], v[196:197], v[194:195]
	v_fma_f64 v[192:193], -v[192:193], v[198:199], v[196:197]
	v_div_fmas_f64 v[192:193], v[192:193], v[194:195], v[198:199]
	v_div_fixup_f64 v[192:193], v[192:193], v[178:179], v[176:177]
	v_fmac_f64_e32 v[178:179], v[176:177], v[192:193]
	v_div_scale_f64 v[176:177], s[18:19], v[178:179], v[178:179], 1.0
	v_rcp_f64_e32 v[194:195], v[176:177]
	s_nop 0
	v_fma_f64 v[196:197], -v[176:177], v[194:195], 1.0
	v_fmac_f64_e32 v[194:195], v[194:195], v[196:197]
	v_fma_f64 v[196:197], -v[176:177], v[194:195], 1.0
	v_fmac_f64_e32 v[194:195], v[194:195], v[196:197]
	v_div_scale_f64 v[196:197], vcc, 1.0, v[178:179], 1.0
	v_mul_f64 v[198:199], v[196:197], v[194:195]
	v_fma_f64 v[176:177], -v[176:177], v[198:199], v[196:197]
	s_nop 1
	v_div_fmas_f64 v[176:177], v[176:177], v[194:195], v[198:199]
	v_div_fixup_f64 v[178:179], v[176:177], v[178:179], 1.0
	v_mul_f64 v[176:177], v[192:193], v[178:179]
	v_xor_b32_e32 v179, 0x80000000, v179
.LBB86_490:
	s_andn2_saveexec_b64 s[16:17], s[16:17]
	s_cbranch_execz .LBB86_492
; %bb.491:
	v_div_scale_f64 v[192:193], s[18:19], v[176:177], v[176:177], v[178:179]
	v_rcp_f64_e32 v[194:195], v[192:193]
	v_div_scale_f64 v[196:197], vcc, v[178:179], v[176:177], v[178:179]
	v_fma_f64 v[198:199], -v[192:193], v[194:195], 1.0
	v_fmac_f64_e32 v[194:195], v[194:195], v[198:199]
	v_fma_f64 v[198:199], -v[192:193], v[194:195], 1.0
	v_fmac_f64_e32 v[194:195], v[194:195], v[198:199]
	v_mul_f64 v[198:199], v[196:197], v[194:195]
	v_fma_f64 v[192:193], -v[192:193], v[198:199], v[196:197]
	v_div_fmas_f64 v[192:193], v[192:193], v[194:195], v[198:199]
	v_div_fixup_f64 v[192:193], v[192:193], v[176:177], v[178:179]
	v_fmac_f64_e32 v[176:177], v[178:179], v[192:193]
	v_div_scale_f64 v[178:179], s[18:19], v[176:177], v[176:177], 1.0
	v_rcp_f64_e32 v[194:195], v[178:179]
	s_nop 0
	v_fma_f64 v[196:197], -v[178:179], v[194:195], 1.0
	v_fmac_f64_e32 v[194:195], v[194:195], v[196:197]
	v_fma_f64 v[196:197], -v[178:179], v[194:195], 1.0
	v_fmac_f64_e32 v[194:195], v[194:195], v[196:197]
	v_div_scale_f64 v[196:197], vcc, 1.0, v[176:177], 1.0
	v_mul_f64 v[198:199], v[196:197], v[194:195]
	v_fma_f64 v[178:179], -v[178:179], v[198:199], v[196:197]
	s_nop 1
	v_div_fmas_f64 v[178:179], v[178:179], v[194:195], v[198:199]
	v_div_fixup_f64 v[176:177], v[178:179], v[176:177], 1.0
	v_mul_f64 v[178:179], v[192:193], -v[176:177]
.LBB86_492:
	s_or_b64 exec, exec, s[16:17]
.LBB86_493:
	s_or_b64 exec, exec, s[0:1]
	v_cmp_ne_u32_e32 vcc, v189, v186
	s_and_saveexec_b64 s[0:1], vcc
	s_xor_b64 s[0:1], exec, s[0:1]
	s_cbranch_execz .LBB86_499
; %bb.494:
	v_cmp_eq_u32_e32 vcc, 23, v189
	s_and_saveexec_b64 s[16:17], vcc
	s_cbranch_execz .LBB86_498
; %bb.495:
	v_cmp_ne_u32_e32 vcc, 23, v186
	s_xor_b64 s[18:19], s[14:15], -1
	s_and_b64 s[22:23], s[18:19], vcc
	s_and_saveexec_b64 s[18:19], s[22:23]
	s_cbranch_execz .LBB86_497
; %bb.496:
	v_ashrrev_i32_e32 v187, 31, v186
	v_lshl_add_u64 v[192:193], v[186:187], 2, v[184:185]
	global_load_dword v187, v[192:193], off
	global_load_dword v189, v[184:185], off offset:92
	s_waitcnt vmcnt(1)
	global_store_dword v[184:185], v187, off offset:92
	s_waitcnt vmcnt(1)
	global_store_dword v[192:193], v189, off
.LBB86_497:
	s_or_b64 exec, exec, s[18:19]
	v_mov_b32_e32 v189, v186
	v_mov_b32_e32 v191, v186
.LBB86_498:
	s_or_b64 exec, exec, s[16:17]
.LBB86_499:
	s_andn2_saveexec_b64 s[0:1], s[0:1]
	s_cbranch_execz .LBB86_501
; %bb.500:
	v_mov_b32_e32 v189, 23
	s_waitcnt vmcnt(19)
	ds_write2_b64 v188, v[72:73], v[74:75] offset0:48 offset1:49
	s_waitcnt vmcnt(18)
	ds_write2_b64 v188, v[68:69], v[70:71] offset0:50 offset1:51
	;; [unrolled: 2-line block ×20, first 2 shown]
.LBB86_501:
	s_or_b64 exec, exec, s[0:1]
	v_cmp_lt_i32_e32 vcc, 23, v189
	s_waitcnt lgkmcnt(0)
	s_barrier
	s_and_saveexec_b64 s[0:1], vcc
	s_cbranch_execz .LBB86_503
; %bb.502:
	ds_read2_b64 v[192:195], v188 offset0:48 offset1:49
	v_mul_f64 v[186:187], v[178:179], v[78:79]
	v_mul_f64 v[78:79], v[176:177], v[78:79]
	v_fma_f64 v[186:187], v[176:177], v[76:77], -v[186:187]
	v_fmac_f64_e32 v[78:79], v[178:179], v[76:77]
	ds_read2_b64 v[176:179], v188 offset0:50 offset1:51
	s_waitcnt lgkmcnt(1)
	v_mul_f64 v[76:77], v[194:195], v[78:79]
	v_fma_f64 v[76:77], v[192:193], v[186:187], -v[76:77]
	v_mul_f64 v[192:193], v[192:193], v[78:79]
	v_fmac_f64_e32 v[192:193], v[194:195], v[186:187]
	s_waitcnt vmcnt(19)
	v_add_f64 v[72:73], v[72:73], -v[76:77]
	s_waitcnt lgkmcnt(0)
	v_mul_f64 v[76:77], v[178:179], v[78:79]
	v_add_f64 v[74:75], v[74:75], -v[192:193]
	v_fma_f64 v[76:77], v[176:177], v[186:187], -v[76:77]
	v_mul_f64 v[176:177], v[176:177], v[78:79]
	ds_read2_b64 v[192:195], v188 offset0:52 offset1:53
	v_fmac_f64_e32 v[176:177], v[178:179], v[186:187]
	s_waitcnt vmcnt(18)
	v_add_f64 v[70:71], v[70:71], -v[176:177]
	ds_read2_b64 v[176:179], v188 offset0:54 offset1:55
	v_add_f64 v[68:69], v[68:69], -v[76:77]
	s_waitcnt lgkmcnt(1)
	v_mul_f64 v[76:77], v[194:195], v[78:79]
	v_fma_f64 v[76:77], v[192:193], v[186:187], -v[76:77]
	v_mul_f64 v[192:193], v[192:193], v[78:79]
	v_fmac_f64_e32 v[192:193], v[194:195], v[186:187]
	s_waitcnt vmcnt(17)
	v_add_f64 v[64:65], v[64:65], -v[76:77]
	s_waitcnt lgkmcnt(0)
	v_mul_f64 v[76:77], v[178:179], v[78:79]
	v_add_f64 v[66:67], v[66:67], -v[192:193]
	v_fma_f64 v[76:77], v[176:177], v[186:187], -v[76:77]
	v_mul_f64 v[176:177], v[176:177], v[78:79]
	ds_read2_b64 v[192:195], v188 offset0:56 offset1:57
	v_fmac_f64_e32 v[176:177], v[178:179], v[186:187]
	s_waitcnt vmcnt(16)
	v_add_f64 v[62:63], v[62:63], -v[176:177]
	ds_read2_b64 v[176:179], v188 offset0:58 offset1:59
	v_add_f64 v[60:61], v[60:61], -v[76:77]
	;; [unrolled: 18-line block ×9, first 2 shown]
	s_waitcnt lgkmcnt(1)
	v_mul_f64 v[76:77], v[194:195], v[78:79]
	v_fma_f64 v[76:77], v[192:193], v[186:187], -v[76:77]
	s_waitcnt vmcnt(1)
	v_add_f64 v[0:1], v[0:1], -v[76:77]
	s_waitcnt lgkmcnt(0)
	v_mul_f64 v[76:77], v[178:179], v[78:79]
	v_mul_f64 v[192:193], v[192:193], v[78:79]
	v_fma_f64 v[76:77], v[176:177], v[186:187], -v[76:77]
	v_mul_f64 v[176:177], v[176:177], v[78:79]
	v_fmac_f64_e32 v[192:193], v[194:195], v[186:187]
	v_fmac_f64_e32 v[176:177], v[178:179], v[186:187]
	v_add_f64 v[2:3], v[2:3], -v[192:193]
	s_waitcnt vmcnt(0)
	v_add_f64 v[172:173], v[172:173], -v[76:77]
	v_add_f64 v[174:175], v[174:175], -v[176:177]
	v_mov_b64_e32 v[76:77], v[186:187]
.LBB86_503:
	s_or_b64 exec, exec, s[0:1]
	v_lshl_add_u32 v176, v189, 4, v188
	s_barrier
	s_waitcnt vmcnt(19)
	ds_write2_b64 v176, v[72:73], v[74:75] offset1:1
	s_waitcnt lgkmcnt(0)
	s_barrier
	ds_read2_b64 v[176:179], v188 offset0:48 offset1:49
	s_cmp_lt_i32 s20, 26
	v_mov_b32_e32 v186, 24
	s_cbranch_scc1 .LBB86_506
; %bb.504:
	v_add_u32_e32 v187, 0x190, v188
	s_mov_b32 s16, 25
	v_mov_b32_e32 v186, 24
.LBB86_505:                             ; =>This Inner Loop Header: Depth=1
	ds_read2_b64 v[192:195], v187 offset1:1
	s_waitcnt lgkmcnt(1)
	v_xor_b32_e32 v197, 0x80000000, v177
	v_xor_b32_e32 v199, 0x80000000, v179
	v_cmp_gt_f64_e32 vcc, 0, v[178:179]
	v_cmp_gt_f64_e64 s[0:1], 0, v[176:177]
	v_mov_b32_e32 v196, v176
	v_mov_b32_e32 v198, v178
	v_cndmask_b32_e64 v197, v177, v197, s[0:1]
	v_cndmask_b32_e32 v199, v179, v199, vcc
	v_add_f64 v[196:197], v[196:197], v[198:199]
	s_waitcnt lgkmcnt(0)
	v_xor_b32_e32 v199, 0x80000000, v193
	v_xor_b32_e32 v201, 0x80000000, v195
	v_cmp_gt_f64_e32 vcc, 0, v[194:195]
	v_cmp_gt_f64_e64 s[0:1], 0, v[192:193]
	v_mov_b32_e32 v198, v192
	v_mov_b32_e32 v200, v194
	v_cndmask_b32_e64 v199, v193, v199, s[0:1]
	v_cndmask_b32_e32 v201, v195, v201, vcc
	v_add_f64 v[198:199], v[198:199], v[200:201]
	v_mov_b32_e32 v202, s16
	s_add_i32 s16, s16, 1
	v_cmp_lt_f64_e32 vcc, v[196:197], v[198:199]
	v_add_u32_e32 v187, 16, v187
	s_cmp_lg_u32 s20, s16
	v_cndmask_b32_e32 v177, v177, v193, vcc
	v_cndmask_b32_e32 v176, v176, v192, vcc
	;; [unrolled: 1-line block ×5, first 2 shown]
	s_cbranch_scc1 .LBB86_505
.LBB86_506:
	s_waitcnt lgkmcnt(0)
	v_cmp_eq_f64_e32 vcc, 0, v[176:177]
	v_cmp_eq_f64_e64 s[0:1], 0, v[178:179]
	s_and_b64 s[0:1], vcc, s[0:1]
	s_and_saveexec_b64 s[16:17], s[0:1]
	s_xor_b64 s[0:1], exec, s[16:17]
; %bb.507:
	v_cmp_ne_u32_e32 vcc, 0, v190
	s_nop 1
	v_cndmask_b32_e32 v190, 25, v190, vcc
; %bb.508:
	s_andn2_saveexec_b64 s[0:1], s[0:1]
	s_cbranch_execz .LBB86_514
; %bb.509:
	v_cmp_ngt_f64_e64 s[16:17], |v[176:177]|, |v[178:179]|
	s_and_saveexec_b64 s[18:19], s[16:17]
	s_xor_b64 s[16:17], exec, s[18:19]
	s_cbranch_execz .LBB86_511
; %bb.510:
	v_div_scale_f64 v[192:193], s[18:19], v[178:179], v[178:179], v[176:177]
	v_rcp_f64_e32 v[194:195], v[192:193]
	v_div_scale_f64 v[196:197], vcc, v[176:177], v[178:179], v[176:177]
	v_fma_f64 v[198:199], -v[192:193], v[194:195], 1.0
	v_fmac_f64_e32 v[194:195], v[194:195], v[198:199]
	v_fma_f64 v[198:199], -v[192:193], v[194:195], 1.0
	v_fmac_f64_e32 v[194:195], v[194:195], v[198:199]
	v_mul_f64 v[198:199], v[196:197], v[194:195]
	v_fma_f64 v[192:193], -v[192:193], v[198:199], v[196:197]
	v_div_fmas_f64 v[192:193], v[192:193], v[194:195], v[198:199]
	v_div_fixup_f64 v[192:193], v[192:193], v[178:179], v[176:177]
	v_fmac_f64_e32 v[178:179], v[176:177], v[192:193]
	v_div_scale_f64 v[176:177], s[18:19], v[178:179], v[178:179], 1.0
	v_rcp_f64_e32 v[194:195], v[176:177]
	s_nop 0
	v_fma_f64 v[196:197], -v[176:177], v[194:195], 1.0
	v_fmac_f64_e32 v[194:195], v[194:195], v[196:197]
	v_fma_f64 v[196:197], -v[176:177], v[194:195], 1.0
	v_fmac_f64_e32 v[194:195], v[194:195], v[196:197]
	v_div_scale_f64 v[196:197], vcc, 1.0, v[178:179], 1.0
	v_mul_f64 v[198:199], v[196:197], v[194:195]
	v_fma_f64 v[176:177], -v[176:177], v[198:199], v[196:197]
	s_nop 1
	v_div_fmas_f64 v[176:177], v[176:177], v[194:195], v[198:199]
	v_div_fixup_f64 v[178:179], v[176:177], v[178:179], 1.0
	v_mul_f64 v[176:177], v[192:193], v[178:179]
	v_xor_b32_e32 v179, 0x80000000, v179
.LBB86_511:
	s_andn2_saveexec_b64 s[16:17], s[16:17]
	s_cbranch_execz .LBB86_513
; %bb.512:
	v_div_scale_f64 v[192:193], s[18:19], v[176:177], v[176:177], v[178:179]
	v_rcp_f64_e32 v[194:195], v[192:193]
	v_div_scale_f64 v[196:197], vcc, v[178:179], v[176:177], v[178:179]
	v_fma_f64 v[198:199], -v[192:193], v[194:195], 1.0
	v_fmac_f64_e32 v[194:195], v[194:195], v[198:199]
	v_fma_f64 v[198:199], -v[192:193], v[194:195], 1.0
	v_fmac_f64_e32 v[194:195], v[194:195], v[198:199]
	v_mul_f64 v[198:199], v[196:197], v[194:195]
	v_fma_f64 v[192:193], -v[192:193], v[198:199], v[196:197]
	v_div_fmas_f64 v[192:193], v[192:193], v[194:195], v[198:199]
	v_div_fixup_f64 v[192:193], v[192:193], v[176:177], v[178:179]
	v_fmac_f64_e32 v[176:177], v[178:179], v[192:193]
	v_div_scale_f64 v[178:179], s[18:19], v[176:177], v[176:177], 1.0
	v_rcp_f64_e32 v[194:195], v[178:179]
	s_nop 0
	v_fma_f64 v[196:197], -v[178:179], v[194:195], 1.0
	v_fmac_f64_e32 v[194:195], v[194:195], v[196:197]
	v_fma_f64 v[196:197], -v[178:179], v[194:195], 1.0
	v_fmac_f64_e32 v[194:195], v[194:195], v[196:197]
	v_div_scale_f64 v[196:197], vcc, 1.0, v[176:177], 1.0
	v_mul_f64 v[198:199], v[196:197], v[194:195]
	v_fma_f64 v[178:179], -v[178:179], v[198:199], v[196:197]
	s_nop 1
	v_div_fmas_f64 v[178:179], v[178:179], v[194:195], v[198:199]
	v_div_fixup_f64 v[176:177], v[178:179], v[176:177], 1.0
	v_mul_f64 v[178:179], v[192:193], -v[176:177]
.LBB86_513:
	s_or_b64 exec, exec, s[16:17]
.LBB86_514:
	s_or_b64 exec, exec, s[0:1]
	v_cmp_ne_u32_e32 vcc, v189, v186
	s_and_saveexec_b64 s[0:1], vcc
	s_xor_b64 s[0:1], exec, s[0:1]
	s_cbranch_execz .LBB86_520
; %bb.515:
	v_cmp_eq_u32_e32 vcc, 24, v189
	s_and_saveexec_b64 s[16:17], vcc
	s_cbranch_execz .LBB86_519
; %bb.516:
	v_cmp_ne_u32_e32 vcc, 24, v186
	s_xor_b64 s[18:19], s[14:15], -1
	s_and_b64 s[22:23], s[18:19], vcc
	s_and_saveexec_b64 s[18:19], s[22:23]
	s_cbranch_execz .LBB86_518
; %bb.517:
	v_ashrrev_i32_e32 v187, 31, v186
	v_lshl_add_u64 v[192:193], v[186:187], 2, v[184:185]
	global_load_dword v187, v[192:193], off
	global_load_dword v189, v[184:185], off offset:96
	s_waitcnt vmcnt(1)
	global_store_dword v[184:185], v187, off offset:96
	s_waitcnt vmcnt(1)
	global_store_dword v[192:193], v189, off
.LBB86_518:
	s_or_b64 exec, exec, s[18:19]
	v_mov_b32_e32 v189, v186
	v_mov_b32_e32 v191, v186
.LBB86_519:
	s_or_b64 exec, exec, s[16:17]
.LBB86_520:
	s_andn2_saveexec_b64 s[0:1], s[0:1]
	s_cbranch_execz .LBB86_522
; %bb.521:
	v_mov_b32_e32 v189, 24
	s_waitcnt vmcnt(18)
	ds_write2_b64 v188, v[68:69], v[70:71] offset0:50 offset1:51
	s_waitcnt vmcnt(17)
	ds_write2_b64 v188, v[64:65], v[66:67] offset0:52 offset1:53
	;; [unrolled: 2-line block ×19, first 2 shown]
.LBB86_522:
	s_or_b64 exec, exec, s[0:1]
	v_cmp_lt_i32_e32 vcc, 24, v189
	s_waitcnt lgkmcnt(0)
	s_barrier
	s_and_saveexec_b64 s[0:1], vcc
	s_cbranch_execz .LBB86_524
; %bb.523:
	ds_read2_b64 v[192:195], v188 offset0:50 offset1:51
	v_mul_f64 v[186:187], v[178:179], v[74:75]
	v_mul_f64 v[74:75], v[176:177], v[74:75]
	v_fmac_f64_e32 v[74:75], v[178:179], v[72:73]
	v_fma_f64 v[186:187], v[176:177], v[72:73], -v[186:187]
	ds_read2_b64 v[176:179], v188 offset0:52 offset1:53
	s_waitcnt lgkmcnt(1)
	v_mul_f64 v[72:73], v[194:195], v[74:75]
	v_fma_f64 v[72:73], v[192:193], v[186:187], -v[72:73]
	v_mul_f64 v[192:193], v[192:193], v[74:75]
	v_fmac_f64_e32 v[192:193], v[194:195], v[186:187]
	s_waitcnt vmcnt(18)
	v_add_f64 v[70:71], v[70:71], -v[192:193]
	ds_read2_b64 v[192:195], v188 offset0:54 offset1:55
	v_add_f64 v[68:69], v[68:69], -v[72:73]
	s_waitcnt lgkmcnt(1)
	v_mul_f64 v[72:73], v[178:179], v[74:75]
	v_fma_f64 v[72:73], v[176:177], v[186:187], -v[72:73]
	v_mul_f64 v[176:177], v[176:177], v[74:75]
	v_fmac_f64_e32 v[176:177], v[178:179], v[186:187]
	s_waitcnt vmcnt(17)
	v_add_f64 v[64:65], v[64:65], -v[72:73]
	v_add_f64 v[66:67], v[66:67], -v[176:177]
	ds_read2_b64 v[176:179], v188 offset0:56 offset1:57
	s_waitcnt lgkmcnt(1)
	v_mul_f64 v[72:73], v[194:195], v[74:75]
	v_fma_f64 v[72:73], v[192:193], v[186:187], -v[72:73]
	v_mul_f64 v[192:193], v[192:193], v[74:75]
	v_fmac_f64_e32 v[192:193], v[194:195], v[186:187]
	s_waitcnt vmcnt(16)
	v_add_f64 v[62:63], v[62:63], -v[192:193]
	ds_read2_b64 v[192:195], v188 offset0:58 offset1:59
	v_add_f64 v[60:61], v[60:61], -v[72:73]
	s_waitcnt lgkmcnt(1)
	v_mul_f64 v[72:73], v[178:179], v[74:75]
	v_fma_f64 v[72:73], v[176:177], v[186:187], -v[72:73]
	v_mul_f64 v[176:177], v[176:177], v[74:75]
	v_fmac_f64_e32 v[176:177], v[178:179], v[186:187]
	s_waitcnt vmcnt(15)
	v_add_f64 v[56:57], v[56:57], -v[72:73]
	v_add_f64 v[58:59], v[58:59], -v[176:177]
	ds_read2_b64 v[176:179], v188 offset0:60 offset1:61
	s_waitcnt lgkmcnt(1)
	v_mul_f64 v[72:73], v[194:195], v[74:75]
	v_fma_f64 v[72:73], v[192:193], v[186:187], -v[72:73]
	v_mul_f64 v[192:193], v[192:193], v[74:75]
	v_fmac_f64_e32 v[192:193], v[194:195], v[186:187]
	s_waitcnt vmcnt(14)
	v_add_f64 v[54:55], v[54:55], -v[192:193]
	ds_read2_b64 v[192:195], v188 offset0:62 offset1:63
	v_add_f64 v[52:53], v[52:53], -v[72:73]
	s_waitcnt lgkmcnt(1)
	v_mul_f64 v[72:73], v[178:179], v[74:75]
	v_fma_f64 v[72:73], v[176:177], v[186:187], -v[72:73]
	v_mul_f64 v[176:177], v[176:177], v[74:75]
	v_fmac_f64_e32 v[176:177], v[178:179], v[186:187]
	s_waitcnt vmcnt(13)
	v_add_f64 v[48:49], v[48:49], -v[72:73]
	v_add_f64 v[50:51], v[50:51], -v[176:177]
	ds_read2_b64 v[176:179], v188 offset0:64 offset1:65
	s_waitcnt lgkmcnt(1)
	v_mul_f64 v[72:73], v[194:195], v[74:75]
	v_fma_f64 v[72:73], v[192:193], v[186:187], -v[72:73]
	v_mul_f64 v[192:193], v[192:193], v[74:75]
	v_fmac_f64_e32 v[192:193], v[194:195], v[186:187]
	s_waitcnt vmcnt(12)
	v_add_f64 v[46:47], v[46:47], -v[192:193]
	ds_read2_b64 v[192:195], v188 offset0:66 offset1:67
	v_add_f64 v[44:45], v[44:45], -v[72:73]
	s_waitcnt lgkmcnt(1)
	v_mul_f64 v[72:73], v[178:179], v[74:75]
	v_fma_f64 v[72:73], v[176:177], v[186:187], -v[72:73]
	v_mul_f64 v[176:177], v[176:177], v[74:75]
	v_fmac_f64_e32 v[176:177], v[178:179], v[186:187]
	s_waitcnt vmcnt(11)
	v_add_f64 v[40:41], v[40:41], -v[72:73]
	v_add_f64 v[42:43], v[42:43], -v[176:177]
	ds_read2_b64 v[176:179], v188 offset0:68 offset1:69
	s_waitcnt lgkmcnt(1)
	v_mul_f64 v[72:73], v[194:195], v[74:75]
	v_fma_f64 v[72:73], v[192:193], v[186:187], -v[72:73]
	v_mul_f64 v[192:193], v[192:193], v[74:75]
	v_fmac_f64_e32 v[192:193], v[194:195], v[186:187]
	s_waitcnt vmcnt(10)
	v_add_f64 v[38:39], v[38:39], -v[192:193]
	ds_read2_b64 v[192:195], v188 offset0:70 offset1:71
	v_add_f64 v[36:37], v[36:37], -v[72:73]
	s_waitcnt lgkmcnt(1)
	v_mul_f64 v[72:73], v[178:179], v[74:75]
	v_fma_f64 v[72:73], v[176:177], v[186:187], -v[72:73]
	v_mul_f64 v[176:177], v[176:177], v[74:75]
	v_fmac_f64_e32 v[176:177], v[178:179], v[186:187]
	s_waitcnt vmcnt(9)
	v_add_f64 v[32:33], v[32:33], -v[72:73]
	v_add_f64 v[34:35], v[34:35], -v[176:177]
	ds_read2_b64 v[176:179], v188 offset0:72 offset1:73
	s_waitcnt lgkmcnt(1)
	v_mul_f64 v[72:73], v[194:195], v[74:75]
	v_fma_f64 v[72:73], v[192:193], v[186:187], -v[72:73]
	v_mul_f64 v[192:193], v[192:193], v[74:75]
	v_fmac_f64_e32 v[192:193], v[194:195], v[186:187]
	s_waitcnt vmcnt(8)
	v_add_f64 v[30:31], v[30:31], -v[192:193]
	ds_read2_b64 v[192:195], v188 offset0:74 offset1:75
	v_add_f64 v[28:29], v[28:29], -v[72:73]
	s_waitcnt lgkmcnt(1)
	v_mul_f64 v[72:73], v[178:179], v[74:75]
	v_fma_f64 v[72:73], v[176:177], v[186:187], -v[72:73]
	v_mul_f64 v[176:177], v[176:177], v[74:75]
	v_fmac_f64_e32 v[176:177], v[178:179], v[186:187]
	s_waitcnt vmcnt(7)
	v_add_f64 v[24:25], v[24:25], -v[72:73]
	v_add_f64 v[26:27], v[26:27], -v[176:177]
	ds_read2_b64 v[176:179], v188 offset0:76 offset1:77
	s_waitcnt lgkmcnt(1)
	v_mul_f64 v[72:73], v[194:195], v[74:75]
	v_fma_f64 v[72:73], v[192:193], v[186:187], -v[72:73]
	v_mul_f64 v[192:193], v[192:193], v[74:75]
	v_fmac_f64_e32 v[192:193], v[194:195], v[186:187]
	s_waitcnt vmcnt(6)
	v_add_f64 v[22:23], v[22:23], -v[192:193]
	ds_read2_b64 v[192:195], v188 offset0:78 offset1:79
	v_add_f64 v[20:21], v[20:21], -v[72:73]
	s_waitcnt lgkmcnt(1)
	v_mul_f64 v[72:73], v[178:179], v[74:75]
	v_fma_f64 v[72:73], v[176:177], v[186:187], -v[72:73]
	v_mul_f64 v[176:177], v[176:177], v[74:75]
	v_fmac_f64_e32 v[176:177], v[178:179], v[186:187]
	s_waitcnt vmcnt(5)
	v_add_f64 v[16:17], v[16:17], -v[72:73]
	v_add_f64 v[18:19], v[18:19], -v[176:177]
	ds_read2_b64 v[176:179], v188 offset0:80 offset1:81
	s_waitcnt lgkmcnt(1)
	v_mul_f64 v[72:73], v[194:195], v[74:75]
	v_fma_f64 v[72:73], v[192:193], v[186:187], -v[72:73]
	v_mul_f64 v[192:193], v[192:193], v[74:75]
	v_fmac_f64_e32 v[192:193], v[194:195], v[186:187]
	s_waitcnt vmcnt(4)
	v_add_f64 v[14:15], v[14:15], -v[192:193]
	ds_read2_b64 v[192:195], v188 offset0:82 offset1:83
	v_add_f64 v[12:13], v[12:13], -v[72:73]
	s_waitcnt lgkmcnt(1)
	v_mul_f64 v[72:73], v[178:179], v[74:75]
	v_fma_f64 v[72:73], v[176:177], v[186:187], -v[72:73]
	v_mul_f64 v[176:177], v[176:177], v[74:75]
	v_fmac_f64_e32 v[176:177], v[178:179], v[186:187]
	s_waitcnt vmcnt(3)
	v_add_f64 v[8:9], v[8:9], -v[72:73]
	v_add_f64 v[10:11], v[10:11], -v[176:177]
	ds_read2_b64 v[176:179], v188 offset0:84 offset1:85
	s_waitcnt lgkmcnt(1)
	v_mul_f64 v[72:73], v[194:195], v[74:75]
	v_fma_f64 v[72:73], v[192:193], v[186:187], -v[72:73]
	v_mul_f64 v[192:193], v[192:193], v[74:75]
	v_fmac_f64_e32 v[192:193], v[194:195], v[186:187]
	s_waitcnt vmcnt(2)
	v_add_f64 v[6:7], v[6:7], -v[192:193]
	ds_read2_b64 v[192:195], v188 offset0:86 offset1:87
	v_add_f64 v[4:5], v[4:5], -v[72:73]
	s_waitcnt lgkmcnt(1)
	v_mul_f64 v[72:73], v[178:179], v[74:75]
	v_fma_f64 v[72:73], v[176:177], v[186:187], -v[72:73]
	v_mul_f64 v[176:177], v[176:177], v[74:75]
	v_fmac_f64_e32 v[176:177], v[178:179], v[186:187]
	s_waitcnt vmcnt(1)
	v_add_f64 v[0:1], v[0:1], -v[72:73]
	v_add_f64 v[2:3], v[2:3], -v[176:177]
	s_waitcnt lgkmcnt(0)
	v_mul_f64 v[72:73], v[194:195], v[74:75]
	v_mul_f64 v[176:177], v[192:193], v[74:75]
	v_fma_f64 v[72:73], v[192:193], v[186:187], -v[72:73]
	v_fmac_f64_e32 v[176:177], v[194:195], v[186:187]
	s_waitcnt vmcnt(0)
	v_add_f64 v[172:173], v[172:173], -v[72:73]
	v_add_f64 v[174:175], v[174:175], -v[176:177]
	v_mov_b64_e32 v[72:73], v[186:187]
.LBB86_524:
	s_or_b64 exec, exec, s[0:1]
	v_lshl_add_u32 v176, v189, 4, v188
	s_barrier
	s_waitcnt vmcnt(18)
	ds_write2_b64 v176, v[68:69], v[70:71] offset1:1
	s_waitcnt lgkmcnt(0)
	s_barrier
	ds_read2_b64 v[176:179], v188 offset0:50 offset1:51
	s_cmp_lt_i32 s20, 27
	v_mov_b32_e32 v186, 25
	s_cbranch_scc1 .LBB86_527
; %bb.525:
	v_add_u32_e32 v187, 0x1a0, v188
	s_mov_b32 s16, 26
	v_mov_b32_e32 v186, 25
.LBB86_526:                             ; =>This Inner Loop Header: Depth=1
	ds_read2_b64 v[192:195], v187 offset1:1
	s_waitcnt lgkmcnt(1)
	v_xor_b32_e32 v197, 0x80000000, v177
	v_xor_b32_e32 v199, 0x80000000, v179
	v_cmp_gt_f64_e32 vcc, 0, v[178:179]
	v_cmp_gt_f64_e64 s[0:1], 0, v[176:177]
	v_mov_b32_e32 v196, v176
	v_mov_b32_e32 v198, v178
	v_cndmask_b32_e64 v197, v177, v197, s[0:1]
	v_cndmask_b32_e32 v199, v179, v199, vcc
	v_add_f64 v[196:197], v[196:197], v[198:199]
	s_waitcnt lgkmcnt(0)
	v_xor_b32_e32 v199, 0x80000000, v193
	v_xor_b32_e32 v201, 0x80000000, v195
	v_cmp_gt_f64_e32 vcc, 0, v[194:195]
	v_cmp_gt_f64_e64 s[0:1], 0, v[192:193]
	v_mov_b32_e32 v198, v192
	v_mov_b32_e32 v200, v194
	v_cndmask_b32_e64 v199, v193, v199, s[0:1]
	v_cndmask_b32_e32 v201, v195, v201, vcc
	v_add_f64 v[198:199], v[198:199], v[200:201]
	v_mov_b32_e32 v202, s16
	s_add_i32 s16, s16, 1
	v_cmp_lt_f64_e32 vcc, v[196:197], v[198:199]
	v_add_u32_e32 v187, 16, v187
	s_cmp_lg_u32 s20, s16
	v_cndmask_b32_e32 v177, v177, v193, vcc
	v_cndmask_b32_e32 v176, v176, v192, vcc
	;; [unrolled: 1-line block ×5, first 2 shown]
	s_cbranch_scc1 .LBB86_526
.LBB86_527:
	s_waitcnt lgkmcnt(0)
	v_cmp_eq_f64_e32 vcc, 0, v[176:177]
	v_cmp_eq_f64_e64 s[0:1], 0, v[178:179]
	s_and_b64 s[0:1], vcc, s[0:1]
	s_and_saveexec_b64 s[16:17], s[0:1]
	s_xor_b64 s[0:1], exec, s[16:17]
; %bb.528:
	v_cmp_ne_u32_e32 vcc, 0, v190
	s_nop 1
	v_cndmask_b32_e32 v190, 26, v190, vcc
; %bb.529:
	s_andn2_saveexec_b64 s[0:1], s[0:1]
	s_cbranch_execz .LBB86_535
; %bb.530:
	v_cmp_ngt_f64_e64 s[16:17], |v[176:177]|, |v[178:179]|
	s_and_saveexec_b64 s[18:19], s[16:17]
	s_xor_b64 s[16:17], exec, s[18:19]
	s_cbranch_execz .LBB86_532
; %bb.531:
	v_div_scale_f64 v[192:193], s[18:19], v[178:179], v[178:179], v[176:177]
	v_rcp_f64_e32 v[194:195], v[192:193]
	v_div_scale_f64 v[196:197], vcc, v[176:177], v[178:179], v[176:177]
	v_fma_f64 v[198:199], -v[192:193], v[194:195], 1.0
	v_fmac_f64_e32 v[194:195], v[194:195], v[198:199]
	v_fma_f64 v[198:199], -v[192:193], v[194:195], 1.0
	v_fmac_f64_e32 v[194:195], v[194:195], v[198:199]
	v_mul_f64 v[198:199], v[196:197], v[194:195]
	v_fma_f64 v[192:193], -v[192:193], v[198:199], v[196:197]
	v_div_fmas_f64 v[192:193], v[192:193], v[194:195], v[198:199]
	v_div_fixup_f64 v[192:193], v[192:193], v[178:179], v[176:177]
	v_fmac_f64_e32 v[178:179], v[176:177], v[192:193]
	v_div_scale_f64 v[176:177], s[18:19], v[178:179], v[178:179], 1.0
	v_rcp_f64_e32 v[194:195], v[176:177]
	s_nop 0
	v_fma_f64 v[196:197], -v[176:177], v[194:195], 1.0
	v_fmac_f64_e32 v[194:195], v[194:195], v[196:197]
	v_fma_f64 v[196:197], -v[176:177], v[194:195], 1.0
	v_fmac_f64_e32 v[194:195], v[194:195], v[196:197]
	v_div_scale_f64 v[196:197], vcc, 1.0, v[178:179], 1.0
	v_mul_f64 v[198:199], v[196:197], v[194:195]
	v_fma_f64 v[176:177], -v[176:177], v[198:199], v[196:197]
	s_nop 1
	v_div_fmas_f64 v[176:177], v[176:177], v[194:195], v[198:199]
	v_div_fixup_f64 v[178:179], v[176:177], v[178:179], 1.0
	v_mul_f64 v[176:177], v[192:193], v[178:179]
	v_xor_b32_e32 v179, 0x80000000, v179
.LBB86_532:
	s_andn2_saveexec_b64 s[16:17], s[16:17]
	s_cbranch_execz .LBB86_534
; %bb.533:
	v_div_scale_f64 v[192:193], s[18:19], v[176:177], v[176:177], v[178:179]
	v_rcp_f64_e32 v[194:195], v[192:193]
	v_div_scale_f64 v[196:197], vcc, v[178:179], v[176:177], v[178:179]
	v_fma_f64 v[198:199], -v[192:193], v[194:195], 1.0
	v_fmac_f64_e32 v[194:195], v[194:195], v[198:199]
	v_fma_f64 v[198:199], -v[192:193], v[194:195], 1.0
	v_fmac_f64_e32 v[194:195], v[194:195], v[198:199]
	v_mul_f64 v[198:199], v[196:197], v[194:195]
	v_fma_f64 v[192:193], -v[192:193], v[198:199], v[196:197]
	v_div_fmas_f64 v[192:193], v[192:193], v[194:195], v[198:199]
	v_div_fixup_f64 v[192:193], v[192:193], v[176:177], v[178:179]
	v_fmac_f64_e32 v[176:177], v[178:179], v[192:193]
	v_div_scale_f64 v[178:179], s[18:19], v[176:177], v[176:177], 1.0
	v_rcp_f64_e32 v[194:195], v[178:179]
	s_nop 0
	v_fma_f64 v[196:197], -v[178:179], v[194:195], 1.0
	v_fmac_f64_e32 v[194:195], v[194:195], v[196:197]
	v_fma_f64 v[196:197], -v[178:179], v[194:195], 1.0
	v_fmac_f64_e32 v[194:195], v[194:195], v[196:197]
	v_div_scale_f64 v[196:197], vcc, 1.0, v[176:177], 1.0
	v_mul_f64 v[198:199], v[196:197], v[194:195]
	v_fma_f64 v[178:179], -v[178:179], v[198:199], v[196:197]
	s_nop 1
	v_div_fmas_f64 v[178:179], v[178:179], v[194:195], v[198:199]
	v_div_fixup_f64 v[176:177], v[178:179], v[176:177], 1.0
	v_mul_f64 v[178:179], v[192:193], -v[176:177]
.LBB86_534:
	s_or_b64 exec, exec, s[16:17]
.LBB86_535:
	s_or_b64 exec, exec, s[0:1]
	v_cmp_ne_u32_e32 vcc, v189, v186
	s_and_saveexec_b64 s[0:1], vcc
	s_xor_b64 s[0:1], exec, s[0:1]
	s_cbranch_execz .LBB86_541
; %bb.536:
	v_cmp_eq_u32_e32 vcc, 25, v189
	s_and_saveexec_b64 s[16:17], vcc
	s_cbranch_execz .LBB86_540
; %bb.537:
	v_cmp_ne_u32_e32 vcc, 25, v186
	s_xor_b64 s[18:19], s[14:15], -1
	s_and_b64 s[22:23], s[18:19], vcc
	s_and_saveexec_b64 s[18:19], s[22:23]
	s_cbranch_execz .LBB86_539
; %bb.538:
	v_ashrrev_i32_e32 v187, 31, v186
	v_lshl_add_u64 v[192:193], v[186:187], 2, v[184:185]
	global_load_dword v187, v[192:193], off
	global_load_dword v189, v[184:185], off offset:100
	s_waitcnt vmcnt(1)
	global_store_dword v[184:185], v187, off offset:100
	s_waitcnt vmcnt(1)
	global_store_dword v[192:193], v189, off
.LBB86_539:
	s_or_b64 exec, exec, s[18:19]
	v_mov_b32_e32 v189, v186
	v_mov_b32_e32 v191, v186
.LBB86_540:
	s_or_b64 exec, exec, s[16:17]
.LBB86_541:
	s_andn2_saveexec_b64 s[0:1], s[0:1]
	s_cbranch_execz .LBB86_543
; %bb.542:
	v_mov_b32_e32 v189, 25
	s_waitcnt vmcnt(17)
	ds_write2_b64 v188, v[64:65], v[66:67] offset0:52 offset1:53
	s_waitcnt vmcnt(16)
	ds_write2_b64 v188, v[60:61], v[62:63] offset0:54 offset1:55
	;; [unrolled: 2-line block ×18, first 2 shown]
.LBB86_543:
	s_or_b64 exec, exec, s[0:1]
	v_cmp_lt_i32_e32 vcc, 25, v189
	s_waitcnt lgkmcnt(0)
	s_barrier
	s_and_saveexec_b64 s[0:1], vcc
	s_cbranch_execz .LBB86_545
; %bb.544:
	ds_read2_b64 v[192:195], v188 offset0:52 offset1:53
	v_mul_f64 v[186:187], v[178:179], v[70:71]
	v_mul_f64 v[70:71], v[176:177], v[70:71]
	v_fma_f64 v[186:187], v[176:177], v[68:69], -v[186:187]
	v_fmac_f64_e32 v[70:71], v[178:179], v[68:69]
	ds_read2_b64 v[176:179], v188 offset0:54 offset1:55
	s_waitcnt lgkmcnt(1)
	v_mul_f64 v[68:69], v[194:195], v[70:71]
	v_fma_f64 v[68:69], v[192:193], v[186:187], -v[68:69]
	v_mul_f64 v[192:193], v[192:193], v[70:71]
	v_fmac_f64_e32 v[192:193], v[194:195], v[186:187]
	s_waitcnt vmcnt(17)
	v_add_f64 v[64:65], v[64:65], -v[68:69]
	s_waitcnt lgkmcnt(0)
	v_mul_f64 v[68:69], v[178:179], v[70:71]
	v_add_f64 v[66:67], v[66:67], -v[192:193]
	v_fma_f64 v[68:69], v[176:177], v[186:187], -v[68:69]
	v_mul_f64 v[176:177], v[176:177], v[70:71]
	ds_read2_b64 v[192:195], v188 offset0:56 offset1:57
	v_fmac_f64_e32 v[176:177], v[178:179], v[186:187]
	s_waitcnt vmcnt(16)
	v_add_f64 v[62:63], v[62:63], -v[176:177]
	ds_read2_b64 v[176:179], v188 offset0:58 offset1:59
	v_add_f64 v[60:61], v[60:61], -v[68:69]
	s_waitcnt lgkmcnt(1)
	v_mul_f64 v[68:69], v[194:195], v[70:71]
	v_fma_f64 v[68:69], v[192:193], v[186:187], -v[68:69]
	v_mul_f64 v[192:193], v[192:193], v[70:71]
	v_fmac_f64_e32 v[192:193], v[194:195], v[186:187]
	s_waitcnt vmcnt(15)
	v_add_f64 v[56:57], v[56:57], -v[68:69]
	s_waitcnt lgkmcnt(0)
	v_mul_f64 v[68:69], v[178:179], v[70:71]
	v_add_f64 v[58:59], v[58:59], -v[192:193]
	v_fma_f64 v[68:69], v[176:177], v[186:187], -v[68:69]
	v_mul_f64 v[176:177], v[176:177], v[70:71]
	ds_read2_b64 v[192:195], v188 offset0:60 offset1:61
	v_fmac_f64_e32 v[176:177], v[178:179], v[186:187]
	s_waitcnt vmcnt(14)
	v_add_f64 v[54:55], v[54:55], -v[176:177]
	ds_read2_b64 v[176:179], v188 offset0:62 offset1:63
	v_add_f64 v[52:53], v[52:53], -v[68:69]
	;; [unrolled: 18-line block ×8, first 2 shown]
	s_waitcnt lgkmcnt(1)
	v_mul_f64 v[68:69], v[194:195], v[70:71]
	v_fma_f64 v[68:69], v[192:193], v[186:187], -v[68:69]
	s_waitcnt vmcnt(1)
	v_add_f64 v[0:1], v[0:1], -v[68:69]
	s_waitcnt lgkmcnt(0)
	v_mul_f64 v[68:69], v[178:179], v[70:71]
	v_mul_f64 v[192:193], v[192:193], v[70:71]
	v_fma_f64 v[68:69], v[176:177], v[186:187], -v[68:69]
	v_mul_f64 v[176:177], v[176:177], v[70:71]
	v_fmac_f64_e32 v[192:193], v[194:195], v[186:187]
	v_fmac_f64_e32 v[176:177], v[178:179], v[186:187]
	v_add_f64 v[2:3], v[2:3], -v[192:193]
	s_waitcnt vmcnt(0)
	v_add_f64 v[172:173], v[172:173], -v[68:69]
	v_add_f64 v[174:175], v[174:175], -v[176:177]
	v_mov_b64_e32 v[68:69], v[186:187]
.LBB86_545:
	s_or_b64 exec, exec, s[0:1]
	v_lshl_add_u32 v176, v189, 4, v188
	s_barrier
	s_waitcnt vmcnt(17)
	ds_write2_b64 v176, v[64:65], v[66:67] offset1:1
	s_waitcnt lgkmcnt(0)
	s_barrier
	ds_read2_b64 v[176:179], v188 offset0:52 offset1:53
	s_cmp_lt_i32 s20, 28
	v_mov_b32_e32 v186, 26
	s_cbranch_scc1 .LBB86_548
; %bb.546:
	v_add_u32_e32 v187, 0x1b0, v188
	s_mov_b32 s16, 27
	v_mov_b32_e32 v186, 26
.LBB86_547:                             ; =>This Inner Loop Header: Depth=1
	ds_read2_b64 v[192:195], v187 offset1:1
	s_waitcnt lgkmcnt(1)
	v_xor_b32_e32 v197, 0x80000000, v177
	v_xor_b32_e32 v199, 0x80000000, v179
	v_cmp_gt_f64_e32 vcc, 0, v[178:179]
	v_cmp_gt_f64_e64 s[0:1], 0, v[176:177]
	v_mov_b32_e32 v196, v176
	v_mov_b32_e32 v198, v178
	v_cndmask_b32_e64 v197, v177, v197, s[0:1]
	v_cndmask_b32_e32 v199, v179, v199, vcc
	v_add_f64 v[196:197], v[196:197], v[198:199]
	s_waitcnt lgkmcnt(0)
	v_xor_b32_e32 v199, 0x80000000, v193
	v_xor_b32_e32 v201, 0x80000000, v195
	v_cmp_gt_f64_e32 vcc, 0, v[194:195]
	v_cmp_gt_f64_e64 s[0:1], 0, v[192:193]
	v_mov_b32_e32 v198, v192
	v_mov_b32_e32 v200, v194
	v_cndmask_b32_e64 v199, v193, v199, s[0:1]
	v_cndmask_b32_e32 v201, v195, v201, vcc
	v_add_f64 v[198:199], v[198:199], v[200:201]
	v_mov_b32_e32 v202, s16
	s_add_i32 s16, s16, 1
	v_cmp_lt_f64_e32 vcc, v[196:197], v[198:199]
	v_add_u32_e32 v187, 16, v187
	s_cmp_lg_u32 s20, s16
	v_cndmask_b32_e32 v177, v177, v193, vcc
	v_cndmask_b32_e32 v176, v176, v192, vcc
	;; [unrolled: 1-line block ×5, first 2 shown]
	s_cbranch_scc1 .LBB86_547
.LBB86_548:
	s_waitcnt lgkmcnt(0)
	v_cmp_eq_f64_e32 vcc, 0, v[176:177]
	v_cmp_eq_f64_e64 s[0:1], 0, v[178:179]
	s_and_b64 s[0:1], vcc, s[0:1]
	s_and_saveexec_b64 s[16:17], s[0:1]
	s_xor_b64 s[0:1], exec, s[16:17]
; %bb.549:
	v_cmp_ne_u32_e32 vcc, 0, v190
	s_nop 1
	v_cndmask_b32_e32 v190, 27, v190, vcc
; %bb.550:
	s_andn2_saveexec_b64 s[0:1], s[0:1]
	s_cbranch_execz .LBB86_556
; %bb.551:
	v_cmp_ngt_f64_e64 s[16:17], |v[176:177]|, |v[178:179]|
	s_and_saveexec_b64 s[18:19], s[16:17]
	s_xor_b64 s[16:17], exec, s[18:19]
	s_cbranch_execz .LBB86_553
; %bb.552:
	v_div_scale_f64 v[192:193], s[18:19], v[178:179], v[178:179], v[176:177]
	v_rcp_f64_e32 v[194:195], v[192:193]
	v_div_scale_f64 v[196:197], vcc, v[176:177], v[178:179], v[176:177]
	v_fma_f64 v[198:199], -v[192:193], v[194:195], 1.0
	v_fmac_f64_e32 v[194:195], v[194:195], v[198:199]
	v_fma_f64 v[198:199], -v[192:193], v[194:195], 1.0
	v_fmac_f64_e32 v[194:195], v[194:195], v[198:199]
	v_mul_f64 v[198:199], v[196:197], v[194:195]
	v_fma_f64 v[192:193], -v[192:193], v[198:199], v[196:197]
	v_div_fmas_f64 v[192:193], v[192:193], v[194:195], v[198:199]
	v_div_fixup_f64 v[192:193], v[192:193], v[178:179], v[176:177]
	v_fmac_f64_e32 v[178:179], v[176:177], v[192:193]
	v_div_scale_f64 v[176:177], s[18:19], v[178:179], v[178:179], 1.0
	v_rcp_f64_e32 v[194:195], v[176:177]
	s_nop 0
	v_fma_f64 v[196:197], -v[176:177], v[194:195], 1.0
	v_fmac_f64_e32 v[194:195], v[194:195], v[196:197]
	v_fma_f64 v[196:197], -v[176:177], v[194:195], 1.0
	v_fmac_f64_e32 v[194:195], v[194:195], v[196:197]
	v_div_scale_f64 v[196:197], vcc, 1.0, v[178:179], 1.0
	v_mul_f64 v[198:199], v[196:197], v[194:195]
	v_fma_f64 v[176:177], -v[176:177], v[198:199], v[196:197]
	s_nop 1
	v_div_fmas_f64 v[176:177], v[176:177], v[194:195], v[198:199]
	v_div_fixup_f64 v[178:179], v[176:177], v[178:179], 1.0
	v_mul_f64 v[176:177], v[192:193], v[178:179]
	v_xor_b32_e32 v179, 0x80000000, v179
.LBB86_553:
	s_andn2_saveexec_b64 s[16:17], s[16:17]
	s_cbranch_execz .LBB86_555
; %bb.554:
	v_div_scale_f64 v[192:193], s[18:19], v[176:177], v[176:177], v[178:179]
	v_rcp_f64_e32 v[194:195], v[192:193]
	v_div_scale_f64 v[196:197], vcc, v[178:179], v[176:177], v[178:179]
	v_fma_f64 v[198:199], -v[192:193], v[194:195], 1.0
	v_fmac_f64_e32 v[194:195], v[194:195], v[198:199]
	v_fma_f64 v[198:199], -v[192:193], v[194:195], 1.0
	v_fmac_f64_e32 v[194:195], v[194:195], v[198:199]
	v_mul_f64 v[198:199], v[196:197], v[194:195]
	v_fma_f64 v[192:193], -v[192:193], v[198:199], v[196:197]
	v_div_fmas_f64 v[192:193], v[192:193], v[194:195], v[198:199]
	v_div_fixup_f64 v[192:193], v[192:193], v[176:177], v[178:179]
	v_fmac_f64_e32 v[176:177], v[178:179], v[192:193]
	v_div_scale_f64 v[178:179], s[18:19], v[176:177], v[176:177], 1.0
	v_rcp_f64_e32 v[194:195], v[178:179]
	s_nop 0
	v_fma_f64 v[196:197], -v[178:179], v[194:195], 1.0
	v_fmac_f64_e32 v[194:195], v[194:195], v[196:197]
	v_fma_f64 v[196:197], -v[178:179], v[194:195], 1.0
	v_fmac_f64_e32 v[194:195], v[194:195], v[196:197]
	v_div_scale_f64 v[196:197], vcc, 1.0, v[176:177], 1.0
	v_mul_f64 v[198:199], v[196:197], v[194:195]
	v_fma_f64 v[178:179], -v[178:179], v[198:199], v[196:197]
	s_nop 1
	v_div_fmas_f64 v[178:179], v[178:179], v[194:195], v[198:199]
	v_div_fixup_f64 v[176:177], v[178:179], v[176:177], 1.0
	v_mul_f64 v[178:179], v[192:193], -v[176:177]
.LBB86_555:
	s_or_b64 exec, exec, s[16:17]
.LBB86_556:
	s_or_b64 exec, exec, s[0:1]
	v_cmp_ne_u32_e32 vcc, v189, v186
	s_and_saveexec_b64 s[0:1], vcc
	s_xor_b64 s[0:1], exec, s[0:1]
	s_cbranch_execz .LBB86_562
; %bb.557:
	v_cmp_eq_u32_e32 vcc, 26, v189
	s_and_saveexec_b64 s[16:17], vcc
	s_cbranch_execz .LBB86_561
; %bb.558:
	v_cmp_ne_u32_e32 vcc, 26, v186
	s_xor_b64 s[18:19], s[14:15], -1
	s_and_b64 s[22:23], s[18:19], vcc
	s_and_saveexec_b64 s[18:19], s[22:23]
	s_cbranch_execz .LBB86_560
; %bb.559:
	v_ashrrev_i32_e32 v187, 31, v186
	v_lshl_add_u64 v[192:193], v[186:187], 2, v[184:185]
	global_load_dword v187, v[192:193], off
	global_load_dword v189, v[184:185], off offset:104
	s_waitcnt vmcnt(1)
	global_store_dword v[184:185], v187, off offset:104
	s_waitcnt vmcnt(1)
	global_store_dword v[192:193], v189, off
.LBB86_560:
	s_or_b64 exec, exec, s[18:19]
	v_mov_b32_e32 v189, v186
	v_mov_b32_e32 v191, v186
.LBB86_561:
	s_or_b64 exec, exec, s[16:17]
.LBB86_562:
	s_andn2_saveexec_b64 s[0:1], s[0:1]
	s_cbranch_execz .LBB86_564
; %bb.563:
	v_mov_b32_e32 v189, 26
	s_waitcnt vmcnt(16)
	ds_write2_b64 v188, v[60:61], v[62:63] offset0:54 offset1:55
	s_waitcnt vmcnt(15)
	ds_write2_b64 v188, v[56:57], v[58:59] offset0:56 offset1:57
	;; [unrolled: 2-line block ×17, first 2 shown]
.LBB86_564:
	s_or_b64 exec, exec, s[0:1]
	v_cmp_lt_i32_e32 vcc, 26, v189
	s_waitcnt lgkmcnt(0)
	s_barrier
	s_and_saveexec_b64 s[0:1], vcc
	s_cbranch_execz .LBB86_566
; %bb.565:
	ds_read2_b64 v[192:195], v188 offset0:54 offset1:55
	v_mul_f64 v[186:187], v[178:179], v[66:67]
	v_mul_f64 v[66:67], v[176:177], v[66:67]
	v_fmac_f64_e32 v[66:67], v[178:179], v[64:65]
	v_fma_f64 v[186:187], v[176:177], v[64:65], -v[186:187]
	ds_read2_b64 v[176:179], v188 offset0:56 offset1:57
	s_waitcnt lgkmcnt(1)
	v_mul_f64 v[64:65], v[194:195], v[66:67]
	v_fma_f64 v[64:65], v[192:193], v[186:187], -v[64:65]
	v_mul_f64 v[192:193], v[192:193], v[66:67]
	v_fmac_f64_e32 v[192:193], v[194:195], v[186:187]
	s_waitcnt vmcnt(16)
	v_add_f64 v[62:63], v[62:63], -v[192:193]
	ds_read2_b64 v[192:195], v188 offset0:58 offset1:59
	v_add_f64 v[60:61], v[60:61], -v[64:65]
	s_waitcnt lgkmcnt(1)
	v_mul_f64 v[64:65], v[178:179], v[66:67]
	v_fma_f64 v[64:65], v[176:177], v[186:187], -v[64:65]
	v_mul_f64 v[176:177], v[176:177], v[66:67]
	v_fmac_f64_e32 v[176:177], v[178:179], v[186:187]
	s_waitcnt vmcnt(15)
	v_add_f64 v[56:57], v[56:57], -v[64:65]
	v_add_f64 v[58:59], v[58:59], -v[176:177]
	ds_read2_b64 v[176:179], v188 offset0:60 offset1:61
	s_waitcnt lgkmcnt(1)
	v_mul_f64 v[64:65], v[194:195], v[66:67]
	v_fma_f64 v[64:65], v[192:193], v[186:187], -v[64:65]
	v_mul_f64 v[192:193], v[192:193], v[66:67]
	v_fmac_f64_e32 v[192:193], v[194:195], v[186:187]
	s_waitcnt vmcnt(14)
	v_add_f64 v[54:55], v[54:55], -v[192:193]
	ds_read2_b64 v[192:195], v188 offset0:62 offset1:63
	v_add_f64 v[52:53], v[52:53], -v[64:65]
	s_waitcnt lgkmcnt(1)
	v_mul_f64 v[64:65], v[178:179], v[66:67]
	v_fma_f64 v[64:65], v[176:177], v[186:187], -v[64:65]
	v_mul_f64 v[176:177], v[176:177], v[66:67]
	v_fmac_f64_e32 v[176:177], v[178:179], v[186:187]
	s_waitcnt vmcnt(13)
	v_add_f64 v[48:49], v[48:49], -v[64:65]
	v_add_f64 v[50:51], v[50:51], -v[176:177]
	;; [unrolled: 18-line block ×8, first 2 shown]
	s_waitcnt lgkmcnt(0)
	v_mul_f64 v[64:65], v[194:195], v[66:67]
	v_mul_f64 v[176:177], v[192:193], v[66:67]
	v_fma_f64 v[64:65], v[192:193], v[186:187], -v[64:65]
	v_fmac_f64_e32 v[176:177], v[194:195], v[186:187]
	s_waitcnt vmcnt(0)
	v_add_f64 v[172:173], v[172:173], -v[64:65]
	v_add_f64 v[174:175], v[174:175], -v[176:177]
	v_mov_b64_e32 v[64:65], v[186:187]
.LBB86_566:
	s_or_b64 exec, exec, s[0:1]
	v_lshl_add_u32 v176, v189, 4, v188
	s_barrier
	s_waitcnt vmcnt(16)
	ds_write2_b64 v176, v[60:61], v[62:63] offset1:1
	s_waitcnt lgkmcnt(0)
	s_barrier
	ds_read2_b64 v[176:179], v188 offset0:54 offset1:55
	s_cmp_lt_i32 s20, 29
	v_mov_b32_e32 v186, 27
	s_cbranch_scc1 .LBB86_569
; %bb.567:
	v_add_u32_e32 v187, 0x1c0, v188
	s_mov_b32 s16, 28
	v_mov_b32_e32 v186, 27
.LBB86_568:                             ; =>This Inner Loop Header: Depth=1
	ds_read2_b64 v[192:195], v187 offset1:1
	s_waitcnt lgkmcnt(1)
	v_xor_b32_e32 v197, 0x80000000, v177
	v_xor_b32_e32 v199, 0x80000000, v179
	v_cmp_gt_f64_e32 vcc, 0, v[178:179]
	v_cmp_gt_f64_e64 s[0:1], 0, v[176:177]
	v_mov_b32_e32 v196, v176
	v_mov_b32_e32 v198, v178
	v_cndmask_b32_e64 v197, v177, v197, s[0:1]
	v_cndmask_b32_e32 v199, v179, v199, vcc
	v_add_f64 v[196:197], v[196:197], v[198:199]
	s_waitcnt lgkmcnt(0)
	v_xor_b32_e32 v199, 0x80000000, v193
	v_xor_b32_e32 v201, 0x80000000, v195
	v_cmp_gt_f64_e32 vcc, 0, v[194:195]
	v_cmp_gt_f64_e64 s[0:1], 0, v[192:193]
	v_mov_b32_e32 v198, v192
	v_mov_b32_e32 v200, v194
	v_cndmask_b32_e64 v199, v193, v199, s[0:1]
	v_cndmask_b32_e32 v201, v195, v201, vcc
	v_add_f64 v[198:199], v[198:199], v[200:201]
	v_mov_b32_e32 v202, s16
	s_add_i32 s16, s16, 1
	v_cmp_lt_f64_e32 vcc, v[196:197], v[198:199]
	v_add_u32_e32 v187, 16, v187
	s_cmp_lg_u32 s20, s16
	v_cndmask_b32_e32 v177, v177, v193, vcc
	v_cndmask_b32_e32 v176, v176, v192, vcc
	v_cndmask_b32_e32 v179, v179, v195, vcc
	v_cndmask_b32_e32 v178, v178, v194, vcc
	v_cndmask_b32_e32 v186, v186, v202, vcc
	s_cbranch_scc1 .LBB86_568
.LBB86_569:
	s_waitcnt lgkmcnt(0)
	v_cmp_eq_f64_e32 vcc, 0, v[176:177]
	v_cmp_eq_f64_e64 s[0:1], 0, v[178:179]
	s_and_b64 s[0:1], vcc, s[0:1]
	s_and_saveexec_b64 s[16:17], s[0:1]
	s_xor_b64 s[0:1], exec, s[16:17]
; %bb.570:
	v_cmp_ne_u32_e32 vcc, 0, v190
	s_nop 1
	v_cndmask_b32_e32 v190, 28, v190, vcc
; %bb.571:
	s_andn2_saveexec_b64 s[0:1], s[0:1]
	s_cbranch_execz .LBB86_577
; %bb.572:
	v_cmp_ngt_f64_e64 s[16:17], |v[176:177]|, |v[178:179]|
	s_and_saveexec_b64 s[18:19], s[16:17]
	s_xor_b64 s[16:17], exec, s[18:19]
	s_cbranch_execz .LBB86_574
; %bb.573:
	v_div_scale_f64 v[192:193], s[18:19], v[178:179], v[178:179], v[176:177]
	v_rcp_f64_e32 v[194:195], v[192:193]
	v_div_scale_f64 v[196:197], vcc, v[176:177], v[178:179], v[176:177]
	v_fma_f64 v[198:199], -v[192:193], v[194:195], 1.0
	v_fmac_f64_e32 v[194:195], v[194:195], v[198:199]
	v_fma_f64 v[198:199], -v[192:193], v[194:195], 1.0
	v_fmac_f64_e32 v[194:195], v[194:195], v[198:199]
	v_mul_f64 v[198:199], v[196:197], v[194:195]
	v_fma_f64 v[192:193], -v[192:193], v[198:199], v[196:197]
	v_div_fmas_f64 v[192:193], v[192:193], v[194:195], v[198:199]
	v_div_fixup_f64 v[192:193], v[192:193], v[178:179], v[176:177]
	v_fmac_f64_e32 v[178:179], v[176:177], v[192:193]
	v_div_scale_f64 v[176:177], s[18:19], v[178:179], v[178:179], 1.0
	v_rcp_f64_e32 v[194:195], v[176:177]
	s_nop 0
	v_fma_f64 v[196:197], -v[176:177], v[194:195], 1.0
	v_fmac_f64_e32 v[194:195], v[194:195], v[196:197]
	v_fma_f64 v[196:197], -v[176:177], v[194:195], 1.0
	v_fmac_f64_e32 v[194:195], v[194:195], v[196:197]
	v_div_scale_f64 v[196:197], vcc, 1.0, v[178:179], 1.0
	v_mul_f64 v[198:199], v[196:197], v[194:195]
	v_fma_f64 v[176:177], -v[176:177], v[198:199], v[196:197]
	s_nop 1
	v_div_fmas_f64 v[176:177], v[176:177], v[194:195], v[198:199]
	v_div_fixup_f64 v[178:179], v[176:177], v[178:179], 1.0
	v_mul_f64 v[176:177], v[192:193], v[178:179]
	v_xor_b32_e32 v179, 0x80000000, v179
.LBB86_574:
	s_andn2_saveexec_b64 s[16:17], s[16:17]
	s_cbranch_execz .LBB86_576
; %bb.575:
	v_div_scale_f64 v[192:193], s[18:19], v[176:177], v[176:177], v[178:179]
	v_rcp_f64_e32 v[194:195], v[192:193]
	v_div_scale_f64 v[196:197], vcc, v[178:179], v[176:177], v[178:179]
	v_fma_f64 v[198:199], -v[192:193], v[194:195], 1.0
	v_fmac_f64_e32 v[194:195], v[194:195], v[198:199]
	v_fma_f64 v[198:199], -v[192:193], v[194:195], 1.0
	v_fmac_f64_e32 v[194:195], v[194:195], v[198:199]
	v_mul_f64 v[198:199], v[196:197], v[194:195]
	v_fma_f64 v[192:193], -v[192:193], v[198:199], v[196:197]
	v_div_fmas_f64 v[192:193], v[192:193], v[194:195], v[198:199]
	v_div_fixup_f64 v[192:193], v[192:193], v[176:177], v[178:179]
	v_fmac_f64_e32 v[176:177], v[178:179], v[192:193]
	v_div_scale_f64 v[178:179], s[18:19], v[176:177], v[176:177], 1.0
	v_rcp_f64_e32 v[194:195], v[178:179]
	s_nop 0
	v_fma_f64 v[196:197], -v[178:179], v[194:195], 1.0
	v_fmac_f64_e32 v[194:195], v[194:195], v[196:197]
	v_fma_f64 v[196:197], -v[178:179], v[194:195], 1.0
	v_fmac_f64_e32 v[194:195], v[194:195], v[196:197]
	v_div_scale_f64 v[196:197], vcc, 1.0, v[176:177], 1.0
	v_mul_f64 v[198:199], v[196:197], v[194:195]
	v_fma_f64 v[178:179], -v[178:179], v[198:199], v[196:197]
	s_nop 1
	v_div_fmas_f64 v[178:179], v[178:179], v[194:195], v[198:199]
	v_div_fixup_f64 v[176:177], v[178:179], v[176:177], 1.0
	v_mul_f64 v[178:179], v[192:193], -v[176:177]
.LBB86_576:
	s_or_b64 exec, exec, s[16:17]
.LBB86_577:
	s_or_b64 exec, exec, s[0:1]
	v_cmp_ne_u32_e32 vcc, v189, v186
	s_and_saveexec_b64 s[0:1], vcc
	s_xor_b64 s[0:1], exec, s[0:1]
	s_cbranch_execz .LBB86_583
; %bb.578:
	v_cmp_eq_u32_e32 vcc, 27, v189
	s_and_saveexec_b64 s[16:17], vcc
	s_cbranch_execz .LBB86_582
; %bb.579:
	v_cmp_ne_u32_e32 vcc, 27, v186
	s_xor_b64 s[18:19], s[14:15], -1
	s_and_b64 s[22:23], s[18:19], vcc
	s_and_saveexec_b64 s[18:19], s[22:23]
	s_cbranch_execz .LBB86_581
; %bb.580:
	v_ashrrev_i32_e32 v187, 31, v186
	v_lshl_add_u64 v[192:193], v[186:187], 2, v[184:185]
	global_load_dword v187, v[192:193], off
	global_load_dword v189, v[184:185], off offset:108
	s_waitcnt vmcnt(1)
	global_store_dword v[184:185], v187, off offset:108
	s_waitcnt vmcnt(1)
	global_store_dword v[192:193], v189, off
.LBB86_581:
	s_or_b64 exec, exec, s[18:19]
	v_mov_b32_e32 v189, v186
	v_mov_b32_e32 v191, v186
.LBB86_582:
	s_or_b64 exec, exec, s[16:17]
.LBB86_583:
	s_andn2_saveexec_b64 s[0:1], s[0:1]
	s_cbranch_execz .LBB86_585
; %bb.584:
	v_mov_b32_e32 v189, 27
	s_waitcnt vmcnt(15)
	ds_write2_b64 v188, v[56:57], v[58:59] offset0:56 offset1:57
	s_waitcnt vmcnt(14)
	ds_write2_b64 v188, v[52:53], v[54:55] offset0:58 offset1:59
	;; [unrolled: 2-line block ×16, first 2 shown]
.LBB86_585:
	s_or_b64 exec, exec, s[0:1]
	v_cmp_lt_i32_e32 vcc, 27, v189
	s_waitcnt lgkmcnt(0)
	s_barrier
	s_and_saveexec_b64 s[0:1], vcc
	s_cbranch_execz .LBB86_587
; %bb.586:
	ds_read2_b64 v[192:195], v188 offset0:56 offset1:57
	v_mul_f64 v[186:187], v[176:177], v[62:63]
	v_mul_f64 v[62:63], v[178:179], v[62:63]
	v_fmac_f64_e32 v[186:187], v[178:179], v[60:61]
	v_fma_f64 v[60:61], v[176:177], v[60:61], -v[62:63]
	ds_read2_b64 v[176:179], v188 offset0:58 offset1:59
	s_waitcnt lgkmcnt(1)
	v_mul_f64 v[62:63], v[194:195], v[186:187]
	v_fma_f64 v[62:63], v[192:193], v[60:61], -v[62:63]
	v_mul_f64 v[192:193], v[192:193], v[186:187]
	v_fmac_f64_e32 v[192:193], v[194:195], v[60:61]
	s_waitcnt vmcnt(15)
	v_add_f64 v[56:57], v[56:57], -v[62:63]
	s_waitcnt lgkmcnt(0)
	v_mul_f64 v[62:63], v[178:179], v[186:187]
	v_add_f64 v[58:59], v[58:59], -v[192:193]
	v_fma_f64 v[62:63], v[176:177], v[60:61], -v[62:63]
	v_mul_f64 v[176:177], v[176:177], v[186:187]
	ds_read2_b64 v[192:195], v188 offset0:60 offset1:61
	v_fmac_f64_e32 v[176:177], v[178:179], v[60:61]
	s_waitcnt vmcnt(14)
	v_add_f64 v[54:55], v[54:55], -v[176:177]
	ds_read2_b64 v[176:179], v188 offset0:62 offset1:63
	v_add_f64 v[52:53], v[52:53], -v[62:63]
	s_waitcnt lgkmcnt(1)
	v_mul_f64 v[62:63], v[194:195], v[186:187]
	v_fma_f64 v[62:63], v[192:193], v[60:61], -v[62:63]
	v_mul_f64 v[192:193], v[192:193], v[186:187]
	v_fmac_f64_e32 v[192:193], v[194:195], v[60:61]
	s_waitcnt vmcnt(13)
	v_add_f64 v[48:49], v[48:49], -v[62:63]
	s_waitcnt lgkmcnt(0)
	v_mul_f64 v[62:63], v[178:179], v[186:187]
	v_add_f64 v[50:51], v[50:51], -v[192:193]
	v_fma_f64 v[62:63], v[176:177], v[60:61], -v[62:63]
	v_mul_f64 v[176:177], v[176:177], v[186:187]
	ds_read2_b64 v[192:195], v188 offset0:64 offset1:65
	v_fmac_f64_e32 v[176:177], v[178:179], v[60:61]
	s_waitcnt vmcnt(12)
	v_add_f64 v[46:47], v[46:47], -v[176:177]
	ds_read2_b64 v[176:179], v188 offset0:66 offset1:67
	v_add_f64 v[44:45], v[44:45], -v[62:63]
	;; [unrolled: 18-line block ×7, first 2 shown]
	s_waitcnt lgkmcnt(1)
	v_mul_f64 v[62:63], v[194:195], v[186:187]
	v_fma_f64 v[62:63], v[192:193], v[60:61], -v[62:63]
	s_waitcnt vmcnt(1)
	v_add_f64 v[0:1], v[0:1], -v[62:63]
	s_waitcnt lgkmcnt(0)
	v_mul_f64 v[62:63], v[178:179], v[186:187]
	v_mul_f64 v[192:193], v[192:193], v[186:187]
	v_fma_f64 v[62:63], v[176:177], v[60:61], -v[62:63]
	v_mul_f64 v[176:177], v[176:177], v[186:187]
	v_fmac_f64_e32 v[192:193], v[194:195], v[60:61]
	v_fmac_f64_e32 v[176:177], v[178:179], v[60:61]
	v_add_f64 v[2:3], v[2:3], -v[192:193]
	s_waitcnt vmcnt(0)
	v_add_f64 v[172:173], v[172:173], -v[62:63]
	v_add_f64 v[174:175], v[174:175], -v[176:177]
	v_mov_b64_e32 v[62:63], v[186:187]
.LBB86_587:
	s_or_b64 exec, exec, s[0:1]
	v_lshl_add_u32 v176, v189, 4, v188
	s_barrier
	s_waitcnt vmcnt(15)
	ds_write2_b64 v176, v[56:57], v[58:59] offset1:1
	s_waitcnt lgkmcnt(0)
	s_barrier
	ds_read2_b64 v[176:179], v188 offset0:56 offset1:57
	s_cmp_lt_i32 s20, 30
	v_mov_b32_e32 v186, 28
	s_cbranch_scc1 .LBB86_590
; %bb.588:
	v_add_u32_e32 v187, 0x1d0, v188
	s_mov_b32 s16, 29
	v_mov_b32_e32 v186, 28
.LBB86_589:                             ; =>This Inner Loop Header: Depth=1
	ds_read2_b64 v[192:195], v187 offset1:1
	s_waitcnt lgkmcnt(1)
	v_xor_b32_e32 v197, 0x80000000, v177
	v_xor_b32_e32 v199, 0x80000000, v179
	v_cmp_gt_f64_e32 vcc, 0, v[178:179]
	v_cmp_gt_f64_e64 s[0:1], 0, v[176:177]
	v_mov_b32_e32 v196, v176
	v_mov_b32_e32 v198, v178
	v_cndmask_b32_e64 v197, v177, v197, s[0:1]
	v_cndmask_b32_e32 v199, v179, v199, vcc
	v_add_f64 v[196:197], v[196:197], v[198:199]
	s_waitcnt lgkmcnt(0)
	v_xor_b32_e32 v199, 0x80000000, v193
	v_xor_b32_e32 v201, 0x80000000, v195
	v_cmp_gt_f64_e32 vcc, 0, v[194:195]
	v_cmp_gt_f64_e64 s[0:1], 0, v[192:193]
	v_mov_b32_e32 v198, v192
	v_mov_b32_e32 v200, v194
	v_cndmask_b32_e64 v199, v193, v199, s[0:1]
	v_cndmask_b32_e32 v201, v195, v201, vcc
	v_add_f64 v[198:199], v[198:199], v[200:201]
	v_mov_b32_e32 v202, s16
	s_add_i32 s16, s16, 1
	v_cmp_lt_f64_e32 vcc, v[196:197], v[198:199]
	v_add_u32_e32 v187, 16, v187
	s_cmp_lg_u32 s20, s16
	v_cndmask_b32_e32 v177, v177, v193, vcc
	v_cndmask_b32_e32 v176, v176, v192, vcc
	;; [unrolled: 1-line block ×5, first 2 shown]
	s_cbranch_scc1 .LBB86_589
.LBB86_590:
	s_waitcnt lgkmcnt(0)
	v_cmp_eq_f64_e32 vcc, 0, v[176:177]
	v_cmp_eq_f64_e64 s[0:1], 0, v[178:179]
	s_and_b64 s[0:1], vcc, s[0:1]
	s_and_saveexec_b64 s[16:17], s[0:1]
	s_xor_b64 s[0:1], exec, s[16:17]
; %bb.591:
	v_cmp_ne_u32_e32 vcc, 0, v190
	s_nop 1
	v_cndmask_b32_e32 v190, 29, v190, vcc
; %bb.592:
	s_andn2_saveexec_b64 s[0:1], s[0:1]
	s_cbranch_execz .LBB86_598
; %bb.593:
	v_cmp_ngt_f64_e64 s[16:17], |v[176:177]|, |v[178:179]|
	s_and_saveexec_b64 s[18:19], s[16:17]
	s_xor_b64 s[16:17], exec, s[18:19]
	s_cbranch_execz .LBB86_595
; %bb.594:
	v_div_scale_f64 v[192:193], s[18:19], v[178:179], v[178:179], v[176:177]
	v_rcp_f64_e32 v[194:195], v[192:193]
	v_div_scale_f64 v[196:197], vcc, v[176:177], v[178:179], v[176:177]
	v_fma_f64 v[198:199], -v[192:193], v[194:195], 1.0
	v_fmac_f64_e32 v[194:195], v[194:195], v[198:199]
	v_fma_f64 v[198:199], -v[192:193], v[194:195], 1.0
	v_fmac_f64_e32 v[194:195], v[194:195], v[198:199]
	v_mul_f64 v[198:199], v[196:197], v[194:195]
	v_fma_f64 v[192:193], -v[192:193], v[198:199], v[196:197]
	v_div_fmas_f64 v[192:193], v[192:193], v[194:195], v[198:199]
	v_div_fixup_f64 v[192:193], v[192:193], v[178:179], v[176:177]
	v_fmac_f64_e32 v[178:179], v[176:177], v[192:193]
	v_div_scale_f64 v[176:177], s[18:19], v[178:179], v[178:179], 1.0
	v_rcp_f64_e32 v[194:195], v[176:177]
	s_nop 0
	v_fma_f64 v[196:197], -v[176:177], v[194:195], 1.0
	v_fmac_f64_e32 v[194:195], v[194:195], v[196:197]
	v_fma_f64 v[196:197], -v[176:177], v[194:195], 1.0
	v_fmac_f64_e32 v[194:195], v[194:195], v[196:197]
	v_div_scale_f64 v[196:197], vcc, 1.0, v[178:179], 1.0
	v_mul_f64 v[198:199], v[196:197], v[194:195]
	v_fma_f64 v[176:177], -v[176:177], v[198:199], v[196:197]
	s_nop 1
	v_div_fmas_f64 v[176:177], v[176:177], v[194:195], v[198:199]
	v_div_fixup_f64 v[178:179], v[176:177], v[178:179], 1.0
	v_mul_f64 v[176:177], v[192:193], v[178:179]
	v_xor_b32_e32 v179, 0x80000000, v179
.LBB86_595:
	s_andn2_saveexec_b64 s[16:17], s[16:17]
	s_cbranch_execz .LBB86_597
; %bb.596:
	v_div_scale_f64 v[192:193], s[18:19], v[176:177], v[176:177], v[178:179]
	v_rcp_f64_e32 v[194:195], v[192:193]
	v_div_scale_f64 v[196:197], vcc, v[178:179], v[176:177], v[178:179]
	v_fma_f64 v[198:199], -v[192:193], v[194:195], 1.0
	v_fmac_f64_e32 v[194:195], v[194:195], v[198:199]
	v_fma_f64 v[198:199], -v[192:193], v[194:195], 1.0
	v_fmac_f64_e32 v[194:195], v[194:195], v[198:199]
	v_mul_f64 v[198:199], v[196:197], v[194:195]
	v_fma_f64 v[192:193], -v[192:193], v[198:199], v[196:197]
	v_div_fmas_f64 v[192:193], v[192:193], v[194:195], v[198:199]
	v_div_fixup_f64 v[192:193], v[192:193], v[176:177], v[178:179]
	v_fmac_f64_e32 v[176:177], v[178:179], v[192:193]
	v_div_scale_f64 v[178:179], s[18:19], v[176:177], v[176:177], 1.0
	v_rcp_f64_e32 v[194:195], v[178:179]
	s_nop 0
	v_fma_f64 v[196:197], -v[178:179], v[194:195], 1.0
	v_fmac_f64_e32 v[194:195], v[194:195], v[196:197]
	v_fma_f64 v[196:197], -v[178:179], v[194:195], 1.0
	v_fmac_f64_e32 v[194:195], v[194:195], v[196:197]
	v_div_scale_f64 v[196:197], vcc, 1.0, v[176:177], 1.0
	v_mul_f64 v[198:199], v[196:197], v[194:195]
	v_fma_f64 v[178:179], -v[178:179], v[198:199], v[196:197]
	s_nop 1
	v_div_fmas_f64 v[178:179], v[178:179], v[194:195], v[198:199]
	v_div_fixup_f64 v[176:177], v[178:179], v[176:177], 1.0
	v_mul_f64 v[178:179], v[192:193], -v[176:177]
.LBB86_597:
	s_or_b64 exec, exec, s[16:17]
.LBB86_598:
	s_or_b64 exec, exec, s[0:1]
	v_cmp_ne_u32_e32 vcc, v189, v186
	s_and_saveexec_b64 s[0:1], vcc
	s_xor_b64 s[0:1], exec, s[0:1]
	s_cbranch_execz .LBB86_604
; %bb.599:
	v_cmp_eq_u32_e32 vcc, 28, v189
	s_and_saveexec_b64 s[16:17], vcc
	s_cbranch_execz .LBB86_603
; %bb.600:
	v_cmp_ne_u32_e32 vcc, 28, v186
	s_xor_b64 s[18:19], s[14:15], -1
	s_and_b64 s[22:23], s[18:19], vcc
	s_and_saveexec_b64 s[18:19], s[22:23]
	s_cbranch_execz .LBB86_602
; %bb.601:
	v_ashrrev_i32_e32 v187, 31, v186
	v_lshl_add_u64 v[192:193], v[186:187], 2, v[184:185]
	global_load_dword v187, v[192:193], off
	global_load_dword v189, v[184:185], off offset:112
	s_waitcnt vmcnt(1)
	global_store_dword v[184:185], v187, off offset:112
	s_waitcnt vmcnt(1)
	global_store_dword v[192:193], v189, off
.LBB86_602:
	s_or_b64 exec, exec, s[18:19]
	v_mov_b32_e32 v189, v186
	v_mov_b32_e32 v191, v186
.LBB86_603:
	s_or_b64 exec, exec, s[16:17]
.LBB86_604:
	s_andn2_saveexec_b64 s[0:1], s[0:1]
	s_cbranch_execz .LBB86_606
; %bb.605:
	v_mov_b32_e32 v189, 28
	s_waitcnt vmcnt(14)
	ds_write2_b64 v188, v[52:53], v[54:55] offset0:58 offset1:59
	s_waitcnt vmcnt(13)
	ds_write2_b64 v188, v[48:49], v[50:51] offset0:60 offset1:61
	;; [unrolled: 2-line block ×15, first 2 shown]
.LBB86_606:
	s_or_b64 exec, exec, s[0:1]
	v_cmp_lt_i32_e32 vcc, 28, v189
	s_waitcnt lgkmcnt(0)
	s_barrier
	s_and_saveexec_b64 s[0:1], vcc
	s_cbranch_execz .LBB86_608
; %bb.607:
	ds_read2_b64 v[192:195], v188 offset0:58 offset1:59
	v_mul_f64 v[186:187], v[176:177], v[58:59]
	v_fmac_f64_e32 v[186:187], v[178:179], v[56:57]
	v_mul_f64 v[58:59], v[178:179], v[58:59]
	v_fma_f64 v[56:57], v[176:177], v[56:57], -v[58:59]
	ds_read2_b64 v[176:179], v188 offset0:60 offset1:61
	s_waitcnt lgkmcnt(1)
	v_mul_f64 v[58:59], v[194:195], v[186:187]
	v_fma_f64 v[58:59], v[192:193], v[56:57], -v[58:59]
	v_mul_f64 v[192:193], v[192:193], v[186:187]
	v_fmac_f64_e32 v[192:193], v[194:195], v[56:57]
	s_waitcnt vmcnt(14)
	v_add_f64 v[54:55], v[54:55], -v[192:193]
	ds_read2_b64 v[192:195], v188 offset0:62 offset1:63
	v_add_f64 v[52:53], v[52:53], -v[58:59]
	s_waitcnt lgkmcnt(1)
	v_mul_f64 v[58:59], v[178:179], v[186:187]
	v_fma_f64 v[58:59], v[176:177], v[56:57], -v[58:59]
	v_mul_f64 v[176:177], v[176:177], v[186:187]
	v_fmac_f64_e32 v[176:177], v[178:179], v[56:57]
	s_waitcnt vmcnt(13)
	v_add_f64 v[48:49], v[48:49], -v[58:59]
	v_add_f64 v[50:51], v[50:51], -v[176:177]
	ds_read2_b64 v[176:179], v188 offset0:64 offset1:65
	s_waitcnt lgkmcnt(1)
	v_mul_f64 v[58:59], v[194:195], v[186:187]
	v_fma_f64 v[58:59], v[192:193], v[56:57], -v[58:59]
	v_mul_f64 v[192:193], v[192:193], v[186:187]
	v_fmac_f64_e32 v[192:193], v[194:195], v[56:57]
	s_waitcnt vmcnt(12)
	v_add_f64 v[46:47], v[46:47], -v[192:193]
	ds_read2_b64 v[192:195], v188 offset0:66 offset1:67
	v_add_f64 v[44:45], v[44:45], -v[58:59]
	s_waitcnt lgkmcnt(1)
	v_mul_f64 v[58:59], v[178:179], v[186:187]
	v_fma_f64 v[58:59], v[176:177], v[56:57], -v[58:59]
	v_mul_f64 v[176:177], v[176:177], v[186:187]
	v_fmac_f64_e32 v[176:177], v[178:179], v[56:57]
	s_waitcnt vmcnt(11)
	v_add_f64 v[40:41], v[40:41], -v[58:59]
	v_add_f64 v[42:43], v[42:43], -v[176:177]
	ds_read2_b64 v[176:179], v188 offset0:68 offset1:69
	s_waitcnt lgkmcnt(1)
	v_mul_f64 v[58:59], v[194:195], v[186:187]
	v_fma_f64 v[58:59], v[192:193], v[56:57], -v[58:59]
	v_mul_f64 v[192:193], v[192:193], v[186:187]
	v_fmac_f64_e32 v[192:193], v[194:195], v[56:57]
	s_waitcnt vmcnt(10)
	v_add_f64 v[38:39], v[38:39], -v[192:193]
	ds_read2_b64 v[192:195], v188 offset0:70 offset1:71
	v_add_f64 v[36:37], v[36:37], -v[58:59]
	s_waitcnt lgkmcnt(1)
	v_mul_f64 v[58:59], v[178:179], v[186:187]
	v_fma_f64 v[58:59], v[176:177], v[56:57], -v[58:59]
	v_mul_f64 v[176:177], v[176:177], v[186:187]
	v_fmac_f64_e32 v[176:177], v[178:179], v[56:57]
	s_waitcnt vmcnt(9)
	v_add_f64 v[32:33], v[32:33], -v[58:59]
	v_add_f64 v[34:35], v[34:35], -v[176:177]
	ds_read2_b64 v[176:179], v188 offset0:72 offset1:73
	s_waitcnt lgkmcnt(1)
	v_mul_f64 v[58:59], v[194:195], v[186:187]
	v_fma_f64 v[58:59], v[192:193], v[56:57], -v[58:59]
	v_mul_f64 v[192:193], v[192:193], v[186:187]
	v_fmac_f64_e32 v[192:193], v[194:195], v[56:57]
	s_waitcnt vmcnt(8)
	v_add_f64 v[30:31], v[30:31], -v[192:193]
	ds_read2_b64 v[192:195], v188 offset0:74 offset1:75
	v_add_f64 v[28:29], v[28:29], -v[58:59]
	s_waitcnt lgkmcnt(1)
	v_mul_f64 v[58:59], v[178:179], v[186:187]
	v_fma_f64 v[58:59], v[176:177], v[56:57], -v[58:59]
	v_mul_f64 v[176:177], v[176:177], v[186:187]
	v_fmac_f64_e32 v[176:177], v[178:179], v[56:57]
	s_waitcnt vmcnt(7)
	v_add_f64 v[24:25], v[24:25], -v[58:59]
	v_add_f64 v[26:27], v[26:27], -v[176:177]
	ds_read2_b64 v[176:179], v188 offset0:76 offset1:77
	s_waitcnt lgkmcnt(1)
	v_mul_f64 v[58:59], v[194:195], v[186:187]
	v_fma_f64 v[58:59], v[192:193], v[56:57], -v[58:59]
	v_mul_f64 v[192:193], v[192:193], v[186:187]
	v_fmac_f64_e32 v[192:193], v[194:195], v[56:57]
	s_waitcnt vmcnt(6)
	v_add_f64 v[22:23], v[22:23], -v[192:193]
	ds_read2_b64 v[192:195], v188 offset0:78 offset1:79
	v_add_f64 v[20:21], v[20:21], -v[58:59]
	s_waitcnt lgkmcnt(1)
	v_mul_f64 v[58:59], v[178:179], v[186:187]
	v_fma_f64 v[58:59], v[176:177], v[56:57], -v[58:59]
	v_mul_f64 v[176:177], v[176:177], v[186:187]
	v_fmac_f64_e32 v[176:177], v[178:179], v[56:57]
	s_waitcnt vmcnt(5)
	v_add_f64 v[16:17], v[16:17], -v[58:59]
	v_add_f64 v[18:19], v[18:19], -v[176:177]
	ds_read2_b64 v[176:179], v188 offset0:80 offset1:81
	s_waitcnt lgkmcnt(1)
	v_mul_f64 v[58:59], v[194:195], v[186:187]
	v_fma_f64 v[58:59], v[192:193], v[56:57], -v[58:59]
	v_mul_f64 v[192:193], v[192:193], v[186:187]
	v_fmac_f64_e32 v[192:193], v[194:195], v[56:57]
	s_waitcnt vmcnt(4)
	v_add_f64 v[14:15], v[14:15], -v[192:193]
	ds_read2_b64 v[192:195], v188 offset0:82 offset1:83
	v_add_f64 v[12:13], v[12:13], -v[58:59]
	s_waitcnt lgkmcnt(1)
	v_mul_f64 v[58:59], v[178:179], v[186:187]
	v_fma_f64 v[58:59], v[176:177], v[56:57], -v[58:59]
	v_mul_f64 v[176:177], v[176:177], v[186:187]
	v_fmac_f64_e32 v[176:177], v[178:179], v[56:57]
	s_waitcnt vmcnt(3)
	v_add_f64 v[8:9], v[8:9], -v[58:59]
	v_add_f64 v[10:11], v[10:11], -v[176:177]
	ds_read2_b64 v[176:179], v188 offset0:84 offset1:85
	s_waitcnt lgkmcnt(1)
	v_mul_f64 v[58:59], v[194:195], v[186:187]
	v_fma_f64 v[58:59], v[192:193], v[56:57], -v[58:59]
	v_mul_f64 v[192:193], v[192:193], v[186:187]
	v_fmac_f64_e32 v[192:193], v[194:195], v[56:57]
	s_waitcnt vmcnt(2)
	v_add_f64 v[6:7], v[6:7], -v[192:193]
	ds_read2_b64 v[192:195], v188 offset0:86 offset1:87
	v_add_f64 v[4:5], v[4:5], -v[58:59]
	s_waitcnt lgkmcnt(1)
	v_mul_f64 v[58:59], v[178:179], v[186:187]
	v_fma_f64 v[58:59], v[176:177], v[56:57], -v[58:59]
	v_mul_f64 v[176:177], v[176:177], v[186:187]
	v_fmac_f64_e32 v[176:177], v[178:179], v[56:57]
	s_waitcnt vmcnt(1)
	v_add_f64 v[0:1], v[0:1], -v[58:59]
	v_add_f64 v[2:3], v[2:3], -v[176:177]
	s_waitcnt lgkmcnt(0)
	v_mul_f64 v[58:59], v[194:195], v[186:187]
	v_mul_f64 v[176:177], v[192:193], v[186:187]
	v_fma_f64 v[58:59], v[192:193], v[56:57], -v[58:59]
	v_fmac_f64_e32 v[176:177], v[194:195], v[56:57]
	s_waitcnt vmcnt(0)
	v_add_f64 v[172:173], v[172:173], -v[58:59]
	v_add_f64 v[174:175], v[174:175], -v[176:177]
	v_mov_b64_e32 v[58:59], v[186:187]
.LBB86_608:
	s_or_b64 exec, exec, s[0:1]
	v_lshl_add_u32 v176, v189, 4, v188
	s_barrier
	s_waitcnt vmcnt(14)
	ds_write2_b64 v176, v[52:53], v[54:55] offset1:1
	s_waitcnt lgkmcnt(0)
	s_barrier
	ds_read2_b64 v[176:179], v188 offset0:58 offset1:59
	s_cmp_lt_i32 s20, 31
	v_mov_b32_e32 v186, 29
	s_cbranch_scc1 .LBB86_611
; %bb.609:
	v_add_u32_e32 v187, 0x1e0, v188
	s_mov_b32 s16, 30
	v_mov_b32_e32 v186, 29
.LBB86_610:                             ; =>This Inner Loop Header: Depth=1
	ds_read2_b64 v[192:195], v187 offset1:1
	s_waitcnt lgkmcnt(1)
	v_xor_b32_e32 v197, 0x80000000, v177
	v_xor_b32_e32 v199, 0x80000000, v179
	v_cmp_gt_f64_e32 vcc, 0, v[178:179]
	v_cmp_gt_f64_e64 s[0:1], 0, v[176:177]
	v_mov_b32_e32 v196, v176
	v_mov_b32_e32 v198, v178
	v_cndmask_b32_e64 v197, v177, v197, s[0:1]
	v_cndmask_b32_e32 v199, v179, v199, vcc
	v_add_f64 v[196:197], v[196:197], v[198:199]
	s_waitcnt lgkmcnt(0)
	v_xor_b32_e32 v199, 0x80000000, v193
	v_xor_b32_e32 v201, 0x80000000, v195
	v_cmp_gt_f64_e32 vcc, 0, v[194:195]
	v_cmp_gt_f64_e64 s[0:1], 0, v[192:193]
	v_mov_b32_e32 v198, v192
	v_mov_b32_e32 v200, v194
	v_cndmask_b32_e64 v199, v193, v199, s[0:1]
	v_cndmask_b32_e32 v201, v195, v201, vcc
	v_add_f64 v[198:199], v[198:199], v[200:201]
	v_mov_b32_e32 v202, s16
	s_add_i32 s16, s16, 1
	v_cmp_lt_f64_e32 vcc, v[196:197], v[198:199]
	v_add_u32_e32 v187, 16, v187
	s_cmp_lg_u32 s20, s16
	v_cndmask_b32_e32 v177, v177, v193, vcc
	v_cndmask_b32_e32 v176, v176, v192, vcc
	v_cndmask_b32_e32 v179, v179, v195, vcc
	v_cndmask_b32_e32 v178, v178, v194, vcc
	v_cndmask_b32_e32 v186, v186, v202, vcc
	s_cbranch_scc1 .LBB86_610
.LBB86_611:
	s_waitcnt lgkmcnt(0)
	v_cmp_eq_f64_e32 vcc, 0, v[176:177]
	v_cmp_eq_f64_e64 s[0:1], 0, v[178:179]
	s_and_b64 s[0:1], vcc, s[0:1]
	s_and_saveexec_b64 s[16:17], s[0:1]
	s_xor_b64 s[0:1], exec, s[16:17]
; %bb.612:
	v_cmp_ne_u32_e32 vcc, 0, v190
	s_nop 1
	v_cndmask_b32_e32 v190, 30, v190, vcc
; %bb.613:
	s_andn2_saveexec_b64 s[0:1], s[0:1]
	s_cbranch_execz .LBB86_619
; %bb.614:
	v_cmp_ngt_f64_e64 s[16:17], |v[176:177]|, |v[178:179]|
	s_and_saveexec_b64 s[18:19], s[16:17]
	s_xor_b64 s[16:17], exec, s[18:19]
	s_cbranch_execz .LBB86_616
; %bb.615:
	v_div_scale_f64 v[192:193], s[18:19], v[178:179], v[178:179], v[176:177]
	v_rcp_f64_e32 v[194:195], v[192:193]
	v_div_scale_f64 v[196:197], vcc, v[176:177], v[178:179], v[176:177]
	v_fma_f64 v[198:199], -v[192:193], v[194:195], 1.0
	v_fmac_f64_e32 v[194:195], v[194:195], v[198:199]
	v_fma_f64 v[198:199], -v[192:193], v[194:195], 1.0
	v_fmac_f64_e32 v[194:195], v[194:195], v[198:199]
	v_mul_f64 v[198:199], v[196:197], v[194:195]
	v_fma_f64 v[192:193], -v[192:193], v[198:199], v[196:197]
	v_div_fmas_f64 v[192:193], v[192:193], v[194:195], v[198:199]
	v_div_fixup_f64 v[192:193], v[192:193], v[178:179], v[176:177]
	v_fmac_f64_e32 v[178:179], v[176:177], v[192:193]
	v_div_scale_f64 v[176:177], s[18:19], v[178:179], v[178:179], 1.0
	v_rcp_f64_e32 v[194:195], v[176:177]
	s_nop 0
	v_fma_f64 v[196:197], -v[176:177], v[194:195], 1.0
	v_fmac_f64_e32 v[194:195], v[194:195], v[196:197]
	v_fma_f64 v[196:197], -v[176:177], v[194:195], 1.0
	v_fmac_f64_e32 v[194:195], v[194:195], v[196:197]
	v_div_scale_f64 v[196:197], vcc, 1.0, v[178:179], 1.0
	v_mul_f64 v[198:199], v[196:197], v[194:195]
	v_fma_f64 v[176:177], -v[176:177], v[198:199], v[196:197]
	s_nop 1
	v_div_fmas_f64 v[176:177], v[176:177], v[194:195], v[198:199]
	v_div_fixup_f64 v[178:179], v[176:177], v[178:179], 1.0
	v_mul_f64 v[176:177], v[192:193], v[178:179]
	v_xor_b32_e32 v179, 0x80000000, v179
.LBB86_616:
	s_andn2_saveexec_b64 s[16:17], s[16:17]
	s_cbranch_execz .LBB86_618
; %bb.617:
	v_div_scale_f64 v[192:193], s[18:19], v[176:177], v[176:177], v[178:179]
	v_rcp_f64_e32 v[194:195], v[192:193]
	v_div_scale_f64 v[196:197], vcc, v[178:179], v[176:177], v[178:179]
	v_fma_f64 v[198:199], -v[192:193], v[194:195], 1.0
	v_fmac_f64_e32 v[194:195], v[194:195], v[198:199]
	v_fma_f64 v[198:199], -v[192:193], v[194:195], 1.0
	v_fmac_f64_e32 v[194:195], v[194:195], v[198:199]
	v_mul_f64 v[198:199], v[196:197], v[194:195]
	v_fma_f64 v[192:193], -v[192:193], v[198:199], v[196:197]
	v_div_fmas_f64 v[192:193], v[192:193], v[194:195], v[198:199]
	v_div_fixup_f64 v[192:193], v[192:193], v[176:177], v[178:179]
	v_fmac_f64_e32 v[176:177], v[178:179], v[192:193]
	v_div_scale_f64 v[178:179], s[18:19], v[176:177], v[176:177], 1.0
	v_rcp_f64_e32 v[194:195], v[178:179]
	s_nop 0
	v_fma_f64 v[196:197], -v[178:179], v[194:195], 1.0
	v_fmac_f64_e32 v[194:195], v[194:195], v[196:197]
	v_fma_f64 v[196:197], -v[178:179], v[194:195], 1.0
	v_fmac_f64_e32 v[194:195], v[194:195], v[196:197]
	v_div_scale_f64 v[196:197], vcc, 1.0, v[176:177], 1.0
	v_mul_f64 v[198:199], v[196:197], v[194:195]
	v_fma_f64 v[178:179], -v[178:179], v[198:199], v[196:197]
	s_nop 1
	v_div_fmas_f64 v[178:179], v[178:179], v[194:195], v[198:199]
	v_div_fixup_f64 v[176:177], v[178:179], v[176:177], 1.0
	v_mul_f64 v[178:179], v[192:193], -v[176:177]
.LBB86_618:
	s_or_b64 exec, exec, s[16:17]
.LBB86_619:
	s_or_b64 exec, exec, s[0:1]
	v_cmp_ne_u32_e32 vcc, v189, v186
	s_and_saveexec_b64 s[0:1], vcc
	s_xor_b64 s[0:1], exec, s[0:1]
	s_cbranch_execz .LBB86_625
; %bb.620:
	v_cmp_eq_u32_e32 vcc, 29, v189
	s_and_saveexec_b64 s[16:17], vcc
	s_cbranch_execz .LBB86_624
; %bb.621:
	v_cmp_ne_u32_e32 vcc, 29, v186
	s_xor_b64 s[18:19], s[14:15], -1
	s_and_b64 s[22:23], s[18:19], vcc
	s_and_saveexec_b64 s[18:19], s[22:23]
	s_cbranch_execz .LBB86_623
; %bb.622:
	v_ashrrev_i32_e32 v187, 31, v186
	v_lshl_add_u64 v[192:193], v[186:187], 2, v[184:185]
	global_load_dword v187, v[192:193], off
	global_load_dword v189, v[184:185], off offset:116
	s_waitcnt vmcnt(1)
	global_store_dword v[184:185], v187, off offset:116
	s_waitcnt vmcnt(1)
	global_store_dword v[192:193], v189, off
.LBB86_623:
	s_or_b64 exec, exec, s[18:19]
	v_mov_b32_e32 v189, v186
	v_mov_b32_e32 v191, v186
.LBB86_624:
	s_or_b64 exec, exec, s[16:17]
.LBB86_625:
	s_andn2_saveexec_b64 s[0:1], s[0:1]
	s_cbranch_execz .LBB86_627
; %bb.626:
	v_mov_b32_e32 v189, 29
	s_waitcnt vmcnt(13)
	ds_write2_b64 v188, v[48:49], v[50:51] offset0:60 offset1:61
	s_waitcnt vmcnt(12)
	ds_write2_b64 v188, v[44:45], v[46:47] offset0:62 offset1:63
	;; [unrolled: 2-line block ×14, first 2 shown]
.LBB86_627:
	s_or_b64 exec, exec, s[0:1]
	v_cmp_lt_i32_e32 vcc, 29, v189
	s_waitcnt lgkmcnt(0)
	s_barrier
	s_and_saveexec_b64 s[0:1], vcc
	s_cbranch_execz .LBB86_629
; %bb.628:
	ds_read2_b64 v[192:195], v188 offset0:60 offset1:61
	v_mul_f64 v[186:187], v[176:177], v[54:55]
	v_mul_f64 v[54:55], v[178:179], v[54:55]
	v_fmac_f64_e32 v[186:187], v[178:179], v[52:53]
	v_fma_f64 v[52:53], v[176:177], v[52:53], -v[54:55]
	ds_read2_b64 v[176:179], v188 offset0:62 offset1:63
	s_waitcnt lgkmcnt(1)
	v_mul_f64 v[54:55], v[194:195], v[186:187]
	v_fma_f64 v[54:55], v[192:193], v[52:53], -v[54:55]
	v_mul_f64 v[192:193], v[192:193], v[186:187]
	v_fmac_f64_e32 v[192:193], v[194:195], v[52:53]
	s_waitcnt vmcnt(13)
	v_add_f64 v[48:49], v[48:49], -v[54:55]
	s_waitcnt lgkmcnt(0)
	v_mul_f64 v[54:55], v[178:179], v[186:187]
	v_add_f64 v[50:51], v[50:51], -v[192:193]
	v_fma_f64 v[54:55], v[176:177], v[52:53], -v[54:55]
	v_mul_f64 v[176:177], v[176:177], v[186:187]
	ds_read2_b64 v[192:195], v188 offset0:64 offset1:65
	v_fmac_f64_e32 v[176:177], v[178:179], v[52:53]
	s_waitcnt vmcnt(12)
	v_add_f64 v[46:47], v[46:47], -v[176:177]
	ds_read2_b64 v[176:179], v188 offset0:66 offset1:67
	v_add_f64 v[44:45], v[44:45], -v[54:55]
	s_waitcnt lgkmcnt(1)
	v_mul_f64 v[54:55], v[194:195], v[186:187]
	v_fma_f64 v[54:55], v[192:193], v[52:53], -v[54:55]
	v_mul_f64 v[192:193], v[192:193], v[186:187]
	v_fmac_f64_e32 v[192:193], v[194:195], v[52:53]
	s_waitcnt vmcnt(11)
	v_add_f64 v[40:41], v[40:41], -v[54:55]
	s_waitcnt lgkmcnt(0)
	v_mul_f64 v[54:55], v[178:179], v[186:187]
	v_add_f64 v[42:43], v[42:43], -v[192:193]
	v_fma_f64 v[54:55], v[176:177], v[52:53], -v[54:55]
	v_mul_f64 v[176:177], v[176:177], v[186:187]
	ds_read2_b64 v[192:195], v188 offset0:68 offset1:69
	v_fmac_f64_e32 v[176:177], v[178:179], v[52:53]
	s_waitcnt vmcnt(10)
	v_add_f64 v[38:39], v[38:39], -v[176:177]
	ds_read2_b64 v[176:179], v188 offset0:70 offset1:71
	v_add_f64 v[36:37], v[36:37], -v[54:55]
	;; [unrolled: 18-line block ×6, first 2 shown]
	s_waitcnt lgkmcnt(1)
	v_mul_f64 v[54:55], v[194:195], v[186:187]
	v_fma_f64 v[54:55], v[192:193], v[52:53], -v[54:55]
	s_waitcnt vmcnt(1)
	v_add_f64 v[0:1], v[0:1], -v[54:55]
	s_waitcnt lgkmcnt(0)
	v_mul_f64 v[54:55], v[178:179], v[186:187]
	v_mul_f64 v[192:193], v[192:193], v[186:187]
	v_fma_f64 v[54:55], v[176:177], v[52:53], -v[54:55]
	v_mul_f64 v[176:177], v[176:177], v[186:187]
	v_fmac_f64_e32 v[192:193], v[194:195], v[52:53]
	v_fmac_f64_e32 v[176:177], v[178:179], v[52:53]
	v_add_f64 v[2:3], v[2:3], -v[192:193]
	s_waitcnt vmcnt(0)
	v_add_f64 v[172:173], v[172:173], -v[54:55]
	v_add_f64 v[174:175], v[174:175], -v[176:177]
	v_mov_b64_e32 v[54:55], v[186:187]
.LBB86_629:
	s_or_b64 exec, exec, s[0:1]
	v_lshl_add_u32 v176, v189, 4, v188
	s_barrier
	s_waitcnt vmcnt(13)
	ds_write2_b64 v176, v[48:49], v[50:51] offset1:1
	s_waitcnt lgkmcnt(0)
	s_barrier
	ds_read2_b64 v[176:179], v188 offset0:60 offset1:61
	s_cmp_lt_i32 s20, 32
	v_mov_b32_e32 v186, 30
	s_cbranch_scc1 .LBB86_632
; %bb.630:
	v_add_u32_e32 v187, 0x1f0, v188
	s_mov_b32 s16, 31
	v_mov_b32_e32 v186, 30
.LBB86_631:                             ; =>This Inner Loop Header: Depth=1
	ds_read2_b64 v[192:195], v187 offset1:1
	s_waitcnt lgkmcnt(1)
	v_xor_b32_e32 v197, 0x80000000, v177
	v_xor_b32_e32 v199, 0x80000000, v179
	v_cmp_gt_f64_e32 vcc, 0, v[178:179]
	v_cmp_gt_f64_e64 s[0:1], 0, v[176:177]
	v_mov_b32_e32 v196, v176
	v_mov_b32_e32 v198, v178
	v_cndmask_b32_e64 v197, v177, v197, s[0:1]
	v_cndmask_b32_e32 v199, v179, v199, vcc
	v_add_f64 v[196:197], v[196:197], v[198:199]
	s_waitcnt lgkmcnt(0)
	v_xor_b32_e32 v199, 0x80000000, v193
	v_xor_b32_e32 v201, 0x80000000, v195
	v_cmp_gt_f64_e32 vcc, 0, v[194:195]
	v_cmp_gt_f64_e64 s[0:1], 0, v[192:193]
	v_mov_b32_e32 v198, v192
	v_mov_b32_e32 v200, v194
	v_cndmask_b32_e64 v199, v193, v199, s[0:1]
	v_cndmask_b32_e32 v201, v195, v201, vcc
	v_add_f64 v[198:199], v[198:199], v[200:201]
	v_mov_b32_e32 v202, s16
	s_add_i32 s16, s16, 1
	v_cmp_lt_f64_e32 vcc, v[196:197], v[198:199]
	v_add_u32_e32 v187, 16, v187
	s_cmp_lg_u32 s20, s16
	v_cndmask_b32_e32 v177, v177, v193, vcc
	v_cndmask_b32_e32 v176, v176, v192, vcc
	;; [unrolled: 1-line block ×5, first 2 shown]
	s_cbranch_scc1 .LBB86_631
.LBB86_632:
	s_waitcnt lgkmcnt(0)
	v_cmp_eq_f64_e32 vcc, 0, v[176:177]
	v_cmp_eq_f64_e64 s[0:1], 0, v[178:179]
	s_and_b64 s[0:1], vcc, s[0:1]
	s_and_saveexec_b64 s[16:17], s[0:1]
	s_xor_b64 s[0:1], exec, s[16:17]
; %bb.633:
	v_cmp_ne_u32_e32 vcc, 0, v190
	s_nop 1
	v_cndmask_b32_e32 v190, 31, v190, vcc
; %bb.634:
	s_andn2_saveexec_b64 s[0:1], s[0:1]
	s_cbranch_execz .LBB86_640
; %bb.635:
	v_cmp_ngt_f64_e64 s[16:17], |v[176:177]|, |v[178:179]|
	s_and_saveexec_b64 s[18:19], s[16:17]
	s_xor_b64 s[16:17], exec, s[18:19]
	s_cbranch_execz .LBB86_637
; %bb.636:
	v_div_scale_f64 v[192:193], s[18:19], v[178:179], v[178:179], v[176:177]
	v_rcp_f64_e32 v[194:195], v[192:193]
	v_div_scale_f64 v[196:197], vcc, v[176:177], v[178:179], v[176:177]
	v_fma_f64 v[198:199], -v[192:193], v[194:195], 1.0
	v_fmac_f64_e32 v[194:195], v[194:195], v[198:199]
	v_fma_f64 v[198:199], -v[192:193], v[194:195], 1.0
	v_fmac_f64_e32 v[194:195], v[194:195], v[198:199]
	v_mul_f64 v[198:199], v[196:197], v[194:195]
	v_fma_f64 v[192:193], -v[192:193], v[198:199], v[196:197]
	v_div_fmas_f64 v[192:193], v[192:193], v[194:195], v[198:199]
	v_div_fixup_f64 v[192:193], v[192:193], v[178:179], v[176:177]
	v_fmac_f64_e32 v[178:179], v[176:177], v[192:193]
	v_div_scale_f64 v[176:177], s[18:19], v[178:179], v[178:179], 1.0
	v_rcp_f64_e32 v[194:195], v[176:177]
	s_nop 0
	v_fma_f64 v[196:197], -v[176:177], v[194:195], 1.0
	v_fmac_f64_e32 v[194:195], v[194:195], v[196:197]
	v_fma_f64 v[196:197], -v[176:177], v[194:195], 1.0
	v_fmac_f64_e32 v[194:195], v[194:195], v[196:197]
	v_div_scale_f64 v[196:197], vcc, 1.0, v[178:179], 1.0
	v_mul_f64 v[198:199], v[196:197], v[194:195]
	v_fma_f64 v[176:177], -v[176:177], v[198:199], v[196:197]
	s_nop 1
	v_div_fmas_f64 v[176:177], v[176:177], v[194:195], v[198:199]
	v_div_fixup_f64 v[178:179], v[176:177], v[178:179], 1.0
	v_mul_f64 v[176:177], v[192:193], v[178:179]
	v_xor_b32_e32 v179, 0x80000000, v179
.LBB86_637:
	s_andn2_saveexec_b64 s[16:17], s[16:17]
	s_cbranch_execz .LBB86_639
; %bb.638:
	v_div_scale_f64 v[192:193], s[18:19], v[176:177], v[176:177], v[178:179]
	v_rcp_f64_e32 v[194:195], v[192:193]
	v_div_scale_f64 v[196:197], vcc, v[178:179], v[176:177], v[178:179]
	v_fma_f64 v[198:199], -v[192:193], v[194:195], 1.0
	v_fmac_f64_e32 v[194:195], v[194:195], v[198:199]
	v_fma_f64 v[198:199], -v[192:193], v[194:195], 1.0
	v_fmac_f64_e32 v[194:195], v[194:195], v[198:199]
	v_mul_f64 v[198:199], v[196:197], v[194:195]
	v_fma_f64 v[192:193], -v[192:193], v[198:199], v[196:197]
	v_div_fmas_f64 v[192:193], v[192:193], v[194:195], v[198:199]
	v_div_fixup_f64 v[192:193], v[192:193], v[176:177], v[178:179]
	v_fmac_f64_e32 v[176:177], v[178:179], v[192:193]
	v_div_scale_f64 v[178:179], s[18:19], v[176:177], v[176:177], 1.0
	v_rcp_f64_e32 v[194:195], v[178:179]
	s_nop 0
	v_fma_f64 v[196:197], -v[178:179], v[194:195], 1.0
	v_fmac_f64_e32 v[194:195], v[194:195], v[196:197]
	v_fma_f64 v[196:197], -v[178:179], v[194:195], 1.0
	v_fmac_f64_e32 v[194:195], v[194:195], v[196:197]
	v_div_scale_f64 v[196:197], vcc, 1.0, v[176:177], 1.0
	v_mul_f64 v[198:199], v[196:197], v[194:195]
	v_fma_f64 v[178:179], -v[178:179], v[198:199], v[196:197]
	s_nop 1
	v_div_fmas_f64 v[178:179], v[178:179], v[194:195], v[198:199]
	v_div_fixup_f64 v[176:177], v[178:179], v[176:177], 1.0
	v_mul_f64 v[178:179], v[192:193], -v[176:177]
.LBB86_639:
	s_or_b64 exec, exec, s[16:17]
.LBB86_640:
	s_or_b64 exec, exec, s[0:1]
	v_cmp_ne_u32_e32 vcc, v189, v186
	s_and_saveexec_b64 s[0:1], vcc
	s_xor_b64 s[0:1], exec, s[0:1]
	s_cbranch_execz .LBB86_646
; %bb.641:
	v_cmp_eq_u32_e32 vcc, 30, v189
	s_and_saveexec_b64 s[16:17], vcc
	s_cbranch_execz .LBB86_645
; %bb.642:
	v_cmp_ne_u32_e32 vcc, 30, v186
	s_xor_b64 s[18:19], s[14:15], -1
	s_and_b64 s[22:23], s[18:19], vcc
	s_and_saveexec_b64 s[18:19], s[22:23]
	s_cbranch_execz .LBB86_644
; %bb.643:
	v_ashrrev_i32_e32 v187, 31, v186
	v_lshl_add_u64 v[192:193], v[186:187], 2, v[184:185]
	global_load_dword v187, v[192:193], off
	global_load_dword v189, v[184:185], off offset:120
	s_waitcnt vmcnt(1)
	global_store_dword v[184:185], v187, off offset:120
	s_waitcnt vmcnt(1)
	global_store_dword v[192:193], v189, off
.LBB86_644:
	s_or_b64 exec, exec, s[18:19]
	v_mov_b32_e32 v189, v186
	v_mov_b32_e32 v191, v186
.LBB86_645:
	s_or_b64 exec, exec, s[16:17]
.LBB86_646:
	s_andn2_saveexec_b64 s[0:1], s[0:1]
	s_cbranch_execz .LBB86_648
; %bb.647:
	v_mov_b32_e32 v189, 30
	s_waitcnt vmcnt(12)
	ds_write2_b64 v188, v[44:45], v[46:47] offset0:62 offset1:63
	s_waitcnt vmcnt(11)
	ds_write2_b64 v188, v[40:41], v[42:43] offset0:64 offset1:65
	;; [unrolled: 2-line block ×13, first 2 shown]
.LBB86_648:
	s_or_b64 exec, exec, s[0:1]
	v_cmp_lt_i32_e32 vcc, 30, v189
	s_waitcnt lgkmcnt(0)
	s_barrier
	s_and_saveexec_b64 s[0:1], vcc
	s_cbranch_execz .LBB86_650
; %bb.649:
	ds_read2_b64 v[192:195], v188 offset0:62 offset1:63
	v_mul_f64 v[186:187], v[176:177], v[50:51]
	v_fmac_f64_e32 v[186:187], v[178:179], v[48:49]
	v_mul_f64 v[50:51], v[178:179], v[50:51]
	v_fma_f64 v[48:49], v[176:177], v[48:49], -v[50:51]
	ds_read2_b64 v[176:179], v188 offset0:64 offset1:65
	s_waitcnt lgkmcnt(1)
	v_mul_f64 v[50:51], v[194:195], v[186:187]
	v_fma_f64 v[50:51], v[192:193], v[48:49], -v[50:51]
	v_mul_f64 v[192:193], v[192:193], v[186:187]
	v_fmac_f64_e32 v[192:193], v[194:195], v[48:49]
	s_waitcnt vmcnt(12)
	v_add_f64 v[46:47], v[46:47], -v[192:193]
	ds_read2_b64 v[192:195], v188 offset0:66 offset1:67
	v_add_f64 v[44:45], v[44:45], -v[50:51]
	s_waitcnt lgkmcnt(1)
	v_mul_f64 v[50:51], v[178:179], v[186:187]
	v_fma_f64 v[50:51], v[176:177], v[48:49], -v[50:51]
	v_mul_f64 v[176:177], v[176:177], v[186:187]
	v_fmac_f64_e32 v[176:177], v[178:179], v[48:49]
	s_waitcnt vmcnt(11)
	v_add_f64 v[40:41], v[40:41], -v[50:51]
	v_add_f64 v[42:43], v[42:43], -v[176:177]
	ds_read2_b64 v[176:179], v188 offset0:68 offset1:69
	s_waitcnt lgkmcnt(1)
	v_mul_f64 v[50:51], v[194:195], v[186:187]
	v_fma_f64 v[50:51], v[192:193], v[48:49], -v[50:51]
	v_mul_f64 v[192:193], v[192:193], v[186:187]
	v_fmac_f64_e32 v[192:193], v[194:195], v[48:49]
	s_waitcnt vmcnt(10)
	v_add_f64 v[38:39], v[38:39], -v[192:193]
	ds_read2_b64 v[192:195], v188 offset0:70 offset1:71
	v_add_f64 v[36:37], v[36:37], -v[50:51]
	s_waitcnt lgkmcnt(1)
	v_mul_f64 v[50:51], v[178:179], v[186:187]
	v_fma_f64 v[50:51], v[176:177], v[48:49], -v[50:51]
	v_mul_f64 v[176:177], v[176:177], v[186:187]
	v_fmac_f64_e32 v[176:177], v[178:179], v[48:49]
	s_waitcnt vmcnt(9)
	v_add_f64 v[32:33], v[32:33], -v[50:51]
	v_add_f64 v[34:35], v[34:35], -v[176:177]
	;; [unrolled: 18-line block ×6, first 2 shown]
	s_waitcnt lgkmcnt(0)
	v_mul_f64 v[50:51], v[194:195], v[186:187]
	v_mul_f64 v[176:177], v[192:193], v[186:187]
	v_fma_f64 v[50:51], v[192:193], v[48:49], -v[50:51]
	v_fmac_f64_e32 v[176:177], v[194:195], v[48:49]
	s_waitcnt vmcnt(0)
	v_add_f64 v[172:173], v[172:173], -v[50:51]
	v_add_f64 v[174:175], v[174:175], -v[176:177]
	v_mov_b64_e32 v[50:51], v[186:187]
.LBB86_650:
	s_or_b64 exec, exec, s[0:1]
	v_lshl_add_u32 v176, v189, 4, v188
	s_barrier
	s_waitcnt vmcnt(12)
	ds_write2_b64 v176, v[44:45], v[46:47] offset1:1
	s_waitcnt lgkmcnt(0)
	s_barrier
	ds_read2_b64 v[176:179], v188 offset0:62 offset1:63
	s_cmp_lt_i32 s20, 33
	v_mov_b32_e32 v186, 31
	s_cbranch_scc1 .LBB86_653
; %bb.651:
	v_add_u32_e32 v187, 0x200, v188
	s_mov_b32 s16, 32
	v_mov_b32_e32 v186, 31
.LBB86_652:                             ; =>This Inner Loop Header: Depth=1
	ds_read2_b64 v[192:195], v187 offset1:1
	s_waitcnt lgkmcnt(1)
	v_xor_b32_e32 v197, 0x80000000, v177
	v_xor_b32_e32 v199, 0x80000000, v179
	v_cmp_gt_f64_e32 vcc, 0, v[178:179]
	v_cmp_gt_f64_e64 s[0:1], 0, v[176:177]
	v_mov_b32_e32 v196, v176
	v_mov_b32_e32 v198, v178
	v_cndmask_b32_e64 v197, v177, v197, s[0:1]
	v_cndmask_b32_e32 v199, v179, v199, vcc
	v_add_f64 v[196:197], v[196:197], v[198:199]
	s_waitcnt lgkmcnt(0)
	v_xor_b32_e32 v199, 0x80000000, v193
	v_xor_b32_e32 v201, 0x80000000, v195
	v_cmp_gt_f64_e32 vcc, 0, v[194:195]
	v_cmp_gt_f64_e64 s[0:1], 0, v[192:193]
	v_mov_b32_e32 v198, v192
	v_mov_b32_e32 v200, v194
	v_cndmask_b32_e64 v199, v193, v199, s[0:1]
	v_cndmask_b32_e32 v201, v195, v201, vcc
	v_add_f64 v[198:199], v[198:199], v[200:201]
	v_mov_b32_e32 v202, s16
	s_add_i32 s16, s16, 1
	v_cmp_lt_f64_e32 vcc, v[196:197], v[198:199]
	v_add_u32_e32 v187, 16, v187
	s_cmp_lg_u32 s20, s16
	v_cndmask_b32_e32 v177, v177, v193, vcc
	v_cndmask_b32_e32 v176, v176, v192, vcc
	;; [unrolled: 1-line block ×5, first 2 shown]
	s_cbranch_scc1 .LBB86_652
.LBB86_653:
	s_waitcnt lgkmcnt(0)
	v_cmp_eq_f64_e32 vcc, 0, v[176:177]
	v_cmp_eq_f64_e64 s[0:1], 0, v[178:179]
	s_and_b64 s[0:1], vcc, s[0:1]
	s_and_saveexec_b64 s[16:17], s[0:1]
	s_xor_b64 s[0:1], exec, s[16:17]
; %bb.654:
	v_cmp_ne_u32_e32 vcc, 0, v190
	s_nop 1
	v_cndmask_b32_e32 v190, 32, v190, vcc
; %bb.655:
	s_andn2_saveexec_b64 s[0:1], s[0:1]
	s_cbranch_execz .LBB86_661
; %bb.656:
	v_cmp_ngt_f64_e64 s[16:17], |v[176:177]|, |v[178:179]|
	s_and_saveexec_b64 s[18:19], s[16:17]
	s_xor_b64 s[16:17], exec, s[18:19]
	s_cbranch_execz .LBB86_658
; %bb.657:
	v_div_scale_f64 v[192:193], s[18:19], v[178:179], v[178:179], v[176:177]
	v_rcp_f64_e32 v[194:195], v[192:193]
	v_div_scale_f64 v[196:197], vcc, v[176:177], v[178:179], v[176:177]
	v_fma_f64 v[198:199], -v[192:193], v[194:195], 1.0
	v_fmac_f64_e32 v[194:195], v[194:195], v[198:199]
	v_fma_f64 v[198:199], -v[192:193], v[194:195], 1.0
	v_fmac_f64_e32 v[194:195], v[194:195], v[198:199]
	v_mul_f64 v[198:199], v[196:197], v[194:195]
	v_fma_f64 v[192:193], -v[192:193], v[198:199], v[196:197]
	v_div_fmas_f64 v[192:193], v[192:193], v[194:195], v[198:199]
	v_div_fixup_f64 v[192:193], v[192:193], v[178:179], v[176:177]
	v_fmac_f64_e32 v[178:179], v[176:177], v[192:193]
	v_div_scale_f64 v[176:177], s[18:19], v[178:179], v[178:179], 1.0
	v_rcp_f64_e32 v[194:195], v[176:177]
	s_nop 0
	v_fma_f64 v[196:197], -v[176:177], v[194:195], 1.0
	v_fmac_f64_e32 v[194:195], v[194:195], v[196:197]
	v_fma_f64 v[196:197], -v[176:177], v[194:195], 1.0
	v_fmac_f64_e32 v[194:195], v[194:195], v[196:197]
	v_div_scale_f64 v[196:197], vcc, 1.0, v[178:179], 1.0
	v_mul_f64 v[198:199], v[196:197], v[194:195]
	v_fma_f64 v[176:177], -v[176:177], v[198:199], v[196:197]
	s_nop 1
	v_div_fmas_f64 v[176:177], v[176:177], v[194:195], v[198:199]
	v_div_fixup_f64 v[178:179], v[176:177], v[178:179], 1.0
	v_mul_f64 v[176:177], v[192:193], v[178:179]
	v_xor_b32_e32 v179, 0x80000000, v179
.LBB86_658:
	s_andn2_saveexec_b64 s[16:17], s[16:17]
	s_cbranch_execz .LBB86_660
; %bb.659:
	v_div_scale_f64 v[192:193], s[18:19], v[176:177], v[176:177], v[178:179]
	v_rcp_f64_e32 v[194:195], v[192:193]
	v_div_scale_f64 v[196:197], vcc, v[178:179], v[176:177], v[178:179]
	v_fma_f64 v[198:199], -v[192:193], v[194:195], 1.0
	v_fmac_f64_e32 v[194:195], v[194:195], v[198:199]
	v_fma_f64 v[198:199], -v[192:193], v[194:195], 1.0
	v_fmac_f64_e32 v[194:195], v[194:195], v[198:199]
	v_mul_f64 v[198:199], v[196:197], v[194:195]
	v_fma_f64 v[192:193], -v[192:193], v[198:199], v[196:197]
	v_div_fmas_f64 v[192:193], v[192:193], v[194:195], v[198:199]
	v_div_fixup_f64 v[192:193], v[192:193], v[176:177], v[178:179]
	v_fmac_f64_e32 v[176:177], v[178:179], v[192:193]
	v_div_scale_f64 v[178:179], s[18:19], v[176:177], v[176:177], 1.0
	v_rcp_f64_e32 v[194:195], v[178:179]
	s_nop 0
	v_fma_f64 v[196:197], -v[178:179], v[194:195], 1.0
	v_fmac_f64_e32 v[194:195], v[194:195], v[196:197]
	v_fma_f64 v[196:197], -v[178:179], v[194:195], 1.0
	v_fmac_f64_e32 v[194:195], v[194:195], v[196:197]
	v_div_scale_f64 v[196:197], vcc, 1.0, v[176:177], 1.0
	v_mul_f64 v[198:199], v[196:197], v[194:195]
	v_fma_f64 v[178:179], -v[178:179], v[198:199], v[196:197]
	s_nop 1
	v_div_fmas_f64 v[178:179], v[178:179], v[194:195], v[198:199]
	v_div_fixup_f64 v[176:177], v[178:179], v[176:177], 1.0
	v_mul_f64 v[178:179], v[192:193], -v[176:177]
.LBB86_660:
	s_or_b64 exec, exec, s[16:17]
.LBB86_661:
	s_or_b64 exec, exec, s[0:1]
	v_cmp_ne_u32_e32 vcc, v189, v186
	s_and_saveexec_b64 s[0:1], vcc
	s_xor_b64 s[0:1], exec, s[0:1]
	s_cbranch_execz .LBB86_667
; %bb.662:
	v_cmp_eq_u32_e32 vcc, 31, v189
	s_and_saveexec_b64 s[16:17], vcc
	s_cbranch_execz .LBB86_666
; %bb.663:
	v_cmp_ne_u32_e32 vcc, 31, v186
	s_xor_b64 s[18:19], s[14:15], -1
	s_and_b64 s[22:23], s[18:19], vcc
	s_and_saveexec_b64 s[18:19], s[22:23]
	s_cbranch_execz .LBB86_665
; %bb.664:
	v_ashrrev_i32_e32 v187, 31, v186
	v_lshl_add_u64 v[192:193], v[186:187], 2, v[184:185]
	global_load_dword v187, v[192:193], off
	global_load_dword v189, v[184:185], off offset:124
	s_waitcnt vmcnt(1)
	global_store_dword v[184:185], v187, off offset:124
	s_waitcnt vmcnt(1)
	global_store_dword v[192:193], v189, off
.LBB86_665:
	s_or_b64 exec, exec, s[18:19]
	v_mov_b32_e32 v189, v186
	v_mov_b32_e32 v191, v186
.LBB86_666:
	s_or_b64 exec, exec, s[16:17]
.LBB86_667:
	s_andn2_saveexec_b64 s[0:1], s[0:1]
	s_cbranch_execz .LBB86_669
; %bb.668:
	v_mov_b32_e32 v189, 31
	s_waitcnt vmcnt(11)
	ds_write2_b64 v188, v[40:41], v[42:43] offset0:64 offset1:65
	s_waitcnt vmcnt(10)
	ds_write2_b64 v188, v[36:37], v[38:39] offset0:66 offset1:67
	;; [unrolled: 2-line block ×12, first 2 shown]
.LBB86_669:
	s_or_b64 exec, exec, s[0:1]
	v_cmp_lt_i32_e32 vcc, 31, v189
	s_waitcnt lgkmcnt(0)
	s_barrier
	s_and_saveexec_b64 s[0:1], vcc
	s_cbranch_execz .LBB86_671
; %bb.670:
	ds_read2_b64 v[192:195], v188 offset0:64 offset1:65
	v_mul_f64 v[186:187], v[176:177], v[46:47]
	v_mul_f64 v[46:47], v[178:179], v[46:47]
	v_fmac_f64_e32 v[186:187], v[178:179], v[44:45]
	v_fma_f64 v[44:45], v[176:177], v[44:45], -v[46:47]
	ds_read2_b64 v[176:179], v188 offset0:66 offset1:67
	s_waitcnt lgkmcnt(1)
	v_mul_f64 v[46:47], v[194:195], v[186:187]
	v_fma_f64 v[46:47], v[192:193], v[44:45], -v[46:47]
	v_mul_f64 v[192:193], v[192:193], v[186:187]
	v_fmac_f64_e32 v[192:193], v[194:195], v[44:45]
	s_waitcnt vmcnt(11)
	v_add_f64 v[40:41], v[40:41], -v[46:47]
	s_waitcnt lgkmcnt(0)
	v_mul_f64 v[46:47], v[178:179], v[186:187]
	v_add_f64 v[42:43], v[42:43], -v[192:193]
	v_fma_f64 v[46:47], v[176:177], v[44:45], -v[46:47]
	v_mul_f64 v[176:177], v[176:177], v[186:187]
	ds_read2_b64 v[192:195], v188 offset0:68 offset1:69
	v_fmac_f64_e32 v[176:177], v[178:179], v[44:45]
	s_waitcnt vmcnt(10)
	v_add_f64 v[38:39], v[38:39], -v[176:177]
	ds_read2_b64 v[176:179], v188 offset0:70 offset1:71
	v_add_f64 v[36:37], v[36:37], -v[46:47]
	s_waitcnt lgkmcnt(1)
	v_mul_f64 v[46:47], v[194:195], v[186:187]
	v_fma_f64 v[46:47], v[192:193], v[44:45], -v[46:47]
	v_mul_f64 v[192:193], v[192:193], v[186:187]
	v_fmac_f64_e32 v[192:193], v[194:195], v[44:45]
	s_waitcnt vmcnt(9)
	v_add_f64 v[32:33], v[32:33], -v[46:47]
	s_waitcnt lgkmcnt(0)
	v_mul_f64 v[46:47], v[178:179], v[186:187]
	v_add_f64 v[34:35], v[34:35], -v[192:193]
	v_fma_f64 v[46:47], v[176:177], v[44:45], -v[46:47]
	v_mul_f64 v[176:177], v[176:177], v[186:187]
	ds_read2_b64 v[192:195], v188 offset0:72 offset1:73
	v_fmac_f64_e32 v[176:177], v[178:179], v[44:45]
	s_waitcnt vmcnt(8)
	v_add_f64 v[30:31], v[30:31], -v[176:177]
	ds_read2_b64 v[176:179], v188 offset0:74 offset1:75
	v_add_f64 v[28:29], v[28:29], -v[46:47]
	;; [unrolled: 18-line block ×5, first 2 shown]
	s_waitcnt lgkmcnt(1)
	v_mul_f64 v[46:47], v[194:195], v[186:187]
	v_fma_f64 v[46:47], v[192:193], v[44:45], -v[46:47]
	s_waitcnt vmcnt(1)
	v_add_f64 v[0:1], v[0:1], -v[46:47]
	s_waitcnt lgkmcnt(0)
	v_mul_f64 v[46:47], v[178:179], v[186:187]
	v_mul_f64 v[192:193], v[192:193], v[186:187]
	v_fma_f64 v[46:47], v[176:177], v[44:45], -v[46:47]
	v_mul_f64 v[176:177], v[176:177], v[186:187]
	v_fmac_f64_e32 v[192:193], v[194:195], v[44:45]
	v_fmac_f64_e32 v[176:177], v[178:179], v[44:45]
	v_add_f64 v[2:3], v[2:3], -v[192:193]
	s_waitcnt vmcnt(0)
	v_add_f64 v[172:173], v[172:173], -v[46:47]
	v_add_f64 v[174:175], v[174:175], -v[176:177]
	v_mov_b64_e32 v[46:47], v[186:187]
.LBB86_671:
	s_or_b64 exec, exec, s[0:1]
	v_lshl_add_u32 v176, v189, 4, v188
	s_barrier
	s_waitcnt vmcnt(11)
	ds_write2_b64 v176, v[40:41], v[42:43] offset1:1
	s_waitcnt lgkmcnt(0)
	s_barrier
	ds_read2_b64 v[176:179], v188 offset0:64 offset1:65
	s_cmp_lt_i32 s20, 34
	v_mov_b32_e32 v186, 32
	s_cbranch_scc1 .LBB86_674
; %bb.672:
	v_add_u32_e32 v187, 0x210, v188
	s_mov_b32 s16, 33
	v_mov_b32_e32 v186, 32
.LBB86_673:                             ; =>This Inner Loop Header: Depth=1
	ds_read2_b64 v[192:195], v187 offset1:1
	s_waitcnt lgkmcnt(1)
	v_xor_b32_e32 v197, 0x80000000, v177
	v_xor_b32_e32 v199, 0x80000000, v179
	v_cmp_gt_f64_e32 vcc, 0, v[178:179]
	v_cmp_gt_f64_e64 s[0:1], 0, v[176:177]
	v_mov_b32_e32 v196, v176
	v_mov_b32_e32 v198, v178
	v_cndmask_b32_e64 v197, v177, v197, s[0:1]
	v_cndmask_b32_e32 v199, v179, v199, vcc
	v_add_f64 v[196:197], v[196:197], v[198:199]
	s_waitcnt lgkmcnt(0)
	v_xor_b32_e32 v199, 0x80000000, v193
	v_xor_b32_e32 v201, 0x80000000, v195
	v_cmp_gt_f64_e32 vcc, 0, v[194:195]
	v_cmp_gt_f64_e64 s[0:1], 0, v[192:193]
	v_mov_b32_e32 v198, v192
	v_mov_b32_e32 v200, v194
	v_cndmask_b32_e64 v199, v193, v199, s[0:1]
	v_cndmask_b32_e32 v201, v195, v201, vcc
	v_add_f64 v[198:199], v[198:199], v[200:201]
	v_mov_b32_e32 v202, s16
	s_add_i32 s16, s16, 1
	v_cmp_lt_f64_e32 vcc, v[196:197], v[198:199]
	v_add_u32_e32 v187, 16, v187
	s_cmp_lg_u32 s20, s16
	v_cndmask_b32_e32 v177, v177, v193, vcc
	v_cndmask_b32_e32 v176, v176, v192, vcc
	;; [unrolled: 1-line block ×5, first 2 shown]
	s_cbranch_scc1 .LBB86_673
.LBB86_674:
	s_waitcnt lgkmcnt(0)
	v_cmp_eq_f64_e32 vcc, 0, v[176:177]
	v_cmp_eq_f64_e64 s[0:1], 0, v[178:179]
	s_and_b64 s[0:1], vcc, s[0:1]
	s_and_saveexec_b64 s[16:17], s[0:1]
	s_xor_b64 s[0:1], exec, s[16:17]
; %bb.675:
	v_cmp_ne_u32_e32 vcc, 0, v190
	s_nop 1
	v_cndmask_b32_e32 v190, 33, v190, vcc
; %bb.676:
	s_andn2_saveexec_b64 s[0:1], s[0:1]
	s_cbranch_execz .LBB86_682
; %bb.677:
	v_cmp_ngt_f64_e64 s[16:17], |v[176:177]|, |v[178:179]|
	s_and_saveexec_b64 s[18:19], s[16:17]
	s_xor_b64 s[16:17], exec, s[18:19]
	s_cbranch_execz .LBB86_679
; %bb.678:
	v_div_scale_f64 v[192:193], s[18:19], v[178:179], v[178:179], v[176:177]
	v_rcp_f64_e32 v[194:195], v[192:193]
	v_div_scale_f64 v[196:197], vcc, v[176:177], v[178:179], v[176:177]
	v_fma_f64 v[198:199], -v[192:193], v[194:195], 1.0
	v_fmac_f64_e32 v[194:195], v[194:195], v[198:199]
	v_fma_f64 v[198:199], -v[192:193], v[194:195], 1.0
	v_fmac_f64_e32 v[194:195], v[194:195], v[198:199]
	v_mul_f64 v[198:199], v[196:197], v[194:195]
	v_fma_f64 v[192:193], -v[192:193], v[198:199], v[196:197]
	v_div_fmas_f64 v[192:193], v[192:193], v[194:195], v[198:199]
	v_div_fixup_f64 v[192:193], v[192:193], v[178:179], v[176:177]
	v_fmac_f64_e32 v[178:179], v[176:177], v[192:193]
	v_div_scale_f64 v[176:177], s[18:19], v[178:179], v[178:179], 1.0
	v_rcp_f64_e32 v[194:195], v[176:177]
	s_nop 0
	v_fma_f64 v[196:197], -v[176:177], v[194:195], 1.0
	v_fmac_f64_e32 v[194:195], v[194:195], v[196:197]
	v_fma_f64 v[196:197], -v[176:177], v[194:195], 1.0
	v_fmac_f64_e32 v[194:195], v[194:195], v[196:197]
	v_div_scale_f64 v[196:197], vcc, 1.0, v[178:179], 1.0
	v_mul_f64 v[198:199], v[196:197], v[194:195]
	v_fma_f64 v[176:177], -v[176:177], v[198:199], v[196:197]
	s_nop 1
	v_div_fmas_f64 v[176:177], v[176:177], v[194:195], v[198:199]
	v_div_fixup_f64 v[178:179], v[176:177], v[178:179], 1.0
	v_mul_f64 v[176:177], v[192:193], v[178:179]
	v_xor_b32_e32 v179, 0x80000000, v179
.LBB86_679:
	s_andn2_saveexec_b64 s[16:17], s[16:17]
	s_cbranch_execz .LBB86_681
; %bb.680:
	v_div_scale_f64 v[192:193], s[18:19], v[176:177], v[176:177], v[178:179]
	v_rcp_f64_e32 v[194:195], v[192:193]
	v_div_scale_f64 v[196:197], vcc, v[178:179], v[176:177], v[178:179]
	v_fma_f64 v[198:199], -v[192:193], v[194:195], 1.0
	v_fmac_f64_e32 v[194:195], v[194:195], v[198:199]
	v_fma_f64 v[198:199], -v[192:193], v[194:195], 1.0
	v_fmac_f64_e32 v[194:195], v[194:195], v[198:199]
	v_mul_f64 v[198:199], v[196:197], v[194:195]
	v_fma_f64 v[192:193], -v[192:193], v[198:199], v[196:197]
	v_div_fmas_f64 v[192:193], v[192:193], v[194:195], v[198:199]
	v_div_fixup_f64 v[192:193], v[192:193], v[176:177], v[178:179]
	v_fmac_f64_e32 v[176:177], v[178:179], v[192:193]
	v_div_scale_f64 v[178:179], s[18:19], v[176:177], v[176:177], 1.0
	v_rcp_f64_e32 v[194:195], v[178:179]
	s_nop 0
	v_fma_f64 v[196:197], -v[178:179], v[194:195], 1.0
	v_fmac_f64_e32 v[194:195], v[194:195], v[196:197]
	v_fma_f64 v[196:197], -v[178:179], v[194:195], 1.0
	v_fmac_f64_e32 v[194:195], v[194:195], v[196:197]
	v_div_scale_f64 v[196:197], vcc, 1.0, v[176:177], 1.0
	v_mul_f64 v[198:199], v[196:197], v[194:195]
	v_fma_f64 v[178:179], -v[178:179], v[198:199], v[196:197]
	s_nop 1
	v_div_fmas_f64 v[178:179], v[178:179], v[194:195], v[198:199]
	v_div_fixup_f64 v[176:177], v[178:179], v[176:177], 1.0
	v_mul_f64 v[178:179], v[192:193], -v[176:177]
.LBB86_681:
	s_or_b64 exec, exec, s[16:17]
.LBB86_682:
	s_or_b64 exec, exec, s[0:1]
	v_cmp_ne_u32_e32 vcc, v189, v186
	s_and_saveexec_b64 s[0:1], vcc
	s_xor_b64 s[0:1], exec, s[0:1]
	s_cbranch_execz .LBB86_688
; %bb.683:
	v_cmp_eq_u32_e32 vcc, 32, v189
	s_and_saveexec_b64 s[16:17], vcc
	s_cbranch_execz .LBB86_687
; %bb.684:
	v_cmp_ne_u32_e32 vcc, 32, v186
	s_xor_b64 s[18:19], s[14:15], -1
	s_and_b64 s[22:23], s[18:19], vcc
	s_and_saveexec_b64 s[18:19], s[22:23]
	s_cbranch_execz .LBB86_686
; %bb.685:
	v_ashrrev_i32_e32 v187, 31, v186
	v_lshl_add_u64 v[192:193], v[186:187], 2, v[184:185]
	global_load_dword v187, v[192:193], off
	global_load_dword v189, v[184:185], off offset:128
	s_waitcnt vmcnt(1)
	global_store_dword v[184:185], v187, off offset:128
	s_waitcnt vmcnt(1)
	global_store_dword v[192:193], v189, off
.LBB86_686:
	s_or_b64 exec, exec, s[18:19]
	v_mov_b32_e32 v189, v186
	v_mov_b32_e32 v191, v186
.LBB86_687:
	s_or_b64 exec, exec, s[16:17]
.LBB86_688:
	s_andn2_saveexec_b64 s[0:1], s[0:1]
	s_cbranch_execz .LBB86_690
; %bb.689:
	v_mov_b32_e32 v189, 32
	s_waitcnt vmcnt(10)
	ds_write2_b64 v188, v[36:37], v[38:39] offset0:66 offset1:67
	s_waitcnt vmcnt(9)
	ds_write2_b64 v188, v[32:33], v[34:35] offset0:68 offset1:69
	;; [unrolled: 2-line block ×11, first 2 shown]
.LBB86_690:
	s_or_b64 exec, exec, s[0:1]
	v_cmp_lt_i32_e32 vcc, 32, v189
	s_waitcnt lgkmcnt(0)
	s_barrier
	s_and_saveexec_b64 s[0:1], vcc
	s_cbranch_execz .LBB86_692
; %bb.691:
	ds_read2_b64 v[192:195], v188 offset0:66 offset1:67
	v_mul_f64 v[186:187], v[176:177], v[42:43]
	v_fmac_f64_e32 v[186:187], v[178:179], v[40:41]
	v_mul_f64 v[42:43], v[178:179], v[42:43]
	v_fma_f64 v[40:41], v[176:177], v[40:41], -v[42:43]
	ds_read2_b64 v[176:179], v188 offset0:68 offset1:69
	s_waitcnt lgkmcnt(1)
	v_mul_f64 v[42:43], v[194:195], v[186:187]
	v_fma_f64 v[42:43], v[192:193], v[40:41], -v[42:43]
	v_mul_f64 v[192:193], v[192:193], v[186:187]
	v_fmac_f64_e32 v[192:193], v[194:195], v[40:41]
	s_waitcnt vmcnt(10)
	v_add_f64 v[38:39], v[38:39], -v[192:193]
	ds_read2_b64 v[192:195], v188 offset0:70 offset1:71
	v_add_f64 v[36:37], v[36:37], -v[42:43]
	s_waitcnt lgkmcnt(1)
	v_mul_f64 v[42:43], v[178:179], v[186:187]
	v_fma_f64 v[42:43], v[176:177], v[40:41], -v[42:43]
	v_mul_f64 v[176:177], v[176:177], v[186:187]
	v_fmac_f64_e32 v[176:177], v[178:179], v[40:41]
	s_waitcnt vmcnt(9)
	v_add_f64 v[32:33], v[32:33], -v[42:43]
	v_add_f64 v[34:35], v[34:35], -v[176:177]
	ds_read2_b64 v[176:179], v188 offset0:72 offset1:73
	s_waitcnt lgkmcnt(1)
	v_mul_f64 v[42:43], v[194:195], v[186:187]
	v_fma_f64 v[42:43], v[192:193], v[40:41], -v[42:43]
	v_mul_f64 v[192:193], v[192:193], v[186:187]
	v_fmac_f64_e32 v[192:193], v[194:195], v[40:41]
	s_waitcnt vmcnt(8)
	v_add_f64 v[30:31], v[30:31], -v[192:193]
	ds_read2_b64 v[192:195], v188 offset0:74 offset1:75
	v_add_f64 v[28:29], v[28:29], -v[42:43]
	s_waitcnt lgkmcnt(1)
	v_mul_f64 v[42:43], v[178:179], v[186:187]
	v_fma_f64 v[42:43], v[176:177], v[40:41], -v[42:43]
	v_mul_f64 v[176:177], v[176:177], v[186:187]
	v_fmac_f64_e32 v[176:177], v[178:179], v[40:41]
	s_waitcnt vmcnt(7)
	v_add_f64 v[24:25], v[24:25], -v[42:43]
	v_add_f64 v[26:27], v[26:27], -v[176:177]
	;; [unrolled: 18-line block ×5, first 2 shown]
	s_waitcnt lgkmcnt(0)
	v_mul_f64 v[42:43], v[194:195], v[186:187]
	v_mul_f64 v[176:177], v[192:193], v[186:187]
	v_fma_f64 v[42:43], v[192:193], v[40:41], -v[42:43]
	v_fmac_f64_e32 v[176:177], v[194:195], v[40:41]
	s_waitcnt vmcnt(0)
	v_add_f64 v[172:173], v[172:173], -v[42:43]
	v_add_f64 v[174:175], v[174:175], -v[176:177]
	v_mov_b64_e32 v[42:43], v[186:187]
.LBB86_692:
	s_or_b64 exec, exec, s[0:1]
	v_lshl_add_u32 v176, v189, 4, v188
	s_barrier
	s_waitcnt vmcnt(10)
	ds_write2_b64 v176, v[36:37], v[38:39] offset1:1
	s_waitcnt lgkmcnt(0)
	s_barrier
	ds_read2_b64 v[176:179], v188 offset0:66 offset1:67
	s_cmp_lt_i32 s20, 35
	v_mov_b32_e32 v186, 33
	s_cbranch_scc1 .LBB86_695
; %bb.693:
	v_add_u32_e32 v187, 0x220, v188
	s_mov_b32 s16, 34
	v_mov_b32_e32 v186, 33
.LBB86_694:                             ; =>This Inner Loop Header: Depth=1
	ds_read2_b64 v[192:195], v187 offset1:1
	s_waitcnt lgkmcnt(1)
	v_xor_b32_e32 v197, 0x80000000, v177
	v_xor_b32_e32 v199, 0x80000000, v179
	v_cmp_gt_f64_e32 vcc, 0, v[178:179]
	v_cmp_gt_f64_e64 s[0:1], 0, v[176:177]
	v_mov_b32_e32 v196, v176
	v_mov_b32_e32 v198, v178
	v_cndmask_b32_e64 v197, v177, v197, s[0:1]
	v_cndmask_b32_e32 v199, v179, v199, vcc
	v_add_f64 v[196:197], v[196:197], v[198:199]
	s_waitcnt lgkmcnt(0)
	v_xor_b32_e32 v199, 0x80000000, v193
	v_xor_b32_e32 v201, 0x80000000, v195
	v_cmp_gt_f64_e32 vcc, 0, v[194:195]
	v_cmp_gt_f64_e64 s[0:1], 0, v[192:193]
	v_mov_b32_e32 v198, v192
	v_mov_b32_e32 v200, v194
	v_cndmask_b32_e64 v199, v193, v199, s[0:1]
	v_cndmask_b32_e32 v201, v195, v201, vcc
	v_add_f64 v[198:199], v[198:199], v[200:201]
	v_mov_b32_e32 v202, s16
	s_add_i32 s16, s16, 1
	v_cmp_lt_f64_e32 vcc, v[196:197], v[198:199]
	v_add_u32_e32 v187, 16, v187
	s_cmp_lg_u32 s20, s16
	v_cndmask_b32_e32 v177, v177, v193, vcc
	v_cndmask_b32_e32 v176, v176, v192, vcc
	;; [unrolled: 1-line block ×5, first 2 shown]
	s_cbranch_scc1 .LBB86_694
.LBB86_695:
	s_waitcnt lgkmcnt(0)
	v_cmp_eq_f64_e32 vcc, 0, v[176:177]
	v_cmp_eq_f64_e64 s[0:1], 0, v[178:179]
	s_and_b64 s[0:1], vcc, s[0:1]
	s_and_saveexec_b64 s[16:17], s[0:1]
	s_xor_b64 s[0:1], exec, s[16:17]
; %bb.696:
	v_cmp_ne_u32_e32 vcc, 0, v190
	s_nop 1
	v_cndmask_b32_e32 v190, 34, v190, vcc
; %bb.697:
	s_andn2_saveexec_b64 s[0:1], s[0:1]
	s_cbranch_execz .LBB86_703
; %bb.698:
	v_cmp_ngt_f64_e64 s[16:17], |v[176:177]|, |v[178:179]|
	s_and_saveexec_b64 s[18:19], s[16:17]
	s_xor_b64 s[16:17], exec, s[18:19]
	s_cbranch_execz .LBB86_700
; %bb.699:
	v_div_scale_f64 v[192:193], s[18:19], v[178:179], v[178:179], v[176:177]
	v_rcp_f64_e32 v[194:195], v[192:193]
	v_div_scale_f64 v[196:197], vcc, v[176:177], v[178:179], v[176:177]
	v_fma_f64 v[198:199], -v[192:193], v[194:195], 1.0
	v_fmac_f64_e32 v[194:195], v[194:195], v[198:199]
	v_fma_f64 v[198:199], -v[192:193], v[194:195], 1.0
	v_fmac_f64_e32 v[194:195], v[194:195], v[198:199]
	v_mul_f64 v[198:199], v[196:197], v[194:195]
	v_fma_f64 v[192:193], -v[192:193], v[198:199], v[196:197]
	v_div_fmas_f64 v[192:193], v[192:193], v[194:195], v[198:199]
	v_div_fixup_f64 v[192:193], v[192:193], v[178:179], v[176:177]
	v_fmac_f64_e32 v[178:179], v[176:177], v[192:193]
	v_div_scale_f64 v[176:177], s[18:19], v[178:179], v[178:179], 1.0
	v_rcp_f64_e32 v[194:195], v[176:177]
	s_nop 0
	v_fma_f64 v[196:197], -v[176:177], v[194:195], 1.0
	v_fmac_f64_e32 v[194:195], v[194:195], v[196:197]
	v_fma_f64 v[196:197], -v[176:177], v[194:195], 1.0
	v_fmac_f64_e32 v[194:195], v[194:195], v[196:197]
	v_div_scale_f64 v[196:197], vcc, 1.0, v[178:179], 1.0
	v_mul_f64 v[198:199], v[196:197], v[194:195]
	v_fma_f64 v[176:177], -v[176:177], v[198:199], v[196:197]
	s_nop 1
	v_div_fmas_f64 v[176:177], v[176:177], v[194:195], v[198:199]
	v_div_fixup_f64 v[178:179], v[176:177], v[178:179], 1.0
	v_mul_f64 v[176:177], v[192:193], v[178:179]
	v_xor_b32_e32 v179, 0x80000000, v179
.LBB86_700:
	s_andn2_saveexec_b64 s[16:17], s[16:17]
	s_cbranch_execz .LBB86_702
; %bb.701:
	v_div_scale_f64 v[192:193], s[18:19], v[176:177], v[176:177], v[178:179]
	v_rcp_f64_e32 v[194:195], v[192:193]
	v_div_scale_f64 v[196:197], vcc, v[178:179], v[176:177], v[178:179]
	v_fma_f64 v[198:199], -v[192:193], v[194:195], 1.0
	v_fmac_f64_e32 v[194:195], v[194:195], v[198:199]
	v_fma_f64 v[198:199], -v[192:193], v[194:195], 1.0
	v_fmac_f64_e32 v[194:195], v[194:195], v[198:199]
	v_mul_f64 v[198:199], v[196:197], v[194:195]
	v_fma_f64 v[192:193], -v[192:193], v[198:199], v[196:197]
	v_div_fmas_f64 v[192:193], v[192:193], v[194:195], v[198:199]
	v_div_fixup_f64 v[192:193], v[192:193], v[176:177], v[178:179]
	v_fmac_f64_e32 v[176:177], v[178:179], v[192:193]
	v_div_scale_f64 v[178:179], s[18:19], v[176:177], v[176:177], 1.0
	v_rcp_f64_e32 v[194:195], v[178:179]
	s_nop 0
	v_fma_f64 v[196:197], -v[178:179], v[194:195], 1.0
	v_fmac_f64_e32 v[194:195], v[194:195], v[196:197]
	v_fma_f64 v[196:197], -v[178:179], v[194:195], 1.0
	v_fmac_f64_e32 v[194:195], v[194:195], v[196:197]
	v_div_scale_f64 v[196:197], vcc, 1.0, v[176:177], 1.0
	v_mul_f64 v[198:199], v[196:197], v[194:195]
	v_fma_f64 v[178:179], -v[178:179], v[198:199], v[196:197]
	s_nop 1
	v_div_fmas_f64 v[178:179], v[178:179], v[194:195], v[198:199]
	v_div_fixup_f64 v[176:177], v[178:179], v[176:177], 1.0
	v_mul_f64 v[178:179], v[192:193], -v[176:177]
.LBB86_702:
	s_or_b64 exec, exec, s[16:17]
.LBB86_703:
	s_or_b64 exec, exec, s[0:1]
	v_cmp_ne_u32_e32 vcc, v189, v186
	s_and_saveexec_b64 s[0:1], vcc
	s_xor_b64 s[0:1], exec, s[0:1]
	s_cbranch_execz .LBB86_709
; %bb.704:
	v_cmp_eq_u32_e32 vcc, 33, v189
	s_and_saveexec_b64 s[16:17], vcc
	s_cbranch_execz .LBB86_708
; %bb.705:
	v_cmp_ne_u32_e32 vcc, 33, v186
	s_xor_b64 s[18:19], s[14:15], -1
	s_and_b64 s[22:23], s[18:19], vcc
	s_and_saveexec_b64 s[18:19], s[22:23]
	s_cbranch_execz .LBB86_707
; %bb.706:
	v_ashrrev_i32_e32 v187, 31, v186
	v_lshl_add_u64 v[192:193], v[186:187], 2, v[184:185]
	global_load_dword v187, v[192:193], off
	global_load_dword v189, v[184:185], off offset:132
	s_waitcnt vmcnt(1)
	global_store_dword v[184:185], v187, off offset:132
	s_waitcnt vmcnt(1)
	global_store_dword v[192:193], v189, off
.LBB86_707:
	s_or_b64 exec, exec, s[18:19]
	v_mov_b32_e32 v189, v186
	v_mov_b32_e32 v191, v186
.LBB86_708:
	s_or_b64 exec, exec, s[16:17]
.LBB86_709:
	s_andn2_saveexec_b64 s[0:1], s[0:1]
	s_cbranch_execz .LBB86_711
; %bb.710:
	v_mov_b32_e32 v189, 33
	s_waitcnt vmcnt(9)
	ds_write2_b64 v188, v[32:33], v[34:35] offset0:68 offset1:69
	s_waitcnt vmcnt(8)
	ds_write2_b64 v188, v[28:29], v[30:31] offset0:70 offset1:71
	s_waitcnt vmcnt(7)
	ds_write2_b64 v188, v[24:25], v[26:27] offset0:72 offset1:73
	s_waitcnt vmcnt(6)
	ds_write2_b64 v188, v[20:21], v[22:23] offset0:74 offset1:75
	s_waitcnt vmcnt(5)
	ds_write2_b64 v188, v[16:17], v[18:19] offset0:76 offset1:77
	s_waitcnt vmcnt(4)
	ds_write2_b64 v188, v[12:13], v[14:15] offset0:78 offset1:79
	s_waitcnt vmcnt(3)
	ds_write2_b64 v188, v[8:9], v[10:11] offset0:80 offset1:81
	s_waitcnt vmcnt(2)
	ds_write2_b64 v188, v[4:5], v[6:7] offset0:82 offset1:83
	s_waitcnt vmcnt(1)
	ds_write2_b64 v188, v[0:1], v[2:3] offset0:84 offset1:85
	s_waitcnt vmcnt(0)
	ds_write2_b64 v188, v[172:173], v[174:175] offset0:86 offset1:87
.LBB86_711:
	s_or_b64 exec, exec, s[0:1]
	v_cmp_lt_i32_e32 vcc, 33, v189
	s_waitcnt lgkmcnt(0)
	s_barrier
	s_and_saveexec_b64 s[0:1], vcc
	s_cbranch_execz .LBB86_713
; %bb.712:
	ds_read2_b64 v[192:195], v188 offset0:68 offset1:69
	v_mul_f64 v[186:187], v[176:177], v[38:39]
	v_mul_f64 v[38:39], v[178:179], v[38:39]
	v_fmac_f64_e32 v[186:187], v[178:179], v[36:37]
	v_fma_f64 v[36:37], v[176:177], v[36:37], -v[38:39]
	ds_read2_b64 v[176:179], v188 offset0:70 offset1:71
	s_waitcnt lgkmcnt(1)
	v_mul_f64 v[38:39], v[194:195], v[186:187]
	v_fma_f64 v[38:39], v[192:193], v[36:37], -v[38:39]
	v_mul_f64 v[192:193], v[192:193], v[186:187]
	v_fmac_f64_e32 v[192:193], v[194:195], v[36:37]
	s_waitcnt vmcnt(9)
	v_add_f64 v[32:33], v[32:33], -v[38:39]
	s_waitcnt lgkmcnt(0)
	v_mul_f64 v[38:39], v[178:179], v[186:187]
	v_add_f64 v[34:35], v[34:35], -v[192:193]
	v_fma_f64 v[38:39], v[176:177], v[36:37], -v[38:39]
	v_mul_f64 v[176:177], v[176:177], v[186:187]
	ds_read2_b64 v[192:195], v188 offset0:72 offset1:73
	v_fmac_f64_e32 v[176:177], v[178:179], v[36:37]
	s_waitcnt vmcnt(8)
	v_add_f64 v[30:31], v[30:31], -v[176:177]
	ds_read2_b64 v[176:179], v188 offset0:74 offset1:75
	v_add_f64 v[28:29], v[28:29], -v[38:39]
	s_waitcnt lgkmcnt(1)
	v_mul_f64 v[38:39], v[194:195], v[186:187]
	v_fma_f64 v[38:39], v[192:193], v[36:37], -v[38:39]
	v_mul_f64 v[192:193], v[192:193], v[186:187]
	v_fmac_f64_e32 v[192:193], v[194:195], v[36:37]
	s_waitcnt vmcnt(7)
	v_add_f64 v[24:25], v[24:25], -v[38:39]
	s_waitcnt lgkmcnt(0)
	v_mul_f64 v[38:39], v[178:179], v[186:187]
	v_add_f64 v[26:27], v[26:27], -v[192:193]
	v_fma_f64 v[38:39], v[176:177], v[36:37], -v[38:39]
	v_mul_f64 v[176:177], v[176:177], v[186:187]
	ds_read2_b64 v[192:195], v188 offset0:76 offset1:77
	v_fmac_f64_e32 v[176:177], v[178:179], v[36:37]
	s_waitcnt vmcnt(6)
	v_add_f64 v[22:23], v[22:23], -v[176:177]
	ds_read2_b64 v[176:179], v188 offset0:78 offset1:79
	v_add_f64 v[20:21], v[20:21], -v[38:39]
	;; [unrolled: 18-line block ×4, first 2 shown]
	s_waitcnt lgkmcnt(1)
	v_mul_f64 v[38:39], v[194:195], v[186:187]
	v_fma_f64 v[38:39], v[192:193], v[36:37], -v[38:39]
	s_waitcnt vmcnt(1)
	v_add_f64 v[0:1], v[0:1], -v[38:39]
	s_waitcnt lgkmcnt(0)
	v_mul_f64 v[38:39], v[178:179], v[186:187]
	v_mul_f64 v[192:193], v[192:193], v[186:187]
	v_fma_f64 v[38:39], v[176:177], v[36:37], -v[38:39]
	v_mul_f64 v[176:177], v[176:177], v[186:187]
	v_fmac_f64_e32 v[192:193], v[194:195], v[36:37]
	v_fmac_f64_e32 v[176:177], v[178:179], v[36:37]
	v_add_f64 v[2:3], v[2:3], -v[192:193]
	s_waitcnt vmcnt(0)
	v_add_f64 v[172:173], v[172:173], -v[38:39]
	v_add_f64 v[174:175], v[174:175], -v[176:177]
	v_mov_b64_e32 v[38:39], v[186:187]
.LBB86_713:
	s_or_b64 exec, exec, s[0:1]
	v_lshl_add_u32 v176, v189, 4, v188
	s_barrier
	s_waitcnt vmcnt(9)
	ds_write2_b64 v176, v[32:33], v[34:35] offset1:1
	s_waitcnt lgkmcnt(0)
	s_barrier
	ds_read2_b64 v[176:179], v188 offset0:68 offset1:69
	s_cmp_lt_i32 s20, 36
	v_mov_b32_e32 v186, 34
	s_cbranch_scc1 .LBB86_716
; %bb.714:
	v_add_u32_e32 v187, 0x230, v188
	s_mov_b32 s16, 35
	v_mov_b32_e32 v186, 34
.LBB86_715:                             ; =>This Inner Loop Header: Depth=1
	ds_read2_b64 v[192:195], v187 offset1:1
	s_waitcnt lgkmcnt(1)
	v_xor_b32_e32 v197, 0x80000000, v177
	v_xor_b32_e32 v199, 0x80000000, v179
	v_cmp_gt_f64_e32 vcc, 0, v[178:179]
	v_cmp_gt_f64_e64 s[0:1], 0, v[176:177]
	v_mov_b32_e32 v196, v176
	v_mov_b32_e32 v198, v178
	v_cndmask_b32_e64 v197, v177, v197, s[0:1]
	v_cndmask_b32_e32 v199, v179, v199, vcc
	v_add_f64 v[196:197], v[196:197], v[198:199]
	s_waitcnt lgkmcnt(0)
	v_xor_b32_e32 v199, 0x80000000, v193
	v_xor_b32_e32 v201, 0x80000000, v195
	v_cmp_gt_f64_e32 vcc, 0, v[194:195]
	v_cmp_gt_f64_e64 s[0:1], 0, v[192:193]
	v_mov_b32_e32 v198, v192
	v_mov_b32_e32 v200, v194
	v_cndmask_b32_e64 v199, v193, v199, s[0:1]
	v_cndmask_b32_e32 v201, v195, v201, vcc
	v_add_f64 v[198:199], v[198:199], v[200:201]
	v_mov_b32_e32 v202, s16
	s_add_i32 s16, s16, 1
	v_cmp_lt_f64_e32 vcc, v[196:197], v[198:199]
	v_add_u32_e32 v187, 16, v187
	s_cmp_lg_u32 s20, s16
	v_cndmask_b32_e32 v177, v177, v193, vcc
	v_cndmask_b32_e32 v176, v176, v192, vcc
	;; [unrolled: 1-line block ×5, first 2 shown]
	s_cbranch_scc1 .LBB86_715
.LBB86_716:
	s_waitcnt lgkmcnt(0)
	v_cmp_eq_f64_e32 vcc, 0, v[176:177]
	v_cmp_eq_f64_e64 s[0:1], 0, v[178:179]
	s_and_b64 s[0:1], vcc, s[0:1]
	s_and_saveexec_b64 s[16:17], s[0:1]
	s_xor_b64 s[0:1], exec, s[16:17]
; %bb.717:
	v_cmp_ne_u32_e32 vcc, 0, v190
	s_nop 1
	v_cndmask_b32_e32 v190, 35, v190, vcc
; %bb.718:
	s_andn2_saveexec_b64 s[0:1], s[0:1]
	s_cbranch_execz .LBB86_724
; %bb.719:
	v_cmp_ngt_f64_e64 s[16:17], |v[176:177]|, |v[178:179]|
	s_and_saveexec_b64 s[18:19], s[16:17]
	s_xor_b64 s[16:17], exec, s[18:19]
	s_cbranch_execz .LBB86_721
; %bb.720:
	v_div_scale_f64 v[192:193], s[18:19], v[178:179], v[178:179], v[176:177]
	v_rcp_f64_e32 v[194:195], v[192:193]
	v_div_scale_f64 v[196:197], vcc, v[176:177], v[178:179], v[176:177]
	v_fma_f64 v[198:199], -v[192:193], v[194:195], 1.0
	v_fmac_f64_e32 v[194:195], v[194:195], v[198:199]
	v_fma_f64 v[198:199], -v[192:193], v[194:195], 1.0
	v_fmac_f64_e32 v[194:195], v[194:195], v[198:199]
	v_mul_f64 v[198:199], v[196:197], v[194:195]
	v_fma_f64 v[192:193], -v[192:193], v[198:199], v[196:197]
	v_div_fmas_f64 v[192:193], v[192:193], v[194:195], v[198:199]
	v_div_fixup_f64 v[192:193], v[192:193], v[178:179], v[176:177]
	v_fmac_f64_e32 v[178:179], v[176:177], v[192:193]
	v_div_scale_f64 v[176:177], s[18:19], v[178:179], v[178:179], 1.0
	v_rcp_f64_e32 v[194:195], v[176:177]
	s_nop 0
	v_fma_f64 v[196:197], -v[176:177], v[194:195], 1.0
	v_fmac_f64_e32 v[194:195], v[194:195], v[196:197]
	v_fma_f64 v[196:197], -v[176:177], v[194:195], 1.0
	v_fmac_f64_e32 v[194:195], v[194:195], v[196:197]
	v_div_scale_f64 v[196:197], vcc, 1.0, v[178:179], 1.0
	v_mul_f64 v[198:199], v[196:197], v[194:195]
	v_fma_f64 v[176:177], -v[176:177], v[198:199], v[196:197]
	s_nop 1
	v_div_fmas_f64 v[176:177], v[176:177], v[194:195], v[198:199]
	v_div_fixup_f64 v[178:179], v[176:177], v[178:179], 1.0
	v_mul_f64 v[176:177], v[192:193], v[178:179]
	v_xor_b32_e32 v179, 0x80000000, v179
.LBB86_721:
	s_andn2_saveexec_b64 s[16:17], s[16:17]
	s_cbranch_execz .LBB86_723
; %bb.722:
	v_div_scale_f64 v[192:193], s[18:19], v[176:177], v[176:177], v[178:179]
	v_rcp_f64_e32 v[194:195], v[192:193]
	v_div_scale_f64 v[196:197], vcc, v[178:179], v[176:177], v[178:179]
	v_fma_f64 v[198:199], -v[192:193], v[194:195], 1.0
	v_fmac_f64_e32 v[194:195], v[194:195], v[198:199]
	v_fma_f64 v[198:199], -v[192:193], v[194:195], 1.0
	v_fmac_f64_e32 v[194:195], v[194:195], v[198:199]
	v_mul_f64 v[198:199], v[196:197], v[194:195]
	v_fma_f64 v[192:193], -v[192:193], v[198:199], v[196:197]
	v_div_fmas_f64 v[192:193], v[192:193], v[194:195], v[198:199]
	v_div_fixup_f64 v[192:193], v[192:193], v[176:177], v[178:179]
	v_fmac_f64_e32 v[176:177], v[178:179], v[192:193]
	v_div_scale_f64 v[178:179], s[18:19], v[176:177], v[176:177], 1.0
	v_rcp_f64_e32 v[194:195], v[178:179]
	s_nop 0
	v_fma_f64 v[196:197], -v[178:179], v[194:195], 1.0
	v_fmac_f64_e32 v[194:195], v[194:195], v[196:197]
	v_fma_f64 v[196:197], -v[178:179], v[194:195], 1.0
	v_fmac_f64_e32 v[194:195], v[194:195], v[196:197]
	v_div_scale_f64 v[196:197], vcc, 1.0, v[176:177], 1.0
	v_mul_f64 v[198:199], v[196:197], v[194:195]
	v_fma_f64 v[178:179], -v[178:179], v[198:199], v[196:197]
	s_nop 1
	v_div_fmas_f64 v[178:179], v[178:179], v[194:195], v[198:199]
	v_div_fixup_f64 v[176:177], v[178:179], v[176:177], 1.0
	v_mul_f64 v[178:179], v[192:193], -v[176:177]
.LBB86_723:
	s_or_b64 exec, exec, s[16:17]
.LBB86_724:
	s_or_b64 exec, exec, s[0:1]
	v_cmp_ne_u32_e32 vcc, v189, v186
	s_and_saveexec_b64 s[0:1], vcc
	s_xor_b64 s[0:1], exec, s[0:1]
	s_cbranch_execz .LBB86_730
; %bb.725:
	v_cmp_eq_u32_e32 vcc, 34, v189
	s_and_saveexec_b64 s[16:17], vcc
	s_cbranch_execz .LBB86_729
; %bb.726:
	v_cmp_ne_u32_e32 vcc, 34, v186
	s_xor_b64 s[18:19], s[14:15], -1
	s_and_b64 s[22:23], s[18:19], vcc
	s_and_saveexec_b64 s[18:19], s[22:23]
	s_cbranch_execz .LBB86_728
; %bb.727:
	v_ashrrev_i32_e32 v187, 31, v186
	v_lshl_add_u64 v[192:193], v[186:187], 2, v[184:185]
	global_load_dword v187, v[192:193], off
	global_load_dword v189, v[184:185], off offset:136
	s_waitcnt vmcnt(1)
	global_store_dword v[184:185], v187, off offset:136
	s_waitcnt vmcnt(1)
	global_store_dword v[192:193], v189, off
.LBB86_728:
	s_or_b64 exec, exec, s[18:19]
	v_mov_b32_e32 v189, v186
	v_mov_b32_e32 v191, v186
.LBB86_729:
	s_or_b64 exec, exec, s[16:17]
.LBB86_730:
	s_andn2_saveexec_b64 s[0:1], s[0:1]
	s_cbranch_execz .LBB86_732
; %bb.731:
	v_mov_b32_e32 v189, 34
	s_waitcnt vmcnt(8)
	ds_write2_b64 v188, v[28:29], v[30:31] offset0:70 offset1:71
	s_waitcnt vmcnt(7)
	ds_write2_b64 v188, v[24:25], v[26:27] offset0:72 offset1:73
	;; [unrolled: 2-line block ×9, first 2 shown]
.LBB86_732:
	s_or_b64 exec, exec, s[0:1]
	v_cmp_lt_i32_e32 vcc, 34, v189
	s_waitcnt lgkmcnt(0)
	s_barrier
	s_and_saveexec_b64 s[0:1], vcc
	s_cbranch_execz .LBB86_734
; %bb.733:
	ds_read2_b64 v[192:195], v188 offset0:70 offset1:71
	v_mul_f64 v[186:187], v[176:177], v[34:35]
	v_fmac_f64_e32 v[186:187], v[178:179], v[32:33]
	v_mul_f64 v[34:35], v[178:179], v[34:35]
	v_fma_f64 v[32:33], v[176:177], v[32:33], -v[34:35]
	ds_read2_b64 v[176:179], v188 offset0:72 offset1:73
	s_waitcnt lgkmcnt(1)
	v_mul_f64 v[34:35], v[194:195], v[186:187]
	v_fma_f64 v[34:35], v[192:193], v[32:33], -v[34:35]
	v_mul_f64 v[192:193], v[192:193], v[186:187]
	v_fmac_f64_e32 v[192:193], v[194:195], v[32:33]
	s_waitcnt vmcnt(8)
	v_add_f64 v[30:31], v[30:31], -v[192:193]
	ds_read2_b64 v[192:195], v188 offset0:74 offset1:75
	v_add_f64 v[28:29], v[28:29], -v[34:35]
	s_waitcnt lgkmcnt(1)
	v_mul_f64 v[34:35], v[178:179], v[186:187]
	v_fma_f64 v[34:35], v[176:177], v[32:33], -v[34:35]
	v_mul_f64 v[176:177], v[176:177], v[186:187]
	v_fmac_f64_e32 v[176:177], v[178:179], v[32:33]
	s_waitcnt vmcnt(7)
	v_add_f64 v[24:25], v[24:25], -v[34:35]
	v_add_f64 v[26:27], v[26:27], -v[176:177]
	ds_read2_b64 v[176:179], v188 offset0:76 offset1:77
	s_waitcnt lgkmcnt(1)
	v_mul_f64 v[34:35], v[194:195], v[186:187]
	v_fma_f64 v[34:35], v[192:193], v[32:33], -v[34:35]
	v_mul_f64 v[192:193], v[192:193], v[186:187]
	v_fmac_f64_e32 v[192:193], v[194:195], v[32:33]
	s_waitcnt vmcnt(6)
	v_add_f64 v[22:23], v[22:23], -v[192:193]
	ds_read2_b64 v[192:195], v188 offset0:78 offset1:79
	v_add_f64 v[20:21], v[20:21], -v[34:35]
	s_waitcnt lgkmcnt(1)
	v_mul_f64 v[34:35], v[178:179], v[186:187]
	v_fma_f64 v[34:35], v[176:177], v[32:33], -v[34:35]
	v_mul_f64 v[176:177], v[176:177], v[186:187]
	v_fmac_f64_e32 v[176:177], v[178:179], v[32:33]
	s_waitcnt vmcnt(5)
	v_add_f64 v[16:17], v[16:17], -v[34:35]
	v_add_f64 v[18:19], v[18:19], -v[176:177]
	;; [unrolled: 18-line block ×4, first 2 shown]
	s_waitcnt lgkmcnt(0)
	v_mul_f64 v[34:35], v[194:195], v[186:187]
	v_mul_f64 v[176:177], v[192:193], v[186:187]
	v_fma_f64 v[34:35], v[192:193], v[32:33], -v[34:35]
	v_fmac_f64_e32 v[176:177], v[194:195], v[32:33]
	s_waitcnt vmcnt(0)
	v_add_f64 v[172:173], v[172:173], -v[34:35]
	v_add_f64 v[174:175], v[174:175], -v[176:177]
	v_mov_b64_e32 v[34:35], v[186:187]
.LBB86_734:
	s_or_b64 exec, exec, s[0:1]
	v_lshl_add_u32 v176, v189, 4, v188
	s_barrier
	s_waitcnt vmcnt(8)
	ds_write2_b64 v176, v[28:29], v[30:31] offset1:1
	s_waitcnt lgkmcnt(0)
	s_barrier
	ds_read2_b64 v[176:179], v188 offset0:70 offset1:71
	s_cmp_lt_i32 s20, 37
	v_mov_b32_e32 v186, 35
	s_cbranch_scc1 .LBB86_737
; %bb.735:
	v_add_u32_e32 v187, 0x240, v188
	s_mov_b32 s16, 36
	v_mov_b32_e32 v186, 35
.LBB86_736:                             ; =>This Inner Loop Header: Depth=1
	ds_read2_b64 v[192:195], v187 offset1:1
	s_waitcnt lgkmcnt(1)
	v_xor_b32_e32 v197, 0x80000000, v177
	v_xor_b32_e32 v199, 0x80000000, v179
	v_cmp_gt_f64_e32 vcc, 0, v[178:179]
	v_cmp_gt_f64_e64 s[0:1], 0, v[176:177]
	v_mov_b32_e32 v196, v176
	v_mov_b32_e32 v198, v178
	v_cndmask_b32_e64 v197, v177, v197, s[0:1]
	v_cndmask_b32_e32 v199, v179, v199, vcc
	v_add_f64 v[196:197], v[196:197], v[198:199]
	s_waitcnt lgkmcnt(0)
	v_xor_b32_e32 v199, 0x80000000, v193
	v_xor_b32_e32 v201, 0x80000000, v195
	v_cmp_gt_f64_e32 vcc, 0, v[194:195]
	v_cmp_gt_f64_e64 s[0:1], 0, v[192:193]
	v_mov_b32_e32 v198, v192
	v_mov_b32_e32 v200, v194
	v_cndmask_b32_e64 v199, v193, v199, s[0:1]
	v_cndmask_b32_e32 v201, v195, v201, vcc
	v_add_f64 v[198:199], v[198:199], v[200:201]
	v_mov_b32_e32 v202, s16
	s_add_i32 s16, s16, 1
	v_cmp_lt_f64_e32 vcc, v[196:197], v[198:199]
	v_add_u32_e32 v187, 16, v187
	s_cmp_lg_u32 s20, s16
	v_cndmask_b32_e32 v177, v177, v193, vcc
	v_cndmask_b32_e32 v176, v176, v192, vcc
	;; [unrolled: 1-line block ×5, first 2 shown]
	s_cbranch_scc1 .LBB86_736
.LBB86_737:
	s_waitcnt lgkmcnt(0)
	v_cmp_eq_f64_e32 vcc, 0, v[176:177]
	v_cmp_eq_f64_e64 s[0:1], 0, v[178:179]
	s_and_b64 s[0:1], vcc, s[0:1]
	s_and_saveexec_b64 s[16:17], s[0:1]
	s_xor_b64 s[0:1], exec, s[16:17]
; %bb.738:
	v_cmp_ne_u32_e32 vcc, 0, v190
	s_nop 1
	v_cndmask_b32_e32 v190, 36, v190, vcc
; %bb.739:
	s_andn2_saveexec_b64 s[0:1], s[0:1]
	s_cbranch_execz .LBB86_745
; %bb.740:
	v_cmp_ngt_f64_e64 s[16:17], |v[176:177]|, |v[178:179]|
	s_and_saveexec_b64 s[18:19], s[16:17]
	s_xor_b64 s[16:17], exec, s[18:19]
	s_cbranch_execz .LBB86_742
; %bb.741:
	v_div_scale_f64 v[192:193], s[18:19], v[178:179], v[178:179], v[176:177]
	v_rcp_f64_e32 v[194:195], v[192:193]
	v_div_scale_f64 v[196:197], vcc, v[176:177], v[178:179], v[176:177]
	v_fma_f64 v[198:199], -v[192:193], v[194:195], 1.0
	v_fmac_f64_e32 v[194:195], v[194:195], v[198:199]
	v_fma_f64 v[198:199], -v[192:193], v[194:195], 1.0
	v_fmac_f64_e32 v[194:195], v[194:195], v[198:199]
	v_mul_f64 v[198:199], v[196:197], v[194:195]
	v_fma_f64 v[192:193], -v[192:193], v[198:199], v[196:197]
	v_div_fmas_f64 v[192:193], v[192:193], v[194:195], v[198:199]
	v_div_fixup_f64 v[192:193], v[192:193], v[178:179], v[176:177]
	v_fmac_f64_e32 v[178:179], v[176:177], v[192:193]
	v_div_scale_f64 v[176:177], s[18:19], v[178:179], v[178:179], 1.0
	v_rcp_f64_e32 v[194:195], v[176:177]
	s_nop 0
	v_fma_f64 v[196:197], -v[176:177], v[194:195], 1.0
	v_fmac_f64_e32 v[194:195], v[194:195], v[196:197]
	v_fma_f64 v[196:197], -v[176:177], v[194:195], 1.0
	v_fmac_f64_e32 v[194:195], v[194:195], v[196:197]
	v_div_scale_f64 v[196:197], vcc, 1.0, v[178:179], 1.0
	v_mul_f64 v[198:199], v[196:197], v[194:195]
	v_fma_f64 v[176:177], -v[176:177], v[198:199], v[196:197]
	s_nop 1
	v_div_fmas_f64 v[176:177], v[176:177], v[194:195], v[198:199]
	v_div_fixup_f64 v[178:179], v[176:177], v[178:179], 1.0
	v_mul_f64 v[176:177], v[192:193], v[178:179]
	v_xor_b32_e32 v179, 0x80000000, v179
.LBB86_742:
	s_andn2_saveexec_b64 s[16:17], s[16:17]
	s_cbranch_execz .LBB86_744
; %bb.743:
	v_div_scale_f64 v[192:193], s[18:19], v[176:177], v[176:177], v[178:179]
	v_rcp_f64_e32 v[194:195], v[192:193]
	v_div_scale_f64 v[196:197], vcc, v[178:179], v[176:177], v[178:179]
	v_fma_f64 v[198:199], -v[192:193], v[194:195], 1.0
	v_fmac_f64_e32 v[194:195], v[194:195], v[198:199]
	v_fma_f64 v[198:199], -v[192:193], v[194:195], 1.0
	v_fmac_f64_e32 v[194:195], v[194:195], v[198:199]
	v_mul_f64 v[198:199], v[196:197], v[194:195]
	v_fma_f64 v[192:193], -v[192:193], v[198:199], v[196:197]
	v_div_fmas_f64 v[192:193], v[192:193], v[194:195], v[198:199]
	v_div_fixup_f64 v[192:193], v[192:193], v[176:177], v[178:179]
	v_fmac_f64_e32 v[176:177], v[178:179], v[192:193]
	v_div_scale_f64 v[178:179], s[18:19], v[176:177], v[176:177], 1.0
	v_rcp_f64_e32 v[194:195], v[178:179]
	s_nop 0
	v_fma_f64 v[196:197], -v[178:179], v[194:195], 1.0
	v_fmac_f64_e32 v[194:195], v[194:195], v[196:197]
	v_fma_f64 v[196:197], -v[178:179], v[194:195], 1.0
	v_fmac_f64_e32 v[194:195], v[194:195], v[196:197]
	v_div_scale_f64 v[196:197], vcc, 1.0, v[176:177], 1.0
	v_mul_f64 v[198:199], v[196:197], v[194:195]
	v_fma_f64 v[178:179], -v[178:179], v[198:199], v[196:197]
	s_nop 1
	v_div_fmas_f64 v[178:179], v[178:179], v[194:195], v[198:199]
	v_div_fixup_f64 v[176:177], v[178:179], v[176:177], 1.0
	v_mul_f64 v[178:179], v[192:193], -v[176:177]
.LBB86_744:
	s_or_b64 exec, exec, s[16:17]
.LBB86_745:
	s_or_b64 exec, exec, s[0:1]
	v_cmp_ne_u32_e32 vcc, v189, v186
	s_and_saveexec_b64 s[0:1], vcc
	s_xor_b64 s[0:1], exec, s[0:1]
	s_cbranch_execz .LBB86_751
; %bb.746:
	v_cmp_eq_u32_e32 vcc, 35, v189
	s_and_saveexec_b64 s[16:17], vcc
	s_cbranch_execz .LBB86_750
; %bb.747:
	v_cmp_ne_u32_e32 vcc, 35, v186
	s_xor_b64 s[18:19], s[14:15], -1
	s_and_b64 s[22:23], s[18:19], vcc
	s_and_saveexec_b64 s[18:19], s[22:23]
	s_cbranch_execz .LBB86_749
; %bb.748:
	v_ashrrev_i32_e32 v187, 31, v186
	v_lshl_add_u64 v[192:193], v[186:187], 2, v[184:185]
	global_load_dword v187, v[192:193], off
	global_load_dword v189, v[184:185], off offset:140
	s_waitcnt vmcnt(1)
	global_store_dword v[184:185], v187, off offset:140
	s_waitcnt vmcnt(1)
	global_store_dword v[192:193], v189, off
.LBB86_749:
	s_or_b64 exec, exec, s[18:19]
	v_mov_b32_e32 v189, v186
	v_mov_b32_e32 v191, v186
.LBB86_750:
	s_or_b64 exec, exec, s[16:17]
.LBB86_751:
	s_andn2_saveexec_b64 s[0:1], s[0:1]
	s_cbranch_execz .LBB86_753
; %bb.752:
	v_mov_b32_e32 v189, 35
	s_waitcnt vmcnt(7)
	ds_write2_b64 v188, v[24:25], v[26:27] offset0:72 offset1:73
	s_waitcnt vmcnt(6)
	ds_write2_b64 v188, v[20:21], v[22:23] offset0:74 offset1:75
	;; [unrolled: 2-line block ×8, first 2 shown]
.LBB86_753:
	s_or_b64 exec, exec, s[0:1]
	v_cmp_lt_i32_e32 vcc, 35, v189
	s_waitcnt lgkmcnt(0)
	s_barrier
	s_and_saveexec_b64 s[0:1], vcc
	s_cbranch_execz .LBB86_755
; %bb.754:
	ds_read2_b64 v[192:195], v188 offset0:72 offset1:73
	v_mul_f64 v[186:187], v[176:177], v[30:31]
	v_mul_f64 v[30:31], v[178:179], v[30:31]
	v_fmac_f64_e32 v[186:187], v[178:179], v[28:29]
	v_fma_f64 v[28:29], v[176:177], v[28:29], -v[30:31]
	ds_read2_b64 v[176:179], v188 offset0:74 offset1:75
	s_waitcnt lgkmcnt(1)
	v_mul_f64 v[30:31], v[194:195], v[186:187]
	v_fma_f64 v[30:31], v[192:193], v[28:29], -v[30:31]
	v_mul_f64 v[192:193], v[192:193], v[186:187]
	v_fmac_f64_e32 v[192:193], v[194:195], v[28:29]
	s_waitcnt vmcnt(7)
	v_add_f64 v[24:25], v[24:25], -v[30:31]
	s_waitcnt lgkmcnt(0)
	v_mul_f64 v[30:31], v[178:179], v[186:187]
	v_add_f64 v[26:27], v[26:27], -v[192:193]
	v_fma_f64 v[30:31], v[176:177], v[28:29], -v[30:31]
	v_mul_f64 v[176:177], v[176:177], v[186:187]
	ds_read2_b64 v[192:195], v188 offset0:76 offset1:77
	v_fmac_f64_e32 v[176:177], v[178:179], v[28:29]
	s_waitcnt vmcnt(6)
	v_add_f64 v[22:23], v[22:23], -v[176:177]
	ds_read2_b64 v[176:179], v188 offset0:78 offset1:79
	v_add_f64 v[20:21], v[20:21], -v[30:31]
	s_waitcnt lgkmcnt(1)
	v_mul_f64 v[30:31], v[194:195], v[186:187]
	v_fma_f64 v[30:31], v[192:193], v[28:29], -v[30:31]
	v_mul_f64 v[192:193], v[192:193], v[186:187]
	v_fmac_f64_e32 v[192:193], v[194:195], v[28:29]
	s_waitcnt vmcnt(5)
	v_add_f64 v[16:17], v[16:17], -v[30:31]
	s_waitcnt lgkmcnt(0)
	v_mul_f64 v[30:31], v[178:179], v[186:187]
	v_add_f64 v[18:19], v[18:19], -v[192:193]
	v_fma_f64 v[30:31], v[176:177], v[28:29], -v[30:31]
	v_mul_f64 v[176:177], v[176:177], v[186:187]
	ds_read2_b64 v[192:195], v188 offset0:80 offset1:81
	v_fmac_f64_e32 v[176:177], v[178:179], v[28:29]
	s_waitcnt vmcnt(4)
	v_add_f64 v[14:15], v[14:15], -v[176:177]
	ds_read2_b64 v[176:179], v188 offset0:82 offset1:83
	v_add_f64 v[12:13], v[12:13], -v[30:31]
	;; [unrolled: 18-line block ×3, first 2 shown]
	s_waitcnt lgkmcnt(1)
	v_mul_f64 v[30:31], v[194:195], v[186:187]
	v_fma_f64 v[30:31], v[192:193], v[28:29], -v[30:31]
	s_waitcnt vmcnt(1)
	v_add_f64 v[0:1], v[0:1], -v[30:31]
	s_waitcnt lgkmcnt(0)
	v_mul_f64 v[30:31], v[178:179], v[186:187]
	v_mul_f64 v[192:193], v[192:193], v[186:187]
	v_fma_f64 v[30:31], v[176:177], v[28:29], -v[30:31]
	v_mul_f64 v[176:177], v[176:177], v[186:187]
	v_fmac_f64_e32 v[192:193], v[194:195], v[28:29]
	v_fmac_f64_e32 v[176:177], v[178:179], v[28:29]
	v_add_f64 v[2:3], v[2:3], -v[192:193]
	s_waitcnt vmcnt(0)
	v_add_f64 v[172:173], v[172:173], -v[30:31]
	v_add_f64 v[174:175], v[174:175], -v[176:177]
	v_mov_b64_e32 v[30:31], v[186:187]
.LBB86_755:
	s_or_b64 exec, exec, s[0:1]
	v_lshl_add_u32 v176, v189, 4, v188
	s_barrier
	s_waitcnt vmcnt(7)
	ds_write2_b64 v176, v[24:25], v[26:27] offset1:1
	s_waitcnt lgkmcnt(0)
	s_barrier
	ds_read2_b64 v[176:179], v188 offset0:72 offset1:73
	s_cmp_lt_i32 s20, 38
	v_mov_b32_e32 v186, 36
	s_cbranch_scc1 .LBB86_758
; %bb.756:
	v_add_u32_e32 v187, 0x250, v188
	s_mov_b32 s16, 37
	v_mov_b32_e32 v186, 36
.LBB86_757:                             ; =>This Inner Loop Header: Depth=1
	ds_read2_b64 v[192:195], v187 offset1:1
	s_waitcnt lgkmcnt(1)
	v_xor_b32_e32 v197, 0x80000000, v177
	v_xor_b32_e32 v199, 0x80000000, v179
	v_cmp_gt_f64_e32 vcc, 0, v[178:179]
	v_cmp_gt_f64_e64 s[0:1], 0, v[176:177]
	v_mov_b32_e32 v196, v176
	v_mov_b32_e32 v198, v178
	v_cndmask_b32_e64 v197, v177, v197, s[0:1]
	v_cndmask_b32_e32 v199, v179, v199, vcc
	v_add_f64 v[196:197], v[196:197], v[198:199]
	s_waitcnt lgkmcnt(0)
	v_xor_b32_e32 v199, 0x80000000, v193
	v_xor_b32_e32 v201, 0x80000000, v195
	v_cmp_gt_f64_e32 vcc, 0, v[194:195]
	v_cmp_gt_f64_e64 s[0:1], 0, v[192:193]
	v_mov_b32_e32 v198, v192
	v_mov_b32_e32 v200, v194
	v_cndmask_b32_e64 v199, v193, v199, s[0:1]
	v_cndmask_b32_e32 v201, v195, v201, vcc
	v_add_f64 v[198:199], v[198:199], v[200:201]
	v_mov_b32_e32 v202, s16
	s_add_i32 s16, s16, 1
	v_cmp_lt_f64_e32 vcc, v[196:197], v[198:199]
	v_add_u32_e32 v187, 16, v187
	s_cmp_lg_u32 s20, s16
	v_cndmask_b32_e32 v177, v177, v193, vcc
	v_cndmask_b32_e32 v176, v176, v192, vcc
	;; [unrolled: 1-line block ×5, first 2 shown]
	s_cbranch_scc1 .LBB86_757
.LBB86_758:
	s_waitcnt lgkmcnt(0)
	v_cmp_eq_f64_e32 vcc, 0, v[176:177]
	v_cmp_eq_f64_e64 s[0:1], 0, v[178:179]
	s_and_b64 s[0:1], vcc, s[0:1]
	s_and_saveexec_b64 s[16:17], s[0:1]
	s_xor_b64 s[0:1], exec, s[16:17]
; %bb.759:
	v_cmp_ne_u32_e32 vcc, 0, v190
	s_nop 1
	v_cndmask_b32_e32 v190, 37, v190, vcc
; %bb.760:
	s_andn2_saveexec_b64 s[0:1], s[0:1]
	s_cbranch_execz .LBB86_766
; %bb.761:
	v_cmp_ngt_f64_e64 s[16:17], |v[176:177]|, |v[178:179]|
	s_and_saveexec_b64 s[18:19], s[16:17]
	s_xor_b64 s[16:17], exec, s[18:19]
	s_cbranch_execz .LBB86_763
; %bb.762:
	v_div_scale_f64 v[192:193], s[18:19], v[178:179], v[178:179], v[176:177]
	v_rcp_f64_e32 v[194:195], v[192:193]
	v_div_scale_f64 v[196:197], vcc, v[176:177], v[178:179], v[176:177]
	v_fma_f64 v[198:199], -v[192:193], v[194:195], 1.0
	v_fmac_f64_e32 v[194:195], v[194:195], v[198:199]
	v_fma_f64 v[198:199], -v[192:193], v[194:195], 1.0
	v_fmac_f64_e32 v[194:195], v[194:195], v[198:199]
	v_mul_f64 v[198:199], v[196:197], v[194:195]
	v_fma_f64 v[192:193], -v[192:193], v[198:199], v[196:197]
	v_div_fmas_f64 v[192:193], v[192:193], v[194:195], v[198:199]
	v_div_fixup_f64 v[192:193], v[192:193], v[178:179], v[176:177]
	v_fmac_f64_e32 v[178:179], v[176:177], v[192:193]
	v_div_scale_f64 v[176:177], s[18:19], v[178:179], v[178:179], 1.0
	v_rcp_f64_e32 v[194:195], v[176:177]
	s_nop 0
	v_fma_f64 v[196:197], -v[176:177], v[194:195], 1.0
	v_fmac_f64_e32 v[194:195], v[194:195], v[196:197]
	v_fma_f64 v[196:197], -v[176:177], v[194:195], 1.0
	v_fmac_f64_e32 v[194:195], v[194:195], v[196:197]
	v_div_scale_f64 v[196:197], vcc, 1.0, v[178:179], 1.0
	v_mul_f64 v[198:199], v[196:197], v[194:195]
	v_fma_f64 v[176:177], -v[176:177], v[198:199], v[196:197]
	s_nop 1
	v_div_fmas_f64 v[176:177], v[176:177], v[194:195], v[198:199]
	v_div_fixup_f64 v[178:179], v[176:177], v[178:179], 1.0
	v_mul_f64 v[176:177], v[192:193], v[178:179]
	v_xor_b32_e32 v179, 0x80000000, v179
.LBB86_763:
	s_andn2_saveexec_b64 s[16:17], s[16:17]
	s_cbranch_execz .LBB86_765
; %bb.764:
	v_div_scale_f64 v[192:193], s[18:19], v[176:177], v[176:177], v[178:179]
	v_rcp_f64_e32 v[194:195], v[192:193]
	v_div_scale_f64 v[196:197], vcc, v[178:179], v[176:177], v[178:179]
	v_fma_f64 v[198:199], -v[192:193], v[194:195], 1.0
	v_fmac_f64_e32 v[194:195], v[194:195], v[198:199]
	v_fma_f64 v[198:199], -v[192:193], v[194:195], 1.0
	v_fmac_f64_e32 v[194:195], v[194:195], v[198:199]
	v_mul_f64 v[198:199], v[196:197], v[194:195]
	v_fma_f64 v[192:193], -v[192:193], v[198:199], v[196:197]
	v_div_fmas_f64 v[192:193], v[192:193], v[194:195], v[198:199]
	v_div_fixup_f64 v[192:193], v[192:193], v[176:177], v[178:179]
	v_fmac_f64_e32 v[176:177], v[178:179], v[192:193]
	v_div_scale_f64 v[178:179], s[18:19], v[176:177], v[176:177], 1.0
	v_rcp_f64_e32 v[194:195], v[178:179]
	s_nop 0
	v_fma_f64 v[196:197], -v[178:179], v[194:195], 1.0
	v_fmac_f64_e32 v[194:195], v[194:195], v[196:197]
	v_fma_f64 v[196:197], -v[178:179], v[194:195], 1.0
	v_fmac_f64_e32 v[194:195], v[194:195], v[196:197]
	v_div_scale_f64 v[196:197], vcc, 1.0, v[176:177], 1.0
	v_mul_f64 v[198:199], v[196:197], v[194:195]
	v_fma_f64 v[178:179], -v[178:179], v[198:199], v[196:197]
	s_nop 1
	v_div_fmas_f64 v[178:179], v[178:179], v[194:195], v[198:199]
	v_div_fixup_f64 v[176:177], v[178:179], v[176:177], 1.0
	v_mul_f64 v[178:179], v[192:193], -v[176:177]
.LBB86_765:
	s_or_b64 exec, exec, s[16:17]
.LBB86_766:
	s_or_b64 exec, exec, s[0:1]
	v_cmp_ne_u32_e32 vcc, v189, v186
	s_and_saveexec_b64 s[0:1], vcc
	s_xor_b64 s[0:1], exec, s[0:1]
	s_cbranch_execz .LBB86_772
; %bb.767:
	v_cmp_eq_u32_e32 vcc, 36, v189
	s_and_saveexec_b64 s[16:17], vcc
	s_cbranch_execz .LBB86_771
; %bb.768:
	v_cmp_ne_u32_e32 vcc, 36, v186
	s_xor_b64 s[18:19], s[14:15], -1
	s_and_b64 s[22:23], s[18:19], vcc
	s_and_saveexec_b64 s[18:19], s[22:23]
	s_cbranch_execz .LBB86_770
; %bb.769:
	v_ashrrev_i32_e32 v187, 31, v186
	v_lshl_add_u64 v[192:193], v[186:187], 2, v[184:185]
	global_load_dword v187, v[192:193], off
	global_load_dword v189, v[184:185], off offset:144
	s_waitcnt vmcnt(1)
	global_store_dword v[184:185], v187, off offset:144
	s_waitcnt vmcnt(1)
	global_store_dword v[192:193], v189, off
.LBB86_770:
	s_or_b64 exec, exec, s[18:19]
	v_mov_b32_e32 v189, v186
	v_mov_b32_e32 v191, v186
.LBB86_771:
	s_or_b64 exec, exec, s[16:17]
.LBB86_772:
	s_andn2_saveexec_b64 s[0:1], s[0:1]
	s_cbranch_execz .LBB86_774
; %bb.773:
	v_mov_b32_e32 v189, 36
	s_waitcnt vmcnt(6)
	ds_write2_b64 v188, v[20:21], v[22:23] offset0:74 offset1:75
	s_waitcnt vmcnt(5)
	ds_write2_b64 v188, v[16:17], v[18:19] offset0:76 offset1:77
	;; [unrolled: 2-line block ×7, first 2 shown]
.LBB86_774:
	s_or_b64 exec, exec, s[0:1]
	v_cmp_lt_i32_e32 vcc, 36, v189
	s_waitcnt lgkmcnt(0)
	s_barrier
	s_and_saveexec_b64 s[0:1], vcc
	s_cbranch_execz .LBB86_776
; %bb.775:
	ds_read2_b64 v[192:195], v188 offset0:74 offset1:75
	v_mul_f64 v[186:187], v[176:177], v[26:27]
	v_fmac_f64_e32 v[186:187], v[178:179], v[24:25]
	v_mul_f64 v[26:27], v[178:179], v[26:27]
	v_fma_f64 v[24:25], v[176:177], v[24:25], -v[26:27]
	ds_read2_b64 v[176:179], v188 offset0:76 offset1:77
	s_waitcnt lgkmcnt(1)
	v_mul_f64 v[26:27], v[194:195], v[186:187]
	v_fma_f64 v[26:27], v[192:193], v[24:25], -v[26:27]
	v_mul_f64 v[192:193], v[192:193], v[186:187]
	v_fmac_f64_e32 v[192:193], v[194:195], v[24:25]
	s_waitcnt vmcnt(6)
	v_add_f64 v[22:23], v[22:23], -v[192:193]
	ds_read2_b64 v[192:195], v188 offset0:78 offset1:79
	v_add_f64 v[20:21], v[20:21], -v[26:27]
	s_waitcnt lgkmcnt(1)
	v_mul_f64 v[26:27], v[178:179], v[186:187]
	v_fma_f64 v[26:27], v[176:177], v[24:25], -v[26:27]
	v_mul_f64 v[176:177], v[176:177], v[186:187]
	v_fmac_f64_e32 v[176:177], v[178:179], v[24:25]
	s_waitcnt vmcnt(5)
	v_add_f64 v[16:17], v[16:17], -v[26:27]
	v_add_f64 v[18:19], v[18:19], -v[176:177]
	ds_read2_b64 v[176:179], v188 offset0:80 offset1:81
	s_waitcnt lgkmcnt(1)
	v_mul_f64 v[26:27], v[194:195], v[186:187]
	v_fma_f64 v[26:27], v[192:193], v[24:25], -v[26:27]
	v_mul_f64 v[192:193], v[192:193], v[186:187]
	v_fmac_f64_e32 v[192:193], v[194:195], v[24:25]
	s_waitcnt vmcnt(4)
	v_add_f64 v[14:15], v[14:15], -v[192:193]
	ds_read2_b64 v[192:195], v188 offset0:82 offset1:83
	v_add_f64 v[12:13], v[12:13], -v[26:27]
	s_waitcnt lgkmcnt(1)
	v_mul_f64 v[26:27], v[178:179], v[186:187]
	v_fma_f64 v[26:27], v[176:177], v[24:25], -v[26:27]
	v_mul_f64 v[176:177], v[176:177], v[186:187]
	v_fmac_f64_e32 v[176:177], v[178:179], v[24:25]
	s_waitcnt vmcnt(3)
	v_add_f64 v[8:9], v[8:9], -v[26:27]
	v_add_f64 v[10:11], v[10:11], -v[176:177]
	ds_read2_b64 v[176:179], v188 offset0:84 offset1:85
	s_waitcnt lgkmcnt(1)
	v_mul_f64 v[26:27], v[194:195], v[186:187]
	v_fma_f64 v[26:27], v[192:193], v[24:25], -v[26:27]
	v_mul_f64 v[192:193], v[192:193], v[186:187]
	v_fmac_f64_e32 v[192:193], v[194:195], v[24:25]
	s_waitcnt vmcnt(2)
	v_add_f64 v[6:7], v[6:7], -v[192:193]
	ds_read2_b64 v[192:195], v188 offset0:86 offset1:87
	v_add_f64 v[4:5], v[4:5], -v[26:27]
	s_waitcnt lgkmcnt(1)
	v_mul_f64 v[26:27], v[178:179], v[186:187]
	v_fma_f64 v[26:27], v[176:177], v[24:25], -v[26:27]
	v_mul_f64 v[176:177], v[176:177], v[186:187]
	v_fmac_f64_e32 v[176:177], v[178:179], v[24:25]
	s_waitcnt vmcnt(1)
	v_add_f64 v[0:1], v[0:1], -v[26:27]
	v_add_f64 v[2:3], v[2:3], -v[176:177]
	s_waitcnt lgkmcnt(0)
	v_mul_f64 v[26:27], v[194:195], v[186:187]
	v_mul_f64 v[176:177], v[192:193], v[186:187]
	v_fma_f64 v[26:27], v[192:193], v[24:25], -v[26:27]
	v_fmac_f64_e32 v[176:177], v[194:195], v[24:25]
	s_waitcnt vmcnt(0)
	v_add_f64 v[172:173], v[172:173], -v[26:27]
	v_add_f64 v[174:175], v[174:175], -v[176:177]
	v_mov_b64_e32 v[26:27], v[186:187]
.LBB86_776:
	s_or_b64 exec, exec, s[0:1]
	v_lshl_add_u32 v176, v189, 4, v188
	s_barrier
	s_waitcnt vmcnt(6)
	ds_write2_b64 v176, v[20:21], v[22:23] offset1:1
	s_waitcnt lgkmcnt(0)
	s_barrier
	ds_read2_b64 v[176:179], v188 offset0:74 offset1:75
	s_cmp_lt_i32 s20, 39
	v_mov_b32_e32 v186, 37
	s_cbranch_scc1 .LBB86_779
; %bb.777:
	v_add_u32_e32 v187, 0x260, v188
	s_mov_b32 s16, 38
	v_mov_b32_e32 v186, 37
.LBB86_778:                             ; =>This Inner Loop Header: Depth=1
	ds_read2_b64 v[192:195], v187 offset1:1
	s_waitcnt lgkmcnt(1)
	v_xor_b32_e32 v197, 0x80000000, v177
	v_xor_b32_e32 v199, 0x80000000, v179
	v_cmp_gt_f64_e32 vcc, 0, v[178:179]
	v_cmp_gt_f64_e64 s[0:1], 0, v[176:177]
	v_mov_b32_e32 v196, v176
	v_mov_b32_e32 v198, v178
	v_cndmask_b32_e64 v197, v177, v197, s[0:1]
	v_cndmask_b32_e32 v199, v179, v199, vcc
	v_add_f64 v[196:197], v[196:197], v[198:199]
	s_waitcnt lgkmcnt(0)
	v_xor_b32_e32 v199, 0x80000000, v193
	v_xor_b32_e32 v201, 0x80000000, v195
	v_cmp_gt_f64_e32 vcc, 0, v[194:195]
	v_cmp_gt_f64_e64 s[0:1], 0, v[192:193]
	v_mov_b32_e32 v198, v192
	v_mov_b32_e32 v200, v194
	v_cndmask_b32_e64 v199, v193, v199, s[0:1]
	v_cndmask_b32_e32 v201, v195, v201, vcc
	v_add_f64 v[198:199], v[198:199], v[200:201]
	v_mov_b32_e32 v202, s16
	s_add_i32 s16, s16, 1
	v_cmp_lt_f64_e32 vcc, v[196:197], v[198:199]
	v_add_u32_e32 v187, 16, v187
	s_cmp_lg_u32 s20, s16
	v_cndmask_b32_e32 v177, v177, v193, vcc
	v_cndmask_b32_e32 v176, v176, v192, vcc
	;; [unrolled: 1-line block ×5, first 2 shown]
	s_cbranch_scc1 .LBB86_778
.LBB86_779:
	s_waitcnt lgkmcnt(0)
	v_cmp_eq_f64_e32 vcc, 0, v[176:177]
	v_cmp_eq_f64_e64 s[0:1], 0, v[178:179]
	s_and_b64 s[0:1], vcc, s[0:1]
	s_and_saveexec_b64 s[16:17], s[0:1]
	s_xor_b64 s[0:1], exec, s[16:17]
; %bb.780:
	v_cmp_ne_u32_e32 vcc, 0, v190
	s_nop 1
	v_cndmask_b32_e32 v190, 38, v190, vcc
; %bb.781:
	s_andn2_saveexec_b64 s[0:1], s[0:1]
	s_cbranch_execz .LBB86_787
; %bb.782:
	v_cmp_ngt_f64_e64 s[16:17], |v[176:177]|, |v[178:179]|
	s_and_saveexec_b64 s[18:19], s[16:17]
	s_xor_b64 s[16:17], exec, s[18:19]
	s_cbranch_execz .LBB86_784
; %bb.783:
	v_div_scale_f64 v[192:193], s[18:19], v[178:179], v[178:179], v[176:177]
	v_rcp_f64_e32 v[194:195], v[192:193]
	v_div_scale_f64 v[196:197], vcc, v[176:177], v[178:179], v[176:177]
	v_fma_f64 v[198:199], -v[192:193], v[194:195], 1.0
	v_fmac_f64_e32 v[194:195], v[194:195], v[198:199]
	v_fma_f64 v[198:199], -v[192:193], v[194:195], 1.0
	v_fmac_f64_e32 v[194:195], v[194:195], v[198:199]
	v_mul_f64 v[198:199], v[196:197], v[194:195]
	v_fma_f64 v[192:193], -v[192:193], v[198:199], v[196:197]
	v_div_fmas_f64 v[192:193], v[192:193], v[194:195], v[198:199]
	v_div_fixup_f64 v[192:193], v[192:193], v[178:179], v[176:177]
	v_fmac_f64_e32 v[178:179], v[176:177], v[192:193]
	v_div_scale_f64 v[176:177], s[18:19], v[178:179], v[178:179], 1.0
	v_rcp_f64_e32 v[194:195], v[176:177]
	s_nop 0
	v_fma_f64 v[196:197], -v[176:177], v[194:195], 1.0
	v_fmac_f64_e32 v[194:195], v[194:195], v[196:197]
	v_fma_f64 v[196:197], -v[176:177], v[194:195], 1.0
	v_fmac_f64_e32 v[194:195], v[194:195], v[196:197]
	v_div_scale_f64 v[196:197], vcc, 1.0, v[178:179], 1.0
	v_mul_f64 v[198:199], v[196:197], v[194:195]
	v_fma_f64 v[176:177], -v[176:177], v[198:199], v[196:197]
	s_nop 1
	v_div_fmas_f64 v[176:177], v[176:177], v[194:195], v[198:199]
	v_div_fixup_f64 v[178:179], v[176:177], v[178:179], 1.0
	v_mul_f64 v[176:177], v[192:193], v[178:179]
	v_xor_b32_e32 v179, 0x80000000, v179
.LBB86_784:
	s_andn2_saveexec_b64 s[16:17], s[16:17]
	s_cbranch_execz .LBB86_786
; %bb.785:
	v_div_scale_f64 v[192:193], s[18:19], v[176:177], v[176:177], v[178:179]
	v_rcp_f64_e32 v[194:195], v[192:193]
	v_div_scale_f64 v[196:197], vcc, v[178:179], v[176:177], v[178:179]
	v_fma_f64 v[198:199], -v[192:193], v[194:195], 1.0
	v_fmac_f64_e32 v[194:195], v[194:195], v[198:199]
	v_fma_f64 v[198:199], -v[192:193], v[194:195], 1.0
	v_fmac_f64_e32 v[194:195], v[194:195], v[198:199]
	v_mul_f64 v[198:199], v[196:197], v[194:195]
	v_fma_f64 v[192:193], -v[192:193], v[198:199], v[196:197]
	v_div_fmas_f64 v[192:193], v[192:193], v[194:195], v[198:199]
	v_div_fixup_f64 v[192:193], v[192:193], v[176:177], v[178:179]
	v_fmac_f64_e32 v[176:177], v[178:179], v[192:193]
	v_div_scale_f64 v[178:179], s[18:19], v[176:177], v[176:177], 1.0
	v_rcp_f64_e32 v[194:195], v[178:179]
	s_nop 0
	v_fma_f64 v[196:197], -v[178:179], v[194:195], 1.0
	v_fmac_f64_e32 v[194:195], v[194:195], v[196:197]
	v_fma_f64 v[196:197], -v[178:179], v[194:195], 1.0
	v_fmac_f64_e32 v[194:195], v[194:195], v[196:197]
	v_div_scale_f64 v[196:197], vcc, 1.0, v[176:177], 1.0
	v_mul_f64 v[198:199], v[196:197], v[194:195]
	v_fma_f64 v[178:179], -v[178:179], v[198:199], v[196:197]
	s_nop 1
	v_div_fmas_f64 v[178:179], v[178:179], v[194:195], v[198:199]
	v_div_fixup_f64 v[176:177], v[178:179], v[176:177], 1.0
	v_mul_f64 v[178:179], v[192:193], -v[176:177]
.LBB86_786:
	s_or_b64 exec, exec, s[16:17]
.LBB86_787:
	s_or_b64 exec, exec, s[0:1]
	v_cmp_ne_u32_e32 vcc, v189, v186
	s_and_saveexec_b64 s[0:1], vcc
	s_xor_b64 s[0:1], exec, s[0:1]
	s_cbranch_execz .LBB86_793
; %bb.788:
	v_cmp_eq_u32_e32 vcc, 37, v189
	s_and_saveexec_b64 s[16:17], vcc
	s_cbranch_execz .LBB86_792
; %bb.789:
	v_cmp_ne_u32_e32 vcc, 37, v186
	s_xor_b64 s[18:19], s[14:15], -1
	s_and_b64 s[22:23], s[18:19], vcc
	s_and_saveexec_b64 s[18:19], s[22:23]
	s_cbranch_execz .LBB86_791
; %bb.790:
	v_ashrrev_i32_e32 v187, 31, v186
	v_lshl_add_u64 v[192:193], v[186:187], 2, v[184:185]
	global_load_dword v187, v[192:193], off
	global_load_dword v189, v[184:185], off offset:148
	s_waitcnt vmcnt(1)
	global_store_dword v[184:185], v187, off offset:148
	s_waitcnt vmcnt(1)
	global_store_dword v[192:193], v189, off
.LBB86_791:
	s_or_b64 exec, exec, s[18:19]
	v_mov_b32_e32 v189, v186
	v_mov_b32_e32 v191, v186
.LBB86_792:
	s_or_b64 exec, exec, s[16:17]
.LBB86_793:
	s_andn2_saveexec_b64 s[0:1], s[0:1]
	s_cbranch_execz .LBB86_795
; %bb.794:
	v_mov_b32_e32 v189, 37
	s_waitcnt vmcnt(5)
	ds_write2_b64 v188, v[16:17], v[18:19] offset0:76 offset1:77
	s_waitcnt vmcnt(4)
	ds_write2_b64 v188, v[12:13], v[14:15] offset0:78 offset1:79
	;; [unrolled: 2-line block ×6, first 2 shown]
.LBB86_795:
	s_or_b64 exec, exec, s[0:1]
	v_cmp_lt_i32_e32 vcc, 37, v189
	s_waitcnt lgkmcnt(0)
	s_barrier
	s_and_saveexec_b64 s[0:1], vcc
	s_cbranch_execz .LBB86_797
; %bb.796:
	ds_read2_b64 v[192:195], v188 offset0:76 offset1:77
	v_mul_f64 v[186:187], v[176:177], v[22:23]
	v_mul_f64 v[22:23], v[178:179], v[22:23]
	v_fmac_f64_e32 v[186:187], v[178:179], v[20:21]
	v_fma_f64 v[20:21], v[176:177], v[20:21], -v[22:23]
	ds_read2_b64 v[176:179], v188 offset0:78 offset1:79
	s_waitcnt lgkmcnt(1)
	v_mul_f64 v[22:23], v[194:195], v[186:187]
	v_fma_f64 v[22:23], v[192:193], v[20:21], -v[22:23]
	v_mul_f64 v[192:193], v[192:193], v[186:187]
	v_fmac_f64_e32 v[192:193], v[194:195], v[20:21]
	s_waitcnt vmcnt(5)
	v_add_f64 v[16:17], v[16:17], -v[22:23]
	s_waitcnt lgkmcnt(0)
	v_mul_f64 v[22:23], v[178:179], v[186:187]
	v_add_f64 v[18:19], v[18:19], -v[192:193]
	v_fma_f64 v[22:23], v[176:177], v[20:21], -v[22:23]
	v_mul_f64 v[176:177], v[176:177], v[186:187]
	ds_read2_b64 v[192:195], v188 offset0:80 offset1:81
	v_fmac_f64_e32 v[176:177], v[178:179], v[20:21]
	s_waitcnt vmcnt(4)
	v_add_f64 v[14:15], v[14:15], -v[176:177]
	ds_read2_b64 v[176:179], v188 offset0:82 offset1:83
	v_add_f64 v[12:13], v[12:13], -v[22:23]
	s_waitcnt lgkmcnt(1)
	v_mul_f64 v[22:23], v[194:195], v[186:187]
	v_fma_f64 v[22:23], v[192:193], v[20:21], -v[22:23]
	v_mul_f64 v[192:193], v[192:193], v[186:187]
	v_fmac_f64_e32 v[192:193], v[194:195], v[20:21]
	s_waitcnt vmcnt(3)
	v_add_f64 v[8:9], v[8:9], -v[22:23]
	s_waitcnt lgkmcnt(0)
	v_mul_f64 v[22:23], v[178:179], v[186:187]
	v_add_f64 v[10:11], v[10:11], -v[192:193]
	v_fma_f64 v[22:23], v[176:177], v[20:21], -v[22:23]
	v_mul_f64 v[176:177], v[176:177], v[186:187]
	ds_read2_b64 v[192:195], v188 offset0:84 offset1:85
	v_fmac_f64_e32 v[176:177], v[178:179], v[20:21]
	s_waitcnt vmcnt(2)
	v_add_f64 v[6:7], v[6:7], -v[176:177]
	ds_read2_b64 v[176:179], v188 offset0:86 offset1:87
	v_add_f64 v[4:5], v[4:5], -v[22:23]
	s_waitcnt lgkmcnt(1)
	v_mul_f64 v[22:23], v[194:195], v[186:187]
	v_fma_f64 v[22:23], v[192:193], v[20:21], -v[22:23]
	s_waitcnt vmcnt(1)
	v_add_f64 v[0:1], v[0:1], -v[22:23]
	s_waitcnt lgkmcnt(0)
	v_mul_f64 v[22:23], v[178:179], v[186:187]
	v_mul_f64 v[192:193], v[192:193], v[186:187]
	v_fma_f64 v[22:23], v[176:177], v[20:21], -v[22:23]
	v_mul_f64 v[176:177], v[176:177], v[186:187]
	v_fmac_f64_e32 v[192:193], v[194:195], v[20:21]
	v_fmac_f64_e32 v[176:177], v[178:179], v[20:21]
	v_add_f64 v[2:3], v[2:3], -v[192:193]
	s_waitcnt vmcnt(0)
	v_add_f64 v[172:173], v[172:173], -v[22:23]
	v_add_f64 v[174:175], v[174:175], -v[176:177]
	v_mov_b64_e32 v[22:23], v[186:187]
.LBB86_797:
	s_or_b64 exec, exec, s[0:1]
	v_lshl_add_u32 v176, v189, 4, v188
	s_barrier
	s_waitcnt vmcnt(5)
	ds_write2_b64 v176, v[16:17], v[18:19] offset1:1
	s_waitcnt lgkmcnt(0)
	s_barrier
	ds_read2_b64 v[176:179], v188 offset0:76 offset1:77
	s_cmp_lt_i32 s20, 40
	v_mov_b32_e32 v186, 38
	s_cbranch_scc1 .LBB86_800
; %bb.798:
	v_add_u32_e32 v187, 0x270, v188
	s_mov_b32 s16, 39
	v_mov_b32_e32 v186, 38
.LBB86_799:                             ; =>This Inner Loop Header: Depth=1
	ds_read2_b64 v[192:195], v187 offset1:1
	s_waitcnt lgkmcnt(1)
	v_xor_b32_e32 v197, 0x80000000, v177
	v_xor_b32_e32 v199, 0x80000000, v179
	v_cmp_gt_f64_e32 vcc, 0, v[178:179]
	v_cmp_gt_f64_e64 s[0:1], 0, v[176:177]
	v_mov_b32_e32 v196, v176
	v_mov_b32_e32 v198, v178
	v_cndmask_b32_e64 v197, v177, v197, s[0:1]
	v_cndmask_b32_e32 v199, v179, v199, vcc
	v_add_f64 v[196:197], v[196:197], v[198:199]
	s_waitcnt lgkmcnt(0)
	v_xor_b32_e32 v199, 0x80000000, v193
	v_xor_b32_e32 v201, 0x80000000, v195
	v_cmp_gt_f64_e32 vcc, 0, v[194:195]
	v_cmp_gt_f64_e64 s[0:1], 0, v[192:193]
	v_mov_b32_e32 v198, v192
	v_mov_b32_e32 v200, v194
	v_cndmask_b32_e64 v199, v193, v199, s[0:1]
	v_cndmask_b32_e32 v201, v195, v201, vcc
	v_add_f64 v[198:199], v[198:199], v[200:201]
	v_mov_b32_e32 v202, s16
	s_add_i32 s16, s16, 1
	v_cmp_lt_f64_e32 vcc, v[196:197], v[198:199]
	v_add_u32_e32 v187, 16, v187
	s_cmp_lg_u32 s20, s16
	v_cndmask_b32_e32 v177, v177, v193, vcc
	v_cndmask_b32_e32 v176, v176, v192, vcc
	;; [unrolled: 1-line block ×5, first 2 shown]
	s_cbranch_scc1 .LBB86_799
.LBB86_800:
	s_waitcnt lgkmcnt(0)
	v_cmp_eq_f64_e32 vcc, 0, v[176:177]
	v_cmp_eq_f64_e64 s[0:1], 0, v[178:179]
	s_and_b64 s[0:1], vcc, s[0:1]
	s_and_saveexec_b64 s[16:17], s[0:1]
	s_xor_b64 s[0:1], exec, s[16:17]
; %bb.801:
	v_cmp_ne_u32_e32 vcc, 0, v190
	s_nop 1
	v_cndmask_b32_e32 v190, 39, v190, vcc
; %bb.802:
	s_andn2_saveexec_b64 s[0:1], s[0:1]
	s_cbranch_execz .LBB86_808
; %bb.803:
	v_cmp_ngt_f64_e64 s[16:17], |v[176:177]|, |v[178:179]|
	s_and_saveexec_b64 s[18:19], s[16:17]
	s_xor_b64 s[16:17], exec, s[18:19]
	s_cbranch_execz .LBB86_805
; %bb.804:
	v_div_scale_f64 v[192:193], s[18:19], v[178:179], v[178:179], v[176:177]
	v_rcp_f64_e32 v[194:195], v[192:193]
	v_div_scale_f64 v[196:197], vcc, v[176:177], v[178:179], v[176:177]
	v_fma_f64 v[198:199], -v[192:193], v[194:195], 1.0
	v_fmac_f64_e32 v[194:195], v[194:195], v[198:199]
	v_fma_f64 v[198:199], -v[192:193], v[194:195], 1.0
	v_fmac_f64_e32 v[194:195], v[194:195], v[198:199]
	v_mul_f64 v[198:199], v[196:197], v[194:195]
	v_fma_f64 v[192:193], -v[192:193], v[198:199], v[196:197]
	v_div_fmas_f64 v[192:193], v[192:193], v[194:195], v[198:199]
	v_div_fixup_f64 v[192:193], v[192:193], v[178:179], v[176:177]
	v_fmac_f64_e32 v[178:179], v[176:177], v[192:193]
	v_div_scale_f64 v[176:177], s[18:19], v[178:179], v[178:179], 1.0
	v_rcp_f64_e32 v[194:195], v[176:177]
	s_nop 0
	v_fma_f64 v[196:197], -v[176:177], v[194:195], 1.0
	v_fmac_f64_e32 v[194:195], v[194:195], v[196:197]
	v_fma_f64 v[196:197], -v[176:177], v[194:195], 1.0
	v_fmac_f64_e32 v[194:195], v[194:195], v[196:197]
	v_div_scale_f64 v[196:197], vcc, 1.0, v[178:179], 1.0
	v_mul_f64 v[198:199], v[196:197], v[194:195]
	v_fma_f64 v[176:177], -v[176:177], v[198:199], v[196:197]
	s_nop 1
	v_div_fmas_f64 v[176:177], v[176:177], v[194:195], v[198:199]
	v_div_fixup_f64 v[178:179], v[176:177], v[178:179], 1.0
	v_mul_f64 v[176:177], v[192:193], v[178:179]
	v_xor_b32_e32 v179, 0x80000000, v179
.LBB86_805:
	s_andn2_saveexec_b64 s[16:17], s[16:17]
	s_cbranch_execz .LBB86_807
; %bb.806:
	v_div_scale_f64 v[192:193], s[18:19], v[176:177], v[176:177], v[178:179]
	v_rcp_f64_e32 v[194:195], v[192:193]
	v_div_scale_f64 v[196:197], vcc, v[178:179], v[176:177], v[178:179]
	v_fma_f64 v[198:199], -v[192:193], v[194:195], 1.0
	v_fmac_f64_e32 v[194:195], v[194:195], v[198:199]
	v_fma_f64 v[198:199], -v[192:193], v[194:195], 1.0
	v_fmac_f64_e32 v[194:195], v[194:195], v[198:199]
	v_mul_f64 v[198:199], v[196:197], v[194:195]
	v_fma_f64 v[192:193], -v[192:193], v[198:199], v[196:197]
	v_div_fmas_f64 v[192:193], v[192:193], v[194:195], v[198:199]
	v_div_fixup_f64 v[192:193], v[192:193], v[176:177], v[178:179]
	v_fmac_f64_e32 v[176:177], v[178:179], v[192:193]
	v_div_scale_f64 v[178:179], s[18:19], v[176:177], v[176:177], 1.0
	v_rcp_f64_e32 v[194:195], v[178:179]
	s_nop 0
	v_fma_f64 v[196:197], -v[178:179], v[194:195], 1.0
	v_fmac_f64_e32 v[194:195], v[194:195], v[196:197]
	v_fma_f64 v[196:197], -v[178:179], v[194:195], 1.0
	v_fmac_f64_e32 v[194:195], v[194:195], v[196:197]
	v_div_scale_f64 v[196:197], vcc, 1.0, v[176:177], 1.0
	v_mul_f64 v[198:199], v[196:197], v[194:195]
	v_fma_f64 v[178:179], -v[178:179], v[198:199], v[196:197]
	s_nop 1
	v_div_fmas_f64 v[178:179], v[178:179], v[194:195], v[198:199]
	v_div_fixup_f64 v[176:177], v[178:179], v[176:177], 1.0
	v_mul_f64 v[178:179], v[192:193], -v[176:177]
.LBB86_807:
	s_or_b64 exec, exec, s[16:17]
.LBB86_808:
	s_or_b64 exec, exec, s[0:1]
	v_cmp_ne_u32_e32 vcc, v189, v186
	s_and_saveexec_b64 s[0:1], vcc
	s_xor_b64 s[0:1], exec, s[0:1]
	s_cbranch_execz .LBB86_814
; %bb.809:
	v_cmp_eq_u32_e32 vcc, 38, v189
	s_and_saveexec_b64 s[16:17], vcc
	s_cbranch_execz .LBB86_813
; %bb.810:
	v_cmp_ne_u32_e32 vcc, 38, v186
	s_xor_b64 s[18:19], s[14:15], -1
	s_and_b64 s[22:23], s[18:19], vcc
	s_and_saveexec_b64 s[18:19], s[22:23]
	s_cbranch_execz .LBB86_812
; %bb.811:
	v_ashrrev_i32_e32 v187, 31, v186
	v_lshl_add_u64 v[192:193], v[186:187], 2, v[184:185]
	global_load_dword v187, v[192:193], off
	global_load_dword v189, v[184:185], off offset:152
	s_waitcnt vmcnt(1)
	global_store_dword v[184:185], v187, off offset:152
	s_waitcnt vmcnt(1)
	global_store_dword v[192:193], v189, off
.LBB86_812:
	s_or_b64 exec, exec, s[18:19]
	v_mov_b32_e32 v189, v186
	v_mov_b32_e32 v191, v186
.LBB86_813:
	s_or_b64 exec, exec, s[16:17]
.LBB86_814:
	s_andn2_saveexec_b64 s[0:1], s[0:1]
	s_cbranch_execz .LBB86_816
; %bb.815:
	v_mov_b32_e32 v189, 38
	s_waitcnt vmcnt(4)
	ds_write2_b64 v188, v[12:13], v[14:15] offset0:78 offset1:79
	s_waitcnt vmcnt(3)
	ds_write2_b64 v188, v[8:9], v[10:11] offset0:80 offset1:81
	;; [unrolled: 2-line block ×5, first 2 shown]
.LBB86_816:
	s_or_b64 exec, exec, s[0:1]
	v_cmp_lt_i32_e32 vcc, 38, v189
	s_waitcnt lgkmcnt(0)
	s_barrier
	s_and_saveexec_b64 s[0:1], vcc
	s_cbranch_execz .LBB86_818
; %bb.817:
	ds_read2_b64 v[192:195], v188 offset0:78 offset1:79
	v_mul_f64 v[186:187], v[176:177], v[18:19]
	v_fmac_f64_e32 v[186:187], v[178:179], v[16:17]
	v_mul_f64 v[18:19], v[178:179], v[18:19]
	v_fma_f64 v[16:17], v[176:177], v[16:17], -v[18:19]
	ds_read2_b64 v[176:179], v188 offset0:80 offset1:81
	s_waitcnt lgkmcnt(1)
	v_mul_f64 v[18:19], v[194:195], v[186:187]
	v_fma_f64 v[18:19], v[192:193], v[16:17], -v[18:19]
	v_mul_f64 v[192:193], v[192:193], v[186:187]
	v_fmac_f64_e32 v[192:193], v[194:195], v[16:17]
	s_waitcnt vmcnt(4)
	v_add_f64 v[14:15], v[14:15], -v[192:193]
	ds_read2_b64 v[192:195], v188 offset0:82 offset1:83
	v_add_f64 v[12:13], v[12:13], -v[18:19]
	s_waitcnt lgkmcnt(1)
	v_mul_f64 v[18:19], v[178:179], v[186:187]
	v_fma_f64 v[18:19], v[176:177], v[16:17], -v[18:19]
	v_mul_f64 v[176:177], v[176:177], v[186:187]
	v_fmac_f64_e32 v[176:177], v[178:179], v[16:17]
	s_waitcnt vmcnt(3)
	v_add_f64 v[8:9], v[8:9], -v[18:19]
	v_add_f64 v[10:11], v[10:11], -v[176:177]
	ds_read2_b64 v[176:179], v188 offset0:84 offset1:85
	s_waitcnt lgkmcnt(1)
	v_mul_f64 v[18:19], v[194:195], v[186:187]
	v_fma_f64 v[18:19], v[192:193], v[16:17], -v[18:19]
	v_mul_f64 v[192:193], v[192:193], v[186:187]
	v_fmac_f64_e32 v[192:193], v[194:195], v[16:17]
	s_waitcnt vmcnt(2)
	v_add_f64 v[6:7], v[6:7], -v[192:193]
	ds_read2_b64 v[192:195], v188 offset0:86 offset1:87
	v_add_f64 v[4:5], v[4:5], -v[18:19]
	s_waitcnt lgkmcnt(1)
	v_mul_f64 v[18:19], v[178:179], v[186:187]
	v_fma_f64 v[18:19], v[176:177], v[16:17], -v[18:19]
	v_mul_f64 v[176:177], v[176:177], v[186:187]
	v_fmac_f64_e32 v[176:177], v[178:179], v[16:17]
	s_waitcnt vmcnt(1)
	v_add_f64 v[0:1], v[0:1], -v[18:19]
	v_add_f64 v[2:3], v[2:3], -v[176:177]
	s_waitcnt lgkmcnt(0)
	v_mul_f64 v[18:19], v[194:195], v[186:187]
	v_mul_f64 v[176:177], v[192:193], v[186:187]
	v_fma_f64 v[18:19], v[192:193], v[16:17], -v[18:19]
	v_fmac_f64_e32 v[176:177], v[194:195], v[16:17]
	s_waitcnt vmcnt(0)
	v_add_f64 v[172:173], v[172:173], -v[18:19]
	v_add_f64 v[174:175], v[174:175], -v[176:177]
	v_mov_b64_e32 v[18:19], v[186:187]
.LBB86_818:
	s_or_b64 exec, exec, s[0:1]
	v_lshl_add_u32 v176, v189, 4, v188
	s_barrier
	s_waitcnt vmcnt(4)
	ds_write2_b64 v176, v[12:13], v[14:15] offset1:1
	s_waitcnt lgkmcnt(0)
	s_barrier
	ds_read2_b64 v[176:179], v188 offset0:78 offset1:79
	s_cmp_lt_i32 s20, 41
	v_mov_b32_e32 v186, 39
	s_cbranch_scc1 .LBB86_821
; %bb.819:
	v_add_u32_e32 v187, 0x280, v188
	s_mov_b32 s16, 40
	v_mov_b32_e32 v186, 39
.LBB86_820:                             ; =>This Inner Loop Header: Depth=1
	ds_read2_b64 v[192:195], v187 offset1:1
	s_waitcnt lgkmcnt(1)
	v_xor_b32_e32 v197, 0x80000000, v177
	v_xor_b32_e32 v199, 0x80000000, v179
	v_cmp_gt_f64_e32 vcc, 0, v[178:179]
	v_cmp_gt_f64_e64 s[0:1], 0, v[176:177]
	v_mov_b32_e32 v196, v176
	v_mov_b32_e32 v198, v178
	v_cndmask_b32_e64 v197, v177, v197, s[0:1]
	v_cndmask_b32_e32 v199, v179, v199, vcc
	v_add_f64 v[196:197], v[196:197], v[198:199]
	s_waitcnt lgkmcnt(0)
	v_xor_b32_e32 v199, 0x80000000, v193
	v_xor_b32_e32 v201, 0x80000000, v195
	v_cmp_gt_f64_e32 vcc, 0, v[194:195]
	v_cmp_gt_f64_e64 s[0:1], 0, v[192:193]
	v_mov_b32_e32 v198, v192
	v_mov_b32_e32 v200, v194
	v_cndmask_b32_e64 v199, v193, v199, s[0:1]
	v_cndmask_b32_e32 v201, v195, v201, vcc
	v_add_f64 v[198:199], v[198:199], v[200:201]
	v_mov_b32_e32 v202, s16
	s_add_i32 s16, s16, 1
	v_cmp_lt_f64_e32 vcc, v[196:197], v[198:199]
	v_add_u32_e32 v187, 16, v187
	s_cmp_lg_u32 s20, s16
	v_cndmask_b32_e32 v177, v177, v193, vcc
	v_cndmask_b32_e32 v176, v176, v192, vcc
	;; [unrolled: 1-line block ×5, first 2 shown]
	s_cbranch_scc1 .LBB86_820
.LBB86_821:
	s_waitcnt lgkmcnt(0)
	v_cmp_eq_f64_e32 vcc, 0, v[176:177]
	v_cmp_eq_f64_e64 s[0:1], 0, v[178:179]
	s_and_b64 s[0:1], vcc, s[0:1]
	s_and_saveexec_b64 s[16:17], s[0:1]
	s_xor_b64 s[0:1], exec, s[16:17]
; %bb.822:
	v_cmp_ne_u32_e32 vcc, 0, v190
	s_nop 1
	v_cndmask_b32_e32 v190, 40, v190, vcc
; %bb.823:
	s_andn2_saveexec_b64 s[0:1], s[0:1]
	s_cbranch_execz .LBB86_829
; %bb.824:
	v_cmp_ngt_f64_e64 s[16:17], |v[176:177]|, |v[178:179]|
	s_and_saveexec_b64 s[18:19], s[16:17]
	s_xor_b64 s[16:17], exec, s[18:19]
	s_cbranch_execz .LBB86_826
; %bb.825:
	v_div_scale_f64 v[192:193], s[18:19], v[178:179], v[178:179], v[176:177]
	v_rcp_f64_e32 v[194:195], v[192:193]
	v_div_scale_f64 v[196:197], vcc, v[176:177], v[178:179], v[176:177]
	v_fma_f64 v[198:199], -v[192:193], v[194:195], 1.0
	v_fmac_f64_e32 v[194:195], v[194:195], v[198:199]
	v_fma_f64 v[198:199], -v[192:193], v[194:195], 1.0
	v_fmac_f64_e32 v[194:195], v[194:195], v[198:199]
	v_mul_f64 v[198:199], v[196:197], v[194:195]
	v_fma_f64 v[192:193], -v[192:193], v[198:199], v[196:197]
	v_div_fmas_f64 v[192:193], v[192:193], v[194:195], v[198:199]
	v_div_fixup_f64 v[192:193], v[192:193], v[178:179], v[176:177]
	v_fmac_f64_e32 v[178:179], v[176:177], v[192:193]
	v_div_scale_f64 v[176:177], s[18:19], v[178:179], v[178:179], 1.0
	v_rcp_f64_e32 v[194:195], v[176:177]
	s_nop 0
	v_fma_f64 v[196:197], -v[176:177], v[194:195], 1.0
	v_fmac_f64_e32 v[194:195], v[194:195], v[196:197]
	v_fma_f64 v[196:197], -v[176:177], v[194:195], 1.0
	v_fmac_f64_e32 v[194:195], v[194:195], v[196:197]
	v_div_scale_f64 v[196:197], vcc, 1.0, v[178:179], 1.0
	v_mul_f64 v[198:199], v[196:197], v[194:195]
	v_fma_f64 v[176:177], -v[176:177], v[198:199], v[196:197]
	s_nop 1
	v_div_fmas_f64 v[176:177], v[176:177], v[194:195], v[198:199]
	v_div_fixup_f64 v[178:179], v[176:177], v[178:179], 1.0
	v_mul_f64 v[176:177], v[192:193], v[178:179]
	v_xor_b32_e32 v179, 0x80000000, v179
.LBB86_826:
	s_andn2_saveexec_b64 s[16:17], s[16:17]
	s_cbranch_execz .LBB86_828
; %bb.827:
	v_div_scale_f64 v[192:193], s[18:19], v[176:177], v[176:177], v[178:179]
	v_rcp_f64_e32 v[194:195], v[192:193]
	v_div_scale_f64 v[196:197], vcc, v[178:179], v[176:177], v[178:179]
	v_fma_f64 v[198:199], -v[192:193], v[194:195], 1.0
	v_fmac_f64_e32 v[194:195], v[194:195], v[198:199]
	v_fma_f64 v[198:199], -v[192:193], v[194:195], 1.0
	v_fmac_f64_e32 v[194:195], v[194:195], v[198:199]
	v_mul_f64 v[198:199], v[196:197], v[194:195]
	v_fma_f64 v[192:193], -v[192:193], v[198:199], v[196:197]
	v_div_fmas_f64 v[192:193], v[192:193], v[194:195], v[198:199]
	v_div_fixup_f64 v[192:193], v[192:193], v[176:177], v[178:179]
	v_fmac_f64_e32 v[176:177], v[178:179], v[192:193]
	v_div_scale_f64 v[178:179], s[18:19], v[176:177], v[176:177], 1.0
	v_rcp_f64_e32 v[194:195], v[178:179]
	s_nop 0
	v_fma_f64 v[196:197], -v[178:179], v[194:195], 1.0
	v_fmac_f64_e32 v[194:195], v[194:195], v[196:197]
	v_fma_f64 v[196:197], -v[178:179], v[194:195], 1.0
	v_fmac_f64_e32 v[194:195], v[194:195], v[196:197]
	v_div_scale_f64 v[196:197], vcc, 1.0, v[176:177], 1.0
	v_mul_f64 v[198:199], v[196:197], v[194:195]
	v_fma_f64 v[178:179], -v[178:179], v[198:199], v[196:197]
	s_nop 1
	v_div_fmas_f64 v[178:179], v[178:179], v[194:195], v[198:199]
	v_div_fixup_f64 v[176:177], v[178:179], v[176:177], 1.0
	v_mul_f64 v[178:179], v[192:193], -v[176:177]
.LBB86_828:
	s_or_b64 exec, exec, s[16:17]
.LBB86_829:
	s_or_b64 exec, exec, s[0:1]
	v_cmp_ne_u32_e32 vcc, v189, v186
	s_and_saveexec_b64 s[0:1], vcc
	s_xor_b64 s[0:1], exec, s[0:1]
	s_cbranch_execz .LBB86_835
; %bb.830:
	v_cmp_eq_u32_e32 vcc, 39, v189
	s_and_saveexec_b64 s[16:17], vcc
	s_cbranch_execz .LBB86_834
; %bb.831:
	v_cmp_ne_u32_e32 vcc, 39, v186
	s_xor_b64 s[18:19], s[14:15], -1
	s_and_b64 s[22:23], s[18:19], vcc
	s_and_saveexec_b64 s[18:19], s[22:23]
	s_cbranch_execz .LBB86_833
; %bb.832:
	v_ashrrev_i32_e32 v187, 31, v186
	v_lshl_add_u64 v[192:193], v[186:187], 2, v[184:185]
	global_load_dword v187, v[192:193], off
	global_load_dword v189, v[184:185], off offset:156
	s_waitcnt vmcnt(1)
	global_store_dword v[184:185], v187, off offset:156
	s_waitcnt vmcnt(1)
	global_store_dword v[192:193], v189, off
.LBB86_833:
	s_or_b64 exec, exec, s[18:19]
	v_mov_b32_e32 v189, v186
	v_mov_b32_e32 v191, v186
.LBB86_834:
	s_or_b64 exec, exec, s[16:17]
.LBB86_835:
	s_andn2_saveexec_b64 s[0:1], s[0:1]
	s_cbranch_execz .LBB86_837
; %bb.836:
	v_mov_b32_e32 v189, 39
	s_waitcnt vmcnt(3)
	ds_write2_b64 v188, v[8:9], v[10:11] offset0:80 offset1:81
	s_waitcnt vmcnt(2)
	ds_write2_b64 v188, v[4:5], v[6:7] offset0:82 offset1:83
	;; [unrolled: 2-line block ×4, first 2 shown]
.LBB86_837:
	s_or_b64 exec, exec, s[0:1]
	v_cmp_lt_i32_e32 vcc, 39, v189
	s_waitcnt lgkmcnt(0)
	s_barrier
	s_and_saveexec_b64 s[0:1], vcc
	s_cbranch_execz .LBB86_839
; %bb.838:
	ds_read2_b64 v[192:195], v188 offset0:80 offset1:81
	v_mul_f64 v[186:187], v[176:177], v[14:15]
	v_mul_f64 v[14:15], v[178:179], v[14:15]
	v_fmac_f64_e32 v[186:187], v[178:179], v[12:13]
	v_fma_f64 v[12:13], v[176:177], v[12:13], -v[14:15]
	ds_read2_b64 v[176:179], v188 offset0:82 offset1:83
	s_waitcnt lgkmcnt(1)
	v_mul_f64 v[14:15], v[194:195], v[186:187]
	v_fma_f64 v[14:15], v[192:193], v[12:13], -v[14:15]
	v_mul_f64 v[192:193], v[192:193], v[186:187]
	v_fmac_f64_e32 v[192:193], v[194:195], v[12:13]
	s_waitcnt vmcnt(3)
	v_add_f64 v[8:9], v[8:9], -v[14:15]
	s_waitcnt lgkmcnt(0)
	v_mul_f64 v[14:15], v[178:179], v[186:187]
	v_add_f64 v[10:11], v[10:11], -v[192:193]
	v_fma_f64 v[14:15], v[176:177], v[12:13], -v[14:15]
	v_mul_f64 v[176:177], v[176:177], v[186:187]
	ds_read2_b64 v[192:195], v188 offset0:84 offset1:85
	v_fmac_f64_e32 v[176:177], v[178:179], v[12:13]
	s_waitcnt vmcnt(2)
	v_add_f64 v[6:7], v[6:7], -v[176:177]
	ds_read2_b64 v[176:179], v188 offset0:86 offset1:87
	v_add_f64 v[4:5], v[4:5], -v[14:15]
	s_waitcnt lgkmcnt(1)
	v_mul_f64 v[14:15], v[194:195], v[186:187]
	v_fma_f64 v[14:15], v[192:193], v[12:13], -v[14:15]
	s_waitcnt vmcnt(1)
	v_add_f64 v[0:1], v[0:1], -v[14:15]
	s_waitcnt lgkmcnt(0)
	v_mul_f64 v[14:15], v[178:179], v[186:187]
	v_mul_f64 v[192:193], v[192:193], v[186:187]
	v_fma_f64 v[14:15], v[176:177], v[12:13], -v[14:15]
	v_mul_f64 v[176:177], v[176:177], v[186:187]
	v_fmac_f64_e32 v[192:193], v[194:195], v[12:13]
	v_fmac_f64_e32 v[176:177], v[178:179], v[12:13]
	v_add_f64 v[2:3], v[2:3], -v[192:193]
	s_waitcnt vmcnt(0)
	v_add_f64 v[172:173], v[172:173], -v[14:15]
	v_add_f64 v[174:175], v[174:175], -v[176:177]
	v_mov_b64_e32 v[14:15], v[186:187]
.LBB86_839:
	s_or_b64 exec, exec, s[0:1]
	v_lshl_add_u32 v176, v189, 4, v188
	s_barrier
	s_waitcnt vmcnt(3)
	ds_write2_b64 v176, v[8:9], v[10:11] offset1:1
	s_waitcnt lgkmcnt(0)
	s_barrier
	ds_read2_b64 v[176:179], v188 offset0:80 offset1:81
	s_cmp_lt_i32 s20, 42
	v_mov_b32_e32 v186, 40
	s_cbranch_scc1 .LBB86_842
; %bb.840:
	v_add_u32_e32 v187, 0x290, v188
	s_mov_b32 s16, 41
	v_mov_b32_e32 v186, 40
.LBB86_841:                             ; =>This Inner Loop Header: Depth=1
	ds_read2_b64 v[192:195], v187 offset1:1
	s_waitcnt lgkmcnt(1)
	v_xor_b32_e32 v197, 0x80000000, v177
	v_xor_b32_e32 v199, 0x80000000, v179
	v_cmp_gt_f64_e32 vcc, 0, v[178:179]
	v_cmp_gt_f64_e64 s[0:1], 0, v[176:177]
	v_mov_b32_e32 v196, v176
	v_mov_b32_e32 v198, v178
	v_cndmask_b32_e64 v197, v177, v197, s[0:1]
	v_cndmask_b32_e32 v199, v179, v199, vcc
	v_add_f64 v[196:197], v[196:197], v[198:199]
	s_waitcnt lgkmcnt(0)
	v_xor_b32_e32 v199, 0x80000000, v193
	v_xor_b32_e32 v201, 0x80000000, v195
	v_cmp_gt_f64_e32 vcc, 0, v[194:195]
	v_cmp_gt_f64_e64 s[0:1], 0, v[192:193]
	v_mov_b32_e32 v198, v192
	v_mov_b32_e32 v200, v194
	v_cndmask_b32_e64 v199, v193, v199, s[0:1]
	v_cndmask_b32_e32 v201, v195, v201, vcc
	v_add_f64 v[198:199], v[198:199], v[200:201]
	v_mov_b32_e32 v202, s16
	s_add_i32 s16, s16, 1
	v_cmp_lt_f64_e32 vcc, v[196:197], v[198:199]
	v_add_u32_e32 v187, 16, v187
	s_cmp_lg_u32 s20, s16
	v_cndmask_b32_e32 v177, v177, v193, vcc
	v_cndmask_b32_e32 v176, v176, v192, vcc
	;; [unrolled: 1-line block ×5, first 2 shown]
	s_cbranch_scc1 .LBB86_841
.LBB86_842:
	s_waitcnt lgkmcnt(0)
	v_cmp_eq_f64_e32 vcc, 0, v[176:177]
	v_cmp_eq_f64_e64 s[0:1], 0, v[178:179]
	s_and_b64 s[0:1], vcc, s[0:1]
	s_and_saveexec_b64 s[16:17], s[0:1]
	s_xor_b64 s[0:1], exec, s[16:17]
; %bb.843:
	v_cmp_ne_u32_e32 vcc, 0, v190
	s_nop 1
	v_cndmask_b32_e32 v190, 41, v190, vcc
; %bb.844:
	s_andn2_saveexec_b64 s[0:1], s[0:1]
	s_cbranch_execz .LBB86_850
; %bb.845:
	v_cmp_ngt_f64_e64 s[16:17], |v[176:177]|, |v[178:179]|
	s_and_saveexec_b64 s[18:19], s[16:17]
	s_xor_b64 s[16:17], exec, s[18:19]
	s_cbranch_execz .LBB86_847
; %bb.846:
	v_div_scale_f64 v[192:193], s[18:19], v[178:179], v[178:179], v[176:177]
	v_rcp_f64_e32 v[194:195], v[192:193]
	v_div_scale_f64 v[196:197], vcc, v[176:177], v[178:179], v[176:177]
	v_fma_f64 v[198:199], -v[192:193], v[194:195], 1.0
	v_fmac_f64_e32 v[194:195], v[194:195], v[198:199]
	v_fma_f64 v[198:199], -v[192:193], v[194:195], 1.0
	v_fmac_f64_e32 v[194:195], v[194:195], v[198:199]
	v_mul_f64 v[198:199], v[196:197], v[194:195]
	v_fma_f64 v[192:193], -v[192:193], v[198:199], v[196:197]
	v_div_fmas_f64 v[192:193], v[192:193], v[194:195], v[198:199]
	v_div_fixup_f64 v[192:193], v[192:193], v[178:179], v[176:177]
	v_fmac_f64_e32 v[178:179], v[176:177], v[192:193]
	v_div_scale_f64 v[176:177], s[18:19], v[178:179], v[178:179], 1.0
	v_rcp_f64_e32 v[194:195], v[176:177]
	s_nop 0
	v_fma_f64 v[196:197], -v[176:177], v[194:195], 1.0
	v_fmac_f64_e32 v[194:195], v[194:195], v[196:197]
	v_fma_f64 v[196:197], -v[176:177], v[194:195], 1.0
	v_fmac_f64_e32 v[194:195], v[194:195], v[196:197]
	v_div_scale_f64 v[196:197], vcc, 1.0, v[178:179], 1.0
	v_mul_f64 v[198:199], v[196:197], v[194:195]
	v_fma_f64 v[176:177], -v[176:177], v[198:199], v[196:197]
	s_nop 1
	v_div_fmas_f64 v[176:177], v[176:177], v[194:195], v[198:199]
	v_div_fixup_f64 v[178:179], v[176:177], v[178:179], 1.0
	v_mul_f64 v[176:177], v[192:193], v[178:179]
	v_xor_b32_e32 v179, 0x80000000, v179
.LBB86_847:
	s_andn2_saveexec_b64 s[16:17], s[16:17]
	s_cbranch_execz .LBB86_849
; %bb.848:
	v_div_scale_f64 v[192:193], s[18:19], v[176:177], v[176:177], v[178:179]
	v_rcp_f64_e32 v[194:195], v[192:193]
	v_div_scale_f64 v[196:197], vcc, v[178:179], v[176:177], v[178:179]
	v_fma_f64 v[198:199], -v[192:193], v[194:195], 1.0
	v_fmac_f64_e32 v[194:195], v[194:195], v[198:199]
	v_fma_f64 v[198:199], -v[192:193], v[194:195], 1.0
	v_fmac_f64_e32 v[194:195], v[194:195], v[198:199]
	v_mul_f64 v[198:199], v[196:197], v[194:195]
	v_fma_f64 v[192:193], -v[192:193], v[198:199], v[196:197]
	v_div_fmas_f64 v[192:193], v[192:193], v[194:195], v[198:199]
	v_div_fixup_f64 v[192:193], v[192:193], v[176:177], v[178:179]
	v_fmac_f64_e32 v[176:177], v[178:179], v[192:193]
	v_div_scale_f64 v[178:179], s[18:19], v[176:177], v[176:177], 1.0
	v_rcp_f64_e32 v[194:195], v[178:179]
	s_nop 0
	v_fma_f64 v[196:197], -v[178:179], v[194:195], 1.0
	v_fmac_f64_e32 v[194:195], v[194:195], v[196:197]
	v_fma_f64 v[196:197], -v[178:179], v[194:195], 1.0
	v_fmac_f64_e32 v[194:195], v[194:195], v[196:197]
	v_div_scale_f64 v[196:197], vcc, 1.0, v[176:177], 1.0
	v_mul_f64 v[198:199], v[196:197], v[194:195]
	v_fma_f64 v[178:179], -v[178:179], v[198:199], v[196:197]
	s_nop 1
	v_div_fmas_f64 v[178:179], v[178:179], v[194:195], v[198:199]
	v_div_fixup_f64 v[176:177], v[178:179], v[176:177], 1.0
	v_mul_f64 v[178:179], v[192:193], -v[176:177]
.LBB86_849:
	s_or_b64 exec, exec, s[16:17]
.LBB86_850:
	s_or_b64 exec, exec, s[0:1]
	v_cmp_ne_u32_e32 vcc, v189, v186
	s_and_saveexec_b64 s[0:1], vcc
	s_xor_b64 s[0:1], exec, s[0:1]
	s_cbranch_execz .LBB86_856
; %bb.851:
	v_cmp_eq_u32_e32 vcc, 40, v189
	s_and_saveexec_b64 s[16:17], vcc
	s_cbranch_execz .LBB86_855
; %bb.852:
	v_cmp_ne_u32_e32 vcc, 40, v186
	s_xor_b64 s[18:19], s[14:15], -1
	s_and_b64 s[22:23], s[18:19], vcc
	s_and_saveexec_b64 s[18:19], s[22:23]
	s_cbranch_execz .LBB86_854
; %bb.853:
	v_ashrrev_i32_e32 v187, 31, v186
	v_lshl_add_u64 v[192:193], v[186:187], 2, v[184:185]
	global_load_dword v187, v[192:193], off
	global_load_dword v189, v[184:185], off offset:160
	s_waitcnt vmcnt(1)
	global_store_dword v[184:185], v187, off offset:160
	s_waitcnt vmcnt(1)
	global_store_dword v[192:193], v189, off
.LBB86_854:
	s_or_b64 exec, exec, s[18:19]
	v_mov_b32_e32 v189, v186
	v_mov_b32_e32 v191, v186
.LBB86_855:
	s_or_b64 exec, exec, s[16:17]
.LBB86_856:
	s_andn2_saveexec_b64 s[0:1], s[0:1]
	s_cbranch_execz .LBB86_858
; %bb.857:
	v_mov_b32_e32 v189, 40
	s_waitcnt vmcnt(2)
	ds_write2_b64 v188, v[4:5], v[6:7] offset0:82 offset1:83
	s_waitcnt vmcnt(1)
	ds_write2_b64 v188, v[0:1], v[2:3] offset0:84 offset1:85
	s_waitcnt vmcnt(0)
	ds_write2_b64 v188, v[172:173], v[174:175] offset0:86 offset1:87
.LBB86_858:
	s_or_b64 exec, exec, s[0:1]
	v_cmp_lt_i32_e32 vcc, 40, v189
	s_waitcnt lgkmcnt(0)
	s_barrier
	s_and_saveexec_b64 s[0:1], vcc
	s_cbranch_execz .LBB86_860
; %bb.859:
	ds_read2_b64 v[192:195], v188 offset0:82 offset1:83
	v_mul_f64 v[186:187], v[176:177], v[10:11]
	v_fmac_f64_e32 v[186:187], v[178:179], v[8:9]
	v_mul_f64 v[10:11], v[178:179], v[10:11]
	v_fma_f64 v[8:9], v[176:177], v[8:9], -v[10:11]
	ds_read2_b64 v[176:179], v188 offset0:84 offset1:85
	s_waitcnt lgkmcnt(1)
	v_mul_f64 v[10:11], v[194:195], v[186:187]
	v_fma_f64 v[10:11], v[192:193], v[8:9], -v[10:11]
	v_mul_f64 v[192:193], v[192:193], v[186:187]
	v_fmac_f64_e32 v[192:193], v[194:195], v[8:9]
	s_waitcnt vmcnt(2)
	v_add_f64 v[6:7], v[6:7], -v[192:193]
	ds_read2_b64 v[192:195], v188 offset0:86 offset1:87
	v_add_f64 v[4:5], v[4:5], -v[10:11]
	s_waitcnt lgkmcnt(1)
	v_mul_f64 v[10:11], v[178:179], v[186:187]
	v_fma_f64 v[10:11], v[176:177], v[8:9], -v[10:11]
	v_mul_f64 v[176:177], v[176:177], v[186:187]
	v_fmac_f64_e32 v[176:177], v[178:179], v[8:9]
	s_waitcnt vmcnt(1)
	v_add_f64 v[0:1], v[0:1], -v[10:11]
	v_add_f64 v[2:3], v[2:3], -v[176:177]
	s_waitcnt lgkmcnt(0)
	v_mul_f64 v[10:11], v[194:195], v[186:187]
	v_mul_f64 v[176:177], v[192:193], v[186:187]
	v_fma_f64 v[10:11], v[192:193], v[8:9], -v[10:11]
	v_fmac_f64_e32 v[176:177], v[194:195], v[8:9]
	s_waitcnt vmcnt(0)
	v_add_f64 v[172:173], v[172:173], -v[10:11]
	v_add_f64 v[174:175], v[174:175], -v[176:177]
	v_mov_b64_e32 v[10:11], v[186:187]
.LBB86_860:
	s_or_b64 exec, exec, s[0:1]
	v_lshl_add_u32 v176, v189, 4, v188
	s_barrier
	s_waitcnt vmcnt(2)
	ds_write2_b64 v176, v[4:5], v[6:7] offset1:1
	s_waitcnt lgkmcnt(0)
	s_barrier
	ds_read2_b64 v[176:179], v188 offset0:82 offset1:83
	s_cmp_lt_i32 s20, 43
	v_mov_b32_e32 v186, 41
	s_cbranch_scc1 .LBB86_863
; %bb.861:
	v_add_u32_e32 v187, 0x2a0, v188
	s_mov_b32 s16, 42
	v_mov_b32_e32 v186, 41
.LBB86_862:                             ; =>This Inner Loop Header: Depth=1
	ds_read2_b64 v[192:195], v187 offset1:1
	s_waitcnt lgkmcnt(1)
	v_xor_b32_e32 v197, 0x80000000, v177
	v_xor_b32_e32 v199, 0x80000000, v179
	v_cmp_gt_f64_e32 vcc, 0, v[178:179]
	v_cmp_gt_f64_e64 s[0:1], 0, v[176:177]
	v_mov_b32_e32 v196, v176
	v_mov_b32_e32 v198, v178
	v_cndmask_b32_e64 v197, v177, v197, s[0:1]
	v_cndmask_b32_e32 v199, v179, v199, vcc
	v_add_f64 v[196:197], v[196:197], v[198:199]
	s_waitcnt lgkmcnt(0)
	v_xor_b32_e32 v199, 0x80000000, v193
	v_xor_b32_e32 v201, 0x80000000, v195
	v_cmp_gt_f64_e32 vcc, 0, v[194:195]
	v_cmp_gt_f64_e64 s[0:1], 0, v[192:193]
	v_mov_b32_e32 v198, v192
	v_mov_b32_e32 v200, v194
	v_cndmask_b32_e64 v199, v193, v199, s[0:1]
	v_cndmask_b32_e32 v201, v195, v201, vcc
	v_add_f64 v[198:199], v[198:199], v[200:201]
	v_mov_b32_e32 v202, s16
	s_add_i32 s16, s16, 1
	v_cmp_lt_f64_e32 vcc, v[196:197], v[198:199]
	v_add_u32_e32 v187, 16, v187
	s_cmp_lg_u32 s20, s16
	v_cndmask_b32_e32 v177, v177, v193, vcc
	v_cndmask_b32_e32 v176, v176, v192, vcc
	;; [unrolled: 1-line block ×5, first 2 shown]
	s_cbranch_scc1 .LBB86_862
.LBB86_863:
	s_waitcnt lgkmcnt(0)
	v_cmp_eq_f64_e32 vcc, 0, v[176:177]
	v_cmp_eq_f64_e64 s[0:1], 0, v[178:179]
	s_and_b64 s[0:1], vcc, s[0:1]
	s_and_saveexec_b64 s[16:17], s[0:1]
	s_xor_b64 s[0:1], exec, s[16:17]
; %bb.864:
	v_cmp_ne_u32_e32 vcc, 0, v190
	s_nop 1
	v_cndmask_b32_e32 v190, 42, v190, vcc
; %bb.865:
	s_andn2_saveexec_b64 s[0:1], s[0:1]
	s_cbranch_execz .LBB86_871
; %bb.866:
	v_cmp_ngt_f64_e64 s[16:17], |v[176:177]|, |v[178:179]|
	s_and_saveexec_b64 s[18:19], s[16:17]
	s_xor_b64 s[16:17], exec, s[18:19]
	s_cbranch_execz .LBB86_868
; %bb.867:
	v_div_scale_f64 v[192:193], s[18:19], v[178:179], v[178:179], v[176:177]
	v_rcp_f64_e32 v[194:195], v[192:193]
	v_div_scale_f64 v[196:197], vcc, v[176:177], v[178:179], v[176:177]
	v_fma_f64 v[198:199], -v[192:193], v[194:195], 1.0
	v_fmac_f64_e32 v[194:195], v[194:195], v[198:199]
	v_fma_f64 v[198:199], -v[192:193], v[194:195], 1.0
	v_fmac_f64_e32 v[194:195], v[194:195], v[198:199]
	v_mul_f64 v[198:199], v[196:197], v[194:195]
	v_fma_f64 v[192:193], -v[192:193], v[198:199], v[196:197]
	v_div_fmas_f64 v[192:193], v[192:193], v[194:195], v[198:199]
	v_div_fixup_f64 v[192:193], v[192:193], v[178:179], v[176:177]
	v_fmac_f64_e32 v[178:179], v[176:177], v[192:193]
	v_div_scale_f64 v[176:177], s[18:19], v[178:179], v[178:179], 1.0
	v_rcp_f64_e32 v[194:195], v[176:177]
	s_nop 0
	v_fma_f64 v[196:197], -v[176:177], v[194:195], 1.0
	v_fmac_f64_e32 v[194:195], v[194:195], v[196:197]
	v_fma_f64 v[196:197], -v[176:177], v[194:195], 1.0
	v_fmac_f64_e32 v[194:195], v[194:195], v[196:197]
	v_div_scale_f64 v[196:197], vcc, 1.0, v[178:179], 1.0
	v_mul_f64 v[198:199], v[196:197], v[194:195]
	v_fma_f64 v[176:177], -v[176:177], v[198:199], v[196:197]
	s_nop 1
	v_div_fmas_f64 v[176:177], v[176:177], v[194:195], v[198:199]
	v_div_fixup_f64 v[178:179], v[176:177], v[178:179], 1.0
	v_mul_f64 v[176:177], v[192:193], v[178:179]
	v_xor_b32_e32 v179, 0x80000000, v179
.LBB86_868:
	s_andn2_saveexec_b64 s[16:17], s[16:17]
	s_cbranch_execz .LBB86_870
; %bb.869:
	v_div_scale_f64 v[192:193], s[18:19], v[176:177], v[176:177], v[178:179]
	v_rcp_f64_e32 v[194:195], v[192:193]
	v_div_scale_f64 v[196:197], vcc, v[178:179], v[176:177], v[178:179]
	v_fma_f64 v[198:199], -v[192:193], v[194:195], 1.0
	v_fmac_f64_e32 v[194:195], v[194:195], v[198:199]
	v_fma_f64 v[198:199], -v[192:193], v[194:195], 1.0
	v_fmac_f64_e32 v[194:195], v[194:195], v[198:199]
	v_mul_f64 v[198:199], v[196:197], v[194:195]
	v_fma_f64 v[192:193], -v[192:193], v[198:199], v[196:197]
	v_div_fmas_f64 v[192:193], v[192:193], v[194:195], v[198:199]
	v_div_fixup_f64 v[192:193], v[192:193], v[176:177], v[178:179]
	v_fmac_f64_e32 v[176:177], v[178:179], v[192:193]
	v_div_scale_f64 v[178:179], s[18:19], v[176:177], v[176:177], 1.0
	v_rcp_f64_e32 v[194:195], v[178:179]
	s_nop 0
	v_fma_f64 v[196:197], -v[178:179], v[194:195], 1.0
	v_fmac_f64_e32 v[194:195], v[194:195], v[196:197]
	v_fma_f64 v[196:197], -v[178:179], v[194:195], 1.0
	v_fmac_f64_e32 v[194:195], v[194:195], v[196:197]
	v_div_scale_f64 v[196:197], vcc, 1.0, v[176:177], 1.0
	v_mul_f64 v[198:199], v[196:197], v[194:195]
	v_fma_f64 v[178:179], -v[178:179], v[198:199], v[196:197]
	s_nop 1
	v_div_fmas_f64 v[178:179], v[178:179], v[194:195], v[198:199]
	v_div_fixup_f64 v[176:177], v[178:179], v[176:177], 1.0
	v_mul_f64 v[178:179], v[192:193], -v[176:177]
.LBB86_870:
	s_or_b64 exec, exec, s[16:17]
.LBB86_871:
	s_or_b64 exec, exec, s[0:1]
	v_cmp_ne_u32_e32 vcc, v189, v186
	s_and_saveexec_b64 s[0:1], vcc
	s_xor_b64 s[0:1], exec, s[0:1]
	s_cbranch_execz .LBB86_877
; %bb.872:
	v_cmp_eq_u32_e32 vcc, 41, v189
	s_and_saveexec_b64 s[16:17], vcc
	s_cbranch_execz .LBB86_876
; %bb.873:
	v_cmp_ne_u32_e32 vcc, 41, v186
	s_xor_b64 s[18:19], s[14:15], -1
	s_and_b64 s[22:23], s[18:19], vcc
	s_and_saveexec_b64 s[18:19], s[22:23]
	s_cbranch_execz .LBB86_875
; %bb.874:
	v_ashrrev_i32_e32 v187, 31, v186
	v_lshl_add_u64 v[192:193], v[186:187], 2, v[184:185]
	global_load_dword v187, v[192:193], off
	global_load_dword v189, v[184:185], off offset:164
	s_waitcnt vmcnt(1)
	global_store_dword v[184:185], v187, off offset:164
	s_waitcnt vmcnt(1)
	global_store_dword v[192:193], v189, off
.LBB86_875:
	s_or_b64 exec, exec, s[18:19]
	v_mov_b32_e32 v189, v186
	v_mov_b32_e32 v191, v186
.LBB86_876:
	s_or_b64 exec, exec, s[16:17]
.LBB86_877:
	s_andn2_saveexec_b64 s[0:1], s[0:1]
	s_cbranch_execz .LBB86_879
; %bb.878:
	v_mov_b32_e32 v189, 41
	s_waitcnt vmcnt(1)
	ds_write2_b64 v188, v[0:1], v[2:3] offset0:84 offset1:85
	s_waitcnt vmcnt(0)
	ds_write2_b64 v188, v[172:173], v[174:175] offset0:86 offset1:87
.LBB86_879:
	s_or_b64 exec, exec, s[0:1]
	v_cmp_lt_i32_e32 vcc, 41, v189
	s_waitcnt lgkmcnt(0)
	s_barrier
	s_and_saveexec_b64 s[0:1], vcc
	s_cbranch_execz .LBB86_881
; %bb.880:
	ds_read2_b64 v[192:195], v188 offset0:84 offset1:85
	v_mul_f64 v[186:187], v[176:177], v[6:7]
	v_mul_f64 v[6:7], v[178:179], v[6:7]
	v_fmac_f64_e32 v[186:187], v[178:179], v[4:5]
	v_fma_f64 v[4:5], v[176:177], v[4:5], -v[6:7]
	ds_read2_b64 v[176:179], v188 offset0:86 offset1:87
	s_waitcnt lgkmcnt(1)
	v_mul_f64 v[6:7], v[194:195], v[186:187]
	v_fma_f64 v[6:7], v[192:193], v[4:5], -v[6:7]
	s_waitcnt vmcnt(1)
	v_add_f64 v[0:1], v[0:1], -v[6:7]
	v_mul_f64 v[192:193], v[192:193], v[186:187]
	s_waitcnt lgkmcnt(0)
	v_mul_f64 v[6:7], v[178:179], v[186:187]
	v_fma_f64 v[6:7], v[176:177], v[4:5], -v[6:7]
	v_mul_f64 v[176:177], v[176:177], v[186:187]
	v_fmac_f64_e32 v[192:193], v[194:195], v[4:5]
	v_fmac_f64_e32 v[176:177], v[178:179], v[4:5]
	v_add_f64 v[2:3], v[2:3], -v[192:193]
	s_waitcnt vmcnt(0)
	v_add_f64 v[172:173], v[172:173], -v[6:7]
	v_add_f64 v[174:175], v[174:175], -v[176:177]
	v_mov_b64_e32 v[6:7], v[186:187]
.LBB86_881:
	s_or_b64 exec, exec, s[0:1]
	v_lshl_add_u32 v176, v189, 4, v188
	s_barrier
	s_waitcnt vmcnt(1)
	ds_write2_b64 v176, v[0:1], v[2:3] offset1:1
	s_waitcnt lgkmcnt(0)
	s_barrier
	ds_read2_b64 v[176:179], v188 offset0:84 offset1:85
	s_cmp_lt_i32 s20, 44
	v_mov_b32_e32 v186, 42
	s_cbranch_scc1 .LBB86_884
; %bb.882:
	v_add_u32_e32 v187, 0x2b0, v188
	s_mov_b32 s16, 43
	v_mov_b32_e32 v186, 42
.LBB86_883:                             ; =>This Inner Loop Header: Depth=1
	ds_read2_b64 v[192:195], v187 offset1:1
	s_waitcnt lgkmcnt(1)
	v_xor_b32_e32 v197, 0x80000000, v177
	v_xor_b32_e32 v199, 0x80000000, v179
	v_cmp_gt_f64_e32 vcc, 0, v[178:179]
	v_cmp_gt_f64_e64 s[0:1], 0, v[176:177]
	v_mov_b32_e32 v196, v176
	v_mov_b32_e32 v198, v178
	v_cndmask_b32_e64 v197, v177, v197, s[0:1]
	v_cndmask_b32_e32 v199, v179, v199, vcc
	v_add_f64 v[196:197], v[196:197], v[198:199]
	s_waitcnt lgkmcnt(0)
	v_xor_b32_e32 v199, 0x80000000, v193
	v_xor_b32_e32 v201, 0x80000000, v195
	v_cmp_gt_f64_e32 vcc, 0, v[194:195]
	v_cmp_gt_f64_e64 s[0:1], 0, v[192:193]
	v_mov_b32_e32 v198, v192
	v_mov_b32_e32 v200, v194
	v_cndmask_b32_e64 v199, v193, v199, s[0:1]
	v_cndmask_b32_e32 v201, v195, v201, vcc
	v_add_f64 v[198:199], v[198:199], v[200:201]
	v_mov_b32_e32 v202, s16
	s_add_i32 s16, s16, 1
	v_cmp_lt_f64_e32 vcc, v[196:197], v[198:199]
	v_add_u32_e32 v187, 16, v187
	s_cmp_lg_u32 s20, s16
	v_cndmask_b32_e32 v177, v177, v193, vcc
	v_cndmask_b32_e32 v176, v176, v192, vcc
	;; [unrolled: 1-line block ×5, first 2 shown]
	s_cbranch_scc1 .LBB86_883
.LBB86_884:
	s_waitcnt lgkmcnt(0)
	v_cmp_eq_f64_e32 vcc, 0, v[176:177]
	v_cmp_eq_f64_e64 s[0:1], 0, v[178:179]
	s_and_b64 s[0:1], vcc, s[0:1]
	s_and_saveexec_b64 s[16:17], s[0:1]
	s_xor_b64 s[0:1], exec, s[16:17]
; %bb.885:
	v_cmp_ne_u32_e32 vcc, 0, v190
	s_nop 1
	v_cndmask_b32_e32 v190, 43, v190, vcc
; %bb.886:
	s_andn2_saveexec_b64 s[0:1], s[0:1]
	s_cbranch_execz .LBB86_892
; %bb.887:
	v_cmp_ngt_f64_e64 s[16:17], |v[176:177]|, |v[178:179]|
	s_and_saveexec_b64 s[18:19], s[16:17]
	s_xor_b64 s[16:17], exec, s[18:19]
	s_cbranch_execz .LBB86_889
; %bb.888:
	v_div_scale_f64 v[192:193], s[18:19], v[178:179], v[178:179], v[176:177]
	v_rcp_f64_e32 v[194:195], v[192:193]
	v_div_scale_f64 v[196:197], vcc, v[176:177], v[178:179], v[176:177]
	v_fma_f64 v[198:199], -v[192:193], v[194:195], 1.0
	v_fmac_f64_e32 v[194:195], v[194:195], v[198:199]
	v_fma_f64 v[198:199], -v[192:193], v[194:195], 1.0
	v_fmac_f64_e32 v[194:195], v[194:195], v[198:199]
	v_mul_f64 v[198:199], v[196:197], v[194:195]
	v_fma_f64 v[192:193], -v[192:193], v[198:199], v[196:197]
	v_div_fmas_f64 v[192:193], v[192:193], v[194:195], v[198:199]
	v_div_fixup_f64 v[192:193], v[192:193], v[178:179], v[176:177]
	v_fmac_f64_e32 v[178:179], v[176:177], v[192:193]
	v_div_scale_f64 v[176:177], s[18:19], v[178:179], v[178:179], 1.0
	v_rcp_f64_e32 v[194:195], v[176:177]
	s_nop 0
	v_fma_f64 v[196:197], -v[176:177], v[194:195], 1.0
	v_fmac_f64_e32 v[194:195], v[194:195], v[196:197]
	v_fma_f64 v[196:197], -v[176:177], v[194:195], 1.0
	v_fmac_f64_e32 v[194:195], v[194:195], v[196:197]
	v_div_scale_f64 v[196:197], vcc, 1.0, v[178:179], 1.0
	v_mul_f64 v[198:199], v[196:197], v[194:195]
	v_fma_f64 v[176:177], -v[176:177], v[198:199], v[196:197]
	s_nop 1
	v_div_fmas_f64 v[176:177], v[176:177], v[194:195], v[198:199]
	v_div_fixup_f64 v[178:179], v[176:177], v[178:179], 1.0
	v_mul_f64 v[176:177], v[192:193], v[178:179]
	v_xor_b32_e32 v179, 0x80000000, v179
.LBB86_889:
	s_andn2_saveexec_b64 s[16:17], s[16:17]
	s_cbranch_execz .LBB86_891
; %bb.890:
	v_div_scale_f64 v[192:193], s[18:19], v[176:177], v[176:177], v[178:179]
	v_rcp_f64_e32 v[194:195], v[192:193]
	v_div_scale_f64 v[196:197], vcc, v[178:179], v[176:177], v[178:179]
	v_fma_f64 v[198:199], -v[192:193], v[194:195], 1.0
	v_fmac_f64_e32 v[194:195], v[194:195], v[198:199]
	v_fma_f64 v[198:199], -v[192:193], v[194:195], 1.0
	v_fmac_f64_e32 v[194:195], v[194:195], v[198:199]
	v_mul_f64 v[198:199], v[196:197], v[194:195]
	v_fma_f64 v[192:193], -v[192:193], v[198:199], v[196:197]
	v_div_fmas_f64 v[192:193], v[192:193], v[194:195], v[198:199]
	v_div_fixup_f64 v[192:193], v[192:193], v[176:177], v[178:179]
	v_fmac_f64_e32 v[176:177], v[178:179], v[192:193]
	v_div_scale_f64 v[178:179], s[18:19], v[176:177], v[176:177], 1.0
	v_rcp_f64_e32 v[194:195], v[178:179]
	s_nop 0
	v_fma_f64 v[196:197], -v[178:179], v[194:195], 1.0
	v_fmac_f64_e32 v[194:195], v[194:195], v[196:197]
	v_fma_f64 v[196:197], -v[178:179], v[194:195], 1.0
	v_fmac_f64_e32 v[194:195], v[194:195], v[196:197]
	v_div_scale_f64 v[196:197], vcc, 1.0, v[176:177], 1.0
	v_mul_f64 v[198:199], v[196:197], v[194:195]
	v_fma_f64 v[178:179], -v[178:179], v[198:199], v[196:197]
	s_nop 1
	v_div_fmas_f64 v[178:179], v[178:179], v[194:195], v[198:199]
	v_div_fixup_f64 v[176:177], v[178:179], v[176:177], 1.0
	v_mul_f64 v[178:179], v[192:193], -v[176:177]
.LBB86_891:
	s_or_b64 exec, exec, s[16:17]
.LBB86_892:
	s_or_b64 exec, exec, s[0:1]
	v_cmp_ne_u32_e32 vcc, v189, v186
	s_and_saveexec_b64 s[0:1], vcc
	s_xor_b64 s[0:1], exec, s[0:1]
	s_cbranch_execz .LBB86_898
; %bb.893:
	v_cmp_eq_u32_e32 vcc, 42, v189
	s_and_saveexec_b64 s[16:17], vcc
	s_cbranch_execz .LBB86_897
; %bb.894:
	v_cmp_ne_u32_e32 vcc, 42, v186
	s_xor_b64 s[18:19], s[14:15], -1
	s_and_b64 s[22:23], s[18:19], vcc
	s_and_saveexec_b64 s[18:19], s[22:23]
	s_cbranch_execz .LBB86_896
; %bb.895:
	v_ashrrev_i32_e32 v187, 31, v186
	v_lshl_add_u64 v[192:193], v[186:187], 2, v[184:185]
	global_load_dword v187, v[192:193], off
	global_load_dword v189, v[184:185], off offset:168
	s_waitcnt vmcnt(1)
	global_store_dword v[184:185], v187, off offset:168
	s_waitcnt vmcnt(1)
	global_store_dword v[192:193], v189, off
.LBB86_896:
	s_or_b64 exec, exec, s[18:19]
	v_mov_b32_e32 v189, v186
	v_mov_b32_e32 v191, v186
.LBB86_897:
	s_or_b64 exec, exec, s[16:17]
.LBB86_898:
	s_andn2_saveexec_b64 s[0:1], s[0:1]
	s_cbranch_execz .LBB86_900
; %bb.899:
	v_mov_b32_e32 v189, 42
	s_waitcnt vmcnt(0)
	ds_write2_b64 v188, v[172:173], v[174:175] offset0:86 offset1:87
.LBB86_900:
	s_or_b64 exec, exec, s[0:1]
	v_cmp_lt_i32_e32 vcc, 42, v189
	s_waitcnt lgkmcnt(0)
	s_barrier
	s_and_saveexec_b64 s[0:1], vcc
	s_cbranch_execz .LBB86_902
; %bb.901:
	ds_read2_b64 v[192:195], v188 offset0:86 offset1:87
	v_mul_f64 v[186:187], v[176:177], v[2:3]
	v_mul_f64 v[2:3], v[178:179], v[2:3]
	v_fmac_f64_e32 v[186:187], v[178:179], v[0:1]
	v_fma_f64 v[0:1], v[176:177], v[0:1], -v[2:3]
	s_waitcnt lgkmcnt(0)
	v_mul_f64 v[2:3], v[194:195], v[186:187]
	v_mul_f64 v[176:177], v[192:193], v[186:187]
	v_fma_f64 v[2:3], v[192:193], v[0:1], -v[2:3]
	v_fmac_f64_e32 v[176:177], v[194:195], v[0:1]
	s_waitcnt vmcnt(0)
	v_add_f64 v[172:173], v[172:173], -v[2:3]
	v_add_f64 v[174:175], v[174:175], -v[176:177]
	v_mov_b64_e32 v[2:3], v[186:187]
.LBB86_902:
	s_or_b64 exec, exec, s[0:1]
	v_lshl_add_u32 v176, v189, 4, v188
	s_barrier
	s_waitcnt vmcnt(0)
	ds_write2_b64 v176, v[172:173], v[174:175] offset1:1
	s_waitcnt lgkmcnt(0)
	s_barrier
	ds_read2_b64 v[176:179], v188 offset0:86 offset1:87
	s_cmp_lt_i32 s20, 45
	v_mov_b32_e32 v186, 43
	s_cbranch_scc1 .LBB86_905
; %bb.903:
	v_add_u32_e32 v187, 0x2c0, v188
	s_mov_b32 s16, 44
	v_mov_b32_e32 v186, 43
.LBB86_904:                             ; =>This Inner Loop Header: Depth=1
	ds_read2_b64 v[192:195], v187 offset1:1
	s_waitcnt lgkmcnt(1)
	v_xor_b32_e32 v188, 0x80000000, v177
	v_xor_b32_e32 v199, 0x80000000, v179
	v_cmp_gt_f64_e32 vcc, 0, v[178:179]
	v_cmp_gt_f64_e64 s[0:1], 0, v[176:177]
	v_mov_b32_e32 v196, v176
	v_mov_b32_e32 v198, v178
	v_cndmask_b32_e64 v197, v177, v188, s[0:1]
	v_cndmask_b32_e32 v199, v179, v199, vcc
	s_waitcnt lgkmcnt(0)
	v_xor_b32_e32 v188, 0x80000000, v193
	v_xor_b32_e32 v201, 0x80000000, v195
	v_cmp_gt_f64_e32 vcc, 0, v[194:195]
	v_cmp_gt_f64_e64 s[0:1], 0, v[192:193]
	v_add_f64 v[196:197], v[196:197], v[198:199]
	v_mov_b32_e32 v198, v192
	v_mov_b32_e32 v200, v194
	v_cndmask_b32_e64 v199, v193, v188, s[0:1]
	v_cndmask_b32_e32 v201, v195, v201, vcc
	v_add_f64 v[198:199], v[198:199], v[200:201]
	v_mov_b32_e32 v202, s16
	s_add_i32 s16, s16, 1
	v_cmp_lt_f64_e32 vcc, v[196:197], v[198:199]
	v_add_u32_e32 v187, 16, v187
	s_cmp_lg_u32 s20, s16
	v_cndmask_b32_e32 v177, v177, v193, vcc
	v_cndmask_b32_e32 v176, v176, v192, vcc
	;; [unrolled: 1-line block ×5, first 2 shown]
	s_cbranch_scc1 .LBB86_904
.LBB86_905:
	s_waitcnt lgkmcnt(0)
	v_cmp_eq_f64_e32 vcc, 0, v[176:177]
	v_cmp_eq_f64_e64 s[0:1], 0, v[178:179]
	s_and_b64 s[0:1], vcc, s[0:1]
	s_and_saveexec_b64 s[16:17], s[0:1]
	s_xor_b64 s[0:1], exec, s[16:17]
; %bb.906:
	v_cmp_ne_u32_e32 vcc, 0, v190
	s_nop 1
	v_cndmask_b32_e32 v190, 44, v190, vcc
; %bb.907:
	s_andn2_saveexec_b64 s[0:1], s[0:1]
	s_cbranch_execz .LBB86_913
; %bb.908:
	v_cmp_ngt_f64_e64 s[16:17], |v[176:177]|, |v[178:179]|
	s_and_saveexec_b64 s[18:19], s[16:17]
	s_xor_b64 s[16:17], exec, s[18:19]
	s_cbranch_execz .LBB86_910
; %bb.909:
	v_div_scale_f64 v[192:193], s[18:19], v[178:179], v[178:179], v[176:177]
	v_rcp_f64_e32 v[194:195], v[192:193]
	v_div_scale_f64 v[196:197], vcc, v[176:177], v[178:179], v[176:177]
	v_fma_f64 v[198:199], -v[192:193], v[194:195], 1.0
	v_fmac_f64_e32 v[194:195], v[194:195], v[198:199]
	v_fma_f64 v[198:199], -v[192:193], v[194:195], 1.0
	v_fmac_f64_e32 v[194:195], v[194:195], v[198:199]
	v_mul_f64 v[198:199], v[196:197], v[194:195]
	v_fma_f64 v[192:193], -v[192:193], v[198:199], v[196:197]
	v_div_fmas_f64 v[192:193], v[192:193], v[194:195], v[198:199]
	v_div_fixup_f64 v[192:193], v[192:193], v[178:179], v[176:177]
	v_fmac_f64_e32 v[178:179], v[176:177], v[192:193]
	v_div_scale_f64 v[176:177], s[18:19], v[178:179], v[178:179], 1.0
	v_rcp_f64_e32 v[194:195], v[176:177]
	s_nop 0
	v_fma_f64 v[196:197], -v[176:177], v[194:195], 1.0
	v_fmac_f64_e32 v[194:195], v[194:195], v[196:197]
	v_fma_f64 v[196:197], -v[176:177], v[194:195], 1.0
	v_fmac_f64_e32 v[194:195], v[194:195], v[196:197]
	v_div_scale_f64 v[196:197], vcc, 1.0, v[178:179], 1.0
	v_mul_f64 v[198:199], v[196:197], v[194:195]
	v_fma_f64 v[176:177], -v[176:177], v[198:199], v[196:197]
	s_nop 1
	v_div_fmas_f64 v[176:177], v[176:177], v[194:195], v[198:199]
	v_div_fixup_f64 v[178:179], v[176:177], v[178:179], 1.0
	v_mul_f64 v[176:177], v[192:193], v[178:179]
	v_xor_b32_e32 v179, 0x80000000, v179
.LBB86_910:
	s_andn2_saveexec_b64 s[16:17], s[16:17]
	s_cbranch_execz .LBB86_912
; %bb.911:
	v_div_scale_f64 v[192:193], s[18:19], v[176:177], v[176:177], v[178:179]
	v_rcp_f64_e32 v[194:195], v[192:193]
	v_div_scale_f64 v[196:197], vcc, v[178:179], v[176:177], v[178:179]
	v_fma_f64 v[198:199], -v[192:193], v[194:195], 1.0
	v_fmac_f64_e32 v[194:195], v[194:195], v[198:199]
	v_fma_f64 v[198:199], -v[192:193], v[194:195], 1.0
	v_fmac_f64_e32 v[194:195], v[194:195], v[198:199]
	v_mul_f64 v[198:199], v[196:197], v[194:195]
	v_fma_f64 v[192:193], -v[192:193], v[198:199], v[196:197]
	v_div_fmas_f64 v[192:193], v[192:193], v[194:195], v[198:199]
	v_div_fixup_f64 v[192:193], v[192:193], v[176:177], v[178:179]
	v_fmac_f64_e32 v[176:177], v[178:179], v[192:193]
	v_div_scale_f64 v[178:179], s[18:19], v[176:177], v[176:177], 1.0
	v_rcp_f64_e32 v[194:195], v[178:179]
	s_nop 0
	v_fma_f64 v[196:197], -v[178:179], v[194:195], 1.0
	v_fmac_f64_e32 v[194:195], v[194:195], v[196:197]
	v_fma_f64 v[196:197], -v[178:179], v[194:195], 1.0
	v_fmac_f64_e32 v[194:195], v[194:195], v[196:197]
	v_div_scale_f64 v[196:197], vcc, 1.0, v[176:177], 1.0
	v_mul_f64 v[198:199], v[196:197], v[194:195]
	v_fma_f64 v[178:179], -v[178:179], v[198:199], v[196:197]
	s_nop 1
	v_div_fmas_f64 v[178:179], v[178:179], v[194:195], v[198:199]
	v_div_fixup_f64 v[176:177], v[178:179], v[176:177], 1.0
	v_mul_f64 v[178:179], v[192:193], -v[176:177]
.LBB86_912:
	s_or_b64 exec, exec, s[16:17]
.LBB86_913:
	s_or_b64 exec, exec, s[0:1]
	v_cmp_ne_u32_e32 vcc, v189, v186
	v_mov_b32_e32 v188, 43
	s_and_saveexec_b64 s[0:1], vcc
	s_cbranch_execz .LBB86_919
; %bb.914:
	v_cmp_eq_u32_e32 vcc, 43, v189
	s_and_saveexec_b64 s[16:17], vcc
	s_cbranch_execz .LBB86_918
; %bb.915:
	v_cmp_ne_u32_e32 vcc, 43, v186
	s_xor_b64 s[14:15], s[14:15], -1
	s_and_b64 s[18:19], s[14:15], vcc
	s_and_saveexec_b64 s[14:15], s[18:19]
	s_cbranch_execz .LBB86_917
; %bb.916:
	v_ashrrev_i32_e32 v187, 31, v186
	v_lshl_add_u64 v[188:189], v[186:187], 2, v[184:185]
	global_load_dword v187, v[188:189], off
	global_load_dword v191, v[184:185], off offset:172
	s_waitcnt vmcnt(1)
	global_store_dword v[184:185], v187, off offset:172
	s_waitcnt vmcnt(1)
	global_store_dword v[188:189], v191, off
.LBB86_917:
	s_or_b64 exec, exec, s[14:15]
	v_mov_b32_e32 v189, v186
	v_mov_b32_e32 v191, v186
.LBB86_918:
	s_or_b64 exec, exec, s[16:17]
	v_mov_b32_e32 v188, v189
.LBB86_919:
	s_or_b64 exec, exec, s[0:1]
	v_cmp_gt_i32_e32 vcc, 44, v188
	v_ashrrev_i32_e32 v189, 31, v188
	s_barrier
	s_barrier
	s_and_saveexec_b64 s[0:1], vcc
	s_cbranch_execz .LBB86_921
; %bb.920:
	v_mov_b32_e32 v184, s6
	v_mov_b32_e32 v185, s7
	v_mul_lo_u32 v192, s11, v182
	v_mul_lo_u32 v193, s10, v183
	v_mad_u64_u32 v[186:187], s[6:7], s10, v182, 0
	v_add3_u32 v187, v187, v193, v192
	v_lshl_add_u64 v[184:185], v[186:187], 2, v[184:185]
	v_lshl_add_u64 v[184:185], s[8:9], 2, v[184:185]
	;; [unrolled: 1-line block ×3, first 2 shown]
	v_add3_u32 v186, v191, s13, 1
	global_store_dword v[184:185], v186, off
.LBB86_921:
	s_or_b64 exec, exec, s[0:1]
	v_cmp_eq_u32_e32 vcc, 0, v188
	s_and_saveexec_b64 s[6:7], vcc
	s_cbranch_execz .LBB86_924
; %bb.922:
	v_mov_b32_e32 v184, s4
	v_mov_b32_e32 v185, s5
	v_lshl_add_u64 v[182:183], v[182:183], 2, v[184:185]
	global_load_dword v184, v[182:183], off
	v_cmp_ne_u32_e64 s[0:1], 0, v190
	s_waitcnt vmcnt(0)
	v_cmp_eq_u32_e32 vcc, 0, v184
	s_and_b64 s[0:1], vcc, s[0:1]
	s_and_b64 exec, exec, s[0:1]
	s_cbranch_execz .LBB86_924
; %bb.923:
	v_add_u32_e32 v184, s13, v190
	global_store_dword v[182:183], v184, off
.LBB86_924:
	s_or_b64 exec, exec, s[6:7]
	v_mul_f64 v[182:183], v[178:179], v[174:175]
	v_fma_f64 v[182:183], v[176:177], v[172:173], -v[182:183]
	v_mul_f64 v[176:177], v[176:177], v[174:175]
	v_fmac_f64_e32 v[176:177], v[178:179], v[172:173]
	v_cmp_lt_i32_e32 vcc, 43, v188
	s_nop 1
	v_cndmask_b32_e32 v175, v175, v177, vcc
	v_cndmask_b32_e32 v174, v174, v176, vcc
	v_lshl_add_u64 v[176:177], v[188:189], 4, v[180:181]
	global_store_dwordx4 v[176:177], v[116:119], off
	v_cndmask_b32_e32 v173, v173, v183, vcc
	v_cndmask_b32_e32 v172, v172, v182, vcc
	v_lshl_add_u64 v[116:117], s[2:3], 4, v[176:177]
	global_store_dwordx4 v[116:117], v[108:111], off
	s_nop 1
	v_add_u32_e32 v108, s12, v188
	v_ashrrev_i32_e32 v109, 31, v108
	v_lshl_add_u64 v[110:111], v[108:109], 4, v[180:181]
	v_add_u32_e32 v108, s2, v108
	v_ashrrev_i32_e32 v109, 31, v108
	global_store_dwordx4 v[110:111], v[168:171], off
	v_lshl_add_u64 v[110:111], v[108:109], 4, v[180:181]
	v_add_u32_e32 v108, s2, v108
	v_ashrrev_i32_e32 v109, 31, v108
	global_store_dwordx4 v[110:111], v[164:167], off
	;; [unrolled: 4-line block ×14, first 2 shown]
	v_lshl_add_u64 v[110:111], v[108:109], 4, v[180:181]
	global_store_dwordx4 v[110:111], v[104:107], off
	s_nop 1
	v_add_u32_e32 v104, s2, v108
	v_ashrrev_i32_e32 v105, 31, v104
	v_lshl_add_u64 v[106:107], v[104:105], 4, v[180:181]
	global_store_dwordx4 v[106:107], v[100:103], off
	s_nop 1
	v_add_u32_e32 v100, s2, v104
	v_ashrrev_i32_e32 v101, 31, v100
	v_lshl_add_u64 v[102:103], v[100:101], 4, v[180:181]
	global_store_dwordx4 v[102:103], v[96:99], off
	s_nop 1
	v_add_u32_e32 v96, s2, v100
	v_ashrrev_i32_e32 v97, 31, v96
	v_lshl_add_u64 v[98:99], v[96:97], 4, v[180:181]
	global_store_dwordx4 v[98:99], v[92:95], off
	s_nop 1
	v_add_u32_e32 v92, s2, v96
	v_ashrrev_i32_e32 v93, 31, v92
	v_lshl_add_u64 v[94:95], v[92:93], 4, v[180:181]
	global_store_dwordx4 v[94:95], v[88:91], off
	s_nop 1
	v_add_u32_e32 v88, s2, v92
	v_ashrrev_i32_e32 v89, 31, v88
	v_lshl_add_u64 v[90:91], v[88:89], 4, v[180:181]
	global_store_dwordx4 v[90:91], v[84:87], off
	s_nop 1
	v_add_u32_e32 v84, s2, v88
	v_ashrrev_i32_e32 v85, 31, v84
	v_lshl_add_u64 v[86:87], v[84:85], 4, v[180:181]
	global_store_dwordx4 v[86:87], v[80:83], off
	s_nop 1
	v_add_u32_e32 v80, s2, v84
	v_ashrrev_i32_e32 v81, 31, v80
	v_lshl_add_u64 v[82:83], v[80:81], 4, v[180:181]
	global_store_dwordx4 v[82:83], v[76:79], off
	s_nop 1
	v_add_u32_e32 v76, s2, v80
	v_ashrrev_i32_e32 v77, 31, v76
	v_lshl_add_u64 v[78:79], v[76:77], 4, v[180:181]
	global_store_dwordx4 v[78:79], v[72:75], off
	s_nop 1
	v_add_u32_e32 v72, s2, v76
	v_ashrrev_i32_e32 v73, 31, v72
	v_lshl_add_u64 v[74:75], v[72:73], 4, v[180:181]
	global_store_dwordx4 v[74:75], v[68:71], off
	s_nop 1
	v_add_u32_e32 v68, s2, v72
	v_ashrrev_i32_e32 v69, 31, v68
	v_lshl_add_u64 v[70:71], v[68:69], 4, v[180:181]
	global_store_dwordx4 v[70:71], v[64:67], off
	s_nop 1
	v_add_u32_e32 v64, s2, v68
	v_ashrrev_i32_e32 v65, 31, v64
	v_lshl_add_u64 v[66:67], v[64:65], 4, v[180:181]
	global_store_dwordx4 v[66:67], v[60:63], off
	s_nop 1
	v_add_u32_e32 v60, s2, v64
	v_ashrrev_i32_e32 v61, 31, v60
	v_lshl_add_u64 v[62:63], v[60:61], 4, v[180:181]
	global_store_dwordx4 v[62:63], v[56:59], off
	s_nop 1
	v_add_u32_e32 v56, s2, v60
	v_ashrrev_i32_e32 v57, 31, v56
	v_lshl_add_u64 v[58:59], v[56:57], 4, v[180:181]
	global_store_dwordx4 v[58:59], v[52:55], off
	s_nop 1
	v_add_u32_e32 v52, s2, v56
	v_ashrrev_i32_e32 v53, 31, v52
	v_lshl_add_u64 v[54:55], v[52:53], 4, v[180:181]
	global_store_dwordx4 v[54:55], v[48:51], off
	s_nop 1
	v_add_u32_e32 v48, s2, v52
	v_ashrrev_i32_e32 v49, 31, v48
	v_lshl_add_u64 v[50:51], v[48:49], 4, v[180:181]
	global_store_dwordx4 v[50:51], v[44:47], off
	s_nop 1
	v_add_u32_e32 v44, s2, v48
	v_ashrrev_i32_e32 v45, 31, v44
	v_lshl_add_u64 v[46:47], v[44:45], 4, v[180:181]
	global_store_dwordx4 v[46:47], v[40:43], off
	s_nop 1
	v_add_u32_e32 v40, s2, v44
	v_ashrrev_i32_e32 v41, 31, v40
	v_lshl_add_u64 v[42:43], v[40:41], 4, v[180:181]
	global_store_dwordx4 v[42:43], v[36:39], off
	s_nop 1
	v_add_u32_e32 v36, s2, v40
	v_ashrrev_i32_e32 v37, 31, v36
	v_lshl_add_u64 v[38:39], v[36:37], 4, v[180:181]
	global_store_dwordx4 v[38:39], v[32:35], off
	s_nop 1
	v_add_u32_e32 v32, s2, v36
	v_ashrrev_i32_e32 v33, 31, v32
	v_lshl_add_u64 v[34:35], v[32:33], 4, v[180:181]
	global_store_dwordx4 v[34:35], v[28:31], off
	s_nop 1
	v_add_u32_e32 v28, s2, v32
	v_ashrrev_i32_e32 v29, 31, v28
	v_lshl_add_u64 v[30:31], v[28:29], 4, v[180:181]
	global_store_dwordx4 v[30:31], v[24:27], off
	s_nop 1
	v_add_u32_e32 v24, s2, v28
	v_ashrrev_i32_e32 v25, 31, v24
	v_lshl_add_u64 v[26:27], v[24:25], 4, v[180:181]
	global_store_dwordx4 v[26:27], v[20:23], off
	s_nop 1
	v_add_u32_e32 v20, s2, v24
	v_ashrrev_i32_e32 v21, 31, v20
	v_lshl_add_u64 v[22:23], v[20:21], 4, v[180:181]
	global_store_dwordx4 v[22:23], v[16:19], off
	s_nop 1
	v_add_u32_e32 v16, s2, v20
	v_ashrrev_i32_e32 v17, 31, v16
	v_lshl_add_u64 v[18:19], v[16:17], 4, v[180:181]
	global_store_dwordx4 v[18:19], v[12:15], off
	s_nop 1
	v_add_u32_e32 v12, s2, v16
	v_ashrrev_i32_e32 v13, 31, v12
	v_lshl_add_u64 v[14:15], v[12:13], 4, v[180:181]
	global_store_dwordx4 v[14:15], v[8:11], off
	s_nop 1
	v_add_u32_e32 v8, s2, v12
	v_ashrrev_i32_e32 v9, 31, v8
	v_lshl_add_u64 v[10:11], v[8:9], 4, v[180:181]
	global_store_dwordx4 v[10:11], v[4:7], off
	s_nop 1
	v_add_u32_e32 v4, s2, v8
	v_ashrrev_i32_e32 v5, 31, v4
	v_lshl_add_u64 v[6:7], v[4:5], 4, v[180:181]
	global_store_dwordx4 v[6:7], v[0:3], off
	s_nop 1
	v_add_u32_e32 v0, s2, v4
	v_ashrrev_i32_e32 v1, 31, v0
	v_lshl_add_u64 v[0:1], v[0:1], 4, v[180:181]
	global_store_dwordx4 v[0:1], v[172:175], off
.LBB86_925:
	s_endpgm
	.section	.rodata,"a",@progbits
	.p2align	6, 0x0
	.amdhsa_kernel _ZN9rocsolver6v33100L18getf2_small_kernelILi44E19rocblas_complex_numIdEiiPS3_EEvT1_T3_lS5_lPS5_llPT2_S5_S5_S7_l
		.amdhsa_group_segment_fixed_size 0
		.amdhsa_private_segment_fixed_size 0
		.amdhsa_kernarg_size 352
		.amdhsa_user_sgpr_count 2
		.amdhsa_user_sgpr_dispatch_ptr 0
		.amdhsa_user_sgpr_queue_ptr 0
		.amdhsa_user_sgpr_kernarg_segment_ptr 1
		.amdhsa_user_sgpr_dispatch_id 0
		.amdhsa_user_sgpr_kernarg_preload_length 0
		.amdhsa_user_sgpr_kernarg_preload_offset 0
		.amdhsa_user_sgpr_private_segment_size 0
		.amdhsa_uses_dynamic_stack 0
		.amdhsa_enable_private_segment 0
		.amdhsa_system_sgpr_workgroup_id_x 1
		.amdhsa_system_sgpr_workgroup_id_y 1
		.amdhsa_system_sgpr_workgroup_id_z 0
		.amdhsa_system_sgpr_workgroup_info 0
		.amdhsa_system_vgpr_workitem_id 1
		.amdhsa_next_free_vgpr 214
		.amdhsa_next_free_sgpr 24
		.amdhsa_accum_offset 216
		.amdhsa_reserve_vcc 1
		.amdhsa_float_round_mode_32 0
		.amdhsa_float_round_mode_16_64 0
		.amdhsa_float_denorm_mode_32 3
		.amdhsa_float_denorm_mode_16_64 3
		.amdhsa_dx10_clamp 1
		.amdhsa_ieee_mode 1
		.amdhsa_fp16_overflow 0
		.amdhsa_tg_split 0
		.amdhsa_exception_fp_ieee_invalid_op 0
		.amdhsa_exception_fp_denorm_src 0
		.amdhsa_exception_fp_ieee_div_zero 0
		.amdhsa_exception_fp_ieee_overflow 0
		.amdhsa_exception_fp_ieee_underflow 0
		.amdhsa_exception_fp_ieee_inexact 0
		.amdhsa_exception_int_div_zero 0
	.end_amdhsa_kernel
	.section	.text._ZN9rocsolver6v33100L18getf2_small_kernelILi44E19rocblas_complex_numIdEiiPS3_EEvT1_T3_lS5_lPS5_llPT2_S5_S5_S7_l,"axG",@progbits,_ZN9rocsolver6v33100L18getf2_small_kernelILi44E19rocblas_complex_numIdEiiPS3_EEvT1_T3_lS5_lPS5_llPT2_S5_S5_S7_l,comdat
.Lfunc_end86:
	.size	_ZN9rocsolver6v33100L18getf2_small_kernelILi44E19rocblas_complex_numIdEiiPS3_EEvT1_T3_lS5_lPS5_llPT2_S5_S5_S7_l, .Lfunc_end86-_ZN9rocsolver6v33100L18getf2_small_kernelILi44E19rocblas_complex_numIdEiiPS3_EEvT1_T3_lS5_lPS5_llPT2_S5_S5_S7_l
                                        ; -- End function
	.set _ZN9rocsolver6v33100L18getf2_small_kernelILi44E19rocblas_complex_numIdEiiPS3_EEvT1_T3_lS5_lPS5_llPT2_S5_S5_S7_l.num_vgpr, 214
	.set _ZN9rocsolver6v33100L18getf2_small_kernelILi44E19rocblas_complex_numIdEiiPS3_EEvT1_T3_lS5_lPS5_llPT2_S5_S5_S7_l.num_agpr, 0
	.set _ZN9rocsolver6v33100L18getf2_small_kernelILi44E19rocblas_complex_numIdEiiPS3_EEvT1_T3_lS5_lPS5_llPT2_S5_S5_S7_l.numbered_sgpr, 24
	.set _ZN9rocsolver6v33100L18getf2_small_kernelILi44E19rocblas_complex_numIdEiiPS3_EEvT1_T3_lS5_lPS5_llPT2_S5_S5_S7_l.num_named_barrier, 0
	.set _ZN9rocsolver6v33100L18getf2_small_kernelILi44E19rocblas_complex_numIdEiiPS3_EEvT1_T3_lS5_lPS5_llPT2_S5_S5_S7_l.private_seg_size, 0
	.set _ZN9rocsolver6v33100L18getf2_small_kernelILi44E19rocblas_complex_numIdEiiPS3_EEvT1_T3_lS5_lPS5_llPT2_S5_S5_S7_l.uses_vcc, 1
	.set _ZN9rocsolver6v33100L18getf2_small_kernelILi44E19rocblas_complex_numIdEiiPS3_EEvT1_T3_lS5_lPS5_llPT2_S5_S5_S7_l.uses_flat_scratch, 0
	.set _ZN9rocsolver6v33100L18getf2_small_kernelILi44E19rocblas_complex_numIdEiiPS3_EEvT1_T3_lS5_lPS5_llPT2_S5_S5_S7_l.has_dyn_sized_stack, 0
	.set _ZN9rocsolver6v33100L18getf2_small_kernelILi44E19rocblas_complex_numIdEiiPS3_EEvT1_T3_lS5_lPS5_llPT2_S5_S5_S7_l.has_recursion, 0
	.set _ZN9rocsolver6v33100L18getf2_small_kernelILi44E19rocblas_complex_numIdEiiPS3_EEvT1_T3_lS5_lPS5_llPT2_S5_S5_S7_l.has_indirect_call, 0
	.section	.AMDGPU.csdata,"",@progbits
; Kernel info:
; codeLenInByte = 108756
; TotalNumSgprs: 30
; NumVgprs: 214
; NumAgprs: 0
; TotalNumVgprs: 214
; ScratchSize: 0
; MemoryBound: 0
; FloatMode: 240
; IeeeMode: 1
; LDSByteSize: 0 bytes/workgroup (compile time only)
; SGPRBlocks: 3
; VGPRBlocks: 26
; NumSGPRsForWavesPerEU: 30
; NumVGPRsForWavesPerEU: 214
; AccumOffset: 216
; Occupancy: 2
; WaveLimiterHint : 0
; COMPUTE_PGM_RSRC2:SCRATCH_EN: 0
; COMPUTE_PGM_RSRC2:USER_SGPR: 2
; COMPUTE_PGM_RSRC2:TRAP_HANDLER: 0
; COMPUTE_PGM_RSRC2:TGID_X_EN: 1
; COMPUTE_PGM_RSRC2:TGID_Y_EN: 1
; COMPUTE_PGM_RSRC2:TGID_Z_EN: 0
; COMPUTE_PGM_RSRC2:TIDIG_COMP_CNT: 1
; COMPUTE_PGM_RSRC3_GFX90A:ACCUM_OFFSET: 53
; COMPUTE_PGM_RSRC3_GFX90A:TG_SPLIT: 0
	.section	.text._ZN9rocsolver6v33100L23getf2_npvt_small_kernelILi44E19rocblas_complex_numIdEiiPS3_EEvT1_T3_lS5_lPT2_S5_S5_,"axG",@progbits,_ZN9rocsolver6v33100L23getf2_npvt_small_kernelILi44E19rocblas_complex_numIdEiiPS3_EEvT1_T3_lS5_lPT2_S5_S5_,comdat
	.globl	_ZN9rocsolver6v33100L23getf2_npvt_small_kernelILi44E19rocblas_complex_numIdEiiPS3_EEvT1_T3_lS5_lPT2_S5_S5_ ; -- Begin function _ZN9rocsolver6v33100L23getf2_npvt_small_kernelILi44E19rocblas_complex_numIdEiiPS3_EEvT1_T3_lS5_lPT2_S5_S5_
	.p2align	8
	.type	_ZN9rocsolver6v33100L23getf2_npvt_small_kernelILi44E19rocblas_complex_numIdEiiPS3_EEvT1_T3_lS5_lPT2_S5_S5_,@function
_ZN9rocsolver6v33100L23getf2_npvt_small_kernelILi44E19rocblas_complex_numIdEiiPS3_EEvT1_T3_lS5_lPT2_S5_S5_: ; @_ZN9rocsolver6v33100L23getf2_npvt_small_kernelILi44E19rocblas_complex_numIdEiiPS3_EEvT1_T3_lS5_lPT2_S5_S5_
; %bb.0:
	s_load_dword s2, s[0:1], 0x44
	s_load_dwordx2 s[8:9], s[0:1], 0x30
	v_bfe_u32 v2, v0, 10, 10
	s_waitcnt lgkmcnt(0)
	s_lshr_b32 s2, s2, 16
	s_mul_i32 s3, s3, s2
	v_add_u32_e32 v224, s3, v2
	v_cmp_gt_i32_e32 vcc, s8, v224
	s_and_saveexec_b64 s[4:5], vcc
	s_cbranch_execz .LBB87_399
; %bb.1:
	s_load_dwordx4 s[12:15], s[0:1], 0x8
	s_load_dword s10, s[0:1], 0x18
	s_load_dwordx4 s[4:7], s[0:1], 0x20
	v_ashrrev_i32_e32 v225, 31, v224
	v_and_b32_e32 v194, 0x3ff, v0
	s_waitcnt lgkmcnt(0)
	v_mov_b32_e32 v0, s12
	v_mov_b32_e32 v1, s13
	v_mul_lo_u32 v3, s5, v224
	v_mul_lo_u32 v6, s4, v225
	v_mad_u64_u32 v[4:5], s[0:1], s4, v224, 0
	v_add3_u32 v5, v5, v6, v3
	v_lshl_add_u64 v[0:1], v[4:5], 4, v[0:1]
	v_lshl_add_u64 v[0:1], s[14:15], 4, v[0:1]
	v_lshlrev_b32_e32 v4, 4, v194
	v_mov_b32_e32 v5, 0
	s_add_i32 s0, s10, s10
	v_lshl_add_u64 v[200:201], v[0:1], 0, v[4:5]
	v_add_u32_e32 v4, s0, v194
	v_ashrrev_i32_e32 v5, 31, v4
	v_lshl_add_u64 v[204:205], v[4:5], 4, v[0:1]
	v_add_u32_e32 v4, s10, v4
	v_ashrrev_i32_e32 v5, 31, v4
	;; [unrolled: 3-line block ×41, first 2 shown]
	v_lshl_add_u64 v[124:125], v[4:5], 4, v[0:1]
	v_add_u32_e32 v4, s10, v4
	s_mulk_i32 s2, 0x2c0
	v_ashrrev_i32_e32 v5, 31, v4
	s_ashr_i32 s11, s10, 31
	s_movk_i32 s0, 0x2c0
	s_add_i32 s1, s2, 0
	v_lshl_add_u64 v[122:123], v[4:5], 4, v[0:1]
	v_mad_u32_u24 v193, v2, s0, 0
	v_lshl_add_u32 v192, v2, 4, s1
	v_lshl_add_u64 v[120:121], s[10:11], 4, v[200:201]
	global_load_dwordx4 v[244:247], v[200:201], off
	global_load_dwordx4 v[240:243], v[120:121], off
	;; [unrolled: 1-line block ×3, first 2 shown]
	v_cmp_ne_u32_e64 s[2:3], 0, v194
	v_cmp_eq_u32_e64 s[0:1], 0, v194
	s_waitcnt vmcnt(0)
	scratch_store_dwordx4 off, v[0:3], off offset:160 ; 16-byte Folded Spill
	global_load_dwordx4 v[0:3], v[202:203], off
	s_waitcnt vmcnt(0)
	scratch_store_dwordx4 off, v[0:3], off offset:144 ; 16-byte Folded Spill
	global_load_dwordx4 v[0:3], v[208:209], off
	;; [unrolled: 3-line block ×10, first 2 shown]
	s_waitcnt vmcnt(0)
	scratch_store_dwordx4 off, v[0:3], off  ; 16-byte Folded Spill
	global_load_dwordx4 v[116:119], v[228:229], off
	global_load_dwordx4 v[112:115], v[226:227], off
	;; [unrolled: 1-line block ×31, first 2 shown]
	s_and_saveexec_b64 s[10:11], s[0:1]
	s_cbranch_execz .LBB87_8
; %bb.2:
	ds_write2_b64 v192, v[244:245], v[246:247] offset1:1
	ds_write2_b64 v193, v[240:241], v[242:243] offset0:2 offset1:3
	scratch_load_dwordx4 v[176:179], off, off offset:160 ; 16-byte Folded Reload
	s_waitcnt vmcnt(0)
	ds_write2_b64 v193, v[176:177], v[178:179] offset0:4 offset1:5
	scratch_load_dwordx4 v[176:179], off, off offset:144 ; 16-byte Folded Reload
	s_waitcnt vmcnt(0)
	;; [unrolled: 3-line block ×10, first 2 shown]
	ds_write2_b64 v193, v[176:177], v[178:179] offset0:22 offset1:23
	scratch_load_dwordx4 v[176:179], off, off ; 16-byte Folded Reload
	s_waitcnt vmcnt(0)
	ds_write2_b64 v193, v[176:177], v[178:179] offset0:24 offset1:25
	ds_write2_b64 v193, v[116:117], v[118:119] offset0:26 offset1:27
	ds_write2_b64 v193, v[112:113], v[114:115] offset0:28 offset1:29
	ds_write2_b64 v193, v[108:109], v[110:111] offset0:30 offset1:31
	ds_write2_b64 v193, v[104:105], v[106:107] offset0:32 offset1:33
	ds_write2_b64 v193, v[100:101], v[102:103] offset0:34 offset1:35
	ds_write2_b64 v193, v[96:97], v[98:99] offset0:36 offset1:37
	ds_write2_b64 v193, v[92:93], v[94:95] offset0:38 offset1:39
	ds_write2_b64 v193, v[88:89], v[90:91] offset0:40 offset1:41
	ds_write2_b64 v193, v[84:85], v[86:87] offset0:42 offset1:43
	ds_write2_b64 v193, v[80:81], v[82:83] offset0:44 offset1:45
	ds_write2_b64 v193, v[76:77], v[78:79] offset0:46 offset1:47
	ds_write2_b64 v193, v[72:73], v[74:75] offset0:48 offset1:49
	ds_write2_b64 v193, v[68:69], v[70:71] offset0:50 offset1:51
	ds_write2_b64 v193, v[64:65], v[66:67] offset0:52 offset1:53
	ds_write2_b64 v193, v[60:61], v[62:63] offset0:54 offset1:55
	ds_write2_b64 v193, v[56:57], v[58:59] offset0:56 offset1:57
	ds_write2_b64 v193, v[52:53], v[54:55] offset0:58 offset1:59
	ds_write2_b64 v193, v[48:49], v[50:51] offset0:60 offset1:61
	ds_write2_b64 v193, v[44:45], v[46:47] offset0:62 offset1:63
	ds_write2_b64 v193, v[40:41], v[42:43] offset0:64 offset1:65
	ds_write2_b64 v193, v[36:37], v[38:39] offset0:66 offset1:67
	ds_write2_b64 v193, v[32:33], v[34:35] offset0:68 offset1:69
	ds_write2_b64 v193, v[28:29], v[30:31] offset0:70 offset1:71
	ds_write2_b64 v193, v[24:25], v[26:27] offset0:72 offset1:73
	ds_write2_b64 v193, v[20:21], v[22:23] offset0:74 offset1:75
	ds_write2_b64 v193, v[16:17], v[18:19] offset0:76 offset1:77
	ds_write2_b64 v193, v[12:13], v[14:15] offset0:78 offset1:79
	ds_write2_b64 v193, v[8:9], v[10:11] offset0:80 offset1:81
	ds_write2_b64 v193, v[4:5], v[6:7] offset0:82 offset1:83
	ds_write2_b64 v193, v[0:1], v[2:3] offset0:84 offset1:85
	ds_write2_b64 v193, v[172:173], v[174:175] offset0:86 offset1:87
	ds_read2_b64 v[176:179], v192 offset1:1
	s_waitcnt lgkmcnt(0)
	v_cmp_neq_f64_e32 vcc, 0, v[176:177]
	v_cmp_neq_f64_e64 s[4:5], 0, v[178:179]
	s_or_b64 s[4:5], vcc, s[4:5]
	s_and_b64 exec, exec, s[4:5]
	s_cbranch_execz .LBB87_8
; %bb.3:
	v_cmp_ngt_f64_e64 s[4:5], |v[176:177]|, |v[178:179]|
                                        ; implicit-def: $vgpr180_vgpr181
	s_and_saveexec_b64 s[12:13], s[4:5]
	s_xor_b64 s[4:5], exec, s[12:13]
                                        ; implicit-def: $vgpr182_vgpr183
	s_cbranch_execz .LBB87_5
; %bb.4:
	v_div_scale_f64 v[180:181], s[12:13], v[178:179], v[178:179], v[176:177]
	v_rcp_f64_e32 v[182:183], v[180:181]
	v_div_scale_f64 v[184:185], vcc, v[176:177], v[178:179], v[176:177]
	v_fma_f64 v[186:187], -v[180:181], v[182:183], 1.0
	v_fmac_f64_e32 v[182:183], v[182:183], v[186:187]
	v_fma_f64 v[186:187], -v[180:181], v[182:183], 1.0
	v_fmac_f64_e32 v[182:183], v[182:183], v[186:187]
	v_mul_f64 v[186:187], v[184:185], v[182:183]
	v_fma_f64 v[180:181], -v[180:181], v[186:187], v[184:185]
	v_div_fmas_f64 v[180:181], v[180:181], v[182:183], v[186:187]
	v_div_fixup_f64 v[180:181], v[180:181], v[178:179], v[176:177]
	v_fmac_f64_e32 v[178:179], v[176:177], v[180:181]
	v_div_scale_f64 v[176:177], s[12:13], v[178:179], v[178:179], 1.0
	v_rcp_f64_e32 v[182:183], v[176:177]
	s_nop 0
	v_fma_f64 v[184:185], -v[176:177], v[182:183], 1.0
	v_fmac_f64_e32 v[182:183], v[182:183], v[184:185]
	v_fma_f64 v[184:185], -v[176:177], v[182:183], 1.0
	v_fmac_f64_e32 v[182:183], v[182:183], v[184:185]
	v_div_scale_f64 v[184:185], vcc, 1.0, v[178:179], 1.0
	v_mul_f64 v[186:187], v[184:185], v[182:183]
	v_fma_f64 v[176:177], -v[176:177], v[186:187], v[184:185]
	s_nop 1
	v_div_fmas_f64 v[176:177], v[176:177], v[182:183], v[186:187]
	v_div_fixup_f64 v[182:183], v[176:177], v[178:179], 1.0
	v_mul_f64 v[180:181], v[180:181], v[182:183]
	v_xor_b32_e32 v183, 0x80000000, v183
                                        ; implicit-def: $vgpr176_vgpr177
.LBB87_5:
	s_andn2_saveexec_b64 s[4:5], s[4:5]
	s_cbranch_execz .LBB87_7
; %bb.6:
	v_div_scale_f64 v[180:181], s[12:13], v[176:177], v[176:177], v[178:179]
	v_rcp_f64_e32 v[182:183], v[180:181]
	v_div_scale_f64 v[184:185], vcc, v[178:179], v[176:177], v[178:179]
	v_fma_f64 v[186:187], -v[180:181], v[182:183], 1.0
	v_fmac_f64_e32 v[182:183], v[182:183], v[186:187]
	v_fma_f64 v[186:187], -v[180:181], v[182:183], 1.0
	v_fmac_f64_e32 v[182:183], v[182:183], v[186:187]
	v_mul_f64 v[186:187], v[184:185], v[182:183]
	v_fma_f64 v[180:181], -v[180:181], v[186:187], v[184:185]
	v_div_fmas_f64 v[180:181], v[180:181], v[182:183], v[186:187]
	v_div_fixup_f64 v[182:183], v[180:181], v[176:177], v[178:179]
	v_fmac_f64_e32 v[176:177], v[178:179], v[182:183]
	v_div_scale_f64 v[178:179], s[12:13], v[176:177], v[176:177], 1.0
	v_rcp_f64_e32 v[180:181], v[178:179]
	s_nop 0
	v_fma_f64 v[184:185], -v[178:179], v[180:181], 1.0
	v_fmac_f64_e32 v[180:181], v[180:181], v[184:185]
	v_fma_f64 v[184:185], -v[178:179], v[180:181], 1.0
	v_fmac_f64_e32 v[180:181], v[180:181], v[184:185]
	v_div_scale_f64 v[184:185], vcc, 1.0, v[176:177], 1.0
	v_mul_f64 v[186:187], v[184:185], v[180:181]
	v_fma_f64 v[178:179], -v[178:179], v[186:187], v[184:185]
	s_nop 1
	v_div_fmas_f64 v[178:179], v[178:179], v[180:181], v[186:187]
	v_div_fixup_f64 v[180:181], v[178:179], v[176:177], 1.0
	v_mul_f64 v[182:183], v[182:183], -v[180:181]
.LBB87_7:
	s_or_b64 exec, exec, s[4:5]
	ds_write2_b64 v192, v[180:181], v[182:183] offset1:1
.LBB87_8:
	s_or_b64 exec, exec, s[10:11]
	s_waitcnt lgkmcnt(0)
	s_barrier
	ds_read2_b64 v[248:251], v192 offset1:1
	s_and_saveexec_b64 s[4:5], s[2:3]
	s_cbranch_execz .LBB87_10
; %bb.9:
	ds_read2_b64 v[178:181], v193 offset0:2 offset1:3
	s_waitcnt lgkmcnt(1)
	v_mul_f64 v[176:177], v[250:251], v[246:247]
	v_mul_f64 v[246:247], v[248:249], v[246:247]
	v_fmac_f64_e32 v[246:247], v[250:251], v[244:245]
	v_fma_f64 v[176:177], v[248:249], v[244:245], -v[176:177]
	s_waitcnt lgkmcnt(0)
	v_mul_f64 v[168:169], v[180:181], v[246:247]
	v_fma_f64 v[168:169], v[178:179], v[176:177], -v[168:169]
	v_mul_f64 v[178:179], v[178:179], v[246:247]
	v_fmac_f64_e32 v[178:179], v[180:181], v[176:177]
	v_add_f64 v[242:243], v[242:243], -v[178:179]
	ds_read2_b64 v[178:181], v193 offset0:4 offset1:5
	v_add_f64 v[240:241], v[240:241], -v[168:169]
	v_mov_b64_e32 v[244:245], v[176:177]
	s_waitcnt lgkmcnt(0)
	v_mul_f64 v[168:169], v[180:181], v[246:247]
	v_fma_f64 v[168:169], v[178:179], v[176:177], -v[168:169]
	v_mul_f64 v[178:179], v[178:179], v[246:247]
	v_fmac_f64_e32 v[178:179], v[180:181], v[176:177]
	scratch_load_dwordx4 v[180:183], off, off offset:160 ; 16-byte Folded Reload
	s_waitcnt vmcnt(0)
	v_add_f64 v[180:181], v[180:181], -v[168:169]
	v_add_f64 v[182:183], v[182:183], -v[178:179]
	scratch_store_dwordx4 off, v[180:183], off offset:160 ; 16-byte Folded Spill
	ds_read2_b64 v[178:181], v193 offset0:6 offset1:7
	s_waitcnt lgkmcnt(0)
	v_mul_f64 v[168:169], v[180:181], v[246:247]
	v_fma_f64 v[168:169], v[178:179], v[176:177], -v[168:169]
	v_mul_f64 v[178:179], v[178:179], v[246:247]
	v_fmac_f64_e32 v[178:179], v[180:181], v[176:177]
	scratch_load_dwordx4 v[180:183], off, off offset:144 ; 16-byte Folded Reload
	s_waitcnt vmcnt(0)
	v_add_f64 v[180:181], v[180:181], -v[168:169]
	v_add_f64 v[182:183], v[182:183], -v[178:179]
	scratch_store_dwordx4 off, v[180:183], off offset:144 ; 16-byte Folded Spill
	ds_read2_b64 v[178:181], v193 offset0:8 offset1:9
	;; [unrolled: 11-line block ×10, first 2 shown]
	s_waitcnt lgkmcnt(0)
	v_mul_f64 v[168:169], v[180:181], v[246:247]
	v_fma_f64 v[168:169], v[178:179], v[176:177], -v[168:169]
	v_mul_f64 v[178:179], v[178:179], v[246:247]
	v_fmac_f64_e32 v[178:179], v[180:181], v[176:177]
	scratch_load_dwordx4 v[180:183], off, off ; 16-byte Folded Reload
	s_waitcnt vmcnt(0)
	v_add_f64 v[180:181], v[180:181], -v[168:169]
	v_add_f64 v[182:183], v[182:183], -v[178:179]
	scratch_store_dwordx4 off, v[180:183], off ; 16-byte Folded Spill
	ds_read2_b64 v[178:181], v193 offset0:26 offset1:27
	s_waitcnt lgkmcnt(0)
	v_mul_f64 v[168:169], v[180:181], v[246:247]
	v_fma_f64 v[168:169], v[178:179], v[176:177], -v[168:169]
	v_mul_f64 v[178:179], v[178:179], v[246:247]
	v_fmac_f64_e32 v[178:179], v[180:181], v[176:177]
	v_add_f64 v[118:119], v[118:119], -v[178:179]
	ds_read2_b64 v[178:181], v193 offset0:28 offset1:29
	v_add_f64 v[116:117], v[116:117], -v[168:169]
	s_waitcnt lgkmcnt(0)
	v_mul_f64 v[168:169], v[180:181], v[246:247]
	v_fma_f64 v[168:169], v[178:179], v[176:177], -v[168:169]
	v_mul_f64 v[178:179], v[178:179], v[246:247]
	v_fmac_f64_e32 v[178:179], v[180:181], v[176:177]
	v_add_f64 v[114:115], v[114:115], -v[178:179]
	ds_read2_b64 v[178:181], v193 offset0:30 offset1:31
	v_add_f64 v[112:113], v[112:113], -v[168:169]
	;; [unrolled: 8-line block ×30, first 2 shown]
	s_waitcnt lgkmcnt(0)
	v_mul_f64 v[168:169], v[180:181], v[246:247]
	v_fma_f64 v[168:169], v[178:179], v[176:177], -v[168:169]
	v_mul_f64 v[178:179], v[178:179], v[246:247]
	v_fmac_f64_e32 v[178:179], v[180:181], v[176:177]
	v_add_f64 v[172:173], v[172:173], -v[168:169]
	v_add_f64 v[174:175], v[174:175], -v[178:179]
.LBB87_10:
	s_or_b64 exec, exec, s[4:5]
	v_cmp_eq_u32_e32 vcc, 1, v194
	s_waitcnt lgkmcnt(0)
	s_barrier
	s_and_saveexec_b64 s[4:5], vcc
	s_cbranch_execz .LBB87_17
; %bb.11:
	scratch_load_dwordx4 v[176:179], off, off offset:160 ; 16-byte Folded Reload
	ds_write2_b64 v192, v[240:241], v[242:243] offset1:1
	s_waitcnt vmcnt(0)
	ds_write2_b64 v193, v[176:177], v[178:179] offset0:4 offset1:5
	scratch_load_dwordx4 v[176:179], off, off offset:144 ; 16-byte Folded Reload
	s_waitcnt vmcnt(0)
	ds_write2_b64 v193, v[176:177], v[178:179] offset0:6 offset1:7
	scratch_load_dwordx4 v[176:179], off, off offset:128 ; 16-byte Folded Reload
	;; [unrolled: 3-line block ×9, first 2 shown]
	s_waitcnt vmcnt(0)
	ds_write2_b64 v193, v[176:177], v[178:179] offset0:22 offset1:23
	scratch_load_dwordx4 v[176:179], off, off ; 16-byte Folded Reload
	s_waitcnt vmcnt(0)
	ds_write2_b64 v193, v[176:177], v[178:179] offset0:24 offset1:25
	ds_write2_b64 v193, v[116:117], v[118:119] offset0:26 offset1:27
	;; [unrolled: 1-line block ×32, first 2 shown]
	ds_read2_b64 v[176:179], v192 offset1:1
	s_waitcnt lgkmcnt(0)
	v_cmp_neq_f64_e32 vcc, 0, v[176:177]
	v_cmp_neq_f64_e64 s[2:3], 0, v[178:179]
	s_or_b64 s[2:3], vcc, s[2:3]
	s_and_b64 exec, exec, s[2:3]
	s_cbranch_execz .LBB87_17
; %bb.12:
	v_cmp_ngt_f64_e64 s[2:3], |v[176:177]|, |v[178:179]|
                                        ; implicit-def: $vgpr180_vgpr181
	s_and_saveexec_b64 s[10:11], s[2:3]
	s_xor_b64 s[2:3], exec, s[10:11]
                                        ; implicit-def: $vgpr182_vgpr183
	s_cbranch_execz .LBB87_14
; %bb.13:
	v_div_scale_f64 v[180:181], s[10:11], v[178:179], v[178:179], v[176:177]
	v_rcp_f64_e32 v[182:183], v[180:181]
	v_div_scale_f64 v[184:185], vcc, v[176:177], v[178:179], v[176:177]
	v_fma_f64 v[186:187], -v[180:181], v[182:183], 1.0
	v_fmac_f64_e32 v[182:183], v[182:183], v[186:187]
	v_fma_f64 v[186:187], -v[180:181], v[182:183], 1.0
	v_fmac_f64_e32 v[182:183], v[182:183], v[186:187]
	v_mul_f64 v[186:187], v[184:185], v[182:183]
	v_fma_f64 v[180:181], -v[180:181], v[186:187], v[184:185]
	v_div_fmas_f64 v[180:181], v[180:181], v[182:183], v[186:187]
	v_div_fixup_f64 v[180:181], v[180:181], v[178:179], v[176:177]
	v_fmac_f64_e32 v[178:179], v[176:177], v[180:181]
	v_div_scale_f64 v[176:177], s[10:11], v[178:179], v[178:179], 1.0
	v_rcp_f64_e32 v[182:183], v[176:177]
	s_nop 0
	v_fma_f64 v[184:185], -v[176:177], v[182:183], 1.0
	v_fmac_f64_e32 v[182:183], v[182:183], v[184:185]
	v_fma_f64 v[184:185], -v[176:177], v[182:183], 1.0
	v_fmac_f64_e32 v[182:183], v[182:183], v[184:185]
	v_div_scale_f64 v[184:185], vcc, 1.0, v[178:179], 1.0
	v_mul_f64 v[186:187], v[184:185], v[182:183]
	v_fma_f64 v[176:177], -v[176:177], v[186:187], v[184:185]
	s_nop 1
	v_div_fmas_f64 v[176:177], v[176:177], v[182:183], v[186:187]
	v_div_fixup_f64 v[182:183], v[176:177], v[178:179], 1.0
	v_mul_f64 v[180:181], v[180:181], v[182:183]
	v_xor_b32_e32 v183, 0x80000000, v183
                                        ; implicit-def: $vgpr176_vgpr177
.LBB87_14:
	s_andn2_saveexec_b64 s[2:3], s[2:3]
	s_cbranch_execz .LBB87_16
; %bb.15:
	v_div_scale_f64 v[180:181], s[10:11], v[176:177], v[176:177], v[178:179]
	v_rcp_f64_e32 v[182:183], v[180:181]
	v_div_scale_f64 v[184:185], vcc, v[178:179], v[176:177], v[178:179]
	v_fma_f64 v[186:187], -v[180:181], v[182:183], 1.0
	v_fmac_f64_e32 v[182:183], v[182:183], v[186:187]
	v_fma_f64 v[186:187], -v[180:181], v[182:183], 1.0
	v_fmac_f64_e32 v[182:183], v[182:183], v[186:187]
	v_mul_f64 v[186:187], v[184:185], v[182:183]
	v_fma_f64 v[180:181], -v[180:181], v[186:187], v[184:185]
	v_div_fmas_f64 v[180:181], v[180:181], v[182:183], v[186:187]
	v_div_fixup_f64 v[182:183], v[180:181], v[176:177], v[178:179]
	v_fmac_f64_e32 v[176:177], v[178:179], v[182:183]
	v_div_scale_f64 v[178:179], s[10:11], v[176:177], v[176:177], 1.0
	v_rcp_f64_e32 v[180:181], v[178:179]
	s_nop 0
	v_fma_f64 v[184:185], -v[178:179], v[180:181], 1.0
	v_fmac_f64_e32 v[180:181], v[180:181], v[184:185]
	v_fma_f64 v[184:185], -v[178:179], v[180:181], 1.0
	v_fmac_f64_e32 v[180:181], v[180:181], v[184:185]
	v_div_scale_f64 v[184:185], vcc, 1.0, v[176:177], 1.0
	v_mul_f64 v[186:187], v[184:185], v[180:181]
	v_fma_f64 v[178:179], -v[178:179], v[186:187], v[184:185]
	s_nop 1
	v_div_fmas_f64 v[178:179], v[178:179], v[180:181], v[186:187]
	v_div_fixup_f64 v[180:181], v[178:179], v[176:177], 1.0
	v_mul_f64 v[182:183], v[182:183], -v[180:181]
.LBB87_16:
	s_or_b64 exec, exec, s[2:3]
	ds_write2_b64 v192, v[180:181], v[182:183] offset1:1
.LBB87_17:
	s_or_b64 exec, exec, s[4:5]
	s_waitcnt lgkmcnt(0)
	s_barrier
	ds_read2_b64 v[176:179], v192 offset1:1
	v_cmp_lt_u32_e32 vcc, 1, v194
	s_waitcnt lgkmcnt(0)
	scratch_store_dwordx4 off, v[176:179], off offset:176 ; 16-byte Folded Spill
	s_and_saveexec_b64 s[2:3], vcc
	s_cbranch_execz .LBB87_19
; %bb.18:
	scratch_load_dwordx4 v[178:181], off, off offset:176 ; 16-byte Folded Reload
	s_waitcnt vmcnt(0)
	v_mul_f64 v[176:177], v[180:181], v[242:243]
	v_mul_f64 v[242:243], v[178:179], v[242:243]
	v_fma_f64 v[176:177], v[178:179], v[240:241], -v[176:177]
	v_fmac_f64_e32 v[242:243], v[180:181], v[240:241]
	ds_read2_b64 v[178:181], v193 offset0:4 offset1:5
	v_mov_b64_e32 v[240:241], v[176:177]
	s_waitcnt lgkmcnt(0)
	v_mul_f64 v[164:165], v[180:181], v[242:243]
	v_fma_f64 v[164:165], v[178:179], v[176:177], -v[164:165]
	v_mul_f64 v[178:179], v[178:179], v[242:243]
	v_fmac_f64_e32 v[178:179], v[180:181], v[176:177]
	scratch_load_dwordx4 v[180:183], off, off offset:160 ; 16-byte Folded Reload
	s_waitcnt vmcnt(0)
	v_add_f64 v[180:181], v[180:181], -v[164:165]
	v_add_f64 v[182:183], v[182:183], -v[178:179]
	scratch_store_dwordx4 off, v[180:183], off offset:160 ; 16-byte Folded Spill
	ds_read2_b64 v[178:181], v193 offset0:6 offset1:7
	s_waitcnt lgkmcnt(0)
	v_mul_f64 v[164:165], v[180:181], v[242:243]
	v_fma_f64 v[164:165], v[178:179], v[176:177], -v[164:165]
	v_mul_f64 v[178:179], v[178:179], v[242:243]
	v_fmac_f64_e32 v[178:179], v[180:181], v[176:177]
	scratch_load_dwordx4 v[180:183], off, off offset:144 ; 16-byte Folded Reload
	s_waitcnt vmcnt(0)
	v_add_f64 v[180:181], v[180:181], -v[164:165]
	v_add_f64 v[182:183], v[182:183], -v[178:179]
	scratch_store_dwordx4 off, v[180:183], off offset:144 ; 16-byte Folded Spill
	ds_read2_b64 v[178:181], v193 offset0:8 offset1:9
	;; [unrolled: 11-line block ×10, first 2 shown]
	s_waitcnt lgkmcnt(0)
	v_mul_f64 v[164:165], v[180:181], v[242:243]
	v_fma_f64 v[164:165], v[178:179], v[176:177], -v[164:165]
	v_mul_f64 v[178:179], v[178:179], v[242:243]
	v_fmac_f64_e32 v[178:179], v[180:181], v[176:177]
	scratch_load_dwordx4 v[180:183], off, off ; 16-byte Folded Reload
	s_waitcnt vmcnt(0)
	v_add_f64 v[180:181], v[180:181], -v[164:165]
	v_add_f64 v[182:183], v[182:183], -v[178:179]
	scratch_store_dwordx4 off, v[180:183], off ; 16-byte Folded Spill
	ds_read2_b64 v[178:181], v193 offset0:26 offset1:27
	s_waitcnt lgkmcnt(0)
	v_mul_f64 v[164:165], v[180:181], v[242:243]
	v_fma_f64 v[164:165], v[178:179], v[176:177], -v[164:165]
	v_mul_f64 v[178:179], v[178:179], v[242:243]
	v_fmac_f64_e32 v[178:179], v[180:181], v[176:177]
	v_add_f64 v[118:119], v[118:119], -v[178:179]
	ds_read2_b64 v[178:181], v193 offset0:28 offset1:29
	v_add_f64 v[116:117], v[116:117], -v[164:165]
	s_waitcnt lgkmcnt(0)
	v_mul_f64 v[164:165], v[180:181], v[242:243]
	v_fma_f64 v[164:165], v[178:179], v[176:177], -v[164:165]
	v_mul_f64 v[178:179], v[178:179], v[242:243]
	v_fmac_f64_e32 v[178:179], v[180:181], v[176:177]
	v_add_f64 v[114:115], v[114:115], -v[178:179]
	ds_read2_b64 v[178:181], v193 offset0:30 offset1:31
	v_add_f64 v[112:113], v[112:113], -v[164:165]
	;; [unrolled: 8-line block ×30, first 2 shown]
	s_waitcnt lgkmcnt(0)
	v_mul_f64 v[164:165], v[180:181], v[242:243]
	v_fma_f64 v[164:165], v[178:179], v[176:177], -v[164:165]
	v_mul_f64 v[178:179], v[178:179], v[242:243]
	v_fmac_f64_e32 v[178:179], v[180:181], v[176:177]
	v_add_f64 v[172:173], v[172:173], -v[164:165]
	v_add_f64 v[174:175], v[174:175], -v[178:179]
.LBB87_19:
	s_or_b64 exec, exec, s[2:3]
	v_cmp_eq_u32_e32 vcc, 2, v194
	s_barrier
	s_and_saveexec_b64 s[4:5], vcc
	s_cbranch_execz .LBB87_26
; %bb.20:
	scratch_load_dwordx4 v[176:179], off, off offset:160 ; 16-byte Folded Reload
	s_waitcnt vmcnt(0)
	ds_write2_b64 v192, v[176:177], v[178:179] offset1:1
	scratch_load_dwordx4 v[176:179], off, off offset:144 ; 16-byte Folded Reload
	s_waitcnt vmcnt(0)
	ds_write2_b64 v193, v[176:177], v[178:179] offset0:6 offset1:7
	scratch_load_dwordx4 v[176:179], off, off offset:128 ; 16-byte Folded Reload
	s_waitcnt vmcnt(0)
	ds_write2_b64 v193, v[176:177], v[178:179] offset0:8 offset1:9
	;; [unrolled: 3-line block ×9, first 2 shown]
	scratch_load_dwordx4 v[176:179], off, off ; 16-byte Folded Reload
	s_waitcnt vmcnt(0)
	ds_write2_b64 v193, v[176:177], v[178:179] offset0:24 offset1:25
	ds_write2_b64 v193, v[116:117], v[118:119] offset0:26 offset1:27
	ds_write2_b64 v193, v[112:113], v[114:115] offset0:28 offset1:29
	ds_write2_b64 v193, v[108:109], v[110:111] offset0:30 offset1:31
	ds_write2_b64 v193, v[104:105], v[106:107] offset0:32 offset1:33
	ds_write2_b64 v193, v[100:101], v[102:103] offset0:34 offset1:35
	ds_write2_b64 v193, v[96:97], v[98:99] offset0:36 offset1:37
	ds_write2_b64 v193, v[92:93], v[94:95] offset0:38 offset1:39
	ds_write2_b64 v193, v[88:89], v[90:91] offset0:40 offset1:41
	ds_write2_b64 v193, v[84:85], v[86:87] offset0:42 offset1:43
	ds_write2_b64 v193, v[80:81], v[82:83] offset0:44 offset1:45
	ds_write2_b64 v193, v[76:77], v[78:79] offset0:46 offset1:47
	ds_write2_b64 v193, v[72:73], v[74:75] offset0:48 offset1:49
	ds_write2_b64 v193, v[68:69], v[70:71] offset0:50 offset1:51
	ds_write2_b64 v193, v[64:65], v[66:67] offset0:52 offset1:53
	ds_write2_b64 v193, v[60:61], v[62:63] offset0:54 offset1:55
	ds_write2_b64 v193, v[56:57], v[58:59] offset0:56 offset1:57
	ds_write2_b64 v193, v[52:53], v[54:55] offset0:58 offset1:59
	ds_write2_b64 v193, v[48:49], v[50:51] offset0:60 offset1:61
	ds_write2_b64 v193, v[44:45], v[46:47] offset0:62 offset1:63
	ds_write2_b64 v193, v[40:41], v[42:43] offset0:64 offset1:65
	ds_write2_b64 v193, v[36:37], v[38:39] offset0:66 offset1:67
	ds_write2_b64 v193, v[32:33], v[34:35] offset0:68 offset1:69
	ds_write2_b64 v193, v[28:29], v[30:31] offset0:70 offset1:71
	ds_write2_b64 v193, v[24:25], v[26:27] offset0:72 offset1:73
	ds_write2_b64 v193, v[20:21], v[22:23] offset0:74 offset1:75
	ds_write2_b64 v193, v[16:17], v[18:19] offset0:76 offset1:77
	ds_write2_b64 v193, v[12:13], v[14:15] offset0:78 offset1:79
	ds_write2_b64 v193, v[8:9], v[10:11] offset0:80 offset1:81
	ds_write2_b64 v193, v[4:5], v[6:7] offset0:82 offset1:83
	ds_write2_b64 v193, v[0:1], v[2:3] offset0:84 offset1:85
	ds_write2_b64 v193, v[172:173], v[174:175] offset0:86 offset1:87
	ds_read2_b64 v[176:179], v192 offset1:1
	s_waitcnt lgkmcnt(0)
	v_cmp_neq_f64_e32 vcc, 0, v[176:177]
	v_cmp_neq_f64_e64 s[2:3], 0, v[178:179]
	s_or_b64 s[2:3], vcc, s[2:3]
	s_and_b64 exec, exec, s[2:3]
	s_cbranch_execz .LBB87_26
; %bb.21:
	v_cmp_ngt_f64_e64 s[2:3], |v[176:177]|, |v[178:179]|
                                        ; implicit-def: $vgpr180_vgpr181
	s_and_saveexec_b64 s[10:11], s[2:3]
	s_xor_b64 s[2:3], exec, s[10:11]
                                        ; implicit-def: $vgpr182_vgpr183
	s_cbranch_execz .LBB87_23
; %bb.22:
	v_div_scale_f64 v[180:181], s[10:11], v[178:179], v[178:179], v[176:177]
	v_rcp_f64_e32 v[182:183], v[180:181]
	v_div_scale_f64 v[184:185], vcc, v[176:177], v[178:179], v[176:177]
	v_fma_f64 v[186:187], -v[180:181], v[182:183], 1.0
	v_fmac_f64_e32 v[182:183], v[182:183], v[186:187]
	v_fma_f64 v[186:187], -v[180:181], v[182:183], 1.0
	v_fmac_f64_e32 v[182:183], v[182:183], v[186:187]
	v_mul_f64 v[186:187], v[184:185], v[182:183]
	v_fma_f64 v[180:181], -v[180:181], v[186:187], v[184:185]
	v_div_fmas_f64 v[180:181], v[180:181], v[182:183], v[186:187]
	v_div_fixup_f64 v[180:181], v[180:181], v[178:179], v[176:177]
	v_fmac_f64_e32 v[178:179], v[176:177], v[180:181]
	v_div_scale_f64 v[176:177], s[10:11], v[178:179], v[178:179], 1.0
	v_rcp_f64_e32 v[182:183], v[176:177]
	s_nop 0
	v_fma_f64 v[184:185], -v[176:177], v[182:183], 1.0
	v_fmac_f64_e32 v[182:183], v[182:183], v[184:185]
	v_fma_f64 v[184:185], -v[176:177], v[182:183], 1.0
	v_fmac_f64_e32 v[182:183], v[182:183], v[184:185]
	v_div_scale_f64 v[184:185], vcc, 1.0, v[178:179], 1.0
	v_mul_f64 v[186:187], v[184:185], v[182:183]
	v_fma_f64 v[176:177], -v[176:177], v[186:187], v[184:185]
	s_nop 1
	v_div_fmas_f64 v[176:177], v[176:177], v[182:183], v[186:187]
	v_div_fixup_f64 v[182:183], v[176:177], v[178:179], 1.0
	v_mul_f64 v[180:181], v[180:181], v[182:183]
	v_xor_b32_e32 v183, 0x80000000, v183
                                        ; implicit-def: $vgpr176_vgpr177
.LBB87_23:
	s_andn2_saveexec_b64 s[2:3], s[2:3]
	s_cbranch_execz .LBB87_25
; %bb.24:
	v_div_scale_f64 v[180:181], s[10:11], v[176:177], v[176:177], v[178:179]
	v_rcp_f64_e32 v[182:183], v[180:181]
	v_div_scale_f64 v[184:185], vcc, v[178:179], v[176:177], v[178:179]
	v_fma_f64 v[186:187], -v[180:181], v[182:183], 1.0
	v_fmac_f64_e32 v[182:183], v[182:183], v[186:187]
	v_fma_f64 v[186:187], -v[180:181], v[182:183], 1.0
	v_fmac_f64_e32 v[182:183], v[182:183], v[186:187]
	v_mul_f64 v[186:187], v[184:185], v[182:183]
	v_fma_f64 v[180:181], -v[180:181], v[186:187], v[184:185]
	v_div_fmas_f64 v[180:181], v[180:181], v[182:183], v[186:187]
	v_div_fixup_f64 v[182:183], v[180:181], v[176:177], v[178:179]
	v_fmac_f64_e32 v[176:177], v[178:179], v[182:183]
	v_div_scale_f64 v[178:179], s[10:11], v[176:177], v[176:177], 1.0
	v_rcp_f64_e32 v[180:181], v[178:179]
	s_nop 0
	v_fma_f64 v[184:185], -v[178:179], v[180:181], 1.0
	v_fmac_f64_e32 v[180:181], v[180:181], v[184:185]
	v_fma_f64 v[184:185], -v[178:179], v[180:181], 1.0
	v_fmac_f64_e32 v[180:181], v[180:181], v[184:185]
	v_div_scale_f64 v[184:185], vcc, 1.0, v[176:177], 1.0
	v_mul_f64 v[186:187], v[184:185], v[180:181]
	v_fma_f64 v[178:179], -v[178:179], v[186:187], v[184:185]
	s_nop 1
	v_div_fmas_f64 v[178:179], v[178:179], v[180:181], v[186:187]
	v_div_fixup_f64 v[180:181], v[178:179], v[176:177], 1.0
	v_mul_f64 v[182:183], v[182:183], -v[180:181]
.LBB87_25:
	s_or_b64 exec, exec, s[2:3]
	ds_write2_b64 v192, v[180:181], v[182:183] offset1:1
.LBB87_26:
	s_or_b64 exec, exec, s[4:5]
	s_waitcnt lgkmcnt(0)
	s_barrier
	ds_read2_b64 v[176:179], v192 offset1:1
	v_cmp_lt_u32_e32 vcc, 2, v194
	s_waitcnt lgkmcnt(0)
	scratch_store_dwordx4 off, v[176:179], off offset:192 ; 16-byte Folded Spill
	s_and_saveexec_b64 s[2:3], vcc
	s_cbranch_execz .LBB87_28
; %bb.27:
	scratch_load_dwordx4 v[182:185], off, off offset:160 ; 16-byte Folded Reload
	scratch_load_dwordx4 v[178:181], off, off offset:192 ; 16-byte Folded Reload
	v_mov_b64_e32 v[164:165], v[160:161]
	s_waitcnt vmcnt(0)
	v_mul_f64 v[176:177], v[180:181], v[184:185]
	v_mul_f64 v[184:185], v[178:179], v[184:185]
	v_fma_f64 v[176:177], v[178:179], v[182:183], -v[176:177]
	v_fmac_f64_e32 v[184:185], v[180:181], v[182:183]
	ds_read2_b64 v[178:181], v193 offset0:6 offset1:7
	s_waitcnt lgkmcnt(0)
	v_mul_f64 v[160:161], v[180:181], v[184:185]
	v_fma_f64 v[160:161], v[178:179], v[176:177], -v[160:161]
	v_mul_f64 v[178:179], v[178:179], v[184:185]
	v_fmac_f64_e32 v[178:179], v[180:181], v[176:177]
	scratch_load_dwordx4 v[180:183], off, off offset:144 ; 16-byte Folded Reload
	s_waitcnt vmcnt(0)
	v_add_f64 v[180:181], v[180:181], -v[160:161]
	v_add_f64 v[182:183], v[182:183], -v[178:179]
	scratch_store_dwordx4 off, v[180:183], off offset:144 ; 16-byte Folded Spill
	ds_read2_b64 v[178:181], v193 offset0:8 offset1:9
	s_waitcnt lgkmcnt(0)
	v_mul_f64 v[160:161], v[180:181], v[184:185]
	v_fma_f64 v[160:161], v[178:179], v[176:177], -v[160:161]
	v_mul_f64 v[178:179], v[178:179], v[184:185]
	v_fmac_f64_e32 v[178:179], v[180:181], v[176:177]
	scratch_load_dwordx4 v[180:183], off, off offset:128 ; 16-byte Folded Reload
	s_waitcnt vmcnt(0)
	v_add_f64 v[180:181], v[180:181], -v[160:161]
	v_add_f64 v[182:183], v[182:183], -v[178:179]
	scratch_store_dwordx4 off, v[180:183], off offset:128 ; 16-byte Folded Spill
	;; [unrolled: 11-line block ×9, first 2 shown]
	ds_read2_b64 v[178:181], v193 offset0:24 offset1:25
	s_waitcnt lgkmcnt(0)
	v_mul_f64 v[160:161], v[180:181], v[184:185]
	v_fma_f64 v[160:161], v[178:179], v[176:177], -v[160:161]
	v_mul_f64 v[178:179], v[178:179], v[184:185]
	v_fmac_f64_e32 v[178:179], v[180:181], v[176:177]
	scratch_load_dwordx4 v[180:183], off, off ; 16-byte Folded Reload
	s_waitcnt vmcnt(0)
	v_add_f64 v[180:181], v[180:181], -v[160:161]
	v_add_f64 v[182:183], v[182:183], -v[178:179]
	scratch_store_dwordx4 off, v[180:183], off ; 16-byte Folded Spill
	ds_read2_b64 v[178:181], v193 offset0:26 offset1:27
	s_waitcnt lgkmcnt(0)
	v_mul_f64 v[160:161], v[180:181], v[184:185]
	v_fma_f64 v[160:161], v[178:179], v[176:177], -v[160:161]
	v_mul_f64 v[178:179], v[178:179], v[184:185]
	v_fmac_f64_e32 v[178:179], v[180:181], v[176:177]
	v_add_f64 v[118:119], v[118:119], -v[178:179]
	ds_read2_b64 v[178:181], v193 offset0:28 offset1:29
	v_add_f64 v[116:117], v[116:117], -v[160:161]
	v_mov_b64_e32 v[182:183], v[176:177]
	scratch_store_dwordx4 off, v[182:185], off offset:160 ; 16-byte Folded Spill
	s_waitcnt lgkmcnt(0)
	v_mul_f64 v[160:161], v[180:181], v[184:185]
	v_fma_f64 v[160:161], v[178:179], v[176:177], -v[160:161]
	v_mul_f64 v[178:179], v[178:179], v[184:185]
	v_fmac_f64_e32 v[178:179], v[180:181], v[176:177]
	v_add_f64 v[114:115], v[114:115], -v[178:179]
	ds_read2_b64 v[178:181], v193 offset0:30 offset1:31
	v_add_f64 v[112:113], v[112:113], -v[160:161]
	s_waitcnt lgkmcnt(0)
	v_mul_f64 v[160:161], v[180:181], v[184:185]
	v_fma_f64 v[160:161], v[178:179], v[176:177], -v[160:161]
	v_mul_f64 v[178:179], v[178:179], v[184:185]
	v_fmac_f64_e32 v[178:179], v[180:181], v[176:177]
	v_add_f64 v[110:111], v[110:111], -v[178:179]
	ds_read2_b64 v[178:181], v193 offset0:32 offset1:33
	v_add_f64 v[108:109], v[108:109], -v[160:161]
	;; [unrolled: 8-line block ×29, first 2 shown]
	s_waitcnt lgkmcnt(0)
	v_mul_f64 v[160:161], v[180:181], v[184:185]
	v_fma_f64 v[160:161], v[178:179], v[176:177], -v[160:161]
	v_mul_f64 v[178:179], v[178:179], v[184:185]
	v_fmac_f64_e32 v[178:179], v[180:181], v[176:177]
	v_add_f64 v[172:173], v[172:173], -v[160:161]
	v_mov_b64_e32 v[160:161], v[164:165]
	v_add_f64 v[174:175], v[174:175], -v[178:179]
.LBB87_28:
	s_or_b64 exec, exec, s[2:3]
	v_cmp_eq_u32_e32 vcc, 3, v194
	s_barrier
	s_and_saveexec_b64 s[4:5], vcc
	s_cbranch_execz .LBB87_35
; %bb.29:
	scratch_load_dwordx4 v[176:179], off, off offset:144 ; 16-byte Folded Reload
	s_waitcnt vmcnt(0)
	ds_write2_b64 v192, v[176:177], v[178:179] offset1:1
	scratch_load_dwordx4 v[176:179], off, off offset:128 ; 16-byte Folded Reload
	s_waitcnt vmcnt(0)
	ds_write2_b64 v193, v[176:177], v[178:179] offset0:8 offset1:9
	scratch_load_dwordx4 v[176:179], off, off offset:112 ; 16-byte Folded Reload
	s_waitcnt vmcnt(0)
	ds_write2_b64 v193, v[176:177], v[178:179] offset0:10 offset1:11
	;; [unrolled: 3-line block ×8, first 2 shown]
	scratch_load_dwordx4 v[176:179], off, off ; 16-byte Folded Reload
	s_waitcnt vmcnt(0)
	ds_write2_b64 v193, v[176:177], v[178:179] offset0:24 offset1:25
	ds_write2_b64 v193, v[116:117], v[118:119] offset0:26 offset1:27
	;; [unrolled: 1-line block ×32, first 2 shown]
	ds_read2_b64 v[176:179], v192 offset1:1
	s_waitcnt lgkmcnt(0)
	v_cmp_neq_f64_e32 vcc, 0, v[176:177]
	v_cmp_neq_f64_e64 s[2:3], 0, v[178:179]
	s_or_b64 s[2:3], vcc, s[2:3]
	s_and_b64 exec, exec, s[2:3]
	s_cbranch_execz .LBB87_35
; %bb.30:
	v_cmp_ngt_f64_e64 s[2:3], |v[176:177]|, |v[178:179]|
                                        ; implicit-def: $vgpr180_vgpr181
	s_and_saveexec_b64 s[10:11], s[2:3]
	s_xor_b64 s[2:3], exec, s[10:11]
                                        ; implicit-def: $vgpr182_vgpr183
	s_cbranch_execz .LBB87_32
; %bb.31:
	v_div_scale_f64 v[180:181], s[10:11], v[178:179], v[178:179], v[176:177]
	v_rcp_f64_e32 v[182:183], v[180:181]
	v_div_scale_f64 v[184:185], vcc, v[176:177], v[178:179], v[176:177]
	v_fma_f64 v[186:187], -v[180:181], v[182:183], 1.0
	v_fmac_f64_e32 v[182:183], v[182:183], v[186:187]
	v_fma_f64 v[186:187], -v[180:181], v[182:183], 1.0
	v_fmac_f64_e32 v[182:183], v[182:183], v[186:187]
	v_mul_f64 v[186:187], v[184:185], v[182:183]
	v_fma_f64 v[180:181], -v[180:181], v[186:187], v[184:185]
	v_div_fmas_f64 v[180:181], v[180:181], v[182:183], v[186:187]
	v_div_fixup_f64 v[180:181], v[180:181], v[178:179], v[176:177]
	v_fmac_f64_e32 v[178:179], v[176:177], v[180:181]
	v_div_scale_f64 v[176:177], s[10:11], v[178:179], v[178:179], 1.0
	v_rcp_f64_e32 v[182:183], v[176:177]
	s_nop 0
	v_fma_f64 v[184:185], -v[176:177], v[182:183], 1.0
	v_fmac_f64_e32 v[182:183], v[182:183], v[184:185]
	v_fma_f64 v[184:185], -v[176:177], v[182:183], 1.0
	v_fmac_f64_e32 v[182:183], v[182:183], v[184:185]
	v_div_scale_f64 v[184:185], vcc, 1.0, v[178:179], 1.0
	v_mul_f64 v[186:187], v[184:185], v[182:183]
	v_fma_f64 v[176:177], -v[176:177], v[186:187], v[184:185]
	s_nop 1
	v_div_fmas_f64 v[176:177], v[176:177], v[182:183], v[186:187]
	v_div_fixup_f64 v[182:183], v[176:177], v[178:179], 1.0
	v_mul_f64 v[180:181], v[180:181], v[182:183]
	v_xor_b32_e32 v183, 0x80000000, v183
                                        ; implicit-def: $vgpr176_vgpr177
.LBB87_32:
	s_andn2_saveexec_b64 s[2:3], s[2:3]
	s_cbranch_execz .LBB87_34
; %bb.33:
	v_div_scale_f64 v[180:181], s[10:11], v[176:177], v[176:177], v[178:179]
	v_rcp_f64_e32 v[182:183], v[180:181]
	v_div_scale_f64 v[184:185], vcc, v[178:179], v[176:177], v[178:179]
	v_fma_f64 v[186:187], -v[180:181], v[182:183], 1.0
	v_fmac_f64_e32 v[182:183], v[182:183], v[186:187]
	v_fma_f64 v[186:187], -v[180:181], v[182:183], 1.0
	v_fmac_f64_e32 v[182:183], v[182:183], v[186:187]
	v_mul_f64 v[186:187], v[184:185], v[182:183]
	v_fma_f64 v[180:181], -v[180:181], v[186:187], v[184:185]
	v_div_fmas_f64 v[180:181], v[180:181], v[182:183], v[186:187]
	v_div_fixup_f64 v[182:183], v[180:181], v[176:177], v[178:179]
	v_fmac_f64_e32 v[176:177], v[178:179], v[182:183]
	v_div_scale_f64 v[178:179], s[10:11], v[176:177], v[176:177], 1.0
	v_rcp_f64_e32 v[180:181], v[178:179]
	s_nop 0
	v_fma_f64 v[184:185], -v[178:179], v[180:181], 1.0
	v_fmac_f64_e32 v[180:181], v[180:181], v[184:185]
	v_fma_f64 v[184:185], -v[178:179], v[180:181], 1.0
	v_fmac_f64_e32 v[180:181], v[180:181], v[184:185]
	v_div_scale_f64 v[184:185], vcc, 1.0, v[176:177], 1.0
	v_mul_f64 v[186:187], v[184:185], v[180:181]
	v_fma_f64 v[178:179], -v[178:179], v[186:187], v[184:185]
	s_nop 1
	v_div_fmas_f64 v[178:179], v[178:179], v[180:181], v[186:187]
	v_div_fixup_f64 v[180:181], v[178:179], v[176:177], 1.0
	v_mul_f64 v[182:183], v[182:183], -v[180:181]
.LBB87_34:
	s_or_b64 exec, exec, s[2:3]
	ds_write2_b64 v192, v[180:181], v[182:183] offset1:1
.LBB87_35:
	s_or_b64 exec, exec, s[4:5]
	s_waitcnt lgkmcnt(0)
	s_barrier
	ds_read2_b64 v[176:179], v192 offset1:1
	v_cmp_lt_u32_e32 vcc, 3, v194
	s_waitcnt lgkmcnt(0)
	scratch_store_dwordx4 off, v[176:179], off offset:208 ; 16-byte Folded Spill
	s_and_saveexec_b64 s[2:3], vcc
	s_cbranch_execz .LBB87_37
; %bb.36:
	scratch_load_dwordx4 v[182:185], off, off offset:144 ; 16-byte Folded Reload
	scratch_load_dwordx4 v[178:181], off, off offset:208 ; 16-byte Folded Reload
	v_mov_b64_e32 v[164:165], v[156:157]
	s_waitcnt vmcnt(0)
	v_mul_f64 v[176:177], v[180:181], v[184:185]
	v_mul_f64 v[184:185], v[178:179], v[184:185]
	v_fma_f64 v[176:177], v[178:179], v[182:183], -v[176:177]
	v_fmac_f64_e32 v[184:185], v[180:181], v[182:183]
	ds_read2_b64 v[178:181], v193 offset0:8 offset1:9
	s_waitcnt lgkmcnt(0)
	v_mul_f64 v[156:157], v[180:181], v[184:185]
	v_fma_f64 v[156:157], v[178:179], v[176:177], -v[156:157]
	v_mul_f64 v[178:179], v[178:179], v[184:185]
	v_fmac_f64_e32 v[178:179], v[180:181], v[176:177]
	scratch_load_dwordx4 v[180:183], off, off offset:128 ; 16-byte Folded Reload
	s_waitcnt vmcnt(0)
	v_add_f64 v[180:181], v[180:181], -v[156:157]
	v_add_f64 v[182:183], v[182:183], -v[178:179]
	scratch_store_dwordx4 off, v[180:183], off offset:128 ; 16-byte Folded Spill
	ds_read2_b64 v[178:181], v193 offset0:10 offset1:11
	s_waitcnt lgkmcnt(0)
	v_mul_f64 v[156:157], v[180:181], v[184:185]
	v_fma_f64 v[156:157], v[178:179], v[176:177], -v[156:157]
	v_mul_f64 v[178:179], v[178:179], v[184:185]
	v_fmac_f64_e32 v[178:179], v[180:181], v[176:177]
	scratch_load_dwordx4 v[180:183], off, off offset:112 ; 16-byte Folded Reload
	s_waitcnt vmcnt(0)
	v_add_f64 v[180:181], v[180:181], -v[156:157]
	v_add_f64 v[182:183], v[182:183], -v[178:179]
	scratch_store_dwordx4 off, v[180:183], off offset:112 ; 16-byte Folded Spill
	;; [unrolled: 11-line block ×8, first 2 shown]
	ds_read2_b64 v[178:181], v193 offset0:24 offset1:25
	s_waitcnt lgkmcnt(0)
	v_mul_f64 v[156:157], v[180:181], v[184:185]
	v_fma_f64 v[156:157], v[178:179], v[176:177], -v[156:157]
	v_mul_f64 v[178:179], v[178:179], v[184:185]
	v_fmac_f64_e32 v[178:179], v[180:181], v[176:177]
	scratch_load_dwordx4 v[180:183], off, off ; 16-byte Folded Reload
	s_waitcnt vmcnt(0)
	v_add_f64 v[180:181], v[180:181], -v[156:157]
	v_add_f64 v[182:183], v[182:183], -v[178:179]
	scratch_store_dwordx4 off, v[180:183], off ; 16-byte Folded Spill
	ds_read2_b64 v[178:181], v193 offset0:26 offset1:27
	s_waitcnt lgkmcnt(0)
	v_mul_f64 v[156:157], v[180:181], v[184:185]
	v_fma_f64 v[156:157], v[178:179], v[176:177], -v[156:157]
	v_mul_f64 v[178:179], v[178:179], v[184:185]
	v_fmac_f64_e32 v[178:179], v[180:181], v[176:177]
	v_add_f64 v[118:119], v[118:119], -v[178:179]
	ds_read2_b64 v[178:181], v193 offset0:28 offset1:29
	v_add_f64 v[116:117], v[116:117], -v[156:157]
	v_mov_b64_e32 v[182:183], v[176:177]
	scratch_store_dwordx4 off, v[182:185], off offset:144 ; 16-byte Folded Spill
	s_waitcnt lgkmcnt(0)
	v_mul_f64 v[156:157], v[180:181], v[184:185]
	v_fma_f64 v[156:157], v[178:179], v[176:177], -v[156:157]
	v_mul_f64 v[178:179], v[178:179], v[184:185]
	v_fmac_f64_e32 v[178:179], v[180:181], v[176:177]
	v_add_f64 v[114:115], v[114:115], -v[178:179]
	ds_read2_b64 v[178:181], v193 offset0:30 offset1:31
	v_add_f64 v[112:113], v[112:113], -v[156:157]
	s_waitcnt lgkmcnt(0)
	v_mul_f64 v[156:157], v[180:181], v[184:185]
	v_fma_f64 v[156:157], v[178:179], v[176:177], -v[156:157]
	v_mul_f64 v[178:179], v[178:179], v[184:185]
	v_fmac_f64_e32 v[178:179], v[180:181], v[176:177]
	v_add_f64 v[110:111], v[110:111], -v[178:179]
	ds_read2_b64 v[178:181], v193 offset0:32 offset1:33
	v_add_f64 v[108:109], v[108:109], -v[156:157]
	;; [unrolled: 8-line block ×29, first 2 shown]
	s_waitcnt lgkmcnt(0)
	v_mul_f64 v[156:157], v[180:181], v[184:185]
	v_fma_f64 v[156:157], v[178:179], v[176:177], -v[156:157]
	v_mul_f64 v[178:179], v[178:179], v[184:185]
	v_fmac_f64_e32 v[178:179], v[180:181], v[176:177]
	v_add_f64 v[172:173], v[172:173], -v[156:157]
	v_mov_b64_e32 v[156:157], v[164:165]
	v_add_f64 v[174:175], v[174:175], -v[178:179]
.LBB87_37:
	s_or_b64 exec, exec, s[2:3]
	v_cmp_eq_u32_e32 vcc, 4, v194
	s_barrier
	s_and_saveexec_b64 s[4:5], vcc
	s_cbranch_execz .LBB87_44
; %bb.38:
	scratch_load_dwordx4 v[176:179], off, off offset:128 ; 16-byte Folded Reload
	s_waitcnt vmcnt(0)
	ds_write2_b64 v192, v[176:177], v[178:179] offset1:1
	scratch_load_dwordx4 v[176:179], off, off offset:112 ; 16-byte Folded Reload
	s_waitcnt vmcnt(0)
	ds_write2_b64 v193, v[176:177], v[178:179] offset0:10 offset1:11
	scratch_load_dwordx4 v[176:179], off, off offset:96 ; 16-byte Folded Reload
	s_waitcnt vmcnt(0)
	ds_write2_b64 v193, v[176:177], v[178:179] offset0:12 offset1:13
	;; [unrolled: 3-line block ×7, first 2 shown]
	scratch_load_dwordx4 v[176:179], off, off ; 16-byte Folded Reload
	s_waitcnt vmcnt(0)
	ds_write2_b64 v193, v[176:177], v[178:179] offset0:24 offset1:25
	ds_write2_b64 v193, v[116:117], v[118:119] offset0:26 offset1:27
	;; [unrolled: 1-line block ×32, first 2 shown]
	ds_read2_b64 v[176:179], v192 offset1:1
	s_waitcnt lgkmcnt(0)
	v_cmp_neq_f64_e32 vcc, 0, v[176:177]
	v_cmp_neq_f64_e64 s[2:3], 0, v[178:179]
	s_or_b64 s[2:3], vcc, s[2:3]
	s_and_b64 exec, exec, s[2:3]
	s_cbranch_execz .LBB87_44
; %bb.39:
	v_cmp_ngt_f64_e64 s[2:3], |v[176:177]|, |v[178:179]|
                                        ; implicit-def: $vgpr180_vgpr181
	s_and_saveexec_b64 s[10:11], s[2:3]
	s_xor_b64 s[2:3], exec, s[10:11]
                                        ; implicit-def: $vgpr182_vgpr183
	s_cbranch_execz .LBB87_41
; %bb.40:
	v_div_scale_f64 v[180:181], s[10:11], v[178:179], v[178:179], v[176:177]
	v_rcp_f64_e32 v[182:183], v[180:181]
	v_div_scale_f64 v[184:185], vcc, v[176:177], v[178:179], v[176:177]
	v_fma_f64 v[186:187], -v[180:181], v[182:183], 1.0
	v_fmac_f64_e32 v[182:183], v[182:183], v[186:187]
	v_fma_f64 v[186:187], -v[180:181], v[182:183], 1.0
	v_fmac_f64_e32 v[182:183], v[182:183], v[186:187]
	v_mul_f64 v[186:187], v[184:185], v[182:183]
	v_fma_f64 v[180:181], -v[180:181], v[186:187], v[184:185]
	v_div_fmas_f64 v[180:181], v[180:181], v[182:183], v[186:187]
	v_div_fixup_f64 v[180:181], v[180:181], v[178:179], v[176:177]
	v_fmac_f64_e32 v[178:179], v[176:177], v[180:181]
	v_div_scale_f64 v[176:177], s[10:11], v[178:179], v[178:179], 1.0
	v_rcp_f64_e32 v[182:183], v[176:177]
	s_nop 0
	v_fma_f64 v[184:185], -v[176:177], v[182:183], 1.0
	v_fmac_f64_e32 v[182:183], v[182:183], v[184:185]
	v_fma_f64 v[184:185], -v[176:177], v[182:183], 1.0
	v_fmac_f64_e32 v[182:183], v[182:183], v[184:185]
	v_div_scale_f64 v[184:185], vcc, 1.0, v[178:179], 1.0
	v_mul_f64 v[186:187], v[184:185], v[182:183]
	v_fma_f64 v[176:177], -v[176:177], v[186:187], v[184:185]
	s_nop 1
	v_div_fmas_f64 v[176:177], v[176:177], v[182:183], v[186:187]
	v_div_fixup_f64 v[182:183], v[176:177], v[178:179], 1.0
	v_mul_f64 v[180:181], v[180:181], v[182:183]
	v_xor_b32_e32 v183, 0x80000000, v183
                                        ; implicit-def: $vgpr176_vgpr177
.LBB87_41:
	s_andn2_saveexec_b64 s[2:3], s[2:3]
	s_cbranch_execz .LBB87_43
; %bb.42:
	v_div_scale_f64 v[180:181], s[10:11], v[176:177], v[176:177], v[178:179]
	v_rcp_f64_e32 v[182:183], v[180:181]
	v_div_scale_f64 v[184:185], vcc, v[178:179], v[176:177], v[178:179]
	v_fma_f64 v[186:187], -v[180:181], v[182:183], 1.0
	v_fmac_f64_e32 v[182:183], v[182:183], v[186:187]
	v_fma_f64 v[186:187], -v[180:181], v[182:183], 1.0
	v_fmac_f64_e32 v[182:183], v[182:183], v[186:187]
	v_mul_f64 v[186:187], v[184:185], v[182:183]
	v_fma_f64 v[180:181], -v[180:181], v[186:187], v[184:185]
	v_div_fmas_f64 v[180:181], v[180:181], v[182:183], v[186:187]
	v_div_fixup_f64 v[182:183], v[180:181], v[176:177], v[178:179]
	v_fmac_f64_e32 v[176:177], v[178:179], v[182:183]
	v_div_scale_f64 v[178:179], s[10:11], v[176:177], v[176:177], 1.0
	v_rcp_f64_e32 v[180:181], v[178:179]
	s_nop 0
	v_fma_f64 v[184:185], -v[178:179], v[180:181], 1.0
	v_fmac_f64_e32 v[180:181], v[180:181], v[184:185]
	v_fma_f64 v[184:185], -v[178:179], v[180:181], 1.0
	v_fmac_f64_e32 v[180:181], v[180:181], v[184:185]
	v_div_scale_f64 v[184:185], vcc, 1.0, v[176:177], 1.0
	v_mul_f64 v[186:187], v[184:185], v[180:181]
	v_fma_f64 v[178:179], -v[178:179], v[186:187], v[184:185]
	s_nop 1
	v_div_fmas_f64 v[178:179], v[178:179], v[180:181], v[186:187]
	v_div_fixup_f64 v[180:181], v[178:179], v[176:177], 1.0
	v_mul_f64 v[182:183], v[182:183], -v[180:181]
.LBB87_43:
	s_or_b64 exec, exec, s[2:3]
	ds_write2_b64 v192, v[180:181], v[182:183] offset1:1
.LBB87_44:
	s_or_b64 exec, exec, s[4:5]
	s_waitcnt lgkmcnt(0)
	s_barrier
	ds_read2_b64 v[176:179], v192 offset1:1
	v_cmp_lt_u32_e32 vcc, 4, v194
	s_waitcnt lgkmcnt(0)
	scratch_store_dwordx4 off, v[176:179], off offset:224 ; 16-byte Folded Spill
	s_and_saveexec_b64 s[2:3], vcc
	s_cbranch_execz .LBB87_46
; %bb.45:
	scratch_load_dwordx4 v[182:185], off, off offset:128 ; 16-byte Folded Reload
	scratch_load_dwordx4 v[178:181], off, off offset:224 ; 16-byte Folded Reload
	v_mov_b64_e32 v[164:165], v[152:153]
	s_waitcnt vmcnt(0)
	v_mul_f64 v[176:177], v[180:181], v[184:185]
	v_mul_f64 v[184:185], v[178:179], v[184:185]
	v_fma_f64 v[176:177], v[178:179], v[182:183], -v[176:177]
	v_fmac_f64_e32 v[184:185], v[180:181], v[182:183]
	ds_read2_b64 v[178:181], v193 offset0:10 offset1:11
	s_waitcnt lgkmcnt(0)
	v_mul_f64 v[152:153], v[180:181], v[184:185]
	v_fma_f64 v[152:153], v[178:179], v[176:177], -v[152:153]
	v_mul_f64 v[178:179], v[178:179], v[184:185]
	v_fmac_f64_e32 v[178:179], v[180:181], v[176:177]
	scratch_load_dwordx4 v[180:183], off, off offset:112 ; 16-byte Folded Reload
	s_waitcnt vmcnt(0)
	v_add_f64 v[180:181], v[180:181], -v[152:153]
	v_add_f64 v[182:183], v[182:183], -v[178:179]
	scratch_store_dwordx4 off, v[180:183], off offset:112 ; 16-byte Folded Spill
	ds_read2_b64 v[178:181], v193 offset0:12 offset1:13
	s_waitcnt lgkmcnt(0)
	v_mul_f64 v[152:153], v[180:181], v[184:185]
	v_fma_f64 v[152:153], v[178:179], v[176:177], -v[152:153]
	v_mul_f64 v[178:179], v[178:179], v[184:185]
	v_fmac_f64_e32 v[178:179], v[180:181], v[176:177]
	scratch_load_dwordx4 v[180:183], off, off offset:96 ; 16-byte Folded Reload
	s_waitcnt vmcnt(0)
	v_add_f64 v[180:181], v[180:181], -v[152:153]
	v_add_f64 v[182:183], v[182:183], -v[178:179]
	scratch_store_dwordx4 off, v[180:183], off offset:96 ; 16-byte Folded Spill
	;; [unrolled: 11-line block ×7, first 2 shown]
	ds_read2_b64 v[178:181], v193 offset0:24 offset1:25
	s_waitcnt lgkmcnt(0)
	v_mul_f64 v[152:153], v[180:181], v[184:185]
	v_fma_f64 v[152:153], v[178:179], v[176:177], -v[152:153]
	v_mul_f64 v[178:179], v[178:179], v[184:185]
	v_fmac_f64_e32 v[178:179], v[180:181], v[176:177]
	scratch_load_dwordx4 v[180:183], off, off ; 16-byte Folded Reload
	s_waitcnt vmcnt(0)
	v_add_f64 v[180:181], v[180:181], -v[152:153]
	v_add_f64 v[182:183], v[182:183], -v[178:179]
	scratch_store_dwordx4 off, v[180:183], off ; 16-byte Folded Spill
	ds_read2_b64 v[178:181], v193 offset0:26 offset1:27
	s_waitcnt lgkmcnt(0)
	v_mul_f64 v[152:153], v[180:181], v[184:185]
	v_fma_f64 v[152:153], v[178:179], v[176:177], -v[152:153]
	v_mul_f64 v[178:179], v[178:179], v[184:185]
	v_fmac_f64_e32 v[178:179], v[180:181], v[176:177]
	v_add_f64 v[118:119], v[118:119], -v[178:179]
	ds_read2_b64 v[178:181], v193 offset0:28 offset1:29
	v_add_f64 v[116:117], v[116:117], -v[152:153]
	v_mov_b64_e32 v[182:183], v[176:177]
	scratch_store_dwordx4 off, v[182:185], off offset:128 ; 16-byte Folded Spill
	s_waitcnt lgkmcnt(0)
	v_mul_f64 v[152:153], v[180:181], v[184:185]
	v_fma_f64 v[152:153], v[178:179], v[176:177], -v[152:153]
	v_mul_f64 v[178:179], v[178:179], v[184:185]
	v_fmac_f64_e32 v[178:179], v[180:181], v[176:177]
	v_add_f64 v[114:115], v[114:115], -v[178:179]
	ds_read2_b64 v[178:181], v193 offset0:30 offset1:31
	v_add_f64 v[112:113], v[112:113], -v[152:153]
	s_waitcnt lgkmcnt(0)
	v_mul_f64 v[152:153], v[180:181], v[184:185]
	v_fma_f64 v[152:153], v[178:179], v[176:177], -v[152:153]
	v_mul_f64 v[178:179], v[178:179], v[184:185]
	v_fmac_f64_e32 v[178:179], v[180:181], v[176:177]
	v_add_f64 v[110:111], v[110:111], -v[178:179]
	ds_read2_b64 v[178:181], v193 offset0:32 offset1:33
	v_add_f64 v[108:109], v[108:109], -v[152:153]
	;; [unrolled: 8-line block ×29, first 2 shown]
	s_waitcnt lgkmcnt(0)
	v_mul_f64 v[152:153], v[180:181], v[184:185]
	v_fma_f64 v[152:153], v[178:179], v[176:177], -v[152:153]
	v_mul_f64 v[178:179], v[178:179], v[184:185]
	v_fmac_f64_e32 v[178:179], v[180:181], v[176:177]
	v_add_f64 v[172:173], v[172:173], -v[152:153]
	v_mov_b64_e32 v[152:153], v[164:165]
	v_add_f64 v[174:175], v[174:175], -v[178:179]
.LBB87_46:
	s_or_b64 exec, exec, s[2:3]
	v_cmp_eq_u32_e32 vcc, 5, v194
	s_barrier
	s_and_saveexec_b64 s[4:5], vcc
	s_cbranch_execz .LBB87_53
; %bb.47:
	scratch_load_dwordx4 v[176:179], off, off offset:112 ; 16-byte Folded Reload
	s_waitcnt vmcnt(0)
	ds_write2_b64 v192, v[176:177], v[178:179] offset1:1
	scratch_load_dwordx4 v[176:179], off, off offset:96 ; 16-byte Folded Reload
	s_waitcnt vmcnt(0)
	ds_write2_b64 v193, v[176:177], v[178:179] offset0:12 offset1:13
	scratch_load_dwordx4 v[176:179], off, off offset:80 ; 16-byte Folded Reload
	s_waitcnt vmcnt(0)
	ds_write2_b64 v193, v[176:177], v[178:179] offset0:14 offset1:15
	;; [unrolled: 3-line block ×6, first 2 shown]
	scratch_load_dwordx4 v[176:179], off, off ; 16-byte Folded Reload
	s_waitcnt vmcnt(0)
	ds_write2_b64 v193, v[176:177], v[178:179] offset0:24 offset1:25
	ds_write2_b64 v193, v[116:117], v[118:119] offset0:26 offset1:27
	;; [unrolled: 1-line block ×32, first 2 shown]
	ds_read2_b64 v[176:179], v192 offset1:1
	s_waitcnt lgkmcnt(0)
	v_cmp_neq_f64_e32 vcc, 0, v[176:177]
	v_cmp_neq_f64_e64 s[2:3], 0, v[178:179]
	s_or_b64 s[2:3], vcc, s[2:3]
	s_and_b64 exec, exec, s[2:3]
	s_cbranch_execz .LBB87_53
; %bb.48:
	v_cmp_ngt_f64_e64 s[2:3], |v[176:177]|, |v[178:179]|
                                        ; implicit-def: $vgpr180_vgpr181
	s_and_saveexec_b64 s[10:11], s[2:3]
	s_xor_b64 s[2:3], exec, s[10:11]
                                        ; implicit-def: $vgpr182_vgpr183
	s_cbranch_execz .LBB87_50
; %bb.49:
	v_div_scale_f64 v[180:181], s[10:11], v[178:179], v[178:179], v[176:177]
	v_rcp_f64_e32 v[182:183], v[180:181]
	v_div_scale_f64 v[184:185], vcc, v[176:177], v[178:179], v[176:177]
	v_fma_f64 v[186:187], -v[180:181], v[182:183], 1.0
	v_fmac_f64_e32 v[182:183], v[182:183], v[186:187]
	v_fma_f64 v[186:187], -v[180:181], v[182:183], 1.0
	v_fmac_f64_e32 v[182:183], v[182:183], v[186:187]
	v_mul_f64 v[186:187], v[184:185], v[182:183]
	v_fma_f64 v[180:181], -v[180:181], v[186:187], v[184:185]
	v_div_fmas_f64 v[180:181], v[180:181], v[182:183], v[186:187]
	v_div_fixup_f64 v[180:181], v[180:181], v[178:179], v[176:177]
	v_fmac_f64_e32 v[178:179], v[176:177], v[180:181]
	v_div_scale_f64 v[176:177], s[10:11], v[178:179], v[178:179], 1.0
	v_rcp_f64_e32 v[182:183], v[176:177]
	s_nop 0
	v_fma_f64 v[184:185], -v[176:177], v[182:183], 1.0
	v_fmac_f64_e32 v[182:183], v[182:183], v[184:185]
	v_fma_f64 v[184:185], -v[176:177], v[182:183], 1.0
	v_fmac_f64_e32 v[182:183], v[182:183], v[184:185]
	v_div_scale_f64 v[184:185], vcc, 1.0, v[178:179], 1.0
	v_mul_f64 v[186:187], v[184:185], v[182:183]
	v_fma_f64 v[176:177], -v[176:177], v[186:187], v[184:185]
	s_nop 1
	v_div_fmas_f64 v[176:177], v[176:177], v[182:183], v[186:187]
	v_div_fixup_f64 v[182:183], v[176:177], v[178:179], 1.0
	v_mul_f64 v[180:181], v[180:181], v[182:183]
	v_xor_b32_e32 v183, 0x80000000, v183
                                        ; implicit-def: $vgpr176_vgpr177
.LBB87_50:
	s_andn2_saveexec_b64 s[2:3], s[2:3]
	s_cbranch_execz .LBB87_52
; %bb.51:
	v_div_scale_f64 v[180:181], s[10:11], v[176:177], v[176:177], v[178:179]
	v_rcp_f64_e32 v[182:183], v[180:181]
	v_div_scale_f64 v[184:185], vcc, v[178:179], v[176:177], v[178:179]
	v_fma_f64 v[186:187], -v[180:181], v[182:183], 1.0
	v_fmac_f64_e32 v[182:183], v[182:183], v[186:187]
	v_fma_f64 v[186:187], -v[180:181], v[182:183], 1.0
	v_fmac_f64_e32 v[182:183], v[182:183], v[186:187]
	v_mul_f64 v[186:187], v[184:185], v[182:183]
	v_fma_f64 v[180:181], -v[180:181], v[186:187], v[184:185]
	v_div_fmas_f64 v[180:181], v[180:181], v[182:183], v[186:187]
	v_div_fixup_f64 v[182:183], v[180:181], v[176:177], v[178:179]
	v_fmac_f64_e32 v[176:177], v[178:179], v[182:183]
	v_div_scale_f64 v[178:179], s[10:11], v[176:177], v[176:177], 1.0
	v_rcp_f64_e32 v[180:181], v[178:179]
	s_nop 0
	v_fma_f64 v[184:185], -v[178:179], v[180:181], 1.0
	v_fmac_f64_e32 v[180:181], v[180:181], v[184:185]
	v_fma_f64 v[184:185], -v[178:179], v[180:181], 1.0
	v_fmac_f64_e32 v[180:181], v[180:181], v[184:185]
	v_div_scale_f64 v[184:185], vcc, 1.0, v[176:177], 1.0
	v_mul_f64 v[186:187], v[184:185], v[180:181]
	v_fma_f64 v[178:179], -v[178:179], v[186:187], v[184:185]
	s_nop 1
	v_div_fmas_f64 v[178:179], v[178:179], v[180:181], v[186:187]
	v_div_fixup_f64 v[180:181], v[178:179], v[176:177], 1.0
	v_mul_f64 v[182:183], v[182:183], -v[180:181]
.LBB87_52:
	s_or_b64 exec, exec, s[2:3]
	ds_write2_b64 v192, v[180:181], v[182:183] offset1:1
.LBB87_53:
	s_or_b64 exec, exec, s[4:5]
	s_waitcnt lgkmcnt(0)
	s_barrier
	ds_read2_b64 v[176:179], v192 offset1:1
	v_cmp_lt_u32_e32 vcc, 5, v194
	s_waitcnt lgkmcnt(0)
	scratch_store_dwordx4 off, v[176:179], off offset:240 ; 16-byte Folded Spill
	s_and_saveexec_b64 s[2:3], vcc
	s_cbranch_execz .LBB87_55
; %bb.54:
	scratch_load_dwordx4 v[182:185], off, off offset:112 ; 16-byte Folded Reload
	scratch_load_dwordx4 v[178:181], off, off offset:240 ; 16-byte Folded Reload
	v_mov_b64_e32 v[164:165], v[148:149]
	s_waitcnt vmcnt(0)
	v_mul_f64 v[176:177], v[180:181], v[184:185]
	v_mul_f64 v[184:185], v[178:179], v[184:185]
	v_fma_f64 v[176:177], v[178:179], v[182:183], -v[176:177]
	v_fmac_f64_e32 v[184:185], v[180:181], v[182:183]
	ds_read2_b64 v[178:181], v193 offset0:12 offset1:13
	s_waitcnt lgkmcnt(0)
	v_mul_f64 v[148:149], v[180:181], v[184:185]
	v_fma_f64 v[148:149], v[178:179], v[176:177], -v[148:149]
	v_mul_f64 v[178:179], v[178:179], v[184:185]
	v_fmac_f64_e32 v[178:179], v[180:181], v[176:177]
	scratch_load_dwordx4 v[180:183], off, off offset:96 ; 16-byte Folded Reload
	s_waitcnt vmcnt(0)
	v_add_f64 v[180:181], v[180:181], -v[148:149]
	v_add_f64 v[182:183], v[182:183], -v[178:179]
	scratch_store_dwordx4 off, v[180:183], off offset:96 ; 16-byte Folded Spill
	ds_read2_b64 v[178:181], v193 offset0:14 offset1:15
	s_waitcnt lgkmcnt(0)
	v_mul_f64 v[148:149], v[180:181], v[184:185]
	v_fma_f64 v[148:149], v[178:179], v[176:177], -v[148:149]
	v_mul_f64 v[178:179], v[178:179], v[184:185]
	v_fmac_f64_e32 v[178:179], v[180:181], v[176:177]
	scratch_load_dwordx4 v[180:183], off, off offset:80 ; 16-byte Folded Reload
	s_waitcnt vmcnt(0)
	v_add_f64 v[180:181], v[180:181], -v[148:149]
	v_add_f64 v[182:183], v[182:183], -v[178:179]
	scratch_store_dwordx4 off, v[180:183], off offset:80 ; 16-byte Folded Spill
	;; [unrolled: 11-line block ×6, first 2 shown]
	ds_read2_b64 v[178:181], v193 offset0:24 offset1:25
	s_waitcnt lgkmcnt(0)
	v_mul_f64 v[148:149], v[180:181], v[184:185]
	v_fma_f64 v[148:149], v[178:179], v[176:177], -v[148:149]
	v_mul_f64 v[178:179], v[178:179], v[184:185]
	v_fmac_f64_e32 v[178:179], v[180:181], v[176:177]
	scratch_load_dwordx4 v[180:183], off, off ; 16-byte Folded Reload
	s_waitcnt vmcnt(0)
	v_add_f64 v[180:181], v[180:181], -v[148:149]
	v_add_f64 v[182:183], v[182:183], -v[178:179]
	scratch_store_dwordx4 off, v[180:183], off ; 16-byte Folded Spill
	ds_read2_b64 v[178:181], v193 offset0:26 offset1:27
	s_waitcnt lgkmcnt(0)
	v_mul_f64 v[148:149], v[180:181], v[184:185]
	v_fma_f64 v[148:149], v[178:179], v[176:177], -v[148:149]
	v_mul_f64 v[178:179], v[178:179], v[184:185]
	v_fmac_f64_e32 v[178:179], v[180:181], v[176:177]
	v_add_f64 v[118:119], v[118:119], -v[178:179]
	ds_read2_b64 v[178:181], v193 offset0:28 offset1:29
	v_add_f64 v[116:117], v[116:117], -v[148:149]
	v_mov_b64_e32 v[182:183], v[176:177]
	scratch_store_dwordx4 off, v[182:185], off offset:112 ; 16-byte Folded Spill
	s_waitcnt lgkmcnt(0)
	v_mul_f64 v[148:149], v[180:181], v[184:185]
	v_fma_f64 v[148:149], v[178:179], v[176:177], -v[148:149]
	v_mul_f64 v[178:179], v[178:179], v[184:185]
	v_fmac_f64_e32 v[178:179], v[180:181], v[176:177]
	v_add_f64 v[114:115], v[114:115], -v[178:179]
	ds_read2_b64 v[178:181], v193 offset0:30 offset1:31
	v_add_f64 v[112:113], v[112:113], -v[148:149]
	s_waitcnt lgkmcnt(0)
	v_mul_f64 v[148:149], v[180:181], v[184:185]
	v_fma_f64 v[148:149], v[178:179], v[176:177], -v[148:149]
	v_mul_f64 v[178:179], v[178:179], v[184:185]
	v_fmac_f64_e32 v[178:179], v[180:181], v[176:177]
	v_add_f64 v[110:111], v[110:111], -v[178:179]
	ds_read2_b64 v[178:181], v193 offset0:32 offset1:33
	v_add_f64 v[108:109], v[108:109], -v[148:149]
	;; [unrolled: 8-line block ×29, first 2 shown]
	s_waitcnt lgkmcnt(0)
	v_mul_f64 v[148:149], v[180:181], v[184:185]
	v_fma_f64 v[148:149], v[178:179], v[176:177], -v[148:149]
	v_mul_f64 v[178:179], v[178:179], v[184:185]
	v_fmac_f64_e32 v[178:179], v[180:181], v[176:177]
	v_add_f64 v[172:173], v[172:173], -v[148:149]
	v_mov_b64_e32 v[148:149], v[164:165]
	v_add_f64 v[174:175], v[174:175], -v[178:179]
.LBB87_55:
	s_or_b64 exec, exec, s[2:3]
	v_cmp_eq_u32_e32 vcc, 6, v194
	s_barrier
	s_and_saveexec_b64 s[4:5], vcc
	s_cbranch_execz .LBB87_62
; %bb.56:
	scratch_load_dwordx4 v[176:179], off, off offset:96 ; 16-byte Folded Reload
	s_waitcnt vmcnt(0)
	ds_write2_b64 v192, v[176:177], v[178:179] offset1:1
	scratch_load_dwordx4 v[176:179], off, off offset:80 ; 16-byte Folded Reload
	s_waitcnt vmcnt(0)
	ds_write2_b64 v193, v[176:177], v[178:179] offset0:14 offset1:15
	scratch_load_dwordx4 v[176:179], off, off offset:64 ; 16-byte Folded Reload
	s_waitcnt vmcnt(0)
	ds_write2_b64 v193, v[176:177], v[178:179] offset0:16 offset1:17
	;; [unrolled: 3-line block ×5, first 2 shown]
	scratch_load_dwordx4 v[176:179], off, off ; 16-byte Folded Reload
	s_waitcnt vmcnt(0)
	ds_write2_b64 v193, v[176:177], v[178:179] offset0:24 offset1:25
	ds_write2_b64 v193, v[116:117], v[118:119] offset0:26 offset1:27
	;; [unrolled: 1-line block ×32, first 2 shown]
	ds_read2_b64 v[176:179], v192 offset1:1
	s_waitcnt lgkmcnt(0)
	v_cmp_neq_f64_e32 vcc, 0, v[176:177]
	v_cmp_neq_f64_e64 s[2:3], 0, v[178:179]
	s_or_b64 s[2:3], vcc, s[2:3]
	s_and_b64 exec, exec, s[2:3]
	s_cbranch_execz .LBB87_62
; %bb.57:
	v_cmp_ngt_f64_e64 s[2:3], |v[176:177]|, |v[178:179]|
                                        ; implicit-def: $vgpr180_vgpr181
	s_and_saveexec_b64 s[10:11], s[2:3]
	s_xor_b64 s[2:3], exec, s[10:11]
                                        ; implicit-def: $vgpr182_vgpr183
	s_cbranch_execz .LBB87_59
; %bb.58:
	v_div_scale_f64 v[180:181], s[10:11], v[178:179], v[178:179], v[176:177]
	v_rcp_f64_e32 v[182:183], v[180:181]
	v_div_scale_f64 v[184:185], vcc, v[176:177], v[178:179], v[176:177]
	v_fma_f64 v[186:187], -v[180:181], v[182:183], 1.0
	v_fmac_f64_e32 v[182:183], v[182:183], v[186:187]
	v_fma_f64 v[186:187], -v[180:181], v[182:183], 1.0
	v_fmac_f64_e32 v[182:183], v[182:183], v[186:187]
	v_mul_f64 v[186:187], v[184:185], v[182:183]
	v_fma_f64 v[180:181], -v[180:181], v[186:187], v[184:185]
	v_div_fmas_f64 v[180:181], v[180:181], v[182:183], v[186:187]
	v_div_fixup_f64 v[180:181], v[180:181], v[178:179], v[176:177]
	v_fmac_f64_e32 v[178:179], v[176:177], v[180:181]
	v_div_scale_f64 v[176:177], s[10:11], v[178:179], v[178:179], 1.0
	v_rcp_f64_e32 v[182:183], v[176:177]
	s_nop 0
	v_fma_f64 v[184:185], -v[176:177], v[182:183], 1.0
	v_fmac_f64_e32 v[182:183], v[182:183], v[184:185]
	v_fma_f64 v[184:185], -v[176:177], v[182:183], 1.0
	v_fmac_f64_e32 v[182:183], v[182:183], v[184:185]
	v_div_scale_f64 v[184:185], vcc, 1.0, v[178:179], 1.0
	v_mul_f64 v[186:187], v[184:185], v[182:183]
	v_fma_f64 v[176:177], -v[176:177], v[186:187], v[184:185]
	s_nop 1
	v_div_fmas_f64 v[176:177], v[176:177], v[182:183], v[186:187]
	v_div_fixup_f64 v[182:183], v[176:177], v[178:179], 1.0
	v_mul_f64 v[180:181], v[180:181], v[182:183]
	v_xor_b32_e32 v183, 0x80000000, v183
                                        ; implicit-def: $vgpr176_vgpr177
.LBB87_59:
	s_andn2_saveexec_b64 s[2:3], s[2:3]
	s_cbranch_execz .LBB87_61
; %bb.60:
	v_div_scale_f64 v[180:181], s[10:11], v[176:177], v[176:177], v[178:179]
	v_rcp_f64_e32 v[182:183], v[180:181]
	v_div_scale_f64 v[184:185], vcc, v[178:179], v[176:177], v[178:179]
	v_fma_f64 v[186:187], -v[180:181], v[182:183], 1.0
	v_fmac_f64_e32 v[182:183], v[182:183], v[186:187]
	v_fma_f64 v[186:187], -v[180:181], v[182:183], 1.0
	v_fmac_f64_e32 v[182:183], v[182:183], v[186:187]
	v_mul_f64 v[186:187], v[184:185], v[182:183]
	v_fma_f64 v[180:181], -v[180:181], v[186:187], v[184:185]
	v_div_fmas_f64 v[180:181], v[180:181], v[182:183], v[186:187]
	v_div_fixup_f64 v[182:183], v[180:181], v[176:177], v[178:179]
	v_fmac_f64_e32 v[176:177], v[178:179], v[182:183]
	v_div_scale_f64 v[178:179], s[10:11], v[176:177], v[176:177], 1.0
	v_rcp_f64_e32 v[180:181], v[178:179]
	s_nop 0
	v_fma_f64 v[184:185], -v[178:179], v[180:181], 1.0
	v_fmac_f64_e32 v[180:181], v[180:181], v[184:185]
	v_fma_f64 v[184:185], -v[178:179], v[180:181], 1.0
	v_fmac_f64_e32 v[180:181], v[180:181], v[184:185]
	v_div_scale_f64 v[184:185], vcc, 1.0, v[176:177], 1.0
	v_mul_f64 v[186:187], v[184:185], v[180:181]
	v_fma_f64 v[178:179], -v[178:179], v[186:187], v[184:185]
	s_nop 1
	v_div_fmas_f64 v[178:179], v[178:179], v[180:181], v[186:187]
	v_div_fixup_f64 v[180:181], v[178:179], v[176:177], 1.0
	v_mul_f64 v[182:183], v[182:183], -v[180:181]
.LBB87_61:
	s_or_b64 exec, exec, s[2:3]
	ds_write2_b64 v192, v[180:181], v[182:183] offset1:1
.LBB87_62:
	s_or_b64 exec, exec, s[4:5]
	s_waitcnt lgkmcnt(0)
	s_barrier
	ds_read2_b64 v[176:179], v192 offset1:1
	v_cmp_lt_u32_e32 vcc, 6, v194
	s_waitcnt lgkmcnt(0)
	scratch_store_dwordx4 off, v[176:179], off offset:256 ; 16-byte Folded Spill
	s_and_saveexec_b64 s[2:3], vcc
	s_cbranch_execz .LBB87_64
; %bb.63:
	scratch_load_dwordx4 v[182:185], off, off offset:96 ; 16-byte Folded Reload
	scratch_load_dwordx4 v[178:181], off, off offset:256 ; 16-byte Folded Reload
	v_mov_b64_e32 v[164:165], v[144:145]
	s_waitcnt vmcnt(0)
	v_mul_f64 v[176:177], v[180:181], v[184:185]
	v_mul_f64 v[184:185], v[178:179], v[184:185]
	v_fma_f64 v[176:177], v[178:179], v[182:183], -v[176:177]
	v_fmac_f64_e32 v[184:185], v[180:181], v[182:183]
	ds_read2_b64 v[178:181], v193 offset0:14 offset1:15
	s_waitcnt lgkmcnt(0)
	v_mul_f64 v[144:145], v[180:181], v[184:185]
	v_fma_f64 v[144:145], v[178:179], v[176:177], -v[144:145]
	v_mul_f64 v[178:179], v[178:179], v[184:185]
	v_fmac_f64_e32 v[178:179], v[180:181], v[176:177]
	scratch_load_dwordx4 v[180:183], off, off offset:80 ; 16-byte Folded Reload
	s_waitcnt vmcnt(0)
	v_add_f64 v[180:181], v[180:181], -v[144:145]
	v_add_f64 v[182:183], v[182:183], -v[178:179]
	scratch_store_dwordx4 off, v[180:183], off offset:80 ; 16-byte Folded Spill
	ds_read2_b64 v[178:181], v193 offset0:16 offset1:17
	s_waitcnt lgkmcnt(0)
	v_mul_f64 v[144:145], v[180:181], v[184:185]
	v_fma_f64 v[144:145], v[178:179], v[176:177], -v[144:145]
	v_mul_f64 v[178:179], v[178:179], v[184:185]
	v_fmac_f64_e32 v[178:179], v[180:181], v[176:177]
	scratch_load_dwordx4 v[180:183], off, off offset:64 ; 16-byte Folded Reload
	s_waitcnt vmcnt(0)
	v_add_f64 v[180:181], v[180:181], -v[144:145]
	v_add_f64 v[182:183], v[182:183], -v[178:179]
	scratch_store_dwordx4 off, v[180:183], off offset:64 ; 16-byte Folded Spill
	;; [unrolled: 11-line block ×5, first 2 shown]
	ds_read2_b64 v[178:181], v193 offset0:24 offset1:25
	s_waitcnt lgkmcnt(0)
	v_mul_f64 v[144:145], v[180:181], v[184:185]
	v_fma_f64 v[144:145], v[178:179], v[176:177], -v[144:145]
	v_mul_f64 v[178:179], v[178:179], v[184:185]
	v_fmac_f64_e32 v[178:179], v[180:181], v[176:177]
	scratch_load_dwordx4 v[180:183], off, off ; 16-byte Folded Reload
	s_waitcnt vmcnt(0)
	v_add_f64 v[180:181], v[180:181], -v[144:145]
	v_add_f64 v[182:183], v[182:183], -v[178:179]
	scratch_store_dwordx4 off, v[180:183], off ; 16-byte Folded Spill
	ds_read2_b64 v[178:181], v193 offset0:26 offset1:27
	s_waitcnt lgkmcnt(0)
	v_mul_f64 v[144:145], v[180:181], v[184:185]
	v_fma_f64 v[144:145], v[178:179], v[176:177], -v[144:145]
	v_mul_f64 v[178:179], v[178:179], v[184:185]
	v_fmac_f64_e32 v[178:179], v[180:181], v[176:177]
	v_add_f64 v[118:119], v[118:119], -v[178:179]
	ds_read2_b64 v[178:181], v193 offset0:28 offset1:29
	v_add_f64 v[116:117], v[116:117], -v[144:145]
	v_mov_b64_e32 v[182:183], v[176:177]
	scratch_store_dwordx4 off, v[182:185], off offset:96 ; 16-byte Folded Spill
	s_waitcnt lgkmcnt(0)
	v_mul_f64 v[144:145], v[180:181], v[184:185]
	v_fma_f64 v[144:145], v[178:179], v[176:177], -v[144:145]
	v_mul_f64 v[178:179], v[178:179], v[184:185]
	v_fmac_f64_e32 v[178:179], v[180:181], v[176:177]
	v_add_f64 v[114:115], v[114:115], -v[178:179]
	ds_read2_b64 v[178:181], v193 offset0:30 offset1:31
	v_add_f64 v[112:113], v[112:113], -v[144:145]
	s_waitcnt lgkmcnt(0)
	v_mul_f64 v[144:145], v[180:181], v[184:185]
	v_fma_f64 v[144:145], v[178:179], v[176:177], -v[144:145]
	v_mul_f64 v[178:179], v[178:179], v[184:185]
	v_fmac_f64_e32 v[178:179], v[180:181], v[176:177]
	v_add_f64 v[110:111], v[110:111], -v[178:179]
	ds_read2_b64 v[178:181], v193 offset0:32 offset1:33
	v_add_f64 v[108:109], v[108:109], -v[144:145]
	;; [unrolled: 8-line block ×29, first 2 shown]
	s_waitcnt lgkmcnt(0)
	v_mul_f64 v[144:145], v[180:181], v[184:185]
	v_fma_f64 v[144:145], v[178:179], v[176:177], -v[144:145]
	v_mul_f64 v[178:179], v[178:179], v[184:185]
	v_fmac_f64_e32 v[178:179], v[180:181], v[176:177]
	v_add_f64 v[172:173], v[172:173], -v[144:145]
	v_mov_b64_e32 v[144:145], v[164:165]
	v_add_f64 v[174:175], v[174:175], -v[178:179]
.LBB87_64:
	s_or_b64 exec, exec, s[2:3]
	v_cmp_eq_u32_e32 vcc, 7, v194
	s_barrier
	s_and_saveexec_b64 s[4:5], vcc
	s_cbranch_execz .LBB87_71
; %bb.65:
	scratch_load_dwordx4 v[176:179], off, off offset:80 ; 16-byte Folded Reload
	s_waitcnt vmcnt(0)
	ds_write2_b64 v192, v[176:177], v[178:179] offset1:1
	scratch_load_dwordx4 v[176:179], off, off offset:64 ; 16-byte Folded Reload
	s_waitcnt vmcnt(0)
	ds_write2_b64 v193, v[176:177], v[178:179] offset0:16 offset1:17
	scratch_load_dwordx4 v[176:179], off, off offset:48 ; 16-byte Folded Reload
	s_waitcnt vmcnt(0)
	ds_write2_b64 v193, v[176:177], v[178:179] offset0:18 offset1:19
	;; [unrolled: 3-line block ×4, first 2 shown]
	scratch_load_dwordx4 v[176:179], off, off ; 16-byte Folded Reload
	s_waitcnt vmcnt(0)
	ds_write2_b64 v193, v[176:177], v[178:179] offset0:24 offset1:25
	ds_write2_b64 v193, v[116:117], v[118:119] offset0:26 offset1:27
	;; [unrolled: 1-line block ×32, first 2 shown]
	ds_read2_b64 v[176:179], v192 offset1:1
	s_waitcnt lgkmcnt(0)
	v_cmp_neq_f64_e32 vcc, 0, v[176:177]
	v_cmp_neq_f64_e64 s[2:3], 0, v[178:179]
	s_or_b64 s[2:3], vcc, s[2:3]
	s_and_b64 exec, exec, s[2:3]
	s_cbranch_execz .LBB87_71
; %bb.66:
	v_cmp_ngt_f64_e64 s[2:3], |v[176:177]|, |v[178:179]|
                                        ; implicit-def: $vgpr180_vgpr181
	s_and_saveexec_b64 s[10:11], s[2:3]
	s_xor_b64 s[2:3], exec, s[10:11]
                                        ; implicit-def: $vgpr182_vgpr183
	s_cbranch_execz .LBB87_68
; %bb.67:
	v_div_scale_f64 v[180:181], s[10:11], v[178:179], v[178:179], v[176:177]
	v_rcp_f64_e32 v[182:183], v[180:181]
	v_div_scale_f64 v[184:185], vcc, v[176:177], v[178:179], v[176:177]
	v_fma_f64 v[186:187], -v[180:181], v[182:183], 1.0
	v_fmac_f64_e32 v[182:183], v[182:183], v[186:187]
	v_fma_f64 v[186:187], -v[180:181], v[182:183], 1.0
	v_fmac_f64_e32 v[182:183], v[182:183], v[186:187]
	v_mul_f64 v[186:187], v[184:185], v[182:183]
	v_fma_f64 v[180:181], -v[180:181], v[186:187], v[184:185]
	v_div_fmas_f64 v[180:181], v[180:181], v[182:183], v[186:187]
	v_div_fixup_f64 v[180:181], v[180:181], v[178:179], v[176:177]
	v_fmac_f64_e32 v[178:179], v[176:177], v[180:181]
	v_div_scale_f64 v[176:177], s[10:11], v[178:179], v[178:179], 1.0
	v_rcp_f64_e32 v[182:183], v[176:177]
	s_nop 0
	v_fma_f64 v[184:185], -v[176:177], v[182:183], 1.0
	v_fmac_f64_e32 v[182:183], v[182:183], v[184:185]
	v_fma_f64 v[184:185], -v[176:177], v[182:183], 1.0
	v_fmac_f64_e32 v[182:183], v[182:183], v[184:185]
	v_div_scale_f64 v[184:185], vcc, 1.0, v[178:179], 1.0
	v_mul_f64 v[186:187], v[184:185], v[182:183]
	v_fma_f64 v[176:177], -v[176:177], v[186:187], v[184:185]
	s_nop 1
	v_div_fmas_f64 v[176:177], v[176:177], v[182:183], v[186:187]
	v_div_fixup_f64 v[182:183], v[176:177], v[178:179], 1.0
	v_mul_f64 v[180:181], v[180:181], v[182:183]
	v_xor_b32_e32 v183, 0x80000000, v183
                                        ; implicit-def: $vgpr176_vgpr177
.LBB87_68:
	s_andn2_saveexec_b64 s[2:3], s[2:3]
	s_cbranch_execz .LBB87_70
; %bb.69:
	v_div_scale_f64 v[180:181], s[10:11], v[176:177], v[176:177], v[178:179]
	v_rcp_f64_e32 v[182:183], v[180:181]
	v_div_scale_f64 v[184:185], vcc, v[178:179], v[176:177], v[178:179]
	v_fma_f64 v[186:187], -v[180:181], v[182:183], 1.0
	v_fmac_f64_e32 v[182:183], v[182:183], v[186:187]
	v_fma_f64 v[186:187], -v[180:181], v[182:183], 1.0
	v_fmac_f64_e32 v[182:183], v[182:183], v[186:187]
	v_mul_f64 v[186:187], v[184:185], v[182:183]
	v_fma_f64 v[180:181], -v[180:181], v[186:187], v[184:185]
	v_div_fmas_f64 v[180:181], v[180:181], v[182:183], v[186:187]
	v_div_fixup_f64 v[182:183], v[180:181], v[176:177], v[178:179]
	v_fmac_f64_e32 v[176:177], v[178:179], v[182:183]
	v_div_scale_f64 v[178:179], s[10:11], v[176:177], v[176:177], 1.0
	v_rcp_f64_e32 v[180:181], v[178:179]
	s_nop 0
	v_fma_f64 v[184:185], -v[178:179], v[180:181], 1.0
	v_fmac_f64_e32 v[180:181], v[180:181], v[184:185]
	v_fma_f64 v[184:185], -v[178:179], v[180:181], 1.0
	v_fmac_f64_e32 v[180:181], v[180:181], v[184:185]
	v_div_scale_f64 v[184:185], vcc, 1.0, v[176:177], 1.0
	v_mul_f64 v[186:187], v[184:185], v[180:181]
	v_fma_f64 v[178:179], -v[178:179], v[186:187], v[184:185]
	s_nop 1
	v_div_fmas_f64 v[178:179], v[178:179], v[180:181], v[186:187]
	v_div_fixup_f64 v[180:181], v[178:179], v[176:177], 1.0
	v_mul_f64 v[182:183], v[182:183], -v[180:181]
.LBB87_70:
	s_or_b64 exec, exec, s[2:3]
	ds_write2_b64 v192, v[180:181], v[182:183] offset1:1
.LBB87_71:
	s_or_b64 exec, exec, s[4:5]
	s_waitcnt lgkmcnt(0)
	s_barrier
	ds_read2_b64 v[176:179], v192 offset1:1
	v_cmp_lt_u32_e32 vcc, 7, v194
	s_waitcnt lgkmcnt(0)
	scratch_store_dwordx4 off, v[176:179], off offset:272 ; 16-byte Folded Spill
	s_and_saveexec_b64 s[2:3], vcc
	s_cbranch_execz .LBB87_73
; %bb.72:
	scratch_load_dwordx4 v[182:185], off, off offset:80 ; 16-byte Folded Reload
	scratch_load_dwordx4 v[178:181], off, off offset:272 ; 16-byte Folded Reload
	v_mov_b64_e32 v[164:165], v[140:141]
	s_waitcnt vmcnt(0)
	v_mul_f64 v[176:177], v[180:181], v[184:185]
	v_mul_f64 v[184:185], v[178:179], v[184:185]
	v_fma_f64 v[176:177], v[178:179], v[182:183], -v[176:177]
	v_fmac_f64_e32 v[184:185], v[180:181], v[182:183]
	ds_read2_b64 v[178:181], v193 offset0:16 offset1:17
	s_waitcnt lgkmcnt(0)
	v_mul_f64 v[140:141], v[180:181], v[184:185]
	v_fma_f64 v[140:141], v[178:179], v[176:177], -v[140:141]
	v_mul_f64 v[178:179], v[178:179], v[184:185]
	v_fmac_f64_e32 v[178:179], v[180:181], v[176:177]
	scratch_load_dwordx4 v[180:183], off, off offset:64 ; 16-byte Folded Reload
	s_waitcnt vmcnt(0)
	v_add_f64 v[180:181], v[180:181], -v[140:141]
	v_add_f64 v[182:183], v[182:183], -v[178:179]
	scratch_store_dwordx4 off, v[180:183], off offset:64 ; 16-byte Folded Spill
	ds_read2_b64 v[178:181], v193 offset0:18 offset1:19
	s_waitcnt lgkmcnt(0)
	v_mul_f64 v[140:141], v[180:181], v[184:185]
	v_fma_f64 v[140:141], v[178:179], v[176:177], -v[140:141]
	v_mul_f64 v[178:179], v[178:179], v[184:185]
	v_fmac_f64_e32 v[178:179], v[180:181], v[176:177]
	scratch_load_dwordx4 v[180:183], off, off offset:48 ; 16-byte Folded Reload
	s_waitcnt vmcnt(0)
	v_add_f64 v[180:181], v[180:181], -v[140:141]
	v_add_f64 v[182:183], v[182:183], -v[178:179]
	scratch_store_dwordx4 off, v[180:183], off offset:48 ; 16-byte Folded Spill
	;; [unrolled: 11-line block ×4, first 2 shown]
	ds_read2_b64 v[178:181], v193 offset0:24 offset1:25
	s_waitcnt lgkmcnt(0)
	v_mul_f64 v[140:141], v[180:181], v[184:185]
	v_fma_f64 v[140:141], v[178:179], v[176:177], -v[140:141]
	v_mul_f64 v[178:179], v[178:179], v[184:185]
	v_fmac_f64_e32 v[178:179], v[180:181], v[176:177]
	scratch_load_dwordx4 v[180:183], off, off ; 16-byte Folded Reload
	s_waitcnt vmcnt(0)
	v_add_f64 v[180:181], v[180:181], -v[140:141]
	v_add_f64 v[182:183], v[182:183], -v[178:179]
	scratch_store_dwordx4 off, v[180:183], off ; 16-byte Folded Spill
	ds_read2_b64 v[178:181], v193 offset0:26 offset1:27
	s_waitcnt lgkmcnt(0)
	v_mul_f64 v[140:141], v[180:181], v[184:185]
	v_fma_f64 v[140:141], v[178:179], v[176:177], -v[140:141]
	v_mul_f64 v[178:179], v[178:179], v[184:185]
	v_fmac_f64_e32 v[178:179], v[180:181], v[176:177]
	v_add_f64 v[118:119], v[118:119], -v[178:179]
	ds_read2_b64 v[178:181], v193 offset0:28 offset1:29
	v_add_f64 v[116:117], v[116:117], -v[140:141]
	v_mov_b64_e32 v[182:183], v[176:177]
	scratch_store_dwordx4 off, v[182:185], off offset:80 ; 16-byte Folded Spill
	s_waitcnt lgkmcnt(0)
	v_mul_f64 v[140:141], v[180:181], v[184:185]
	v_fma_f64 v[140:141], v[178:179], v[176:177], -v[140:141]
	v_mul_f64 v[178:179], v[178:179], v[184:185]
	v_fmac_f64_e32 v[178:179], v[180:181], v[176:177]
	v_add_f64 v[114:115], v[114:115], -v[178:179]
	ds_read2_b64 v[178:181], v193 offset0:30 offset1:31
	v_add_f64 v[112:113], v[112:113], -v[140:141]
	s_waitcnt lgkmcnt(0)
	v_mul_f64 v[140:141], v[180:181], v[184:185]
	v_fma_f64 v[140:141], v[178:179], v[176:177], -v[140:141]
	v_mul_f64 v[178:179], v[178:179], v[184:185]
	v_fmac_f64_e32 v[178:179], v[180:181], v[176:177]
	v_add_f64 v[110:111], v[110:111], -v[178:179]
	ds_read2_b64 v[178:181], v193 offset0:32 offset1:33
	v_add_f64 v[108:109], v[108:109], -v[140:141]
	;; [unrolled: 8-line block ×29, first 2 shown]
	s_waitcnt lgkmcnt(0)
	v_mul_f64 v[140:141], v[180:181], v[184:185]
	v_fma_f64 v[140:141], v[178:179], v[176:177], -v[140:141]
	v_mul_f64 v[178:179], v[178:179], v[184:185]
	v_fmac_f64_e32 v[178:179], v[180:181], v[176:177]
	v_add_f64 v[172:173], v[172:173], -v[140:141]
	v_mov_b64_e32 v[140:141], v[164:165]
	v_add_f64 v[174:175], v[174:175], -v[178:179]
.LBB87_73:
	s_or_b64 exec, exec, s[2:3]
	v_cmp_eq_u32_e32 vcc, 8, v194
	s_barrier
	s_and_saveexec_b64 s[4:5], vcc
	s_cbranch_execz .LBB87_80
; %bb.74:
	scratch_load_dwordx4 v[176:179], off, off offset:64 ; 16-byte Folded Reload
	s_waitcnt vmcnt(0)
	ds_write2_b64 v192, v[176:177], v[178:179] offset1:1
	scratch_load_dwordx4 v[176:179], off, off offset:48 ; 16-byte Folded Reload
	s_waitcnt vmcnt(0)
	ds_write2_b64 v193, v[176:177], v[178:179] offset0:18 offset1:19
	scratch_load_dwordx4 v[176:179], off, off offset:32 ; 16-byte Folded Reload
	s_waitcnt vmcnt(0)
	ds_write2_b64 v193, v[176:177], v[178:179] offset0:20 offset1:21
	;; [unrolled: 3-line block ×3, first 2 shown]
	scratch_load_dwordx4 v[176:179], off, off ; 16-byte Folded Reload
	s_waitcnt vmcnt(0)
	ds_write2_b64 v193, v[176:177], v[178:179] offset0:24 offset1:25
	ds_write2_b64 v193, v[116:117], v[118:119] offset0:26 offset1:27
	;; [unrolled: 1-line block ×32, first 2 shown]
	ds_read2_b64 v[176:179], v192 offset1:1
	s_waitcnt lgkmcnt(0)
	v_cmp_neq_f64_e32 vcc, 0, v[176:177]
	v_cmp_neq_f64_e64 s[2:3], 0, v[178:179]
	s_or_b64 s[2:3], vcc, s[2:3]
	s_and_b64 exec, exec, s[2:3]
	s_cbranch_execz .LBB87_80
; %bb.75:
	v_cmp_ngt_f64_e64 s[2:3], |v[176:177]|, |v[178:179]|
                                        ; implicit-def: $vgpr180_vgpr181
	s_and_saveexec_b64 s[10:11], s[2:3]
	s_xor_b64 s[2:3], exec, s[10:11]
                                        ; implicit-def: $vgpr182_vgpr183
	s_cbranch_execz .LBB87_77
; %bb.76:
	v_div_scale_f64 v[180:181], s[10:11], v[178:179], v[178:179], v[176:177]
	v_rcp_f64_e32 v[182:183], v[180:181]
	v_div_scale_f64 v[184:185], vcc, v[176:177], v[178:179], v[176:177]
	v_fma_f64 v[186:187], -v[180:181], v[182:183], 1.0
	v_fmac_f64_e32 v[182:183], v[182:183], v[186:187]
	v_fma_f64 v[186:187], -v[180:181], v[182:183], 1.0
	v_fmac_f64_e32 v[182:183], v[182:183], v[186:187]
	v_mul_f64 v[186:187], v[184:185], v[182:183]
	v_fma_f64 v[180:181], -v[180:181], v[186:187], v[184:185]
	v_div_fmas_f64 v[180:181], v[180:181], v[182:183], v[186:187]
	v_div_fixup_f64 v[180:181], v[180:181], v[178:179], v[176:177]
	v_fmac_f64_e32 v[178:179], v[176:177], v[180:181]
	v_div_scale_f64 v[176:177], s[10:11], v[178:179], v[178:179], 1.0
	v_rcp_f64_e32 v[182:183], v[176:177]
	s_nop 0
	v_fma_f64 v[184:185], -v[176:177], v[182:183], 1.0
	v_fmac_f64_e32 v[182:183], v[182:183], v[184:185]
	v_fma_f64 v[184:185], -v[176:177], v[182:183], 1.0
	v_fmac_f64_e32 v[182:183], v[182:183], v[184:185]
	v_div_scale_f64 v[184:185], vcc, 1.0, v[178:179], 1.0
	v_mul_f64 v[186:187], v[184:185], v[182:183]
	v_fma_f64 v[176:177], -v[176:177], v[186:187], v[184:185]
	s_nop 1
	v_div_fmas_f64 v[176:177], v[176:177], v[182:183], v[186:187]
	v_div_fixup_f64 v[182:183], v[176:177], v[178:179], 1.0
	v_mul_f64 v[180:181], v[180:181], v[182:183]
	v_xor_b32_e32 v183, 0x80000000, v183
                                        ; implicit-def: $vgpr176_vgpr177
.LBB87_77:
	s_andn2_saveexec_b64 s[2:3], s[2:3]
	s_cbranch_execz .LBB87_79
; %bb.78:
	v_div_scale_f64 v[180:181], s[10:11], v[176:177], v[176:177], v[178:179]
	v_rcp_f64_e32 v[182:183], v[180:181]
	v_div_scale_f64 v[184:185], vcc, v[178:179], v[176:177], v[178:179]
	v_fma_f64 v[186:187], -v[180:181], v[182:183], 1.0
	v_fmac_f64_e32 v[182:183], v[182:183], v[186:187]
	v_fma_f64 v[186:187], -v[180:181], v[182:183], 1.0
	v_fmac_f64_e32 v[182:183], v[182:183], v[186:187]
	v_mul_f64 v[186:187], v[184:185], v[182:183]
	v_fma_f64 v[180:181], -v[180:181], v[186:187], v[184:185]
	v_div_fmas_f64 v[180:181], v[180:181], v[182:183], v[186:187]
	v_div_fixup_f64 v[182:183], v[180:181], v[176:177], v[178:179]
	v_fmac_f64_e32 v[176:177], v[178:179], v[182:183]
	v_div_scale_f64 v[178:179], s[10:11], v[176:177], v[176:177], 1.0
	v_rcp_f64_e32 v[180:181], v[178:179]
	s_nop 0
	v_fma_f64 v[184:185], -v[178:179], v[180:181], 1.0
	v_fmac_f64_e32 v[180:181], v[180:181], v[184:185]
	v_fma_f64 v[184:185], -v[178:179], v[180:181], 1.0
	v_fmac_f64_e32 v[180:181], v[180:181], v[184:185]
	v_div_scale_f64 v[184:185], vcc, 1.0, v[176:177], 1.0
	v_mul_f64 v[186:187], v[184:185], v[180:181]
	v_fma_f64 v[178:179], -v[178:179], v[186:187], v[184:185]
	s_nop 1
	v_div_fmas_f64 v[178:179], v[178:179], v[180:181], v[186:187]
	v_div_fixup_f64 v[180:181], v[178:179], v[176:177], 1.0
	v_mul_f64 v[182:183], v[182:183], -v[180:181]
.LBB87_79:
	s_or_b64 exec, exec, s[2:3]
	ds_write2_b64 v192, v[180:181], v[182:183] offset1:1
.LBB87_80:
	s_or_b64 exec, exec, s[4:5]
	s_waitcnt lgkmcnt(0)
	s_barrier
	ds_read2_b64 v[176:179], v192 offset1:1
	v_cmp_lt_u32_e32 vcc, 8, v194
	s_waitcnt lgkmcnt(0)
	scratch_store_dwordx4 off, v[176:179], off offset:288 ; 16-byte Folded Spill
	s_and_saveexec_b64 s[2:3], vcc
	s_cbranch_execz .LBB87_82
; %bb.81:
	scratch_load_dwordx4 v[182:185], off, off offset:64 ; 16-byte Folded Reload
	scratch_load_dwordx4 v[178:181], off, off offset:288 ; 16-byte Folded Reload
	v_mov_b64_e32 v[164:165], v[136:137]
	s_waitcnt vmcnt(0)
	v_mul_f64 v[176:177], v[180:181], v[184:185]
	v_mul_f64 v[184:185], v[178:179], v[184:185]
	v_fma_f64 v[176:177], v[178:179], v[182:183], -v[176:177]
	v_fmac_f64_e32 v[184:185], v[180:181], v[182:183]
	ds_read2_b64 v[178:181], v193 offset0:18 offset1:19
	s_waitcnt lgkmcnt(0)
	v_mul_f64 v[136:137], v[180:181], v[184:185]
	v_fma_f64 v[136:137], v[178:179], v[176:177], -v[136:137]
	v_mul_f64 v[178:179], v[178:179], v[184:185]
	v_fmac_f64_e32 v[178:179], v[180:181], v[176:177]
	scratch_load_dwordx4 v[180:183], off, off offset:48 ; 16-byte Folded Reload
	s_waitcnt vmcnt(0)
	v_add_f64 v[180:181], v[180:181], -v[136:137]
	v_add_f64 v[182:183], v[182:183], -v[178:179]
	scratch_store_dwordx4 off, v[180:183], off offset:48 ; 16-byte Folded Spill
	ds_read2_b64 v[178:181], v193 offset0:20 offset1:21
	s_waitcnt lgkmcnt(0)
	v_mul_f64 v[136:137], v[180:181], v[184:185]
	v_fma_f64 v[136:137], v[178:179], v[176:177], -v[136:137]
	v_mul_f64 v[178:179], v[178:179], v[184:185]
	v_fmac_f64_e32 v[178:179], v[180:181], v[176:177]
	scratch_load_dwordx4 v[180:183], off, off offset:32 ; 16-byte Folded Reload
	s_waitcnt vmcnt(0)
	v_add_f64 v[180:181], v[180:181], -v[136:137]
	v_add_f64 v[182:183], v[182:183], -v[178:179]
	scratch_store_dwordx4 off, v[180:183], off offset:32 ; 16-byte Folded Spill
	ds_read2_b64 v[178:181], v193 offset0:22 offset1:23
	s_waitcnt lgkmcnt(0)
	v_mul_f64 v[136:137], v[180:181], v[184:185]
	v_fma_f64 v[136:137], v[178:179], v[176:177], -v[136:137]
	v_mul_f64 v[178:179], v[178:179], v[184:185]
	v_fmac_f64_e32 v[178:179], v[180:181], v[176:177]
	scratch_load_dwordx4 v[180:183], off, off offset:16 ; 16-byte Folded Reload
	s_waitcnt vmcnt(0)
	v_add_f64 v[180:181], v[180:181], -v[136:137]
	v_add_f64 v[182:183], v[182:183], -v[178:179]
	scratch_store_dwordx4 off, v[180:183], off offset:16 ; 16-byte Folded Spill
	ds_read2_b64 v[178:181], v193 offset0:24 offset1:25
	s_waitcnt lgkmcnt(0)
	v_mul_f64 v[136:137], v[180:181], v[184:185]
	v_fma_f64 v[136:137], v[178:179], v[176:177], -v[136:137]
	v_mul_f64 v[178:179], v[178:179], v[184:185]
	v_fmac_f64_e32 v[178:179], v[180:181], v[176:177]
	scratch_load_dwordx4 v[180:183], off, off ; 16-byte Folded Reload
	s_waitcnt vmcnt(0)
	v_add_f64 v[180:181], v[180:181], -v[136:137]
	v_add_f64 v[182:183], v[182:183], -v[178:179]
	scratch_store_dwordx4 off, v[180:183], off ; 16-byte Folded Spill
	ds_read2_b64 v[178:181], v193 offset0:26 offset1:27
	s_waitcnt lgkmcnt(0)
	v_mul_f64 v[136:137], v[180:181], v[184:185]
	v_fma_f64 v[136:137], v[178:179], v[176:177], -v[136:137]
	v_mul_f64 v[178:179], v[178:179], v[184:185]
	v_fmac_f64_e32 v[178:179], v[180:181], v[176:177]
	v_add_f64 v[118:119], v[118:119], -v[178:179]
	ds_read2_b64 v[178:181], v193 offset0:28 offset1:29
	v_add_f64 v[116:117], v[116:117], -v[136:137]
	v_mov_b64_e32 v[182:183], v[176:177]
	scratch_store_dwordx4 off, v[182:185], off offset:64 ; 16-byte Folded Spill
	s_waitcnt lgkmcnt(0)
	v_mul_f64 v[136:137], v[180:181], v[184:185]
	v_fma_f64 v[136:137], v[178:179], v[176:177], -v[136:137]
	v_mul_f64 v[178:179], v[178:179], v[184:185]
	v_fmac_f64_e32 v[178:179], v[180:181], v[176:177]
	v_add_f64 v[114:115], v[114:115], -v[178:179]
	ds_read2_b64 v[178:181], v193 offset0:30 offset1:31
	v_add_f64 v[112:113], v[112:113], -v[136:137]
	s_waitcnt lgkmcnt(0)
	v_mul_f64 v[136:137], v[180:181], v[184:185]
	v_fma_f64 v[136:137], v[178:179], v[176:177], -v[136:137]
	v_mul_f64 v[178:179], v[178:179], v[184:185]
	v_fmac_f64_e32 v[178:179], v[180:181], v[176:177]
	v_add_f64 v[110:111], v[110:111], -v[178:179]
	ds_read2_b64 v[178:181], v193 offset0:32 offset1:33
	v_add_f64 v[108:109], v[108:109], -v[136:137]
	;; [unrolled: 8-line block ×29, first 2 shown]
	s_waitcnt lgkmcnt(0)
	v_mul_f64 v[136:137], v[180:181], v[184:185]
	v_fma_f64 v[136:137], v[178:179], v[176:177], -v[136:137]
	v_mul_f64 v[178:179], v[178:179], v[184:185]
	v_fmac_f64_e32 v[178:179], v[180:181], v[176:177]
	v_add_f64 v[172:173], v[172:173], -v[136:137]
	v_mov_b64_e32 v[136:137], v[164:165]
	v_add_f64 v[174:175], v[174:175], -v[178:179]
.LBB87_82:
	s_or_b64 exec, exec, s[2:3]
	v_cmp_eq_u32_e32 vcc, 9, v194
	s_barrier
	s_and_saveexec_b64 s[4:5], vcc
	s_cbranch_execz .LBB87_89
; %bb.83:
	scratch_load_dwordx4 v[176:179], off, off offset:48 ; 16-byte Folded Reload
	s_waitcnt vmcnt(0)
	ds_write2_b64 v192, v[176:177], v[178:179] offset1:1
	scratch_load_dwordx4 v[176:179], off, off offset:32 ; 16-byte Folded Reload
	s_waitcnt vmcnt(0)
	ds_write2_b64 v193, v[176:177], v[178:179] offset0:20 offset1:21
	scratch_load_dwordx4 v[176:179], off, off offset:16 ; 16-byte Folded Reload
	s_waitcnt vmcnt(0)
	ds_write2_b64 v193, v[176:177], v[178:179] offset0:22 offset1:23
	scratch_load_dwordx4 v[176:179], off, off ; 16-byte Folded Reload
	s_waitcnt vmcnt(0)
	ds_write2_b64 v193, v[176:177], v[178:179] offset0:24 offset1:25
	ds_write2_b64 v193, v[116:117], v[118:119] offset0:26 offset1:27
	;; [unrolled: 1-line block ×32, first 2 shown]
	ds_read2_b64 v[176:179], v192 offset1:1
	s_waitcnt lgkmcnt(0)
	v_cmp_neq_f64_e32 vcc, 0, v[176:177]
	v_cmp_neq_f64_e64 s[2:3], 0, v[178:179]
	s_or_b64 s[2:3], vcc, s[2:3]
	s_and_b64 exec, exec, s[2:3]
	s_cbranch_execz .LBB87_89
; %bb.84:
	v_cmp_ngt_f64_e64 s[2:3], |v[176:177]|, |v[178:179]|
                                        ; implicit-def: $vgpr180_vgpr181
	s_and_saveexec_b64 s[10:11], s[2:3]
	s_xor_b64 s[2:3], exec, s[10:11]
                                        ; implicit-def: $vgpr182_vgpr183
	s_cbranch_execz .LBB87_86
; %bb.85:
	v_div_scale_f64 v[180:181], s[10:11], v[178:179], v[178:179], v[176:177]
	v_rcp_f64_e32 v[182:183], v[180:181]
	v_div_scale_f64 v[184:185], vcc, v[176:177], v[178:179], v[176:177]
	v_fma_f64 v[186:187], -v[180:181], v[182:183], 1.0
	v_fmac_f64_e32 v[182:183], v[182:183], v[186:187]
	v_fma_f64 v[186:187], -v[180:181], v[182:183], 1.0
	v_fmac_f64_e32 v[182:183], v[182:183], v[186:187]
	v_mul_f64 v[186:187], v[184:185], v[182:183]
	v_fma_f64 v[180:181], -v[180:181], v[186:187], v[184:185]
	v_div_fmas_f64 v[180:181], v[180:181], v[182:183], v[186:187]
	v_div_fixup_f64 v[180:181], v[180:181], v[178:179], v[176:177]
	v_fmac_f64_e32 v[178:179], v[176:177], v[180:181]
	v_div_scale_f64 v[176:177], s[10:11], v[178:179], v[178:179], 1.0
	v_rcp_f64_e32 v[182:183], v[176:177]
	s_nop 0
	v_fma_f64 v[184:185], -v[176:177], v[182:183], 1.0
	v_fmac_f64_e32 v[182:183], v[182:183], v[184:185]
	v_fma_f64 v[184:185], -v[176:177], v[182:183], 1.0
	v_fmac_f64_e32 v[182:183], v[182:183], v[184:185]
	v_div_scale_f64 v[184:185], vcc, 1.0, v[178:179], 1.0
	v_mul_f64 v[186:187], v[184:185], v[182:183]
	v_fma_f64 v[176:177], -v[176:177], v[186:187], v[184:185]
	s_nop 1
	v_div_fmas_f64 v[176:177], v[176:177], v[182:183], v[186:187]
	v_div_fixup_f64 v[182:183], v[176:177], v[178:179], 1.0
	v_mul_f64 v[180:181], v[180:181], v[182:183]
	v_xor_b32_e32 v183, 0x80000000, v183
                                        ; implicit-def: $vgpr176_vgpr177
.LBB87_86:
	s_andn2_saveexec_b64 s[2:3], s[2:3]
	s_cbranch_execz .LBB87_88
; %bb.87:
	v_div_scale_f64 v[180:181], s[10:11], v[176:177], v[176:177], v[178:179]
	v_rcp_f64_e32 v[182:183], v[180:181]
	v_div_scale_f64 v[184:185], vcc, v[178:179], v[176:177], v[178:179]
	v_fma_f64 v[186:187], -v[180:181], v[182:183], 1.0
	v_fmac_f64_e32 v[182:183], v[182:183], v[186:187]
	v_fma_f64 v[186:187], -v[180:181], v[182:183], 1.0
	v_fmac_f64_e32 v[182:183], v[182:183], v[186:187]
	v_mul_f64 v[186:187], v[184:185], v[182:183]
	v_fma_f64 v[180:181], -v[180:181], v[186:187], v[184:185]
	v_div_fmas_f64 v[180:181], v[180:181], v[182:183], v[186:187]
	v_div_fixup_f64 v[182:183], v[180:181], v[176:177], v[178:179]
	v_fmac_f64_e32 v[176:177], v[178:179], v[182:183]
	v_div_scale_f64 v[178:179], s[10:11], v[176:177], v[176:177], 1.0
	v_rcp_f64_e32 v[180:181], v[178:179]
	s_nop 0
	v_fma_f64 v[184:185], -v[178:179], v[180:181], 1.0
	v_fmac_f64_e32 v[180:181], v[180:181], v[184:185]
	v_fma_f64 v[184:185], -v[178:179], v[180:181], 1.0
	v_fmac_f64_e32 v[180:181], v[180:181], v[184:185]
	v_div_scale_f64 v[184:185], vcc, 1.0, v[176:177], 1.0
	v_mul_f64 v[186:187], v[184:185], v[180:181]
	v_fma_f64 v[178:179], -v[178:179], v[186:187], v[184:185]
	s_nop 1
	v_div_fmas_f64 v[178:179], v[178:179], v[180:181], v[186:187]
	v_div_fixup_f64 v[180:181], v[178:179], v[176:177], 1.0
	v_mul_f64 v[182:183], v[182:183], -v[180:181]
.LBB87_88:
	s_or_b64 exec, exec, s[2:3]
	ds_write2_b64 v192, v[180:181], v[182:183] offset1:1
.LBB87_89:
	s_or_b64 exec, exec, s[4:5]
	s_waitcnt lgkmcnt(0)
	s_barrier
	ds_read2_b64 v[176:179], v192 offset1:1
	v_cmp_lt_u32_e32 vcc, 9, v194
	s_waitcnt lgkmcnt(0)
	scratch_store_dwordx4 off, v[176:179], off offset:304 ; 16-byte Folded Spill
	s_and_saveexec_b64 s[2:3], vcc
	s_cbranch_execz .LBB87_91
; %bb.90:
	scratch_load_dwordx4 v[182:185], off, off offset:48 ; 16-byte Folded Reload
	scratch_load_dwordx4 v[178:181], off, off offset:304 ; 16-byte Folded Reload
	v_mov_b64_e32 v[164:165], v[132:133]
	s_waitcnt vmcnt(0)
	v_mul_f64 v[176:177], v[180:181], v[184:185]
	v_mul_f64 v[184:185], v[178:179], v[184:185]
	v_fma_f64 v[176:177], v[178:179], v[182:183], -v[176:177]
	v_fmac_f64_e32 v[184:185], v[180:181], v[182:183]
	ds_read2_b64 v[178:181], v193 offset0:20 offset1:21
	s_waitcnt lgkmcnt(0)
	v_mul_f64 v[132:133], v[180:181], v[184:185]
	v_fma_f64 v[132:133], v[178:179], v[176:177], -v[132:133]
	v_mul_f64 v[178:179], v[178:179], v[184:185]
	v_fmac_f64_e32 v[178:179], v[180:181], v[176:177]
	scratch_load_dwordx4 v[180:183], off, off offset:32 ; 16-byte Folded Reload
	s_waitcnt vmcnt(0)
	v_add_f64 v[180:181], v[180:181], -v[132:133]
	v_add_f64 v[182:183], v[182:183], -v[178:179]
	scratch_store_dwordx4 off, v[180:183], off offset:32 ; 16-byte Folded Spill
	ds_read2_b64 v[178:181], v193 offset0:22 offset1:23
	s_waitcnt lgkmcnt(0)
	v_mul_f64 v[132:133], v[180:181], v[184:185]
	v_fma_f64 v[132:133], v[178:179], v[176:177], -v[132:133]
	v_mul_f64 v[178:179], v[178:179], v[184:185]
	v_fmac_f64_e32 v[178:179], v[180:181], v[176:177]
	scratch_load_dwordx4 v[180:183], off, off offset:16 ; 16-byte Folded Reload
	s_waitcnt vmcnt(0)
	v_add_f64 v[180:181], v[180:181], -v[132:133]
	v_add_f64 v[182:183], v[182:183], -v[178:179]
	scratch_store_dwordx4 off, v[180:183], off offset:16 ; 16-byte Folded Spill
	ds_read2_b64 v[178:181], v193 offset0:24 offset1:25
	s_waitcnt lgkmcnt(0)
	v_mul_f64 v[132:133], v[180:181], v[184:185]
	v_fma_f64 v[132:133], v[178:179], v[176:177], -v[132:133]
	v_mul_f64 v[178:179], v[178:179], v[184:185]
	v_fmac_f64_e32 v[178:179], v[180:181], v[176:177]
	scratch_load_dwordx4 v[180:183], off, off ; 16-byte Folded Reload
	s_waitcnt vmcnt(0)
	v_add_f64 v[180:181], v[180:181], -v[132:133]
	v_add_f64 v[182:183], v[182:183], -v[178:179]
	scratch_store_dwordx4 off, v[180:183], off ; 16-byte Folded Spill
	ds_read2_b64 v[178:181], v193 offset0:26 offset1:27
	s_waitcnt lgkmcnt(0)
	v_mul_f64 v[132:133], v[180:181], v[184:185]
	v_fma_f64 v[132:133], v[178:179], v[176:177], -v[132:133]
	v_mul_f64 v[178:179], v[178:179], v[184:185]
	v_fmac_f64_e32 v[178:179], v[180:181], v[176:177]
	v_add_f64 v[118:119], v[118:119], -v[178:179]
	ds_read2_b64 v[178:181], v193 offset0:28 offset1:29
	v_add_f64 v[116:117], v[116:117], -v[132:133]
	v_mov_b64_e32 v[182:183], v[176:177]
	scratch_store_dwordx4 off, v[182:185], off offset:48 ; 16-byte Folded Spill
	s_waitcnt lgkmcnt(0)
	v_mul_f64 v[132:133], v[180:181], v[184:185]
	v_fma_f64 v[132:133], v[178:179], v[176:177], -v[132:133]
	v_mul_f64 v[178:179], v[178:179], v[184:185]
	v_fmac_f64_e32 v[178:179], v[180:181], v[176:177]
	v_add_f64 v[114:115], v[114:115], -v[178:179]
	ds_read2_b64 v[178:181], v193 offset0:30 offset1:31
	v_add_f64 v[112:113], v[112:113], -v[132:133]
	s_waitcnt lgkmcnt(0)
	v_mul_f64 v[132:133], v[180:181], v[184:185]
	v_fma_f64 v[132:133], v[178:179], v[176:177], -v[132:133]
	v_mul_f64 v[178:179], v[178:179], v[184:185]
	v_fmac_f64_e32 v[178:179], v[180:181], v[176:177]
	v_add_f64 v[110:111], v[110:111], -v[178:179]
	ds_read2_b64 v[178:181], v193 offset0:32 offset1:33
	v_add_f64 v[108:109], v[108:109], -v[132:133]
	s_waitcnt lgkmcnt(0)
	v_mul_f64 v[132:133], v[180:181], v[184:185]
	v_fma_f64 v[132:133], v[178:179], v[176:177], -v[132:133]
	v_mul_f64 v[178:179], v[178:179], v[184:185]
	v_fmac_f64_e32 v[178:179], v[180:181], v[176:177]
	v_add_f64 v[106:107], v[106:107], -v[178:179]
	ds_read2_b64 v[178:181], v193 offset0:34 offset1:35
	v_add_f64 v[104:105], v[104:105], -v[132:133]
	s_waitcnt lgkmcnt(0)
	v_mul_f64 v[132:133], v[180:181], v[184:185]
	v_fma_f64 v[132:133], v[178:179], v[176:177], -v[132:133]
	v_mul_f64 v[178:179], v[178:179], v[184:185]
	v_fmac_f64_e32 v[178:179], v[180:181], v[176:177]
	v_add_f64 v[102:103], v[102:103], -v[178:179]
	ds_read2_b64 v[178:181], v193 offset0:36 offset1:37
	v_add_f64 v[100:101], v[100:101], -v[132:133]
	s_waitcnt lgkmcnt(0)
	v_mul_f64 v[132:133], v[180:181], v[184:185]
	v_fma_f64 v[132:133], v[178:179], v[176:177], -v[132:133]
	v_mul_f64 v[178:179], v[178:179], v[184:185]
	v_fmac_f64_e32 v[178:179], v[180:181], v[176:177]
	v_add_f64 v[98:99], v[98:99], -v[178:179]
	ds_read2_b64 v[178:181], v193 offset0:38 offset1:39
	v_add_f64 v[96:97], v[96:97], -v[132:133]
	s_waitcnt lgkmcnt(0)
	v_mul_f64 v[132:133], v[180:181], v[184:185]
	v_fma_f64 v[132:133], v[178:179], v[176:177], -v[132:133]
	v_mul_f64 v[178:179], v[178:179], v[184:185]
	v_fmac_f64_e32 v[178:179], v[180:181], v[176:177]
	v_add_f64 v[94:95], v[94:95], -v[178:179]
	ds_read2_b64 v[178:181], v193 offset0:40 offset1:41
	v_add_f64 v[92:93], v[92:93], -v[132:133]
	s_waitcnt lgkmcnt(0)
	v_mul_f64 v[132:133], v[180:181], v[184:185]
	v_fma_f64 v[132:133], v[178:179], v[176:177], -v[132:133]
	v_mul_f64 v[178:179], v[178:179], v[184:185]
	v_fmac_f64_e32 v[178:179], v[180:181], v[176:177]
	v_add_f64 v[90:91], v[90:91], -v[178:179]
	ds_read2_b64 v[178:181], v193 offset0:42 offset1:43
	v_add_f64 v[88:89], v[88:89], -v[132:133]
	s_waitcnt lgkmcnt(0)
	v_mul_f64 v[132:133], v[180:181], v[184:185]
	v_fma_f64 v[132:133], v[178:179], v[176:177], -v[132:133]
	v_mul_f64 v[178:179], v[178:179], v[184:185]
	v_fmac_f64_e32 v[178:179], v[180:181], v[176:177]
	v_add_f64 v[86:87], v[86:87], -v[178:179]
	ds_read2_b64 v[178:181], v193 offset0:44 offset1:45
	v_add_f64 v[84:85], v[84:85], -v[132:133]
	s_waitcnt lgkmcnt(0)
	v_mul_f64 v[132:133], v[180:181], v[184:185]
	v_fma_f64 v[132:133], v[178:179], v[176:177], -v[132:133]
	v_mul_f64 v[178:179], v[178:179], v[184:185]
	v_fmac_f64_e32 v[178:179], v[180:181], v[176:177]
	v_add_f64 v[82:83], v[82:83], -v[178:179]
	ds_read2_b64 v[178:181], v193 offset0:46 offset1:47
	v_add_f64 v[80:81], v[80:81], -v[132:133]
	s_waitcnt lgkmcnt(0)
	v_mul_f64 v[132:133], v[180:181], v[184:185]
	v_fma_f64 v[132:133], v[178:179], v[176:177], -v[132:133]
	v_mul_f64 v[178:179], v[178:179], v[184:185]
	v_fmac_f64_e32 v[178:179], v[180:181], v[176:177]
	v_add_f64 v[78:79], v[78:79], -v[178:179]
	ds_read2_b64 v[178:181], v193 offset0:48 offset1:49
	v_add_f64 v[76:77], v[76:77], -v[132:133]
	s_waitcnt lgkmcnt(0)
	v_mul_f64 v[132:133], v[180:181], v[184:185]
	v_fma_f64 v[132:133], v[178:179], v[176:177], -v[132:133]
	v_mul_f64 v[178:179], v[178:179], v[184:185]
	v_fmac_f64_e32 v[178:179], v[180:181], v[176:177]
	v_add_f64 v[74:75], v[74:75], -v[178:179]
	ds_read2_b64 v[178:181], v193 offset0:50 offset1:51
	v_add_f64 v[72:73], v[72:73], -v[132:133]
	s_waitcnt lgkmcnt(0)
	v_mul_f64 v[132:133], v[180:181], v[184:185]
	v_fma_f64 v[132:133], v[178:179], v[176:177], -v[132:133]
	v_mul_f64 v[178:179], v[178:179], v[184:185]
	v_fmac_f64_e32 v[178:179], v[180:181], v[176:177]
	v_add_f64 v[70:71], v[70:71], -v[178:179]
	ds_read2_b64 v[178:181], v193 offset0:52 offset1:53
	v_add_f64 v[68:69], v[68:69], -v[132:133]
	s_waitcnt lgkmcnt(0)
	v_mul_f64 v[132:133], v[180:181], v[184:185]
	v_fma_f64 v[132:133], v[178:179], v[176:177], -v[132:133]
	v_mul_f64 v[178:179], v[178:179], v[184:185]
	v_fmac_f64_e32 v[178:179], v[180:181], v[176:177]
	v_add_f64 v[66:67], v[66:67], -v[178:179]
	ds_read2_b64 v[178:181], v193 offset0:54 offset1:55
	v_add_f64 v[64:65], v[64:65], -v[132:133]
	s_waitcnt lgkmcnt(0)
	v_mul_f64 v[132:133], v[180:181], v[184:185]
	v_fma_f64 v[132:133], v[178:179], v[176:177], -v[132:133]
	v_mul_f64 v[178:179], v[178:179], v[184:185]
	v_fmac_f64_e32 v[178:179], v[180:181], v[176:177]
	v_add_f64 v[62:63], v[62:63], -v[178:179]
	ds_read2_b64 v[178:181], v193 offset0:56 offset1:57
	v_add_f64 v[60:61], v[60:61], -v[132:133]
	s_waitcnt lgkmcnt(0)
	v_mul_f64 v[132:133], v[180:181], v[184:185]
	v_fma_f64 v[132:133], v[178:179], v[176:177], -v[132:133]
	v_mul_f64 v[178:179], v[178:179], v[184:185]
	v_fmac_f64_e32 v[178:179], v[180:181], v[176:177]
	v_add_f64 v[58:59], v[58:59], -v[178:179]
	ds_read2_b64 v[178:181], v193 offset0:58 offset1:59
	v_add_f64 v[56:57], v[56:57], -v[132:133]
	s_waitcnt lgkmcnt(0)
	v_mul_f64 v[132:133], v[180:181], v[184:185]
	v_fma_f64 v[132:133], v[178:179], v[176:177], -v[132:133]
	v_mul_f64 v[178:179], v[178:179], v[184:185]
	v_fmac_f64_e32 v[178:179], v[180:181], v[176:177]
	v_add_f64 v[54:55], v[54:55], -v[178:179]
	ds_read2_b64 v[178:181], v193 offset0:60 offset1:61
	v_add_f64 v[52:53], v[52:53], -v[132:133]
	s_waitcnt lgkmcnt(0)
	v_mul_f64 v[132:133], v[180:181], v[184:185]
	v_fma_f64 v[132:133], v[178:179], v[176:177], -v[132:133]
	v_mul_f64 v[178:179], v[178:179], v[184:185]
	v_fmac_f64_e32 v[178:179], v[180:181], v[176:177]
	v_add_f64 v[50:51], v[50:51], -v[178:179]
	ds_read2_b64 v[178:181], v193 offset0:62 offset1:63
	v_add_f64 v[48:49], v[48:49], -v[132:133]
	s_waitcnt lgkmcnt(0)
	v_mul_f64 v[132:133], v[180:181], v[184:185]
	v_fma_f64 v[132:133], v[178:179], v[176:177], -v[132:133]
	v_mul_f64 v[178:179], v[178:179], v[184:185]
	v_fmac_f64_e32 v[178:179], v[180:181], v[176:177]
	v_add_f64 v[46:47], v[46:47], -v[178:179]
	ds_read2_b64 v[178:181], v193 offset0:64 offset1:65
	v_add_f64 v[44:45], v[44:45], -v[132:133]
	s_waitcnt lgkmcnt(0)
	v_mul_f64 v[132:133], v[180:181], v[184:185]
	v_fma_f64 v[132:133], v[178:179], v[176:177], -v[132:133]
	v_mul_f64 v[178:179], v[178:179], v[184:185]
	v_fmac_f64_e32 v[178:179], v[180:181], v[176:177]
	v_add_f64 v[42:43], v[42:43], -v[178:179]
	ds_read2_b64 v[178:181], v193 offset0:66 offset1:67
	v_add_f64 v[40:41], v[40:41], -v[132:133]
	s_waitcnt lgkmcnt(0)
	v_mul_f64 v[132:133], v[180:181], v[184:185]
	v_fma_f64 v[132:133], v[178:179], v[176:177], -v[132:133]
	v_mul_f64 v[178:179], v[178:179], v[184:185]
	v_fmac_f64_e32 v[178:179], v[180:181], v[176:177]
	v_add_f64 v[38:39], v[38:39], -v[178:179]
	ds_read2_b64 v[178:181], v193 offset0:68 offset1:69
	v_add_f64 v[36:37], v[36:37], -v[132:133]
	s_waitcnt lgkmcnt(0)
	v_mul_f64 v[132:133], v[180:181], v[184:185]
	v_fma_f64 v[132:133], v[178:179], v[176:177], -v[132:133]
	v_mul_f64 v[178:179], v[178:179], v[184:185]
	v_fmac_f64_e32 v[178:179], v[180:181], v[176:177]
	v_add_f64 v[34:35], v[34:35], -v[178:179]
	ds_read2_b64 v[178:181], v193 offset0:70 offset1:71
	v_add_f64 v[32:33], v[32:33], -v[132:133]
	s_waitcnt lgkmcnt(0)
	v_mul_f64 v[132:133], v[180:181], v[184:185]
	v_fma_f64 v[132:133], v[178:179], v[176:177], -v[132:133]
	v_mul_f64 v[178:179], v[178:179], v[184:185]
	v_fmac_f64_e32 v[178:179], v[180:181], v[176:177]
	v_add_f64 v[30:31], v[30:31], -v[178:179]
	ds_read2_b64 v[178:181], v193 offset0:72 offset1:73
	v_add_f64 v[28:29], v[28:29], -v[132:133]
	s_waitcnt lgkmcnt(0)
	v_mul_f64 v[132:133], v[180:181], v[184:185]
	v_fma_f64 v[132:133], v[178:179], v[176:177], -v[132:133]
	v_mul_f64 v[178:179], v[178:179], v[184:185]
	v_fmac_f64_e32 v[178:179], v[180:181], v[176:177]
	v_add_f64 v[26:27], v[26:27], -v[178:179]
	ds_read2_b64 v[178:181], v193 offset0:74 offset1:75
	v_add_f64 v[24:25], v[24:25], -v[132:133]
	s_waitcnt lgkmcnt(0)
	v_mul_f64 v[132:133], v[180:181], v[184:185]
	v_fma_f64 v[132:133], v[178:179], v[176:177], -v[132:133]
	v_mul_f64 v[178:179], v[178:179], v[184:185]
	v_fmac_f64_e32 v[178:179], v[180:181], v[176:177]
	v_add_f64 v[22:23], v[22:23], -v[178:179]
	ds_read2_b64 v[178:181], v193 offset0:76 offset1:77
	v_add_f64 v[20:21], v[20:21], -v[132:133]
	s_waitcnt lgkmcnt(0)
	v_mul_f64 v[132:133], v[180:181], v[184:185]
	v_fma_f64 v[132:133], v[178:179], v[176:177], -v[132:133]
	v_mul_f64 v[178:179], v[178:179], v[184:185]
	v_fmac_f64_e32 v[178:179], v[180:181], v[176:177]
	v_add_f64 v[18:19], v[18:19], -v[178:179]
	ds_read2_b64 v[178:181], v193 offset0:78 offset1:79
	v_add_f64 v[16:17], v[16:17], -v[132:133]
	s_waitcnt lgkmcnt(0)
	v_mul_f64 v[132:133], v[180:181], v[184:185]
	v_fma_f64 v[132:133], v[178:179], v[176:177], -v[132:133]
	v_mul_f64 v[178:179], v[178:179], v[184:185]
	v_fmac_f64_e32 v[178:179], v[180:181], v[176:177]
	v_add_f64 v[14:15], v[14:15], -v[178:179]
	ds_read2_b64 v[178:181], v193 offset0:80 offset1:81
	v_add_f64 v[12:13], v[12:13], -v[132:133]
	s_waitcnt lgkmcnt(0)
	v_mul_f64 v[132:133], v[180:181], v[184:185]
	v_fma_f64 v[132:133], v[178:179], v[176:177], -v[132:133]
	v_mul_f64 v[178:179], v[178:179], v[184:185]
	v_fmac_f64_e32 v[178:179], v[180:181], v[176:177]
	v_add_f64 v[10:11], v[10:11], -v[178:179]
	ds_read2_b64 v[178:181], v193 offset0:82 offset1:83
	v_add_f64 v[8:9], v[8:9], -v[132:133]
	s_waitcnt lgkmcnt(0)
	v_mul_f64 v[132:133], v[180:181], v[184:185]
	v_fma_f64 v[132:133], v[178:179], v[176:177], -v[132:133]
	v_mul_f64 v[178:179], v[178:179], v[184:185]
	v_fmac_f64_e32 v[178:179], v[180:181], v[176:177]
	v_add_f64 v[6:7], v[6:7], -v[178:179]
	ds_read2_b64 v[178:181], v193 offset0:84 offset1:85
	v_add_f64 v[4:5], v[4:5], -v[132:133]
	s_waitcnt lgkmcnt(0)
	v_mul_f64 v[132:133], v[180:181], v[184:185]
	v_fma_f64 v[132:133], v[178:179], v[176:177], -v[132:133]
	v_mul_f64 v[178:179], v[178:179], v[184:185]
	v_fmac_f64_e32 v[178:179], v[180:181], v[176:177]
	v_add_f64 v[2:3], v[2:3], -v[178:179]
	ds_read2_b64 v[178:181], v193 offset0:86 offset1:87
	v_add_f64 v[0:1], v[0:1], -v[132:133]
	s_waitcnt lgkmcnt(0)
	v_mul_f64 v[132:133], v[180:181], v[184:185]
	v_fma_f64 v[132:133], v[178:179], v[176:177], -v[132:133]
	v_mul_f64 v[178:179], v[178:179], v[184:185]
	v_fmac_f64_e32 v[178:179], v[180:181], v[176:177]
	v_add_f64 v[172:173], v[172:173], -v[132:133]
	v_mov_b64_e32 v[132:133], v[164:165]
	v_add_f64 v[174:175], v[174:175], -v[178:179]
.LBB87_91:
	s_or_b64 exec, exec, s[2:3]
	v_cmp_eq_u32_e32 vcc, 10, v194
	s_barrier
	s_and_saveexec_b64 s[4:5], vcc
	s_cbranch_execz .LBB87_98
; %bb.92:
	scratch_load_dwordx4 v[176:179], off, off offset:32 ; 16-byte Folded Reload
	s_waitcnt vmcnt(0)
	ds_write2_b64 v192, v[176:177], v[178:179] offset1:1
	scratch_load_dwordx4 v[176:179], off, off offset:16 ; 16-byte Folded Reload
	s_waitcnt vmcnt(0)
	ds_write2_b64 v193, v[176:177], v[178:179] offset0:22 offset1:23
	scratch_load_dwordx4 v[176:179], off, off ; 16-byte Folded Reload
	s_waitcnt vmcnt(0)
	ds_write2_b64 v193, v[176:177], v[178:179] offset0:24 offset1:25
	ds_write2_b64 v193, v[116:117], v[118:119] offset0:26 offset1:27
	;; [unrolled: 1-line block ×32, first 2 shown]
	ds_read2_b64 v[176:179], v192 offset1:1
	s_waitcnt lgkmcnt(0)
	v_cmp_neq_f64_e32 vcc, 0, v[176:177]
	v_cmp_neq_f64_e64 s[2:3], 0, v[178:179]
	s_or_b64 s[2:3], vcc, s[2:3]
	s_and_b64 exec, exec, s[2:3]
	s_cbranch_execz .LBB87_98
; %bb.93:
	v_cmp_ngt_f64_e64 s[2:3], |v[176:177]|, |v[178:179]|
                                        ; implicit-def: $vgpr180_vgpr181
	s_and_saveexec_b64 s[10:11], s[2:3]
	s_xor_b64 s[2:3], exec, s[10:11]
                                        ; implicit-def: $vgpr182_vgpr183
	s_cbranch_execz .LBB87_95
; %bb.94:
	v_div_scale_f64 v[180:181], s[10:11], v[178:179], v[178:179], v[176:177]
	v_rcp_f64_e32 v[182:183], v[180:181]
	v_div_scale_f64 v[184:185], vcc, v[176:177], v[178:179], v[176:177]
	v_fma_f64 v[186:187], -v[180:181], v[182:183], 1.0
	v_fmac_f64_e32 v[182:183], v[182:183], v[186:187]
	v_fma_f64 v[186:187], -v[180:181], v[182:183], 1.0
	v_fmac_f64_e32 v[182:183], v[182:183], v[186:187]
	v_mul_f64 v[186:187], v[184:185], v[182:183]
	v_fma_f64 v[180:181], -v[180:181], v[186:187], v[184:185]
	v_div_fmas_f64 v[180:181], v[180:181], v[182:183], v[186:187]
	v_div_fixup_f64 v[180:181], v[180:181], v[178:179], v[176:177]
	v_fmac_f64_e32 v[178:179], v[176:177], v[180:181]
	v_div_scale_f64 v[176:177], s[10:11], v[178:179], v[178:179], 1.0
	v_rcp_f64_e32 v[182:183], v[176:177]
	s_nop 0
	v_fma_f64 v[184:185], -v[176:177], v[182:183], 1.0
	v_fmac_f64_e32 v[182:183], v[182:183], v[184:185]
	v_fma_f64 v[184:185], -v[176:177], v[182:183], 1.0
	v_fmac_f64_e32 v[182:183], v[182:183], v[184:185]
	v_div_scale_f64 v[184:185], vcc, 1.0, v[178:179], 1.0
	v_mul_f64 v[186:187], v[184:185], v[182:183]
	v_fma_f64 v[176:177], -v[176:177], v[186:187], v[184:185]
	s_nop 1
	v_div_fmas_f64 v[176:177], v[176:177], v[182:183], v[186:187]
	v_div_fixup_f64 v[182:183], v[176:177], v[178:179], 1.0
	v_mul_f64 v[180:181], v[180:181], v[182:183]
	v_xor_b32_e32 v183, 0x80000000, v183
                                        ; implicit-def: $vgpr176_vgpr177
.LBB87_95:
	s_andn2_saveexec_b64 s[2:3], s[2:3]
	s_cbranch_execz .LBB87_97
; %bb.96:
	v_div_scale_f64 v[180:181], s[10:11], v[176:177], v[176:177], v[178:179]
	v_rcp_f64_e32 v[182:183], v[180:181]
	v_div_scale_f64 v[184:185], vcc, v[178:179], v[176:177], v[178:179]
	v_fma_f64 v[186:187], -v[180:181], v[182:183], 1.0
	v_fmac_f64_e32 v[182:183], v[182:183], v[186:187]
	v_fma_f64 v[186:187], -v[180:181], v[182:183], 1.0
	v_fmac_f64_e32 v[182:183], v[182:183], v[186:187]
	v_mul_f64 v[186:187], v[184:185], v[182:183]
	v_fma_f64 v[180:181], -v[180:181], v[186:187], v[184:185]
	v_div_fmas_f64 v[180:181], v[180:181], v[182:183], v[186:187]
	v_div_fixup_f64 v[182:183], v[180:181], v[176:177], v[178:179]
	v_fmac_f64_e32 v[176:177], v[178:179], v[182:183]
	v_div_scale_f64 v[178:179], s[10:11], v[176:177], v[176:177], 1.0
	v_rcp_f64_e32 v[180:181], v[178:179]
	s_nop 0
	v_fma_f64 v[184:185], -v[178:179], v[180:181], 1.0
	v_fmac_f64_e32 v[180:181], v[180:181], v[184:185]
	v_fma_f64 v[184:185], -v[178:179], v[180:181], 1.0
	v_fmac_f64_e32 v[180:181], v[180:181], v[184:185]
	v_div_scale_f64 v[184:185], vcc, 1.0, v[176:177], 1.0
	v_mul_f64 v[186:187], v[184:185], v[180:181]
	v_fma_f64 v[178:179], -v[178:179], v[186:187], v[184:185]
	s_nop 1
	v_div_fmas_f64 v[178:179], v[178:179], v[180:181], v[186:187]
	v_div_fixup_f64 v[180:181], v[178:179], v[176:177], 1.0
	v_mul_f64 v[182:183], v[182:183], -v[180:181]
.LBB87_97:
	s_or_b64 exec, exec, s[2:3]
	ds_write2_b64 v192, v[180:181], v[182:183] offset1:1
.LBB87_98:
	s_or_b64 exec, exec, s[4:5]
	s_waitcnt lgkmcnt(0)
	s_barrier
	ds_read2_b64 v[176:179], v192 offset1:1
	v_cmp_lt_u32_e32 vcc, 10, v194
	s_waitcnt lgkmcnt(0)
	scratch_store_dwordx4 off, v[176:179], off offset:320 ; 16-byte Folded Spill
	s_and_saveexec_b64 s[2:3], vcc
	s_cbranch_execz .LBB87_100
; %bb.99:
	scratch_load_dwordx4 v[182:185], off, off offset:32 ; 16-byte Folded Reload
	scratch_load_dwordx4 v[178:181], off, off offset:320 ; 16-byte Folded Reload
	v_mov_b64_e32 v[164:165], v[128:129]
	s_waitcnt vmcnt(0)
	v_mul_f64 v[176:177], v[180:181], v[184:185]
	v_mul_f64 v[184:185], v[178:179], v[184:185]
	v_fma_f64 v[176:177], v[178:179], v[182:183], -v[176:177]
	v_fmac_f64_e32 v[184:185], v[180:181], v[182:183]
	ds_read2_b64 v[178:181], v193 offset0:22 offset1:23
	s_waitcnt lgkmcnt(0)
	v_mul_f64 v[128:129], v[180:181], v[184:185]
	v_fma_f64 v[128:129], v[178:179], v[176:177], -v[128:129]
	v_mul_f64 v[178:179], v[178:179], v[184:185]
	v_fmac_f64_e32 v[178:179], v[180:181], v[176:177]
	scratch_load_dwordx4 v[180:183], off, off offset:16 ; 16-byte Folded Reload
	s_waitcnt vmcnt(0)
	v_add_f64 v[180:181], v[180:181], -v[128:129]
	v_add_f64 v[182:183], v[182:183], -v[178:179]
	scratch_store_dwordx4 off, v[180:183], off offset:16 ; 16-byte Folded Spill
	ds_read2_b64 v[178:181], v193 offset0:24 offset1:25
	s_waitcnt lgkmcnt(0)
	v_mul_f64 v[128:129], v[180:181], v[184:185]
	v_fma_f64 v[128:129], v[178:179], v[176:177], -v[128:129]
	v_mul_f64 v[178:179], v[178:179], v[184:185]
	v_fmac_f64_e32 v[178:179], v[180:181], v[176:177]
	scratch_load_dwordx4 v[180:183], off, off ; 16-byte Folded Reload
	s_waitcnt vmcnt(0)
	v_add_f64 v[180:181], v[180:181], -v[128:129]
	v_add_f64 v[182:183], v[182:183], -v[178:179]
	scratch_store_dwordx4 off, v[180:183], off ; 16-byte Folded Spill
	ds_read2_b64 v[178:181], v193 offset0:26 offset1:27
	s_waitcnt lgkmcnt(0)
	v_mul_f64 v[128:129], v[180:181], v[184:185]
	v_fma_f64 v[128:129], v[178:179], v[176:177], -v[128:129]
	v_mul_f64 v[178:179], v[178:179], v[184:185]
	v_fmac_f64_e32 v[178:179], v[180:181], v[176:177]
	v_add_f64 v[118:119], v[118:119], -v[178:179]
	ds_read2_b64 v[178:181], v193 offset0:28 offset1:29
	v_add_f64 v[116:117], v[116:117], -v[128:129]
	v_mov_b64_e32 v[182:183], v[176:177]
	scratch_store_dwordx4 off, v[182:185], off offset:32 ; 16-byte Folded Spill
	s_waitcnt lgkmcnt(0)
	v_mul_f64 v[128:129], v[180:181], v[184:185]
	v_fma_f64 v[128:129], v[178:179], v[176:177], -v[128:129]
	v_mul_f64 v[178:179], v[178:179], v[184:185]
	v_fmac_f64_e32 v[178:179], v[180:181], v[176:177]
	v_add_f64 v[114:115], v[114:115], -v[178:179]
	ds_read2_b64 v[178:181], v193 offset0:30 offset1:31
	v_add_f64 v[112:113], v[112:113], -v[128:129]
	s_waitcnt lgkmcnt(0)
	v_mul_f64 v[128:129], v[180:181], v[184:185]
	v_fma_f64 v[128:129], v[178:179], v[176:177], -v[128:129]
	v_mul_f64 v[178:179], v[178:179], v[184:185]
	v_fmac_f64_e32 v[178:179], v[180:181], v[176:177]
	v_add_f64 v[110:111], v[110:111], -v[178:179]
	ds_read2_b64 v[178:181], v193 offset0:32 offset1:33
	v_add_f64 v[108:109], v[108:109], -v[128:129]
	;; [unrolled: 8-line block ×29, first 2 shown]
	s_waitcnt lgkmcnt(0)
	v_mul_f64 v[128:129], v[180:181], v[184:185]
	v_fma_f64 v[128:129], v[178:179], v[176:177], -v[128:129]
	v_mul_f64 v[178:179], v[178:179], v[184:185]
	v_fmac_f64_e32 v[178:179], v[180:181], v[176:177]
	v_add_f64 v[172:173], v[172:173], -v[128:129]
	v_mov_b64_e32 v[128:129], v[164:165]
	v_add_f64 v[174:175], v[174:175], -v[178:179]
.LBB87_100:
	s_or_b64 exec, exec, s[2:3]
	v_cmp_eq_u32_e32 vcc, 11, v194
	s_barrier
	s_and_saveexec_b64 s[4:5], vcc
	s_cbranch_execz .LBB87_107
; %bb.101:
	scratch_load_dwordx4 v[176:179], off, off offset:16 ; 16-byte Folded Reload
	s_waitcnt vmcnt(0)
	ds_write2_b64 v192, v[176:177], v[178:179] offset1:1
	scratch_load_dwordx4 v[176:179], off, off ; 16-byte Folded Reload
	s_waitcnt vmcnt(0)
	ds_write2_b64 v193, v[176:177], v[178:179] offset0:24 offset1:25
	ds_write2_b64 v193, v[116:117], v[118:119] offset0:26 offset1:27
	;; [unrolled: 1-line block ×32, first 2 shown]
	ds_read2_b64 v[176:179], v192 offset1:1
	s_waitcnt lgkmcnt(0)
	v_cmp_neq_f64_e32 vcc, 0, v[176:177]
	v_cmp_neq_f64_e64 s[2:3], 0, v[178:179]
	s_or_b64 s[2:3], vcc, s[2:3]
	s_and_b64 exec, exec, s[2:3]
	s_cbranch_execz .LBB87_107
; %bb.102:
	v_cmp_ngt_f64_e64 s[2:3], |v[176:177]|, |v[178:179]|
                                        ; implicit-def: $vgpr180_vgpr181
	s_and_saveexec_b64 s[10:11], s[2:3]
	s_xor_b64 s[2:3], exec, s[10:11]
                                        ; implicit-def: $vgpr182_vgpr183
	s_cbranch_execz .LBB87_104
; %bb.103:
	v_div_scale_f64 v[180:181], s[10:11], v[178:179], v[178:179], v[176:177]
	v_rcp_f64_e32 v[182:183], v[180:181]
	v_div_scale_f64 v[184:185], vcc, v[176:177], v[178:179], v[176:177]
	v_fma_f64 v[186:187], -v[180:181], v[182:183], 1.0
	v_fmac_f64_e32 v[182:183], v[182:183], v[186:187]
	v_fma_f64 v[186:187], -v[180:181], v[182:183], 1.0
	v_fmac_f64_e32 v[182:183], v[182:183], v[186:187]
	v_mul_f64 v[186:187], v[184:185], v[182:183]
	v_fma_f64 v[180:181], -v[180:181], v[186:187], v[184:185]
	v_div_fmas_f64 v[180:181], v[180:181], v[182:183], v[186:187]
	v_div_fixup_f64 v[180:181], v[180:181], v[178:179], v[176:177]
	v_fmac_f64_e32 v[178:179], v[176:177], v[180:181]
	v_div_scale_f64 v[176:177], s[10:11], v[178:179], v[178:179], 1.0
	v_rcp_f64_e32 v[182:183], v[176:177]
	s_nop 0
	v_fma_f64 v[184:185], -v[176:177], v[182:183], 1.0
	v_fmac_f64_e32 v[182:183], v[182:183], v[184:185]
	v_fma_f64 v[184:185], -v[176:177], v[182:183], 1.0
	v_fmac_f64_e32 v[182:183], v[182:183], v[184:185]
	v_div_scale_f64 v[184:185], vcc, 1.0, v[178:179], 1.0
	v_mul_f64 v[186:187], v[184:185], v[182:183]
	v_fma_f64 v[176:177], -v[176:177], v[186:187], v[184:185]
	s_nop 1
	v_div_fmas_f64 v[176:177], v[176:177], v[182:183], v[186:187]
	v_div_fixup_f64 v[182:183], v[176:177], v[178:179], 1.0
	v_mul_f64 v[180:181], v[180:181], v[182:183]
	v_xor_b32_e32 v183, 0x80000000, v183
                                        ; implicit-def: $vgpr176_vgpr177
.LBB87_104:
	s_andn2_saveexec_b64 s[2:3], s[2:3]
	s_cbranch_execz .LBB87_106
; %bb.105:
	v_div_scale_f64 v[180:181], s[10:11], v[176:177], v[176:177], v[178:179]
	v_rcp_f64_e32 v[182:183], v[180:181]
	v_div_scale_f64 v[184:185], vcc, v[178:179], v[176:177], v[178:179]
	v_fma_f64 v[186:187], -v[180:181], v[182:183], 1.0
	v_fmac_f64_e32 v[182:183], v[182:183], v[186:187]
	v_fma_f64 v[186:187], -v[180:181], v[182:183], 1.0
	v_fmac_f64_e32 v[182:183], v[182:183], v[186:187]
	v_mul_f64 v[186:187], v[184:185], v[182:183]
	v_fma_f64 v[180:181], -v[180:181], v[186:187], v[184:185]
	v_div_fmas_f64 v[180:181], v[180:181], v[182:183], v[186:187]
	v_div_fixup_f64 v[182:183], v[180:181], v[176:177], v[178:179]
	v_fmac_f64_e32 v[176:177], v[178:179], v[182:183]
	v_div_scale_f64 v[178:179], s[10:11], v[176:177], v[176:177], 1.0
	v_rcp_f64_e32 v[180:181], v[178:179]
	s_nop 0
	v_fma_f64 v[184:185], -v[178:179], v[180:181], 1.0
	v_fmac_f64_e32 v[180:181], v[180:181], v[184:185]
	v_fma_f64 v[184:185], -v[178:179], v[180:181], 1.0
	v_fmac_f64_e32 v[180:181], v[180:181], v[184:185]
	v_div_scale_f64 v[184:185], vcc, 1.0, v[176:177], 1.0
	v_mul_f64 v[186:187], v[184:185], v[180:181]
	v_fma_f64 v[178:179], -v[178:179], v[186:187], v[184:185]
	s_nop 1
	v_div_fmas_f64 v[178:179], v[178:179], v[180:181], v[186:187]
	v_div_fixup_f64 v[180:181], v[178:179], v[176:177], 1.0
	v_mul_f64 v[182:183], v[182:183], -v[180:181]
.LBB87_106:
	s_or_b64 exec, exec, s[2:3]
	ds_write2_b64 v192, v[180:181], v[182:183] offset1:1
.LBB87_107:
	s_or_b64 exec, exec, s[4:5]
	s_waitcnt lgkmcnt(0)
	s_barrier
	ds_read2_b64 v[176:179], v192 offset1:1
	v_cmp_lt_u32_e32 vcc, 11, v194
	s_waitcnt lgkmcnt(0)
	scratch_store_dwordx4 off, v[176:179], off offset:336 ; 16-byte Folded Spill
	s_and_saveexec_b64 s[2:3], vcc
	s_cbranch_execz .LBB87_109
; %bb.108:
	scratch_load_dwordx4 v[182:185], off, off offset:16 ; 16-byte Folded Reload
	scratch_load_dwordx4 v[178:181], off, off offset:336 ; 16-byte Folded Reload
	v_mov_b64_e32 v[164:165], v[124:125]
	s_waitcnt vmcnt(0)
	v_mul_f64 v[176:177], v[180:181], v[184:185]
	v_mul_f64 v[184:185], v[178:179], v[184:185]
	v_fma_f64 v[176:177], v[178:179], v[182:183], -v[176:177]
	v_fmac_f64_e32 v[184:185], v[180:181], v[182:183]
	ds_read2_b64 v[178:181], v193 offset0:24 offset1:25
	s_waitcnt lgkmcnt(0)
	v_mul_f64 v[124:125], v[180:181], v[184:185]
	v_fma_f64 v[124:125], v[178:179], v[176:177], -v[124:125]
	v_mul_f64 v[178:179], v[178:179], v[184:185]
	v_fmac_f64_e32 v[178:179], v[180:181], v[176:177]
	scratch_load_dwordx4 v[180:183], off, off ; 16-byte Folded Reload
	s_waitcnt vmcnt(0)
	v_add_f64 v[180:181], v[180:181], -v[124:125]
	v_add_f64 v[182:183], v[182:183], -v[178:179]
	scratch_store_dwordx4 off, v[180:183], off ; 16-byte Folded Spill
	ds_read2_b64 v[178:181], v193 offset0:26 offset1:27
	s_waitcnt lgkmcnt(0)
	v_mul_f64 v[124:125], v[180:181], v[184:185]
	v_fma_f64 v[124:125], v[178:179], v[176:177], -v[124:125]
	v_mul_f64 v[178:179], v[178:179], v[184:185]
	v_fmac_f64_e32 v[178:179], v[180:181], v[176:177]
	v_add_f64 v[118:119], v[118:119], -v[178:179]
	ds_read2_b64 v[178:181], v193 offset0:28 offset1:29
	v_add_f64 v[116:117], v[116:117], -v[124:125]
	v_mov_b64_e32 v[182:183], v[176:177]
	scratch_store_dwordx4 off, v[182:185], off offset:16 ; 16-byte Folded Spill
	s_waitcnt lgkmcnt(0)
	v_mul_f64 v[124:125], v[180:181], v[184:185]
	v_fma_f64 v[124:125], v[178:179], v[176:177], -v[124:125]
	v_mul_f64 v[178:179], v[178:179], v[184:185]
	v_fmac_f64_e32 v[178:179], v[180:181], v[176:177]
	v_add_f64 v[114:115], v[114:115], -v[178:179]
	ds_read2_b64 v[178:181], v193 offset0:30 offset1:31
	v_add_f64 v[112:113], v[112:113], -v[124:125]
	s_waitcnt lgkmcnt(0)
	v_mul_f64 v[124:125], v[180:181], v[184:185]
	v_fma_f64 v[124:125], v[178:179], v[176:177], -v[124:125]
	v_mul_f64 v[178:179], v[178:179], v[184:185]
	v_fmac_f64_e32 v[178:179], v[180:181], v[176:177]
	v_add_f64 v[110:111], v[110:111], -v[178:179]
	ds_read2_b64 v[178:181], v193 offset0:32 offset1:33
	v_add_f64 v[108:109], v[108:109], -v[124:125]
	;; [unrolled: 8-line block ×29, first 2 shown]
	s_waitcnt lgkmcnt(0)
	v_mul_f64 v[124:125], v[180:181], v[184:185]
	v_fma_f64 v[124:125], v[178:179], v[176:177], -v[124:125]
	v_mul_f64 v[178:179], v[178:179], v[184:185]
	v_fmac_f64_e32 v[178:179], v[180:181], v[176:177]
	v_add_f64 v[172:173], v[172:173], -v[124:125]
	v_mov_b64_e32 v[124:125], v[164:165]
	v_add_f64 v[174:175], v[174:175], -v[178:179]
.LBB87_109:
	s_or_b64 exec, exec, s[2:3]
	v_cmp_eq_u32_e32 vcc, 12, v194
	s_barrier
	s_and_saveexec_b64 s[4:5], vcc
	s_cbranch_execz .LBB87_116
; %bb.110:
	scratch_load_dwordx4 v[176:179], off, off ; 16-byte Folded Reload
	s_waitcnt vmcnt(0)
	ds_write2_b64 v192, v[176:177], v[178:179] offset1:1
	ds_write2_b64 v193, v[116:117], v[118:119] offset0:26 offset1:27
	ds_write2_b64 v193, v[112:113], v[114:115] offset0:28 offset1:29
	;; [unrolled: 1-line block ×31, first 2 shown]
	ds_read2_b64 v[176:179], v192 offset1:1
	s_waitcnt lgkmcnt(0)
	v_cmp_neq_f64_e32 vcc, 0, v[176:177]
	v_cmp_neq_f64_e64 s[2:3], 0, v[178:179]
	s_or_b64 s[2:3], vcc, s[2:3]
	s_and_b64 exec, exec, s[2:3]
	s_cbranch_execz .LBB87_116
; %bb.111:
	v_cmp_ngt_f64_e64 s[2:3], |v[176:177]|, |v[178:179]|
                                        ; implicit-def: $vgpr180_vgpr181
	s_and_saveexec_b64 s[10:11], s[2:3]
	s_xor_b64 s[2:3], exec, s[10:11]
                                        ; implicit-def: $vgpr182_vgpr183
	s_cbranch_execz .LBB87_113
; %bb.112:
	v_div_scale_f64 v[180:181], s[10:11], v[178:179], v[178:179], v[176:177]
	v_rcp_f64_e32 v[182:183], v[180:181]
	v_div_scale_f64 v[184:185], vcc, v[176:177], v[178:179], v[176:177]
	v_fma_f64 v[186:187], -v[180:181], v[182:183], 1.0
	v_fmac_f64_e32 v[182:183], v[182:183], v[186:187]
	v_fma_f64 v[186:187], -v[180:181], v[182:183], 1.0
	v_fmac_f64_e32 v[182:183], v[182:183], v[186:187]
	v_mul_f64 v[186:187], v[184:185], v[182:183]
	v_fma_f64 v[180:181], -v[180:181], v[186:187], v[184:185]
	v_div_fmas_f64 v[180:181], v[180:181], v[182:183], v[186:187]
	v_div_fixup_f64 v[180:181], v[180:181], v[178:179], v[176:177]
	v_fmac_f64_e32 v[178:179], v[176:177], v[180:181]
	v_div_scale_f64 v[176:177], s[10:11], v[178:179], v[178:179], 1.0
	v_rcp_f64_e32 v[182:183], v[176:177]
	s_nop 0
	v_fma_f64 v[184:185], -v[176:177], v[182:183], 1.0
	v_fmac_f64_e32 v[182:183], v[182:183], v[184:185]
	v_fma_f64 v[184:185], -v[176:177], v[182:183], 1.0
	v_fmac_f64_e32 v[182:183], v[182:183], v[184:185]
	v_div_scale_f64 v[184:185], vcc, 1.0, v[178:179], 1.0
	v_mul_f64 v[186:187], v[184:185], v[182:183]
	v_fma_f64 v[176:177], -v[176:177], v[186:187], v[184:185]
	s_nop 1
	v_div_fmas_f64 v[176:177], v[176:177], v[182:183], v[186:187]
	v_div_fixup_f64 v[182:183], v[176:177], v[178:179], 1.0
	v_mul_f64 v[180:181], v[180:181], v[182:183]
	v_xor_b32_e32 v183, 0x80000000, v183
                                        ; implicit-def: $vgpr176_vgpr177
.LBB87_113:
	s_andn2_saveexec_b64 s[2:3], s[2:3]
	s_cbranch_execz .LBB87_115
; %bb.114:
	v_div_scale_f64 v[180:181], s[10:11], v[176:177], v[176:177], v[178:179]
	v_rcp_f64_e32 v[182:183], v[180:181]
	v_div_scale_f64 v[184:185], vcc, v[178:179], v[176:177], v[178:179]
	v_fma_f64 v[186:187], -v[180:181], v[182:183], 1.0
	v_fmac_f64_e32 v[182:183], v[182:183], v[186:187]
	v_fma_f64 v[186:187], -v[180:181], v[182:183], 1.0
	v_fmac_f64_e32 v[182:183], v[182:183], v[186:187]
	v_mul_f64 v[186:187], v[184:185], v[182:183]
	v_fma_f64 v[180:181], -v[180:181], v[186:187], v[184:185]
	v_div_fmas_f64 v[180:181], v[180:181], v[182:183], v[186:187]
	v_div_fixup_f64 v[182:183], v[180:181], v[176:177], v[178:179]
	v_fmac_f64_e32 v[176:177], v[178:179], v[182:183]
	v_div_scale_f64 v[178:179], s[10:11], v[176:177], v[176:177], 1.0
	v_rcp_f64_e32 v[180:181], v[178:179]
	s_nop 0
	v_fma_f64 v[184:185], -v[178:179], v[180:181], 1.0
	v_fmac_f64_e32 v[180:181], v[180:181], v[184:185]
	v_fma_f64 v[184:185], -v[178:179], v[180:181], 1.0
	v_fmac_f64_e32 v[180:181], v[180:181], v[184:185]
	v_div_scale_f64 v[184:185], vcc, 1.0, v[176:177], 1.0
	v_mul_f64 v[186:187], v[184:185], v[180:181]
	v_fma_f64 v[178:179], -v[178:179], v[186:187], v[184:185]
	s_nop 1
	v_div_fmas_f64 v[178:179], v[178:179], v[180:181], v[186:187]
	v_div_fixup_f64 v[180:181], v[178:179], v[176:177], 1.0
	v_mul_f64 v[182:183], v[182:183], -v[180:181]
.LBB87_115:
	s_or_b64 exec, exec, s[2:3]
	ds_write2_b64 v192, v[180:181], v[182:183] offset1:1
.LBB87_116:
	s_or_b64 exec, exec, s[4:5]
	s_waitcnt lgkmcnt(0)
	s_barrier
	ds_read2_b64 v[176:179], v192 offset1:1
	v_cmp_lt_u32_e32 vcc, 12, v194
	s_waitcnt lgkmcnt(0)
	scratch_store_dwordx4 off, v[176:179], off offset:352 ; 16-byte Folded Spill
	s_and_saveexec_b64 s[2:3], vcc
	s_cbranch_execz .LBB87_118
; %bb.117:
	scratch_load_dwordx4 v[180:183], off, off ; 16-byte Folded Reload
	scratch_load_dwordx4 v[184:187], off, off offset:352 ; 16-byte Folded Reload
	v_mov_b64_e32 v[164:165], v[120:121]
	s_waitcnt vmcnt(0)
	v_mul_f64 v[176:177], v[186:187], v[182:183]
	v_mul_f64 v[182:183], v[184:185], v[182:183]
	v_fma_f64 v[176:177], v[184:185], v[180:181], -v[176:177]
	v_fmac_f64_e32 v[182:183], v[186:187], v[180:181]
	ds_read2_b64 v[178:181], v193 offset0:26 offset1:27
	s_waitcnt lgkmcnt(0)
	v_mul_f64 v[120:121], v[180:181], v[182:183]
	v_fma_f64 v[120:121], v[178:179], v[176:177], -v[120:121]
	v_mul_f64 v[178:179], v[178:179], v[182:183]
	v_fmac_f64_e32 v[178:179], v[180:181], v[176:177]
	v_add_f64 v[118:119], v[118:119], -v[178:179]
	ds_read2_b64 v[178:181], v193 offset0:28 offset1:29
	v_add_f64 v[116:117], v[116:117], -v[120:121]
	s_waitcnt lgkmcnt(0)
	v_mul_f64 v[120:121], v[180:181], v[182:183]
	v_fma_f64 v[120:121], v[178:179], v[176:177], -v[120:121]
	v_mul_f64 v[178:179], v[178:179], v[182:183]
	v_fmac_f64_e32 v[178:179], v[180:181], v[176:177]
	v_add_f64 v[114:115], v[114:115], -v[178:179]
	ds_read2_b64 v[178:181], v193 offset0:30 offset1:31
	v_add_f64 v[112:113], v[112:113], -v[120:121]
	;; [unrolled: 8-line block ×30, first 2 shown]
	s_waitcnt lgkmcnt(0)
	v_mul_f64 v[120:121], v[180:181], v[182:183]
	v_fma_f64 v[120:121], v[178:179], v[176:177], -v[120:121]
	v_mul_f64 v[178:179], v[178:179], v[182:183]
	v_fmac_f64_e32 v[178:179], v[180:181], v[176:177]
	v_add_f64 v[172:173], v[172:173], -v[120:121]
	v_mov_b64_e32 v[120:121], v[164:165]
	v_add_f64 v[174:175], v[174:175], -v[178:179]
	v_mov_b64_e32 v[180:181], v[176:177]
	scratch_store_dwordx4 off, v[180:183], off ; 16-byte Folded Spill
.LBB87_118:
	s_or_b64 exec, exec, s[2:3]
	v_cmp_eq_u32_e32 vcc, 13, v194
	s_barrier
	s_and_saveexec_b64 s[4:5], vcc
	s_cbranch_execz .LBB87_125
; %bb.119:
	s_waitcnt vmcnt(42)
	ds_write2_b64 v192, v[116:117], v[118:119] offset1:1
	s_waitcnt vmcnt(41)
	ds_write2_b64 v193, v[112:113], v[114:115] offset0:28 offset1:29
	s_waitcnt vmcnt(40)
	ds_write2_b64 v193, v[108:109], v[110:111] offset0:30 offset1:31
	;; [unrolled: 2-line block ×30, first 2 shown]
	ds_read2_b64 v[176:179], v192 offset1:1
	s_waitcnt lgkmcnt(0)
	v_cmp_neq_f64_e32 vcc, 0, v[176:177]
	v_cmp_neq_f64_e64 s[2:3], 0, v[178:179]
	s_or_b64 s[2:3], vcc, s[2:3]
	s_and_b64 exec, exec, s[2:3]
	s_cbranch_execz .LBB87_125
; %bb.120:
	v_cmp_ngt_f64_e64 s[2:3], |v[176:177]|, |v[178:179]|
                                        ; implicit-def: $vgpr180_vgpr181
	s_and_saveexec_b64 s[10:11], s[2:3]
	s_xor_b64 s[2:3], exec, s[10:11]
                                        ; implicit-def: $vgpr182_vgpr183
	s_cbranch_execz .LBB87_122
; %bb.121:
	v_div_scale_f64 v[180:181], s[10:11], v[178:179], v[178:179], v[176:177]
	v_rcp_f64_e32 v[182:183], v[180:181]
	v_div_scale_f64 v[184:185], vcc, v[176:177], v[178:179], v[176:177]
	v_fma_f64 v[186:187], -v[180:181], v[182:183], 1.0
	v_fmac_f64_e32 v[182:183], v[182:183], v[186:187]
	v_fma_f64 v[186:187], -v[180:181], v[182:183], 1.0
	v_fmac_f64_e32 v[182:183], v[182:183], v[186:187]
	v_mul_f64 v[186:187], v[184:185], v[182:183]
	v_fma_f64 v[180:181], -v[180:181], v[186:187], v[184:185]
	v_div_fmas_f64 v[180:181], v[180:181], v[182:183], v[186:187]
	v_div_fixup_f64 v[180:181], v[180:181], v[178:179], v[176:177]
	v_fmac_f64_e32 v[178:179], v[176:177], v[180:181]
	v_div_scale_f64 v[176:177], s[10:11], v[178:179], v[178:179], 1.0
	v_rcp_f64_e32 v[182:183], v[176:177]
	s_nop 0
	v_fma_f64 v[184:185], -v[176:177], v[182:183], 1.0
	v_fmac_f64_e32 v[182:183], v[182:183], v[184:185]
	v_fma_f64 v[184:185], -v[176:177], v[182:183], 1.0
	v_fmac_f64_e32 v[182:183], v[182:183], v[184:185]
	v_div_scale_f64 v[184:185], vcc, 1.0, v[178:179], 1.0
	v_mul_f64 v[186:187], v[184:185], v[182:183]
	v_fma_f64 v[176:177], -v[176:177], v[186:187], v[184:185]
	s_nop 1
	v_div_fmas_f64 v[176:177], v[176:177], v[182:183], v[186:187]
	v_div_fixup_f64 v[182:183], v[176:177], v[178:179], 1.0
	v_mul_f64 v[180:181], v[180:181], v[182:183]
	v_xor_b32_e32 v183, 0x80000000, v183
                                        ; implicit-def: $vgpr176_vgpr177
.LBB87_122:
	s_andn2_saveexec_b64 s[2:3], s[2:3]
	s_cbranch_execz .LBB87_124
; %bb.123:
	v_div_scale_f64 v[180:181], s[10:11], v[176:177], v[176:177], v[178:179]
	v_rcp_f64_e32 v[182:183], v[180:181]
	v_div_scale_f64 v[184:185], vcc, v[178:179], v[176:177], v[178:179]
	v_fma_f64 v[186:187], -v[180:181], v[182:183], 1.0
	v_fmac_f64_e32 v[182:183], v[182:183], v[186:187]
	v_fma_f64 v[186:187], -v[180:181], v[182:183], 1.0
	v_fmac_f64_e32 v[182:183], v[182:183], v[186:187]
	v_mul_f64 v[186:187], v[184:185], v[182:183]
	v_fma_f64 v[180:181], -v[180:181], v[186:187], v[184:185]
	v_div_fmas_f64 v[180:181], v[180:181], v[182:183], v[186:187]
	v_div_fixup_f64 v[182:183], v[180:181], v[176:177], v[178:179]
	v_fmac_f64_e32 v[176:177], v[178:179], v[182:183]
	v_div_scale_f64 v[178:179], s[10:11], v[176:177], v[176:177], 1.0
	v_rcp_f64_e32 v[180:181], v[178:179]
	s_nop 0
	v_fma_f64 v[184:185], -v[178:179], v[180:181], 1.0
	v_fmac_f64_e32 v[180:181], v[180:181], v[184:185]
	v_fma_f64 v[184:185], -v[178:179], v[180:181], 1.0
	v_fmac_f64_e32 v[180:181], v[180:181], v[184:185]
	v_div_scale_f64 v[184:185], vcc, 1.0, v[176:177], 1.0
	v_mul_f64 v[186:187], v[184:185], v[180:181]
	v_fma_f64 v[178:179], -v[178:179], v[186:187], v[184:185]
	s_nop 1
	v_div_fmas_f64 v[178:179], v[178:179], v[180:181], v[186:187]
	v_div_fixup_f64 v[180:181], v[178:179], v[176:177], 1.0
	v_mul_f64 v[182:183], v[182:183], -v[180:181]
.LBB87_124:
	s_or_b64 exec, exec, s[2:3]
	ds_write2_b64 v192, v[180:181], v[182:183] offset1:1
.LBB87_125:
	s_or_b64 exec, exec, s[4:5]
	s_waitcnt lgkmcnt(0)
	s_barrier
	ds_read2_b64 v[176:179], v192 offset1:1
	v_cmp_lt_u32_e32 vcc, 13, v194
	s_waitcnt lgkmcnt(0)
	scratch_store_dwordx4 off, v[176:179], off offset:368 ; 16-byte Folded Spill
	s_and_saveexec_b64 s[2:3], vcc
	s_cbranch_execz .LBB87_127
; %bb.126:
	scratch_load_dwordx4 v[178:181], off, off offset:368 ; 16-byte Folded Reload
	s_waitcnt vmcnt(0)
	v_mul_f64 v[176:177], v[180:181], v[118:119]
	v_mul_f64 v[118:119], v[178:179], v[118:119]
	v_fma_f64 v[176:177], v[178:179], v[116:117], -v[176:177]
	v_fmac_f64_e32 v[118:119], v[180:181], v[116:117]
	ds_read2_b64 v[178:181], v193 offset0:28 offset1:29
	s_waitcnt lgkmcnt(0)
	v_mul_f64 v[116:117], v[180:181], v[118:119]
	v_fma_f64 v[116:117], v[178:179], v[176:177], -v[116:117]
	v_mul_f64 v[178:179], v[178:179], v[118:119]
	v_fmac_f64_e32 v[178:179], v[180:181], v[176:177]
	v_add_f64 v[114:115], v[114:115], -v[178:179]
	ds_read2_b64 v[178:181], v193 offset0:30 offset1:31
	v_add_f64 v[112:113], v[112:113], -v[116:117]
	s_waitcnt lgkmcnt(0)
	v_mul_f64 v[116:117], v[180:181], v[118:119]
	v_fma_f64 v[116:117], v[178:179], v[176:177], -v[116:117]
	v_mul_f64 v[178:179], v[178:179], v[118:119]
	v_fmac_f64_e32 v[178:179], v[180:181], v[176:177]
	v_add_f64 v[110:111], v[110:111], -v[178:179]
	ds_read2_b64 v[178:181], v193 offset0:32 offset1:33
	v_add_f64 v[108:109], v[108:109], -v[116:117]
	;; [unrolled: 8-line block ×29, first 2 shown]
	s_waitcnt lgkmcnt(0)
	v_mul_f64 v[116:117], v[180:181], v[118:119]
	v_fma_f64 v[116:117], v[178:179], v[176:177], -v[116:117]
	v_mul_f64 v[178:179], v[178:179], v[118:119]
	v_fmac_f64_e32 v[178:179], v[180:181], v[176:177]
	v_add_f64 v[172:173], v[172:173], -v[116:117]
	v_add_f64 v[174:175], v[174:175], -v[178:179]
	v_mov_b64_e32 v[116:117], v[176:177]
.LBB87_127:
	s_or_b64 exec, exec, s[2:3]
	v_cmp_eq_u32_e32 vcc, 14, v194
	s_barrier
	s_and_saveexec_b64 s[4:5], vcc
	s_cbranch_execz .LBB87_134
; %bb.128:
	s_waitcnt vmcnt(42)
	ds_write2_b64 v192, v[112:113], v[114:115] offset1:1
	s_waitcnt vmcnt(41)
	ds_write2_b64 v193, v[108:109], v[110:111] offset0:30 offset1:31
	s_waitcnt vmcnt(40)
	ds_write2_b64 v193, v[104:105], v[106:107] offset0:32 offset1:33
	;; [unrolled: 2-line block ×29, first 2 shown]
	ds_read2_b64 v[176:179], v192 offset1:1
	s_waitcnt lgkmcnt(0)
	v_cmp_neq_f64_e32 vcc, 0, v[176:177]
	v_cmp_neq_f64_e64 s[2:3], 0, v[178:179]
	s_or_b64 s[2:3], vcc, s[2:3]
	s_and_b64 exec, exec, s[2:3]
	s_cbranch_execz .LBB87_134
; %bb.129:
	v_cmp_ngt_f64_e64 s[2:3], |v[176:177]|, |v[178:179]|
                                        ; implicit-def: $vgpr180_vgpr181
	s_and_saveexec_b64 s[10:11], s[2:3]
	s_xor_b64 s[2:3], exec, s[10:11]
                                        ; implicit-def: $vgpr182_vgpr183
	s_cbranch_execz .LBB87_131
; %bb.130:
	v_div_scale_f64 v[180:181], s[10:11], v[178:179], v[178:179], v[176:177]
	v_rcp_f64_e32 v[182:183], v[180:181]
	v_div_scale_f64 v[184:185], vcc, v[176:177], v[178:179], v[176:177]
	v_fma_f64 v[186:187], -v[180:181], v[182:183], 1.0
	v_fmac_f64_e32 v[182:183], v[182:183], v[186:187]
	v_fma_f64 v[186:187], -v[180:181], v[182:183], 1.0
	v_fmac_f64_e32 v[182:183], v[182:183], v[186:187]
	v_mul_f64 v[186:187], v[184:185], v[182:183]
	v_fma_f64 v[180:181], -v[180:181], v[186:187], v[184:185]
	v_div_fmas_f64 v[180:181], v[180:181], v[182:183], v[186:187]
	v_div_fixup_f64 v[180:181], v[180:181], v[178:179], v[176:177]
	v_fmac_f64_e32 v[178:179], v[176:177], v[180:181]
	v_div_scale_f64 v[176:177], s[10:11], v[178:179], v[178:179], 1.0
	v_rcp_f64_e32 v[182:183], v[176:177]
	s_nop 0
	v_fma_f64 v[184:185], -v[176:177], v[182:183], 1.0
	v_fmac_f64_e32 v[182:183], v[182:183], v[184:185]
	v_fma_f64 v[184:185], -v[176:177], v[182:183], 1.0
	v_fmac_f64_e32 v[182:183], v[182:183], v[184:185]
	v_div_scale_f64 v[184:185], vcc, 1.0, v[178:179], 1.0
	v_mul_f64 v[186:187], v[184:185], v[182:183]
	v_fma_f64 v[176:177], -v[176:177], v[186:187], v[184:185]
	s_nop 1
	v_div_fmas_f64 v[176:177], v[176:177], v[182:183], v[186:187]
	v_div_fixup_f64 v[182:183], v[176:177], v[178:179], 1.0
	v_mul_f64 v[180:181], v[180:181], v[182:183]
	v_xor_b32_e32 v183, 0x80000000, v183
                                        ; implicit-def: $vgpr176_vgpr177
.LBB87_131:
	s_andn2_saveexec_b64 s[2:3], s[2:3]
	s_cbranch_execz .LBB87_133
; %bb.132:
	v_div_scale_f64 v[180:181], s[10:11], v[176:177], v[176:177], v[178:179]
	v_rcp_f64_e32 v[182:183], v[180:181]
	v_div_scale_f64 v[184:185], vcc, v[178:179], v[176:177], v[178:179]
	v_fma_f64 v[186:187], -v[180:181], v[182:183], 1.0
	v_fmac_f64_e32 v[182:183], v[182:183], v[186:187]
	v_fma_f64 v[186:187], -v[180:181], v[182:183], 1.0
	v_fmac_f64_e32 v[182:183], v[182:183], v[186:187]
	v_mul_f64 v[186:187], v[184:185], v[182:183]
	v_fma_f64 v[180:181], -v[180:181], v[186:187], v[184:185]
	v_div_fmas_f64 v[180:181], v[180:181], v[182:183], v[186:187]
	v_div_fixup_f64 v[182:183], v[180:181], v[176:177], v[178:179]
	v_fmac_f64_e32 v[176:177], v[178:179], v[182:183]
	v_div_scale_f64 v[178:179], s[10:11], v[176:177], v[176:177], 1.0
	v_rcp_f64_e32 v[180:181], v[178:179]
	s_nop 0
	v_fma_f64 v[184:185], -v[178:179], v[180:181], 1.0
	v_fmac_f64_e32 v[180:181], v[180:181], v[184:185]
	v_fma_f64 v[184:185], -v[178:179], v[180:181], 1.0
	v_fmac_f64_e32 v[180:181], v[180:181], v[184:185]
	v_div_scale_f64 v[184:185], vcc, 1.0, v[176:177], 1.0
	v_mul_f64 v[186:187], v[184:185], v[180:181]
	v_fma_f64 v[178:179], -v[178:179], v[186:187], v[184:185]
	s_nop 1
	v_div_fmas_f64 v[178:179], v[178:179], v[180:181], v[186:187]
	v_div_fixup_f64 v[180:181], v[178:179], v[176:177], 1.0
	v_mul_f64 v[182:183], v[182:183], -v[180:181]
.LBB87_133:
	s_or_b64 exec, exec, s[2:3]
	ds_write2_b64 v192, v[180:181], v[182:183] offset1:1
.LBB87_134:
	s_or_b64 exec, exec, s[4:5]
	s_waitcnt lgkmcnt(0)
	s_barrier
	ds_read2_b64 v[176:179], v192 offset1:1
	v_cmp_lt_u32_e32 vcc, 14, v194
	s_waitcnt lgkmcnt(0)
	scratch_store_dwordx4 off, v[176:179], off offset:384 ; 16-byte Folded Spill
	s_and_saveexec_b64 s[2:3], vcc
	s_cbranch_execz .LBB87_136
; %bb.135:
	scratch_load_dwordx4 v[178:181], off, off offset:384 ; 16-byte Folded Reload
	s_waitcnt vmcnt(0)
	v_mul_f64 v[176:177], v[180:181], v[114:115]
	v_mul_f64 v[114:115], v[178:179], v[114:115]
	v_fma_f64 v[176:177], v[178:179], v[112:113], -v[176:177]
	v_fmac_f64_e32 v[114:115], v[180:181], v[112:113]
	ds_read2_b64 v[178:181], v193 offset0:30 offset1:31
	s_waitcnt lgkmcnt(0)
	v_mul_f64 v[112:113], v[180:181], v[114:115]
	v_fma_f64 v[112:113], v[178:179], v[176:177], -v[112:113]
	v_mul_f64 v[178:179], v[178:179], v[114:115]
	v_fmac_f64_e32 v[178:179], v[180:181], v[176:177]
	v_add_f64 v[110:111], v[110:111], -v[178:179]
	ds_read2_b64 v[178:181], v193 offset0:32 offset1:33
	v_add_f64 v[108:109], v[108:109], -v[112:113]
	s_waitcnt lgkmcnt(0)
	v_mul_f64 v[112:113], v[180:181], v[114:115]
	v_fma_f64 v[112:113], v[178:179], v[176:177], -v[112:113]
	v_mul_f64 v[178:179], v[178:179], v[114:115]
	v_fmac_f64_e32 v[178:179], v[180:181], v[176:177]
	v_add_f64 v[106:107], v[106:107], -v[178:179]
	ds_read2_b64 v[178:181], v193 offset0:34 offset1:35
	v_add_f64 v[104:105], v[104:105], -v[112:113]
	;; [unrolled: 8-line block ×28, first 2 shown]
	s_waitcnt lgkmcnt(0)
	v_mul_f64 v[112:113], v[180:181], v[114:115]
	v_fma_f64 v[112:113], v[178:179], v[176:177], -v[112:113]
	v_mul_f64 v[178:179], v[178:179], v[114:115]
	v_fmac_f64_e32 v[178:179], v[180:181], v[176:177]
	v_add_f64 v[172:173], v[172:173], -v[112:113]
	v_add_f64 v[174:175], v[174:175], -v[178:179]
	v_mov_b64_e32 v[112:113], v[176:177]
.LBB87_136:
	s_or_b64 exec, exec, s[2:3]
	v_cmp_eq_u32_e32 vcc, 15, v194
	s_barrier
	s_and_saveexec_b64 s[4:5], vcc
	s_cbranch_execz .LBB87_143
; %bb.137:
	s_waitcnt vmcnt(42)
	ds_write2_b64 v192, v[108:109], v[110:111] offset1:1
	s_waitcnt vmcnt(41)
	ds_write2_b64 v193, v[104:105], v[106:107] offset0:32 offset1:33
	s_waitcnt vmcnt(40)
	ds_write2_b64 v193, v[100:101], v[102:103] offset0:34 offset1:35
	;; [unrolled: 2-line block ×28, first 2 shown]
	ds_read2_b64 v[176:179], v192 offset1:1
	s_waitcnt lgkmcnt(0)
	v_cmp_neq_f64_e32 vcc, 0, v[176:177]
	v_cmp_neq_f64_e64 s[2:3], 0, v[178:179]
	s_or_b64 s[2:3], vcc, s[2:3]
	s_and_b64 exec, exec, s[2:3]
	s_cbranch_execz .LBB87_143
; %bb.138:
	v_cmp_ngt_f64_e64 s[2:3], |v[176:177]|, |v[178:179]|
                                        ; implicit-def: $vgpr180_vgpr181
	s_and_saveexec_b64 s[10:11], s[2:3]
	s_xor_b64 s[2:3], exec, s[10:11]
                                        ; implicit-def: $vgpr182_vgpr183
	s_cbranch_execz .LBB87_140
; %bb.139:
	v_div_scale_f64 v[180:181], s[10:11], v[178:179], v[178:179], v[176:177]
	v_rcp_f64_e32 v[182:183], v[180:181]
	v_div_scale_f64 v[184:185], vcc, v[176:177], v[178:179], v[176:177]
	v_fma_f64 v[186:187], -v[180:181], v[182:183], 1.0
	v_fmac_f64_e32 v[182:183], v[182:183], v[186:187]
	v_fma_f64 v[186:187], -v[180:181], v[182:183], 1.0
	v_fmac_f64_e32 v[182:183], v[182:183], v[186:187]
	v_mul_f64 v[186:187], v[184:185], v[182:183]
	v_fma_f64 v[180:181], -v[180:181], v[186:187], v[184:185]
	v_div_fmas_f64 v[180:181], v[180:181], v[182:183], v[186:187]
	v_div_fixup_f64 v[180:181], v[180:181], v[178:179], v[176:177]
	v_fmac_f64_e32 v[178:179], v[176:177], v[180:181]
	v_div_scale_f64 v[176:177], s[10:11], v[178:179], v[178:179], 1.0
	v_rcp_f64_e32 v[182:183], v[176:177]
	s_nop 0
	v_fma_f64 v[184:185], -v[176:177], v[182:183], 1.0
	v_fmac_f64_e32 v[182:183], v[182:183], v[184:185]
	v_fma_f64 v[184:185], -v[176:177], v[182:183], 1.0
	v_fmac_f64_e32 v[182:183], v[182:183], v[184:185]
	v_div_scale_f64 v[184:185], vcc, 1.0, v[178:179], 1.0
	v_mul_f64 v[186:187], v[184:185], v[182:183]
	v_fma_f64 v[176:177], -v[176:177], v[186:187], v[184:185]
	s_nop 1
	v_div_fmas_f64 v[176:177], v[176:177], v[182:183], v[186:187]
	v_div_fixup_f64 v[182:183], v[176:177], v[178:179], 1.0
	v_mul_f64 v[180:181], v[180:181], v[182:183]
	v_xor_b32_e32 v183, 0x80000000, v183
                                        ; implicit-def: $vgpr176_vgpr177
.LBB87_140:
	s_andn2_saveexec_b64 s[2:3], s[2:3]
	s_cbranch_execz .LBB87_142
; %bb.141:
	v_div_scale_f64 v[180:181], s[10:11], v[176:177], v[176:177], v[178:179]
	v_rcp_f64_e32 v[182:183], v[180:181]
	v_div_scale_f64 v[184:185], vcc, v[178:179], v[176:177], v[178:179]
	v_fma_f64 v[186:187], -v[180:181], v[182:183], 1.0
	v_fmac_f64_e32 v[182:183], v[182:183], v[186:187]
	v_fma_f64 v[186:187], -v[180:181], v[182:183], 1.0
	v_fmac_f64_e32 v[182:183], v[182:183], v[186:187]
	v_mul_f64 v[186:187], v[184:185], v[182:183]
	v_fma_f64 v[180:181], -v[180:181], v[186:187], v[184:185]
	v_div_fmas_f64 v[180:181], v[180:181], v[182:183], v[186:187]
	v_div_fixup_f64 v[182:183], v[180:181], v[176:177], v[178:179]
	v_fmac_f64_e32 v[176:177], v[178:179], v[182:183]
	v_div_scale_f64 v[178:179], s[10:11], v[176:177], v[176:177], 1.0
	v_rcp_f64_e32 v[180:181], v[178:179]
	s_nop 0
	v_fma_f64 v[184:185], -v[178:179], v[180:181], 1.0
	v_fmac_f64_e32 v[180:181], v[180:181], v[184:185]
	v_fma_f64 v[184:185], -v[178:179], v[180:181], 1.0
	v_fmac_f64_e32 v[180:181], v[180:181], v[184:185]
	v_div_scale_f64 v[184:185], vcc, 1.0, v[176:177], 1.0
	v_mul_f64 v[186:187], v[184:185], v[180:181]
	v_fma_f64 v[178:179], -v[178:179], v[186:187], v[184:185]
	s_nop 1
	v_div_fmas_f64 v[178:179], v[178:179], v[180:181], v[186:187]
	v_div_fixup_f64 v[180:181], v[178:179], v[176:177], 1.0
	v_mul_f64 v[182:183], v[182:183], -v[180:181]
.LBB87_142:
	s_or_b64 exec, exec, s[2:3]
	ds_write2_b64 v192, v[180:181], v[182:183] offset1:1
.LBB87_143:
	s_or_b64 exec, exec, s[4:5]
	s_waitcnt lgkmcnt(0)
	s_barrier
	ds_read2_b64 v[176:179], v192 offset1:1
	v_cmp_lt_u32_e32 vcc, 15, v194
	s_waitcnt lgkmcnt(0)
	scratch_store_dwordx4 off, v[176:179], off offset:400 ; 16-byte Folded Spill
	s_and_saveexec_b64 s[2:3], vcc
	s_cbranch_execz .LBB87_145
; %bb.144:
	scratch_load_dwordx4 v[178:181], off, off offset:400 ; 16-byte Folded Reload
	s_waitcnt vmcnt(0)
	v_mul_f64 v[176:177], v[180:181], v[110:111]
	v_mul_f64 v[110:111], v[178:179], v[110:111]
	v_fma_f64 v[176:177], v[178:179], v[108:109], -v[176:177]
	v_fmac_f64_e32 v[110:111], v[180:181], v[108:109]
	ds_read2_b64 v[178:181], v193 offset0:32 offset1:33
	s_waitcnt lgkmcnt(0)
	v_mul_f64 v[108:109], v[180:181], v[110:111]
	v_fma_f64 v[108:109], v[178:179], v[176:177], -v[108:109]
	v_mul_f64 v[178:179], v[178:179], v[110:111]
	v_fmac_f64_e32 v[178:179], v[180:181], v[176:177]
	v_add_f64 v[106:107], v[106:107], -v[178:179]
	ds_read2_b64 v[178:181], v193 offset0:34 offset1:35
	v_add_f64 v[104:105], v[104:105], -v[108:109]
	s_waitcnt lgkmcnt(0)
	v_mul_f64 v[108:109], v[180:181], v[110:111]
	v_fma_f64 v[108:109], v[178:179], v[176:177], -v[108:109]
	v_mul_f64 v[178:179], v[178:179], v[110:111]
	v_fmac_f64_e32 v[178:179], v[180:181], v[176:177]
	v_add_f64 v[102:103], v[102:103], -v[178:179]
	ds_read2_b64 v[178:181], v193 offset0:36 offset1:37
	v_add_f64 v[100:101], v[100:101], -v[108:109]
	;; [unrolled: 8-line block ×27, first 2 shown]
	s_waitcnt lgkmcnt(0)
	v_mul_f64 v[108:109], v[180:181], v[110:111]
	v_fma_f64 v[108:109], v[178:179], v[176:177], -v[108:109]
	v_mul_f64 v[178:179], v[178:179], v[110:111]
	v_fmac_f64_e32 v[178:179], v[180:181], v[176:177]
	v_add_f64 v[172:173], v[172:173], -v[108:109]
	v_add_f64 v[174:175], v[174:175], -v[178:179]
	v_mov_b64_e32 v[108:109], v[176:177]
.LBB87_145:
	s_or_b64 exec, exec, s[2:3]
	v_cmp_eq_u32_e32 vcc, 16, v194
	s_barrier
	s_and_saveexec_b64 s[4:5], vcc
	s_cbranch_execz .LBB87_152
; %bb.146:
	s_waitcnt vmcnt(42)
	ds_write2_b64 v192, v[104:105], v[106:107] offset1:1
	s_waitcnt vmcnt(41)
	ds_write2_b64 v193, v[100:101], v[102:103] offset0:34 offset1:35
	s_waitcnt vmcnt(40)
	ds_write2_b64 v193, v[96:97], v[98:99] offset0:36 offset1:37
	;; [unrolled: 2-line block ×27, first 2 shown]
	ds_read2_b64 v[176:179], v192 offset1:1
	s_waitcnt lgkmcnt(0)
	v_cmp_neq_f64_e32 vcc, 0, v[176:177]
	v_cmp_neq_f64_e64 s[2:3], 0, v[178:179]
	s_or_b64 s[2:3], vcc, s[2:3]
	s_and_b64 exec, exec, s[2:3]
	s_cbranch_execz .LBB87_152
; %bb.147:
	v_cmp_ngt_f64_e64 s[2:3], |v[176:177]|, |v[178:179]|
                                        ; implicit-def: $vgpr180_vgpr181
	s_and_saveexec_b64 s[10:11], s[2:3]
	s_xor_b64 s[2:3], exec, s[10:11]
                                        ; implicit-def: $vgpr182_vgpr183
	s_cbranch_execz .LBB87_149
; %bb.148:
	v_div_scale_f64 v[180:181], s[10:11], v[178:179], v[178:179], v[176:177]
	v_rcp_f64_e32 v[182:183], v[180:181]
	v_div_scale_f64 v[184:185], vcc, v[176:177], v[178:179], v[176:177]
	v_fma_f64 v[186:187], -v[180:181], v[182:183], 1.0
	v_fmac_f64_e32 v[182:183], v[182:183], v[186:187]
	v_fma_f64 v[186:187], -v[180:181], v[182:183], 1.0
	v_fmac_f64_e32 v[182:183], v[182:183], v[186:187]
	v_mul_f64 v[186:187], v[184:185], v[182:183]
	v_fma_f64 v[180:181], -v[180:181], v[186:187], v[184:185]
	v_div_fmas_f64 v[180:181], v[180:181], v[182:183], v[186:187]
	v_div_fixup_f64 v[180:181], v[180:181], v[178:179], v[176:177]
	v_fmac_f64_e32 v[178:179], v[176:177], v[180:181]
	v_div_scale_f64 v[176:177], s[10:11], v[178:179], v[178:179], 1.0
	v_rcp_f64_e32 v[182:183], v[176:177]
	s_nop 0
	v_fma_f64 v[184:185], -v[176:177], v[182:183], 1.0
	v_fmac_f64_e32 v[182:183], v[182:183], v[184:185]
	v_fma_f64 v[184:185], -v[176:177], v[182:183], 1.0
	v_fmac_f64_e32 v[182:183], v[182:183], v[184:185]
	v_div_scale_f64 v[184:185], vcc, 1.0, v[178:179], 1.0
	v_mul_f64 v[186:187], v[184:185], v[182:183]
	v_fma_f64 v[176:177], -v[176:177], v[186:187], v[184:185]
	s_nop 1
	v_div_fmas_f64 v[176:177], v[176:177], v[182:183], v[186:187]
	v_div_fixup_f64 v[182:183], v[176:177], v[178:179], 1.0
	v_mul_f64 v[180:181], v[180:181], v[182:183]
	v_xor_b32_e32 v183, 0x80000000, v183
                                        ; implicit-def: $vgpr176_vgpr177
.LBB87_149:
	s_andn2_saveexec_b64 s[2:3], s[2:3]
	s_cbranch_execz .LBB87_151
; %bb.150:
	v_div_scale_f64 v[180:181], s[10:11], v[176:177], v[176:177], v[178:179]
	v_rcp_f64_e32 v[182:183], v[180:181]
	v_div_scale_f64 v[184:185], vcc, v[178:179], v[176:177], v[178:179]
	v_fma_f64 v[186:187], -v[180:181], v[182:183], 1.0
	v_fmac_f64_e32 v[182:183], v[182:183], v[186:187]
	v_fma_f64 v[186:187], -v[180:181], v[182:183], 1.0
	v_fmac_f64_e32 v[182:183], v[182:183], v[186:187]
	v_mul_f64 v[186:187], v[184:185], v[182:183]
	v_fma_f64 v[180:181], -v[180:181], v[186:187], v[184:185]
	v_div_fmas_f64 v[180:181], v[180:181], v[182:183], v[186:187]
	v_div_fixup_f64 v[182:183], v[180:181], v[176:177], v[178:179]
	v_fmac_f64_e32 v[176:177], v[178:179], v[182:183]
	v_div_scale_f64 v[178:179], s[10:11], v[176:177], v[176:177], 1.0
	v_rcp_f64_e32 v[180:181], v[178:179]
	s_nop 0
	v_fma_f64 v[184:185], -v[178:179], v[180:181], 1.0
	v_fmac_f64_e32 v[180:181], v[180:181], v[184:185]
	v_fma_f64 v[184:185], -v[178:179], v[180:181], 1.0
	v_fmac_f64_e32 v[180:181], v[180:181], v[184:185]
	v_div_scale_f64 v[184:185], vcc, 1.0, v[176:177], 1.0
	v_mul_f64 v[186:187], v[184:185], v[180:181]
	v_fma_f64 v[178:179], -v[178:179], v[186:187], v[184:185]
	s_nop 1
	v_div_fmas_f64 v[178:179], v[178:179], v[180:181], v[186:187]
	v_div_fixup_f64 v[180:181], v[178:179], v[176:177], 1.0
	v_mul_f64 v[182:183], v[182:183], -v[180:181]
.LBB87_151:
	s_or_b64 exec, exec, s[2:3]
	ds_write2_b64 v192, v[180:181], v[182:183] offset1:1
.LBB87_152:
	s_or_b64 exec, exec, s[4:5]
	s_waitcnt lgkmcnt(0)
	s_barrier
	ds_read2_b64 v[176:179], v192 offset1:1
	v_cmp_lt_u32_e32 vcc, 16, v194
	s_waitcnt lgkmcnt(0)
	scratch_store_dwordx4 off, v[176:179], off offset:416 ; 16-byte Folded Spill
	s_and_saveexec_b64 s[2:3], vcc
	s_cbranch_execz .LBB87_154
; %bb.153:
	scratch_load_dwordx4 v[178:181], off, off offset:416 ; 16-byte Folded Reload
	s_waitcnt vmcnt(0)
	v_mul_f64 v[176:177], v[180:181], v[106:107]
	v_mul_f64 v[106:107], v[178:179], v[106:107]
	v_fma_f64 v[176:177], v[178:179], v[104:105], -v[176:177]
	v_fmac_f64_e32 v[106:107], v[180:181], v[104:105]
	ds_read2_b64 v[178:181], v193 offset0:34 offset1:35
	s_waitcnt lgkmcnt(0)
	v_mul_f64 v[104:105], v[180:181], v[106:107]
	v_fma_f64 v[104:105], v[178:179], v[176:177], -v[104:105]
	v_mul_f64 v[178:179], v[178:179], v[106:107]
	v_fmac_f64_e32 v[178:179], v[180:181], v[176:177]
	v_add_f64 v[102:103], v[102:103], -v[178:179]
	ds_read2_b64 v[178:181], v193 offset0:36 offset1:37
	v_add_f64 v[100:101], v[100:101], -v[104:105]
	s_waitcnt lgkmcnt(0)
	v_mul_f64 v[104:105], v[180:181], v[106:107]
	v_fma_f64 v[104:105], v[178:179], v[176:177], -v[104:105]
	v_mul_f64 v[178:179], v[178:179], v[106:107]
	v_fmac_f64_e32 v[178:179], v[180:181], v[176:177]
	v_add_f64 v[98:99], v[98:99], -v[178:179]
	ds_read2_b64 v[178:181], v193 offset0:38 offset1:39
	v_add_f64 v[96:97], v[96:97], -v[104:105]
	;; [unrolled: 8-line block ×26, first 2 shown]
	s_waitcnt lgkmcnt(0)
	v_mul_f64 v[104:105], v[180:181], v[106:107]
	v_fma_f64 v[104:105], v[178:179], v[176:177], -v[104:105]
	v_mul_f64 v[178:179], v[178:179], v[106:107]
	v_fmac_f64_e32 v[178:179], v[180:181], v[176:177]
	v_add_f64 v[172:173], v[172:173], -v[104:105]
	v_add_f64 v[174:175], v[174:175], -v[178:179]
	v_mov_b64_e32 v[104:105], v[176:177]
.LBB87_154:
	s_or_b64 exec, exec, s[2:3]
	v_cmp_eq_u32_e32 vcc, 17, v194
	s_barrier
	s_and_saveexec_b64 s[4:5], vcc
	s_cbranch_execz .LBB87_161
; %bb.155:
	s_waitcnt vmcnt(42)
	ds_write2_b64 v192, v[100:101], v[102:103] offset1:1
	s_waitcnt vmcnt(41)
	ds_write2_b64 v193, v[96:97], v[98:99] offset0:36 offset1:37
	s_waitcnt vmcnt(40)
	ds_write2_b64 v193, v[92:93], v[94:95] offset0:38 offset1:39
	;; [unrolled: 2-line block ×26, first 2 shown]
	ds_read2_b64 v[176:179], v192 offset1:1
	s_waitcnt lgkmcnt(0)
	v_cmp_neq_f64_e32 vcc, 0, v[176:177]
	v_cmp_neq_f64_e64 s[2:3], 0, v[178:179]
	s_or_b64 s[2:3], vcc, s[2:3]
	s_and_b64 exec, exec, s[2:3]
	s_cbranch_execz .LBB87_161
; %bb.156:
	v_cmp_ngt_f64_e64 s[2:3], |v[176:177]|, |v[178:179]|
                                        ; implicit-def: $vgpr180_vgpr181
	s_and_saveexec_b64 s[10:11], s[2:3]
	s_xor_b64 s[2:3], exec, s[10:11]
                                        ; implicit-def: $vgpr182_vgpr183
	s_cbranch_execz .LBB87_158
; %bb.157:
	v_div_scale_f64 v[180:181], s[10:11], v[178:179], v[178:179], v[176:177]
	v_rcp_f64_e32 v[182:183], v[180:181]
	v_div_scale_f64 v[184:185], vcc, v[176:177], v[178:179], v[176:177]
	v_fma_f64 v[186:187], -v[180:181], v[182:183], 1.0
	v_fmac_f64_e32 v[182:183], v[182:183], v[186:187]
	v_fma_f64 v[186:187], -v[180:181], v[182:183], 1.0
	v_fmac_f64_e32 v[182:183], v[182:183], v[186:187]
	v_mul_f64 v[186:187], v[184:185], v[182:183]
	v_fma_f64 v[180:181], -v[180:181], v[186:187], v[184:185]
	v_div_fmas_f64 v[180:181], v[180:181], v[182:183], v[186:187]
	v_div_fixup_f64 v[180:181], v[180:181], v[178:179], v[176:177]
	v_fmac_f64_e32 v[178:179], v[176:177], v[180:181]
	v_div_scale_f64 v[176:177], s[10:11], v[178:179], v[178:179], 1.0
	v_rcp_f64_e32 v[182:183], v[176:177]
	s_nop 0
	v_fma_f64 v[184:185], -v[176:177], v[182:183], 1.0
	v_fmac_f64_e32 v[182:183], v[182:183], v[184:185]
	v_fma_f64 v[184:185], -v[176:177], v[182:183], 1.0
	v_fmac_f64_e32 v[182:183], v[182:183], v[184:185]
	v_div_scale_f64 v[184:185], vcc, 1.0, v[178:179], 1.0
	v_mul_f64 v[186:187], v[184:185], v[182:183]
	v_fma_f64 v[176:177], -v[176:177], v[186:187], v[184:185]
	s_nop 1
	v_div_fmas_f64 v[176:177], v[176:177], v[182:183], v[186:187]
	v_div_fixup_f64 v[182:183], v[176:177], v[178:179], 1.0
	v_mul_f64 v[180:181], v[180:181], v[182:183]
	v_xor_b32_e32 v183, 0x80000000, v183
                                        ; implicit-def: $vgpr176_vgpr177
.LBB87_158:
	s_andn2_saveexec_b64 s[2:3], s[2:3]
	s_cbranch_execz .LBB87_160
; %bb.159:
	v_div_scale_f64 v[180:181], s[10:11], v[176:177], v[176:177], v[178:179]
	v_rcp_f64_e32 v[182:183], v[180:181]
	v_div_scale_f64 v[184:185], vcc, v[178:179], v[176:177], v[178:179]
	v_fma_f64 v[186:187], -v[180:181], v[182:183], 1.0
	v_fmac_f64_e32 v[182:183], v[182:183], v[186:187]
	v_fma_f64 v[186:187], -v[180:181], v[182:183], 1.0
	v_fmac_f64_e32 v[182:183], v[182:183], v[186:187]
	v_mul_f64 v[186:187], v[184:185], v[182:183]
	v_fma_f64 v[180:181], -v[180:181], v[186:187], v[184:185]
	v_div_fmas_f64 v[180:181], v[180:181], v[182:183], v[186:187]
	v_div_fixup_f64 v[182:183], v[180:181], v[176:177], v[178:179]
	v_fmac_f64_e32 v[176:177], v[178:179], v[182:183]
	v_div_scale_f64 v[178:179], s[10:11], v[176:177], v[176:177], 1.0
	v_rcp_f64_e32 v[180:181], v[178:179]
	s_nop 0
	v_fma_f64 v[184:185], -v[178:179], v[180:181], 1.0
	v_fmac_f64_e32 v[180:181], v[180:181], v[184:185]
	v_fma_f64 v[184:185], -v[178:179], v[180:181], 1.0
	v_fmac_f64_e32 v[180:181], v[180:181], v[184:185]
	v_div_scale_f64 v[184:185], vcc, 1.0, v[176:177], 1.0
	v_mul_f64 v[186:187], v[184:185], v[180:181]
	v_fma_f64 v[178:179], -v[178:179], v[186:187], v[184:185]
	s_nop 1
	v_div_fmas_f64 v[178:179], v[178:179], v[180:181], v[186:187]
	v_div_fixup_f64 v[180:181], v[178:179], v[176:177], 1.0
	v_mul_f64 v[182:183], v[182:183], -v[180:181]
.LBB87_160:
	s_or_b64 exec, exec, s[2:3]
	ds_write2_b64 v192, v[180:181], v[182:183] offset1:1
.LBB87_161:
	s_or_b64 exec, exec, s[4:5]
	s_waitcnt lgkmcnt(0)
	s_barrier
	ds_read2_b64 v[176:179], v192 offset1:1
	v_cmp_lt_u32_e32 vcc, 17, v194
	s_waitcnt lgkmcnt(0)
	scratch_store_dwordx4 off, v[176:179], off offset:432 ; 16-byte Folded Spill
	s_and_saveexec_b64 s[2:3], vcc
	s_cbranch_execz .LBB87_163
; %bb.162:
	scratch_load_dwordx4 v[178:181], off, off offset:432 ; 16-byte Folded Reload
	s_waitcnt vmcnt(0)
	v_mul_f64 v[176:177], v[180:181], v[102:103]
	v_mul_f64 v[102:103], v[178:179], v[102:103]
	v_fma_f64 v[176:177], v[178:179], v[100:101], -v[176:177]
	v_fmac_f64_e32 v[102:103], v[180:181], v[100:101]
	ds_read2_b64 v[178:181], v193 offset0:36 offset1:37
	s_waitcnt lgkmcnt(0)
	v_mul_f64 v[100:101], v[180:181], v[102:103]
	v_fma_f64 v[100:101], v[178:179], v[176:177], -v[100:101]
	v_mul_f64 v[178:179], v[178:179], v[102:103]
	v_fmac_f64_e32 v[178:179], v[180:181], v[176:177]
	v_add_f64 v[98:99], v[98:99], -v[178:179]
	ds_read2_b64 v[178:181], v193 offset0:38 offset1:39
	v_add_f64 v[96:97], v[96:97], -v[100:101]
	s_waitcnt lgkmcnt(0)
	v_mul_f64 v[100:101], v[180:181], v[102:103]
	v_fma_f64 v[100:101], v[178:179], v[176:177], -v[100:101]
	v_mul_f64 v[178:179], v[178:179], v[102:103]
	v_fmac_f64_e32 v[178:179], v[180:181], v[176:177]
	v_add_f64 v[94:95], v[94:95], -v[178:179]
	ds_read2_b64 v[178:181], v193 offset0:40 offset1:41
	v_add_f64 v[92:93], v[92:93], -v[100:101]
	;; [unrolled: 8-line block ×25, first 2 shown]
	s_waitcnt lgkmcnt(0)
	v_mul_f64 v[100:101], v[180:181], v[102:103]
	v_fma_f64 v[100:101], v[178:179], v[176:177], -v[100:101]
	v_mul_f64 v[178:179], v[178:179], v[102:103]
	v_fmac_f64_e32 v[178:179], v[180:181], v[176:177]
	v_add_f64 v[172:173], v[172:173], -v[100:101]
	v_add_f64 v[174:175], v[174:175], -v[178:179]
	v_mov_b64_e32 v[100:101], v[176:177]
.LBB87_163:
	s_or_b64 exec, exec, s[2:3]
	v_cmp_eq_u32_e32 vcc, 18, v194
	s_barrier
	s_and_saveexec_b64 s[4:5], vcc
	s_cbranch_execz .LBB87_170
; %bb.164:
	s_waitcnt vmcnt(42)
	ds_write2_b64 v192, v[96:97], v[98:99] offset1:1
	s_waitcnt vmcnt(41)
	ds_write2_b64 v193, v[92:93], v[94:95] offset0:38 offset1:39
	s_waitcnt vmcnt(40)
	ds_write2_b64 v193, v[88:89], v[90:91] offset0:40 offset1:41
	;; [unrolled: 2-line block ×25, first 2 shown]
	ds_read2_b64 v[176:179], v192 offset1:1
	s_waitcnt lgkmcnt(0)
	v_cmp_neq_f64_e32 vcc, 0, v[176:177]
	v_cmp_neq_f64_e64 s[2:3], 0, v[178:179]
	s_or_b64 s[2:3], vcc, s[2:3]
	s_and_b64 exec, exec, s[2:3]
	s_cbranch_execz .LBB87_170
; %bb.165:
	v_cmp_ngt_f64_e64 s[2:3], |v[176:177]|, |v[178:179]|
                                        ; implicit-def: $vgpr180_vgpr181
	s_and_saveexec_b64 s[10:11], s[2:3]
	s_xor_b64 s[2:3], exec, s[10:11]
                                        ; implicit-def: $vgpr182_vgpr183
	s_cbranch_execz .LBB87_167
; %bb.166:
	v_div_scale_f64 v[180:181], s[10:11], v[178:179], v[178:179], v[176:177]
	v_rcp_f64_e32 v[182:183], v[180:181]
	v_div_scale_f64 v[184:185], vcc, v[176:177], v[178:179], v[176:177]
	v_fma_f64 v[186:187], -v[180:181], v[182:183], 1.0
	v_fmac_f64_e32 v[182:183], v[182:183], v[186:187]
	v_fma_f64 v[186:187], -v[180:181], v[182:183], 1.0
	v_fmac_f64_e32 v[182:183], v[182:183], v[186:187]
	v_mul_f64 v[186:187], v[184:185], v[182:183]
	v_fma_f64 v[180:181], -v[180:181], v[186:187], v[184:185]
	v_div_fmas_f64 v[180:181], v[180:181], v[182:183], v[186:187]
	v_div_fixup_f64 v[180:181], v[180:181], v[178:179], v[176:177]
	v_fmac_f64_e32 v[178:179], v[176:177], v[180:181]
	v_div_scale_f64 v[176:177], s[10:11], v[178:179], v[178:179], 1.0
	v_rcp_f64_e32 v[182:183], v[176:177]
	s_nop 0
	v_fma_f64 v[184:185], -v[176:177], v[182:183], 1.0
	v_fmac_f64_e32 v[182:183], v[182:183], v[184:185]
	v_fma_f64 v[184:185], -v[176:177], v[182:183], 1.0
	v_fmac_f64_e32 v[182:183], v[182:183], v[184:185]
	v_div_scale_f64 v[184:185], vcc, 1.0, v[178:179], 1.0
	v_mul_f64 v[186:187], v[184:185], v[182:183]
	v_fma_f64 v[176:177], -v[176:177], v[186:187], v[184:185]
	s_nop 1
	v_div_fmas_f64 v[176:177], v[176:177], v[182:183], v[186:187]
	v_div_fixup_f64 v[182:183], v[176:177], v[178:179], 1.0
	v_mul_f64 v[180:181], v[180:181], v[182:183]
	v_xor_b32_e32 v183, 0x80000000, v183
                                        ; implicit-def: $vgpr176_vgpr177
.LBB87_167:
	s_andn2_saveexec_b64 s[2:3], s[2:3]
	s_cbranch_execz .LBB87_169
; %bb.168:
	v_div_scale_f64 v[180:181], s[10:11], v[176:177], v[176:177], v[178:179]
	v_rcp_f64_e32 v[182:183], v[180:181]
	v_div_scale_f64 v[184:185], vcc, v[178:179], v[176:177], v[178:179]
	v_fma_f64 v[186:187], -v[180:181], v[182:183], 1.0
	v_fmac_f64_e32 v[182:183], v[182:183], v[186:187]
	v_fma_f64 v[186:187], -v[180:181], v[182:183], 1.0
	v_fmac_f64_e32 v[182:183], v[182:183], v[186:187]
	v_mul_f64 v[186:187], v[184:185], v[182:183]
	v_fma_f64 v[180:181], -v[180:181], v[186:187], v[184:185]
	v_div_fmas_f64 v[180:181], v[180:181], v[182:183], v[186:187]
	v_div_fixup_f64 v[182:183], v[180:181], v[176:177], v[178:179]
	v_fmac_f64_e32 v[176:177], v[178:179], v[182:183]
	v_div_scale_f64 v[178:179], s[10:11], v[176:177], v[176:177], 1.0
	v_rcp_f64_e32 v[180:181], v[178:179]
	s_nop 0
	v_fma_f64 v[184:185], -v[178:179], v[180:181], 1.0
	v_fmac_f64_e32 v[180:181], v[180:181], v[184:185]
	v_fma_f64 v[184:185], -v[178:179], v[180:181], 1.0
	v_fmac_f64_e32 v[180:181], v[180:181], v[184:185]
	v_div_scale_f64 v[184:185], vcc, 1.0, v[176:177], 1.0
	v_mul_f64 v[186:187], v[184:185], v[180:181]
	v_fma_f64 v[178:179], -v[178:179], v[186:187], v[184:185]
	s_nop 1
	v_div_fmas_f64 v[178:179], v[178:179], v[180:181], v[186:187]
	v_div_fixup_f64 v[180:181], v[178:179], v[176:177], 1.0
	v_mul_f64 v[182:183], v[182:183], -v[180:181]
.LBB87_169:
	s_or_b64 exec, exec, s[2:3]
	ds_write2_b64 v192, v[180:181], v[182:183] offset1:1
.LBB87_170:
	s_or_b64 exec, exec, s[4:5]
	s_waitcnt lgkmcnt(0)
	s_barrier
	ds_read2_b64 v[176:179], v192 offset1:1
	v_cmp_lt_u32_e32 vcc, 18, v194
	s_waitcnt lgkmcnt(0)
	scratch_store_dwordx4 off, v[176:179], off offset:448 ; 16-byte Folded Spill
	s_and_saveexec_b64 s[2:3], vcc
	s_cbranch_execz .LBB87_172
; %bb.171:
	scratch_load_dwordx4 v[178:181], off, off offset:448 ; 16-byte Folded Reload
	s_waitcnt vmcnt(0)
	v_mul_f64 v[176:177], v[180:181], v[98:99]
	v_mul_f64 v[98:99], v[178:179], v[98:99]
	v_fma_f64 v[176:177], v[178:179], v[96:97], -v[176:177]
	v_fmac_f64_e32 v[98:99], v[180:181], v[96:97]
	ds_read2_b64 v[178:181], v193 offset0:38 offset1:39
	s_waitcnt lgkmcnt(0)
	v_mul_f64 v[96:97], v[180:181], v[98:99]
	v_fma_f64 v[96:97], v[178:179], v[176:177], -v[96:97]
	v_mul_f64 v[178:179], v[178:179], v[98:99]
	v_fmac_f64_e32 v[178:179], v[180:181], v[176:177]
	v_add_f64 v[94:95], v[94:95], -v[178:179]
	ds_read2_b64 v[178:181], v193 offset0:40 offset1:41
	v_add_f64 v[92:93], v[92:93], -v[96:97]
	s_waitcnt lgkmcnt(0)
	v_mul_f64 v[96:97], v[180:181], v[98:99]
	v_fma_f64 v[96:97], v[178:179], v[176:177], -v[96:97]
	v_mul_f64 v[178:179], v[178:179], v[98:99]
	v_fmac_f64_e32 v[178:179], v[180:181], v[176:177]
	v_add_f64 v[90:91], v[90:91], -v[178:179]
	ds_read2_b64 v[178:181], v193 offset0:42 offset1:43
	v_add_f64 v[88:89], v[88:89], -v[96:97]
	;; [unrolled: 8-line block ×24, first 2 shown]
	s_waitcnt lgkmcnt(0)
	v_mul_f64 v[96:97], v[180:181], v[98:99]
	v_fma_f64 v[96:97], v[178:179], v[176:177], -v[96:97]
	v_mul_f64 v[178:179], v[178:179], v[98:99]
	v_fmac_f64_e32 v[178:179], v[180:181], v[176:177]
	v_add_f64 v[172:173], v[172:173], -v[96:97]
	v_add_f64 v[174:175], v[174:175], -v[178:179]
	v_mov_b64_e32 v[96:97], v[176:177]
.LBB87_172:
	s_or_b64 exec, exec, s[2:3]
	v_cmp_eq_u32_e32 vcc, 19, v194
	s_barrier
	s_and_saveexec_b64 s[4:5], vcc
	s_cbranch_execz .LBB87_179
; %bb.173:
	s_waitcnt vmcnt(42)
	ds_write2_b64 v192, v[92:93], v[94:95] offset1:1
	s_waitcnt vmcnt(41)
	ds_write2_b64 v193, v[88:89], v[90:91] offset0:40 offset1:41
	s_waitcnt vmcnt(40)
	ds_write2_b64 v193, v[84:85], v[86:87] offset0:42 offset1:43
	;; [unrolled: 2-line block ×24, first 2 shown]
	ds_read2_b64 v[176:179], v192 offset1:1
	s_waitcnt lgkmcnt(0)
	v_cmp_neq_f64_e32 vcc, 0, v[176:177]
	v_cmp_neq_f64_e64 s[2:3], 0, v[178:179]
	s_or_b64 s[2:3], vcc, s[2:3]
	s_and_b64 exec, exec, s[2:3]
	s_cbranch_execz .LBB87_179
; %bb.174:
	v_cmp_ngt_f64_e64 s[2:3], |v[176:177]|, |v[178:179]|
                                        ; implicit-def: $vgpr180_vgpr181
	s_and_saveexec_b64 s[10:11], s[2:3]
	s_xor_b64 s[2:3], exec, s[10:11]
                                        ; implicit-def: $vgpr182_vgpr183
	s_cbranch_execz .LBB87_176
; %bb.175:
	v_div_scale_f64 v[180:181], s[10:11], v[178:179], v[178:179], v[176:177]
	v_rcp_f64_e32 v[182:183], v[180:181]
	v_div_scale_f64 v[184:185], vcc, v[176:177], v[178:179], v[176:177]
	v_fma_f64 v[186:187], -v[180:181], v[182:183], 1.0
	v_fmac_f64_e32 v[182:183], v[182:183], v[186:187]
	v_fma_f64 v[186:187], -v[180:181], v[182:183], 1.0
	v_fmac_f64_e32 v[182:183], v[182:183], v[186:187]
	v_mul_f64 v[186:187], v[184:185], v[182:183]
	v_fma_f64 v[180:181], -v[180:181], v[186:187], v[184:185]
	v_div_fmas_f64 v[180:181], v[180:181], v[182:183], v[186:187]
	v_div_fixup_f64 v[180:181], v[180:181], v[178:179], v[176:177]
	v_fmac_f64_e32 v[178:179], v[176:177], v[180:181]
	v_div_scale_f64 v[176:177], s[10:11], v[178:179], v[178:179], 1.0
	v_rcp_f64_e32 v[182:183], v[176:177]
	s_nop 0
	v_fma_f64 v[184:185], -v[176:177], v[182:183], 1.0
	v_fmac_f64_e32 v[182:183], v[182:183], v[184:185]
	v_fma_f64 v[184:185], -v[176:177], v[182:183], 1.0
	v_fmac_f64_e32 v[182:183], v[182:183], v[184:185]
	v_div_scale_f64 v[184:185], vcc, 1.0, v[178:179], 1.0
	v_mul_f64 v[186:187], v[184:185], v[182:183]
	v_fma_f64 v[176:177], -v[176:177], v[186:187], v[184:185]
	s_nop 1
	v_div_fmas_f64 v[176:177], v[176:177], v[182:183], v[186:187]
	v_div_fixup_f64 v[182:183], v[176:177], v[178:179], 1.0
	v_mul_f64 v[180:181], v[180:181], v[182:183]
	v_xor_b32_e32 v183, 0x80000000, v183
                                        ; implicit-def: $vgpr176_vgpr177
.LBB87_176:
	s_andn2_saveexec_b64 s[2:3], s[2:3]
	s_cbranch_execz .LBB87_178
; %bb.177:
	v_div_scale_f64 v[180:181], s[10:11], v[176:177], v[176:177], v[178:179]
	v_rcp_f64_e32 v[182:183], v[180:181]
	v_div_scale_f64 v[184:185], vcc, v[178:179], v[176:177], v[178:179]
	v_fma_f64 v[186:187], -v[180:181], v[182:183], 1.0
	v_fmac_f64_e32 v[182:183], v[182:183], v[186:187]
	v_fma_f64 v[186:187], -v[180:181], v[182:183], 1.0
	v_fmac_f64_e32 v[182:183], v[182:183], v[186:187]
	v_mul_f64 v[186:187], v[184:185], v[182:183]
	v_fma_f64 v[180:181], -v[180:181], v[186:187], v[184:185]
	v_div_fmas_f64 v[180:181], v[180:181], v[182:183], v[186:187]
	v_div_fixup_f64 v[182:183], v[180:181], v[176:177], v[178:179]
	v_fmac_f64_e32 v[176:177], v[178:179], v[182:183]
	v_div_scale_f64 v[178:179], s[10:11], v[176:177], v[176:177], 1.0
	v_rcp_f64_e32 v[180:181], v[178:179]
	s_nop 0
	v_fma_f64 v[184:185], -v[178:179], v[180:181], 1.0
	v_fmac_f64_e32 v[180:181], v[180:181], v[184:185]
	v_fma_f64 v[184:185], -v[178:179], v[180:181], 1.0
	v_fmac_f64_e32 v[180:181], v[180:181], v[184:185]
	v_div_scale_f64 v[184:185], vcc, 1.0, v[176:177], 1.0
	v_mul_f64 v[186:187], v[184:185], v[180:181]
	v_fma_f64 v[178:179], -v[178:179], v[186:187], v[184:185]
	s_nop 1
	v_div_fmas_f64 v[178:179], v[178:179], v[180:181], v[186:187]
	v_div_fixup_f64 v[180:181], v[178:179], v[176:177], 1.0
	v_mul_f64 v[182:183], v[182:183], -v[180:181]
.LBB87_178:
	s_or_b64 exec, exec, s[2:3]
	ds_write2_b64 v192, v[180:181], v[182:183] offset1:1
.LBB87_179:
	s_or_b64 exec, exec, s[4:5]
	s_waitcnt lgkmcnt(0)
	s_barrier
	ds_read2_b64 v[176:179], v192 offset1:1
	v_cmp_lt_u32_e32 vcc, 19, v194
	s_waitcnt lgkmcnt(0)
	scratch_store_dwordx4 off, v[176:179], off offset:464 ; 16-byte Folded Spill
	s_and_saveexec_b64 s[2:3], vcc
	s_cbranch_execz .LBB87_181
; %bb.180:
	scratch_load_dwordx4 v[178:181], off, off offset:464 ; 16-byte Folded Reload
	s_waitcnt vmcnt(0)
	v_mul_f64 v[176:177], v[180:181], v[94:95]
	v_mul_f64 v[94:95], v[178:179], v[94:95]
	v_fma_f64 v[176:177], v[178:179], v[92:93], -v[176:177]
	v_fmac_f64_e32 v[94:95], v[180:181], v[92:93]
	ds_read2_b64 v[178:181], v193 offset0:40 offset1:41
	s_waitcnt lgkmcnt(0)
	v_mul_f64 v[92:93], v[180:181], v[94:95]
	v_fma_f64 v[92:93], v[178:179], v[176:177], -v[92:93]
	v_mul_f64 v[178:179], v[178:179], v[94:95]
	v_fmac_f64_e32 v[178:179], v[180:181], v[176:177]
	v_add_f64 v[90:91], v[90:91], -v[178:179]
	ds_read2_b64 v[178:181], v193 offset0:42 offset1:43
	v_add_f64 v[88:89], v[88:89], -v[92:93]
	s_waitcnt lgkmcnt(0)
	v_mul_f64 v[92:93], v[180:181], v[94:95]
	v_fma_f64 v[92:93], v[178:179], v[176:177], -v[92:93]
	v_mul_f64 v[178:179], v[178:179], v[94:95]
	v_fmac_f64_e32 v[178:179], v[180:181], v[176:177]
	v_add_f64 v[86:87], v[86:87], -v[178:179]
	ds_read2_b64 v[178:181], v193 offset0:44 offset1:45
	v_add_f64 v[84:85], v[84:85], -v[92:93]
	s_waitcnt lgkmcnt(0)
	v_mul_f64 v[92:93], v[180:181], v[94:95]
	v_fma_f64 v[92:93], v[178:179], v[176:177], -v[92:93]
	v_mul_f64 v[178:179], v[178:179], v[94:95]
	v_fmac_f64_e32 v[178:179], v[180:181], v[176:177]
	v_add_f64 v[82:83], v[82:83], -v[178:179]
	ds_read2_b64 v[178:181], v193 offset0:46 offset1:47
	v_add_f64 v[80:81], v[80:81], -v[92:93]
	s_waitcnt lgkmcnt(0)
	v_mul_f64 v[92:93], v[180:181], v[94:95]
	v_fma_f64 v[92:93], v[178:179], v[176:177], -v[92:93]
	v_mul_f64 v[178:179], v[178:179], v[94:95]
	v_fmac_f64_e32 v[178:179], v[180:181], v[176:177]
	v_add_f64 v[78:79], v[78:79], -v[178:179]
	ds_read2_b64 v[178:181], v193 offset0:48 offset1:49
	v_add_f64 v[76:77], v[76:77], -v[92:93]
	s_waitcnt lgkmcnt(0)
	v_mul_f64 v[92:93], v[180:181], v[94:95]
	v_fma_f64 v[92:93], v[178:179], v[176:177], -v[92:93]
	v_mul_f64 v[178:179], v[178:179], v[94:95]
	v_fmac_f64_e32 v[178:179], v[180:181], v[176:177]
	v_add_f64 v[74:75], v[74:75], -v[178:179]
	ds_read2_b64 v[178:181], v193 offset0:50 offset1:51
	v_add_f64 v[72:73], v[72:73], -v[92:93]
	s_waitcnt lgkmcnt(0)
	v_mul_f64 v[92:93], v[180:181], v[94:95]
	v_fma_f64 v[92:93], v[178:179], v[176:177], -v[92:93]
	v_mul_f64 v[178:179], v[178:179], v[94:95]
	v_fmac_f64_e32 v[178:179], v[180:181], v[176:177]
	v_add_f64 v[70:71], v[70:71], -v[178:179]
	ds_read2_b64 v[178:181], v193 offset0:52 offset1:53
	v_add_f64 v[68:69], v[68:69], -v[92:93]
	s_waitcnt lgkmcnt(0)
	v_mul_f64 v[92:93], v[180:181], v[94:95]
	v_fma_f64 v[92:93], v[178:179], v[176:177], -v[92:93]
	v_mul_f64 v[178:179], v[178:179], v[94:95]
	v_fmac_f64_e32 v[178:179], v[180:181], v[176:177]
	v_add_f64 v[66:67], v[66:67], -v[178:179]
	ds_read2_b64 v[178:181], v193 offset0:54 offset1:55
	v_add_f64 v[64:65], v[64:65], -v[92:93]
	s_waitcnt lgkmcnt(0)
	v_mul_f64 v[92:93], v[180:181], v[94:95]
	v_fma_f64 v[92:93], v[178:179], v[176:177], -v[92:93]
	v_mul_f64 v[178:179], v[178:179], v[94:95]
	v_fmac_f64_e32 v[178:179], v[180:181], v[176:177]
	v_add_f64 v[62:63], v[62:63], -v[178:179]
	ds_read2_b64 v[178:181], v193 offset0:56 offset1:57
	v_add_f64 v[60:61], v[60:61], -v[92:93]
	s_waitcnt lgkmcnt(0)
	v_mul_f64 v[92:93], v[180:181], v[94:95]
	v_fma_f64 v[92:93], v[178:179], v[176:177], -v[92:93]
	v_mul_f64 v[178:179], v[178:179], v[94:95]
	v_fmac_f64_e32 v[178:179], v[180:181], v[176:177]
	v_add_f64 v[58:59], v[58:59], -v[178:179]
	ds_read2_b64 v[178:181], v193 offset0:58 offset1:59
	v_add_f64 v[56:57], v[56:57], -v[92:93]
	s_waitcnt lgkmcnt(0)
	v_mul_f64 v[92:93], v[180:181], v[94:95]
	v_fma_f64 v[92:93], v[178:179], v[176:177], -v[92:93]
	v_mul_f64 v[178:179], v[178:179], v[94:95]
	v_fmac_f64_e32 v[178:179], v[180:181], v[176:177]
	v_add_f64 v[54:55], v[54:55], -v[178:179]
	ds_read2_b64 v[178:181], v193 offset0:60 offset1:61
	v_add_f64 v[52:53], v[52:53], -v[92:93]
	s_waitcnt lgkmcnt(0)
	v_mul_f64 v[92:93], v[180:181], v[94:95]
	v_fma_f64 v[92:93], v[178:179], v[176:177], -v[92:93]
	v_mul_f64 v[178:179], v[178:179], v[94:95]
	v_fmac_f64_e32 v[178:179], v[180:181], v[176:177]
	v_add_f64 v[50:51], v[50:51], -v[178:179]
	ds_read2_b64 v[178:181], v193 offset0:62 offset1:63
	v_add_f64 v[48:49], v[48:49], -v[92:93]
	s_waitcnt lgkmcnt(0)
	v_mul_f64 v[92:93], v[180:181], v[94:95]
	v_fma_f64 v[92:93], v[178:179], v[176:177], -v[92:93]
	v_mul_f64 v[178:179], v[178:179], v[94:95]
	v_fmac_f64_e32 v[178:179], v[180:181], v[176:177]
	v_add_f64 v[46:47], v[46:47], -v[178:179]
	ds_read2_b64 v[178:181], v193 offset0:64 offset1:65
	v_add_f64 v[44:45], v[44:45], -v[92:93]
	s_waitcnt lgkmcnt(0)
	v_mul_f64 v[92:93], v[180:181], v[94:95]
	v_fma_f64 v[92:93], v[178:179], v[176:177], -v[92:93]
	v_mul_f64 v[178:179], v[178:179], v[94:95]
	v_fmac_f64_e32 v[178:179], v[180:181], v[176:177]
	v_add_f64 v[42:43], v[42:43], -v[178:179]
	ds_read2_b64 v[178:181], v193 offset0:66 offset1:67
	v_add_f64 v[40:41], v[40:41], -v[92:93]
	s_waitcnt lgkmcnt(0)
	v_mul_f64 v[92:93], v[180:181], v[94:95]
	v_fma_f64 v[92:93], v[178:179], v[176:177], -v[92:93]
	v_mul_f64 v[178:179], v[178:179], v[94:95]
	v_fmac_f64_e32 v[178:179], v[180:181], v[176:177]
	v_add_f64 v[38:39], v[38:39], -v[178:179]
	ds_read2_b64 v[178:181], v193 offset0:68 offset1:69
	v_add_f64 v[36:37], v[36:37], -v[92:93]
	s_waitcnt lgkmcnt(0)
	v_mul_f64 v[92:93], v[180:181], v[94:95]
	v_fma_f64 v[92:93], v[178:179], v[176:177], -v[92:93]
	v_mul_f64 v[178:179], v[178:179], v[94:95]
	v_fmac_f64_e32 v[178:179], v[180:181], v[176:177]
	v_add_f64 v[34:35], v[34:35], -v[178:179]
	ds_read2_b64 v[178:181], v193 offset0:70 offset1:71
	v_add_f64 v[32:33], v[32:33], -v[92:93]
	s_waitcnt lgkmcnt(0)
	v_mul_f64 v[92:93], v[180:181], v[94:95]
	v_fma_f64 v[92:93], v[178:179], v[176:177], -v[92:93]
	v_mul_f64 v[178:179], v[178:179], v[94:95]
	v_fmac_f64_e32 v[178:179], v[180:181], v[176:177]
	v_add_f64 v[30:31], v[30:31], -v[178:179]
	ds_read2_b64 v[178:181], v193 offset0:72 offset1:73
	v_add_f64 v[28:29], v[28:29], -v[92:93]
	s_waitcnt lgkmcnt(0)
	v_mul_f64 v[92:93], v[180:181], v[94:95]
	v_fma_f64 v[92:93], v[178:179], v[176:177], -v[92:93]
	v_mul_f64 v[178:179], v[178:179], v[94:95]
	v_fmac_f64_e32 v[178:179], v[180:181], v[176:177]
	v_add_f64 v[26:27], v[26:27], -v[178:179]
	ds_read2_b64 v[178:181], v193 offset0:74 offset1:75
	v_add_f64 v[24:25], v[24:25], -v[92:93]
	s_waitcnt lgkmcnt(0)
	v_mul_f64 v[92:93], v[180:181], v[94:95]
	v_fma_f64 v[92:93], v[178:179], v[176:177], -v[92:93]
	v_mul_f64 v[178:179], v[178:179], v[94:95]
	v_fmac_f64_e32 v[178:179], v[180:181], v[176:177]
	v_add_f64 v[22:23], v[22:23], -v[178:179]
	ds_read2_b64 v[178:181], v193 offset0:76 offset1:77
	v_add_f64 v[20:21], v[20:21], -v[92:93]
	s_waitcnt lgkmcnt(0)
	v_mul_f64 v[92:93], v[180:181], v[94:95]
	v_fma_f64 v[92:93], v[178:179], v[176:177], -v[92:93]
	v_mul_f64 v[178:179], v[178:179], v[94:95]
	v_fmac_f64_e32 v[178:179], v[180:181], v[176:177]
	v_add_f64 v[18:19], v[18:19], -v[178:179]
	ds_read2_b64 v[178:181], v193 offset0:78 offset1:79
	v_add_f64 v[16:17], v[16:17], -v[92:93]
	s_waitcnt lgkmcnt(0)
	v_mul_f64 v[92:93], v[180:181], v[94:95]
	v_fma_f64 v[92:93], v[178:179], v[176:177], -v[92:93]
	v_mul_f64 v[178:179], v[178:179], v[94:95]
	v_fmac_f64_e32 v[178:179], v[180:181], v[176:177]
	v_add_f64 v[14:15], v[14:15], -v[178:179]
	ds_read2_b64 v[178:181], v193 offset0:80 offset1:81
	v_add_f64 v[12:13], v[12:13], -v[92:93]
	s_waitcnt lgkmcnt(0)
	v_mul_f64 v[92:93], v[180:181], v[94:95]
	v_fma_f64 v[92:93], v[178:179], v[176:177], -v[92:93]
	v_mul_f64 v[178:179], v[178:179], v[94:95]
	v_fmac_f64_e32 v[178:179], v[180:181], v[176:177]
	v_add_f64 v[10:11], v[10:11], -v[178:179]
	ds_read2_b64 v[178:181], v193 offset0:82 offset1:83
	v_add_f64 v[8:9], v[8:9], -v[92:93]
	s_waitcnt lgkmcnt(0)
	v_mul_f64 v[92:93], v[180:181], v[94:95]
	v_fma_f64 v[92:93], v[178:179], v[176:177], -v[92:93]
	v_mul_f64 v[178:179], v[178:179], v[94:95]
	v_fmac_f64_e32 v[178:179], v[180:181], v[176:177]
	v_add_f64 v[6:7], v[6:7], -v[178:179]
	ds_read2_b64 v[178:181], v193 offset0:84 offset1:85
	v_add_f64 v[4:5], v[4:5], -v[92:93]
	s_waitcnt lgkmcnt(0)
	v_mul_f64 v[92:93], v[180:181], v[94:95]
	v_fma_f64 v[92:93], v[178:179], v[176:177], -v[92:93]
	v_mul_f64 v[178:179], v[178:179], v[94:95]
	v_fmac_f64_e32 v[178:179], v[180:181], v[176:177]
	v_add_f64 v[2:3], v[2:3], -v[178:179]
	ds_read2_b64 v[178:181], v193 offset0:86 offset1:87
	v_add_f64 v[0:1], v[0:1], -v[92:93]
	s_waitcnt lgkmcnt(0)
	v_mul_f64 v[92:93], v[180:181], v[94:95]
	v_fma_f64 v[92:93], v[178:179], v[176:177], -v[92:93]
	v_mul_f64 v[178:179], v[178:179], v[94:95]
	v_fmac_f64_e32 v[178:179], v[180:181], v[176:177]
	v_add_f64 v[172:173], v[172:173], -v[92:93]
	v_add_f64 v[174:175], v[174:175], -v[178:179]
	v_mov_b64_e32 v[92:93], v[176:177]
.LBB87_181:
	s_or_b64 exec, exec, s[2:3]
	v_cmp_eq_u32_e32 vcc, 20, v194
	s_barrier
	s_and_saveexec_b64 s[4:5], vcc
	s_cbranch_execz .LBB87_188
; %bb.182:
	s_waitcnt vmcnt(42)
	ds_write2_b64 v192, v[88:89], v[90:91] offset1:1
	s_waitcnt vmcnt(41)
	ds_write2_b64 v193, v[84:85], v[86:87] offset0:42 offset1:43
	s_waitcnt vmcnt(40)
	ds_write2_b64 v193, v[80:81], v[82:83] offset0:44 offset1:45
	s_waitcnt vmcnt(39)
	ds_write2_b64 v193, v[76:77], v[78:79] offset0:46 offset1:47
	s_waitcnt vmcnt(38)
	ds_write2_b64 v193, v[72:73], v[74:75] offset0:48 offset1:49
	s_waitcnt vmcnt(37)
	ds_write2_b64 v193, v[68:69], v[70:71] offset0:50 offset1:51
	s_waitcnt vmcnt(36)
	ds_write2_b64 v193, v[64:65], v[66:67] offset0:52 offset1:53
	s_waitcnt vmcnt(35)
	ds_write2_b64 v193, v[60:61], v[62:63] offset0:54 offset1:55
	s_waitcnt vmcnt(34)
	ds_write2_b64 v193, v[56:57], v[58:59] offset0:56 offset1:57
	s_waitcnt vmcnt(33)
	ds_write2_b64 v193, v[52:53], v[54:55] offset0:58 offset1:59
	s_waitcnt vmcnt(32)
	ds_write2_b64 v193, v[48:49], v[50:51] offset0:60 offset1:61
	s_waitcnt vmcnt(31)
	ds_write2_b64 v193, v[44:45], v[46:47] offset0:62 offset1:63
	s_waitcnt vmcnt(30)
	ds_write2_b64 v193, v[40:41], v[42:43] offset0:64 offset1:65
	s_waitcnt vmcnt(29)
	ds_write2_b64 v193, v[36:37], v[38:39] offset0:66 offset1:67
	s_waitcnt vmcnt(28)
	ds_write2_b64 v193, v[32:33], v[34:35] offset0:68 offset1:69
	s_waitcnt vmcnt(27)
	ds_write2_b64 v193, v[28:29], v[30:31] offset0:70 offset1:71
	s_waitcnt vmcnt(26)
	ds_write2_b64 v193, v[24:25], v[26:27] offset0:72 offset1:73
	s_waitcnt vmcnt(25)
	ds_write2_b64 v193, v[20:21], v[22:23] offset0:74 offset1:75
	s_waitcnt vmcnt(24)
	ds_write2_b64 v193, v[16:17], v[18:19] offset0:76 offset1:77
	s_waitcnt vmcnt(23)
	ds_write2_b64 v193, v[12:13], v[14:15] offset0:78 offset1:79
	s_waitcnt vmcnt(22)
	ds_write2_b64 v193, v[8:9], v[10:11] offset0:80 offset1:81
	s_waitcnt vmcnt(21)
	ds_write2_b64 v193, v[4:5], v[6:7] offset0:82 offset1:83
	s_waitcnt vmcnt(20)
	ds_write2_b64 v193, v[0:1], v[2:3] offset0:84 offset1:85
	s_waitcnt vmcnt(19)
	ds_write2_b64 v193, v[172:173], v[174:175] offset0:86 offset1:87
	ds_read2_b64 v[176:179], v192 offset1:1
	s_waitcnt lgkmcnt(0)
	v_cmp_neq_f64_e32 vcc, 0, v[176:177]
	v_cmp_neq_f64_e64 s[2:3], 0, v[178:179]
	s_or_b64 s[2:3], vcc, s[2:3]
	s_and_b64 exec, exec, s[2:3]
	s_cbranch_execz .LBB87_188
; %bb.183:
	v_cmp_ngt_f64_e64 s[2:3], |v[176:177]|, |v[178:179]|
                                        ; implicit-def: $vgpr180_vgpr181
	s_and_saveexec_b64 s[10:11], s[2:3]
	s_xor_b64 s[2:3], exec, s[10:11]
                                        ; implicit-def: $vgpr182_vgpr183
	s_cbranch_execz .LBB87_185
; %bb.184:
	v_div_scale_f64 v[180:181], s[10:11], v[178:179], v[178:179], v[176:177]
	v_rcp_f64_e32 v[182:183], v[180:181]
	v_div_scale_f64 v[184:185], vcc, v[176:177], v[178:179], v[176:177]
	v_fma_f64 v[186:187], -v[180:181], v[182:183], 1.0
	v_fmac_f64_e32 v[182:183], v[182:183], v[186:187]
	v_fma_f64 v[186:187], -v[180:181], v[182:183], 1.0
	v_fmac_f64_e32 v[182:183], v[182:183], v[186:187]
	v_mul_f64 v[186:187], v[184:185], v[182:183]
	v_fma_f64 v[180:181], -v[180:181], v[186:187], v[184:185]
	v_div_fmas_f64 v[180:181], v[180:181], v[182:183], v[186:187]
	v_div_fixup_f64 v[180:181], v[180:181], v[178:179], v[176:177]
	v_fmac_f64_e32 v[178:179], v[176:177], v[180:181]
	v_div_scale_f64 v[176:177], s[10:11], v[178:179], v[178:179], 1.0
	v_rcp_f64_e32 v[182:183], v[176:177]
	s_nop 0
	v_fma_f64 v[184:185], -v[176:177], v[182:183], 1.0
	v_fmac_f64_e32 v[182:183], v[182:183], v[184:185]
	v_fma_f64 v[184:185], -v[176:177], v[182:183], 1.0
	v_fmac_f64_e32 v[182:183], v[182:183], v[184:185]
	v_div_scale_f64 v[184:185], vcc, 1.0, v[178:179], 1.0
	v_mul_f64 v[186:187], v[184:185], v[182:183]
	v_fma_f64 v[176:177], -v[176:177], v[186:187], v[184:185]
	s_nop 1
	v_div_fmas_f64 v[176:177], v[176:177], v[182:183], v[186:187]
	v_div_fixup_f64 v[182:183], v[176:177], v[178:179], 1.0
	v_mul_f64 v[180:181], v[180:181], v[182:183]
	v_xor_b32_e32 v183, 0x80000000, v183
                                        ; implicit-def: $vgpr176_vgpr177
.LBB87_185:
	s_andn2_saveexec_b64 s[2:3], s[2:3]
	s_cbranch_execz .LBB87_187
; %bb.186:
	v_div_scale_f64 v[180:181], s[10:11], v[176:177], v[176:177], v[178:179]
	v_rcp_f64_e32 v[182:183], v[180:181]
	v_div_scale_f64 v[184:185], vcc, v[178:179], v[176:177], v[178:179]
	v_fma_f64 v[186:187], -v[180:181], v[182:183], 1.0
	v_fmac_f64_e32 v[182:183], v[182:183], v[186:187]
	v_fma_f64 v[186:187], -v[180:181], v[182:183], 1.0
	v_fmac_f64_e32 v[182:183], v[182:183], v[186:187]
	v_mul_f64 v[186:187], v[184:185], v[182:183]
	v_fma_f64 v[180:181], -v[180:181], v[186:187], v[184:185]
	v_div_fmas_f64 v[180:181], v[180:181], v[182:183], v[186:187]
	v_div_fixup_f64 v[182:183], v[180:181], v[176:177], v[178:179]
	v_fmac_f64_e32 v[176:177], v[178:179], v[182:183]
	v_div_scale_f64 v[178:179], s[10:11], v[176:177], v[176:177], 1.0
	v_rcp_f64_e32 v[180:181], v[178:179]
	s_nop 0
	v_fma_f64 v[184:185], -v[178:179], v[180:181], 1.0
	v_fmac_f64_e32 v[180:181], v[180:181], v[184:185]
	v_fma_f64 v[184:185], -v[178:179], v[180:181], 1.0
	v_fmac_f64_e32 v[180:181], v[180:181], v[184:185]
	v_div_scale_f64 v[184:185], vcc, 1.0, v[176:177], 1.0
	v_mul_f64 v[186:187], v[184:185], v[180:181]
	v_fma_f64 v[178:179], -v[178:179], v[186:187], v[184:185]
	s_nop 1
	v_div_fmas_f64 v[178:179], v[178:179], v[180:181], v[186:187]
	v_div_fixup_f64 v[180:181], v[178:179], v[176:177], 1.0
	v_mul_f64 v[182:183], v[182:183], -v[180:181]
.LBB87_187:
	s_or_b64 exec, exec, s[2:3]
	ds_write2_b64 v192, v[180:181], v[182:183] offset1:1
.LBB87_188:
	s_or_b64 exec, exec, s[4:5]
	s_waitcnt lgkmcnt(0)
	s_barrier
	ds_read2_b64 v[176:179], v192 offset1:1
	v_cmp_lt_u32_e32 vcc, 20, v194
	s_waitcnt lgkmcnt(0)
	scratch_store_dwordx4 off, v[176:179], off offset:480 ; 16-byte Folded Spill
	s_and_saveexec_b64 s[2:3], vcc
	s_cbranch_execz .LBB87_190
; %bb.189:
	scratch_load_dwordx4 v[178:181], off, off offset:480 ; 16-byte Folded Reload
	s_waitcnt vmcnt(0)
	v_mul_f64 v[176:177], v[180:181], v[90:91]
	v_mul_f64 v[90:91], v[178:179], v[90:91]
	v_fma_f64 v[176:177], v[178:179], v[88:89], -v[176:177]
	v_fmac_f64_e32 v[90:91], v[180:181], v[88:89]
	ds_read2_b64 v[178:181], v193 offset0:42 offset1:43
	s_waitcnt lgkmcnt(0)
	v_mul_f64 v[88:89], v[180:181], v[90:91]
	v_fma_f64 v[88:89], v[178:179], v[176:177], -v[88:89]
	v_mul_f64 v[178:179], v[178:179], v[90:91]
	v_fmac_f64_e32 v[178:179], v[180:181], v[176:177]
	v_add_f64 v[86:87], v[86:87], -v[178:179]
	ds_read2_b64 v[178:181], v193 offset0:44 offset1:45
	v_add_f64 v[84:85], v[84:85], -v[88:89]
	s_waitcnt lgkmcnt(0)
	v_mul_f64 v[88:89], v[180:181], v[90:91]
	v_fma_f64 v[88:89], v[178:179], v[176:177], -v[88:89]
	v_mul_f64 v[178:179], v[178:179], v[90:91]
	v_fmac_f64_e32 v[178:179], v[180:181], v[176:177]
	v_add_f64 v[82:83], v[82:83], -v[178:179]
	ds_read2_b64 v[178:181], v193 offset0:46 offset1:47
	v_add_f64 v[80:81], v[80:81], -v[88:89]
	;; [unrolled: 8-line block ×22, first 2 shown]
	s_waitcnt lgkmcnt(0)
	v_mul_f64 v[88:89], v[180:181], v[90:91]
	v_fma_f64 v[88:89], v[178:179], v[176:177], -v[88:89]
	v_mul_f64 v[178:179], v[178:179], v[90:91]
	v_fmac_f64_e32 v[178:179], v[180:181], v[176:177]
	v_add_f64 v[172:173], v[172:173], -v[88:89]
	v_add_f64 v[174:175], v[174:175], -v[178:179]
	v_mov_b64_e32 v[88:89], v[176:177]
.LBB87_190:
	s_or_b64 exec, exec, s[2:3]
	v_cmp_eq_u32_e32 vcc, 21, v194
	s_barrier
	s_and_saveexec_b64 s[4:5], vcc
	s_cbranch_execz .LBB87_197
; %bb.191:
	s_waitcnt vmcnt(42)
	ds_write2_b64 v192, v[84:85], v[86:87] offset1:1
	s_waitcnt vmcnt(41)
	ds_write2_b64 v193, v[80:81], v[82:83] offset0:44 offset1:45
	s_waitcnt vmcnt(40)
	ds_write2_b64 v193, v[76:77], v[78:79] offset0:46 offset1:47
	;; [unrolled: 2-line block ×22, first 2 shown]
	ds_read2_b64 v[176:179], v192 offset1:1
	s_waitcnt lgkmcnt(0)
	v_cmp_neq_f64_e32 vcc, 0, v[176:177]
	v_cmp_neq_f64_e64 s[2:3], 0, v[178:179]
	s_or_b64 s[2:3], vcc, s[2:3]
	s_and_b64 exec, exec, s[2:3]
	s_cbranch_execz .LBB87_197
; %bb.192:
	v_cmp_ngt_f64_e64 s[2:3], |v[176:177]|, |v[178:179]|
                                        ; implicit-def: $vgpr180_vgpr181
	s_and_saveexec_b64 s[10:11], s[2:3]
	s_xor_b64 s[2:3], exec, s[10:11]
                                        ; implicit-def: $vgpr182_vgpr183
	s_cbranch_execz .LBB87_194
; %bb.193:
	v_div_scale_f64 v[180:181], s[10:11], v[178:179], v[178:179], v[176:177]
	v_rcp_f64_e32 v[182:183], v[180:181]
	v_div_scale_f64 v[184:185], vcc, v[176:177], v[178:179], v[176:177]
	v_fma_f64 v[186:187], -v[180:181], v[182:183], 1.0
	v_fmac_f64_e32 v[182:183], v[182:183], v[186:187]
	v_fma_f64 v[186:187], -v[180:181], v[182:183], 1.0
	v_fmac_f64_e32 v[182:183], v[182:183], v[186:187]
	v_mul_f64 v[186:187], v[184:185], v[182:183]
	v_fma_f64 v[180:181], -v[180:181], v[186:187], v[184:185]
	v_div_fmas_f64 v[180:181], v[180:181], v[182:183], v[186:187]
	v_div_fixup_f64 v[180:181], v[180:181], v[178:179], v[176:177]
	v_fmac_f64_e32 v[178:179], v[176:177], v[180:181]
	v_div_scale_f64 v[176:177], s[10:11], v[178:179], v[178:179], 1.0
	v_rcp_f64_e32 v[182:183], v[176:177]
	s_nop 0
	v_fma_f64 v[184:185], -v[176:177], v[182:183], 1.0
	v_fmac_f64_e32 v[182:183], v[182:183], v[184:185]
	v_fma_f64 v[184:185], -v[176:177], v[182:183], 1.0
	v_fmac_f64_e32 v[182:183], v[182:183], v[184:185]
	v_div_scale_f64 v[184:185], vcc, 1.0, v[178:179], 1.0
	v_mul_f64 v[186:187], v[184:185], v[182:183]
	v_fma_f64 v[176:177], -v[176:177], v[186:187], v[184:185]
	s_nop 1
	v_div_fmas_f64 v[176:177], v[176:177], v[182:183], v[186:187]
	v_div_fixup_f64 v[182:183], v[176:177], v[178:179], 1.0
	v_mul_f64 v[180:181], v[180:181], v[182:183]
	v_xor_b32_e32 v183, 0x80000000, v183
                                        ; implicit-def: $vgpr176_vgpr177
.LBB87_194:
	s_andn2_saveexec_b64 s[2:3], s[2:3]
	s_cbranch_execz .LBB87_196
; %bb.195:
	v_div_scale_f64 v[180:181], s[10:11], v[176:177], v[176:177], v[178:179]
	v_rcp_f64_e32 v[182:183], v[180:181]
	v_div_scale_f64 v[184:185], vcc, v[178:179], v[176:177], v[178:179]
	v_fma_f64 v[186:187], -v[180:181], v[182:183], 1.0
	v_fmac_f64_e32 v[182:183], v[182:183], v[186:187]
	v_fma_f64 v[186:187], -v[180:181], v[182:183], 1.0
	v_fmac_f64_e32 v[182:183], v[182:183], v[186:187]
	v_mul_f64 v[186:187], v[184:185], v[182:183]
	v_fma_f64 v[180:181], -v[180:181], v[186:187], v[184:185]
	v_div_fmas_f64 v[180:181], v[180:181], v[182:183], v[186:187]
	v_div_fixup_f64 v[182:183], v[180:181], v[176:177], v[178:179]
	v_fmac_f64_e32 v[176:177], v[178:179], v[182:183]
	v_div_scale_f64 v[178:179], s[10:11], v[176:177], v[176:177], 1.0
	v_rcp_f64_e32 v[180:181], v[178:179]
	s_nop 0
	v_fma_f64 v[184:185], -v[178:179], v[180:181], 1.0
	v_fmac_f64_e32 v[180:181], v[180:181], v[184:185]
	v_fma_f64 v[184:185], -v[178:179], v[180:181], 1.0
	v_fmac_f64_e32 v[180:181], v[180:181], v[184:185]
	v_div_scale_f64 v[184:185], vcc, 1.0, v[176:177], 1.0
	v_mul_f64 v[186:187], v[184:185], v[180:181]
	v_fma_f64 v[178:179], -v[178:179], v[186:187], v[184:185]
	s_nop 1
	v_div_fmas_f64 v[178:179], v[178:179], v[180:181], v[186:187]
	v_div_fixup_f64 v[180:181], v[178:179], v[176:177], 1.0
	v_mul_f64 v[182:183], v[182:183], -v[180:181]
.LBB87_196:
	s_or_b64 exec, exec, s[2:3]
	ds_write2_b64 v192, v[180:181], v[182:183] offset1:1
.LBB87_197:
	s_or_b64 exec, exec, s[4:5]
	s_waitcnt lgkmcnt(0)
	s_barrier
	ds_read2_b64 v[176:179], v192 offset1:1
	v_cmp_lt_u32_e32 vcc, 21, v194
	s_waitcnt lgkmcnt(0)
	scratch_store_dwordx4 off, v[176:179], off offset:496 ; 16-byte Folded Spill
	s_and_saveexec_b64 s[2:3], vcc
	s_cbranch_execz .LBB87_199
; %bb.198:
	scratch_load_dwordx4 v[178:181], off, off offset:496 ; 16-byte Folded Reload
	s_waitcnt vmcnt(0)
	v_mul_f64 v[176:177], v[180:181], v[86:87]
	v_mul_f64 v[86:87], v[178:179], v[86:87]
	v_fma_f64 v[176:177], v[178:179], v[84:85], -v[176:177]
	v_fmac_f64_e32 v[86:87], v[180:181], v[84:85]
	ds_read2_b64 v[178:181], v193 offset0:44 offset1:45
	s_waitcnt lgkmcnt(0)
	v_mul_f64 v[84:85], v[180:181], v[86:87]
	v_fma_f64 v[84:85], v[178:179], v[176:177], -v[84:85]
	v_mul_f64 v[178:179], v[178:179], v[86:87]
	v_fmac_f64_e32 v[178:179], v[180:181], v[176:177]
	v_add_f64 v[82:83], v[82:83], -v[178:179]
	ds_read2_b64 v[178:181], v193 offset0:46 offset1:47
	v_add_f64 v[80:81], v[80:81], -v[84:85]
	s_waitcnt lgkmcnt(0)
	v_mul_f64 v[84:85], v[180:181], v[86:87]
	v_fma_f64 v[84:85], v[178:179], v[176:177], -v[84:85]
	v_mul_f64 v[178:179], v[178:179], v[86:87]
	v_fmac_f64_e32 v[178:179], v[180:181], v[176:177]
	v_add_f64 v[78:79], v[78:79], -v[178:179]
	ds_read2_b64 v[178:181], v193 offset0:48 offset1:49
	v_add_f64 v[76:77], v[76:77], -v[84:85]
	;; [unrolled: 8-line block ×21, first 2 shown]
	s_waitcnt lgkmcnt(0)
	v_mul_f64 v[84:85], v[180:181], v[86:87]
	v_fma_f64 v[84:85], v[178:179], v[176:177], -v[84:85]
	v_mul_f64 v[178:179], v[178:179], v[86:87]
	v_fmac_f64_e32 v[178:179], v[180:181], v[176:177]
	v_add_f64 v[172:173], v[172:173], -v[84:85]
	v_add_f64 v[174:175], v[174:175], -v[178:179]
	v_mov_b64_e32 v[84:85], v[176:177]
.LBB87_199:
	s_or_b64 exec, exec, s[2:3]
	v_cmp_eq_u32_e32 vcc, 22, v194
	s_barrier
	s_and_saveexec_b64 s[4:5], vcc
	s_cbranch_execz .LBB87_206
; %bb.200:
	s_waitcnt vmcnt(42)
	ds_write2_b64 v192, v[80:81], v[82:83] offset1:1
	s_waitcnt vmcnt(41)
	ds_write2_b64 v193, v[76:77], v[78:79] offset0:46 offset1:47
	s_waitcnt vmcnt(40)
	ds_write2_b64 v193, v[72:73], v[74:75] offset0:48 offset1:49
	;; [unrolled: 2-line block ×21, first 2 shown]
	ds_read2_b64 v[176:179], v192 offset1:1
	s_waitcnt lgkmcnt(0)
	v_cmp_neq_f64_e32 vcc, 0, v[176:177]
	v_cmp_neq_f64_e64 s[2:3], 0, v[178:179]
	s_or_b64 s[2:3], vcc, s[2:3]
	s_and_b64 exec, exec, s[2:3]
	s_cbranch_execz .LBB87_206
; %bb.201:
	v_cmp_ngt_f64_e64 s[2:3], |v[176:177]|, |v[178:179]|
                                        ; implicit-def: $vgpr180_vgpr181
	s_and_saveexec_b64 s[10:11], s[2:3]
	s_xor_b64 s[2:3], exec, s[10:11]
                                        ; implicit-def: $vgpr182_vgpr183
	s_cbranch_execz .LBB87_203
; %bb.202:
	v_div_scale_f64 v[180:181], s[10:11], v[178:179], v[178:179], v[176:177]
	v_rcp_f64_e32 v[182:183], v[180:181]
	v_div_scale_f64 v[184:185], vcc, v[176:177], v[178:179], v[176:177]
	v_fma_f64 v[186:187], -v[180:181], v[182:183], 1.0
	v_fmac_f64_e32 v[182:183], v[182:183], v[186:187]
	v_fma_f64 v[186:187], -v[180:181], v[182:183], 1.0
	v_fmac_f64_e32 v[182:183], v[182:183], v[186:187]
	v_mul_f64 v[186:187], v[184:185], v[182:183]
	v_fma_f64 v[180:181], -v[180:181], v[186:187], v[184:185]
	v_div_fmas_f64 v[180:181], v[180:181], v[182:183], v[186:187]
	v_div_fixup_f64 v[180:181], v[180:181], v[178:179], v[176:177]
	v_fmac_f64_e32 v[178:179], v[176:177], v[180:181]
	v_div_scale_f64 v[176:177], s[10:11], v[178:179], v[178:179], 1.0
	v_rcp_f64_e32 v[182:183], v[176:177]
	s_nop 0
	v_fma_f64 v[184:185], -v[176:177], v[182:183], 1.0
	v_fmac_f64_e32 v[182:183], v[182:183], v[184:185]
	v_fma_f64 v[184:185], -v[176:177], v[182:183], 1.0
	v_fmac_f64_e32 v[182:183], v[182:183], v[184:185]
	v_div_scale_f64 v[184:185], vcc, 1.0, v[178:179], 1.0
	v_mul_f64 v[186:187], v[184:185], v[182:183]
	v_fma_f64 v[176:177], -v[176:177], v[186:187], v[184:185]
	s_nop 1
	v_div_fmas_f64 v[176:177], v[176:177], v[182:183], v[186:187]
	v_div_fixup_f64 v[182:183], v[176:177], v[178:179], 1.0
	v_mul_f64 v[180:181], v[180:181], v[182:183]
	v_xor_b32_e32 v183, 0x80000000, v183
                                        ; implicit-def: $vgpr176_vgpr177
.LBB87_203:
	s_andn2_saveexec_b64 s[2:3], s[2:3]
	s_cbranch_execz .LBB87_205
; %bb.204:
	v_div_scale_f64 v[180:181], s[10:11], v[176:177], v[176:177], v[178:179]
	v_rcp_f64_e32 v[182:183], v[180:181]
	v_div_scale_f64 v[184:185], vcc, v[178:179], v[176:177], v[178:179]
	v_fma_f64 v[186:187], -v[180:181], v[182:183], 1.0
	v_fmac_f64_e32 v[182:183], v[182:183], v[186:187]
	v_fma_f64 v[186:187], -v[180:181], v[182:183], 1.0
	v_fmac_f64_e32 v[182:183], v[182:183], v[186:187]
	v_mul_f64 v[186:187], v[184:185], v[182:183]
	v_fma_f64 v[180:181], -v[180:181], v[186:187], v[184:185]
	v_div_fmas_f64 v[180:181], v[180:181], v[182:183], v[186:187]
	v_div_fixup_f64 v[182:183], v[180:181], v[176:177], v[178:179]
	v_fmac_f64_e32 v[176:177], v[178:179], v[182:183]
	v_div_scale_f64 v[178:179], s[10:11], v[176:177], v[176:177], 1.0
	v_rcp_f64_e32 v[180:181], v[178:179]
	s_nop 0
	v_fma_f64 v[184:185], -v[178:179], v[180:181], 1.0
	v_fmac_f64_e32 v[180:181], v[180:181], v[184:185]
	v_fma_f64 v[184:185], -v[178:179], v[180:181], 1.0
	v_fmac_f64_e32 v[180:181], v[180:181], v[184:185]
	v_div_scale_f64 v[184:185], vcc, 1.0, v[176:177], 1.0
	v_mul_f64 v[186:187], v[184:185], v[180:181]
	v_fma_f64 v[178:179], -v[178:179], v[186:187], v[184:185]
	s_nop 1
	v_div_fmas_f64 v[178:179], v[178:179], v[180:181], v[186:187]
	v_div_fixup_f64 v[180:181], v[178:179], v[176:177], 1.0
	v_mul_f64 v[182:183], v[182:183], -v[180:181]
.LBB87_205:
	s_or_b64 exec, exec, s[2:3]
	ds_write2_b64 v192, v[180:181], v[182:183] offset1:1
.LBB87_206:
	s_or_b64 exec, exec, s[4:5]
	s_waitcnt lgkmcnt(0)
	s_barrier
	ds_read2_b64 v[176:179], v192 offset1:1
	v_cmp_lt_u32_e32 vcc, 22, v194
	s_waitcnt lgkmcnt(0)
	scratch_store_dwordx4 off, v[176:179], off offset:512 ; 16-byte Folded Spill
	s_and_saveexec_b64 s[2:3], vcc
	s_cbranch_execz .LBB87_208
; %bb.207:
	scratch_load_dwordx4 v[178:181], off, off offset:512 ; 16-byte Folded Reload
	s_waitcnt vmcnt(0)
	v_mul_f64 v[176:177], v[180:181], v[82:83]
	v_mul_f64 v[82:83], v[178:179], v[82:83]
	v_fma_f64 v[176:177], v[178:179], v[80:81], -v[176:177]
	v_fmac_f64_e32 v[82:83], v[180:181], v[80:81]
	ds_read2_b64 v[178:181], v193 offset0:46 offset1:47
	s_waitcnt lgkmcnt(0)
	v_mul_f64 v[80:81], v[180:181], v[82:83]
	v_fma_f64 v[80:81], v[178:179], v[176:177], -v[80:81]
	v_mul_f64 v[178:179], v[178:179], v[82:83]
	v_fmac_f64_e32 v[178:179], v[180:181], v[176:177]
	v_add_f64 v[78:79], v[78:79], -v[178:179]
	ds_read2_b64 v[178:181], v193 offset0:48 offset1:49
	v_add_f64 v[76:77], v[76:77], -v[80:81]
	s_waitcnt lgkmcnt(0)
	v_mul_f64 v[80:81], v[180:181], v[82:83]
	v_fma_f64 v[80:81], v[178:179], v[176:177], -v[80:81]
	v_mul_f64 v[178:179], v[178:179], v[82:83]
	v_fmac_f64_e32 v[178:179], v[180:181], v[176:177]
	v_add_f64 v[74:75], v[74:75], -v[178:179]
	ds_read2_b64 v[178:181], v193 offset0:50 offset1:51
	v_add_f64 v[72:73], v[72:73], -v[80:81]
	;; [unrolled: 8-line block ×20, first 2 shown]
	s_waitcnt lgkmcnt(0)
	v_mul_f64 v[80:81], v[180:181], v[82:83]
	v_fma_f64 v[80:81], v[178:179], v[176:177], -v[80:81]
	v_mul_f64 v[178:179], v[178:179], v[82:83]
	v_fmac_f64_e32 v[178:179], v[180:181], v[176:177]
	v_add_f64 v[172:173], v[172:173], -v[80:81]
	v_add_f64 v[174:175], v[174:175], -v[178:179]
	v_mov_b64_e32 v[80:81], v[176:177]
.LBB87_208:
	s_or_b64 exec, exec, s[2:3]
	v_cmp_eq_u32_e32 vcc, 23, v194
	s_barrier
	s_and_saveexec_b64 s[4:5], vcc
	s_cbranch_execz .LBB87_215
; %bb.209:
	s_waitcnt vmcnt(42)
	ds_write2_b64 v192, v[76:77], v[78:79] offset1:1
	s_waitcnt vmcnt(41)
	ds_write2_b64 v193, v[72:73], v[74:75] offset0:48 offset1:49
	s_waitcnt vmcnt(40)
	ds_write2_b64 v193, v[68:69], v[70:71] offset0:50 offset1:51
	;; [unrolled: 2-line block ×20, first 2 shown]
	ds_read2_b64 v[176:179], v192 offset1:1
	s_waitcnt lgkmcnt(0)
	v_cmp_neq_f64_e32 vcc, 0, v[176:177]
	v_cmp_neq_f64_e64 s[2:3], 0, v[178:179]
	s_or_b64 s[2:3], vcc, s[2:3]
	s_and_b64 exec, exec, s[2:3]
	s_cbranch_execz .LBB87_215
; %bb.210:
	v_cmp_ngt_f64_e64 s[2:3], |v[176:177]|, |v[178:179]|
                                        ; implicit-def: $vgpr180_vgpr181
	s_and_saveexec_b64 s[10:11], s[2:3]
	s_xor_b64 s[2:3], exec, s[10:11]
                                        ; implicit-def: $vgpr182_vgpr183
	s_cbranch_execz .LBB87_212
; %bb.211:
	v_div_scale_f64 v[180:181], s[10:11], v[178:179], v[178:179], v[176:177]
	v_rcp_f64_e32 v[182:183], v[180:181]
	v_div_scale_f64 v[184:185], vcc, v[176:177], v[178:179], v[176:177]
	v_fma_f64 v[186:187], -v[180:181], v[182:183], 1.0
	v_fmac_f64_e32 v[182:183], v[182:183], v[186:187]
	v_fma_f64 v[186:187], -v[180:181], v[182:183], 1.0
	v_fmac_f64_e32 v[182:183], v[182:183], v[186:187]
	v_mul_f64 v[186:187], v[184:185], v[182:183]
	v_fma_f64 v[180:181], -v[180:181], v[186:187], v[184:185]
	v_div_fmas_f64 v[180:181], v[180:181], v[182:183], v[186:187]
	v_div_fixup_f64 v[180:181], v[180:181], v[178:179], v[176:177]
	v_fmac_f64_e32 v[178:179], v[176:177], v[180:181]
	v_div_scale_f64 v[176:177], s[10:11], v[178:179], v[178:179], 1.0
	v_rcp_f64_e32 v[182:183], v[176:177]
	s_nop 0
	v_fma_f64 v[184:185], -v[176:177], v[182:183], 1.0
	v_fmac_f64_e32 v[182:183], v[182:183], v[184:185]
	v_fma_f64 v[184:185], -v[176:177], v[182:183], 1.0
	v_fmac_f64_e32 v[182:183], v[182:183], v[184:185]
	v_div_scale_f64 v[184:185], vcc, 1.0, v[178:179], 1.0
	v_mul_f64 v[186:187], v[184:185], v[182:183]
	v_fma_f64 v[176:177], -v[176:177], v[186:187], v[184:185]
	s_nop 1
	v_div_fmas_f64 v[176:177], v[176:177], v[182:183], v[186:187]
	v_div_fixup_f64 v[182:183], v[176:177], v[178:179], 1.0
	v_mul_f64 v[180:181], v[180:181], v[182:183]
	v_xor_b32_e32 v183, 0x80000000, v183
                                        ; implicit-def: $vgpr176_vgpr177
.LBB87_212:
	s_andn2_saveexec_b64 s[2:3], s[2:3]
	s_cbranch_execz .LBB87_214
; %bb.213:
	v_div_scale_f64 v[180:181], s[10:11], v[176:177], v[176:177], v[178:179]
	v_rcp_f64_e32 v[182:183], v[180:181]
	v_div_scale_f64 v[184:185], vcc, v[178:179], v[176:177], v[178:179]
	v_fma_f64 v[186:187], -v[180:181], v[182:183], 1.0
	v_fmac_f64_e32 v[182:183], v[182:183], v[186:187]
	v_fma_f64 v[186:187], -v[180:181], v[182:183], 1.0
	v_fmac_f64_e32 v[182:183], v[182:183], v[186:187]
	v_mul_f64 v[186:187], v[184:185], v[182:183]
	v_fma_f64 v[180:181], -v[180:181], v[186:187], v[184:185]
	v_div_fmas_f64 v[180:181], v[180:181], v[182:183], v[186:187]
	v_div_fixup_f64 v[182:183], v[180:181], v[176:177], v[178:179]
	v_fmac_f64_e32 v[176:177], v[178:179], v[182:183]
	v_div_scale_f64 v[178:179], s[10:11], v[176:177], v[176:177], 1.0
	v_rcp_f64_e32 v[180:181], v[178:179]
	s_nop 0
	v_fma_f64 v[184:185], -v[178:179], v[180:181], 1.0
	v_fmac_f64_e32 v[180:181], v[180:181], v[184:185]
	v_fma_f64 v[184:185], -v[178:179], v[180:181], 1.0
	v_fmac_f64_e32 v[180:181], v[180:181], v[184:185]
	v_div_scale_f64 v[184:185], vcc, 1.0, v[176:177], 1.0
	v_mul_f64 v[186:187], v[184:185], v[180:181]
	v_fma_f64 v[178:179], -v[178:179], v[186:187], v[184:185]
	s_nop 1
	v_div_fmas_f64 v[178:179], v[178:179], v[180:181], v[186:187]
	v_div_fixup_f64 v[180:181], v[178:179], v[176:177], 1.0
	v_mul_f64 v[182:183], v[182:183], -v[180:181]
.LBB87_214:
	s_or_b64 exec, exec, s[2:3]
	ds_write2_b64 v192, v[180:181], v[182:183] offset1:1
.LBB87_215:
	s_or_b64 exec, exec, s[4:5]
	s_waitcnt lgkmcnt(0)
	s_barrier
	ds_read2_b64 v[176:179], v192 offset1:1
	v_cmp_lt_u32_e32 vcc, 23, v194
	s_waitcnt lgkmcnt(0)
	scratch_store_dwordx4 off, v[176:179], off offset:528 ; 16-byte Folded Spill
	s_and_saveexec_b64 s[2:3], vcc
	s_cbranch_execz .LBB87_217
; %bb.216:
	scratch_load_dwordx4 v[178:181], off, off offset:528 ; 16-byte Folded Reload
	s_waitcnt vmcnt(0)
	v_mul_f64 v[176:177], v[180:181], v[78:79]
	v_mul_f64 v[78:79], v[178:179], v[78:79]
	v_fma_f64 v[176:177], v[178:179], v[76:77], -v[176:177]
	v_fmac_f64_e32 v[78:79], v[180:181], v[76:77]
	ds_read2_b64 v[178:181], v193 offset0:48 offset1:49
	s_waitcnt lgkmcnt(0)
	v_mul_f64 v[76:77], v[180:181], v[78:79]
	v_fma_f64 v[76:77], v[178:179], v[176:177], -v[76:77]
	v_mul_f64 v[178:179], v[178:179], v[78:79]
	v_fmac_f64_e32 v[178:179], v[180:181], v[176:177]
	v_add_f64 v[74:75], v[74:75], -v[178:179]
	ds_read2_b64 v[178:181], v193 offset0:50 offset1:51
	v_add_f64 v[72:73], v[72:73], -v[76:77]
	s_waitcnt lgkmcnt(0)
	v_mul_f64 v[76:77], v[180:181], v[78:79]
	v_fma_f64 v[76:77], v[178:179], v[176:177], -v[76:77]
	v_mul_f64 v[178:179], v[178:179], v[78:79]
	v_fmac_f64_e32 v[178:179], v[180:181], v[176:177]
	v_add_f64 v[70:71], v[70:71], -v[178:179]
	ds_read2_b64 v[178:181], v193 offset0:52 offset1:53
	v_add_f64 v[68:69], v[68:69], -v[76:77]
	s_waitcnt lgkmcnt(0)
	v_mul_f64 v[76:77], v[180:181], v[78:79]
	v_fma_f64 v[76:77], v[178:179], v[176:177], -v[76:77]
	v_mul_f64 v[178:179], v[178:179], v[78:79]
	v_fmac_f64_e32 v[178:179], v[180:181], v[176:177]
	v_add_f64 v[66:67], v[66:67], -v[178:179]
	ds_read2_b64 v[178:181], v193 offset0:54 offset1:55
	v_add_f64 v[64:65], v[64:65], -v[76:77]
	s_waitcnt lgkmcnt(0)
	v_mul_f64 v[76:77], v[180:181], v[78:79]
	v_fma_f64 v[76:77], v[178:179], v[176:177], -v[76:77]
	v_mul_f64 v[178:179], v[178:179], v[78:79]
	v_fmac_f64_e32 v[178:179], v[180:181], v[176:177]
	v_add_f64 v[62:63], v[62:63], -v[178:179]
	ds_read2_b64 v[178:181], v193 offset0:56 offset1:57
	v_add_f64 v[60:61], v[60:61], -v[76:77]
	s_waitcnt lgkmcnt(0)
	v_mul_f64 v[76:77], v[180:181], v[78:79]
	v_fma_f64 v[76:77], v[178:179], v[176:177], -v[76:77]
	v_mul_f64 v[178:179], v[178:179], v[78:79]
	v_fmac_f64_e32 v[178:179], v[180:181], v[176:177]
	v_add_f64 v[58:59], v[58:59], -v[178:179]
	ds_read2_b64 v[178:181], v193 offset0:58 offset1:59
	v_add_f64 v[56:57], v[56:57], -v[76:77]
	s_waitcnt lgkmcnt(0)
	v_mul_f64 v[76:77], v[180:181], v[78:79]
	v_fma_f64 v[76:77], v[178:179], v[176:177], -v[76:77]
	v_mul_f64 v[178:179], v[178:179], v[78:79]
	v_fmac_f64_e32 v[178:179], v[180:181], v[176:177]
	v_add_f64 v[54:55], v[54:55], -v[178:179]
	ds_read2_b64 v[178:181], v193 offset0:60 offset1:61
	v_add_f64 v[52:53], v[52:53], -v[76:77]
	s_waitcnt lgkmcnt(0)
	v_mul_f64 v[76:77], v[180:181], v[78:79]
	v_fma_f64 v[76:77], v[178:179], v[176:177], -v[76:77]
	v_mul_f64 v[178:179], v[178:179], v[78:79]
	v_fmac_f64_e32 v[178:179], v[180:181], v[176:177]
	v_add_f64 v[50:51], v[50:51], -v[178:179]
	ds_read2_b64 v[178:181], v193 offset0:62 offset1:63
	v_add_f64 v[48:49], v[48:49], -v[76:77]
	s_waitcnt lgkmcnt(0)
	v_mul_f64 v[76:77], v[180:181], v[78:79]
	v_fma_f64 v[76:77], v[178:179], v[176:177], -v[76:77]
	v_mul_f64 v[178:179], v[178:179], v[78:79]
	v_fmac_f64_e32 v[178:179], v[180:181], v[176:177]
	v_add_f64 v[46:47], v[46:47], -v[178:179]
	ds_read2_b64 v[178:181], v193 offset0:64 offset1:65
	v_add_f64 v[44:45], v[44:45], -v[76:77]
	s_waitcnt lgkmcnt(0)
	v_mul_f64 v[76:77], v[180:181], v[78:79]
	v_fma_f64 v[76:77], v[178:179], v[176:177], -v[76:77]
	v_mul_f64 v[178:179], v[178:179], v[78:79]
	v_fmac_f64_e32 v[178:179], v[180:181], v[176:177]
	v_add_f64 v[42:43], v[42:43], -v[178:179]
	ds_read2_b64 v[178:181], v193 offset0:66 offset1:67
	v_add_f64 v[40:41], v[40:41], -v[76:77]
	s_waitcnt lgkmcnt(0)
	v_mul_f64 v[76:77], v[180:181], v[78:79]
	v_fma_f64 v[76:77], v[178:179], v[176:177], -v[76:77]
	v_mul_f64 v[178:179], v[178:179], v[78:79]
	v_fmac_f64_e32 v[178:179], v[180:181], v[176:177]
	v_add_f64 v[38:39], v[38:39], -v[178:179]
	ds_read2_b64 v[178:181], v193 offset0:68 offset1:69
	v_add_f64 v[36:37], v[36:37], -v[76:77]
	s_waitcnt lgkmcnt(0)
	v_mul_f64 v[76:77], v[180:181], v[78:79]
	v_fma_f64 v[76:77], v[178:179], v[176:177], -v[76:77]
	v_mul_f64 v[178:179], v[178:179], v[78:79]
	v_fmac_f64_e32 v[178:179], v[180:181], v[176:177]
	v_add_f64 v[34:35], v[34:35], -v[178:179]
	ds_read2_b64 v[178:181], v193 offset0:70 offset1:71
	v_add_f64 v[32:33], v[32:33], -v[76:77]
	s_waitcnt lgkmcnt(0)
	v_mul_f64 v[76:77], v[180:181], v[78:79]
	v_fma_f64 v[76:77], v[178:179], v[176:177], -v[76:77]
	v_mul_f64 v[178:179], v[178:179], v[78:79]
	v_fmac_f64_e32 v[178:179], v[180:181], v[176:177]
	v_add_f64 v[30:31], v[30:31], -v[178:179]
	ds_read2_b64 v[178:181], v193 offset0:72 offset1:73
	v_add_f64 v[28:29], v[28:29], -v[76:77]
	s_waitcnt lgkmcnt(0)
	v_mul_f64 v[76:77], v[180:181], v[78:79]
	v_fma_f64 v[76:77], v[178:179], v[176:177], -v[76:77]
	v_mul_f64 v[178:179], v[178:179], v[78:79]
	v_fmac_f64_e32 v[178:179], v[180:181], v[176:177]
	v_add_f64 v[26:27], v[26:27], -v[178:179]
	ds_read2_b64 v[178:181], v193 offset0:74 offset1:75
	v_add_f64 v[24:25], v[24:25], -v[76:77]
	s_waitcnt lgkmcnt(0)
	v_mul_f64 v[76:77], v[180:181], v[78:79]
	v_fma_f64 v[76:77], v[178:179], v[176:177], -v[76:77]
	v_mul_f64 v[178:179], v[178:179], v[78:79]
	v_fmac_f64_e32 v[178:179], v[180:181], v[176:177]
	v_add_f64 v[22:23], v[22:23], -v[178:179]
	ds_read2_b64 v[178:181], v193 offset0:76 offset1:77
	v_add_f64 v[20:21], v[20:21], -v[76:77]
	s_waitcnt lgkmcnt(0)
	v_mul_f64 v[76:77], v[180:181], v[78:79]
	v_fma_f64 v[76:77], v[178:179], v[176:177], -v[76:77]
	v_mul_f64 v[178:179], v[178:179], v[78:79]
	v_fmac_f64_e32 v[178:179], v[180:181], v[176:177]
	v_add_f64 v[18:19], v[18:19], -v[178:179]
	ds_read2_b64 v[178:181], v193 offset0:78 offset1:79
	v_add_f64 v[16:17], v[16:17], -v[76:77]
	s_waitcnt lgkmcnt(0)
	v_mul_f64 v[76:77], v[180:181], v[78:79]
	v_fma_f64 v[76:77], v[178:179], v[176:177], -v[76:77]
	v_mul_f64 v[178:179], v[178:179], v[78:79]
	v_fmac_f64_e32 v[178:179], v[180:181], v[176:177]
	v_add_f64 v[14:15], v[14:15], -v[178:179]
	ds_read2_b64 v[178:181], v193 offset0:80 offset1:81
	v_add_f64 v[12:13], v[12:13], -v[76:77]
	s_waitcnt lgkmcnt(0)
	v_mul_f64 v[76:77], v[180:181], v[78:79]
	v_fma_f64 v[76:77], v[178:179], v[176:177], -v[76:77]
	v_mul_f64 v[178:179], v[178:179], v[78:79]
	v_fmac_f64_e32 v[178:179], v[180:181], v[176:177]
	v_add_f64 v[10:11], v[10:11], -v[178:179]
	ds_read2_b64 v[178:181], v193 offset0:82 offset1:83
	v_add_f64 v[8:9], v[8:9], -v[76:77]
	s_waitcnt lgkmcnt(0)
	v_mul_f64 v[76:77], v[180:181], v[78:79]
	v_fma_f64 v[76:77], v[178:179], v[176:177], -v[76:77]
	v_mul_f64 v[178:179], v[178:179], v[78:79]
	v_fmac_f64_e32 v[178:179], v[180:181], v[176:177]
	v_add_f64 v[6:7], v[6:7], -v[178:179]
	ds_read2_b64 v[178:181], v193 offset0:84 offset1:85
	v_add_f64 v[4:5], v[4:5], -v[76:77]
	s_waitcnt lgkmcnt(0)
	v_mul_f64 v[76:77], v[180:181], v[78:79]
	v_fma_f64 v[76:77], v[178:179], v[176:177], -v[76:77]
	v_mul_f64 v[178:179], v[178:179], v[78:79]
	v_fmac_f64_e32 v[178:179], v[180:181], v[176:177]
	v_add_f64 v[2:3], v[2:3], -v[178:179]
	ds_read2_b64 v[178:181], v193 offset0:86 offset1:87
	v_add_f64 v[0:1], v[0:1], -v[76:77]
	s_waitcnt lgkmcnt(0)
	v_mul_f64 v[76:77], v[180:181], v[78:79]
	v_fma_f64 v[76:77], v[178:179], v[176:177], -v[76:77]
	v_mul_f64 v[178:179], v[178:179], v[78:79]
	v_fmac_f64_e32 v[178:179], v[180:181], v[176:177]
	v_add_f64 v[172:173], v[172:173], -v[76:77]
	v_add_f64 v[174:175], v[174:175], -v[178:179]
	v_mov_b64_e32 v[76:77], v[176:177]
.LBB87_217:
	s_or_b64 exec, exec, s[2:3]
	v_cmp_eq_u32_e32 vcc, 24, v194
	s_barrier
	s_and_saveexec_b64 s[4:5], vcc
	s_cbranch_execz .LBB87_224
; %bb.218:
	s_waitcnt vmcnt(42)
	ds_write2_b64 v192, v[72:73], v[74:75] offset1:1
	s_waitcnt vmcnt(41)
	ds_write2_b64 v193, v[68:69], v[70:71] offset0:50 offset1:51
	s_waitcnt vmcnt(40)
	ds_write2_b64 v193, v[64:65], v[66:67] offset0:52 offset1:53
	;; [unrolled: 2-line block ×19, first 2 shown]
	ds_read2_b64 v[176:179], v192 offset1:1
	s_waitcnt lgkmcnt(0)
	v_cmp_neq_f64_e32 vcc, 0, v[176:177]
	v_cmp_neq_f64_e64 s[2:3], 0, v[178:179]
	s_or_b64 s[2:3], vcc, s[2:3]
	s_and_b64 exec, exec, s[2:3]
	s_cbranch_execz .LBB87_224
; %bb.219:
	v_cmp_ngt_f64_e64 s[2:3], |v[176:177]|, |v[178:179]|
                                        ; implicit-def: $vgpr180_vgpr181
	s_and_saveexec_b64 s[10:11], s[2:3]
	s_xor_b64 s[2:3], exec, s[10:11]
                                        ; implicit-def: $vgpr182_vgpr183
	s_cbranch_execz .LBB87_221
; %bb.220:
	v_div_scale_f64 v[180:181], s[10:11], v[178:179], v[178:179], v[176:177]
	v_rcp_f64_e32 v[182:183], v[180:181]
	v_div_scale_f64 v[184:185], vcc, v[176:177], v[178:179], v[176:177]
	v_fma_f64 v[186:187], -v[180:181], v[182:183], 1.0
	v_fmac_f64_e32 v[182:183], v[182:183], v[186:187]
	v_fma_f64 v[186:187], -v[180:181], v[182:183], 1.0
	v_fmac_f64_e32 v[182:183], v[182:183], v[186:187]
	v_mul_f64 v[186:187], v[184:185], v[182:183]
	v_fma_f64 v[180:181], -v[180:181], v[186:187], v[184:185]
	v_div_fmas_f64 v[180:181], v[180:181], v[182:183], v[186:187]
	v_div_fixup_f64 v[180:181], v[180:181], v[178:179], v[176:177]
	v_fmac_f64_e32 v[178:179], v[176:177], v[180:181]
	v_div_scale_f64 v[176:177], s[10:11], v[178:179], v[178:179], 1.0
	v_rcp_f64_e32 v[182:183], v[176:177]
	s_nop 0
	v_fma_f64 v[184:185], -v[176:177], v[182:183], 1.0
	v_fmac_f64_e32 v[182:183], v[182:183], v[184:185]
	v_fma_f64 v[184:185], -v[176:177], v[182:183], 1.0
	v_fmac_f64_e32 v[182:183], v[182:183], v[184:185]
	v_div_scale_f64 v[184:185], vcc, 1.0, v[178:179], 1.0
	v_mul_f64 v[186:187], v[184:185], v[182:183]
	v_fma_f64 v[176:177], -v[176:177], v[186:187], v[184:185]
	s_nop 1
	v_div_fmas_f64 v[176:177], v[176:177], v[182:183], v[186:187]
	v_div_fixup_f64 v[182:183], v[176:177], v[178:179], 1.0
	v_mul_f64 v[180:181], v[180:181], v[182:183]
	v_xor_b32_e32 v183, 0x80000000, v183
                                        ; implicit-def: $vgpr176_vgpr177
.LBB87_221:
	s_andn2_saveexec_b64 s[2:3], s[2:3]
	s_cbranch_execz .LBB87_223
; %bb.222:
	v_div_scale_f64 v[180:181], s[10:11], v[176:177], v[176:177], v[178:179]
	v_rcp_f64_e32 v[182:183], v[180:181]
	v_div_scale_f64 v[184:185], vcc, v[178:179], v[176:177], v[178:179]
	v_fma_f64 v[186:187], -v[180:181], v[182:183], 1.0
	v_fmac_f64_e32 v[182:183], v[182:183], v[186:187]
	v_fma_f64 v[186:187], -v[180:181], v[182:183], 1.0
	v_fmac_f64_e32 v[182:183], v[182:183], v[186:187]
	v_mul_f64 v[186:187], v[184:185], v[182:183]
	v_fma_f64 v[180:181], -v[180:181], v[186:187], v[184:185]
	v_div_fmas_f64 v[180:181], v[180:181], v[182:183], v[186:187]
	v_div_fixup_f64 v[182:183], v[180:181], v[176:177], v[178:179]
	v_fmac_f64_e32 v[176:177], v[178:179], v[182:183]
	v_div_scale_f64 v[178:179], s[10:11], v[176:177], v[176:177], 1.0
	v_rcp_f64_e32 v[180:181], v[178:179]
	s_nop 0
	v_fma_f64 v[184:185], -v[178:179], v[180:181], 1.0
	v_fmac_f64_e32 v[180:181], v[180:181], v[184:185]
	v_fma_f64 v[184:185], -v[178:179], v[180:181], 1.0
	v_fmac_f64_e32 v[180:181], v[180:181], v[184:185]
	v_div_scale_f64 v[184:185], vcc, 1.0, v[176:177], 1.0
	v_mul_f64 v[186:187], v[184:185], v[180:181]
	v_fma_f64 v[178:179], -v[178:179], v[186:187], v[184:185]
	s_nop 1
	v_div_fmas_f64 v[178:179], v[178:179], v[180:181], v[186:187]
	v_div_fixup_f64 v[180:181], v[178:179], v[176:177], 1.0
	v_mul_f64 v[182:183], v[182:183], -v[180:181]
.LBB87_223:
	s_or_b64 exec, exec, s[2:3]
	ds_write2_b64 v192, v[180:181], v[182:183] offset1:1
.LBB87_224:
	s_or_b64 exec, exec, s[4:5]
	s_waitcnt lgkmcnt(0)
	s_barrier
	ds_read2_b64 v[176:179], v192 offset1:1
	v_cmp_lt_u32_e32 vcc, 24, v194
	s_waitcnt lgkmcnt(0)
	scratch_store_dwordx4 off, v[176:179], off offset:544 ; 16-byte Folded Spill
	s_and_saveexec_b64 s[2:3], vcc
	s_cbranch_execz .LBB87_226
; %bb.225:
	scratch_load_dwordx4 v[178:181], off, off offset:544 ; 16-byte Folded Reload
	s_waitcnt vmcnt(0)
	v_mul_f64 v[176:177], v[180:181], v[74:75]
	v_mul_f64 v[74:75], v[178:179], v[74:75]
	v_fma_f64 v[176:177], v[178:179], v[72:73], -v[176:177]
	v_fmac_f64_e32 v[74:75], v[180:181], v[72:73]
	ds_read2_b64 v[178:181], v193 offset0:50 offset1:51
	s_waitcnt lgkmcnt(0)
	v_mul_f64 v[72:73], v[180:181], v[74:75]
	v_fma_f64 v[72:73], v[178:179], v[176:177], -v[72:73]
	v_mul_f64 v[178:179], v[178:179], v[74:75]
	v_fmac_f64_e32 v[178:179], v[180:181], v[176:177]
	v_add_f64 v[70:71], v[70:71], -v[178:179]
	ds_read2_b64 v[178:181], v193 offset0:52 offset1:53
	v_add_f64 v[68:69], v[68:69], -v[72:73]
	s_waitcnt lgkmcnt(0)
	v_mul_f64 v[72:73], v[180:181], v[74:75]
	v_fma_f64 v[72:73], v[178:179], v[176:177], -v[72:73]
	v_mul_f64 v[178:179], v[178:179], v[74:75]
	v_fmac_f64_e32 v[178:179], v[180:181], v[176:177]
	v_add_f64 v[66:67], v[66:67], -v[178:179]
	ds_read2_b64 v[178:181], v193 offset0:54 offset1:55
	v_add_f64 v[64:65], v[64:65], -v[72:73]
	;; [unrolled: 8-line block ×18, first 2 shown]
	s_waitcnt lgkmcnt(0)
	v_mul_f64 v[72:73], v[180:181], v[74:75]
	v_fma_f64 v[72:73], v[178:179], v[176:177], -v[72:73]
	v_mul_f64 v[178:179], v[178:179], v[74:75]
	v_fmac_f64_e32 v[178:179], v[180:181], v[176:177]
	v_add_f64 v[172:173], v[172:173], -v[72:73]
	v_add_f64 v[174:175], v[174:175], -v[178:179]
	v_mov_b64_e32 v[72:73], v[176:177]
.LBB87_226:
	s_or_b64 exec, exec, s[2:3]
	v_cmp_eq_u32_e32 vcc, 25, v194
	s_barrier
	s_and_saveexec_b64 s[4:5], vcc
	s_cbranch_execz .LBB87_233
; %bb.227:
	s_waitcnt vmcnt(42)
	ds_write2_b64 v192, v[68:69], v[70:71] offset1:1
	s_waitcnt vmcnt(41)
	ds_write2_b64 v193, v[64:65], v[66:67] offset0:52 offset1:53
	s_waitcnt vmcnt(40)
	ds_write2_b64 v193, v[60:61], v[62:63] offset0:54 offset1:55
	;; [unrolled: 2-line block ×18, first 2 shown]
	ds_read2_b64 v[176:179], v192 offset1:1
	s_waitcnt lgkmcnt(0)
	v_cmp_neq_f64_e32 vcc, 0, v[176:177]
	v_cmp_neq_f64_e64 s[2:3], 0, v[178:179]
	s_or_b64 s[2:3], vcc, s[2:3]
	s_and_b64 exec, exec, s[2:3]
	s_cbranch_execz .LBB87_233
; %bb.228:
	v_cmp_ngt_f64_e64 s[2:3], |v[176:177]|, |v[178:179]|
                                        ; implicit-def: $vgpr180_vgpr181
	s_and_saveexec_b64 s[10:11], s[2:3]
	s_xor_b64 s[2:3], exec, s[10:11]
                                        ; implicit-def: $vgpr182_vgpr183
	s_cbranch_execz .LBB87_230
; %bb.229:
	v_div_scale_f64 v[180:181], s[10:11], v[178:179], v[178:179], v[176:177]
	v_rcp_f64_e32 v[182:183], v[180:181]
	v_div_scale_f64 v[184:185], vcc, v[176:177], v[178:179], v[176:177]
	v_fma_f64 v[186:187], -v[180:181], v[182:183], 1.0
	v_fmac_f64_e32 v[182:183], v[182:183], v[186:187]
	v_fma_f64 v[186:187], -v[180:181], v[182:183], 1.0
	v_fmac_f64_e32 v[182:183], v[182:183], v[186:187]
	v_mul_f64 v[186:187], v[184:185], v[182:183]
	v_fma_f64 v[180:181], -v[180:181], v[186:187], v[184:185]
	v_div_fmas_f64 v[180:181], v[180:181], v[182:183], v[186:187]
	v_div_fixup_f64 v[180:181], v[180:181], v[178:179], v[176:177]
	v_fmac_f64_e32 v[178:179], v[176:177], v[180:181]
	v_div_scale_f64 v[176:177], s[10:11], v[178:179], v[178:179], 1.0
	v_rcp_f64_e32 v[182:183], v[176:177]
	s_nop 0
	v_fma_f64 v[184:185], -v[176:177], v[182:183], 1.0
	v_fmac_f64_e32 v[182:183], v[182:183], v[184:185]
	v_fma_f64 v[184:185], -v[176:177], v[182:183], 1.0
	v_fmac_f64_e32 v[182:183], v[182:183], v[184:185]
	v_div_scale_f64 v[184:185], vcc, 1.0, v[178:179], 1.0
	v_mul_f64 v[186:187], v[184:185], v[182:183]
	v_fma_f64 v[176:177], -v[176:177], v[186:187], v[184:185]
	s_nop 1
	v_div_fmas_f64 v[176:177], v[176:177], v[182:183], v[186:187]
	v_div_fixup_f64 v[182:183], v[176:177], v[178:179], 1.0
	v_mul_f64 v[180:181], v[180:181], v[182:183]
	v_xor_b32_e32 v183, 0x80000000, v183
                                        ; implicit-def: $vgpr176_vgpr177
.LBB87_230:
	s_andn2_saveexec_b64 s[2:3], s[2:3]
	s_cbranch_execz .LBB87_232
; %bb.231:
	v_div_scale_f64 v[180:181], s[10:11], v[176:177], v[176:177], v[178:179]
	v_rcp_f64_e32 v[182:183], v[180:181]
	v_div_scale_f64 v[184:185], vcc, v[178:179], v[176:177], v[178:179]
	v_fma_f64 v[186:187], -v[180:181], v[182:183], 1.0
	v_fmac_f64_e32 v[182:183], v[182:183], v[186:187]
	v_fma_f64 v[186:187], -v[180:181], v[182:183], 1.0
	v_fmac_f64_e32 v[182:183], v[182:183], v[186:187]
	v_mul_f64 v[186:187], v[184:185], v[182:183]
	v_fma_f64 v[180:181], -v[180:181], v[186:187], v[184:185]
	v_div_fmas_f64 v[180:181], v[180:181], v[182:183], v[186:187]
	v_div_fixup_f64 v[182:183], v[180:181], v[176:177], v[178:179]
	v_fmac_f64_e32 v[176:177], v[178:179], v[182:183]
	v_div_scale_f64 v[178:179], s[10:11], v[176:177], v[176:177], 1.0
	v_rcp_f64_e32 v[180:181], v[178:179]
	s_nop 0
	v_fma_f64 v[184:185], -v[178:179], v[180:181], 1.0
	v_fmac_f64_e32 v[180:181], v[180:181], v[184:185]
	v_fma_f64 v[184:185], -v[178:179], v[180:181], 1.0
	v_fmac_f64_e32 v[180:181], v[180:181], v[184:185]
	v_div_scale_f64 v[184:185], vcc, 1.0, v[176:177], 1.0
	v_mul_f64 v[186:187], v[184:185], v[180:181]
	v_fma_f64 v[178:179], -v[178:179], v[186:187], v[184:185]
	s_nop 1
	v_div_fmas_f64 v[178:179], v[178:179], v[180:181], v[186:187]
	v_div_fixup_f64 v[180:181], v[178:179], v[176:177], 1.0
	v_mul_f64 v[182:183], v[182:183], -v[180:181]
.LBB87_232:
	s_or_b64 exec, exec, s[2:3]
	ds_write2_b64 v192, v[180:181], v[182:183] offset1:1
.LBB87_233:
	s_or_b64 exec, exec, s[4:5]
	s_waitcnt lgkmcnt(0)
	s_barrier
	ds_read2_b64 v[176:179], v192 offset1:1
	v_cmp_lt_u32_e32 vcc, 25, v194
	s_waitcnt lgkmcnt(0)
	scratch_store_dwordx4 off, v[176:179], off offset:560 ; 16-byte Folded Spill
	s_and_saveexec_b64 s[2:3], vcc
	s_cbranch_execz .LBB87_235
; %bb.234:
	scratch_load_dwordx4 v[178:181], off, off offset:560 ; 16-byte Folded Reload
	s_waitcnt vmcnt(0)
	v_mul_f64 v[176:177], v[180:181], v[70:71]
	v_mul_f64 v[70:71], v[178:179], v[70:71]
	v_fma_f64 v[176:177], v[178:179], v[68:69], -v[176:177]
	v_fmac_f64_e32 v[70:71], v[180:181], v[68:69]
	ds_read2_b64 v[178:181], v193 offset0:52 offset1:53
	s_waitcnt lgkmcnt(0)
	v_mul_f64 v[68:69], v[180:181], v[70:71]
	v_fma_f64 v[68:69], v[178:179], v[176:177], -v[68:69]
	v_mul_f64 v[178:179], v[178:179], v[70:71]
	v_fmac_f64_e32 v[178:179], v[180:181], v[176:177]
	v_add_f64 v[66:67], v[66:67], -v[178:179]
	ds_read2_b64 v[178:181], v193 offset0:54 offset1:55
	v_add_f64 v[64:65], v[64:65], -v[68:69]
	s_waitcnt lgkmcnt(0)
	v_mul_f64 v[68:69], v[180:181], v[70:71]
	v_fma_f64 v[68:69], v[178:179], v[176:177], -v[68:69]
	v_mul_f64 v[178:179], v[178:179], v[70:71]
	v_fmac_f64_e32 v[178:179], v[180:181], v[176:177]
	v_add_f64 v[62:63], v[62:63], -v[178:179]
	ds_read2_b64 v[178:181], v193 offset0:56 offset1:57
	v_add_f64 v[60:61], v[60:61], -v[68:69]
	;; [unrolled: 8-line block ×17, first 2 shown]
	s_waitcnt lgkmcnt(0)
	v_mul_f64 v[68:69], v[180:181], v[70:71]
	v_fma_f64 v[68:69], v[178:179], v[176:177], -v[68:69]
	v_mul_f64 v[178:179], v[178:179], v[70:71]
	v_fmac_f64_e32 v[178:179], v[180:181], v[176:177]
	v_add_f64 v[172:173], v[172:173], -v[68:69]
	v_add_f64 v[174:175], v[174:175], -v[178:179]
	v_mov_b64_e32 v[68:69], v[176:177]
.LBB87_235:
	s_or_b64 exec, exec, s[2:3]
	v_cmp_eq_u32_e32 vcc, 26, v194
	s_barrier
	s_and_saveexec_b64 s[4:5], vcc
	s_cbranch_execz .LBB87_242
; %bb.236:
	s_waitcnt vmcnt(42)
	ds_write2_b64 v192, v[64:65], v[66:67] offset1:1
	s_waitcnt vmcnt(41)
	ds_write2_b64 v193, v[60:61], v[62:63] offset0:54 offset1:55
	s_waitcnt vmcnt(40)
	ds_write2_b64 v193, v[56:57], v[58:59] offset0:56 offset1:57
	;; [unrolled: 2-line block ×17, first 2 shown]
	ds_read2_b64 v[176:179], v192 offset1:1
	s_waitcnt lgkmcnt(0)
	v_cmp_neq_f64_e32 vcc, 0, v[176:177]
	v_cmp_neq_f64_e64 s[2:3], 0, v[178:179]
	s_or_b64 s[2:3], vcc, s[2:3]
	s_and_b64 exec, exec, s[2:3]
	s_cbranch_execz .LBB87_242
; %bb.237:
	v_cmp_ngt_f64_e64 s[2:3], |v[176:177]|, |v[178:179]|
                                        ; implicit-def: $vgpr180_vgpr181
	s_and_saveexec_b64 s[10:11], s[2:3]
	s_xor_b64 s[2:3], exec, s[10:11]
                                        ; implicit-def: $vgpr182_vgpr183
	s_cbranch_execz .LBB87_239
; %bb.238:
	v_div_scale_f64 v[180:181], s[10:11], v[178:179], v[178:179], v[176:177]
	v_rcp_f64_e32 v[182:183], v[180:181]
	v_div_scale_f64 v[184:185], vcc, v[176:177], v[178:179], v[176:177]
	v_fma_f64 v[186:187], -v[180:181], v[182:183], 1.0
	v_fmac_f64_e32 v[182:183], v[182:183], v[186:187]
	v_fma_f64 v[186:187], -v[180:181], v[182:183], 1.0
	v_fmac_f64_e32 v[182:183], v[182:183], v[186:187]
	v_mul_f64 v[186:187], v[184:185], v[182:183]
	v_fma_f64 v[180:181], -v[180:181], v[186:187], v[184:185]
	v_div_fmas_f64 v[180:181], v[180:181], v[182:183], v[186:187]
	v_div_fixup_f64 v[180:181], v[180:181], v[178:179], v[176:177]
	v_fmac_f64_e32 v[178:179], v[176:177], v[180:181]
	v_div_scale_f64 v[176:177], s[10:11], v[178:179], v[178:179], 1.0
	v_rcp_f64_e32 v[182:183], v[176:177]
	s_nop 0
	v_fma_f64 v[184:185], -v[176:177], v[182:183], 1.0
	v_fmac_f64_e32 v[182:183], v[182:183], v[184:185]
	v_fma_f64 v[184:185], -v[176:177], v[182:183], 1.0
	v_fmac_f64_e32 v[182:183], v[182:183], v[184:185]
	v_div_scale_f64 v[184:185], vcc, 1.0, v[178:179], 1.0
	v_mul_f64 v[186:187], v[184:185], v[182:183]
	v_fma_f64 v[176:177], -v[176:177], v[186:187], v[184:185]
	s_nop 1
	v_div_fmas_f64 v[176:177], v[176:177], v[182:183], v[186:187]
	v_div_fixup_f64 v[182:183], v[176:177], v[178:179], 1.0
	v_mul_f64 v[180:181], v[180:181], v[182:183]
	v_xor_b32_e32 v183, 0x80000000, v183
                                        ; implicit-def: $vgpr176_vgpr177
.LBB87_239:
	s_andn2_saveexec_b64 s[2:3], s[2:3]
	s_cbranch_execz .LBB87_241
; %bb.240:
	v_div_scale_f64 v[180:181], s[10:11], v[176:177], v[176:177], v[178:179]
	v_rcp_f64_e32 v[182:183], v[180:181]
	v_div_scale_f64 v[184:185], vcc, v[178:179], v[176:177], v[178:179]
	v_fma_f64 v[186:187], -v[180:181], v[182:183], 1.0
	v_fmac_f64_e32 v[182:183], v[182:183], v[186:187]
	v_fma_f64 v[186:187], -v[180:181], v[182:183], 1.0
	v_fmac_f64_e32 v[182:183], v[182:183], v[186:187]
	v_mul_f64 v[186:187], v[184:185], v[182:183]
	v_fma_f64 v[180:181], -v[180:181], v[186:187], v[184:185]
	v_div_fmas_f64 v[180:181], v[180:181], v[182:183], v[186:187]
	v_div_fixup_f64 v[182:183], v[180:181], v[176:177], v[178:179]
	v_fmac_f64_e32 v[176:177], v[178:179], v[182:183]
	v_div_scale_f64 v[178:179], s[10:11], v[176:177], v[176:177], 1.0
	v_rcp_f64_e32 v[180:181], v[178:179]
	s_nop 0
	v_fma_f64 v[184:185], -v[178:179], v[180:181], 1.0
	v_fmac_f64_e32 v[180:181], v[180:181], v[184:185]
	v_fma_f64 v[184:185], -v[178:179], v[180:181], 1.0
	v_fmac_f64_e32 v[180:181], v[180:181], v[184:185]
	v_div_scale_f64 v[184:185], vcc, 1.0, v[176:177], 1.0
	v_mul_f64 v[186:187], v[184:185], v[180:181]
	v_fma_f64 v[178:179], -v[178:179], v[186:187], v[184:185]
	s_nop 1
	v_div_fmas_f64 v[178:179], v[178:179], v[180:181], v[186:187]
	v_div_fixup_f64 v[180:181], v[178:179], v[176:177], 1.0
	v_mul_f64 v[182:183], v[182:183], -v[180:181]
.LBB87_241:
	s_or_b64 exec, exec, s[2:3]
	ds_write2_b64 v192, v[180:181], v[182:183] offset1:1
.LBB87_242:
	s_or_b64 exec, exec, s[4:5]
	s_waitcnt lgkmcnt(0)
	s_barrier
	ds_read2_b64 v[176:179], v192 offset1:1
	v_cmp_lt_u32_e32 vcc, 26, v194
	s_waitcnt lgkmcnt(0)
	scratch_store_dwordx4 off, v[176:179], off offset:576 ; 16-byte Folded Spill
	s_and_saveexec_b64 s[2:3], vcc
	s_cbranch_execz .LBB87_244
; %bb.243:
	scratch_load_dwordx4 v[178:181], off, off offset:576 ; 16-byte Folded Reload
	s_waitcnt vmcnt(0)
	v_mul_f64 v[176:177], v[180:181], v[66:67]
	v_mul_f64 v[66:67], v[178:179], v[66:67]
	v_fma_f64 v[176:177], v[178:179], v[64:65], -v[176:177]
	v_fmac_f64_e32 v[66:67], v[180:181], v[64:65]
	ds_read2_b64 v[178:181], v193 offset0:54 offset1:55
	s_waitcnt lgkmcnt(0)
	v_mul_f64 v[64:65], v[180:181], v[66:67]
	v_fma_f64 v[64:65], v[178:179], v[176:177], -v[64:65]
	v_mul_f64 v[178:179], v[178:179], v[66:67]
	v_fmac_f64_e32 v[178:179], v[180:181], v[176:177]
	v_add_f64 v[62:63], v[62:63], -v[178:179]
	ds_read2_b64 v[178:181], v193 offset0:56 offset1:57
	v_add_f64 v[60:61], v[60:61], -v[64:65]
	s_waitcnt lgkmcnt(0)
	v_mul_f64 v[64:65], v[180:181], v[66:67]
	v_fma_f64 v[64:65], v[178:179], v[176:177], -v[64:65]
	v_mul_f64 v[178:179], v[178:179], v[66:67]
	v_fmac_f64_e32 v[178:179], v[180:181], v[176:177]
	v_add_f64 v[58:59], v[58:59], -v[178:179]
	ds_read2_b64 v[178:181], v193 offset0:58 offset1:59
	v_add_f64 v[56:57], v[56:57], -v[64:65]
	;; [unrolled: 8-line block ×16, first 2 shown]
	s_waitcnt lgkmcnt(0)
	v_mul_f64 v[64:65], v[180:181], v[66:67]
	v_fma_f64 v[64:65], v[178:179], v[176:177], -v[64:65]
	v_mul_f64 v[178:179], v[178:179], v[66:67]
	v_fmac_f64_e32 v[178:179], v[180:181], v[176:177]
	v_add_f64 v[172:173], v[172:173], -v[64:65]
	v_add_f64 v[174:175], v[174:175], -v[178:179]
	v_mov_b64_e32 v[64:65], v[176:177]
.LBB87_244:
	s_or_b64 exec, exec, s[2:3]
	v_cmp_eq_u32_e32 vcc, 27, v194
	s_barrier
	s_and_saveexec_b64 s[4:5], vcc
	s_cbranch_execz .LBB87_251
; %bb.245:
	s_waitcnt vmcnt(42)
	ds_write2_b64 v192, v[60:61], v[62:63] offset1:1
	s_waitcnt vmcnt(41)
	ds_write2_b64 v193, v[56:57], v[58:59] offset0:56 offset1:57
	s_waitcnt vmcnt(40)
	ds_write2_b64 v193, v[52:53], v[54:55] offset0:58 offset1:59
	;; [unrolled: 2-line block ×16, first 2 shown]
	ds_read2_b64 v[176:179], v192 offset1:1
	s_waitcnt lgkmcnt(0)
	v_cmp_neq_f64_e32 vcc, 0, v[176:177]
	v_cmp_neq_f64_e64 s[2:3], 0, v[178:179]
	s_or_b64 s[2:3], vcc, s[2:3]
	s_and_b64 exec, exec, s[2:3]
	s_cbranch_execz .LBB87_251
; %bb.246:
	v_cmp_ngt_f64_e64 s[2:3], |v[176:177]|, |v[178:179]|
                                        ; implicit-def: $vgpr180_vgpr181
	s_and_saveexec_b64 s[10:11], s[2:3]
	s_xor_b64 s[2:3], exec, s[10:11]
                                        ; implicit-def: $vgpr182_vgpr183
	s_cbranch_execz .LBB87_248
; %bb.247:
	v_div_scale_f64 v[180:181], s[10:11], v[178:179], v[178:179], v[176:177]
	v_rcp_f64_e32 v[182:183], v[180:181]
	v_div_scale_f64 v[184:185], vcc, v[176:177], v[178:179], v[176:177]
	v_fma_f64 v[186:187], -v[180:181], v[182:183], 1.0
	v_fmac_f64_e32 v[182:183], v[182:183], v[186:187]
	v_fma_f64 v[186:187], -v[180:181], v[182:183], 1.0
	v_fmac_f64_e32 v[182:183], v[182:183], v[186:187]
	v_mul_f64 v[186:187], v[184:185], v[182:183]
	v_fma_f64 v[180:181], -v[180:181], v[186:187], v[184:185]
	v_div_fmas_f64 v[180:181], v[180:181], v[182:183], v[186:187]
	v_div_fixup_f64 v[180:181], v[180:181], v[178:179], v[176:177]
	v_fmac_f64_e32 v[178:179], v[176:177], v[180:181]
	v_div_scale_f64 v[176:177], s[10:11], v[178:179], v[178:179], 1.0
	v_rcp_f64_e32 v[182:183], v[176:177]
	s_nop 0
	v_fma_f64 v[184:185], -v[176:177], v[182:183], 1.0
	v_fmac_f64_e32 v[182:183], v[182:183], v[184:185]
	v_fma_f64 v[184:185], -v[176:177], v[182:183], 1.0
	v_fmac_f64_e32 v[182:183], v[182:183], v[184:185]
	v_div_scale_f64 v[184:185], vcc, 1.0, v[178:179], 1.0
	v_mul_f64 v[186:187], v[184:185], v[182:183]
	v_fma_f64 v[176:177], -v[176:177], v[186:187], v[184:185]
	s_nop 1
	v_div_fmas_f64 v[176:177], v[176:177], v[182:183], v[186:187]
	v_div_fixup_f64 v[182:183], v[176:177], v[178:179], 1.0
	v_mul_f64 v[180:181], v[180:181], v[182:183]
	v_xor_b32_e32 v183, 0x80000000, v183
                                        ; implicit-def: $vgpr176_vgpr177
.LBB87_248:
	s_andn2_saveexec_b64 s[2:3], s[2:3]
	s_cbranch_execz .LBB87_250
; %bb.249:
	v_div_scale_f64 v[180:181], s[10:11], v[176:177], v[176:177], v[178:179]
	v_rcp_f64_e32 v[182:183], v[180:181]
	v_div_scale_f64 v[184:185], vcc, v[178:179], v[176:177], v[178:179]
	v_fma_f64 v[186:187], -v[180:181], v[182:183], 1.0
	v_fmac_f64_e32 v[182:183], v[182:183], v[186:187]
	v_fma_f64 v[186:187], -v[180:181], v[182:183], 1.0
	v_fmac_f64_e32 v[182:183], v[182:183], v[186:187]
	v_mul_f64 v[186:187], v[184:185], v[182:183]
	v_fma_f64 v[180:181], -v[180:181], v[186:187], v[184:185]
	v_div_fmas_f64 v[180:181], v[180:181], v[182:183], v[186:187]
	v_div_fixup_f64 v[182:183], v[180:181], v[176:177], v[178:179]
	v_fmac_f64_e32 v[176:177], v[178:179], v[182:183]
	v_div_scale_f64 v[178:179], s[10:11], v[176:177], v[176:177], 1.0
	v_rcp_f64_e32 v[180:181], v[178:179]
	s_nop 0
	v_fma_f64 v[184:185], -v[178:179], v[180:181], 1.0
	v_fmac_f64_e32 v[180:181], v[180:181], v[184:185]
	v_fma_f64 v[184:185], -v[178:179], v[180:181], 1.0
	v_fmac_f64_e32 v[180:181], v[180:181], v[184:185]
	v_div_scale_f64 v[184:185], vcc, 1.0, v[176:177], 1.0
	v_mul_f64 v[186:187], v[184:185], v[180:181]
	v_fma_f64 v[178:179], -v[178:179], v[186:187], v[184:185]
	s_nop 1
	v_div_fmas_f64 v[178:179], v[178:179], v[180:181], v[186:187]
	v_div_fixup_f64 v[180:181], v[178:179], v[176:177], 1.0
	v_mul_f64 v[182:183], v[182:183], -v[180:181]
.LBB87_250:
	s_or_b64 exec, exec, s[2:3]
	ds_write2_b64 v192, v[180:181], v[182:183] offset1:1
.LBB87_251:
	s_or_b64 exec, exec, s[4:5]
	s_waitcnt lgkmcnt(0)
	s_barrier
	ds_read2_b64 v[176:179], v192 offset1:1
	v_cmp_lt_u32_e32 vcc, 27, v194
	s_waitcnt lgkmcnt(0)
	scratch_store_dwordx4 off, v[176:179], off offset:592 ; 16-byte Folded Spill
	s_and_saveexec_b64 s[2:3], vcc
	s_cbranch_execz .LBB87_253
; %bb.252:
	scratch_load_dwordx4 v[178:181], off, off offset:592 ; 16-byte Folded Reload
	s_waitcnt vmcnt(0)
	v_mul_f64 v[176:177], v[178:179], v[62:63]
	v_mul_f64 v[62:63], v[180:181], v[62:63]
	v_fmac_f64_e32 v[176:177], v[180:181], v[60:61]
	v_fma_f64 v[60:61], v[178:179], v[60:61], -v[62:63]
	ds_read2_b64 v[178:181], v193 offset0:56 offset1:57
	s_waitcnt lgkmcnt(0)
	v_mul_f64 v[62:63], v[180:181], v[176:177]
	v_fma_f64 v[62:63], v[178:179], v[60:61], -v[62:63]
	v_mul_f64 v[178:179], v[178:179], v[176:177]
	v_fmac_f64_e32 v[178:179], v[180:181], v[60:61]
	v_add_f64 v[58:59], v[58:59], -v[178:179]
	ds_read2_b64 v[178:181], v193 offset0:58 offset1:59
	v_add_f64 v[56:57], v[56:57], -v[62:63]
	s_waitcnt lgkmcnt(0)
	v_mul_f64 v[62:63], v[180:181], v[176:177]
	v_fma_f64 v[62:63], v[178:179], v[60:61], -v[62:63]
	v_mul_f64 v[178:179], v[178:179], v[176:177]
	v_fmac_f64_e32 v[178:179], v[180:181], v[60:61]
	v_add_f64 v[54:55], v[54:55], -v[178:179]
	ds_read2_b64 v[178:181], v193 offset0:60 offset1:61
	v_add_f64 v[52:53], v[52:53], -v[62:63]
	;; [unrolled: 8-line block ×15, first 2 shown]
	s_waitcnt lgkmcnt(0)
	v_mul_f64 v[62:63], v[180:181], v[176:177]
	v_fma_f64 v[62:63], v[178:179], v[60:61], -v[62:63]
	v_mul_f64 v[178:179], v[178:179], v[176:177]
	v_fmac_f64_e32 v[178:179], v[180:181], v[60:61]
	v_add_f64 v[172:173], v[172:173], -v[62:63]
	v_add_f64 v[174:175], v[174:175], -v[178:179]
	v_mov_b64_e32 v[62:63], v[176:177]
.LBB87_253:
	s_or_b64 exec, exec, s[2:3]
	v_cmp_eq_u32_e32 vcc, 28, v194
	s_barrier
	s_and_saveexec_b64 s[4:5], vcc
	s_cbranch_execz .LBB87_260
; %bb.254:
	s_waitcnt vmcnt(42)
	ds_write2_b64 v192, v[56:57], v[58:59] offset1:1
	s_waitcnt vmcnt(41)
	ds_write2_b64 v193, v[52:53], v[54:55] offset0:58 offset1:59
	s_waitcnt vmcnt(40)
	ds_write2_b64 v193, v[48:49], v[50:51] offset0:60 offset1:61
	;; [unrolled: 2-line block ×15, first 2 shown]
	ds_read2_b64 v[176:179], v192 offset1:1
	s_waitcnt lgkmcnt(0)
	v_cmp_neq_f64_e32 vcc, 0, v[176:177]
	v_cmp_neq_f64_e64 s[2:3], 0, v[178:179]
	s_or_b64 s[2:3], vcc, s[2:3]
	s_and_b64 exec, exec, s[2:3]
	s_cbranch_execz .LBB87_260
; %bb.255:
	v_cmp_ngt_f64_e64 s[2:3], |v[176:177]|, |v[178:179]|
                                        ; implicit-def: $vgpr180_vgpr181
	s_and_saveexec_b64 s[10:11], s[2:3]
	s_xor_b64 s[2:3], exec, s[10:11]
                                        ; implicit-def: $vgpr182_vgpr183
	s_cbranch_execz .LBB87_257
; %bb.256:
	v_div_scale_f64 v[180:181], s[10:11], v[178:179], v[178:179], v[176:177]
	v_rcp_f64_e32 v[182:183], v[180:181]
	v_div_scale_f64 v[184:185], vcc, v[176:177], v[178:179], v[176:177]
	v_fma_f64 v[186:187], -v[180:181], v[182:183], 1.0
	v_fmac_f64_e32 v[182:183], v[182:183], v[186:187]
	v_fma_f64 v[186:187], -v[180:181], v[182:183], 1.0
	v_fmac_f64_e32 v[182:183], v[182:183], v[186:187]
	v_mul_f64 v[186:187], v[184:185], v[182:183]
	v_fma_f64 v[180:181], -v[180:181], v[186:187], v[184:185]
	v_div_fmas_f64 v[180:181], v[180:181], v[182:183], v[186:187]
	v_div_fixup_f64 v[180:181], v[180:181], v[178:179], v[176:177]
	v_fmac_f64_e32 v[178:179], v[176:177], v[180:181]
	v_div_scale_f64 v[176:177], s[10:11], v[178:179], v[178:179], 1.0
	v_rcp_f64_e32 v[182:183], v[176:177]
	s_nop 0
	v_fma_f64 v[184:185], -v[176:177], v[182:183], 1.0
	v_fmac_f64_e32 v[182:183], v[182:183], v[184:185]
	v_fma_f64 v[184:185], -v[176:177], v[182:183], 1.0
	v_fmac_f64_e32 v[182:183], v[182:183], v[184:185]
	v_div_scale_f64 v[184:185], vcc, 1.0, v[178:179], 1.0
	v_mul_f64 v[186:187], v[184:185], v[182:183]
	v_fma_f64 v[176:177], -v[176:177], v[186:187], v[184:185]
	s_nop 1
	v_div_fmas_f64 v[176:177], v[176:177], v[182:183], v[186:187]
	v_div_fixup_f64 v[182:183], v[176:177], v[178:179], 1.0
	v_mul_f64 v[180:181], v[180:181], v[182:183]
	v_xor_b32_e32 v183, 0x80000000, v183
                                        ; implicit-def: $vgpr176_vgpr177
.LBB87_257:
	s_andn2_saveexec_b64 s[2:3], s[2:3]
	s_cbranch_execz .LBB87_259
; %bb.258:
	v_div_scale_f64 v[180:181], s[10:11], v[176:177], v[176:177], v[178:179]
	v_rcp_f64_e32 v[182:183], v[180:181]
	v_div_scale_f64 v[184:185], vcc, v[178:179], v[176:177], v[178:179]
	v_fma_f64 v[186:187], -v[180:181], v[182:183], 1.0
	v_fmac_f64_e32 v[182:183], v[182:183], v[186:187]
	v_fma_f64 v[186:187], -v[180:181], v[182:183], 1.0
	v_fmac_f64_e32 v[182:183], v[182:183], v[186:187]
	v_mul_f64 v[186:187], v[184:185], v[182:183]
	v_fma_f64 v[180:181], -v[180:181], v[186:187], v[184:185]
	v_div_fmas_f64 v[180:181], v[180:181], v[182:183], v[186:187]
	v_div_fixup_f64 v[182:183], v[180:181], v[176:177], v[178:179]
	v_fmac_f64_e32 v[176:177], v[178:179], v[182:183]
	v_div_scale_f64 v[178:179], s[10:11], v[176:177], v[176:177], 1.0
	v_rcp_f64_e32 v[180:181], v[178:179]
	s_nop 0
	v_fma_f64 v[184:185], -v[178:179], v[180:181], 1.0
	v_fmac_f64_e32 v[180:181], v[180:181], v[184:185]
	v_fma_f64 v[184:185], -v[178:179], v[180:181], 1.0
	v_fmac_f64_e32 v[180:181], v[180:181], v[184:185]
	v_div_scale_f64 v[184:185], vcc, 1.0, v[176:177], 1.0
	v_mul_f64 v[186:187], v[184:185], v[180:181]
	v_fma_f64 v[178:179], -v[178:179], v[186:187], v[184:185]
	s_nop 1
	v_div_fmas_f64 v[178:179], v[178:179], v[180:181], v[186:187]
	v_div_fixup_f64 v[180:181], v[178:179], v[176:177], 1.0
	v_mul_f64 v[182:183], v[182:183], -v[180:181]
.LBB87_259:
	s_or_b64 exec, exec, s[2:3]
	ds_write2_b64 v192, v[180:181], v[182:183] offset1:1
.LBB87_260:
	s_or_b64 exec, exec, s[4:5]
	s_waitcnt lgkmcnt(0)
	s_barrier
	ds_read2_b64 v[176:179], v192 offset1:1
	v_cmp_lt_u32_e32 vcc, 28, v194
	s_waitcnt lgkmcnt(0)
	scratch_store_dwordx4 off, v[176:179], off offset:608 ; 16-byte Folded Spill
	s_and_saveexec_b64 s[2:3], vcc
	s_cbranch_execz .LBB87_262
; %bb.261:
	scratch_load_dwordx4 v[178:181], off, off offset:608 ; 16-byte Folded Reload
	s_waitcnt vmcnt(0)
	v_mul_f64 v[176:177], v[178:179], v[58:59]
	v_mul_f64 v[58:59], v[180:181], v[58:59]
	v_fmac_f64_e32 v[176:177], v[180:181], v[56:57]
	v_fma_f64 v[56:57], v[178:179], v[56:57], -v[58:59]
	ds_read2_b64 v[178:181], v193 offset0:58 offset1:59
	s_waitcnt lgkmcnt(0)
	v_mul_f64 v[58:59], v[180:181], v[176:177]
	v_fma_f64 v[58:59], v[178:179], v[56:57], -v[58:59]
	v_mul_f64 v[178:179], v[178:179], v[176:177]
	v_fmac_f64_e32 v[178:179], v[180:181], v[56:57]
	v_add_f64 v[54:55], v[54:55], -v[178:179]
	ds_read2_b64 v[178:181], v193 offset0:60 offset1:61
	v_add_f64 v[52:53], v[52:53], -v[58:59]
	s_waitcnt lgkmcnt(0)
	v_mul_f64 v[58:59], v[180:181], v[176:177]
	v_fma_f64 v[58:59], v[178:179], v[56:57], -v[58:59]
	v_mul_f64 v[178:179], v[178:179], v[176:177]
	v_fmac_f64_e32 v[178:179], v[180:181], v[56:57]
	v_add_f64 v[50:51], v[50:51], -v[178:179]
	ds_read2_b64 v[178:181], v193 offset0:62 offset1:63
	v_add_f64 v[48:49], v[48:49], -v[58:59]
	;; [unrolled: 8-line block ×14, first 2 shown]
	s_waitcnt lgkmcnt(0)
	v_mul_f64 v[58:59], v[180:181], v[176:177]
	v_fma_f64 v[58:59], v[178:179], v[56:57], -v[58:59]
	v_mul_f64 v[178:179], v[178:179], v[176:177]
	v_fmac_f64_e32 v[178:179], v[180:181], v[56:57]
	v_add_f64 v[172:173], v[172:173], -v[58:59]
	v_add_f64 v[174:175], v[174:175], -v[178:179]
	v_mov_b64_e32 v[58:59], v[176:177]
.LBB87_262:
	s_or_b64 exec, exec, s[2:3]
	v_cmp_eq_u32_e32 vcc, 29, v194
	s_barrier
	s_and_saveexec_b64 s[4:5], vcc
	s_cbranch_execz .LBB87_269
; %bb.263:
	s_waitcnt vmcnt(42)
	ds_write2_b64 v192, v[52:53], v[54:55] offset1:1
	s_waitcnt vmcnt(41)
	ds_write2_b64 v193, v[48:49], v[50:51] offset0:60 offset1:61
	s_waitcnt vmcnt(40)
	ds_write2_b64 v193, v[44:45], v[46:47] offset0:62 offset1:63
	;; [unrolled: 2-line block ×14, first 2 shown]
	ds_read2_b64 v[176:179], v192 offset1:1
	s_waitcnt lgkmcnt(0)
	v_cmp_neq_f64_e32 vcc, 0, v[176:177]
	v_cmp_neq_f64_e64 s[2:3], 0, v[178:179]
	s_or_b64 s[2:3], vcc, s[2:3]
	s_and_b64 exec, exec, s[2:3]
	s_cbranch_execz .LBB87_269
; %bb.264:
	v_cmp_ngt_f64_e64 s[2:3], |v[176:177]|, |v[178:179]|
                                        ; implicit-def: $vgpr180_vgpr181
	s_and_saveexec_b64 s[10:11], s[2:3]
	s_xor_b64 s[2:3], exec, s[10:11]
                                        ; implicit-def: $vgpr182_vgpr183
	s_cbranch_execz .LBB87_266
; %bb.265:
	v_div_scale_f64 v[180:181], s[10:11], v[178:179], v[178:179], v[176:177]
	v_rcp_f64_e32 v[182:183], v[180:181]
	v_div_scale_f64 v[184:185], vcc, v[176:177], v[178:179], v[176:177]
	v_fma_f64 v[186:187], -v[180:181], v[182:183], 1.0
	v_fmac_f64_e32 v[182:183], v[182:183], v[186:187]
	v_fma_f64 v[186:187], -v[180:181], v[182:183], 1.0
	v_fmac_f64_e32 v[182:183], v[182:183], v[186:187]
	v_mul_f64 v[186:187], v[184:185], v[182:183]
	v_fma_f64 v[180:181], -v[180:181], v[186:187], v[184:185]
	v_div_fmas_f64 v[180:181], v[180:181], v[182:183], v[186:187]
	v_div_fixup_f64 v[180:181], v[180:181], v[178:179], v[176:177]
	v_fmac_f64_e32 v[178:179], v[176:177], v[180:181]
	v_div_scale_f64 v[176:177], s[10:11], v[178:179], v[178:179], 1.0
	v_rcp_f64_e32 v[182:183], v[176:177]
	s_nop 0
	v_fma_f64 v[184:185], -v[176:177], v[182:183], 1.0
	v_fmac_f64_e32 v[182:183], v[182:183], v[184:185]
	v_fma_f64 v[184:185], -v[176:177], v[182:183], 1.0
	v_fmac_f64_e32 v[182:183], v[182:183], v[184:185]
	v_div_scale_f64 v[184:185], vcc, 1.0, v[178:179], 1.0
	v_mul_f64 v[186:187], v[184:185], v[182:183]
	v_fma_f64 v[176:177], -v[176:177], v[186:187], v[184:185]
	s_nop 1
	v_div_fmas_f64 v[176:177], v[176:177], v[182:183], v[186:187]
	v_div_fixup_f64 v[182:183], v[176:177], v[178:179], 1.0
	v_mul_f64 v[180:181], v[180:181], v[182:183]
	v_xor_b32_e32 v183, 0x80000000, v183
                                        ; implicit-def: $vgpr176_vgpr177
.LBB87_266:
	s_andn2_saveexec_b64 s[2:3], s[2:3]
	s_cbranch_execz .LBB87_268
; %bb.267:
	v_div_scale_f64 v[180:181], s[10:11], v[176:177], v[176:177], v[178:179]
	v_rcp_f64_e32 v[182:183], v[180:181]
	v_div_scale_f64 v[184:185], vcc, v[178:179], v[176:177], v[178:179]
	v_fma_f64 v[186:187], -v[180:181], v[182:183], 1.0
	v_fmac_f64_e32 v[182:183], v[182:183], v[186:187]
	v_fma_f64 v[186:187], -v[180:181], v[182:183], 1.0
	v_fmac_f64_e32 v[182:183], v[182:183], v[186:187]
	v_mul_f64 v[186:187], v[184:185], v[182:183]
	v_fma_f64 v[180:181], -v[180:181], v[186:187], v[184:185]
	v_div_fmas_f64 v[180:181], v[180:181], v[182:183], v[186:187]
	v_div_fixup_f64 v[182:183], v[180:181], v[176:177], v[178:179]
	v_fmac_f64_e32 v[176:177], v[178:179], v[182:183]
	v_div_scale_f64 v[178:179], s[10:11], v[176:177], v[176:177], 1.0
	v_rcp_f64_e32 v[180:181], v[178:179]
	s_nop 0
	v_fma_f64 v[184:185], -v[178:179], v[180:181], 1.0
	v_fmac_f64_e32 v[180:181], v[180:181], v[184:185]
	v_fma_f64 v[184:185], -v[178:179], v[180:181], 1.0
	v_fmac_f64_e32 v[180:181], v[180:181], v[184:185]
	v_div_scale_f64 v[184:185], vcc, 1.0, v[176:177], 1.0
	v_mul_f64 v[186:187], v[184:185], v[180:181]
	v_fma_f64 v[178:179], -v[178:179], v[186:187], v[184:185]
	s_nop 1
	v_div_fmas_f64 v[178:179], v[178:179], v[180:181], v[186:187]
	v_div_fixup_f64 v[180:181], v[178:179], v[176:177], 1.0
	v_mul_f64 v[182:183], v[182:183], -v[180:181]
.LBB87_268:
	s_or_b64 exec, exec, s[2:3]
	ds_write2_b64 v192, v[180:181], v[182:183] offset1:1
.LBB87_269:
	s_or_b64 exec, exec, s[4:5]
	s_waitcnt lgkmcnt(0)
	s_barrier
	ds_read2_b64 v[176:179], v192 offset1:1
	v_cmp_lt_u32_e32 vcc, 29, v194
	s_waitcnt lgkmcnt(0)
	scratch_store_dwordx4 off, v[176:179], off offset:624 ; 16-byte Folded Spill
	s_and_saveexec_b64 s[2:3], vcc
	s_cbranch_execz .LBB87_271
; %bb.270:
	scratch_load_dwordx4 v[178:181], off, off offset:624 ; 16-byte Folded Reload
	s_waitcnt vmcnt(0)
	v_mul_f64 v[176:177], v[178:179], v[54:55]
	v_mul_f64 v[54:55], v[180:181], v[54:55]
	v_fmac_f64_e32 v[176:177], v[180:181], v[52:53]
	v_fma_f64 v[52:53], v[178:179], v[52:53], -v[54:55]
	ds_read2_b64 v[178:181], v193 offset0:60 offset1:61
	s_waitcnt lgkmcnt(0)
	v_mul_f64 v[54:55], v[180:181], v[176:177]
	v_fma_f64 v[54:55], v[178:179], v[52:53], -v[54:55]
	v_mul_f64 v[178:179], v[178:179], v[176:177]
	v_fmac_f64_e32 v[178:179], v[180:181], v[52:53]
	v_add_f64 v[50:51], v[50:51], -v[178:179]
	ds_read2_b64 v[178:181], v193 offset0:62 offset1:63
	v_add_f64 v[48:49], v[48:49], -v[54:55]
	s_waitcnt lgkmcnt(0)
	v_mul_f64 v[54:55], v[180:181], v[176:177]
	v_fma_f64 v[54:55], v[178:179], v[52:53], -v[54:55]
	v_mul_f64 v[178:179], v[178:179], v[176:177]
	v_fmac_f64_e32 v[178:179], v[180:181], v[52:53]
	v_add_f64 v[46:47], v[46:47], -v[178:179]
	ds_read2_b64 v[178:181], v193 offset0:64 offset1:65
	v_add_f64 v[44:45], v[44:45], -v[54:55]
	;; [unrolled: 8-line block ×13, first 2 shown]
	s_waitcnt lgkmcnt(0)
	v_mul_f64 v[54:55], v[180:181], v[176:177]
	v_fma_f64 v[54:55], v[178:179], v[52:53], -v[54:55]
	v_mul_f64 v[178:179], v[178:179], v[176:177]
	v_fmac_f64_e32 v[178:179], v[180:181], v[52:53]
	v_add_f64 v[172:173], v[172:173], -v[54:55]
	v_add_f64 v[174:175], v[174:175], -v[178:179]
	v_mov_b64_e32 v[54:55], v[176:177]
.LBB87_271:
	s_or_b64 exec, exec, s[2:3]
	v_cmp_eq_u32_e32 vcc, 30, v194
	s_barrier
	s_and_saveexec_b64 s[4:5], vcc
	s_cbranch_execz .LBB87_278
; %bb.272:
	s_waitcnt vmcnt(42)
	ds_write2_b64 v192, v[48:49], v[50:51] offset1:1
	s_waitcnt vmcnt(41)
	ds_write2_b64 v193, v[44:45], v[46:47] offset0:62 offset1:63
	s_waitcnt vmcnt(40)
	ds_write2_b64 v193, v[40:41], v[42:43] offset0:64 offset1:65
	s_waitcnt vmcnt(39)
	ds_write2_b64 v193, v[36:37], v[38:39] offset0:66 offset1:67
	s_waitcnt vmcnt(38)
	ds_write2_b64 v193, v[32:33], v[34:35] offset0:68 offset1:69
	s_waitcnt vmcnt(37)
	ds_write2_b64 v193, v[28:29], v[30:31] offset0:70 offset1:71
	s_waitcnt vmcnt(36)
	ds_write2_b64 v193, v[24:25], v[26:27] offset0:72 offset1:73
	s_waitcnt vmcnt(35)
	ds_write2_b64 v193, v[20:21], v[22:23] offset0:74 offset1:75
	s_waitcnt vmcnt(34)
	ds_write2_b64 v193, v[16:17], v[18:19] offset0:76 offset1:77
	s_waitcnt vmcnt(33)
	ds_write2_b64 v193, v[12:13], v[14:15] offset0:78 offset1:79
	s_waitcnt vmcnt(32)
	ds_write2_b64 v193, v[8:9], v[10:11] offset0:80 offset1:81
	s_waitcnt vmcnt(31)
	ds_write2_b64 v193, v[4:5], v[6:7] offset0:82 offset1:83
	s_waitcnt vmcnt(30)
	ds_write2_b64 v193, v[0:1], v[2:3] offset0:84 offset1:85
	s_waitcnt vmcnt(29)
	ds_write2_b64 v193, v[172:173], v[174:175] offset0:86 offset1:87
	ds_read2_b64 v[176:179], v192 offset1:1
	s_waitcnt lgkmcnt(0)
	v_cmp_neq_f64_e32 vcc, 0, v[176:177]
	v_cmp_neq_f64_e64 s[2:3], 0, v[178:179]
	s_or_b64 s[2:3], vcc, s[2:3]
	s_and_b64 exec, exec, s[2:3]
	s_cbranch_execz .LBB87_278
; %bb.273:
	v_cmp_ngt_f64_e64 s[2:3], |v[176:177]|, |v[178:179]|
                                        ; implicit-def: $vgpr180_vgpr181
	s_and_saveexec_b64 s[10:11], s[2:3]
	s_xor_b64 s[2:3], exec, s[10:11]
                                        ; implicit-def: $vgpr182_vgpr183
	s_cbranch_execz .LBB87_275
; %bb.274:
	v_div_scale_f64 v[180:181], s[10:11], v[178:179], v[178:179], v[176:177]
	v_rcp_f64_e32 v[182:183], v[180:181]
	v_div_scale_f64 v[184:185], vcc, v[176:177], v[178:179], v[176:177]
	v_fma_f64 v[186:187], -v[180:181], v[182:183], 1.0
	v_fmac_f64_e32 v[182:183], v[182:183], v[186:187]
	v_fma_f64 v[186:187], -v[180:181], v[182:183], 1.0
	v_fmac_f64_e32 v[182:183], v[182:183], v[186:187]
	v_mul_f64 v[186:187], v[184:185], v[182:183]
	v_fma_f64 v[180:181], -v[180:181], v[186:187], v[184:185]
	v_div_fmas_f64 v[180:181], v[180:181], v[182:183], v[186:187]
	v_div_fixup_f64 v[180:181], v[180:181], v[178:179], v[176:177]
	v_fmac_f64_e32 v[178:179], v[176:177], v[180:181]
	v_div_scale_f64 v[176:177], s[10:11], v[178:179], v[178:179], 1.0
	v_rcp_f64_e32 v[182:183], v[176:177]
	s_nop 0
	v_fma_f64 v[184:185], -v[176:177], v[182:183], 1.0
	v_fmac_f64_e32 v[182:183], v[182:183], v[184:185]
	v_fma_f64 v[184:185], -v[176:177], v[182:183], 1.0
	v_fmac_f64_e32 v[182:183], v[182:183], v[184:185]
	v_div_scale_f64 v[184:185], vcc, 1.0, v[178:179], 1.0
	v_mul_f64 v[186:187], v[184:185], v[182:183]
	v_fma_f64 v[176:177], -v[176:177], v[186:187], v[184:185]
	s_nop 1
	v_div_fmas_f64 v[176:177], v[176:177], v[182:183], v[186:187]
	v_div_fixup_f64 v[182:183], v[176:177], v[178:179], 1.0
	v_mul_f64 v[180:181], v[180:181], v[182:183]
	v_xor_b32_e32 v183, 0x80000000, v183
                                        ; implicit-def: $vgpr176_vgpr177
.LBB87_275:
	s_andn2_saveexec_b64 s[2:3], s[2:3]
	s_cbranch_execz .LBB87_277
; %bb.276:
	v_div_scale_f64 v[180:181], s[10:11], v[176:177], v[176:177], v[178:179]
	v_rcp_f64_e32 v[182:183], v[180:181]
	v_div_scale_f64 v[184:185], vcc, v[178:179], v[176:177], v[178:179]
	v_fma_f64 v[186:187], -v[180:181], v[182:183], 1.0
	v_fmac_f64_e32 v[182:183], v[182:183], v[186:187]
	v_fma_f64 v[186:187], -v[180:181], v[182:183], 1.0
	v_fmac_f64_e32 v[182:183], v[182:183], v[186:187]
	v_mul_f64 v[186:187], v[184:185], v[182:183]
	v_fma_f64 v[180:181], -v[180:181], v[186:187], v[184:185]
	v_div_fmas_f64 v[180:181], v[180:181], v[182:183], v[186:187]
	v_div_fixup_f64 v[182:183], v[180:181], v[176:177], v[178:179]
	v_fmac_f64_e32 v[176:177], v[178:179], v[182:183]
	v_div_scale_f64 v[178:179], s[10:11], v[176:177], v[176:177], 1.0
	v_rcp_f64_e32 v[180:181], v[178:179]
	s_nop 0
	v_fma_f64 v[184:185], -v[178:179], v[180:181], 1.0
	v_fmac_f64_e32 v[180:181], v[180:181], v[184:185]
	v_fma_f64 v[184:185], -v[178:179], v[180:181], 1.0
	v_fmac_f64_e32 v[180:181], v[180:181], v[184:185]
	v_div_scale_f64 v[184:185], vcc, 1.0, v[176:177], 1.0
	v_mul_f64 v[186:187], v[184:185], v[180:181]
	v_fma_f64 v[178:179], -v[178:179], v[186:187], v[184:185]
	s_nop 1
	v_div_fmas_f64 v[178:179], v[178:179], v[180:181], v[186:187]
	v_div_fixup_f64 v[180:181], v[178:179], v[176:177], 1.0
	v_mul_f64 v[182:183], v[182:183], -v[180:181]
.LBB87_277:
	s_or_b64 exec, exec, s[2:3]
	ds_write2_b64 v192, v[180:181], v[182:183] offset1:1
.LBB87_278:
	s_or_b64 exec, exec, s[4:5]
	s_waitcnt lgkmcnt(0)
	s_barrier
	ds_read2_b64 v[176:179], v192 offset1:1
	v_cmp_lt_u32_e32 vcc, 30, v194
	s_waitcnt lgkmcnt(0)
	scratch_store_dwordx4 off, v[176:179], off offset:640 ; 16-byte Folded Spill
	s_and_saveexec_b64 s[2:3], vcc
	s_cbranch_execz .LBB87_280
; %bb.279:
	scratch_load_dwordx4 v[178:181], off, off offset:640 ; 16-byte Folded Reload
	s_waitcnt vmcnt(0)
	v_mul_f64 v[176:177], v[178:179], v[50:51]
	v_mul_f64 v[50:51], v[180:181], v[50:51]
	v_fmac_f64_e32 v[176:177], v[180:181], v[48:49]
	v_fma_f64 v[48:49], v[178:179], v[48:49], -v[50:51]
	ds_read2_b64 v[178:181], v193 offset0:62 offset1:63
	s_waitcnt lgkmcnt(0)
	v_mul_f64 v[50:51], v[180:181], v[176:177]
	v_fma_f64 v[50:51], v[178:179], v[48:49], -v[50:51]
	v_mul_f64 v[178:179], v[178:179], v[176:177]
	v_fmac_f64_e32 v[178:179], v[180:181], v[48:49]
	v_add_f64 v[46:47], v[46:47], -v[178:179]
	ds_read2_b64 v[178:181], v193 offset0:64 offset1:65
	v_add_f64 v[44:45], v[44:45], -v[50:51]
	s_waitcnt lgkmcnt(0)
	v_mul_f64 v[50:51], v[180:181], v[176:177]
	v_fma_f64 v[50:51], v[178:179], v[48:49], -v[50:51]
	v_mul_f64 v[178:179], v[178:179], v[176:177]
	v_fmac_f64_e32 v[178:179], v[180:181], v[48:49]
	v_add_f64 v[42:43], v[42:43], -v[178:179]
	ds_read2_b64 v[178:181], v193 offset0:66 offset1:67
	v_add_f64 v[40:41], v[40:41], -v[50:51]
	;; [unrolled: 8-line block ×12, first 2 shown]
	s_waitcnt lgkmcnt(0)
	v_mul_f64 v[50:51], v[180:181], v[176:177]
	v_fma_f64 v[50:51], v[178:179], v[48:49], -v[50:51]
	v_mul_f64 v[178:179], v[178:179], v[176:177]
	v_fmac_f64_e32 v[178:179], v[180:181], v[48:49]
	v_add_f64 v[172:173], v[172:173], -v[50:51]
	v_add_f64 v[174:175], v[174:175], -v[178:179]
	v_mov_b64_e32 v[50:51], v[176:177]
.LBB87_280:
	s_or_b64 exec, exec, s[2:3]
	v_cmp_eq_u32_e32 vcc, 31, v194
	s_barrier
	s_and_saveexec_b64 s[4:5], vcc
	s_cbranch_execz .LBB87_287
; %bb.281:
	s_waitcnt vmcnt(42)
	ds_write2_b64 v192, v[44:45], v[46:47] offset1:1
	s_waitcnt vmcnt(41)
	ds_write2_b64 v193, v[40:41], v[42:43] offset0:64 offset1:65
	s_waitcnt vmcnt(40)
	ds_write2_b64 v193, v[36:37], v[38:39] offset0:66 offset1:67
	;; [unrolled: 2-line block ×12, first 2 shown]
	ds_read2_b64 v[176:179], v192 offset1:1
	s_waitcnt lgkmcnt(0)
	v_cmp_neq_f64_e32 vcc, 0, v[176:177]
	v_cmp_neq_f64_e64 s[2:3], 0, v[178:179]
	s_or_b64 s[2:3], vcc, s[2:3]
	s_and_b64 exec, exec, s[2:3]
	s_cbranch_execz .LBB87_287
; %bb.282:
	v_cmp_ngt_f64_e64 s[2:3], |v[176:177]|, |v[178:179]|
                                        ; implicit-def: $vgpr180_vgpr181
	s_and_saveexec_b64 s[10:11], s[2:3]
	s_xor_b64 s[2:3], exec, s[10:11]
                                        ; implicit-def: $vgpr182_vgpr183
	s_cbranch_execz .LBB87_284
; %bb.283:
	v_div_scale_f64 v[180:181], s[10:11], v[178:179], v[178:179], v[176:177]
	v_rcp_f64_e32 v[182:183], v[180:181]
	v_div_scale_f64 v[184:185], vcc, v[176:177], v[178:179], v[176:177]
	v_fma_f64 v[186:187], -v[180:181], v[182:183], 1.0
	v_fmac_f64_e32 v[182:183], v[182:183], v[186:187]
	v_fma_f64 v[186:187], -v[180:181], v[182:183], 1.0
	v_fmac_f64_e32 v[182:183], v[182:183], v[186:187]
	v_mul_f64 v[186:187], v[184:185], v[182:183]
	v_fma_f64 v[180:181], -v[180:181], v[186:187], v[184:185]
	v_div_fmas_f64 v[180:181], v[180:181], v[182:183], v[186:187]
	v_div_fixup_f64 v[180:181], v[180:181], v[178:179], v[176:177]
	v_fmac_f64_e32 v[178:179], v[176:177], v[180:181]
	v_div_scale_f64 v[176:177], s[10:11], v[178:179], v[178:179], 1.0
	v_rcp_f64_e32 v[182:183], v[176:177]
	s_nop 0
	v_fma_f64 v[184:185], -v[176:177], v[182:183], 1.0
	v_fmac_f64_e32 v[182:183], v[182:183], v[184:185]
	v_fma_f64 v[184:185], -v[176:177], v[182:183], 1.0
	v_fmac_f64_e32 v[182:183], v[182:183], v[184:185]
	v_div_scale_f64 v[184:185], vcc, 1.0, v[178:179], 1.0
	v_mul_f64 v[186:187], v[184:185], v[182:183]
	v_fma_f64 v[176:177], -v[176:177], v[186:187], v[184:185]
	s_nop 1
	v_div_fmas_f64 v[176:177], v[176:177], v[182:183], v[186:187]
	v_div_fixup_f64 v[182:183], v[176:177], v[178:179], 1.0
	v_mul_f64 v[180:181], v[180:181], v[182:183]
	v_xor_b32_e32 v183, 0x80000000, v183
                                        ; implicit-def: $vgpr176_vgpr177
.LBB87_284:
	s_andn2_saveexec_b64 s[2:3], s[2:3]
	s_cbranch_execz .LBB87_286
; %bb.285:
	v_div_scale_f64 v[180:181], s[10:11], v[176:177], v[176:177], v[178:179]
	v_rcp_f64_e32 v[182:183], v[180:181]
	v_div_scale_f64 v[184:185], vcc, v[178:179], v[176:177], v[178:179]
	v_fma_f64 v[186:187], -v[180:181], v[182:183], 1.0
	v_fmac_f64_e32 v[182:183], v[182:183], v[186:187]
	v_fma_f64 v[186:187], -v[180:181], v[182:183], 1.0
	v_fmac_f64_e32 v[182:183], v[182:183], v[186:187]
	v_mul_f64 v[186:187], v[184:185], v[182:183]
	v_fma_f64 v[180:181], -v[180:181], v[186:187], v[184:185]
	v_div_fmas_f64 v[180:181], v[180:181], v[182:183], v[186:187]
	v_div_fixup_f64 v[182:183], v[180:181], v[176:177], v[178:179]
	v_fmac_f64_e32 v[176:177], v[178:179], v[182:183]
	v_div_scale_f64 v[178:179], s[10:11], v[176:177], v[176:177], 1.0
	v_rcp_f64_e32 v[180:181], v[178:179]
	s_nop 0
	v_fma_f64 v[184:185], -v[178:179], v[180:181], 1.0
	v_fmac_f64_e32 v[180:181], v[180:181], v[184:185]
	v_fma_f64 v[184:185], -v[178:179], v[180:181], 1.0
	v_fmac_f64_e32 v[180:181], v[180:181], v[184:185]
	v_div_scale_f64 v[184:185], vcc, 1.0, v[176:177], 1.0
	v_mul_f64 v[186:187], v[184:185], v[180:181]
	v_fma_f64 v[178:179], -v[178:179], v[186:187], v[184:185]
	s_nop 1
	v_div_fmas_f64 v[178:179], v[178:179], v[180:181], v[186:187]
	v_div_fixup_f64 v[180:181], v[178:179], v[176:177], 1.0
	v_mul_f64 v[182:183], v[182:183], -v[180:181]
.LBB87_286:
	s_or_b64 exec, exec, s[2:3]
	ds_write2_b64 v192, v[180:181], v[182:183] offset1:1
.LBB87_287:
	s_or_b64 exec, exec, s[4:5]
	s_waitcnt lgkmcnt(0)
	s_barrier
	ds_read2_b64 v[176:179], v192 offset1:1
	v_cmp_lt_u32_e32 vcc, 31, v194
	s_waitcnt lgkmcnt(0)
	scratch_store_dwordx4 off, v[176:179], off offset:656 ; 16-byte Folded Spill
	s_and_saveexec_b64 s[2:3], vcc
	s_cbranch_execz .LBB87_289
; %bb.288:
	scratch_load_dwordx4 v[178:181], off, off offset:656 ; 16-byte Folded Reload
	s_waitcnt vmcnt(0)
	v_mul_f64 v[176:177], v[178:179], v[46:47]
	v_mul_f64 v[46:47], v[180:181], v[46:47]
	v_fmac_f64_e32 v[176:177], v[180:181], v[44:45]
	v_fma_f64 v[44:45], v[178:179], v[44:45], -v[46:47]
	ds_read2_b64 v[178:181], v193 offset0:64 offset1:65
	s_waitcnt lgkmcnt(0)
	v_mul_f64 v[46:47], v[180:181], v[176:177]
	v_fma_f64 v[46:47], v[178:179], v[44:45], -v[46:47]
	v_mul_f64 v[178:179], v[178:179], v[176:177]
	v_fmac_f64_e32 v[178:179], v[180:181], v[44:45]
	v_add_f64 v[42:43], v[42:43], -v[178:179]
	ds_read2_b64 v[178:181], v193 offset0:66 offset1:67
	v_add_f64 v[40:41], v[40:41], -v[46:47]
	s_waitcnt lgkmcnt(0)
	v_mul_f64 v[46:47], v[180:181], v[176:177]
	v_fma_f64 v[46:47], v[178:179], v[44:45], -v[46:47]
	v_mul_f64 v[178:179], v[178:179], v[176:177]
	v_fmac_f64_e32 v[178:179], v[180:181], v[44:45]
	v_add_f64 v[38:39], v[38:39], -v[178:179]
	ds_read2_b64 v[178:181], v193 offset0:68 offset1:69
	v_add_f64 v[36:37], v[36:37], -v[46:47]
	;; [unrolled: 8-line block ×11, first 2 shown]
	s_waitcnt lgkmcnt(0)
	v_mul_f64 v[46:47], v[180:181], v[176:177]
	v_fma_f64 v[46:47], v[178:179], v[44:45], -v[46:47]
	v_mul_f64 v[178:179], v[178:179], v[176:177]
	v_fmac_f64_e32 v[178:179], v[180:181], v[44:45]
	v_add_f64 v[172:173], v[172:173], -v[46:47]
	v_add_f64 v[174:175], v[174:175], -v[178:179]
	v_mov_b64_e32 v[46:47], v[176:177]
.LBB87_289:
	s_or_b64 exec, exec, s[2:3]
	v_cmp_eq_u32_e32 vcc, 32, v194
	s_barrier
	s_and_saveexec_b64 s[4:5], vcc
	s_cbranch_execz .LBB87_296
; %bb.290:
	s_waitcnt vmcnt(42)
	ds_write2_b64 v192, v[40:41], v[42:43] offset1:1
	s_waitcnt vmcnt(41)
	ds_write2_b64 v193, v[36:37], v[38:39] offset0:66 offset1:67
	s_waitcnt vmcnt(40)
	ds_write2_b64 v193, v[32:33], v[34:35] offset0:68 offset1:69
	;; [unrolled: 2-line block ×11, first 2 shown]
	ds_read2_b64 v[176:179], v192 offset1:1
	s_waitcnt lgkmcnt(0)
	v_cmp_neq_f64_e32 vcc, 0, v[176:177]
	v_cmp_neq_f64_e64 s[2:3], 0, v[178:179]
	s_or_b64 s[2:3], vcc, s[2:3]
	s_and_b64 exec, exec, s[2:3]
	s_cbranch_execz .LBB87_296
; %bb.291:
	v_cmp_ngt_f64_e64 s[2:3], |v[176:177]|, |v[178:179]|
                                        ; implicit-def: $vgpr180_vgpr181
	s_and_saveexec_b64 s[10:11], s[2:3]
	s_xor_b64 s[2:3], exec, s[10:11]
                                        ; implicit-def: $vgpr182_vgpr183
	s_cbranch_execz .LBB87_293
; %bb.292:
	v_div_scale_f64 v[180:181], s[10:11], v[178:179], v[178:179], v[176:177]
	v_rcp_f64_e32 v[182:183], v[180:181]
	v_div_scale_f64 v[184:185], vcc, v[176:177], v[178:179], v[176:177]
	v_fma_f64 v[186:187], -v[180:181], v[182:183], 1.0
	v_fmac_f64_e32 v[182:183], v[182:183], v[186:187]
	v_fma_f64 v[186:187], -v[180:181], v[182:183], 1.0
	v_fmac_f64_e32 v[182:183], v[182:183], v[186:187]
	v_mul_f64 v[186:187], v[184:185], v[182:183]
	v_fma_f64 v[180:181], -v[180:181], v[186:187], v[184:185]
	v_div_fmas_f64 v[180:181], v[180:181], v[182:183], v[186:187]
	v_div_fixup_f64 v[180:181], v[180:181], v[178:179], v[176:177]
	v_fmac_f64_e32 v[178:179], v[176:177], v[180:181]
	v_div_scale_f64 v[176:177], s[10:11], v[178:179], v[178:179], 1.0
	v_rcp_f64_e32 v[182:183], v[176:177]
	s_nop 0
	v_fma_f64 v[184:185], -v[176:177], v[182:183], 1.0
	v_fmac_f64_e32 v[182:183], v[182:183], v[184:185]
	v_fma_f64 v[184:185], -v[176:177], v[182:183], 1.0
	v_fmac_f64_e32 v[182:183], v[182:183], v[184:185]
	v_div_scale_f64 v[184:185], vcc, 1.0, v[178:179], 1.0
	v_mul_f64 v[186:187], v[184:185], v[182:183]
	v_fma_f64 v[176:177], -v[176:177], v[186:187], v[184:185]
	s_nop 1
	v_div_fmas_f64 v[176:177], v[176:177], v[182:183], v[186:187]
	v_div_fixup_f64 v[182:183], v[176:177], v[178:179], 1.0
	v_mul_f64 v[180:181], v[180:181], v[182:183]
	v_xor_b32_e32 v183, 0x80000000, v183
                                        ; implicit-def: $vgpr176_vgpr177
.LBB87_293:
	s_andn2_saveexec_b64 s[2:3], s[2:3]
	s_cbranch_execz .LBB87_295
; %bb.294:
	v_div_scale_f64 v[180:181], s[10:11], v[176:177], v[176:177], v[178:179]
	v_rcp_f64_e32 v[182:183], v[180:181]
	v_div_scale_f64 v[184:185], vcc, v[178:179], v[176:177], v[178:179]
	v_fma_f64 v[186:187], -v[180:181], v[182:183], 1.0
	v_fmac_f64_e32 v[182:183], v[182:183], v[186:187]
	v_fma_f64 v[186:187], -v[180:181], v[182:183], 1.0
	v_fmac_f64_e32 v[182:183], v[182:183], v[186:187]
	v_mul_f64 v[186:187], v[184:185], v[182:183]
	v_fma_f64 v[180:181], -v[180:181], v[186:187], v[184:185]
	v_div_fmas_f64 v[180:181], v[180:181], v[182:183], v[186:187]
	v_div_fixup_f64 v[182:183], v[180:181], v[176:177], v[178:179]
	v_fmac_f64_e32 v[176:177], v[178:179], v[182:183]
	v_div_scale_f64 v[178:179], s[10:11], v[176:177], v[176:177], 1.0
	v_rcp_f64_e32 v[180:181], v[178:179]
	s_nop 0
	v_fma_f64 v[184:185], -v[178:179], v[180:181], 1.0
	v_fmac_f64_e32 v[180:181], v[180:181], v[184:185]
	v_fma_f64 v[184:185], -v[178:179], v[180:181], 1.0
	v_fmac_f64_e32 v[180:181], v[180:181], v[184:185]
	v_div_scale_f64 v[184:185], vcc, 1.0, v[176:177], 1.0
	v_mul_f64 v[186:187], v[184:185], v[180:181]
	v_fma_f64 v[178:179], -v[178:179], v[186:187], v[184:185]
	s_nop 1
	v_div_fmas_f64 v[178:179], v[178:179], v[180:181], v[186:187]
	v_div_fixup_f64 v[180:181], v[178:179], v[176:177], 1.0
	v_mul_f64 v[182:183], v[182:183], -v[180:181]
.LBB87_295:
	s_or_b64 exec, exec, s[2:3]
	ds_write2_b64 v192, v[180:181], v[182:183] offset1:1
.LBB87_296:
	s_or_b64 exec, exec, s[4:5]
	s_waitcnt lgkmcnt(0)
	s_barrier
	ds_read2_b64 v[176:179], v192 offset1:1
	v_cmp_lt_u32_e32 vcc, 32, v194
	s_waitcnt lgkmcnt(0)
	scratch_store_dwordx4 off, v[176:179], off offset:672 ; 16-byte Folded Spill
	s_and_saveexec_b64 s[2:3], vcc
	s_cbranch_execz .LBB87_298
; %bb.297:
	scratch_load_dwordx4 v[178:181], off, off offset:672 ; 16-byte Folded Reload
	s_waitcnt vmcnt(0)
	v_mul_f64 v[176:177], v[178:179], v[42:43]
	v_mul_f64 v[42:43], v[180:181], v[42:43]
	v_fmac_f64_e32 v[176:177], v[180:181], v[40:41]
	v_fma_f64 v[40:41], v[178:179], v[40:41], -v[42:43]
	ds_read2_b64 v[178:181], v193 offset0:66 offset1:67
	s_waitcnt lgkmcnt(0)
	v_mul_f64 v[42:43], v[180:181], v[176:177]
	v_fma_f64 v[42:43], v[178:179], v[40:41], -v[42:43]
	v_mul_f64 v[178:179], v[178:179], v[176:177]
	v_fmac_f64_e32 v[178:179], v[180:181], v[40:41]
	v_add_f64 v[38:39], v[38:39], -v[178:179]
	ds_read2_b64 v[178:181], v193 offset0:68 offset1:69
	v_add_f64 v[36:37], v[36:37], -v[42:43]
	s_waitcnt lgkmcnt(0)
	v_mul_f64 v[42:43], v[180:181], v[176:177]
	v_fma_f64 v[42:43], v[178:179], v[40:41], -v[42:43]
	v_mul_f64 v[178:179], v[178:179], v[176:177]
	v_fmac_f64_e32 v[178:179], v[180:181], v[40:41]
	v_add_f64 v[34:35], v[34:35], -v[178:179]
	ds_read2_b64 v[178:181], v193 offset0:70 offset1:71
	v_add_f64 v[32:33], v[32:33], -v[42:43]
	;; [unrolled: 8-line block ×10, first 2 shown]
	s_waitcnt lgkmcnt(0)
	v_mul_f64 v[42:43], v[180:181], v[176:177]
	v_fma_f64 v[42:43], v[178:179], v[40:41], -v[42:43]
	v_mul_f64 v[178:179], v[178:179], v[176:177]
	v_fmac_f64_e32 v[178:179], v[180:181], v[40:41]
	v_add_f64 v[172:173], v[172:173], -v[42:43]
	v_add_f64 v[174:175], v[174:175], -v[178:179]
	v_mov_b64_e32 v[42:43], v[176:177]
.LBB87_298:
	s_or_b64 exec, exec, s[2:3]
	v_cmp_eq_u32_e32 vcc, 33, v194
	s_waitcnt vmcnt(63) expcnt(7) lgkmcnt(15)
	s_barrier
	s_and_saveexec_b64 s[4:5], vcc
	s_cbranch_execz .LBB87_305
; %bb.299:
	s_waitcnt vmcnt(42)
	ds_write2_b64 v192, v[36:37], v[38:39] offset1:1
	s_waitcnt vmcnt(41)
	ds_write2_b64 v193, v[32:33], v[34:35] offset0:68 offset1:69
	s_waitcnt vmcnt(40)
	ds_write2_b64 v193, v[28:29], v[30:31] offset0:70 offset1:71
	;; [unrolled: 2-line block ×10, first 2 shown]
	ds_read2_b64 v[176:179], v192 offset1:1
	s_waitcnt lgkmcnt(0)
	v_cmp_neq_f64_e32 vcc, 0, v[176:177]
	v_cmp_neq_f64_e64 s[2:3], 0, v[178:179]
	s_or_b64 s[2:3], vcc, s[2:3]
	s_and_b64 exec, exec, s[2:3]
	s_cbranch_execz .LBB87_305
; %bb.300:
	v_cmp_ngt_f64_e64 s[2:3], |v[176:177]|, |v[178:179]|
                                        ; implicit-def: $vgpr180_vgpr181
	s_and_saveexec_b64 s[10:11], s[2:3]
	s_xor_b64 s[2:3], exec, s[10:11]
                                        ; implicit-def: $vgpr182_vgpr183
	s_cbranch_execz .LBB87_302
; %bb.301:
	v_div_scale_f64 v[180:181], s[10:11], v[178:179], v[178:179], v[176:177]
	v_rcp_f64_e32 v[182:183], v[180:181]
	v_div_scale_f64 v[184:185], vcc, v[176:177], v[178:179], v[176:177]
	v_fma_f64 v[186:187], -v[180:181], v[182:183], 1.0
	v_fmac_f64_e32 v[182:183], v[182:183], v[186:187]
	v_fma_f64 v[186:187], -v[180:181], v[182:183], 1.0
	v_fmac_f64_e32 v[182:183], v[182:183], v[186:187]
	v_mul_f64 v[186:187], v[184:185], v[182:183]
	v_fma_f64 v[180:181], -v[180:181], v[186:187], v[184:185]
	v_div_fmas_f64 v[180:181], v[180:181], v[182:183], v[186:187]
	v_div_fixup_f64 v[180:181], v[180:181], v[178:179], v[176:177]
	v_fmac_f64_e32 v[178:179], v[176:177], v[180:181]
	v_div_scale_f64 v[176:177], s[10:11], v[178:179], v[178:179], 1.0
	v_rcp_f64_e32 v[182:183], v[176:177]
	s_nop 0
	v_fma_f64 v[184:185], -v[176:177], v[182:183], 1.0
	v_fmac_f64_e32 v[182:183], v[182:183], v[184:185]
	v_fma_f64 v[184:185], -v[176:177], v[182:183], 1.0
	v_fmac_f64_e32 v[182:183], v[182:183], v[184:185]
	v_div_scale_f64 v[184:185], vcc, 1.0, v[178:179], 1.0
	v_mul_f64 v[186:187], v[184:185], v[182:183]
	v_fma_f64 v[176:177], -v[176:177], v[186:187], v[184:185]
	s_nop 1
	v_div_fmas_f64 v[176:177], v[176:177], v[182:183], v[186:187]
	v_div_fixup_f64 v[182:183], v[176:177], v[178:179], 1.0
	v_mul_f64 v[180:181], v[180:181], v[182:183]
	v_xor_b32_e32 v183, 0x80000000, v183
                                        ; implicit-def: $vgpr176_vgpr177
.LBB87_302:
	s_andn2_saveexec_b64 s[2:3], s[2:3]
	s_cbranch_execz .LBB87_304
; %bb.303:
	v_div_scale_f64 v[180:181], s[10:11], v[176:177], v[176:177], v[178:179]
	v_rcp_f64_e32 v[182:183], v[180:181]
	v_div_scale_f64 v[184:185], vcc, v[178:179], v[176:177], v[178:179]
	v_fma_f64 v[186:187], -v[180:181], v[182:183], 1.0
	v_fmac_f64_e32 v[182:183], v[182:183], v[186:187]
	v_fma_f64 v[186:187], -v[180:181], v[182:183], 1.0
	v_fmac_f64_e32 v[182:183], v[182:183], v[186:187]
	v_mul_f64 v[186:187], v[184:185], v[182:183]
	v_fma_f64 v[180:181], -v[180:181], v[186:187], v[184:185]
	v_div_fmas_f64 v[180:181], v[180:181], v[182:183], v[186:187]
	v_div_fixup_f64 v[182:183], v[180:181], v[176:177], v[178:179]
	v_fmac_f64_e32 v[176:177], v[178:179], v[182:183]
	v_div_scale_f64 v[178:179], s[10:11], v[176:177], v[176:177], 1.0
	v_rcp_f64_e32 v[180:181], v[178:179]
	s_nop 0
	v_fma_f64 v[184:185], -v[178:179], v[180:181], 1.0
	v_fmac_f64_e32 v[180:181], v[180:181], v[184:185]
	v_fma_f64 v[184:185], -v[178:179], v[180:181], 1.0
	v_fmac_f64_e32 v[180:181], v[180:181], v[184:185]
	v_div_scale_f64 v[184:185], vcc, 1.0, v[176:177], 1.0
	v_mul_f64 v[186:187], v[184:185], v[180:181]
	v_fma_f64 v[178:179], -v[178:179], v[186:187], v[184:185]
	s_nop 1
	v_div_fmas_f64 v[178:179], v[178:179], v[180:181], v[186:187]
	v_div_fixup_f64 v[180:181], v[178:179], v[176:177], 1.0
	v_mul_f64 v[182:183], v[182:183], -v[180:181]
.LBB87_304:
	s_or_b64 exec, exec, s[2:3]
	ds_write2_b64 v192, v[180:181], v[182:183] offset1:1
.LBB87_305:
	s_or_b64 exec, exec, s[4:5]
	s_waitcnt lgkmcnt(0)
	s_barrier
	ds_read2_b64 v[176:179], v192 offset1:1
	v_cmp_lt_u32_e32 vcc, 33, v194
	s_waitcnt lgkmcnt(0)
	scratch_store_dwordx4 off, v[176:179], off offset:688 ; 16-byte Folded Spill
	s_and_saveexec_b64 s[2:3], vcc
	s_cbranch_execz .LBB87_307
; %bb.306:
	scratch_load_dwordx4 v[178:181], off, off offset:688 ; 16-byte Folded Reload
	s_waitcnt vmcnt(0)
	v_mul_f64 v[176:177], v[178:179], v[38:39]
	v_mul_f64 v[38:39], v[180:181], v[38:39]
	v_fmac_f64_e32 v[176:177], v[180:181], v[36:37]
	v_fma_f64 v[36:37], v[178:179], v[36:37], -v[38:39]
	ds_read2_b64 v[178:181], v193 offset0:68 offset1:69
	s_waitcnt lgkmcnt(0)
	v_mul_f64 v[38:39], v[180:181], v[176:177]
	v_fma_f64 v[38:39], v[178:179], v[36:37], -v[38:39]
	v_mul_f64 v[178:179], v[178:179], v[176:177]
	v_fmac_f64_e32 v[178:179], v[180:181], v[36:37]
	v_add_f64 v[34:35], v[34:35], -v[178:179]
	ds_read2_b64 v[178:181], v193 offset0:70 offset1:71
	v_add_f64 v[32:33], v[32:33], -v[38:39]
	s_waitcnt lgkmcnt(0)
	v_mul_f64 v[38:39], v[180:181], v[176:177]
	v_fma_f64 v[38:39], v[178:179], v[36:37], -v[38:39]
	v_mul_f64 v[178:179], v[178:179], v[176:177]
	v_fmac_f64_e32 v[178:179], v[180:181], v[36:37]
	v_add_f64 v[30:31], v[30:31], -v[178:179]
	ds_read2_b64 v[178:181], v193 offset0:72 offset1:73
	v_add_f64 v[28:29], v[28:29], -v[38:39]
	;; [unrolled: 8-line block ×9, first 2 shown]
	s_waitcnt lgkmcnt(0)
	v_mul_f64 v[38:39], v[180:181], v[176:177]
	v_fma_f64 v[38:39], v[178:179], v[36:37], -v[38:39]
	v_mul_f64 v[178:179], v[178:179], v[176:177]
	v_fmac_f64_e32 v[178:179], v[180:181], v[36:37]
	v_add_f64 v[172:173], v[172:173], -v[38:39]
	v_add_f64 v[174:175], v[174:175], -v[178:179]
	v_mov_b64_e32 v[38:39], v[176:177]
.LBB87_307:
	s_or_b64 exec, exec, s[2:3]
	v_cmp_eq_u32_e32 vcc, 34, v194
	s_waitcnt vmcnt(63) expcnt(7) lgkmcnt(15)
	s_barrier
	s_and_saveexec_b64 s[4:5], vcc
	s_cbranch_execz .LBB87_314
; %bb.308:
	s_waitcnt vmcnt(42)
	ds_write2_b64 v192, v[32:33], v[34:35] offset1:1
	s_waitcnt vmcnt(41)
	ds_write2_b64 v193, v[28:29], v[30:31] offset0:70 offset1:71
	s_waitcnt vmcnt(40)
	ds_write2_b64 v193, v[24:25], v[26:27] offset0:72 offset1:73
	;; [unrolled: 2-line block ×9, first 2 shown]
	ds_read2_b64 v[176:179], v192 offset1:1
	s_waitcnt lgkmcnt(0)
	v_cmp_neq_f64_e32 vcc, 0, v[176:177]
	v_cmp_neq_f64_e64 s[2:3], 0, v[178:179]
	s_or_b64 s[2:3], vcc, s[2:3]
	s_and_b64 exec, exec, s[2:3]
	s_cbranch_execz .LBB87_314
; %bb.309:
	v_cmp_ngt_f64_e64 s[2:3], |v[176:177]|, |v[178:179]|
                                        ; implicit-def: $vgpr180_vgpr181
	s_and_saveexec_b64 s[10:11], s[2:3]
	s_xor_b64 s[2:3], exec, s[10:11]
                                        ; implicit-def: $vgpr182_vgpr183
	s_cbranch_execz .LBB87_311
; %bb.310:
	v_div_scale_f64 v[180:181], s[10:11], v[178:179], v[178:179], v[176:177]
	v_rcp_f64_e32 v[182:183], v[180:181]
	v_div_scale_f64 v[184:185], vcc, v[176:177], v[178:179], v[176:177]
	v_fma_f64 v[186:187], -v[180:181], v[182:183], 1.0
	v_fmac_f64_e32 v[182:183], v[182:183], v[186:187]
	v_fma_f64 v[186:187], -v[180:181], v[182:183], 1.0
	v_fmac_f64_e32 v[182:183], v[182:183], v[186:187]
	v_mul_f64 v[186:187], v[184:185], v[182:183]
	v_fma_f64 v[180:181], -v[180:181], v[186:187], v[184:185]
	v_div_fmas_f64 v[180:181], v[180:181], v[182:183], v[186:187]
	v_div_fixup_f64 v[180:181], v[180:181], v[178:179], v[176:177]
	v_fmac_f64_e32 v[178:179], v[176:177], v[180:181]
	v_div_scale_f64 v[176:177], s[10:11], v[178:179], v[178:179], 1.0
	v_rcp_f64_e32 v[182:183], v[176:177]
	s_nop 0
	v_fma_f64 v[184:185], -v[176:177], v[182:183], 1.0
	v_fmac_f64_e32 v[182:183], v[182:183], v[184:185]
	v_fma_f64 v[184:185], -v[176:177], v[182:183], 1.0
	v_fmac_f64_e32 v[182:183], v[182:183], v[184:185]
	v_div_scale_f64 v[184:185], vcc, 1.0, v[178:179], 1.0
	v_mul_f64 v[186:187], v[184:185], v[182:183]
	v_fma_f64 v[176:177], -v[176:177], v[186:187], v[184:185]
	s_nop 1
	v_div_fmas_f64 v[176:177], v[176:177], v[182:183], v[186:187]
	v_div_fixup_f64 v[182:183], v[176:177], v[178:179], 1.0
	v_mul_f64 v[180:181], v[180:181], v[182:183]
	v_xor_b32_e32 v183, 0x80000000, v183
                                        ; implicit-def: $vgpr176_vgpr177
.LBB87_311:
	s_andn2_saveexec_b64 s[2:3], s[2:3]
	s_cbranch_execz .LBB87_313
; %bb.312:
	v_div_scale_f64 v[180:181], s[10:11], v[176:177], v[176:177], v[178:179]
	v_rcp_f64_e32 v[182:183], v[180:181]
	v_div_scale_f64 v[184:185], vcc, v[178:179], v[176:177], v[178:179]
	v_fma_f64 v[186:187], -v[180:181], v[182:183], 1.0
	v_fmac_f64_e32 v[182:183], v[182:183], v[186:187]
	v_fma_f64 v[186:187], -v[180:181], v[182:183], 1.0
	v_fmac_f64_e32 v[182:183], v[182:183], v[186:187]
	v_mul_f64 v[186:187], v[184:185], v[182:183]
	v_fma_f64 v[180:181], -v[180:181], v[186:187], v[184:185]
	v_div_fmas_f64 v[180:181], v[180:181], v[182:183], v[186:187]
	v_div_fixup_f64 v[182:183], v[180:181], v[176:177], v[178:179]
	v_fmac_f64_e32 v[176:177], v[178:179], v[182:183]
	v_div_scale_f64 v[178:179], s[10:11], v[176:177], v[176:177], 1.0
	v_rcp_f64_e32 v[180:181], v[178:179]
	s_nop 0
	v_fma_f64 v[184:185], -v[178:179], v[180:181], 1.0
	v_fmac_f64_e32 v[180:181], v[180:181], v[184:185]
	v_fma_f64 v[184:185], -v[178:179], v[180:181], 1.0
	v_fmac_f64_e32 v[180:181], v[180:181], v[184:185]
	v_div_scale_f64 v[184:185], vcc, 1.0, v[176:177], 1.0
	v_mul_f64 v[186:187], v[184:185], v[180:181]
	v_fma_f64 v[178:179], -v[178:179], v[186:187], v[184:185]
	s_nop 1
	v_div_fmas_f64 v[178:179], v[178:179], v[180:181], v[186:187]
	v_div_fixup_f64 v[180:181], v[178:179], v[176:177], 1.0
	v_mul_f64 v[182:183], v[182:183], -v[180:181]
.LBB87_313:
	s_or_b64 exec, exec, s[2:3]
	ds_write2_b64 v192, v[180:181], v[182:183] offset1:1
.LBB87_314:
	s_or_b64 exec, exec, s[4:5]
	s_waitcnt lgkmcnt(0)
	s_barrier
	ds_read2_b64 v[176:179], v192 offset1:1
	v_cmp_lt_u32_e32 vcc, 34, v194
	s_waitcnt lgkmcnt(0)
	scratch_store_dwordx4 off, v[176:179], off offset:704 ; 16-byte Folded Spill
	s_and_saveexec_b64 s[2:3], vcc
	s_cbranch_execz .LBB87_316
; %bb.315:
	scratch_load_dwordx4 v[178:181], off, off offset:704 ; 16-byte Folded Reload
	s_waitcnt vmcnt(0)
	v_mul_f64 v[176:177], v[178:179], v[34:35]
	v_mul_f64 v[34:35], v[180:181], v[34:35]
	v_fmac_f64_e32 v[176:177], v[180:181], v[32:33]
	v_fma_f64 v[32:33], v[178:179], v[32:33], -v[34:35]
	ds_read2_b64 v[178:181], v193 offset0:70 offset1:71
	s_waitcnt lgkmcnt(0)
	v_mul_f64 v[34:35], v[180:181], v[176:177]
	v_fma_f64 v[34:35], v[178:179], v[32:33], -v[34:35]
	v_mul_f64 v[178:179], v[178:179], v[176:177]
	v_fmac_f64_e32 v[178:179], v[180:181], v[32:33]
	v_add_f64 v[30:31], v[30:31], -v[178:179]
	ds_read2_b64 v[178:181], v193 offset0:72 offset1:73
	v_add_f64 v[28:29], v[28:29], -v[34:35]
	s_waitcnt lgkmcnt(0)
	v_mul_f64 v[34:35], v[180:181], v[176:177]
	v_fma_f64 v[34:35], v[178:179], v[32:33], -v[34:35]
	v_mul_f64 v[178:179], v[178:179], v[176:177]
	v_fmac_f64_e32 v[178:179], v[180:181], v[32:33]
	v_add_f64 v[26:27], v[26:27], -v[178:179]
	ds_read2_b64 v[178:181], v193 offset0:74 offset1:75
	v_add_f64 v[24:25], v[24:25], -v[34:35]
	;; [unrolled: 8-line block ×8, first 2 shown]
	s_waitcnt lgkmcnt(0)
	v_mul_f64 v[34:35], v[180:181], v[176:177]
	v_fma_f64 v[34:35], v[178:179], v[32:33], -v[34:35]
	v_mul_f64 v[178:179], v[178:179], v[176:177]
	v_fmac_f64_e32 v[178:179], v[180:181], v[32:33]
	v_add_f64 v[172:173], v[172:173], -v[34:35]
	v_add_f64 v[174:175], v[174:175], -v[178:179]
	v_mov_b64_e32 v[34:35], v[176:177]
.LBB87_316:
	s_or_b64 exec, exec, s[2:3]
	v_cmp_eq_u32_e32 vcc, 35, v194
	s_waitcnt vmcnt(63) expcnt(7) lgkmcnt(15)
	s_barrier
	s_and_saveexec_b64 s[4:5], vcc
	s_cbranch_execz .LBB87_323
; %bb.317:
	s_waitcnt vmcnt(42)
	ds_write2_b64 v192, v[28:29], v[30:31] offset1:1
	s_waitcnt vmcnt(41)
	ds_write2_b64 v193, v[24:25], v[26:27] offset0:72 offset1:73
	s_waitcnt vmcnt(40)
	ds_write2_b64 v193, v[20:21], v[22:23] offset0:74 offset1:75
	;; [unrolled: 2-line block ×8, first 2 shown]
	ds_read2_b64 v[176:179], v192 offset1:1
	s_waitcnt lgkmcnt(0)
	v_cmp_neq_f64_e32 vcc, 0, v[176:177]
	v_cmp_neq_f64_e64 s[2:3], 0, v[178:179]
	s_or_b64 s[2:3], vcc, s[2:3]
	s_and_b64 exec, exec, s[2:3]
	s_cbranch_execz .LBB87_323
; %bb.318:
	v_cmp_ngt_f64_e64 s[2:3], |v[176:177]|, |v[178:179]|
                                        ; implicit-def: $vgpr180_vgpr181
	s_and_saveexec_b64 s[10:11], s[2:3]
	s_xor_b64 s[2:3], exec, s[10:11]
                                        ; implicit-def: $vgpr182_vgpr183
	s_cbranch_execz .LBB87_320
; %bb.319:
	v_div_scale_f64 v[180:181], s[10:11], v[178:179], v[178:179], v[176:177]
	v_rcp_f64_e32 v[182:183], v[180:181]
	v_div_scale_f64 v[184:185], vcc, v[176:177], v[178:179], v[176:177]
	v_fma_f64 v[186:187], -v[180:181], v[182:183], 1.0
	v_fmac_f64_e32 v[182:183], v[182:183], v[186:187]
	v_fma_f64 v[186:187], -v[180:181], v[182:183], 1.0
	v_fmac_f64_e32 v[182:183], v[182:183], v[186:187]
	v_mul_f64 v[186:187], v[184:185], v[182:183]
	v_fma_f64 v[180:181], -v[180:181], v[186:187], v[184:185]
	v_div_fmas_f64 v[180:181], v[180:181], v[182:183], v[186:187]
	v_div_fixup_f64 v[180:181], v[180:181], v[178:179], v[176:177]
	v_fmac_f64_e32 v[178:179], v[176:177], v[180:181]
	v_div_scale_f64 v[176:177], s[10:11], v[178:179], v[178:179], 1.0
	v_rcp_f64_e32 v[182:183], v[176:177]
	s_nop 0
	v_fma_f64 v[184:185], -v[176:177], v[182:183], 1.0
	v_fmac_f64_e32 v[182:183], v[182:183], v[184:185]
	v_fma_f64 v[184:185], -v[176:177], v[182:183], 1.0
	v_fmac_f64_e32 v[182:183], v[182:183], v[184:185]
	v_div_scale_f64 v[184:185], vcc, 1.0, v[178:179], 1.0
	v_mul_f64 v[186:187], v[184:185], v[182:183]
	v_fma_f64 v[176:177], -v[176:177], v[186:187], v[184:185]
	s_nop 1
	v_div_fmas_f64 v[176:177], v[176:177], v[182:183], v[186:187]
	v_div_fixup_f64 v[182:183], v[176:177], v[178:179], 1.0
	v_mul_f64 v[180:181], v[180:181], v[182:183]
	v_xor_b32_e32 v183, 0x80000000, v183
                                        ; implicit-def: $vgpr176_vgpr177
.LBB87_320:
	s_andn2_saveexec_b64 s[2:3], s[2:3]
	s_cbranch_execz .LBB87_322
; %bb.321:
	v_div_scale_f64 v[180:181], s[10:11], v[176:177], v[176:177], v[178:179]
	v_rcp_f64_e32 v[182:183], v[180:181]
	v_div_scale_f64 v[184:185], vcc, v[178:179], v[176:177], v[178:179]
	v_fma_f64 v[186:187], -v[180:181], v[182:183], 1.0
	v_fmac_f64_e32 v[182:183], v[182:183], v[186:187]
	v_fma_f64 v[186:187], -v[180:181], v[182:183], 1.0
	v_fmac_f64_e32 v[182:183], v[182:183], v[186:187]
	v_mul_f64 v[186:187], v[184:185], v[182:183]
	v_fma_f64 v[180:181], -v[180:181], v[186:187], v[184:185]
	v_div_fmas_f64 v[180:181], v[180:181], v[182:183], v[186:187]
	v_div_fixup_f64 v[182:183], v[180:181], v[176:177], v[178:179]
	v_fmac_f64_e32 v[176:177], v[178:179], v[182:183]
	v_div_scale_f64 v[178:179], s[10:11], v[176:177], v[176:177], 1.0
	v_rcp_f64_e32 v[180:181], v[178:179]
	s_nop 0
	v_fma_f64 v[184:185], -v[178:179], v[180:181], 1.0
	v_fmac_f64_e32 v[180:181], v[180:181], v[184:185]
	v_fma_f64 v[184:185], -v[178:179], v[180:181], 1.0
	v_fmac_f64_e32 v[180:181], v[180:181], v[184:185]
	v_div_scale_f64 v[184:185], vcc, 1.0, v[176:177], 1.0
	v_mul_f64 v[186:187], v[184:185], v[180:181]
	v_fma_f64 v[178:179], -v[178:179], v[186:187], v[184:185]
	s_nop 1
	v_div_fmas_f64 v[178:179], v[178:179], v[180:181], v[186:187]
	v_div_fixup_f64 v[180:181], v[178:179], v[176:177], 1.0
	v_mul_f64 v[182:183], v[182:183], -v[180:181]
.LBB87_322:
	s_or_b64 exec, exec, s[2:3]
	ds_write2_b64 v192, v[180:181], v[182:183] offset1:1
.LBB87_323:
	s_or_b64 exec, exec, s[4:5]
	s_waitcnt lgkmcnt(0)
	s_barrier
	ds_read2_b64 v[176:179], v192 offset1:1
	v_cmp_lt_u32_e32 vcc, 35, v194
	s_waitcnt lgkmcnt(0)
	scratch_store_dwordx4 off, v[176:179], off offset:720 ; 16-byte Folded Spill
	s_and_saveexec_b64 s[2:3], vcc
	s_cbranch_execz .LBB87_325
; %bb.324:
	scratch_load_dwordx4 v[178:181], off, off offset:720 ; 16-byte Folded Reload
	s_waitcnt vmcnt(0)
	v_mul_f64 v[176:177], v[178:179], v[30:31]
	v_mul_f64 v[30:31], v[180:181], v[30:31]
	v_fmac_f64_e32 v[176:177], v[180:181], v[28:29]
	v_fma_f64 v[28:29], v[178:179], v[28:29], -v[30:31]
	ds_read2_b64 v[178:181], v193 offset0:72 offset1:73
	s_waitcnt lgkmcnt(0)
	v_mul_f64 v[30:31], v[180:181], v[176:177]
	v_fma_f64 v[30:31], v[178:179], v[28:29], -v[30:31]
	v_mul_f64 v[178:179], v[178:179], v[176:177]
	v_fmac_f64_e32 v[178:179], v[180:181], v[28:29]
	v_add_f64 v[26:27], v[26:27], -v[178:179]
	ds_read2_b64 v[178:181], v193 offset0:74 offset1:75
	v_add_f64 v[24:25], v[24:25], -v[30:31]
	s_waitcnt lgkmcnt(0)
	v_mul_f64 v[30:31], v[180:181], v[176:177]
	v_fma_f64 v[30:31], v[178:179], v[28:29], -v[30:31]
	v_mul_f64 v[178:179], v[178:179], v[176:177]
	v_fmac_f64_e32 v[178:179], v[180:181], v[28:29]
	v_add_f64 v[22:23], v[22:23], -v[178:179]
	ds_read2_b64 v[178:181], v193 offset0:76 offset1:77
	v_add_f64 v[20:21], v[20:21], -v[30:31]
	;; [unrolled: 8-line block ×7, first 2 shown]
	s_waitcnt lgkmcnt(0)
	v_mul_f64 v[30:31], v[180:181], v[176:177]
	v_fma_f64 v[30:31], v[178:179], v[28:29], -v[30:31]
	v_mul_f64 v[178:179], v[178:179], v[176:177]
	v_fmac_f64_e32 v[178:179], v[180:181], v[28:29]
	v_add_f64 v[172:173], v[172:173], -v[30:31]
	v_add_f64 v[174:175], v[174:175], -v[178:179]
	v_mov_b64_e32 v[30:31], v[176:177]
.LBB87_325:
	s_or_b64 exec, exec, s[2:3]
	v_cmp_eq_u32_e32 vcc, 36, v194
	s_waitcnt vmcnt(63) expcnt(7) lgkmcnt(15)
	s_barrier
	s_and_saveexec_b64 s[4:5], vcc
	s_cbranch_execz .LBB87_332
; %bb.326:
	s_waitcnt vmcnt(42)
	ds_write2_b64 v192, v[24:25], v[26:27] offset1:1
	s_waitcnt vmcnt(41)
	ds_write2_b64 v193, v[20:21], v[22:23] offset0:74 offset1:75
	s_waitcnt vmcnt(40)
	ds_write2_b64 v193, v[16:17], v[18:19] offset0:76 offset1:77
	;; [unrolled: 2-line block ×7, first 2 shown]
	ds_read2_b64 v[176:179], v192 offset1:1
	s_waitcnt lgkmcnt(0)
	v_cmp_neq_f64_e32 vcc, 0, v[176:177]
	v_cmp_neq_f64_e64 s[2:3], 0, v[178:179]
	s_or_b64 s[2:3], vcc, s[2:3]
	s_and_b64 exec, exec, s[2:3]
	s_cbranch_execz .LBB87_332
; %bb.327:
	v_cmp_ngt_f64_e64 s[2:3], |v[176:177]|, |v[178:179]|
                                        ; implicit-def: $vgpr180_vgpr181
	s_and_saveexec_b64 s[10:11], s[2:3]
	s_xor_b64 s[2:3], exec, s[10:11]
                                        ; implicit-def: $vgpr182_vgpr183
	s_cbranch_execz .LBB87_329
; %bb.328:
	v_div_scale_f64 v[180:181], s[10:11], v[178:179], v[178:179], v[176:177]
	v_rcp_f64_e32 v[182:183], v[180:181]
	v_div_scale_f64 v[184:185], vcc, v[176:177], v[178:179], v[176:177]
	v_fma_f64 v[186:187], -v[180:181], v[182:183], 1.0
	v_fmac_f64_e32 v[182:183], v[182:183], v[186:187]
	v_fma_f64 v[186:187], -v[180:181], v[182:183], 1.0
	v_fmac_f64_e32 v[182:183], v[182:183], v[186:187]
	v_mul_f64 v[186:187], v[184:185], v[182:183]
	v_fma_f64 v[180:181], -v[180:181], v[186:187], v[184:185]
	v_div_fmas_f64 v[180:181], v[180:181], v[182:183], v[186:187]
	v_div_fixup_f64 v[180:181], v[180:181], v[178:179], v[176:177]
	v_fmac_f64_e32 v[178:179], v[176:177], v[180:181]
	v_div_scale_f64 v[176:177], s[10:11], v[178:179], v[178:179], 1.0
	v_rcp_f64_e32 v[182:183], v[176:177]
	s_nop 0
	v_fma_f64 v[184:185], -v[176:177], v[182:183], 1.0
	v_fmac_f64_e32 v[182:183], v[182:183], v[184:185]
	v_fma_f64 v[184:185], -v[176:177], v[182:183], 1.0
	v_fmac_f64_e32 v[182:183], v[182:183], v[184:185]
	v_div_scale_f64 v[184:185], vcc, 1.0, v[178:179], 1.0
	v_mul_f64 v[186:187], v[184:185], v[182:183]
	v_fma_f64 v[176:177], -v[176:177], v[186:187], v[184:185]
	s_nop 1
	v_div_fmas_f64 v[176:177], v[176:177], v[182:183], v[186:187]
	v_div_fixup_f64 v[182:183], v[176:177], v[178:179], 1.0
	v_mul_f64 v[180:181], v[180:181], v[182:183]
	v_xor_b32_e32 v183, 0x80000000, v183
                                        ; implicit-def: $vgpr176_vgpr177
.LBB87_329:
	s_andn2_saveexec_b64 s[2:3], s[2:3]
	s_cbranch_execz .LBB87_331
; %bb.330:
	v_div_scale_f64 v[180:181], s[10:11], v[176:177], v[176:177], v[178:179]
	v_rcp_f64_e32 v[182:183], v[180:181]
	v_div_scale_f64 v[184:185], vcc, v[178:179], v[176:177], v[178:179]
	v_fma_f64 v[186:187], -v[180:181], v[182:183], 1.0
	v_fmac_f64_e32 v[182:183], v[182:183], v[186:187]
	v_fma_f64 v[186:187], -v[180:181], v[182:183], 1.0
	v_fmac_f64_e32 v[182:183], v[182:183], v[186:187]
	v_mul_f64 v[186:187], v[184:185], v[182:183]
	v_fma_f64 v[180:181], -v[180:181], v[186:187], v[184:185]
	v_div_fmas_f64 v[180:181], v[180:181], v[182:183], v[186:187]
	v_div_fixup_f64 v[182:183], v[180:181], v[176:177], v[178:179]
	v_fmac_f64_e32 v[176:177], v[178:179], v[182:183]
	v_div_scale_f64 v[178:179], s[10:11], v[176:177], v[176:177], 1.0
	v_rcp_f64_e32 v[180:181], v[178:179]
	s_nop 0
	v_fma_f64 v[184:185], -v[178:179], v[180:181], 1.0
	v_fmac_f64_e32 v[180:181], v[180:181], v[184:185]
	v_fma_f64 v[184:185], -v[178:179], v[180:181], 1.0
	v_fmac_f64_e32 v[180:181], v[180:181], v[184:185]
	v_div_scale_f64 v[184:185], vcc, 1.0, v[176:177], 1.0
	v_mul_f64 v[186:187], v[184:185], v[180:181]
	v_fma_f64 v[178:179], -v[178:179], v[186:187], v[184:185]
	s_nop 1
	v_div_fmas_f64 v[178:179], v[178:179], v[180:181], v[186:187]
	v_div_fixup_f64 v[180:181], v[178:179], v[176:177], 1.0
	v_mul_f64 v[182:183], v[182:183], -v[180:181]
.LBB87_331:
	s_or_b64 exec, exec, s[2:3]
	ds_write2_b64 v192, v[180:181], v[182:183] offset1:1
.LBB87_332:
	s_or_b64 exec, exec, s[4:5]
	s_waitcnt lgkmcnt(0)
	s_barrier
	ds_read2_b64 v[176:179], v192 offset1:1
	v_cmp_lt_u32_e32 vcc, 36, v194
	s_waitcnt lgkmcnt(0)
	scratch_store_dwordx4 off, v[176:179], off offset:736 ; 16-byte Folded Spill
	s_and_saveexec_b64 s[2:3], vcc
	s_cbranch_execz .LBB87_334
; %bb.333:
	scratch_load_dwordx4 v[178:181], off, off offset:736 ; 16-byte Folded Reload
	s_waitcnt vmcnt(0)
	v_mul_f64 v[176:177], v[178:179], v[26:27]
	v_mul_f64 v[26:27], v[180:181], v[26:27]
	v_fmac_f64_e32 v[176:177], v[180:181], v[24:25]
	v_fma_f64 v[24:25], v[178:179], v[24:25], -v[26:27]
	ds_read2_b64 v[178:181], v193 offset0:74 offset1:75
	s_waitcnt lgkmcnt(0)
	v_mul_f64 v[26:27], v[180:181], v[176:177]
	v_fma_f64 v[26:27], v[178:179], v[24:25], -v[26:27]
	v_mul_f64 v[178:179], v[178:179], v[176:177]
	v_fmac_f64_e32 v[178:179], v[180:181], v[24:25]
	v_add_f64 v[22:23], v[22:23], -v[178:179]
	ds_read2_b64 v[178:181], v193 offset0:76 offset1:77
	v_add_f64 v[20:21], v[20:21], -v[26:27]
	s_waitcnt lgkmcnt(0)
	v_mul_f64 v[26:27], v[180:181], v[176:177]
	v_fma_f64 v[26:27], v[178:179], v[24:25], -v[26:27]
	v_mul_f64 v[178:179], v[178:179], v[176:177]
	v_fmac_f64_e32 v[178:179], v[180:181], v[24:25]
	v_add_f64 v[18:19], v[18:19], -v[178:179]
	ds_read2_b64 v[178:181], v193 offset0:78 offset1:79
	v_add_f64 v[16:17], v[16:17], -v[26:27]
	;; [unrolled: 8-line block ×6, first 2 shown]
	s_waitcnt lgkmcnt(0)
	v_mul_f64 v[26:27], v[180:181], v[176:177]
	v_fma_f64 v[26:27], v[178:179], v[24:25], -v[26:27]
	v_mul_f64 v[178:179], v[178:179], v[176:177]
	v_fmac_f64_e32 v[178:179], v[180:181], v[24:25]
	v_add_f64 v[172:173], v[172:173], -v[26:27]
	v_add_f64 v[174:175], v[174:175], -v[178:179]
	v_mov_b64_e32 v[26:27], v[176:177]
.LBB87_334:
	s_or_b64 exec, exec, s[2:3]
	v_cmp_eq_u32_e32 vcc, 37, v194
	s_waitcnt vmcnt(63) expcnt(7) lgkmcnt(15)
	s_barrier
	s_and_saveexec_b64 s[4:5], vcc
	s_cbranch_execz .LBB87_341
; %bb.335:
	s_waitcnt vmcnt(42)
	ds_write2_b64 v192, v[20:21], v[22:23] offset1:1
	s_waitcnt vmcnt(41)
	ds_write2_b64 v193, v[16:17], v[18:19] offset0:76 offset1:77
	s_waitcnt vmcnt(40)
	ds_write2_b64 v193, v[12:13], v[14:15] offset0:78 offset1:79
	;; [unrolled: 2-line block ×6, first 2 shown]
	ds_read2_b64 v[176:179], v192 offset1:1
	s_waitcnt lgkmcnt(0)
	v_cmp_neq_f64_e32 vcc, 0, v[176:177]
	v_cmp_neq_f64_e64 s[2:3], 0, v[178:179]
	s_or_b64 s[2:3], vcc, s[2:3]
	s_and_b64 exec, exec, s[2:3]
	s_cbranch_execz .LBB87_341
; %bb.336:
	v_cmp_ngt_f64_e64 s[2:3], |v[176:177]|, |v[178:179]|
                                        ; implicit-def: $vgpr180_vgpr181
	s_and_saveexec_b64 s[10:11], s[2:3]
	s_xor_b64 s[2:3], exec, s[10:11]
                                        ; implicit-def: $vgpr182_vgpr183
	s_cbranch_execz .LBB87_338
; %bb.337:
	v_div_scale_f64 v[180:181], s[10:11], v[178:179], v[178:179], v[176:177]
	v_rcp_f64_e32 v[182:183], v[180:181]
	v_div_scale_f64 v[184:185], vcc, v[176:177], v[178:179], v[176:177]
	v_fma_f64 v[186:187], -v[180:181], v[182:183], 1.0
	v_fmac_f64_e32 v[182:183], v[182:183], v[186:187]
	v_fma_f64 v[186:187], -v[180:181], v[182:183], 1.0
	v_fmac_f64_e32 v[182:183], v[182:183], v[186:187]
	v_mul_f64 v[186:187], v[184:185], v[182:183]
	v_fma_f64 v[180:181], -v[180:181], v[186:187], v[184:185]
	v_div_fmas_f64 v[180:181], v[180:181], v[182:183], v[186:187]
	v_div_fixup_f64 v[180:181], v[180:181], v[178:179], v[176:177]
	v_fmac_f64_e32 v[178:179], v[176:177], v[180:181]
	v_div_scale_f64 v[176:177], s[10:11], v[178:179], v[178:179], 1.0
	v_rcp_f64_e32 v[182:183], v[176:177]
	s_nop 0
	v_fma_f64 v[184:185], -v[176:177], v[182:183], 1.0
	v_fmac_f64_e32 v[182:183], v[182:183], v[184:185]
	v_fma_f64 v[184:185], -v[176:177], v[182:183], 1.0
	v_fmac_f64_e32 v[182:183], v[182:183], v[184:185]
	v_div_scale_f64 v[184:185], vcc, 1.0, v[178:179], 1.0
	v_mul_f64 v[186:187], v[184:185], v[182:183]
	v_fma_f64 v[176:177], -v[176:177], v[186:187], v[184:185]
	s_nop 1
	v_div_fmas_f64 v[176:177], v[176:177], v[182:183], v[186:187]
	v_div_fixup_f64 v[182:183], v[176:177], v[178:179], 1.0
	v_mul_f64 v[180:181], v[180:181], v[182:183]
	v_xor_b32_e32 v183, 0x80000000, v183
                                        ; implicit-def: $vgpr176_vgpr177
.LBB87_338:
	s_andn2_saveexec_b64 s[2:3], s[2:3]
	s_cbranch_execz .LBB87_340
; %bb.339:
	v_div_scale_f64 v[180:181], s[10:11], v[176:177], v[176:177], v[178:179]
	v_rcp_f64_e32 v[182:183], v[180:181]
	v_div_scale_f64 v[184:185], vcc, v[178:179], v[176:177], v[178:179]
	v_fma_f64 v[186:187], -v[180:181], v[182:183], 1.0
	v_fmac_f64_e32 v[182:183], v[182:183], v[186:187]
	v_fma_f64 v[186:187], -v[180:181], v[182:183], 1.0
	v_fmac_f64_e32 v[182:183], v[182:183], v[186:187]
	v_mul_f64 v[186:187], v[184:185], v[182:183]
	v_fma_f64 v[180:181], -v[180:181], v[186:187], v[184:185]
	v_div_fmas_f64 v[180:181], v[180:181], v[182:183], v[186:187]
	v_div_fixup_f64 v[182:183], v[180:181], v[176:177], v[178:179]
	v_fmac_f64_e32 v[176:177], v[178:179], v[182:183]
	v_div_scale_f64 v[178:179], s[10:11], v[176:177], v[176:177], 1.0
	v_rcp_f64_e32 v[180:181], v[178:179]
	s_nop 0
	v_fma_f64 v[184:185], -v[178:179], v[180:181], 1.0
	v_fmac_f64_e32 v[180:181], v[180:181], v[184:185]
	v_fma_f64 v[184:185], -v[178:179], v[180:181], 1.0
	v_fmac_f64_e32 v[180:181], v[180:181], v[184:185]
	v_div_scale_f64 v[184:185], vcc, 1.0, v[176:177], 1.0
	v_mul_f64 v[186:187], v[184:185], v[180:181]
	v_fma_f64 v[178:179], -v[178:179], v[186:187], v[184:185]
	s_nop 1
	v_div_fmas_f64 v[178:179], v[178:179], v[180:181], v[186:187]
	v_div_fixup_f64 v[180:181], v[178:179], v[176:177], 1.0
	v_mul_f64 v[182:183], v[182:183], -v[180:181]
.LBB87_340:
	s_or_b64 exec, exec, s[2:3]
	ds_write2_b64 v192, v[180:181], v[182:183] offset1:1
.LBB87_341:
	s_or_b64 exec, exec, s[4:5]
	s_waitcnt lgkmcnt(0)
	s_barrier
	ds_read2_b64 v[176:179], v192 offset1:1
	v_cmp_lt_u32_e32 vcc, 37, v194
	s_waitcnt lgkmcnt(0)
	scratch_store_dwordx4 off, v[176:179], off offset:752 ; 16-byte Folded Spill
	s_and_saveexec_b64 s[2:3], vcc
	s_cbranch_execz .LBB87_343
; %bb.342:
	scratch_load_dwordx4 v[176:179], off, off offset:752 ; 16-byte Folded Reload
	s_waitcnt vmcnt(0)
	v_mul_f64 v[180:181], v[176:177], v[22:23]
	v_mul_f64 v[22:23], v[178:179], v[22:23]
	v_fmac_f64_e32 v[180:181], v[178:179], v[20:21]
	v_fma_f64 v[20:21], v[176:177], v[20:21], -v[22:23]
	ds_read2_b64 v[176:179], v193 offset0:76 offset1:77
	s_waitcnt lgkmcnt(0)
	v_mul_f64 v[22:23], v[178:179], v[180:181]
	v_fma_f64 v[22:23], v[176:177], v[20:21], -v[22:23]
	v_mul_f64 v[176:177], v[176:177], v[180:181]
	v_fmac_f64_e32 v[176:177], v[178:179], v[20:21]
	v_add_f64 v[18:19], v[18:19], -v[176:177]
	ds_read2_b64 v[176:179], v193 offset0:78 offset1:79
	v_add_f64 v[16:17], v[16:17], -v[22:23]
	s_waitcnt lgkmcnt(0)
	v_mul_f64 v[22:23], v[178:179], v[180:181]
	v_fma_f64 v[22:23], v[176:177], v[20:21], -v[22:23]
	v_mul_f64 v[176:177], v[176:177], v[180:181]
	v_fmac_f64_e32 v[176:177], v[178:179], v[20:21]
	v_add_f64 v[14:15], v[14:15], -v[176:177]
	ds_read2_b64 v[176:179], v193 offset0:80 offset1:81
	v_add_f64 v[12:13], v[12:13], -v[22:23]
	;; [unrolled: 8-line block ×5, first 2 shown]
	s_waitcnt lgkmcnt(0)
	v_mul_f64 v[22:23], v[178:179], v[180:181]
	v_fma_f64 v[22:23], v[176:177], v[20:21], -v[22:23]
	v_mul_f64 v[176:177], v[176:177], v[180:181]
	v_fmac_f64_e32 v[176:177], v[178:179], v[20:21]
	v_add_f64 v[172:173], v[172:173], -v[22:23]
	v_add_f64 v[174:175], v[174:175], -v[176:177]
	v_mov_b64_e32 v[22:23], v[180:181]
.LBB87_343:
	s_or_b64 exec, exec, s[2:3]
	v_cmp_eq_u32_e32 vcc, 38, v194
	s_waitcnt vmcnt(63) expcnt(7) lgkmcnt(15)
	s_barrier
	s_and_saveexec_b64 s[4:5], vcc
	s_cbranch_execz .LBB87_350
; %bb.344:
	s_waitcnt vmcnt(42)
	ds_write2_b64 v192, v[16:17], v[18:19] offset1:1
	s_waitcnt vmcnt(41)
	ds_write2_b64 v193, v[12:13], v[14:15] offset0:78 offset1:79
	s_waitcnt vmcnt(40)
	ds_write2_b64 v193, v[8:9], v[10:11] offset0:80 offset1:81
	;; [unrolled: 2-line block ×5, first 2 shown]
	ds_read2_b64 v[176:179], v192 offset1:1
	s_waitcnt lgkmcnt(0)
	v_cmp_neq_f64_e32 vcc, 0, v[176:177]
	v_cmp_neq_f64_e64 s[2:3], 0, v[178:179]
	s_or_b64 s[2:3], vcc, s[2:3]
	s_and_b64 exec, exec, s[2:3]
	s_cbranch_execz .LBB87_350
; %bb.345:
	v_cmp_ngt_f64_e64 s[2:3], |v[176:177]|, |v[178:179]|
                                        ; implicit-def: $vgpr180_vgpr181
	s_and_saveexec_b64 s[10:11], s[2:3]
	s_xor_b64 s[2:3], exec, s[10:11]
                                        ; implicit-def: $vgpr182_vgpr183
	s_cbranch_execz .LBB87_347
; %bb.346:
	v_div_scale_f64 v[180:181], s[10:11], v[178:179], v[178:179], v[176:177]
	v_rcp_f64_e32 v[182:183], v[180:181]
	v_div_scale_f64 v[184:185], vcc, v[176:177], v[178:179], v[176:177]
	v_fma_f64 v[186:187], -v[180:181], v[182:183], 1.0
	v_fmac_f64_e32 v[182:183], v[182:183], v[186:187]
	v_fma_f64 v[186:187], -v[180:181], v[182:183], 1.0
	v_fmac_f64_e32 v[182:183], v[182:183], v[186:187]
	v_mul_f64 v[186:187], v[184:185], v[182:183]
	v_fma_f64 v[180:181], -v[180:181], v[186:187], v[184:185]
	v_div_fmas_f64 v[180:181], v[180:181], v[182:183], v[186:187]
	v_div_fixup_f64 v[180:181], v[180:181], v[178:179], v[176:177]
	v_fmac_f64_e32 v[178:179], v[176:177], v[180:181]
	v_div_scale_f64 v[176:177], s[10:11], v[178:179], v[178:179], 1.0
	v_rcp_f64_e32 v[182:183], v[176:177]
	s_nop 0
	v_fma_f64 v[184:185], -v[176:177], v[182:183], 1.0
	v_fmac_f64_e32 v[182:183], v[182:183], v[184:185]
	v_fma_f64 v[184:185], -v[176:177], v[182:183], 1.0
	v_fmac_f64_e32 v[182:183], v[182:183], v[184:185]
	v_div_scale_f64 v[184:185], vcc, 1.0, v[178:179], 1.0
	v_mul_f64 v[186:187], v[184:185], v[182:183]
	v_fma_f64 v[176:177], -v[176:177], v[186:187], v[184:185]
	s_nop 1
	v_div_fmas_f64 v[176:177], v[176:177], v[182:183], v[186:187]
	v_div_fixup_f64 v[182:183], v[176:177], v[178:179], 1.0
	v_mul_f64 v[180:181], v[180:181], v[182:183]
	v_xor_b32_e32 v183, 0x80000000, v183
                                        ; implicit-def: $vgpr176_vgpr177
.LBB87_347:
	s_andn2_saveexec_b64 s[2:3], s[2:3]
	s_cbranch_execz .LBB87_349
; %bb.348:
	v_div_scale_f64 v[180:181], s[10:11], v[176:177], v[176:177], v[178:179]
	v_rcp_f64_e32 v[182:183], v[180:181]
	v_div_scale_f64 v[184:185], vcc, v[178:179], v[176:177], v[178:179]
	v_fma_f64 v[186:187], -v[180:181], v[182:183], 1.0
	v_fmac_f64_e32 v[182:183], v[182:183], v[186:187]
	v_fma_f64 v[186:187], -v[180:181], v[182:183], 1.0
	v_fmac_f64_e32 v[182:183], v[182:183], v[186:187]
	v_mul_f64 v[186:187], v[184:185], v[182:183]
	v_fma_f64 v[180:181], -v[180:181], v[186:187], v[184:185]
	v_div_fmas_f64 v[180:181], v[180:181], v[182:183], v[186:187]
	v_div_fixup_f64 v[182:183], v[180:181], v[176:177], v[178:179]
	v_fmac_f64_e32 v[176:177], v[178:179], v[182:183]
	v_div_scale_f64 v[178:179], s[10:11], v[176:177], v[176:177], 1.0
	v_rcp_f64_e32 v[180:181], v[178:179]
	s_nop 0
	v_fma_f64 v[184:185], -v[178:179], v[180:181], 1.0
	v_fmac_f64_e32 v[180:181], v[180:181], v[184:185]
	v_fma_f64 v[184:185], -v[178:179], v[180:181], 1.0
	v_fmac_f64_e32 v[180:181], v[180:181], v[184:185]
	v_div_scale_f64 v[184:185], vcc, 1.0, v[176:177], 1.0
	v_mul_f64 v[186:187], v[184:185], v[180:181]
	v_fma_f64 v[178:179], -v[178:179], v[186:187], v[184:185]
	s_nop 1
	v_div_fmas_f64 v[178:179], v[178:179], v[180:181], v[186:187]
	v_div_fixup_f64 v[180:181], v[178:179], v[176:177], 1.0
	v_mul_f64 v[182:183], v[182:183], -v[180:181]
.LBB87_349:
	s_or_b64 exec, exec, s[2:3]
	ds_write2_b64 v192, v[180:181], v[182:183] offset1:1
.LBB87_350:
	s_or_b64 exec, exec, s[4:5]
	s_waitcnt lgkmcnt(0)
	s_barrier
	ds_read2_b64 v[176:179], v192 offset1:1
	v_cmp_lt_u32_e32 vcc, 38, v194
	s_waitcnt lgkmcnt(0)
	scratch_store_dwordx4 off, v[176:179], off offset:768 ; 16-byte Folded Spill
	s_and_saveexec_b64 s[2:3], vcc
	s_cbranch_execz .LBB87_352
; %bb.351:
	scratch_load_dwordx4 v[176:179], off, off offset:768 ; 16-byte Folded Reload
	s_waitcnt vmcnt(0)
	v_mul_f64 v[180:181], v[176:177], v[18:19]
	v_mul_f64 v[18:19], v[178:179], v[18:19]
	v_fmac_f64_e32 v[180:181], v[178:179], v[16:17]
	v_fma_f64 v[16:17], v[176:177], v[16:17], -v[18:19]
	ds_read2_b64 v[176:179], v193 offset0:78 offset1:79
	s_waitcnt lgkmcnt(0)
	v_mul_f64 v[18:19], v[178:179], v[180:181]
	v_fma_f64 v[18:19], v[176:177], v[16:17], -v[18:19]
	v_mul_f64 v[176:177], v[176:177], v[180:181]
	v_fmac_f64_e32 v[176:177], v[178:179], v[16:17]
	v_add_f64 v[14:15], v[14:15], -v[176:177]
	ds_read2_b64 v[176:179], v193 offset0:80 offset1:81
	v_add_f64 v[12:13], v[12:13], -v[18:19]
	s_waitcnt lgkmcnt(0)
	v_mul_f64 v[18:19], v[178:179], v[180:181]
	v_fma_f64 v[18:19], v[176:177], v[16:17], -v[18:19]
	v_mul_f64 v[176:177], v[176:177], v[180:181]
	v_fmac_f64_e32 v[176:177], v[178:179], v[16:17]
	v_add_f64 v[10:11], v[10:11], -v[176:177]
	ds_read2_b64 v[176:179], v193 offset0:82 offset1:83
	v_add_f64 v[8:9], v[8:9], -v[18:19]
	;; [unrolled: 8-line block ×4, first 2 shown]
	s_waitcnt lgkmcnt(0)
	v_mul_f64 v[18:19], v[178:179], v[180:181]
	v_fma_f64 v[18:19], v[176:177], v[16:17], -v[18:19]
	v_mul_f64 v[176:177], v[176:177], v[180:181]
	v_fmac_f64_e32 v[176:177], v[178:179], v[16:17]
	v_add_f64 v[172:173], v[172:173], -v[18:19]
	v_add_f64 v[174:175], v[174:175], -v[176:177]
	v_mov_b64_e32 v[18:19], v[180:181]
.LBB87_352:
	s_or_b64 exec, exec, s[2:3]
	v_cmp_eq_u32_e32 vcc, 39, v194
	s_waitcnt vmcnt(63) expcnt(7) lgkmcnt(15)
	s_barrier
	s_and_saveexec_b64 s[4:5], vcc
	s_cbranch_execz .LBB87_359
; %bb.353:
	s_waitcnt vmcnt(42)
	ds_write2_b64 v192, v[12:13], v[14:15] offset1:1
	s_waitcnt vmcnt(41)
	ds_write2_b64 v193, v[8:9], v[10:11] offset0:80 offset1:81
	s_waitcnt vmcnt(40)
	ds_write2_b64 v193, v[4:5], v[6:7] offset0:82 offset1:83
	;; [unrolled: 2-line block ×4, first 2 shown]
	ds_read2_b64 v[176:179], v192 offset1:1
	s_waitcnt lgkmcnt(0)
	v_cmp_neq_f64_e32 vcc, 0, v[176:177]
	v_cmp_neq_f64_e64 s[2:3], 0, v[178:179]
	s_or_b64 s[2:3], vcc, s[2:3]
	s_and_b64 exec, exec, s[2:3]
	s_cbranch_execz .LBB87_359
; %bb.354:
	v_cmp_ngt_f64_e64 s[2:3], |v[176:177]|, |v[178:179]|
                                        ; implicit-def: $vgpr180_vgpr181
	s_and_saveexec_b64 s[10:11], s[2:3]
	s_xor_b64 s[2:3], exec, s[10:11]
                                        ; implicit-def: $vgpr182_vgpr183
	s_cbranch_execz .LBB87_356
; %bb.355:
	v_div_scale_f64 v[180:181], s[10:11], v[178:179], v[178:179], v[176:177]
	v_rcp_f64_e32 v[182:183], v[180:181]
	v_div_scale_f64 v[184:185], vcc, v[176:177], v[178:179], v[176:177]
	v_fma_f64 v[186:187], -v[180:181], v[182:183], 1.0
	v_fmac_f64_e32 v[182:183], v[182:183], v[186:187]
	v_fma_f64 v[186:187], -v[180:181], v[182:183], 1.0
	v_fmac_f64_e32 v[182:183], v[182:183], v[186:187]
	v_mul_f64 v[186:187], v[184:185], v[182:183]
	v_fma_f64 v[180:181], -v[180:181], v[186:187], v[184:185]
	v_div_fmas_f64 v[180:181], v[180:181], v[182:183], v[186:187]
	v_div_fixup_f64 v[180:181], v[180:181], v[178:179], v[176:177]
	v_fmac_f64_e32 v[178:179], v[176:177], v[180:181]
	v_div_scale_f64 v[176:177], s[10:11], v[178:179], v[178:179], 1.0
	v_rcp_f64_e32 v[182:183], v[176:177]
	s_nop 0
	v_fma_f64 v[184:185], -v[176:177], v[182:183], 1.0
	v_fmac_f64_e32 v[182:183], v[182:183], v[184:185]
	v_fma_f64 v[184:185], -v[176:177], v[182:183], 1.0
	v_fmac_f64_e32 v[182:183], v[182:183], v[184:185]
	v_div_scale_f64 v[184:185], vcc, 1.0, v[178:179], 1.0
	v_mul_f64 v[186:187], v[184:185], v[182:183]
	v_fma_f64 v[176:177], -v[176:177], v[186:187], v[184:185]
	s_nop 1
	v_div_fmas_f64 v[176:177], v[176:177], v[182:183], v[186:187]
	v_div_fixup_f64 v[182:183], v[176:177], v[178:179], 1.0
	v_mul_f64 v[180:181], v[180:181], v[182:183]
	v_xor_b32_e32 v183, 0x80000000, v183
                                        ; implicit-def: $vgpr176_vgpr177
.LBB87_356:
	s_andn2_saveexec_b64 s[2:3], s[2:3]
	s_cbranch_execz .LBB87_358
; %bb.357:
	v_div_scale_f64 v[180:181], s[10:11], v[176:177], v[176:177], v[178:179]
	v_rcp_f64_e32 v[182:183], v[180:181]
	v_div_scale_f64 v[184:185], vcc, v[178:179], v[176:177], v[178:179]
	v_fma_f64 v[186:187], -v[180:181], v[182:183], 1.0
	v_fmac_f64_e32 v[182:183], v[182:183], v[186:187]
	v_fma_f64 v[186:187], -v[180:181], v[182:183], 1.0
	v_fmac_f64_e32 v[182:183], v[182:183], v[186:187]
	v_mul_f64 v[186:187], v[184:185], v[182:183]
	v_fma_f64 v[180:181], -v[180:181], v[186:187], v[184:185]
	v_div_fmas_f64 v[180:181], v[180:181], v[182:183], v[186:187]
	v_div_fixup_f64 v[182:183], v[180:181], v[176:177], v[178:179]
	v_fmac_f64_e32 v[176:177], v[178:179], v[182:183]
	v_div_scale_f64 v[178:179], s[10:11], v[176:177], v[176:177], 1.0
	v_rcp_f64_e32 v[180:181], v[178:179]
	s_nop 0
	v_fma_f64 v[184:185], -v[178:179], v[180:181], 1.0
	v_fmac_f64_e32 v[180:181], v[180:181], v[184:185]
	v_fma_f64 v[184:185], -v[178:179], v[180:181], 1.0
	v_fmac_f64_e32 v[180:181], v[180:181], v[184:185]
	v_div_scale_f64 v[184:185], vcc, 1.0, v[176:177], 1.0
	v_mul_f64 v[186:187], v[184:185], v[180:181]
	v_fma_f64 v[178:179], -v[178:179], v[186:187], v[184:185]
	s_nop 1
	v_div_fmas_f64 v[178:179], v[178:179], v[180:181], v[186:187]
	v_div_fixup_f64 v[180:181], v[178:179], v[176:177], 1.0
	v_mul_f64 v[182:183], v[182:183], -v[180:181]
.LBB87_358:
	s_or_b64 exec, exec, s[2:3]
	ds_write2_b64 v192, v[180:181], v[182:183] offset1:1
.LBB87_359:
	s_or_b64 exec, exec, s[4:5]
	s_waitcnt lgkmcnt(0)
	s_barrier
	ds_read2_b64 v[252:255], v192 offset1:1
	v_cmp_lt_u32_e32 vcc, 39, v194
	s_and_saveexec_b64 s[2:3], vcc
	s_cbranch_execz .LBB87_361
; %bb.360:
	ds_read2_b64 v[176:179], v193 offset0:80 offset1:81
	s_waitcnt vmcnt(42) lgkmcnt(1)
	v_mul_f64 v[180:181], v[252:253], v[14:15]
	v_fmac_f64_e32 v[180:181], v[254:255], v[12:13]
	v_mul_f64 v[14:15], v[254:255], v[14:15]
	v_fma_f64 v[12:13], v[252:253], v[12:13], -v[14:15]
	s_waitcnt lgkmcnt(0)
	v_mul_f64 v[14:15], v[178:179], v[180:181]
	v_fma_f64 v[14:15], v[176:177], v[12:13], -v[14:15]
	v_mul_f64 v[176:177], v[176:177], v[180:181]
	v_fmac_f64_e32 v[176:177], v[178:179], v[12:13]
	s_waitcnt vmcnt(41)
	v_add_f64 v[10:11], v[10:11], -v[176:177]
	ds_read2_b64 v[176:179], v193 offset0:82 offset1:83
	v_add_f64 v[8:9], v[8:9], -v[14:15]
	s_waitcnt lgkmcnt(0)
	v_mul_f64 v[14:15], v[178:179], v[180:181]
	v_fma_f64 v[14:15], v[176:177], v[12:13], -v[14:15]
	v_mul_f64 v[176:177], v[176:177], v[180:181]
	v_fmac_f64_e32 v[176:177], v[178:179], v[12:13]
	s_waitcnt vmcnt(40)
	v_add_f64 v[6:7], v[6:7], -v[176:177]
	ds_read2_b64 v[176:179], v193 offset0:84 offset1:85
	v_add_f64 v[4:5], v[4:5], -v[14:15]
	;; [unrolled: 9-line block ×3, first 2 shown]
	s_waitcnt lgkmcnt(0)
	v_mul_f64 v[14:15], v[178:179], v[180:181]
	v_fma_f64 v[14:15], v[176:177], v[12:13], -v[14:15]
	v_mul_f64 v[176:177], v[176:177], v[180:181]
	v_fmac_f64_e32 v[176:177], v[178:179], v[12:13]
	s_waitcnt vmcnt(38)
	v_add_f64 v[172:173], v[172:173], -v[14:15]
	v_add_f64 v[174:175], v[174:175], -v[176:177]
	v_mov_b64_e32 v[14:15], v[180:181]
.LBB87_361:
	s_or_b64 exec, exec, s[2:3]
	v_cmp_eq_u32_e32 vcc, 40, v194
	s_waitcnt lgkmcnt(0)
	s_barrier
	s_and_saveexec_b64 s[4:5], vcc
	s_cbranch_execz .LBB87_368
; %bb.362:
	s_waitcnt vmcnt(41)
	ds_write2_b64 v192, v[8:9], v[10:11] offset1:1
	s_waitcnt vmcnt(40)
	ds_write2_b64 v193, v[4:5], v[6:7] offset0:82 offset1:83
	s_waitcnt vmcnt(39)
	ds_write2_b64 v193, v[0:1], v[2:3] offset0:84 offset1:85
	;; [unrolled: 2-line block ×3, first 2 shown]
	ds_read2_b64 v[176:179], v192 offset1:1
	s_waitcnt lgkmcnt(0)
	v_cmp_neq_f64_e32 vcc, 0, v[176:177]
	v_cmp_neq_f64_e64 s[2:3], 0, v[178:179]
	s_or_b64 s[2:3], vcc, s[2:3]
	s_and_b64 exec, exec, s[2:3]
	s_cbranch_execz .LBB87_368
; %bb.363:
	v_cmp_ngt_f64_e64 s[2:3], |v[176:177]|, |v[178:179]|
                                        ; implicit-def: $vgpr180_vgpr181
	s_and_saveexec_b64 s[10:11], s[2:3]
	s_xor_b64 s[2:3], exec, s[10:11]
                                        ; implicit-def: $vgpr182_vgpr183
	s_cbranch_execz .LBB87_365
; %bb.364:
	v_div_scale_f64 v[180:181], s[10:11], v[178:179], v[178:179], v[176:177]
	v_rcp_f64_e32 v[182:183], v[180:181]
	v_div_scale_f64 v[184:185], vcc, v[176:177], v[178:179], v[176:177]
	v_fma_f64 v[186:187], -v[180:181], v[182:183], 1.0
	v_fmac_f64_e32 v[182:183], v[182:183], v[186:187]
	v_fma_f64 v[186:187], -v[180:181], v[182:183], 1.0
	v_fmac_f64_e32 v[182:183], v[182:183], v[186:187]
	v_mul_f64 v[186:187], v[184:185], v[182:183]
	v_fma_f64 v[180:181], -v[180:181], v[186:187], v[184:185]
	v_div_fmas_f64 v[180:181], v[180:181], v[182:183], v[186:187]
	v_div_fixup_f64 v[180:181], v[180:181], v[178:179], v[176:177]
	v_fmac_f64_e32 v[178:179], v[176:177], v[180:181]
	v_div_scale_f64 v[176:177], s[10:11], v[178:179], v[178:179], 1.0
	v_rcp_f64_e32 v[182:183], v[176:177]
	s_nop 0
	v_fma_f64 v[184:185], -v[176:177], v[182:183], 1.0
	v_fmac_f64_e32 v[182:183], v[182:183], v[184:185]
	v_fma_f64 v[184:185], -v[176:177], v[182:183], 1.0
	v_fmac_f64_e32 v[182:183], v[182:183], v[184:185]
	v_div_scale_f64 v[184:185], vcc, 1.0, v[178:179], 1.0
	v_mul_f64 v[186:187], v[184:185], v[182:183]
	v_fma_f64 v[176:177], -v[176:177], v[186:187], v[184:185]
	s_nop 1
	v_div_fmas_f64 v[176:177], v[176:177], v[182:183], v[186:187]
	v_div_fixup_f64 v[182:183], v[176:177], v[178:179], 1.0
	v_mul_f64 v[180:181], v[180:181], v[182:183]
	v_xor_b32_e32 v183, 0x80000000, v183
                                        ; implicit-def: $vgpr176_vgpr177
.LBB87_365:
	s_andn2_saveexec_b64 s[2:3], s[2:3]
	s_cbranch_execz .LBB87_367
; %bb.366:
	v_div_scale_f64 v[180:181], s[10:11], v[176:177], v[176:177], v[178:179]
	v_rcp_f64_e32 v[182:183], v[180:181]
	v_div_scale_f64 v[184:185], vcc, v[178:179], v[176:177], v[178:179]
	v_fma_f64 v[186:187], -v[180:181], v[182:183], 1.0
	v_fmac_f64_e32 v[182:183], v[182:183], v[186:187]
	v_fma_f64 v[186:187], -v[180:181], v[182:183], 1.0
	v_fmac_f64_e32 v[182:183], v[182:183], v[186:187]
	v_mul_f64 v[186:187], v[184:185], v[182:183]
	v_fma_f64 v[180:181], -v[180:181], v[186:187], v[184:185]
	v_div_fmas_f64 v[180:181], v[180:181], v[182:183], v[186:187]
	v_div_fixup_f64 v[182:183], v[180:181], v[176:177], v[178:179]
	v_fmac_f64_e32 v[176:177], v[178:179], v[182:183]
	v_div_scale_f64 v[178:179], s[10:11], v[176:177], v[176:177], 1.0
	v_rcp_f64_e32 v[180:181], v[178:179]
	s_nop 0
	v_fma_f64 v[184:185], -v[178:179], v[180:181], 1.0
	v_fmac_f64_e32 v[180:181], v[180:181], v[184:185]
	v_fma_f64 v[184:185], -v[178:179], v[180:181], 1.0
	v_fmac_f64_e32 v[180:181], v[180:181], v[184:185]
	v_div_scale_f64 v[184:185], vcc, 1.0, v[176:177], 1.0
	v_mul_f64 v[186:187], v[184:185], v[180:181]
	v_fma_f64 v[178:179], -v[178:179], v[186:187], v[184:185]
	s_nop 1
	v_div_fmas_f64 v[178:179], v[178:179], v[180:181], v[186:187]
	v_div_fixup_f64 v[180:181], v[178:179], v[176:177], 1.0
	v_mul_f64 v[182:183], v[182:183], -v[180:181]
.LBB87_367:
	s_or_b64 exec, exec, s[2:3]
	ds_write2_b64 v192, v[180:181], v[182:183] offset1:1
.LBB87_368:
	s_or_b64 exec, exec, s[4:5]
	s_waitcnt lgkmcnt(0)
	s_barrier
	ds_read2_b64 v[176:179], v192 offset1:1
	v_cmp_lt_u32_e32 vcc, 40, v194
	s_and_saveexec_b64 s[2:3], vcc
	s_cbranch_execz .LBB87_370
; %bb.369:
	ds_read2_b64 v[180:183], v193 offset0:82 offset1:83
	s_waitcnt vmcnt(41) lgkmcnt(1)
	v_mul_f64 v[184:185], v[176:177], v[10:11]
	v_fmac_f64_e32 v[184:185], v[178:179], v[8:9]
	v_mul_f64 v[10:11], v[178:179], v[10:11]
	v_fma_f64 v[8:9], v[176:177], v[8:9], -v[10:11]
	s_waitcnt lgkmcnt(0)
	v_mul_f64 v[10:11], v[182:183], v[184:185]
	v_fma_f64 v[10:11], v[180:181], v[8:9], -v[10:11]
	v_mul_f64 v[180:181], v[180:181], v[184:185]
	v_fmac_f64_e32 v[180:181], v[182:183], v[8:9]
	s_waitcnt vmcnt(40)
	v_add_f64 v[6:7], v[6:7], -v[180:181]
	ds_read2_b64 v[180:183], v193 offset0:84 offset1:85
	v_add_f64 v[4:5], v[4:5], -v[10:11]
	s_waitcnt lgkmcnt(0)
	v_mul_f64 v[10:11], v[182:183], v[184:185]
	v_fma_f64 v[10:11], v[180:181], v[8:9], -v[10:11]
	v_mul_f64 v[180:181], v[180:181], v[184:185]
	v_fmac_f64_e32 v[180:181], v[182:183], v[8:9]
	s_waitcnt vmcnt(39)
	v_add_f64 v[2:3], v[2:3], -v[180:181]
	ds_read2_b64 v[180:183], v193 offset0:86 offset1:87
	v_add_f64 v[0:1], v[0:1], -v[10:11]
	s_waitcnt lgkmcnt(0)
	v_mul_f64 v[10:11], v[182:183], v[184:185]
	v_fma_f64 v[10:11], v[180:181], v[8:9], -v[10:11]
	v_mul_f64 v[180:181], v[180:181], v[184:185]
	v_fmac_f64_e32 v[180:181], v[182:183], v[8:9]
	s_waitcnt vmcnt(38)
	v_add_f64 v[172:173], v[172:173], -v[10:11]
	v_add_f64 v[174:175], v[174:175], -v[180:181]
	v_mov_b64_e32 v[10:11], v[184:185]
.LBB87_370:
	s_or_b64 exec, exec, s[2:3]
	v_cmp_eq_u32_e32 vcc, 41, v194
	s_waitcnt lgkmcnt(0)
	s_barrier
	s_and_saveexec_b64 s[4:5], vcc
	s_cbranch_execz .LBB87_377
; %bb.371:
	s_waitcnt vmcnt(40)
	ds_write2_b64 v192, v[4:5], v[6:7] offset1:1
	s_waitcnt vmcnt(39)
	ds_write2_b64 v193, v[0:1], v[2:3] offset0:84 offset1:85
	s_waitcnt vmcnt(38)
	ds_write2_b64 v193, v[172:173], v[174:175] offset0:86 offset1:87
	ds_read2_b64 v[180:183], v192 offset1:1
	s_waitcnt lgkmcnt(0)
	v_cmp_neq_f64_e32 vcc, 0, v[180:181]
	v_cmp_neq_f64_e64 s[2:3], 0, v[182:183]
	s_or_b64 s[2:3], vcc, s[2:3]
	s_and_b64 exec, exec, s[2:3]
	s_cbranch_execz .LBB87_377
; %bb.372:
	v_cmp_ngt_f64_e64 s[2:3], |v[180:181]|, |v[182:183]|
                                        ; implicit-def: $vgpr184_vgpr185
	s_and_saveexec_b64 s[10:11], s[2:3]
	s_xor_b64 s[2:3], exec, s[10:11]
                                        ; implicit-def: $vgpr186_vgpr187
	s_cbranch_execz .LBB87_374
; %bb.373:
	v_div_scale_f64 v[184:185], s[10:11], v[182:183], v[182:183], v[180:181]
	v_rcp_f64_e32 v[186:187], v[184:185]
	v_div_scale_f64 v[188:189], vcc, v[180:181], v[182:183], v[180:181]
	v_fma_f64 v[190:191], -v[184:185], v[186:187], 1.0
	v_fmac_f64_e32 v[186:187], v[186:187], v[190:191]
	v_fma_f64 v[190:191], -v[184:185], v[186:187], 1.0
	v_fmac_f64_e32 v[186:187], v[186:187], v[190:191]
	v_mul_f64 v[190:191], v[188:189], v[186:187]
	v_fma_f64 v[184:185], -v[184:185], v[190:191], v[188:189]
	v_div_fmas_f64 v[184:185], v[184:185], v[186:187], v[190:191]
	v_div_fixup_f64 v[184:185], v[184:185], v[182:183], v[180:181]
	v_fmac_f64_e32 v[182:183], v[180:181], v[184:185]
	v_div_scale_f64 v[180:181], s[10:11], v[182:183], v[182:183], 1.0
	v_rcp_f64_e32 v[186:187], v[180:181]
	s_nop 0
	v_fma_f64 v[188:189], -v[180:181], v[186:187], 1.0
	v_fmac_f64_e32 v[186:187], v[186:187], v[188:189]
	v_fma_f64 v[188:189], -v[180:181], v[186:187], 1.0
	v_fmac_f64_e32 v[186:187], v[186:187], v[188:189]
	v_div_scale_f64 v[188:189], vcc, 1.0, v[182:183], 1.0
	v_mul_f64 v[190:191], v[188:189], v[186:187]
	v_fma_f64 v[180:181], -v[180:181], v[190:191], v[188:189]
	s_nop 1
	v_div_fmas_f64 v[180:181], v[180:181], v[186:187], v[190:191]
	v_div_fixup_f64 v[186:187], v[180:181], v[182:183], 1.0
	v_mul_f64 v[184:185], v[184:185], v[186:187]
	v_xor_b32_e32 v187, 0x80000000, v187
                                        ; implicit-def: $vgpr180_vgpr181
.LBB87_374:
	s_andn2_saveexec_b64 s[2:3], s[2:3]
	s_cbranch_execz .LBB87_376
; %bb.375:
	v_div_scale_f64 v[184:185], s[10:11], v[180:181], v[180:181], v[182:183]
	v_rcp_f64_e32 v[186:187], v[184:185]
	v_div_scale_f64 v[188:189], vcc, v[182:183], v[180:181], v[182:183]
	v_fma_f64 v[190:191], -v[184:185], v[186:187], 1.0
	v_fmac_f64_e32 v[186:187], v[186:187], v[190:191]
	v_fma_f64 v[190:191], -v[184:185], v[186:187], 1.0
	v_fmac_f64_e32 v[186:187], v[186:187], v[190:191]
	v_mul_f64 v[190:191], v[188:189], v[186:187]
	v_fma_f64 v[184:185], -v[184:185], v[190:191], v[188:189]
	v_div_fmas_f64 v[184:185], v[184:185], v[186:187], v[190:191]
	v_div_fixup_f64 v[186:187], v[184:185], v[180:181], v[182:183]
	v_fmac_f64_e32 v[180:181], v[182:183], v[186:187]
	v_div_scale_f64 v[182:183], s[10:11], v[180:181], v[180:181], 1.0
	v_rcp_f64_e32 v[184:185], v[182:183]
	s_nop 0
	v_fma_f64 v[188:189], -v[182:183], v[184:185], 1.0
	v_fmac_f64_e32 v[184:185], v[184:185], v[188:189]
	v_fma_f64 v[188:189], -v[182:183], v[184:185], 1.0
	v_fmac_f64_e32 v[184:185], v[184:185], v[188:189]
	v_div_scale_f64 v[188:189], vcc, 1.0, v[180:181], 1.0
	v_mul_f64 v[190:191], v[188:189], v[184:185]
	v_fma_f64 v[182:183], -v[182:183], v[190:191], v[188:189]
	s_nop 1
	v_div_fmas_f64 v[182:183], v[182:183], v[184:185], v[190:191]
	v_div_fixup_f64 v[184:185], v[182:183], v[180:181], 1.0
	v_mul_f64 v[186:187], v[186:187], -v[184:185]
.LBB87_376:
	s_or_b64 exec, exec, s[2:3]
	ds_write2_b64 v192, v[184:185], v[186:187] offset1:1
.LBB87_377:
	s_or_b64 exec, exec, s[4:5]
	s_waitcnt lgkmcnt(0)
	s_barrier
	ds_read2_b64 v[180:183], v192 offset1:1
	v_cmp_lt_u32_e32 vcc, 41, v194
	s_and_saveexec_b64 s[2:3], vcc
	s_cbranch_execz .LBB87_379
; %bb.378:
	ds_read2_b64 v[184:187], v193 offset0:84 offset1:85
	s_waitcnt vmcnt(40) lgkmcnt(1)
	v_mul_f64 v[188:189], v[180:181], v[6:7]
	v_fmac_f64_e32 v[188:189], v[182:183], v[4:5]
	v_mul_f64 v[6:7], v[182:183], v[6:7]
	v_fma_f64 v[4:5], v[180:181], v[4:5], -v[6:7]
	s_waitcnt lgkmcnt(0)
	v_mul_f64 v[6:7], v[186:187], v[188:189]
	v_fma_f64 v[6:7], v[184:185], v[4:5], -v[6:7]
	v_mul_f64 v[184:185], v[184:185], v[188:189]
	v_fmac_f64_e32 v[184:185], v[186:187], v[4:5]
	s_waitcnt vmcnt(39)
	v_add_f64 v[2:3], v[2:3], -v[184:185]
	ds_read2_b64 v[184:187], v193 offset0:86 offset1:87
	v_add_f64 v[0:1], v[0:1], -v[6:7]
	s_waitcnt lgkmcnt(0)
	v_mul_f64 v[6:7], v[186:187], v[188:189]
	v_fma_f64 v[6:7], v[184:185], v[4:5], -v[6:7]
	v_mul_f64 v[184:185], v[184:185], v[188:189]
	v_fmac_f64_e32 v[184:185], v[186:187], v[4:5]
	s_waitcnt vmcnt(38)
	v_add_f64 v[172:173], v[172:173], -v[6:7]
	v_add_f64 v[174:175], v[174:175], -v[184:185]
	v_mov_b64_e32 v[6:7], v[188:189]
.LBB87_379:
	s_or_b64 exec, exec, s[2:3]
	v_cmp_eq_u32_e32 vcc, 42, v194
	s_waitcnt lgkmcnt(0)
	s_barrier
	s_and_saveexec_b64 s[4:5], vcc
	s_cbranch_execz .LBB87_386
; %bb.380:
	s_waitcnt vmcnt(39)
	ds_write2_b64 v192, v[0:1], v[2:3] offset1:1
	s_waitcnt vmcnt(38)
	ds_write2_b64 v193, v[172:173], v[174:175] offset0:86 offset1:87
	ds_read2_b64 v[184:187], v192 offset1:1
	s_waitcnt lgkmcnt(0)
	v_cmp_neq_f64_e32 vcc, 0, v[184:185]
	v_cmp_neq_f64_e64 s[2:3], 0, v[186:187]
	s_or_b64 s[2:3], vcc, s[2:3]
	s_and_b64 exec, exec, s[2:3]
	s_cbranch_execz .LBB87_386
; %bb.381:
	v_cmp_ngt_f64_e64 s[2:3], |v[184:185]|, |v[186:187]|
                                        ; implicit-def: $vgpr188_vgpr189
	s_and_saveexec_b64 s[10:11], s[2:3]
	s_xor_b64 s[2:3], exec, s[10:11]
                                        ; implicit-def: $vgpr190_vgpr191
	s_cbranch_execz .LBB87_383
; %bb.382:
	v_div_scale_f64 v[188:189], s[10:11], v[186:187], v[186:187], v[184:185]
	v_rcp_f64_e32 v[190:191], v[188:189]
	v_mov_b64_e32 v[164:165], v[198:199]
	v_div_scale_f64 v[196:197], vcc, v[184:185], v[186:187], v[184:185]
	v_fma_f64 v[198:199], -v[188:189], v[190:191], 1.0
	v_fmac_f64_e32 v[190:191], v[190:191], v[198:199]
	v_fma_f64 v[198:199], -v[188:189], v[190:191], 1.0
	v_fmac_f64_e32 v[190:191], v[190:191], v[198:199]
	v_mul_f64 v[198:199], v[196:197], v[190:191]
	v_fma_f64 v[188:189], -v[188:189], v[198:199], v[196:197]
	v_div_fmas_f64 v[188:189], v[188:189], v[190:191], v[198:199]
	v_div_fixup_f64 v[188:189], v[188:189], v[186:187], v[184:185]
	v_fmac_f64_e32 v[186:187], v[184:185], v[188:189]
	v_div_scale_f64 v[184:185], s[10:11], v[186:187], v[186:187], 1.0
	v_rcp_f64_e32 v[190:191], v[184:185]
	s_nop 0
	v_fma_f64 v[196:197], -v[184:185], v[190:191], 1.0
	v_fmac_f64_e32 v[190:191], v[190:191], v[196:197]
	v_fma_f64 v[196:197], -v[184:185], v[190:191], 1.0
	v_fmac_f64_e32 v[190:191], v[190:191], v[196:197]
	v_div_scale_f64 v[196:197], vcc, 1.0, v[186:187], 1.0
	v_mul_f64 v[198:199], v[196:197], v[190:191]
	v_fma_f64 v[184:185], -v[184:185], v[198:199], v[196:197]
	s_nop 1
	v_div_fmas_f64 v[184:185], v[184:185], v[190:191], v[198:199]
	v_div_fixup_f64 v[190:191], v[184:185], v[186:187], 1.0
	v_mov_b64_e32 v[198:199], v[164:165]
	v_mul_f64 v[188:189], v[188:189], v[190:191]
	v_xor_b32_e32 v191, 0x80000000, v191
                                        ; implicit-def: $vgpr184_vgpr185
.LBB87_383:
	s_andn2_saveexec_b64 s[2:3], s[2:3]
	s_cbranch_execz .LBB87_385
; %bb.384:
	v_div_scale_f64 v[188:189], s[10:11], v[184:185], v[184:185], v[186:187]
	v_rcp_f64_e32 v[190:191], v[188:189]
	v_mov_b64_e32 v[164:165], v[198:199]
	v_div_scale_f64 v[196:197], vcc, v[186:187], v[184:185], v[186:187]
	v_fma_f64 v[198:199], -v[188:189], v[190:191], 1.0
	v_fmac_f64_e32 v[190:191], v[190:191], v[198:199]
	v_fma_f64 v[198:199], -v[188:189], v[190:191], 1.0
	v_fmac_f64_e32 v[190:191], v[190:191], v[198:199]
	v_mul_f64 v[198:199], v[196:197], v[190:191]
	v_fma_f64 v[188:189], -v[188:189], v[198:199], v[196:197]
	v_div_fmas_f64 v[188:189], v[188:189], v[190:191], v[198:199]
	v_div_fixup_f64 v[190:191], v[188:189], v[184:185], v[186:187]
	v_fmac_f64_e32 v[184:185], v[186:187], v[190:191]
	v_div_scale_f64 v[186:187], s[10:11], v[184:185], v[184:185], 1.0
	v_rcp_f64_e32 v[188:189], v[186:187]
	s_nop 0
	v_fma_f64 v[196:197], -v[186:187], v[188:189], 1.0
	v_fmac_f64_e32 v[188:189], v[188:189], v[196:197]
	v_fma_f64 v[196:197], -v[186:187], v[188:189], 1.0
	v_fmac_f64_e32 v[188:189], v[188:189], v[196:197]
	v_div_scale_f64 v[196:197], vcc, 1.0, v[184:185], 1.0
	v_mul_f64 v[198:199], v[196:197], v[188:189]
	v_fma_f64 v[186:187], -v[186:187], v[198:199], v[196:197]
	s_nop 1
	v_div_fmas_f64 v[186:187], v[186:187], v[188:189], v[198:199]
	v_div_fixup_f64 v[188:189], v[186:187], v[184:185], 1.0
	v_mov_b64_e32 v[198:199], v[164:165]
	v_mul_f64 v[190:191], v[190:191], -v[188:189]
.LBB87_385:
	s_or_b64 exec, exec, s[2:3]
	ds_write2_b64 v192, v[188:189], v[190:191] offset1:1
.LBB87_386:
	s_or_b64 exec, exec, s[4:5]
	s_waitcnt lgkmcnt(0)
	s_barrier
	ds_read2_b64 v[184:187], v192 offset1:1
	v_cmp_lt_u32_e32 vcc, 42, v194
	s_and_saveexec_b64 s[2:3], vcc
	s_cbranch_execz .LBB87_388
; %bb.387:
	ds_read2_b64 v[188:191], v193 offset0:86 offset1:87
	s_waitcnt vmcnt(39) lgkmcnt(1)
	v_mul_f64 v[196:197], v[184:185], v[2:3]
	v_mul_f64 v[2:3], v[186:187], v[2:3]
	v_fmac_f64_e32 v[196:197], v[186:187], v[0:1]
	v_fma_f64 v[0:1], v[184:185], v[0:1], -v[2:3]
	s_waitcnt lgkmcnt(0)
	v_mul_f64 v[2:3], v[190:191], v[196:197]
	v_fma_f64 v[2:3], v[188:189], v[0:1], -v[2:3]
	v_mul_f64 v[188:189], v[188:189], v[196:197]
	v_fmac_f64_e32 v[188:189], v[190:191], v[0:1]
	s_waitcnt vmcnt(38)
	v_add_f64 v[172:173], v[172:173], -v[2:3]
	v_add_f64 v[174:175], v[174:175], -v[188:189]
	v_mov_b64_e32 v[2:3], v[196:197]
.LBB87_388:
	s_or_b64 exec, exec, s[2:3]
	v_cmp_eq_u32_e32 vcc, 43, v194
	s_waitcnt lgkmcnt(0)
	s_barrier
	s_and_saveexec_b64 s[4:5], vcc
	s_cbranch_execz .LBB87_395
; %bb.389:
	s_waitcnt vmcnt(38)
	v_cmp_neq_f64_e32 vcc, 0, v[172:173]
	v_cmp_neq_f64_e64 s[2:3], 0, v[174:175]
	s_or_b64 s[2:3], vcc, s[2:3]
	ds_write2_b64 v192, v[172:173], v[174:175] offset1:1
	s_and_b64 exec, exec, s[2:3]
	s_cbranch_execz .LBB87_395
; %bb.390:
	v_cmp_ngt_f64_e64 s[2:3], |v[172:173]|, |v[174:175]|
                                        ; implicit-def: $vgpr188_vgpr189
	s_mov_b64 s[10:11], exec
	s_and_b64 s[12:13], s[10:11], s[2:3]
	s_xor_b64 s[2:3], s[12:13], s[10:11]
                                        ; implicit-def: $vgpr190_vgpr191
	scratch_store_dwordx4 off, v[248:251], off offset:784 ; 16-byte Folded Spill
	s_mov_b64 exec, s[12:13]
	s_cbranch_execz .LBB87_392
; %bb.391:
	v_mov_b64_e32 v[250:251], v[2:3]
	v_mov_b64_e32 v[248:249], v[0:1]
	;; [unrolled: 1-line block ×16, first 2 shown]
	v_mov_b32_e32 v28, v194
	v_mov_b32_e32 v29, v192
	v_mov_b64_e32 v[194:195], v[34:35]
	v_mov_b64_e32 v[192:193], v[32:33]
	;; [unrolled: 1-line block ×37, first 2 shown]
	v_div_scale_f64 v[188:189], s[10:11], v[174:175], v[174:175], v[172:173]
	v_mov_b64_e32 v[98:99], v[242:243]
	v_mov_b64_e32 v[242:243], v[102:103]
	v_rcp_f64_e32 v[190:191], v[188:189]
	v_mov_b64_e32 v[240:241], v[100:101]
	v_mov_b64_e32 v[100:101], v[104:105]
	;; [unrolled: 1-line block ×37, first 2 shown]
	v_fma_f64 v[198:199], -v[188:189], v[190:191], 1.0
	v_fmac_f64_e32 v[190:191], v[190:191], v[198:199]
	v_fma_f64 v[198:199], -v[188:189], v[190:191], 1.0
	v_div_scale_f64 v[196:197], vcc, v[172:173], v[174:175], v[172:173]
	v_fmac_f64_e32 v[190:191], v[190:191], v[198:199]
	v_mul_f64 v[198:199], v[196:197], v[190:191]
	v_fma_f64 v[188:189], -v[188:189], v[198:199], v[196:197]
	s_nop 0
	v_div_fmas_f64 v[188:189], v[188:189], v[190:191], v[198:199]
	v_div_fixup_f64 v[188:189], v[188:189], v[174:175], v[172:173]
	v_fma_f64 v[190:191], v[172:173], v[188:189], v[174:175]
	v_div_scale_f64 v[196:197], s[10:11], v[190:191], v[190:191], 1.0
	v_rcp_f64_e32 v[198:199], v[196:197]
	v_mov_b64_e32 v[168:169], v[228:229]
	v_mov_b64_e32 v[228:229], v[224:225]
	;; [unrolled: 1-line block ×8, first 2 shown]
	v_fma_f64 v[200:201], -v[196:197], v[198:199], 1.0
	v_fmac_f64_e32 v[198:199], v[198:199], v[200:201]
	v_fma_f64 v[200:201], -v[196:197], v[198:199], 1.0
	v_fmac_f64_e32 v[198:199], v[198:199], v[200:201]
	v_div_scale_f64 v[200:201], vcc, 1.0, v[190:191], 1.0
	v_mov_b64_e32 v[164:165], v[170:171]
	v_mov_b64_e32 v[170:171], v[230:231]
	;; [unrolled: 1-line block ×9, first 2 shown]
	v_mul_f64 v[202:203], v[200:201], v[198:199]
	v_fma_f64 v[196:197], -v[196:197], v[202:203], v[200:201]
	v_div_fmas_f64 v[196:197], v[196:197], v[198:199], v[202:203]
	v_mov_b64_e32 v[198:199], v[166:167]
	v_mov_b64_e32 v[166:167], v[160:161]
	;; [unrolled: 1-line block ×76, first 2 shown]
	v_mov_b32_e32 v192, v29
	v_mov_b32_e32 v194, v28
	v_mov_b64_e32 v[30:31], v[26:27]
	v_mov_b64_e32 v[28:29], v[24:25]
	;; [unrolled: 1-line block ×16, first 2 shown]
	scratch_load_dwordx4 v[248:251], off, off offset:784 ; 16-byte Folded Reload
	v_div_fixup_f64 v[190:191], v[196:197], v[190:191], 1.0
	v_mov_b64_e32 v[200:201], v[204:205]
	v_mov_b64_e32 v[204:205], v[208:209]
	;; [unrolled: 1-line block ×17, first 2 shown]
	v_mul_f64 v[188:189], v[188:189], v[190:191]
	v_xor_b32_e32 v191, 0x80000000, v191
.LBB87_392:
	s_andn2_saveexec_b64 s[2:3], s[2:3]
	s_cbranch_execz .LBB87_394
; %bb.393:
	s_waitcnt vmcnt(0)
	v_mov_b64_e32 v[250:251], v[2:3]
	v_mov_b64_e32 v[248:249], v[0:1]
	;; [unrolled: 1-line block ×16, first 2 shown]
	v_mov_b32_e32 v28, v194
	v_mov_b32_e32 v29, v192
	v_mov_b64_e32 v[194:195], v[34:35]
	v_mov_b64_e32 v[192:193], v[32:33]
	;; [unrolled: 1-line block ×37, first 2 shown]
	v_div_scale_f64 v[188:189], s[10:11], v[172:173], v[172:173], v[174:175]
	v_mov_b64_e32 v[98:99], v[242:243]
	v_mov_b64_e32 v[242:243], v[102:103]
	v_rcp_f64_e32 v[190:191], v[188:189]
	v_mov_b64_e32 v[240:241], v[100:101]
	v_mov_b64_e32 v[100:101], v[104:105]
	;; [unrolled: 1-line block ×37, first 2 shown]
	v_fma_f64 v[198:199], -v[188:189], v[190:191], 1.0
	v_fmac_f64_e32 v[190:191], v[190:191], v[198:199]
	v_fma_f64 v[198:199], -v[188:189], v[190:191], 1.0
	v_div_scale_f64 v[196:197], vcc, v[174:175], v[172:173], v[174:175]
	v_fmac_f64_e32 v[190:191], v[190:191], v[198:199]
	v_mul_f64 v[198:199], v[196:197], v[190:191]
	v_fma_f64 v[188:189], -v[188:189], v[198:199], v[196:197]
	s_nop 0
	v_div_fmas_f64 v[188:189], v[188:189], v[190:191], v[198:199]
	v_div_fixup_f64 v[190:191], v[188:189], v[172:173], v[174:175]
	v_fma_f64 v[188:189], v[174:175], v[190:191], v[172:173]
	v_div_scale_f64 v[196:197], s[10:11], v[188:189], v[188:189], 1.0
	v_rcp_f64_e32 v[198:199], v[196:197]
	v_mov_b64_e32 v[168:169], v[228:229]
	v_mov_b64_e32 v[228:229], v[224:225]
	;; [unrolled: 1-line block ×8, first 2 shown]
	v_fma_f64 v[200:201], -v[196:197], v[198:199], 1.0
	v_fmac_f64_e32 v[198:199], v[198:199], v[200:201]
	v_fma_f64 v[200:201], -v[196:197], v[198:199], 1.0
	v_fmac_f64_e32 v[198:199], v[198:199], v[200:201]
	v_div_scale_f64 v[200:201], vcc, 1.0, v[188:189], 1.0
	v_mov_b64_e32 v[164:165], v[170:171]
	v_mov_b64_e32 v[170:171], v[230:231]
	;; [unrolled: 1-line block ×9, first 2 shown]
	v_mul_f64 v[202:203], v[200:201], v[198:199]
	v_fma_f64 v[196:197], -v[196:197], v[202:203], v[200:201]
	v_div_fmas_f64 v[196:197], v[196:197], v[198:199], v[202:203]
	v_mov_b64_e32 v[198:199], v[166:167]
	v_mov_b64_e32 v[166:167], v[160:161]
	;; [unrolled: 1-line block ×76, first 2 shown]
	v_mov_b32_e32 v192, v29
	v_mov_b32_e32 v194, v28
	v_mov_b64_e32 v[30:31], v[26:27]
	v_mov_b64_e32 v[28:29], v[24:25]
	;; [unrolled: 1-line block ×16, first 2 shown]
	scratch_load_dwordx4 v[248:251], off, off offset:784 ; 16-byte Folded Reload
	v_div_fixup_f64 v[188:189], v[196:197], v[188:189], 1.0
	v_mov_b64_e32 v[200:201], v[204:205]
	v_mov_b64_e32 v[204:205], v[208:209]
	;; [unrolled: 1-line block ×17, first 2 shown]
	v_mul_f64 v[190:191], v[190:191], -v[188:189]
.LBB87_394:
	s_or_b64 exec, exec, s[2:3]
	ds_write2_b64 v192, v[188:189], v[190:191] offset1:1
.LBB87_395:
	s_or_b64 exec, exec, s[4:5]
	s_waitcnt lgkmcnt(0)
	s_barrier
	ds_read2_b64 v[188:191], v192 offset1:1
	s_waitcnt lgkmcnt(0)
	s_barrier
	s_and_saveexec_b64 s[2:3], s[0:1]
	s_cbranch_execz .LBB87_398
; %bb.396:
	s_waitcnt vmcnt(0)
	v_cmp_eq_f64_e32 vcc, 0, v[248:249]
	v_cmp_eq_f64_e64 s[0:1], 0, v[250:251]
	scratch_load_dwordx4 v[248:251], off, off offset:176 ; 16-byte Folded Reload
	s_and_b64 s[4:5], vcc, s[0:1]
	v_cndmask_b32_e64 v192, 0, 1, s[4:5]
	v_mov_b32_e32 v193, s7
	s_waitcnt vmcnt(0)
	v_cmp_neq_f64_e32 vcc, 0, v[248:249]
	v_cmp_neq_f64_e64 s[0:1], 0, v[250:251]
	scratch_load_dwordx4 v[248:251], off, off offset:192 ; 16-byte Folded Reload
	s_or_b64 s[0:1], vcc, s[0:1]
	s_or_b64 vcc, s[0:1], s[4:5]
	v_cndmask_b32_e32 v192, 2, v192, vcc
	s_waitcnt vmcnt(0)
	v_cmp_eq_f64_e32 vcc, 0, v[248:249]
	v_cmp_eq_f64_e64 s[0:1], 0, v[250:251]
	scratch_load_dwordx4 v[248:251], off, off offset:208 ; 16-byte Folded Reload
	s_and_b64 s[0:1], vcc, s[0:1]
	v_cmp_eq_u32_e32 vcc, 0, v192
	s_and_b64 s[0:1], s[0:1], vcc
	v_cndmask_b32_e64 v192, v192, 3, s[0:1]
	s_waitcnt vmcnt(0)
	v_cmp_eq_f64_e32 vcc, 0, v[248:249]
	v_cmp_eq_f64_e64 s[0:1], 0, v[250:251]
	scratch_load_dwordx4 v[248:251], off, off offset:224 ; 16-byte Folded Reload
	s_and_b64 s[0:1], vcc, s[0:1]
	v_cmp_eq_u32_e32 vcc, 0, v192
	s_and_b64 s[0:1], s[0:1], vcc
	v_cndmask_b32_e64 v192, v192, 4, s[0:1]
	;; [unrolled: 8-line block ×28, first 2 shown]
	v_mov_b32_e32 v192, s6
	v_lshl_add_u64 v[192:193], v[224:225], 2, v[192:193]
	global_load_dword v196, v[192:193], off
	s_waitcnt vmcnt(1)
	v_cmp_eq_f64_e32 vcc, 0, v[248:249]
	v_cmp_eq_f64_e64 s[0:1], 0, v[250:251]
	scratch_load_dwordx4 v[248:251], off, off offset:656 ; 16-byte Folded Reload
	s_and_b64 s[0:1], vcc, s[0:1]
	v_cmp_eq_u32_e32 vcc, 0, v195
	s_and_b64 s[0:1], s[0:1], vcc
	v_cndmask_b32_e64 v195, v195, 31, s[0:1]
	s_waitcnt vmcnt(0)
	v_cmp_eq_f64_e32 vcc, 0, v[248:249]
	v_cmp_eq_f64_e64 s[0:1], 0, v[250:251]
	scratch_load_dwordx4 v[248:251], off, off offset:672 ; 16-byte Folded Reload
	s_and_b64 s[0:1], vcc, s[0:1]
	v_cmp_eq_u32_e32 vcc, 0, v195
	s_and_b64 s[0:1], s[0:1], vcc
	v_cndmask_b32_e64 v195, v195, 32, s[0:1]
	;; [unrolled: 8-line block ×8, first 2 shown]
	s_waitcnt vmcnt(0)
	v_cmp_eq_f64_e32 vcc, 0, v[248:249]
	v_cmp_eq_f64_e64 s[0:1], 0, v[250:251]
	s_and_b64 s[0:1], vcc, s[0:1]
	v_cmp_eq_u32_e32 vcc, 0, v195
	s_and_b64 s[0:1], s[0:1], vcc
	v_cndmask_b32_e64 v195, v195, 39, s[0:1]
	v_cmp_eq_f64_e32 vcc, 0, v[252:253]
	v_cmp_eq_f64_e64 s[0:1], 0, v[254:255]
	s_and_b64 s[0:1], vcc, s[0:1]
	v_cmp_eq_u32_e32 vcc, 0, v195
	s_and_b64 s[0:1], s[0:1], vcc
	v_cndmask_b32_e64 v195, v195, 40, s[0:1]
	;; [unrolled: 6-line block ×6, first 2 shown]
	v_cmp_eq_u32_e32 vcc, 0, v196
	v_cmp_ne_u32_e64 s[0:1], 0, v176
	s_and_b64 s[0:1], vcc, s[0:1]
	s_and_b64 exec, exec, s[0:1]
	s_cbranch_execz .LBB87_398
; %bb.397:
	v_add_u32_e32 v176, s9, v176
	global_store_dword v[192:193], v176, off
.LBB87_398:
	s_or_b64 exec, exec, s[2:3]
	s_waitcnt vmcnt(38)
	v_mul_f64 v[176:177], v[190:191], v[174:175]
	v_mul_f64 v[178:179], v[188:189], v[174:175]
	v_cmp_lt_u32_e32 vcc, 43, v194
	v_fma_f64 v[176:177], v[188:189], v[172:173], -v[176:177]
	v_fmac_f64_e32 v[178:179], v[190:191], v[172:173]
	global_store_dwordx4 v[200:201], v[244:247], off
	global_store_dwordx4 v[120:121], v[240:243], off
	v_cndmask_b32_e32 v175, v175, v179, vcc
	v_cndmask_b32_e32 v174, v174, v178, vcc
	;; [unrolled: 1-line block ×4, first 2 shown]
	scratch_load_dwordx4 v[176:179], off, off offset:160 ; 16-byte Folded Reload
	s_waitcnt vmcnt(0)
	global_store_dwordx4 v[204:205], v[176:179], off
	scratch_load_dwordx4 v[176:179], off, off offset:144 ; 16-byte Folded Reload
	s_waitcnt vmcnt(0)
	global_store_dwordx4 v[202:203], v[176:179], off
	;; [unrolled: 3-line block ×10, first 2 shown]
	scratch_load_dwordx4 v[176:179], off, off ; 16-byte Folded Reload
	s_waitcnt vmcnt(0)
	global_store_dwordx4 v[222:223], v[176:179], off
	global_store_dwordx4 v[228:229], v[116:119], off
	;; [unrolled: 1-line block ×32, first 2 shown]
.LBB87_399:
	s_endpgm
	.section	.rodata,"a",@progbits
	.p2align	6, 0x0
	.amdhsa_kernel _ZN9rocsolver6v33100L23getf2_npvt_small_kernelILi44E19rocblas_complex_numIdEiiPS3_EEvT1_T3_lS5_lPT2_S5_S5_
		.amdhsa_group_segment_fixed_size 0
		.amdhsa_private_segment_fixed_size 804
		.amdhsa_kernarg_size 312
		.amdhsa_user_sgpr_count 2
		.amdhsa_user_sgpr_dispatch_ptr 0
		.amdhsa_user_sgpr_queue_ptr 0
		.amdhsa_user_sgpr_kernarg_segment_ptr 1
		.amdhsa_user_sgpr_dispatch_id 0
		.amdhsa_user_sgpr_kernarg_preload_length 0
		.amdhsa_user_sgpr_kernarg_preload_offset 0
		.amdhsa_user_sgpr_private_segment_size 0
		.amdhsa_uses_dynamic_stack 0
		.amdhsa_enable_private_segment 1
		.amdhsa_system_sgpr_workgroup_id_x 1
		.amdhsa_system_sgpr_workgroup_id_y 1
		.amdhsa_system_sgpr_workgroup_id_z 0
		.amdhsa_system_sgpr_workgroup_info 0
		.amdhsa_system_vgpr_workitem_id 1
		.amdhsa_next_free_vgpr 256
		.amdhsa_next_free_sgpr 16
		.amdhsa_accum_offset 256
		.amdhsa_reserve_vcc 1
		.amdhsa_float_round_mode_32 0
		.amdhsa_float_round_mode_16_64 0
		.amdhsa_float_denorm_mode_32 3
		.amdhsa_float_denorm_mode_16_64 3
		.amdhsa_dx10_clamp 1
		.amdhsa_ieee_mode 1
		.amdhsa_fp16_overflow 0
		.amdhsa_tg_split 0
		.amdhsa_exception_fp_ieee_invalid_op 0
		.amdhsa_exception_fp_denorm_src 0
		.amdhsa_exception_fp_ieee_div_zero 0
		.amdhsa_exception_fp_ieee_overflow 0
		.amdhsa_exception_fp_ieee_underflow 0
		.amdhsa_exception_fp_ieee_inexact 0
		.amdhsa_exception_int_div_zero 0
	.end_amdhsa_kernel
	.section	.text._ZN9rocsolver6v33100L23getf2_npvt_small_kernelILi44E19rocblas_complex_numIdEiiPS3_EEvT1_T3_lS5_lPT2_S5_S5_,"axG",@progbits,_ZN9rocsolver6v33100L23getf2_npvt_small_kernelILi44E19rocblas_complex_numIdEiiPS3_EEvT1_T3_lS5_lPT2_S5_S5_,comdat
.Lfunc_end87:
	.size	_ZN9rocsolver6v33100L23getf2_npvt_small_kernelILi44E19rocblas_complex_numIdEiiPS3_EEvT1_T3_lS5_lPT2_S5_S5_, .Lfunc_end87-_ZN9rocsolver6v33100L23getf2_npvt_small_kernelILi44E19rocblas_complex_numIdEiiPS3_EEvT1_T3_lS5_lPT2_S5_S5_
                                        ; -- End function
	.set _ZN9rocsolver6v33100L23getf2_npvt_small_kernelILi44E19rocblas_complex_numIdEiiPS3_EEvT1_T3_lS5_lPT2_S5_S5_.num_vgpr, 256
	.set _ZN9rocsolver6v33100L23getf2_npvt_small_kernelILi44E19rocblas_complex_numIdEiiPS3_EEvT1_T3_lS5_lPT2_S5_S5_.num_agpr, 0
	.set _ZN9rocsolver6v33100L23getf2_npvt_small_kernelILi44E19rocblas_complex_numIdEiiPS3_EEvT1_T3_lS5_lPT2_S5_S5_.numbered_sgpr, 16
	.set _ZN9rocsolver6v33100L23getf2_npvt_small_kernelILi44E19rocblas_complex_numIdEiiPS3_EEvT1_T3_lS5_lPT2_S5_S5_.num_named_barrier, 0
	.set _ZN9rocsolver6v33100L23getf2_npvt_small_kernelILi44E19rocblas_complex_numIdEiiPS3_EEvT1_T3_lS5_lPT2_S5_S5_.private_seg_size, 804
	.set _ZN9rocsolver6v33100L23getf2_npvt_small_kernelILi44E19rocblas_complex_numIdEiiPS3_EEvT1_T3_lS5_lPT2_S5_S5_.uses_vcc, 1
	.set _ZN9rocsolver6v33100L23getf2_npvt_small_kernelILi44E19rocblas_complex_numIdEiiPS3_EEvT1_T3_lS5_lPT2_S5_S5_.uses_flat_scratch, 0
	.set _ZN9rocsolver6v33100L23getf2_npvt_small_kernelILi44E19rocblas_complex_numIdEiiPS3_EEvT1_T3_lS5_lPT2_S5_S5_.has_dyn_sized_stack, 0
	.set _ZN9rocsolver6v33100L23getf2_npvt_small_kernelILi44E19rocblas_complex_numIdEiiPS3_EEvT1_T3_lS5_lPT2_S5_S5_.has_recursion, 0
	.set _ZN9rocsolver6v33100L23getf2_npvt_small_kernelILi44E19rocblas_complex_numIdEiiPS3_EEvT1_T3_lS5_lPT2_S5_S5_.has_indirect_call, 0
	.section	.AMDGPU.csdata,"",@progbits
; Kernel info:
; codeLenInByte = 94896
; TotalNumSgprs: 22
; NumVgprs: 256
; NumAgprs: 0
; TotalNumVgprs: 256
; ScratchSize: 804
; MemoryBound: 1
; FloatMode: 240
; IeeeMode: 1
; LDSByteSize: 0 bytes/workgroup (compile time only)
; SGPRBlocks: 2
; VGPRBlocks: 31
; NumSGPRsForWavesPerEU: 22
; NumVGPRsForWavesPerEU: 256
; AccumOffset: 256
; Occupancy: 2
; WaveLimiterHint : 0
; COMPUTE_PGM_RSRC2:SCRATCH_EN: 1
; COMPUTE_PGM_RSRC2:USER_SGPR: 2
; COMPUTE_PGM_RSRC2:TRAP_HANDLER: 0
; COMPUTE_PGM_RSRC2:TGID_X_EN: 1
; COMPUTE_PGM_RSRC2:TGID_Y_EN: 1
; COMPUTE_PGM_RSRC2:TGID_Z_EN: 0
; COMPUTE_PGM_RSRC2:TIDIG_COMP_CNT: 1
; COMPUTE_PGM_RSRC3_GFX90A:ACCUM_OFFSET: 63
; COMPUTE_PGM_RSRC3_GFX90A:TG_SPLIT: 0
	.section	.text._ZN9rocsolver6v33100L18getf2_small_kernelILi45E19rocblas_complex_numIdEiiPS3_EEvT1_T3_lS5_lPS5_llPT2_S5_S5_S7_l,"axG",@progbits,_ZN9rocsolver6v33100L18getf2_small_kernelILi45E19rocblas_complex_numIdEiiPS3_EEvT1_T3_lS5_lPS5_llPT2_S5_S5_S7_l,comdat
	.globl	_ZN9rocsolver6v33100L18getf2_small_kernelILi45E19rocblas_complex_numIdEiiPS3_EEvT1_T3_lS5_lPS5_llPT2_S5_S5_S7_l ; -- Begin function _ZN9rocsolver6v33100L18getf2_small_kernelILi45E19rocblas_complex_numIdEiiPS3_EEvT1_T3_lS5_lPS5_llPT2_S5_S5_S7_l
	.p2align	8
	.type	_ZN9rocsolver6v33100L18getf2_small_kernelILi45E19rocblas_complex_numIdEiiPS3_EEvT1_T3_lS5_lPS5_llPT2_S5_S5_S7_l,@function
_ZN9rocsolver6v33100L18getf2_small_kernelILi45E19rocblas_complex_numIdEiiPS3_EEvT1_T3_lS5_lPS5_llPT2_S5_S5_S7_l: ; @_ZN9rocsolver6v33100L18getf2_small_kernelILi45E19rocblas_complex_numIdEiiPS3_EEvT1_T3_lS5_lPS5_llPT2_S5_S5_S7_l
; %bb.0:
	s_load_dword s2, s[0:1], 0x6c
	s_load_dwordx2 s[12:13], s[0:1], 0x48
	v_bfe_u32 v180, v0, 10, 10
	s_waitcnt lgkmcnt(0)
	s_lshr_b32 s2, s2, 16
	s_mul_i32 s3, s3, s2
	v_add_u32_e32 v186, s3, v180
	v_cmp_gt_i32_e32 vcc, s12, v186
	s_and_saveexec_b64 s[2:3], vcc
	s_cbranch_execz .LBB88_946
; %bb.1:
	s_load_dwordx4 s[4:7], s[0:1], 0x50
	v_ashrrev_i32_e32 v187, 31, v186
	v_mov_b64_e32 v[188:189], 0
	s_waitcnt lgkmcnt(0)
	s_cmp_eq_u64 s[4:5], 0
	s_cselect_b64 s[14:15], -1, 0
	s_and_b64 vcc, exec, s[14:15]
	s_cbranch_vccnz .LBB88_3
; %bb.2:
	v_mul_lo_u32 v1, s7, v186
	v_mul_lo_u32 v4, s6, v187
	v_mad_u64_u32 v[2:3], s[2:3], s6, v186, 0
	v_add3_u32 v3, v3, v4, v1
	v_lshl_add_u64 v[188:189], v[2:3], 2, s[4:5]
.LBB88_3:
	s_load_dwordx4 s[16:19], s[0:1], 0x8
	s_load_dwordx8 s[4:11], s[0:1], 0x20
	s_load_dword s2, s[0:1], 0x18
	s_load_dword s20, s[0:1], 0x0
	v_and_b32_e32 v195, 0x3ff, v0
	s_waitcnt lgkmcnt(0)
	v_mov_b32_e32 v2, s16
	v_mul_lo_u32 v1, s5, v186
	v_mul_lo_u32 v6, s4, v187
	v_mad_u64_u32 v[4:5], s[4:5], s4, v186, 0
	v_mov_b32_e32 v3, s17
	v_add3_u32 v5, v5, v6, v1
	v_lshl_add_u64 v[2:3], v[4:5], 4, v[2:3]
	s_add_i32 s12, s2, s2
	v_lshl_add_u64 v[184:185], s[18:19], 4, v[2:3]
	v_add_u32_e32 v2, s12, v195
	v_add_u32_e32 v4, s2, v2
	;; [unrolled: 1-line block ×3, first 2 shown]
	v_lshlrev_b32_e32 v190, 4, v195
	v_mov_b32_e32 v191, 0
	v_add_u32_e32 v8, s2, v6
	v_lshl_add_u64 v[0:1], v[184:185], 0, v[190:191]
	s_ashr_i32 s3, s2, 31
	v_ashrrev_i32_e32 v9, 31, v8
	v_add_u32_e32 v12, s2, v8
	v_lshl_add_u64 v[10:11], s[2:3], 4, v[0:1]
	global_load_dwordx4 v[120:123], v[0:1], off
	global_load_dwordx4 v[112:115], v[10:11], off
	v_lshl_add_u64 v[0:1], v[8:9], 4, v[184:185]
	v_ashrrev_i32_e32 v13, 31, v12
	v_add_u32_e32 v8, s2, v12
	v_lshl_add_u64 v[10:11], v[12:13], 4, v[184:185]
	v_add_u32_e32 v12, s2, v8
	v_add_u32_e32 v14, s2, v12
	;; [unrolled: 1-line block ×15, first 2 shown]
	v_ashrrev_i32_e32 v41, 31, v40
	v_lshl_add_u64 v[42:43], v[40:41], 4, v[184:185]
	v_add_u32_e32 v40, s2, v40
	v_ashrrev_i32_e32 v41, 31, v40
	v_lshl_add_u64 v[44:45], v[40:41], 4, v[184:185]
	v_add_u32_e32 v40, s2, v40
	;; [unrolled: 3-line block ×21, first 2 shown]
	v_ashrrev_i32_e32 v41, 31, v40
	v_ashrrev_i32_e32 v3, 31, v2
	;; [unrolled: 1-line block ×19, first 2 shown]
	v_lshl_add_u64 v[214:215], v[40:41], 4, v[184:185]
	v_add_u32_e32 v40, s2, v40
	v_lshl_add_u64 v[2:3], v[2:3], 4, v[184:185]
	v_lshl_add_u64 v[4:5], v[4:5], 4, v[184:185]
	;; [unrolled: 1-line block ×18, first 2 shown]
	v_ashrrev_i32_e32 v41, 31, v40
	v_lshl_add_u64 v[216:217], v[40:41], 4, v[184:185]
	global_load_dwordx4 v[172:175], v[2:3], off
	global_load_dwordx4 v[168:171], v[4:5], off
	;; [unrolled: 1-line block ×6, first 2 shown]
                                        ; kill: killed $vgpr2_vgpr3
                                        ; kill: killed $vgpr4_vgpr5
                                        ; kill: killed $vgpr6_vgpr7
                                        ; kill: killed $vgpr0_vgpr1
                                        ; kill: killed $vgpr10_vgpr11
                                        ; kill: killed $vgpr8_vgpr9
	global_load_dwordx4 v[148:151], v[12:13], off
	global_load_dwordx4 v[144:147], v[14:15], off
	;; [unrolled: 1-line block ×3, first 2 shown]
                                        ; kill: killed $vgpr12_vgpr13
                                        ; kill: killed $vgpr14_vgpr15
                                        ; kill: killed $vgpr16_vgpr17
	global_load_dwordx4 v[136:139], v[18:19], off
	global_load_dwordx4 v[132:135], v[20:21], off
	;; [unrolled: 1-line block ×18, first 2 shown]
	s_nop 0
	global_load_dwordx4 v[56:59], v[56:57], off
	s_nop 0
	global_load_dwordx4 v[52:55], v[176:177], off
	global_load_dwordx4 v[48:51], v[178:179], off
	;; [unrolled: 1-line block ×15, first 2 shown]
	s_load_dwordx2 s[4:5], s[0:1], 0x40
	s_max_i32 s0, s20, 45
	v_mul_lo_u32 v193, s0, v180
	v_lshl_add_u32 v192, v193, 4, 0
	v_add_u32_e32 v180, v192, v190
	s_waitcnt vmcnt(44)
	ds_write2_b64 v180, v[120:121], v[122:123] offset1:1
	s_waitcnt lgkmcnt(0)
	s_barrier
	ds_read2_b64 v[180:183], v192 offset1:1
	s_cmp_lt_i32 s20, 2
	v_lshlrev_b32_e32 v196, 4, v193
	s_cbranch_scc1 .LBB88_6
; %bb.4:
	v_add3_u32 v190, v196, 0, 16
	s_mov_b32 s16, 1
	v_mov_b32_e32 v191, 0
.LBB88_5:                               ; =>This Inner Loop Header: Depth=1
	ds_read2_b64 v[198:201], v190 offset1:1
	s_waitcnt lgkmcnt(1)
	v_xor_b32_e32 v193, 0x80000000, v181
	v_xor_b32_e32 v194, 0x80000000, v183
	v_cmp_gt_f64_e32 vcc, 0, v[182:183]
	v_cmp_gt_f64_e64 s[0:1], 0, v[180:181]
	v_mov_b32_e32 v202, v180
	v_mov_b32_e32 v204, v182
	v_cndmask_b32_e64 v203, v181, v193, s[0:1]
	v_cndmask_b32_e32 v205, v183, v194, vcc
	s_waitcnt lgkmcnt(0)
	v_xor_b32_e32 v193, 0x80000000, v199
	v_xor_b32_e32 v194, 0x80000000, v201
	v_cmp_gt_f64_e32 vcc, 0, v[200:201]
	v_cmp_gt_f64_e64 s[0:1], 0, v[198:199]
	v_add_f64 v[202:203], v[202:203], v[204:205]
	v_mov_b32_e32 v204, v198
	v_mov_b32_e32 v206, v200
	v_cndmask_b32_e64 v205, v199, v193, s[0:1]
	v_cndmask_b32_e32 v207, v201, v194, vcc
	v_add_f64 v[204:205], v[204:205], v[206:207]
	v_mov_b32_e32 v197, s16
	s_add_i32 s16, s16, 1
	v_cmp_lt_f64_e32 vcc, v[202:203], v[204:205]
	v_add_u32_e32 v190, 16, v190
	s_cmp_eq_u32 s20, s16
	v_cndmask_b32_e32 v181, v181, v199, vcc
	v_cndmask_b32_e32 v180, v180, v198, vcc
	;; [unrolled: 1-line block ×5, first 2 shown]
	s_cbranch_scc0 .LBB88_5
.LBB88_6:
	s_waitcnt lgkmcnt(0)
	v_cmp_neq_f64_e32 vcc, 0, v[180:181]
	v_cmp_neq_f64_e64 s[0:1], 0, v[182:183]
	s_or_b64 s[16:17], vcc, s[0:1]
	v_mov_b32_e32 v194, 1
	v_mov_b32_e32 v197, 1
	s_and_saveexec_b64 s[0:1], s[16:17]
	s_cbranch_execz .LBB88_12
; %bb.7:
	v_cmp_ngt_f64_e64 s[16:17], |v[180:181]|, |v[182:183]|
	s_and_saveexec_b64 s[18:19], s[16:17]
	s_xor_b64 s[16:17], exec, s[18:19]
	s_cbranch_execz .LBB88_9
; %bb.8:
	v_div_scale_f64 v[198:199], s[18:19], v[182:183], v[182:183], v[180:181]
	v_rcp_f64_e32 v[200:201], v[198:199]
	v_div_scale_f64 v[202:203], vcc, v[180:181], v[182:183], v[180:181]
	v_fma_f64 v[204:205], -v[198:199], v[200:201], 1.0
	v_fmac_f64_e32 v[200:201], v[200:201], v[204:205]
	v_fma_f64 v[204:205], -v[198:199], v[200:201], 1.0
	v_fmac_f64_e32 v[200:201], v[200:201], v[204:205]
	v_mul_f64 v[204:205], v[202:203], v[200:201]
	v_fma_f64 v[198:199], -v[198:199], v[204:205], v[202:203]
	v_div_fmas_f64 v[198:199], v[198:199], v[200:201], v[204:205]
	v_div_fixup_f64 v[198:199], v[198:199], v[182:183], v[180:181]
	v_fmac_f64_e32 v[182:183], v[180:181], v[198:199]
	v_div_scale_f64 v[180:181], s[18:19], v[182:183], v[182:183], 1.0
	v_rcp_f64_e32 v[200:201], v[180:181]
	s_nop 0
	v_fma_f64 v[202:203], -v[180:181], v[200:201], 1.0
	v_fmac_f64_e32 v[200:201], v[200:201], v[202:203]
	v_fma_f64 v[202:203], -v[180:181], v[200:201], 1.0
	v_fmac_f64_e32 v[200:201], v[200:201], v[202:203]
	v_div_scale_f64 v[202:203], vcc, 1.0, v[182:183], 1.0
	v_mul_f64 v[204:205], v[202:203], v[200:201]
	v_fma_f64 v[180:181], -v[180:181], v[204:205], v[202:203]
	s_nop 1
	v_div_fmas_f64 v[180:181], v[180:181], v[200:201], v[204:205]
	v_div_fixup_f64 v[182:183], v[180:181], v[182:183], 1.0
	v_mul_f64 v[180:181], v[198:199], v[182:183]
	v_xor_b32_e32 v183, 0x80000000, v183
.LBB88_9:
	s_andn2_saveexec_b64 s[16:17], s[16:17]
	s_cbranch_execz .LBB88_11
; %bb.10:
	v_div_scale_f64 v[198:199], s[18:19], v[180:181], v[180:181], v[182:183]
	v_rcp_f64_e32 v[200:201], v[198:199]
	v_div_scale_f64 v[202:203], vcc, v[182:183], v[180:181], v[182:183]
	v_fma_f64 v[204:205], -v[198:199], v[200:201], 1.0
	v_fmac_f64_e32 v[200:201], v[200:201], v[204:205]
	v_fma_f64 v[204:205], -v[198:199], v[200:201], 1.0
	v_fmac_f64_e32 v[200:201], v[200:201], v[204:205]
	v_mul_f64 v[204:205], v[202:203], v[200:201]
	v_fma_f64 v[198:199], -v[198:199], v[204:205], v[202:203]
	v_div_fmas_f64 v[198:199], v[198:199], v[200:201], v[204:205]
	v_div_fixup_f64 v[198:199], v[198:199], v[180:181], v[182:183]
	v_fmac_f64_e32 v[180:181], v[182:183], v[198:199]
	v_div_scale_f64 v[182:183], s[18:19], v[180:181], v[180:181], 1.0
	v_rcp_f64_e32 v[200:201], v[182:183]
	s_nop 0
	v_fma_f64 v[202:203], -v[182:183], v[200:201], 1.0
	v_fmac_f64_e32 v[200:201], v[200:201], v[202:203]
	v_fma_f64 v[202:203], -v[182:183], v[200:201], 1.0
	v_fmac_f64_e32 v[200:201], v[200:201], v[202:203]
	v_div_scale_f64 v[202:203], vcc, 1.0, v[180:181], 1.0
	v_mul_f64 v[204:205], v[202:203], v[200:201]
	v_fma_f64 v[182:183], -v[182:183], v[204:205], v[202:203]
	s_nop 1
	v_div_fmas_f64 v[182:183], v[182:183], v[200:201], v[204:205]
	v_div_fixup_f64 v[180:181], v[182:183], v[180:181], 1.0
	v_mul_f64 v[182:183], v[198:199], -v[180:181]
.LBB88_11:
	s_or_b64 exec, exec, s[16:17]
	v_mov_b32_e32 v197, 0
	v_mov_b32_e32 v194, 2
.LBB88_12:
	s_or_b64 exec, exec, s[0:1]
	v_cmp_ne_u32_e32 vcc, v195, v191
	s_and_saveexec_b64 s[0:1], vcc
	s_xor_b64 s[0:1], exec, s[0:1]
	s_cbranch_execz .LBB88_18
; %bb.13:
	v_cmp_eq_u32_e32 vcc, 0, v195
	s_and_saveexec_b64 s[16:17], vcc
	s_cbranch_execz .LBB88_17
; %bb.14:
	v_cmp_ne_u32_e32 vcc, 0, v191
	s_xor_b64 s[18:19], s[14:15], -1
	s_and_b64 s[22:23], s[18:19], vcc
	s_and_saveexec_b64 s[18:19], s[22:23]
	s_cbranch_execz .LBB88_16
; %bb.15:
	v_ashrrev_i32_e32 v199, 31, v191
	v_mov_b32_e32 v198, v191
	v_lshl_add_u64 v[198:199], v[198:199], 2, v[188:189]
	global_load_dword v190, v[198:199], off
	global_load_dword v193, v[188:189], off
	s_waitcnt vmcnt(1)
	global_store_dword v[188:189], v190, off
	s_waitcnt vmcnt(1)
	global_store_dword v[198:199], v193, off
.LBB88_16:
	s_or_b64 exec, exec, s[18:19]
	v_mov_b32_e32 v195, v191
.LBB88_17:
	s_or_b64 exec, exec, s[16:17]
.LBB88_18:
	s_or_saveexec_b64 s[0:1], s[0:1]
	v_mov_b32_e32 v193, v195
	s_xor_b64 exec, exec, s[0:1]
	s_cbranch_execz .LBB88_20
; %bb.19:
	v_mov_b32_e32 v193, 0
	s_waitcnt vmcnt(43)
	ds_write2_b64 v192, v[112:113], v[114:115] offset0:2 offset1:3
	s_waitcnt vmcnt(42)
	ds_write2_b64 v192, v[172:173], v[174:175] offset0:4 offset1:5
	;; [unrolled: 2-line block ×44, first 2 shown]
.LBB88_20:
	s_or_b64 exec, exec, s[0:1]
	v_cmp_lt_i32_e32 vcc, 0, v193
	s_waitcnt lgkmcnt(0)
	s_barrier
	s_and_saveexec_b64 s[0:1], vcc
	s_cbranch_execz .LBB88_22
; %bb.21:
	ds_read2_b64 v[198:201], v192 offset0:2 offset1:3
	v_mul_f64 v[190:191], v[182:183], v[122:123]
	v_mul_f64 v[122:123], v[180:181], v[122:123]
	v_fma_f64 v[190:191], v[180:181], v[120:121], -v[190:191]
	v_fmac_f64_e32 v[122:123], v[182:183], v[120:121]
	ds_read2_b64 v[180:183], v192 offset0:4 offset1:5
	s_waitcnt lgkmcnt(1)
	v_mul_f64 v[120:121], v[200:201], v[122:123]
	v_fma_f64 v[120:121], v[198:199], v[190:191], -v[120:121]
	v_mul_f64 v[198:199], v[198:199], v[122:123]
	v_fmac_f64_e32 v[198:199], v[200:201], v[190:191]
	s_waitcnt vmcnt(43)
	v_add_f64 v[112:113], v[112:113], -v[120:121]
	s_waitcnt lgkmcnt(0)
	v_mul_f64 v[120:121], v[182:183], v[122:123]
	v_add_f64 v[114:115], v[114:115], -v[198:199]
	v_fma_f64 v[120:121], v[180:181], v[190:191], -v[120:121]
	v_mul_f64 v[180:181], v[180:181], v[122:123]
	ds_read2_b64 v[198:201], v192 offset0:6 offset1:7
	v_fmac_f64_e32 v[180:181], v[182:183], v[190:191]
	s_waitcnt vmcnt(42)
	v_add_f64 v[174:175], v[174:175], -v[180:181]
	ds_read2_b64 v[180:183], v192 offset0:8 offset1:9
	v_add_f64 v[172:173], v[172:173], -v[120:121]
	s_waitcnt lgkmcnt(1)
	v_mul_f64 v[120:121], v[200:201], v[122:123]
	v_fma_f64 v[120:121], v[198:199], v[190:191], -v[120:121]
	v_mul_f64 v[198:199], v[198:199], v[122:123]
	v_fmac_f64_e32 v[198:199], v[200:201], v[190:191]
	s_waitcnt vmcnt(41)
	v_add_f64 v[168:169], v[168:169], -v[120:121]
	s_waitcnt lgkmcnt(0)
	v_mul_f64 v[120:121], v[182:183], v[122:123]
	v_add_f64 v[170:171], v[170:171], -v[198:199]
	v_fma_f64 v[120:121], v[180:181], v[190:191], -v[120:121]
	v_mul_f64 v[180:181], v[180:181], v[122:123]
	ds_read2_b64 v[198:201], v192 offset0:10 offset1:11
	v_fmac_f64_e32 v[180:181], v[182:183], v[190:191]
	s_waitcnt vmcnt(40)
	v_add_f64 v[166:167], v[166:167], -v[180:181]
	ds_read2_b64 v[180:183], v192 offset0:12 offset1:13
	v_add_f64 v[164:165], v[164:165], -v[120:121]
	;; [unrolled: 18-line block ×21, first 2 shown]
	s_waitcnt lgkmcnt(1)
	v_mul_f64 v[120:121], v[200:201], v[122:123]
	v_fma_f64 v[120:121], v[198:199], v[190:191], -v[120:121]
	s_waitcnt vmcnt(1)
	v_add_f64 v[0:1], v[0:1], -v[120:121]
	s_waitcnt lgkmcnt(0)
	v_mul_f64 v[120:121], v[182:183], v[122:123]
	v_mul_f64 v[198:199], v[198:199], v[122:123]
	v_fma_f64 v[120:121], v[180:181], v[190:191], -v[120:121]
	v_mul_f64 v[180:181], v[180:181], v[122:123]
	v_fmac_f64_e32 v[198:199], v[200:201], v[190:191]
	v_fmac_f64_e32 v[180:181], v[182:183], v[190:191]
	v_add_f64 v[2:3], v[2:3], -v[198:199]
	s_waitcnt vmcnt(0)
	v_add_f64 v[176:177], v[176:177], -v[120:121]
	v_add_f64 v[178:179], v[178:179], -v[180:181]
	v_mov_b64_e32 v[120:121], v[190:191]
.LBB88_22:
	s_or_b64 exec, exec, s[0:1]
	v_lshl_add_u32 v180, v193, 4, v192
	s_barrier
	s_waitcnt vmcnt(43)
	ds_write2_b64 v180, v[112:113], v[114:115] offset1:1
	s_waitcnt lgkmcnt(0)
	s_barrier
	ds_read2_b64 v[180:183], v192 offset0:2 offset1:3
	s_cmp_lt_i32 s20, 3
	v_mov_b32_e32 v190, 1
	s_cbranch_scc1 .LBB88_25
; %bb.23:
	v_add3_u32 v191, v196, 0, 32
	s_mov_b32 s16, 2
	v_mov_b32_e32 v190, 1
.LBB88_24:                              ; =>This Inner Loop Header: Depth=1
	ds_read2_b64 v[198:201], v191 offset1:1
	s_waitcnt lgkmcnt(1)
	v_xor_b32_e32 v203, 0x80000000, v181
	v_xor_b32_e32 v205, 0x80000000, v183
	v_cmp_gt_f64_e32 vcc, 0, v[182:183]
	v_cmp_gt_f64_e64 s[0:1], 0, v[180:181]
	v_mov_b32_e32 v202, v180
	v_mov_b32_e32 v204, v182
	v_cndmask_b32_e64 v203, v181, v203, s[0:1]
	v_cndmask_b32_e32 v205, v183, v205, vcc
	v_add_f64 v[202:203], v[202:203], v[204:205]
	s_waitcnt lgkmcnt(0)
	v_xor_b32_e32 v205, 0x80000000, v199
	v_xor_b32_e32 v207, 0x80000000, v201
	v_cmp_gt_f64_e32 vcc, 0, v[200:201]
	v_cmp_gt_f64_e64 s[0:1], 0, v[198:199]
	v_mov_b32_e32 v204, v198
	v_mov_b32_e32 v206, v200
	v_cndmask_b32_e64 v205, v199, v205, s[0:1]
	v_cndmask_b32_e32 v207, v201, v207, vcc
	v_add_f64 v[204:205], v[204:205], v[206:207]
	v_mov_b32_e32 v208, s16
	s_add_i32 s16, s16, 1
	v_cmp_lt_f64_e32 vcc, v[202:203], v[204:205]
	v_add_u32_e32 v191, 16, v191
	s_cmp_lg_u32 s20, s16
	v_cndmask_b32_e32 v181, v181, v199, vcc
	v_cndmask_b32_e32 v180, v180, v198, vcc
	;; [unrolled: 1-line block ×5, first 2 shown]
	s_cbranch_scc1 .LBB88_24
.LBB88_25:
	s_waitcnt lgkmcnt(0)
	v_cmp_neq_f64_e32 vcc, 0, v[180:181]
	v_cmp_neq_f64_e64 s[0:1], 0, v[182:183]
	s_or_b64 s[16:17], vcc, s[0:1]
	s_and_saveexec_b64 s[0:1], s[16:17]
	s_cbranch_execz .LBB88_31
; %bb.26:
	v_cmp_ngt_f64_e64 s[16:17], |v[180:181]|, |v[182:183]|
	s_and_saveexec_b64 s[18:19], s[16:17]
	s_xor_b64 s[16:17], exec, s[18:19]
	s_cbranch_execz .LBB88_28
; %bb.27:
	v_div_scale_f64 v[198:199], s[18:19], v[182:183], v[182:183], v[180:181]
	v_rcp_f64_e32 v[200:201], v[198:199]
	v_div_scale_f64 v[202:203], vcc, v[180:181], v[182:183], v[180:181]
	v_fma_f64 v[204:205], -v[198:199], v[200:201], 1.0
	v_fmac_f64_e32 v[200:201], v[200:201], v[204:205]
	v_fma_f64 v[204:205], -v[198:199], v[200:201], 1.0
	v_fmac_f64_e32 v[200:201], v[200:201], v[204:205]
	v_mul_f64 v[204:205], v[202:203], v[200:201]
	v_fma_f64 v[198:199], -v[198:199], v[204:205], v[202:203]
	v_div_fmas_f64 v[198:199], v[198:199], v[200:201], v[204:205]
	v_div_fixup_f64 v[198:199], v[198:199], v[182:183], v[180:181]
	v_fmac_f64_e32 v[182:183], v[180:181], v[198:199]
	v_div_scale_f64 v[180:181], s[18:19], v[182:183], v[182:183], 1.0
	v_rcp_f64_e32 v[200:201], v[180:181]
	s_nop 0
	v_fma_f64 v[202:203], -v[180:181], v[200:201], 1.0
	v_fmac_f64_e32 v[200:201], v[200:201], v[202:203]
	v_fma_f64 v[202:203], -v[180:181], v[200:201], 1.0
	v_fmac_f64_e32 v[200:201], v[200:201], v[202:203]
	v_div_scale_f64 v[202:203], vcc, 1.0, v[182:183], 1.0
	v_mul_f64 v[204:205], v[202:203], v[200:201]
	v_fma_f64 v[180:181], -v[180:181], v[204:205], v[202:203]
	s_nop 1
	v_div_fmas_f64 v[180:181], v[180:181], v[200:201], v[204:205]
	v_div_fixup_f64 v[182:183], v[180:181], v[182:183], 1.0
	v_mul_f64 v[180:181], v[198:199], v[182:183]
	v_xor_b32_e32 v183, 0x80000000, v183
.LBB88_28:
	s_andn2_saveexec_b64 s[16:17], s[16:17]
	s_cbranch_execz .LBB88_30
; %bb.29:
	v_div_scale_f64 v[198:199], s[18:19], v[180:181], v[180:181], v[182:183]
	v_rcp_f64_e32 v[200:201], v[198:199]
	v_div_scale_f64 v[202:203], vcc, v[182:183], v[180:181], v[182:183]
	v_fma_f64 v[204:205], -v[198:199], v[200:201], 1.0
	v_fmac_f64_e32 v[200:201], v[200:201], v[204:205]
	v_fma_f64 v[204:205], -v[198:199], v[200:201], 1.0
	v_fmac_f64_e32 v[200:201], v[200:201], v[204:205]
	v_mul_f64 v[204:205], v[202:203], v[200:201]
	v_fma_f64 v[198:199], -v[198:199], v[204:205], v[202:203]
	v_div_fmas_f64 v[198:199], v[198:199], v[200:201], v[204:205]
	v_div_fixup_f64 v[198:199], v[198:199], v[180:181], v[182:183]
	v_fmac_f64_e32 v[180:181], v[182:183], v[198:199]
	v_div_scale_f64 v[182:183], s[18:19], v[180:181], v[180:181], 1.0
	v_rcp_f64_e32 v[200:201], v[182:183]
	s_nop 0
	v_fma_f64 v[202:203], -v[182:183], v[200:201], 1.0
	v_fmac_f64_e32 v[200:201], v[200:201], v[202:203]
	v_fma_f64 v[202:203], -v[182:183], v[200:201], 1.0
	v_fmac_f64_e32 v[200:201], v[200:201], v[202:203]
	v_div_scale_f64 v[202:203], vcc, 1.0, v[180:181], 1.0
	v_mul_f64 v[204:205], v[202:203], v[200:201]
	v_fma_f64 v[182:183], -v[182:183], v[204:205], v[202:203]
	s_nop 1
	v_div_fmas_f64 v[182:183], v[182:183], v[200:201], v[204:205]
	v_div_fixup_f64 v[180:181], v[182:183], v[180:181], 1.0
	v_mul_f64 v[182:183], v[198:199], -v[180:181]
.LBB88_30:
	s_or_b64 exec, exec, s[16:17]
	v_mov_b32_e32 v194, v197
.LBB88_31:
	s_or_b64 exec, exec, s[0:1]
	v_cmp_ne_u32_e32 vcc, v193, v190
	s_and_saveexec_b64 s[0:1], vcc
	s_xor_b64 s[0:1], exec, s[0:1]
	s_cbranch_execz .LBB88_37
; %bb.32:
	v_cmp_eq_u32_e32 vcc, 1, v193
	s_and_saveexec_b64 s[16:17], vcc
	s_cbranch_execz .LBB88_36
; %bb.33:
	v_cmp_ne_u32_e32 vcc, 1, v190
	s_xor_b64 s[18:19], s[14:15], -1
	s_and_b64 s[22:23], s[18:19], vcc
	s_and_saveexec_b64 s[18:19], s[22:23]
	s_cbranch_execz .LBB88_35
; %bb.34:
	v_ashrrev_i32_e32 v191, 31, v190
	v_lshl_add_u64 v[198:199], v[190:191], 2, v[188:189]
	global_load_dword v191, v[198:199], off
	global_load_dword v193, v[188:189], off offset:4
	s_waitcnt vmcnt(1)
	global_store_dword v[188:189], v191, off offset:4
	s_waitcnt vmcnt(1)
	global_store_dword v[198:199], v193, off
.LBB88_35:
	s_or_b64 exec, exec, s[18:19]
	v_mov_b32_e32 v193, v190
	v_mov_b32_e32 v195, v190
.LBB88_36:
	s_or_b64 exec, exec, s[16:17]
.LBB88_37:
	s_andn2_saveexec_b64 s[0:1], s[0:1]
	s_cbranch_execz .LBB88_39
; %bb.38:
	v_mov_b32_e32 v193, 1
	s_waitcnt vmcnt(42)
	ds_write2_b64 v192, v[172:173], v[174:175] offset0:4 offset1:5
	s_waitcnt vmcnt(41)
	ds_write2_b64 v192, v[168:169], v[170:171] offset0:6 offset1:7
	;; [unrolled: 2-line block ×43, first 2 shown]
.LBB88_39:
	s_or_b64 exec, exec, s[0:1]
	v_cmp_lt_i32_e32 vcc, 1, v193
	s_waitcnt lgkmcnt(0)
	s_barrier
	s_and_saveexec_b64 s[0:1], vcc
	s_cbranch_execz .LBB88_41
; %bb.40:
	ds_read2_b64 v[198:201], v192 offset0:4 offset1:5
	v_mul_f64 v[190:191], v[182:183], v[114:115]
	v_mul_f64 v[114:115], v[180:181], v[114:115]
	v_fmac_f64_e32 v[114:115], v[182:183], v[112:113]
	v_fma_f64 v[190:191], v[180:181], v[112:113], -v[190:191]
	ds_read2_b64 v[180:183], v192 offset0:6 offset1:7
	s_waitcnt lgkmcnt(1)
	v_mul_f64 v[112:113], v[200:201], v[114:115]
	v_fma_f64 v[112:113], v[198:199], v[190:191], -v[112:113]
	v_mul_f64 v[198:199], v[198:199], v[114:115]
	v_fmac_f64_e32 v[198:199], v[200:201], v[190:191]
	s_waitcnt vmcnt(42)
	v_add_f64 v[174:175], v[174:175], -v[198:199]
	ds_read2_b64 v[198:201], v192 offset0:8 offset1:9
	v_add_f64 v[172:173], v[172:173], -v[112:113]
	s_waitcnt lgkmcnt(1)
	v_mul_f64 v[112:113], v[182:183], v[114:115]
	v_fma_f64 v[112:113], v[180:181], v[190:191], -v[112:113]
	v_mul_f64 v[180:181], v[180:181], v[114:115]
	v_fmac_f64_e32 v[180:181], v[182:183], v[190:191]
	s_waitcnt vmcnt(41)
	v_add_f64 v[168:169], v[168:169], -v[112:113]
	v_add_f64 v[170:171], v[170:171], -v[180:181]
	ds_read2_b64 v[180:183], v192 offset0:10 offset1:11
	s_waitcnt lgkmcnt(1)
	v_mul_f64 v[112:113], v[200:201], v[114:115]
	v_fma_f64 v[112:113], v[198:199], v[190:191], -v[112:113]
	v_mul_f64 v[198:199], v[198:199], v[114:115]
	v_fmac_f64_e32 v[198:199], v[200:201], v[190:191]
	s_waitcnt vmcnt(40)
	v_add_f64 v[166:167], v[166:167], -v[198:199]
	ds_read2_b64 v[198:201], v192 offset0:12 offset1:13
	v_add_f64 v[164:165], v[164:165], -v[112:113]
	s_waitcnt lgkmcnt(1)
	v_mul_f64 v[112:113], v[182:183], v[114:115]
	v_fma_f64 v[112:113], v[180:181], v[190:191], -v[112:113]
	v_mul_f64 v[180:181], v[180:181], v[114:115]
	v_fmac_f64_e32 v[180:181], v[182:183], v[190:191]
	s_waitcnt vmcnt(39)
	v_add_f64 v[160:161], v[160:161], -v[112:113]
	v_add_f64 v[162:163], v[162:163], -v[180:181]
	;; [unrolled: 18-line block ×21, first 2 shown]
	s_waitcnt lgkmcnt(0)
	v_mul_f64 v[112:113], v[200:201], v[114:115]
	v_mul_f64 v[180:181], v[198:199], v[114:115]
	v_fma_f64 v[112:113], v[198:199], v[190:191], -v[112:113]
	v_fmac_f64_e32 v[180:181], v[200:201], v[190:191]
	s_waitcnt vmcnt(0)
	v_add_f64 v[176:177], v[176:177], -v[112:113]
	v_add_f64 v[178:179], v[178:179], -v[180:181]
	v_mov_b64_e32 v[112:113], v[190:191]
.LBB88_41:
	s_or_b64 exec, exec, s[0:1]
	v_lshl_add_u32 v180, v193, 4, v192
	s_barrier
	s_waitcnt vmcnt(42)
	ds_write2_b64 v180, v[172:173], v[174:175] offset1:1
	s_waitcnt lgkmcnt(0)
	s_barrier
	ds_read2_b64 v[180:183], v192 offset0:4 offset1:5
	s_cmp_lt_i32 s20, 4
	v_mov_b32_e32 v190, 2
	s_cbranch_scc1 .LBB88_44
; %bb.42:
	v_add3_u32 v191, v196, 0, 48
	s_mov_b32 s16, 3
	v_mov_b32_e32 v190, 2
.LBB88_43:                              ; =>This Inner Loop Header: Depth=1
	ds_read2_b64 v[198:201], v191 offset1:1
	s_waitcnt lgkmcnt(1)
	v_xor_b32_e32 v197, 0x80000000, v181
	v_xor_b32_e32 v205, 0x80000000, v183
	v_cmp_gt_f64_e32 vcc, 0, v[182:183]
	v_cmp_gt_f64_e64 s[0:1], 0, v[180:181]
	v_mov_b32_e32 v202, v180
	v_mov_b32_e32 v204, v182
	v_cndmask_b32_e64 v203, v181, v197, s[0:1]
	v_cndmask_b32_e32 v205, v183, v205, vcc
	s_waitcnt lgkmcnt(0)
	v_xor_b32_e32 v197, 0x80000000, v199
	v_xor_b32_e32 v207, 0x80000000, v201
	v_cmp_gt_f64_e32 vcc, 0, v[200:201]
	v_cmp_gt_f64_e64 s[0:1], 0, v[198:199]
	v_add_f64 v[202:203], v[202:203], v[204:205]
	v_mov_b32_e32 v204, v198
	v_mov_b32_e32 v206, v200
	v_cndmask_b32_e64 v205, v199, v197, s[0:1]
	v_cndmask_b32_e32 v207, v201, v207, vcc
	v_add_f64 v[204:205], v[204:205], v[206:207]
	v_mov_b32_e32 v208, s16
	s_add_i32 s16, s16, 1
	v_cmp_lt_f64_e32 vcc, v[202:203], v[204:205]
	v_add_u32_e32 v191, 16, v191
	s_cmp_lg_u32 s20, s16
	v_cndmask_b32_e32 v181, v181, v199, vcc
	v_cndmask_b32_e32 v180, v180, v198, vcc
	;; [unrolled: 1-line block ×5, first 2 shown]
	s_cbranch_scc1 .LBB88_43
.LBB88_44:
	s_waitcnt lgkmcnt(0)
	v_cmp_eq_f64_e32 vcc, 0, v[180:181]
	v_cmp_eq_f64_e64 s[0:1], 0, v[182:183]
	s_and_b64 s[0:1], vcc, s[0:1]
	s_and_saveexec_b64 s[16:17], s[0:1]
	s_xor_b64 s[0:1], exec, s[16:17]
; %bb.45:
	v_cmp_ne_u32_e32 vcc, 0, v194
	s_nop 1
	v_cndmask_b32_e32 v194, 3, v194, vcc
; %bb.46:
	s_andn2_saveexec_b64 s[0:1], s[0:1]
	s_cbranch_execz .LBB88_52
; %bb.47:
	v_cmp_ngt_f64_e64 s[16:17], |v[180:181]|, |v[182:183]|
	s_and_saveexec_b64 s[18:19], s[16:17]
	s_xor_b64 s[16:17], exec, s[18:19]
	s_cbranch_execz .LBB88_49
; %bb.48:
	v_div_scale_f64 v[198:199], s[18:19], v[182:183], v[182:183], v[180:181]
	v_rcp_f64_e32 v[200:201], v[198:199]
	v_div_scale_f64 v[202:203], vcc, v[180:181], v[182:183], v[180:181]
	v_fma_f64 v[204:205], -v[198:199], v[200:201], 1.0
	v_fmac_f64_e32 v[200:201], v[200:201], v[204:205]
	v_fma_f64 v[204:205], -v[198:199], v[200:201], 1.0
	v_fmac_f64_e32 v[200:201], v[200:201], v[204:205]
	v_mul_f64 v[204:205], v[202:203], v[200:201]
	v_fma_f64 v[198:199], -v[198:199], v[204:205], v[202:203]
	v_div_fmas_f64 v[198:199], v[198:199], v[200:201], v[204:205]
	v_div_fixup_f64 v[198:199], v[198:199], v[182:183], v[180:181]
	v_fmac_f64_e32 v[182:183], v[180:181], v[198:199]
	v_div_scale_f64 v[180:181], s[18:19], v[182:183], v[182:183], 1.0
	v_rcp_f64_e32 v[200:201], v[180:181]
	s_nop 0
	v_fma_f64 v[202:203], -v[180:181], v[200:201], 1.0
	v_fmac_f64_e32 v[200:201], v[200:201], v[202:203]
	v_fma_f64 v[202:203], -v[180:181], v[200:201], 1.0
	v_fmac_f64_e32 v[200:201], v[200:201], v[202:203]
	v_div_scale_f64 v[202:203], vcc, 1.0, v[182:183], 1.0
	v_mul_f64 v[204:205], v[202:203], v[200:201]
	v_fma_f64 v[180:181], -v[180:181], v[204:205], v[202:203]
	s_nop 1
	v_div_fmas_f64 v[180:181], v[180:181], v[200:201], v[204:205]
	v_div_fixup_f64 v[182:183], v[180:181], v[182:183], 1.0
	v_mul_f64 v[180:181], v[198:199], v[182:183]
	v_xor_b32_e32 v183, 0x80000000, v183
.LBB88_49:
	s_andn2_saveexec_b64 s[16:17], s[16:17]
	s_cbranch_execz .LBB88_51
; %bb.50:
	v_div_scale_f64 v[198:199], s[18:19], v[180:181], v[180:181], v[182:183]
	v_rcp_f64_e32 v[200:201], v[198:199]
	v_div_scale_f64 v[202:203], vcc, v[182:183], v[180:181], v[182:183]
	v_fma_f64 v[204:205], -v[198:199], v[200:201], 1.0
	v_fmac_f64_e32 v[200:201], v[200:201], v[204:205]
	v_fma_f64 v[204:205], -v[198:199], v[200:201], 1.0
	v_fmac_f64_e32 v[200:201], v[200:201], v[204:205]
	v_mul_f64 v[204:205], v[202:203], v[200:201]
	v_fma_f64 v[198:199], -v[198:199], v[204:205], v[202:203]
	v_div_fmas_f64 v[198:199], v[198:199], v[200:201], v[204:205]
	v_div_fixup_f64 v[198:199], v[198:199], v[180:181], v[182:183]
	v_fmac_f64_e32 v[180:181], v[182:183], v[198:199]
	v_div_scale_f64 v[182:183], s[18:19], v[180:181], v[180:181], 1.0
	v_rcp_f64_e32 v[200:201], v[182:183]
	s_nop 0
	v_fma_f64 v[202:203], -v[182:183], v[200:201], 1.0
	v_fmac_f64_e32 v[200:201], v[200:201], v[202:203]
	v_fma_f64 v[202:203], -v[182:183], v[200:201], 1.0
	v_fmac_f64_e32 v[200:201], v[200:201], v[202:203]
	v_div_scale_f64 v[202:203], vcc, 1.0, v[180:181], 1.0
	v_mul_f64 v[204:205], v[202:203], v[200:201]
	v_fma_f64 v[182:183], -v[182:183], v[204:205], v[202:203]
	s_nop 1
	v_div_fmas_f64 v[182:183], v[182:183], v[200:201], v[204:205]
	v_div_fixup_f64 v[180:181], v[182:183], v[180:181], 1.0
	v_mul_f64 v[182:183], v[198:199], -v[180:181]
.LBB88_51:
	s_or_b64 exec, exec, s[16:17]
.LBB88_52:
	s_or_b64 exec, exec, s[0:1]
	v_cmp_ne_u32_e32 vcc, v193, v190
	s_and_saveexec_b64 s[0:1], vcc
	s_xor_b64 s[0:1], exec, s[0:1]
	s_cbranch_execz .LBB88_58
; %bb.53:
	v_cmp_eq_u32_e32 vcc, 2, v193
	s_and_saveexec_b64 s[16:17], vcc
	s_cbranch_execz .LBB88_57
; %bb.54:
	v_cmp_ne_u32_e32 vcc, 2, v190
	s_xor_b64 s[18:19], s[14:15], -1
	s_and_b64 s[22:23], s[18:19], vcc
	s_and_saveexec_b64 s[18:19], s[22:23]
	s_cbranch_execz .LBB88_56
; %bb.55:
	v_ashrrev_i32_e32 v191, 31, v190
	v_lshl_add_u64 v[198:199], v[190:191], 2, v[188:189]
	global_load_dword v191, v[198:199], off
	global_load_dword v193, v[188:189], off offset:8
	s_waitcnt vmcnt(1)
	global_store_dword v[188:189], v191, off offset:8
	s_waitcnt vmcnt(1)
	global_store_dword v[198:199], v193, off
.LBB88_56:
	s_or_b64 exec, exec, s[18:19]
	v_mov_b32_e32 v193, v190
	v_mov_b32_e32 v195, v190
.LBB88_57:
	s_or_b64 exec, exec, s[16:17]
.LBB88_58:
	s_andn2_saveexec_b64 s[0:1], s[0:1]
	s_cbranch_execz .LBB88_60
; %bb.59:
	v_mov_b32_e32 v193, 2
	s_waitcnt vmcnt(41)
	ds_write2_b64 v192, v[168:169], v[170:171] offset0:6 offset1:7
	s_waitcnt vmcnt(40)
	ds_write2_b64 v192, v[164:165], v[166:167] offset0:8 offset1:9
	;; [unrolled: 2-line block ×42, first 2 shown]
.LBB88_60:
	s_or_b64 exec, exec, s[0:1]
	v_cmp_lt_i32_e32 vcc, 2, v193
	s_waitcnt lgkmcnt(0)
	s_barrier
	s_and_saveexec_b64 s[0:1], vcc
	s_cbranch_execz .LBB88_62
; %bb.61:
	ds_read2_b64 v[198:201], v192 offset0:6 offset1:7
	v_mul_f64 v[190:191], v[182:183], v[174:175]
	v_mul_f64 v[174:175], v[180:181], v[174:175]
	v_fma_f64 v[190:191], v[180:181], v[172:173], -v[190:191]
	v_fmac_f64_e32 v[174:175], v[182:183], v[172:173]
	ds_read2_b64 v[180:183], v192 offset0:8 offset1:9
	s_waitcnt lgkmcnt(1)
	v_mul_f64 v[172:173], v[200:201], v[174:175]
	v_fma_f64 v[172:173], v[198:199], v[190:191], -v[172:173]
	v_mul_f64 v[198:199], v[198:199], v[174:175]
	v_fmac_f64_e32 v[198:199], v[200:201], v[190:191]
	s_waitcnt vmcnt(41)
	v_add_f64 v[168:169], v[168:169], -v[172:173]
	s_waitcnt lgkmcnt(0)
	v_mul_f64 v[172:173], v[182:183], v[174:175]
	v_add_f64 v[170:171], v[170:171], -v[198:199]
	v_fma_f64 v[172:173], v[180:181], v[190:191], -v[172:173]
	v_mul_f64 v[180:181], v[180:181], v[174:175]
	ds_read2_b64 v[198:201], v192 offset0:10 offset1:11
	v_fmac_f64_e32 v[180:181], v[182:183], v[190:191]
	s_waitcnt vmcnt(40)
	v_add_f64 v[166:167], v[166:167], -v[180:181]
	ds_read2_b64 v[180:183], v192 offset0:12 offset1:13
	v_add_f64 v[164:165], v[164:165], -v[172:173]
	s_waitcnt lgkmcnt(1)
	v_mul_f64 v[172:173], v[200:201], v[174:175]
	v_fma_f64 v[172:173], v[198:199], v[190:191], -v[172:173]
	v_mul_f64 v[198:199], v[198:199], v[174:175]
	v_fmac_f64_e32 v[198:199], v[200:201], v[190:191]
	s_waitcnt vmcnt(39)
	v_add_f64 v[160:161], v[160:161], -v[172:173]
	s_waitcnt lgkmcnt(0)
	v_mul_f64 v[172:173], v[182:183], v[174:175]
	v_add_f64 v[162:163], v[162:163], -v[198:199]
	v_fma_f64 v[172:173], v[180:181], v[190:191], -v[172:173]
	v_mul_f64 v[180:181], v[180:181], v[174:175]
	ds_read2_b64 v[198:201], v192 offset0:14 offset1:15
	v_fmac_f64_e32 v[180:181], v[182:183], v[190:191]
	s_waitcnt vmcnt(38)
	v_add_f64 v[158:159], v[158:159], -v[180:181]
	ds_read2_b64 v[180:183], v192 offset0:16 offset1:17
	v_add_f64 v[156:157], v[156:157], -v[172:173]
	s_waitcnt lgkmcnt(1)
	v_mul_f64 v[172:173], v[200:201], v[174:175]
	v_fma_f64 v[172:173], v[198:199], v[190:191], -v[172:173]
	v_mul_f64 v[198:199], v[198:199], v[174:175]
	v_fmac_f64_e32 v[198:199], v[200:201], v[190:191]
	s_waitcnt vmcnt(37)
	v_add_f64 v[152:153], v[152:153], -v[172:173]
	s_waitcnt lgkmcnt(0)
	v_mul_f64 v[172:173], v[182:183], v[174:175]
	v_add_f64 v[154:155], v[154:155], -v[198:199]
	v_fma_f64 v[172:173], v[180:181], v[190:191], -v[172:173]
	v_mul_f64 v[180:181], v[180:181], v[174:175]
	ds_read2_b64 v[198:201], v192 offset0:18 offset1:19
	v_fmac_f64_e32 v[180:181], v[182:183], v[190:191]
	s_waitcnt vmcnt(36)
	v_add_f64 v[150:151], v[150:151], -v[180:181]
	ds_read2_b64 v[180:183], v192 offset0:20 offset1:21
	v_add_f64 v[148:149], v[148:149], -v[172:173]
	s_waitcnt lgkmcnt(1)
	v_mul_f64 v[172:173], v[200:201], v[174:175]
	v_fma_f64 v[172:173], v[198:199], v[190:191], -v[172:173]
	v_mul_f64 v[198:199], v[198:199], v[174:175]
	v_fmac_f64_e32 v[198:199], v[200:201], v[190:191]
	s_waitcnt vmcnt(35)
	v_add_f64 v[144:145], v[144:145], -v[172:173]
	s_waitcnt lgkmcnt(0)
	v_mul_f64 v[172:173], v[182:183], v[174:175]
	v_add_f64 v[146:147], v[146:147], -v[198:199]
	v_fma_f64 v[172:173], v[180:181], v[190:191], -v[172:173]
	v_mul_f64 v[180:181], v[180:181], v[174:175]
	ds_read2_b64 v[198:201], v192 offset0:22 offset1:23
	v_fmac_f64_e32 v[180:181], v[182:183], v[190:191]
	s_waitcnt vmcnt(34)
	v_add_f64 v[142:143], v[142:143], -v[180:181]
	ds_read2_b64 v[180:183], v192 offset0:24 offset1:25
	v_add_f64 v[140:141], v[140:141], -v[172:173]
	s_waitcnt lgkmcnt(1)
	v_mul_f64 v[172:173], v[200:201], v[174:175]
	v_fma_f64 v[172:173], v[198:199], v[190:191], -v[172:173]
	v_mul_f64 v[198:199], v[198:199], v[174:175]
	v_fmac_f64_e32 v[198:199], v[200:201], v[190:191]
	s_waitcnt vmcnt(33)
	v_add_f64 v[136:137], v[136:137], -v[172:173]
	s_waitcnt lgkmcnt(0)
	v_mul_f64 v[172:173], v[182:183], v[174:175]
	v_add_f64 v[138:139], v[138:139], -v[198:199]
	v_fma_f64 v[172:173], v[180:181], v[190:191], -v[172:173]
	v_mul_f64 v[180:181], v[180:181], v[174:175]
	ds_read2_b64 v[198:201], v192 offset0:26 offset1:27
	v_fmac_f64_e32 v[180:181], v[182:183], v[190:191]
	s_waitcnt vmcnt(32)
	v_add_f64 v[134:135], v[134:135], -v[180:181]
	ds_read2_b64 v[180:183], v192 offset0:28 offset1:29
	v_add_f64 v[132:133], v[132:133], -v[172:173]
	s_waitcnt lgkmcnt(1)
	v_mul_f64 v[172:173], v[200:201], v[174:175]
	v_fma_f64 v[172:173], v[198:199], v[190:191], -v[172:173]
	v_mul_f64 v[198:199], v[198:199], v[174:175]
	v_fmac_f64_e32 v[198:199], v[200:201], v[190:191]
	s_waitcnt vmcnt(31)
	v_add_f64 v[128:129], v[128:129], -v[172:173]
	s_waitcnt lgkmcnt(0)
	v_mul_f64 v[172:173], v[182:183], v[174:175]
	v_add_f64 v[130:131], v[130:131], -v[198:199]
	v_fma_f64 v[172:173], v[180:181], v[190:191], -v[172:173]
	v_mul_f64 v[180:181], v[180:181], v[174:175]
	ds_read2_b64 v[198:201], v192 offset0:30 offset1:31
	v_fmac_f64_e32 v[180:181], v[182:183], v[190:191]
	s_waitcnt vmcnt(30)
	v_add_f64 v[126:127], v[126:127], -v[180:181]
	ds_read2_b64 v[180:183], v192 offset0:32 offset1:33
	v_add_f64 v[124:125], v[124:125], -v[172:173]
	s_waitcnt lgkmcnt(1)
	v_mul_f64 v[172:173], v[200:201], v[174:175]
	v_fma_f64 v[172:173], v[198:199], v[190:191], -v[172:173]
	v_mul_f64 v[198:199], v[198:199], v[174:175]
	v_fmac_f64_e32 v[198:199], v[200:201], v[190:191]
	s_waitcnt vmcnt(29)
	v_add_f64 v[116:117], v[116:117], -v[172:173]
	s_waitcnt lgkmcnt(0)
	v_mul_f64 v[172:173], v[182:183], v[174:175]
	v_add_f64 v[118:119], v[118:119], -v[198:199]
	v_fma_f64 v[172:173], v[180:181], v[190:191], -v[172:173]
	v_mul_f64 v[180:181], v[180:181], v[174:175]
	ds_read2_b64 v[198:201], v192 offset0:34 offset1:35
	v_fmac_f64_e32 v[180:181], v[182:183], v[190:191]
	s_waitcnt vmcnt(28)
	v_add_f64 v[110:111], v[110:111], -v[180:181]
	ds_read2_b64 v[180:183], v192 offset0:36 offset1:37
	v_add_f64 v[108:109], v[108:109], -v[172:173]
	s_waitcnt lgkmcnt(1)
	v_mul_f64 v[172:173], v[200:201], v[174:175]
	v_fma_f64 v[172:173], v[198:199], v[190:191], -v[172:173]
	v_mul_f64 v[198:199], v[198:199], v[174:175]
	v_fmac_f64_e32 v[198:199], v[200:201], v[190:191]
	s_waitcnt vmcnt(27)
	v_add_f64 v[104:105], v[104:105], -v[172:173]
	s_waitcnt lgkmcnt(0)
	v_mul_f64 v[172:173], v[182:183], v[174:175]
	v_add_f64 v[106:107], v[106:107], -v[198:199]
	v_fma_f64 v[172:173], v[180:181], v[190:191], -v[172:173]
	v_mul_f64 v[180:181], v[180:181], v[174:175]
	ds_read2_b64 v[198:201], v192 offset0:38 offset1:39
	v_fmac_f64_e32 v[180:181], v[182:183], v[190:191]
	s_waitcnt vmcnt(26)
	v_add_f64 v[102:103], v[102:103], -v[180:181]
	ds_read2_b64 v[180:183], v192 offset0:40 offset1:41
	v_add_f64 v[100:101], v[100:101], -v[172:173]
	s_waitcnt lgkmcnt(1)
	v_mul_f64 v[172:173], v[200:201], v[174:175]
	v_fma_f64 v[172:173], v[198:199], v[190:191], -v[172:173]
	v_mul_f64 v[198:199], v[198:199], v[174:175]
	v_fmac_f64_e32 v[198:199], v[200:201], v[190:191]
	s_waitcnt vmcnt(25)
	v_add_f64 v[96:97], v[96:97], -v[172:173]
	s_waitcnt lgkmcnt(0)
	v_mul_f64 v[172:173], v[182:183], v[174:175]
	v_add_f64 v[98:99], v[98:99], -v[198:199]
	v_fma_f64 v[172:173], v[180:181], v[190:191], -v[172:173]
	v_mul_f64 v[180:181], v[180:181], v[174:175]
	ds_read2_b64 v[198:201], v192 offset0:42 offset1:43
	v_fmac_f64_e32 v[180:181], v[182:183], v[190:191]
	s_waitcnt vmcnt(24)
	v_add_f64 v[94:95], v[94:95], -v[180:181]
	ds_read2_b64 v[180:183], v192 offset0:44 offset1:45
	v_add_f64 v[92:93], v[92:93], -v[172:173]
	s_waitcnt lgkmcnt(1)
	v_mul_f64 v[172:173], v[200:201], v[174:175]
	v_fma_f64 v[172:173], v[198:199], v[190:191], -v[172:173]
	v_mul_f64 v[198:199], v[198:199], v[174:175]
	v_fmac_f64_e32 v[198:199], v[200:201], v[190:191]
	s_waitcnt vmcnt(23)
	v_add_f64 v[88:89], v[88:89], -v[172:173]
	s_waitcnt lgkmcnt(0)
	v_mul_f64 v[172:173], v[182:183], v[174:175]
	v_add_f64 v[90:91], v[90:91], -v[198:199]
	v_fma_f64 v[172:173], v[180:181], v[190:191], -v[172:173]
	v_mul_f64 v[180:181], v[180:181], v[174:175]
	ds_read2_b64 v[198:201], v192 offset0:46 offset1:47
	v_fmac_f64_e32 v[180:181], v[182:183], v[190:191]
	s_waitcnt vmcnt(22)
	v_add_f64 v[86:87], v[86:87], -v[180:181]
	ds_read2_b64 v[180:183], v192 offset0:48 offset1:49
	v_add_f64 v[84:85], v[84:85], -v[172:173]
	s_waitcnt lgkmcnt(1)
	v_mul_f64 v[172:173], v[200:201], v[174:175]
	v_fma_f64 v[172:173], v[198:199], v[190:191], -v[172:173]
	v_mul_f64 v[198:199], v[198:199], v[174:175]
	v_fmac_f64_e32 v[198:199], v[200:201], v[190:191]
	s_waitcnt vmcnt(21)
	v_add_f64 v[80:81], v[80:81], -v[172:173]
	s_waitcnt lgkmcnt(0)
	v_mul_f64 v[172:173], v[182:183], v[174:175]
	v_add_f64 v[82:83], v[82:83], -v[198:199]
	v_fma_f64 v[172:173], v[180:181], v[190:191], -v[172:173]
	v_mul_f64 v[180:181], v[180:181], v[174:175]
	ds_read2_b64 v[198:201], v192 offset0:50 offset1:51
	v_fmac_f64_e32 v[180:181], v[182:183], v[190:191]
	s_waitcnt vmcnt(20)
	v_add_f64 v[78:79], v[78:79], -v[180:181]
	ds_read2_b64 v[180:183], v192 offset0:52 offset1:53
	v_add_f64 v[76:77], v[76:77], -v[172:173]
	s_waitcnt lgkmcnt(1)
	v_mul_f64 v[172:173], v[200:201], v[174:175]
	v_fma_f64 v[172:173], v[198:199], v[190:191], -v[172:173]
	v_mul_f64 v[198:199], v[198:199], v[174:175]
	v_fmac_f64_e32 v[198:199], v[200:201], v[190:191]
	s_waitcnt vmcnt(19)
	v_add_f64 v[72:73], v[72:73], -v[172:173]
	s_waitcnt lgkmcnt(0)
	v_mul_f64 v[172:173], v[182:183], v[174:175]
	v_add_f64 v[74:75], v[74:75], -v[198:199]
	v_fma_f64 v[172:173], v[180:181], v[190:191], -v[172:173]
	v_mul_f64 v[180:181], v[180:181], v[174:175]
	ds_read2_b64 v[198:201], v192 offset0:54 offset1:55
	v_fmac_f64_e32 v[180:181], v[182:183], v[190:191]
	s_waitcnt vmcnt(18)
	v_add_f64 v[70:71], v[70:71], -v[180:181]
	ds_read2_b64 v[180:183], v192 offset0:56 offset1:57
	v_add_f64 v[68:69], v[68:69], -v[172:173]
	s_waitcnt lgkmcnt(1)
	v_mul_f64 v[172:173], v[200:201], v[174:175]
	v_fma_f64 v[172:173], v[198:199], v[190:191], -v[172:173]
	v_mul_f64 v[198:199], v[198:199], v[174:175]
	v_fmac_f64_e32 v[198:199], v[200:201], v[190:191]
	s_waitcnt vmcnt(17)
	v_add_f64 v[64:65], v[64:65], -v[172:173]
	s_waitcnt lgkmcnt(0)
	v_mul_f64 v[172:173], v[182:183], v[174:175]
	v_add_f64 v[66:67], v[66:67], -v[198:199]
	v_fma_f64 v[172:173], v[180:181], v[190:191], -v[172:173]
	v_mul_f64 v[180:181], v[180:181], v[174:175]
	ds_read2_b64 v[198:201], v192 offset0:58 offset1:59
	v_fmac_f64_e32 v[180:181], v[182:183], v[190:191]
	s_waitcnt vmcnt(16)
	v_add_f64 v[62:63], v[62:63], -v[180:181]
	ds_read2_b64 v[180:183], v192 offset0:60 offset1:61
	v_add_f64 v[60:61], v[60:61], -v[172:173]
	s_waitcnt lgkmcnt(1)
	v_mul_f64 v[172:173], v[200:201], v[174:175]
	v_fma_f64 v[172:173], v[198:199], v[190:191], -v[172:173]
	v_mul_f64 v[198:199], v[198:199], v[174:175]
	v_fmac_f64_e32 v[198:199], v[200:201], v[190:191]
	s_waitcnt vmcnt(15)
	v_add_f64 v[56:57], v[56:57], -v[172:173]
	s_waitcnt lgkmcnt(0)
	v_mul_f64 v[172:173], v[182:183], v[174:175]
	v_add_f64 v[58:59], v[58:59], -v[198:199]
	v_fma_f64 v[172:173], v[180:181], v[190:191], -v[172:173]
	v_mul_f64 v[180:181], v[180:181], v[174:175]
	ds_read2_b64 v[198:201], v192 offset0:62 offset1:63
	v_fmac_f64_e32 v[180:181], v[182:183], v[190:191]
	s_waitcnt vmcnt(14)
	v_add_f64 v[54:55], v[54:55], -v[180:181]
	ds_read2_b64 v[180:183], v192 offset0:64 offset1:65
	v_add_f64 v[52:53], v[52:53], -v[172:173]
	s_waitcnt lgkmcnt(1)
	v_mul_f64 v[172:173], v[200:201], v[174:175]
	v_fma_f64 v[172:173], v[198:199], v[190:191], -v[172:173]
	v_mul_f64 v[198:199], v[198:199], v[174:175]
	v_fmac_f64_e32 v[198:199], v[200:201], v[190:191]
	s_waitcnt vmcnt(13)
	v_add_f64 v[48:49], v[48:49], -v[172:173]
	s_waitcnt lgkmcnt(0)
	v_mul_f64 v[172:173], v[182:183], v[174:175]
	v_add_f64 v[50:51], v[50:51], -v[198:199]
	v_fma_f64 v[172:173], v[180:181], v[190:191], -v[172:173]
	v_mul_f64 v[180:181], v[180:181], v[174:175]
	ds_read2_b64 v[198:201], v192 offset0:66 offset1:67
	v_fmac_f64_e32 v[180:181], v[182:183], v[190:191]
	s_waitcnt vmcnt(12)
	v_add_f64 v[46:47], v[46:47], -v[180:181]
	ds_read2_b64 v[180:183], v192 offset0:68 offset1:69
	v_add_f64 v[44:45], v[44:45], -v[172:173]
	s_waitcnt lgkmcnt(1)
	v_mul_f64 v[172:173], v[200:201], v[174:175]
	v_fma_f64 v[172:173], v[198:199], v[190:191], -v[172:173]
	v_mul_f64 v[198:199], v[198:199], v[174:175]
	v_fmac_f64_e32 v[198:199], v[200:201], v[190:191]
	s_waitcnt vmcnt(11)
	v_add_f64 v[40:41], v[40:41], -v[172:173]
	s_waitcnt lgkmcnt(0)
	v_mul_f64 v[172:173], v[182:183], v[174:175]
	v_add_f64 v[42:43], v[42:43], -v[198:199]
	v_fma_f64 v[172:173], v[180:181], v[190:191], -v[172:173]
	v_mul_f64 v[180:181], v[180:181], v[174:175]
	ds_read2_b64 v[198:201], v192 offset0:70 offset1:71
	v_fmac_f64_e32 v[180:181], v[182:183], v[190:191]
	s_waitcnt vmcnt(10)
	v_add_f64 v[38:39], v[38:39], -v[180:181]
	ds_read2_b64 v[180:183], v192 offset0:72 offset1:73
	v_add_f64 v[36:37], v[36:37], -v[172:173]
	s_waitcnt lgkmcnt(1)
	v_mul_f64 v[172:173], v[200:201], v[174:175]
	v_fma_f64 v[172:173], v[198:199], v[190:191], -v[172:173]
	v_mul_f64 v[198:199], v[198:199], v[174:175]
	v_fmac_f64_e32 v[198:199], v[200:201], v[190:191]
	s_waitcnt vmcnt(9)
	v_add_f64 v[32:33], v[32:33], -v[172:173]
	s_waitcnt lgkmcnt(0)
	v_mul_f64 v[172:173], v[182:183], v[174:175]
	v_add_f64 v[34:35], v[34:35], -v[198:199]
	v_fma_f64 v[172:173], v[180:181], v[190:191], -v[172:173]
	v_mul_f64 v[180:181], v[180:181], v[174:175]
	ds_read2_b64 v[198:201], v192 offset0:74 offset1:75
	v_fmac_f64_e32 v[180:181], v[182:183], v[190:191]
	s_waitcnt vmcnt(8)
	v_add_f64 v[30:31], v[30:31], -v[180:181]
	ds_read2_b64 v[180:183], v192 offset0:76 offset1:77
	v_add_f64 v[28:29], v[28:29], -v[172:173]
	s_waitcnt lgkmcnt(1)
	v_mul_f64 v[172:173], v[200:201], v[174:175]
	v_fma_f64 v[172:173], v[198:199], v[190:191], -v[172:173]
	v_mul_f64 v[198:199], v[198:199], v[174:175]
	v_fmac_f64_e32 v[198:199], v[200:201], v[190:191]
	s_waitcnt vmcnt(7)
	v_add_f64 v[24:25], v[24:25], -v[172:173]
	s_waitcnt lgkmcnt(0)
	v_mul_f64 v[172:173], v[182:183], v[174:175]
	v_add_f64 v[26:27], v[26:27], -v[198:199]
	v_fma_f64 v[172:173], v[180:181], v[190:191], -v[172:173]
	v_mul_f64 v[180:181], v[180:181], v[174:175]
	ds_read2_b64 v[198:201], v192 offset0:78 offset1:79
	v_fmac_f64_e32 v[180:181], v[182:183], v[190:191]
	s_waitcnt vmcnt(6)
	v_add_f64 v[22:23], v[22:23], -v[180:181]
	ds_read2_b64 v[180:183], v192 offset0:80 offset1:81
	v_add_f64 v[20:21], v[20:21], -v[172:173]
	s_waitcnt lgkmcnt(1)
	v_mul_f64 v[172:173], v[200:201], v[174:175]
	v_fma_f64 v[172:173], v[198:199], v[190:191], -v[172:173]
	v_mul_f64 v[198:199], v[198:199], v[174:175]
	v_fmac_f64_e32 v[198:199], v[200:201], v[190:191]
	s_waitcnt vmcnt(5)
	v_add_f64 v[16:17], v[16:17], -v[172:173]
	s_waitcnt lgkmcnt(0)
	v_mul_f64 v[172:173], v[182:183], v[174:175]
	v_add_f64 v[18:19], v[18:19], -v[198:199]
	v_fma_f64 v[172:173], v[180:181], v[190:191], -v[172:173]
	v_mul_f64 v[180:181], v[180:181], v[174:175]
	ds_read2_b64 v[198:201], v192 offset0:82 offset1:83
	v_fmac_f64_e32 v[180:181], v[182:183], v[190:191]
	s_waitcnt vmcnt(4)
	v_add_f64 v[14:15], v[14:15], -v[180:181]
	ds_read2_b64 v[180:183], v192 offset0:84 offset1:85
	v_add_f64 v[12:13], v[12:13], -v[172:173]
	s_waitcnt lgkmcnt(1)
	v_mul_f64 v[172:173], v[200:201], v[174:175]
	v_fma_f64 v[172:173], v[198:199], v[190:191], -v[172:173]
	v_mul_f64 v[198:199], v[198:199], v[174:175]
	v_fmac_f64_e32 v[198:199], v[200:201], v[190:191]
	s_waitcnt vmcnt(3)
	v_add_f64 v[8:9], v[8:9], -v[172:173]
	s_waitcnt lgkmcnt(0)
	v_mul_f64 v[172:173], v[182:183], v[174:175]
	v_add_f64 v[10:11], v[10:11], -v[198:199]
	v_fma_f64 v[172:173], v[180:181], v[190:191], -v[172:173]
	v_mul_f64 v[180:181], v[180:181], v[174:175]
	ds_read2_b64 v[198:201], v192 offset0:86 offset1:87
	v_fmac_f64_e32 v[180:181], v[182:183], v[190:191]
	s_waitcnt vmcnt(2)
	v_add_f64 v[6:7], v[6:7], -v[180:181]
	ds_read2_b64 v[180:183], v192 offset0:88 offset1:89
	v_add_f64 v[4:5], v[4:5], -v[172:173]
	s_waitcnt lgkmcnt(1)
	v_mul_f64 v[172:173], v[200:201], v[174:175]
	v_fma_f64 v[172:173], v[198:199], v[190:191], -v[172:173]
	s_waitcnt vmcnt(1)
	v_add_f64 v[0:1], v[0:1], -v[172:173]
	s_waitcnt lgkmcnt(0)
	v_mul_f64 v[172:173], v[182:183], v[174:175]
	v_mul_f64 v[198:199], v[198:199], v[174:175]
	v_fma_f64 v[172:173], v[180:181], v[190:191], -v[172:173]
	v_mul_f64 v[180:181], v[180:181], v[174:175]
	v_fmac_f64_e32 v[198:199], v[200:201], v[190:191]
	v_fmac_f64_e32 v[180:181], v[182:183], v[190:191]
	v_add_f64 v[2:3], v[2:3], -v[198:199]
	s_waitcnt vmcnt(0)
	v_add_f64 v[176:177], v[176:177], -v[172:173]
	v_add_f64 v[178:179], v[178:179], -v[180:181]
	v_mov_b64_e32 v[172:173], v[190:191]
.LBB88_62:
	s_or_b64 exec, exec, s[0:1]
	v_lshl_add_u32 v180, v193, 4, v192
	s_barrier
	s_waitcnt vmcnt(41)
	ds_write2_b64 v180, v[168:169], v[170:171] offset1:1
	s_waitcnt lgkmcnt(0)
	s_barrier
	ds_read2_b64 v[180:183], v192 offset0:6 offset1:7
	s_mov_b32 s16, 4
	s_cmp_lt_i32 s20, 5
	v_mov_b32_e32 v190, 3
	s_cbranch_scc1 .LBB88_65
; %bb.63:
	v_add3_u32 v191, v196, 0, 64
	v_mov_b32_e32 v190, 3
.LBB88_64:                              ; =>This Inner Loop Header: Depth=1
	ds_read2_b64 v[196:199], v191 offset1:1
	s_waitcnt lgkmcnt(1)
	v_xor_b32_e32 v201, 0x80000000, v181
	v_xor_b32_e32 v203, 0x80000000, v183
	v_cmp_gt_f64_e32 vcc, 0, v[182:183]
	v_cmp_gt_f64_e64 s[0:1], 0, v[180:181]
	v_mov_b32_e32 v200, v180
	v_mov_b32_e32 v202, v182
	v_cndmask_b32_e64 v201, v181, v201, s[0:1]
	v_cndmask_b32_e32 v203, v183, v203, vcc
	v_add_f64 v[200:201], v[200:201], v[202:203]
	s_waitcnt lgkmcnt(0)
	v_xor_b32_e32 v203, 0x80000000, v197
	v_xor_b32_e32 v205, 0x80000000, v199
	v_cmp_gt_f64_e32 vcc, 0, v[198:199]
	v_cmp_gt_f64_e64 s[0:1], 0, v[196:197]
	v_mov_b32_e32 v202, v196
	v_mov_b32_e32 v204, v198
	v_cndmask_b32_e64 v203, v197, v203, s[0:1]
	v_cndmask_b32_e32 v205, v199, v205, vcc
	v_add_f64 v[202:203], v[202:203], v[204:205]
	v_mov_b32_e32 v206, s16
	s_add_i32 s16, s16, 1
	v_cmp_lt_f64_e32 vcc, v[200:201], v[202:203]
	v_add_u32_e32 v191, 16, v191
	s_cmp_lg_u32 s20, s16
	v_cndmask_b32_e32 v181, v181, v197, vcc
	v_cndmask_b32_e32 v180, v180, v196, vcc
	;; [unrolled: 1-line block ×5, first 2 shown]
	s_cbranch_scc1 .LBB88_64
.LBB88_65:
	s_waitcnt lgkmcnt(0)
	v_cmp_eq_f64_e32 vcc, 0, v[180:181]
	v_cmp_eq_f64_e64 s[0:1], 0, v[182:183]
	s_and_b64 s[0:1], vcc, s[0:1]
	s_and_saveexec_b64 s[16:17], s[0:1]
	s_xor_b64 s[0:1], exec, s[16:17]
; %bb.66:
	v_cmp_ne_u32_e32 vcc, 0, v194
	s_nop 1
	v_cndmask_b32_e32 v194, 4, v194, vcc
; %bb.67:
	s_andn2_saveexec_b64 s[0:1], s[0:1]
	s_cbranch_execz .LBB88_73
; %bb.68:
	v_cmp_ngt_f64_e64 s[16:17], |v[180:181]|, |v[182:183]|
	s_and_saveexec_b64 s[18:19], s[16:17]
	s_xor_b64 s[16:17], exec, s[18:19]
	s_cbranch_execz .LBB88_70
; %bb.69:
	v_div_scale_f64 v[196:197], s[18:19], v[182:183], v[182:183], v[180:181]
	v_rcp_f64_e32 v[198:199], v[196:197]
	v_div_scale_f64 v[200:201], vcc, v[180:181], v[182:183], v[180:181]
	v_fma_f64 v[202:203], -v[196:197], v[198:199], 1.0
	v_fmac_f64_e32 v[198:199], v[198:199], v[202:203]
	v_fma_f64 v[202:203], -v[196:197], v[198:199], 1.0
	v_fmac_f64_e32 v[198:199], v[198:199], v[202:203]
	v_mul_f64 v[202:203], v[200:201], v[198:199]
	v_fma_f64 v[196:197], -v[196:197], v[202:203], v[200:201]
	v_div_fmas_f64 v[196:197], v[196:197], v[198:199], v[202:203]
	v_div_fixup_f64 v[196:197], v[196:197], v[182:183], v[180:181]
	v_fmac_f64_e32 v[182:183], v[180:181], v[196:197]
	v_div_scale_f64 v[180:181], s[18:19], v[182:183], v[182:183], 1.0
	v_rcp_f64_e32 v[198:199], v[180:181]
	s_nop 0
	v_fma_f64 v[200:201], -v[180:181], v[198:199], 1.0
	v_fmac_f64_e32 v[198:199], v[198:199], v[200:201]
	v_fma_f64 v[200:201], -v[180:181], v[198:199], 1.0
	v_fmac_f64_e32 v[198:199], v[198:199], v[200:201]
	v_div_scale_f64 v[200:201], vcc, 1.0, v[182:183], 1.0
	v_mul_f64 v[202:203], v[200:201], v[198:199]
	v_fma_f64 v[180:181], -v[180:181], v[202:203], v[200:201]
	s_nop 1
	v_div_fmas_f64 v[180:181], v[180:181], v[198:199], v[202:203]
	v_div_fixup_f64 v[182:183], v[180:181], v[182:183], 1.0
	v_mul_f64 v[180:181], v[196:197], v[182:183]
	v_xor_b32_e32 v183, 0x80000000, v183
.LBB88_70:
	s_andn2_saveexec_b64 s[16:17], s[16:17]
	s_cbranch_execz .LBB88_72
; %bb.71:
	v_div_scale_f64 v[196:197], s[18:19], v[180:181], v[180:181], v[182:183]
	v_rcp_f64_e32 v[198:199], v[196:197]
	v_div_scale_f64 v[200:201], vcc, v[182:183], v[180:181], v[182:183]
	v_fma_f64 v[202:203], -v[196:197], v[198:199], 1.0
	v_fmac_f64_e32 v[198:199], v[198:199], v[202:203]
	v_fma_f64 v[202:203], -v[196:197], v[198:199], 1.0
	v_fmac_f64_e32 v[198:199], v[198:199], v[202:203]
	v_mul_f64 v[202:203], v[200:201], v[198:199]
	v_fma_f64 v[196:197], -v[196:197], v[202:203], v[200:201]
	v_div_fmas_f64 v[196:197], v[196:197], v[198:199], v[202:203]
	v_div_fixup_f64 v[196:197], v[196:197], v[180:181], v[182:183]
	v_fmac_f64_e32 v[180:181], v[182:183], v[196:197]
	v_div_scale_f64 v[182:183], s[18:19], v[180:181], v[180:181], 1.0
	v_rcp_f64_e32 v[198:199], v[182:183]
	s_nop 0
	v_fma_f64 v[200:201], -v[182:183], v[198:199], 1.0
	v_fmac_f64_e32 v[198:199], v[198:199], v[200:201]
	v_fma_f64 v[200:201], -v[182:183], v[198:199], 1.0
	v_fmac_f64_e32 v[198:199], v[198:199], v[200:201]
	v_div_scale_f64 v[200:201], vcc, 1.0, v[180:181], 1.0
	v_mul_f64 v[202:203], v[200:201], v[198:199]
	v_fma_f64 v[182:183], -v[182:183], v[202:203], v[200:201]
	s_nop 1
	v_div_fmas_f64 v[182:183], v[182:183], v[198:199], v[202:203]
	v_div_fixup_f64 v[180:181], v[182:183], v[180:181], 1.0
	v_mul_f64 v[182:183], v[196:197], -v[180:181]
.LBB88_72:
	s_or_b64 exec, exec, s[16:17]
.LBB88_73:
	s_or_b64 exec, exec, s[0:1]
	v_cmp_ne_u32_e32 vcc, v193, v190
	s_and_saveexec_b64 s[0:1], vcc
	s_xor_b64 s[0:1], exec, s[0:1]
	s_cbranch_execz .LBB88_79
; %bb.74:
	v_cmp_eq_u32_e32 vcc, 3, v193
	s_and_saveexec_b64 s[16:17], vcc
	s_cbranch_execz .LBB88_78
; %bb.75:
	v_cmp_ne_u32_e32 vcc, 3, v190
	s_xor_b64 s[18:19], s[14:15], -1
	s_and_b64 s[22:23], s[18:19], vcc
	s_and_saveexec_b64 s[18:19], s[22:23]
	s_cbranch_execz .LBB88_77
; %bb.76:
	v_ashrrev_i32_e32 v191, 31, v190
	v_lshl_add_u64 v[196:197], v[190:191], 2, v[188:189]
	global_load_dword v191, v[196:197], off
	global_load_dword v193, v[188:189], off offset:12
	s_waitcnt vmcnt(1)
	global_store_dword v[188:189], v191, off offset:12
	s_waitcnt vmcnt(1)
	global_store_dword v[196:197], v193, off
.LBB88_77:
	s_or_b64 exec, exec, s[18:19]
	v_mov_b32_e32 v193, v190
	v_mov_b32_e32 v195, v190
.LBB88_78:
	s_or_b64 exec, exec, s[16:17]
.LBB88_79:
	s_andn2_saveexec_b64 s[0:1], s[0:1]
	s_cbranch_execz .LBB88_81
; %bb.80:
	v_mov_b32_e32 v193, 3
	s_waitcnt vmcnt(40)
	ds_write2_b64 v192, v[164:165], v[166:167] offset0:8 offset1:9
	s_waitcnt vmcnt(39)
	ds_write2_b64 v192, v[160:161], v[162:163] offset0:10 offset1:11
	;; [unrolled: 2-line block ×41, first 2 shown]
.LBB88_81:
	s_or_b64 exec, exec, s[0:1]
	v_cmp_lt_i32_e32 vcc, 3, v193
	s_waitcnt lgkmcnt(0)
	s_barrier
	s_and_saveexec_b64 s[0:1], vcc
	s_cbranch_execz .LBB88_83
; %bb.82:
	ds_read2_b64 v[196:199], v192 offset0:8 offset1:9
	v_mul_f64 v[190:191], v[182:183], v[170:171]
	v_mul_f64 v[170:171], v[180:181], v[170:171]
	v_fmac_f64_e32 v[170:171], v[182:183], v[168:169]
	v_fma_f64 v[190:191], v[180:181], v[168:169], -v[190:191]
	ds_read2_b64 v[180:183], v192 offset0:10 offset1:11
	s_waitcnt lgkmcnt(1)
	v_mul_f64 v[168:169], v[198:199], v[170:171]
	v_fma_f64 v[168:169], v[196:197], v[190:191], -v[168:169]
	v_mul_f64 v[196:197], v[196:197], v[170:171]
	v_fmac_f64_e32 v[196:197], v[198:199], v[190:191]
	s_waitcnt vmcnt(40)
	v_add_f64 v[166:167], v[166:167], -v[196:197]
	ds_read2_b64 v[196:199], v192 offset0:12 offset1:13
	v_add_f64 v[164:165], v[164:165], -v[168:169]
	s_waitcnt lgkmcnt(1)
	v_mul_f64 v[168:169], v[182:183], v[170:171]
	v_fma_f64 v[168:169], v[180:181], v[190:191], -v[168:169]
	v_mul_f64 v[180:181], v[180:181], v[170:171]
	v_fmac_f64_e32 v[180:181], v[182:183], v[190:191]
	s_waitcnt vmcnt(39)
	v_add_f64 v[160:161], v[160:161], -v[168:169]
	v_add_f64 v[162:163], v[162:163], -v[180:181]
	ds_read2_b64 v[180:183], v192 offset0:14 offset1:15
	s_waitcnt lgkmcnt(1)
	v_mul_f64 v[168:169], v[198:199], v[170:171]
	v_fma_f64 v[168:169], v[196:197], v[190:191], -v[168:169]
	v_mul_f64 v[196:197], v[196:197], v[170:171]
	v_fmac_f64_e32 v[196:197], v[198:199], v[190:191]
	s_waitcnt vmcnt(38)
	v_add_f64 v[158:159], v[158:159], -v[196:197]
	ds_read2_b64 v[196:199], v192 offset0:16 offset1:17
	v_add_f64 v[156:157], v[156:157], -v[168:169]
	s_waitcnt lgkmcnt(1)
	v_mul_f64 v[168:169], v[182:183], v[170:171]
	v_fma_f64 v[168:169], v[180:181], v[190:191], -v[168:169]
	v_mul_f64 v[180:181], v[180:181], v[170:171]
	v_fmac_f64_e32 v[180:181], v[182:183], v[190:191]
	s_waitcnt vmcnt(37)
	v_add_f64 v[152:153], v[152:153], -v[168:169]
	v_add_f64 v[154:155], v[154:155], -v[180:181]
	;; [unrolled: 18-line block ×20, first 2 shown]
	s_waitcnt lgkmcnt(0)
	v_mul_f64 v[168:169], v[198:199], v[170:171]
	v_mul_f64 v[180:181], v[196:197], v[170:171]
	v_fma_f64 v[168:169], v[196:197], v[190:191], -v[168:169]
	v_fmac_f64_e32 v[180:181], v[198:199], v[190:191]
	s_waitcnt vmcnt(0)
	v_add_f64 v[176:177], v[176:177], -v[168:169]
	v_add_f64 v[178:179], v[178:179], -v[180:181]
	v_mov_b64_e32 v[168:169], v[190:191]
.LBB88_83:
	s_or_b64 exec, exec, s[0:1]
	v_lshl_add_u32 v180, v193, 4, v192
	s_barrier
	s_waitcnt vmcnt(40)
	ds_write2_b64 v180, v[164:165], v[166:167] offset1:1
	s_waitcnt lgkmcnt(0)
	s_barrier
	ds_read2_b64 v[180:183], v192 offset0:8 offset1:9
	s_cmp_lt_i32 s20, 6
	v_mov_b32_e32 v190, 4
	s_cbranch_scc1 .LBB88_86
; %bb.84:
	v_mov_b32_e32 v190, 4
	v_add_u32_e32 v191, 0x50, v192
	s_mov_b32 s16, 5
.LBB88_85:                              ; =>This Inner Loop Header: Depth=1
	ds_read2_b64 v[196:199], v191 offset1:1
	s_waitcnt lgkmcnt(1)
	v_xor_b32_e32 v201, 0x80000000, v181
	v_xor_b32_e32 v203, 0x80000000, v183
	v_cmp_gt_f64_e32 vcc, 0, v[182:183]
	v_cmp_gt_f64_e64 s[0:1], 0, v[180:181]
	v_mov_b32_e32 v200, v180
	v_mov_b32_e32 v202, v182
	v_cndmask_b32_e64 v201, v181, v201, s[0:1]
	v_cndmask_b32_e32 v203, v183, v203, vcc
	v_add_f64 v[200:201], v[200:201], v[202:203]
	s_waitcnt lgkmcnt(0)
	v_xor_b32_e32 v203, 0x80000000, v197
	v_xor_b32_e32 v205, 0x80000000, v199
	v_cmp_gt_f64_e32 vcc, 0, v[198:199]
	v_cmp_gt_f64_e64 s[0:1], 0, v[196:197]
	v_mov_b32_e32 v202, v196
	v_mov_b32_e32 v204, v198
	v_cndmask_b32_e64 v203, v197, v203, s[0:1]
	v_cndmask_b32_e32 v205, v199, v205, vcc
	v_add_f64 v[202:203], v[202:203], v[204:205]
	v_mov_b32_e32 v206, s16
	s_add_i32 s16, s16, 1
	v_cmp_lt_f64_e32 vcc, v[200:201], v[202:203]
	v_add_u32_e32 v191, 16, v191
	s_cmp_lg_u32 s20, s16
	v_cndmask_b32_e32 v181, v181, v197, vcc
	v_cndmask_b32_e32 v180, v180, v196, vcc
	;; [unrolled: 1-line block ×5, first 2 shown]
	s_cbranch_scc1 .LBB88_85
.LBB88_86:
	s_waitcnt lgkmcnt(0)
	v_cmp_eq_f64_e32 vcc, 0, v[180:181]
	v_cmp_eq_f64_e64 s[0:1], 0, v[182:183]
	s_and_b64 s[0:1], vcc, s[0:1]
	s_and_saveexec_b64 s[16:17], s[0:1]
	s_xor_b64 s[0:1], exec, s[16:17]
; %bb.87:
	v_cmp_ne_u32_e32 vcc, 0, v194
	s_nop 1
	v_cndmask_b32_e32 v194, 5, v194, vcc
; %bb.88:
	s_andn2_saveexec_b64 s[0:1], s[0:1]
	s_cbranch_execz .LBB88_94
; %bb.89:
	v_cmp_ngt_f64_e64 s[16:17], |v[180:181]|, |v[182:183]|
	s_and_saveexec_b64 s[18:19], s[16:17]
	s_xor_b64 s[16:17], exec, s[18:19]
	s_cbranch_execz .LBB88_91
; %bb.90:
	v_div_scale_f64 v[196:197], s[18:19], v[182:183], v[182:183], v[180:181]
	v_rcp_f64_e32 v[198:199], v[196:197]
	v_div_scale_f64 v[200:201], vcc, v[180:181], v[182:183], v[180:181]
	v_fma_f64 v[202:203], -v[196:197], v[198:199], 1.0
	v_fmac_f64_e32 v[198:199], v[198:199], v[202:203]
	v_fma_f64 v[202:203], -v[196:197], v[198:199], 1.0
	v_fmac_f64_e32 v[198:199], v[198:199], v[202:203]
	v_mul_f64 v[202:203], v[200:201], v[198:199]
	v_fma_f64 v[196:197], -v[196:197], v[202:203], v[200:201]
	v_div_fmas_f64 v[196:197], v[196:197], v[198:199], v[202:203]
	v_div_fixup_f64 v[196:197], v[196:197], v[182:183], v[180:181]
	v_fmac_f64_e32 v[182:183], v[180:181], v[196:197]
	v_div_scale_f64 v[180:181], s[18:19], v[182:183], v[182:183], 1.0
	v_rcp_f64_e32 v[198:199], v[180:181]
	s_nop 0
	v_fma_f64 v[200:201], -v[180:181], v[198:199], 1.0
	v_fmac_f64_e32 v[198:199], v[198:199], v[200:201]
	v_fma_f64 v[200:201], -v[180:181], v[198:199], 1.0
	v_fmac_f64_e32 v[198:199], v[198:199], v[200:201]
	v_div_scale_f64 v[200:201], vcc, 1.0, v[182:183], 1.0
	v_mul_f64 v[202:203], v[200:201], v[198:199]
	v_fma_f64 v[180:181], -v[180:181], v[202:203], v[200:201]
	s_nop 1
	v_div_fmas_f64 v[180:181], v[180:181], v[198:199], v[202:203]
	v_div_fixup_f64 v[182:183], v[180:181], v[182:183], 1.0
	v_mul_f64 v[180:181], v[196:197], v[182:183]
	v_xor_b32_e32 v183, 0x80000000, v183
.LBB88_91:
	s_andn2_saveexec_b64 s[16:17], s[16:17]
	s_cbranch_execz .LBB88_93
; %bb.92:
	v_div_scale_f64 v[196:197], s[18:19], v[180:181], v[180:181], v[182:183]
	v_rcp_f64_e32 v[198:199], v[196:197]
	v_div_scale_f64 v[200:201], vcc, v[182:183], v[180:181], v[182:183]
	v_fma_f64 v[202:203], -v[196:197], v[198:199], 1.0
	v_fmac_f64_e32 v[198:199], v[198:199], v[202:203]
	v_fma_f64 v[202:203], -v[196:197], v[198:199], 1.0
	v_fmac_f64_e32 v[198:199], v[198:199], v[202:203]
	v_mul_f64 v[202:203], v[200:201], v[198:199]
	v_fma_f64 v[196:197], -v[196:197], v[202:203], v[200:201]
	v_div_fmas_f64 v[196:197], v[196:197], v[198:199], v[202:203]
	v_div_fixup_f64 v[196:197], v[196:197], v[180:181], v[182:183]
	v_fmac_f64_e32 v[180:181], v[182:183], v[196:197]
	v_div_scale_f64 v[182:183], s[18:19], v[180:181], v[180:181], 1.0
	v_rcp_f64_e32 v[198:199], v[182:183]
	s_nop 0
	v_fma_f64 v[200:201], -v[182:183], v[198:199], 1.0
	v_fmac_f64_e32 v[198:199], v[198:199], v[200:201]
	v_fma_f64 v[200:201], -v[182:183], v[198:199], 1.0
	v_fmac_f64_e32 v[198:199], v[198:199], v[200:201]
	v_div_scale_f64 v[200:201], vcc, 1.0, v[180:181], 1.0
	v_mul_f64 v[202:203], v[200:201], v[198:199]
	v_fma_f64 v[182:183], -v[182:183], v[202:203], v[200:201]
	s_nop 1
	v_div_fmas_f64 v[182:183], v[182:183], v[198:199], v[202:203]
	v_div_fixup_f64 v[180:181], v[182:183], v[180:181], 1.0
	v_mul_f64 v[182:183], v[196:197], -v[180:181]
.LBB88_93:
	s_or_b64 exec, exec, s[16:17]
.LBB88_94:
	s_or_b64 exec, exec, s[0:1]
	v_cmp_ne_u32_e32 vcc, v193, v190
	s_and_saveexec_b64 s[0:1], vcc
	s_xor_b64 s[0:1], exec, s[0:1]
	s_cbranch_execz .LBB88_100
; %bb.95:
	v_cmp_eq_u32_e32 vcc, 4, v193
	s_and_saveexec_b64 s[16:17], vcc
	s_cbranch_execz .LBB88_99
; %bb.96:
	v_cmp_ne_u32_e32 vcc, 4, v190
	s_xor_b64 s[18:19], s[14:15], -1
	s_and_b64 s[22:23], s[18:19], vcc
	s_and_saveexec_b64 s[18:19], s[22:23]
	s_cbranch_execz .LBB88_98
; %bb.97:
	v_ashrrev_i32_e32 v191, 31, v190
	v_lshl_add_u64 v[196:197], v[190:191], 2, v[188:189]
	global_load_dword v191, v[196:197], off
	global_load_dword v193, v[188:189], off offset:16
	s_waitcnt vmcnt(1)
	global_store_dword v[188:189], v191, off offset:16
	s_waitcnt vmcnt(1)
	global_store_dword v[196:197], v193, off
.LBB88_98:
	s_or_b64 exec, exec, s[18:19]
	v_mov_b32_e32 v193, v190
	v_mov_b32_e32 v195, v190
.LBB88_99:
	s_or_b64 exec, exec, s[16:17]
.LBB88_100:
	s_andn2_saveexec_b64 s[0:1], s[0:1]
	s_cbranch_execz .LBB88_102
; %bb.101:
	v_mov_b32_e32 v193, 4
	s_waitcnt vmcnt(39)
	ds_write2_b64 v192, v[160:161], v[162:163] offset0:10 offset1:11
	s_waitcnt vmcnt(38)
	ds_write2_b64 v192, v[156:157], v[158:159] offset0:12 offset1:13
	;; [unrolled: 2-line block ×40, first 2 shown]
.LBB88_102:
	s_or_b64 exec, exec, s[0:1]
	v_cmp_lt_i32_e32 vcc, 4, v193
	s_waitcnt lgkmcnt(0)
	s_barrier
	s_and_saveexec_b64 s[0:1], vcc
	s_cbranch_execz .LBB88_104
; %bb.103:
	ds_read2_b64 v[196:199], v192 offset0:10 offset1:11
	v_mul_f64 v[190:191], v[182:183], v[166:167]
	v_mul_f64 v[166:167], v[180:181], v[166:167]
	v_fma_f64 v[190:191], v[180:181], v[164:165], -v[190:191]
	v_fmac_f64_e32 v[166:167], v[182:183], v[164:165]
	ds_read2_b64 v[180:183], v192 offset0:12 offset1:13
	s_waitcnt lgkmcnt(1)
	v_mul_f64 v[164:165], v[198:199], v[166:167]
	v_fma_f64 v[164:165], v[196:197], v[190:191], -v[164:165]
	v_mul_f64 v[196:197], v[196:197], v[166:167]
	v_fmac_f64_e32 v[196:197], v[198:199], v[190:191]
	s_waitcnt vmcnt(39)
	v_add_f64 v[160:161], v[160:161], -v[164:165]
	s_waitcnt lgkmcnt(0)
	v_mul_f64 v[164:165], v[182:183], v[166:167]
	v_add_f64 v[162:163], v[162:163], -v[196:197]
	v_fma_f64 v[164:165], v[180:181], v[190:191], -v[164:165]
	v_mul_f64 v[180:181], v[180:181], v[166:167]
	ds_read2_b64 v[196:199], v192 offset0:14 offset1:15
	v_fmac_f64_e32 v[180:181], v[182:183], v[190:191]
	s_waitcnt vmcnt(38)
	v_add_f64 v[158:159], v[158:159], -v[180:181]
	ds_read2_b64 v[180:183], v192 offset0:16 offset1:17
	v_add_f64 v[156:157], v[156:157], -v[164:165]
	s_waitcnt lgkmcnt(1)
	v_mul_f64 v[164:165], v[198:199], v[166:167]
	v_fma_f64 v[164:165], v[196:197], v[190:191], -v[164:165]
	v_mul_f64 v[196:197], v[196:197], v[166:167]
	v_fmac_f64_e32 v[196:197], v[198:199], v[190:191]
	s_waitcnt vmcnt(37)
	v_add_f64 v[152:153], v[152:153], -v[164:165]
	s_waitcnt lgkmcnt(0)
	v_mul_f64 v[164:165], v[182:183], v[166:167]
	v_add_f64 v[154:155], v[154:155], -v[196:197]
	v_fma_f64 v[164:165], v[180:181], v[190:191], -v[164:165]
	v_mul_f64 v[180:181], v[180:181], v[166:167]
	ds_read2_b64 v[196:199], v192 offset0:18 offset1:19
	v_fmac_f64_e32 v[180:181], v[182:183], v[190:191]
	s_waitcnt vmcnt(36)
	v_add_f64 v[150:151], v[150:151], -v[180:181]
	ds_read2_b64 v[180:183], v192 offset0:20 offset1:21
	v_add_f64 v[148:149], v[148:149], -v[164:165]
	s_waitcnt lgkmcnt(1)
	v_mul_f64 v[164:165], v[198:199], v[166:167]
	v_fma_f64 v[164:165], v[196:197], v[190:191], -v[164:165]
	v_mul_f64 v[196:197], v[196:197], v[166:167]
	v_fmac_f64_e32 v[196:197], v[198:199], v[190:191]
	s_waitcnt vmcnt(35)
	v_add_f64 v[144:145], v[144:145], -v[164:165]
	s_waitcnt lgkmcnt(0)
	v_mul_f64 v[164:165], v[182:183], v[166:167]
	v_add_f64 v[146:147], v[146:147], -v[196:197]
	v_fma_f64 v[164:165], v[180:181], v[190:191], -v[164:165]
	v_mul_f64 v[180:181], v[180:181], v[166:167]
	ds_read2_b64 v[196:199], v192 offset0:22 offset1:23
	v_fmac_f64_e32 v[180:181], v[182:183], v[190:191]
	s_waitcnt vmcnt(34)
	v_add_f64 v[142:143], v[142:143], -v[180:181]
	ds_read2_b64 v[180:183], v192 offset0:24 offset1:25
	v_add_f64 v[140:141], v[140:141], -v[164:165]
	s_waitcnt lgkmcnt(1)
	v_mul_f64 v[164:165], v[198:199], v[166:167]
	v_fma_f64 v[164:165], v[196:197], v[190:191], -v[164:165]
	v_mul_f64 v[196:197], v[196:197], v[166:167]
	v_fmac_f64_e32 v[196:197], v[198:199], v[190:191]
	s_waitcnt vmcnt(33)
	v_add_f64 v[136:137], v[136:137], -v[164:165]
	s_waitcnt lgkmcnt(0)
	v_mul_f64 v[164:165], v[182:183], v[166:167]
	v_add_f64 v[138:139], v[138:139], -v[196:197]
	v_fma_f64 v[164:165], v[180:181], v[190:191], -v[164:165]
	v_mul_f64 v[180:181], v[180:181], v[166:167]
	ds_read2_b64 v[196:199], v192 offset0:26 offset1:27
	v_fmac_f64_e32 v[180:181], v[182:183], v[190:191]
	s_waitcnt vmcnt(32)
	v_add_f64 v[134:135], v[134:135], -v[180:181]
	ds_read2_b64 v[180:183], v192 offset0:28 offset1:29
	v_add_f64 v[132:133], v[132:133], -v[164:165]
	s_waitcnt lgkmcnt(1)
	v_mul_f64 v[164:165], v[198:199], v[166:167]
	v_fma_f64 v[164:165], v[196:197], v[190:191], -v[164:165]
	v_mul_f64 v[196:197], v[196:197], v[166:167]
	v_fmac_f64_e32 v[196:197], v[198:199], v[190:191]
	s_waitcnt vmcnt(31)
	v_add_f64 v[128:129], v[128:129], -v[164:165]
	s_waitcnt lgkmcnt(0)
	v_mul_f64 v[164:165], v[182:183], v[166:167]
	v_add_f64 v[130:131], v[130:131], -v[196:197]
	v_fma_f64 v[164:165], v[180:181], v[190:191], -v[164:165]
	v_mul_f64 v[180:181], v[180:181], v[166:167]
	ds_read2_b64 v[196:199], v192 offset0:30 offset1:31
	v_fmac_f64_e32 v[180:181], v[182:183], v[190:191]
	s_waitcnt vmcnt(30)
	v_add_f64 v[126:127], v[126:127], -v[180:181]
	ds_read2_b64 v[180:183], v192 offset0:32 offset1:33
	v_add_f64 v[124:125], v[124:125], -v[164:165]
	s_waitcnt lgkmcnt(1)
	v_mul_f64 v[164:165], v[198:199], v[166:167]
	v_fma_f64 v[164:165], v[196:197], v[190:191], -v[164:165]
	v_mul_f64 v[196:197], v[196:197], v[166:167]
	v_fmac_f64_e32 v[196:197], v[198:199], v[190:191]
	s_waitcnt vmcnt(29)
	v_add_f64 v[116:117], v[116:117], -v[164:165]
	s_waitcnt lgkmcnt(0)
	v_mul_f64 v[164:165], v[182:183], v[166:167]
	v_add_f64 v[118:119], v[118:119], -v[196:197]
	v_fma_f64 v[164:165], v[180:181], v[190:191], -v[164:165]
	v_mul_f64 v[180:181], v[180:181], v[166:167]
	ds_read2_b64 v[196:199], v192 offset0:34 offset1:35
	v_fmac_f64_e32 v[180:181], v[182:183], v[190:191]
	s_waitcnt vmcnt(28)
	v_add_f64 v[110:111], v[110:111], -v[180:181]
	ds_read2_b64 v[180:183], v192 offset0:36 offset1:37
	v_add_f64 v[108:109], v[108:109], -v[164:165]
	s_waitcnt lgkmcnt(1)
	v_mul_f64 v[164:165], v[198:199], v[166:167]
	v_fma_f64 v[164:165], v[196:197], v[190:191], -v[164:165]
	v_mul_f64 v[196:197], v[196:197], v[166:167]
	v_fmac_f64_e32 v[196:197], v[198:199], v[190:191]
	s_waitcnt vmcnt(27)
	v_add_f64 v[104:105], v[104:105], -v[164:165]
	s_waitcnt lgkmcnt(0)
	v_mul_f64 v[164:165], v[182:183], v[166:167]
	v_add_f64 v[106:107], v[106:107], -v[196:197]
	v_fma_f64 v[164:165], v[180:181], v[190:191], -v[164:165]
	v_mul_f64 v[180:181], v[180:181], v[166:167]
	ds_read2_b64 v[196:199], v192 offset0:38 offset1:39
	v_fmac_f64_e32 v[180:181], v[182:183], v[190:191]
	s_waitcnt vmcnt(26)
	v_add_f64 v[102:103], v[102:103], -v[180:181]
	ds_read2_b64 v[180:183], v192 offset0:40 offset1:41
	v_add_f64 v[100:101], v[100:101], -v[164:165]
	s_waitcnt lgkmcnt(1)
	v_mul_f64 v[164:165], v[198:199], v[166:167]
	v_fma_f64 v[164:165], v[196:197], v[190:191], -v[164:165]
	v_mul_f64 v[196:197], v[196:197], v[166:167]
	v_fmac_f64_e32 v[196:197], v[198:199], v[190:191]
	s_waitcnt vmcnt(25)
	v_add_f64 v[96:97], v[96:97], -v[164:165]
	s_waitcnt lgkmcnt(0)
	v_mul_f64 v[164:165], v[182:183], v[166:167]
	v_add_f64 v[98:99], v[98:99], -v[196:197]
	v_fma_f64 v[164:165], v[180:181], v[190:191], -v[164:165]
	v_mul_f64 v[180:181], v[180:181], v[166:167]
	ds_read2_b64 v[196:199], v192 offset0:42 offset1:43
	v_fmac_f64_e32 v[180:181], v[182:183], v[190:191]
	s_waitcnt vmcnt(24)
	v_add_f64 v[94:95], v[94:95], -v[180:181]
	ds_read2_b64 v[180:183], v192 offset0:44 offset1:45
	v_add_f64 v[92:93], v[92:93], -v[164:165]
	s_waitcnt lgkmcnt(1)
	v_mul_f64 v[164:165], v[198:199], v[166:167]
	v_fma_f64 v[164:165], v[196:197], v[190:191], -v[164:165]
	v_mul_f64 v[196:197], v[196:197], v[166:167]
	v_fmac_f64_e32 v[196:197], v[198:199], v[190:191]
	s_waitcnt vmcnt(23)
	v_add_f64 v[88:89], v[88:89], -v[164:165]
	s_waitcnt lgkmcnt(0)
	v_mul_f64 v[164:165], v[182:183], v[166:167]
	v_add_f64 v[90:91], v[90:91], -v[196:197]
	v_fma_f64 v[164:165], v[180:181], v[190:191], -v[164:165]
	v_mul_f64 v[180:181], v[180:181], v[166:167]
	ds_read2_b64 v[196:199], v192 offset0:46 offset1:47
	v_fmac_f64_e32 v[180:181], v[182:183], v[190:191]
	s_waitcnt vmcnt(22)
	v_add_f64 v[86:87], v[86:87], -v[180:181]
	ds_read2_b64 v[180:183], v192 offset0:48 offset1:49
	v_add_f64 v[84:85], v[84:85], -v[164:165]
	s_waitcnt lgkmcnt(1)
	v_mul_f64 v[164:165], v[198:199], v[166:167]
	v_fma_f64 v[164:165], v[196:197], v[190:191], -v[164:165]
	v_mul_f64 v[196:197], v[196:197], v[166:167]
	v_fmac_f64_e32 v[196:197], v[198:199], v[190:191]
	s_waitcnt vmcnt(21)
	v_add_f64 v[80:81], v[80:81], -v[164:165]
	s_waitcnt lgkmcnt(0)
	v_mul_f64 v[164:165], v[182:183], v[166:167]
	v_add_f64 v[82:83], v[82:83], -v[196:197]
	v_fma_f64 v[164:165], v[180:181], v[190:191], -v[164:165]
	v_mul_f64 v[180:181], v[180:181], v[166:167]
	ds_read2_b64 v[196:199], v192 offset0:50 offset1:51
	v_fmac_f64_e32 v[180:181], v[182:183], v[190:191]
	s_waitcnt vmcnt(20)
	v_add_f64 v[78:79], v[78:79], -v[180:181]
	ds_read2_b64 v[180:183], v192 offset0:52 offset1:53
	v_add_f64 v[76:77], v[76:77], -v[164:165]
	s_waitcnt lgkmcnt(1)
	v_mul_f64 v[164:165], v[198:199], v[166:167]
	v_fma_f64 v[164:165], v[196:197], v[190:191], -v[164:165]
	v_mul_f64 v[196:197], v[196:197], v[166:167]
	v_fmac_f64_e32 v[196:197], v[198:199], v[190:191]
	s_waitcnt vmcnt(19)
	v_add_f64 v[72:73], v[72:73], -v[164:165]
	s_waitcnt lgkmcnt(0)
	v_mul_f64 v[164:165], v[182:183], v[166:167]
	v_add_f64 v[74:75], v[74:75], -v[196:197]
	v_fma_f64 v[164:165], v[180:181], v[190:191], -v[164:165]
	v_mul_f64 v[180:181], v[180:181], v[166:167]
	ds_read2_b64 v[196:199], v192 offset0:54 offset1:55
	v_fmac_f64_e32 v[180:181], v[182:183], v[190:191]
	s_waitcnt vmcnt(18)
	v_add_f64 v[70:71], v[70:71], -v[180:181]
	ds_read2_b64 v[180:183], v192 offset0:56 offset1:57
	v_add_f64 v[68:69], v[68:69], -v[164:165]
	s_waitcnt lgkmcnt(1)
	v_mul_f64 v[164:165], v[198:199], v[166:167]
	v_fma_f64 v[164:165], v[196:197], v[190:191], -v[164:165]
	v_mul_f64 v[196:197], v[196:197], v[166:167]
	v_fmac_f64_e32 v[196:197], v[198:199], v[190:191]
	s_waitcnt vmcnt(17)
	v_add_f64 v[64:65], v[64:65], -v[164:165]
	s_waitcnt lgkmcnt(0)
	v_mul_f64 v[164:165], v[182:183], v[166:167]
	v_add_f64 v[66:67], v[66:67], -v[196:197]
	v_fma_f64 v[164:165], v[180:181], v[190:191], -v[164:165]
	v_mul_f64 v[180:181], v[180:181], v[166:167]
	ds_read2_b64 v[196:199], v192 offset0:58 offset1:59
	v_fmac_f64_e32 v[180:181], v[182:183], v[190:191]
	s_waitcnt vmcnt(16)
	v_add_f64 v[62:63], v[62:63], -v[180:181]
	ds_read2_b64 v[180:183], v192 offset0:60 offset1:61
	v_add_f64 v[60:61], v[60:61], -v[164:165]
	s_waitcnt lgkmcnt(1)
	v_mul_f64 v[164:165], v[198:199], v[166:167]
	v_fma_f64 v[164:165], v[196:197], v[190:191], -v[164:165]
	v_mul_f64 v[196:197], v[196:197], v[166:167]
	v_fmac_f64_e32 v[196:197], v[198:199], v[190:191]
	s_waitcnt vmcnt(15)
	v_add_f64 v[56:57], v[56:57], -v[164:165]
	s_waitcnt lgkmcnt(0)
	v_mul_f64 v[164:165], v[182:183], v[166:167]
	v_add_f64 v[58:59], v[58:59], -v[196:197]
	v_fma_f64 v[164:165], v[180:181], v[190:191], -v[164:165]
	v_mul_f64 v[180:181], v[180:181], v[166:167]
	ds_read2_b64 v[196:199], v192 offset0:62 offset1:63
	v_fmac_f64_e32 v[180:181], v[182:183], v[190:191]
	s_waitcnt vmcnt(14)
	v_add_f64 v[54:55], v[54:55], -v[180:181]
	ds_read2_b64 v[180:183], v192 offset0:64 offset1:65
	v_add_f64 v[52:53], v[52:53], -v[164:165]
	s_waitcnt lgkmcnt(1)
	v_mul_f64 v[164:165], v[198:199], v[166:167]
	v_fma_f64 v[164:165], v[196:197], v[190:191], -v[164:165]
	v_mul_f64 v[196:197], v[196:197], v[166:167]
	v_fmac_f64_e32 v[196:197], v[198:199], v[190:191]
	s_waitcnt vmcnt(13)
	v_add_f64 v[48:49], v[48:49], -v[164:165]
	s_waitcnt lgkmcnt(0)
	v_mul_f64 v[164:165], v[182:183], v[166:167]
	v_add_f64 v[50:51], v[50:51], -v[196:197]
	v_fma_f64 v[164:165], v[180:181], v[190:191], -v[164:165]
	v_mul_f64 v[180:181], v[180:181], v[166:167]
	ds_read2_b64 v[196:199], v192 offset0:66 offset1:67
	v_fmac_f64_e32 v[180:181], v[182:183], v[190:191]
	s_waitcnt vmcnt(12)
	v_add_f64 v[46:47], v[46:47], -v[180:181]
	ds_read2_b64 v[180:183], v192 offset0:68 offset1:69
	v_add_f64 v[44:45], v[44:45], -v[164:165]
	s_waitcnt lgkmcnt(1)
	v_mul_f64 v[164:165], v[198:199], v[166:167]
	v_fma_f64 v[164:165], v[196:197], v[190:191], -v[164:165]
	v_mul_f64 v[196:197], v[196:197], v[166:167]
	v_fmac_f64_e32 v[196:197], v[198:199], v[190:191]
	s_waitcnt vmcnt(11)
	v_add_f64 v[40:41], v[40:41], -v[164:165]
	s_waitcnt lgkmcnt(0)
	v_mul_f64 v[164:165], v[182:183], v[166:167]
	v_add_f64 v[42:43], v[42:43], -v[196:197]
	v_fma_f64 v[164:165], v[180:181], v[190:191], -v[164:165]
	v_mul_f64 v[180:181], v[180:181], v[166:167]
	ds_read2_b64 v[196:199], v192 offset0:70 offset1:71
	v_fmac_f64_e32 v[180:181], v[182:183], v[190:191]
	s_waitcnt vmcnt(10)
	v_add_f64 v[38:39], v[38:39], -v[180:181]
	ds_read2_b64 v[180:183], v192 offset0:72 offset1:73
	v_add_f64 v[36:37], v[36:37], -v[164:165]
	s_waitcnt lgkmcnt(1)
	v_mul_f64 v[164:165], v[198:199], v[166:167]
	v_fma_f64 v[164:165], v[196:197], v[190:191], -v[164:165]
	v_mul_f64 v[196:197], v[196:197], v[166:167]
	v_fmac_f64_e32 v[196:197], v[198:199], v[190:191]
	s_waitcnt vmcnt(9)
	v_add_f64 v[32:33], v[32:33], -v[164:165]
	s_waitcnt lgkmcnt(0)
	v_mul_f64 v[164:165], v[182:183], v[166:167]
	v_add_f64 v[34:35], v[34:35], -v[196:197]
	v_fma_f64 v[164:165], v[180:181], v[190:191], -v[164:165]
	v_mul_f64 v[180:181], v[180:181], v[166:167]
	ds_read2_b64 v[196:199], v192 offset0:74 offset1:75
	v_fmac_f64_e32 v[180:181], v[182:183], v[190:191]
	s_waitcnt vmcnt(8)
	v_add_f64 v[30:31], v[30:31], -v[180:181]
	ds_read2_b64 v[180:183], v192 offset0:76 offset1:77
	v_add_f64 v[28:29], v[28:29], -v[164:165]
	s_waitcnt lgkmcnt(1)
	v_mul_f64 v[164:165], v[198:199], v[166:167]
	v_fma_f64 v[164:165], v[196:197], v[190:191], -v[164:165]
	v_mul_f64 v[196:197], v[196:197], v[166:167]
	v_fmac_f64_e32 v[196:197], v[198:199], v[190:191]
	s_waitcnt vmcnt(7)
	v_add_f64 v[24:25], v[24:25], -v[164:165]
	s_waitcnt lgkmcnt(0)
	v_mul_f64 v[164:165], v[182:183], v[166:167]
	v_add_f64 v[26:27], v[26:27], -v[196:197]
	v_fma_f64 v[164:165], v[180:181], v[190:191], -v[164:165]
	v_mul_f64 v[180:181], v[180:181], v[166:167]
	ds_read2_b64 v[196:199], v192 offset0:78 offset1:79
	v_fmac_f64_e32 v[180:181], v[182:183], v[190:191]
	s_waitcnt vmcnt(6)
	v_add_f64 v[22:23], v[22:23], -v[180:181]
	ds_read2_b64 v[180:183], v192 offset0:80 offset1:81
	v_add_f64 v[20:21], v[20:21], -v[164:165]
	s_waitcnt lgkmcnt(1)
	v_mul_f64 v[164:165], v[198:199], v[166:167]
	v_fma_f64 v[164:165], v[196:197], v[190:191], -v[164:165]
	v_mul_f64 v[196:197], v[196:197], v[166:167]
	v_fmac_f64_e32 v[196:197], v[198:199], v[190:191]
	s_waitcnt vmcnt(5)
	v_add_f64 v[16:17], v[16:17], -v[164:165]
	s_waitcnt lgkmcnt(0)
	v_mul_f64 v[164:165], v[182:183], v[166:167]
	v_add_f64 v[18:19], v[18:19], -v[196:197]
	v_fma_f64 v[164:165], v[180:181], v[190:191], -v[164:165]
	v_mul_f64 v[180:181], v[180:181], v[166:167]
	ds_read2_b64 v[196:199], v192 offset0:82 offset1:83
	v_fmac_f64_e32 v[180:181], v[182:183], v[190:191]
	s_waitcnt vmcnt(4)
	v_add_f64 v[14:15], v[14:15], -v[180:181]
	ds_read2_b64 v[180:183], v192 offset0:84 offset1:85
	v_add_f64 v[12:13], v[12:13], -v[164:165]
	s_waitcnt lgkmcnt(1)
	v_mul_f64 v[164:165], v[198:199], v[166:167]
	v_fma_f64 v[164:165], v[196:197], v[190:191], -v[164:165]
	v_mul_f64 v[196:197], v[196:197], v[166:167]
	v_fmac_f64_e32 v[196:197], v[198:199], v[190:191]
	s_waitcnt vmcnt(3)
	v_add_f64 v[8:9], v[8:9], -v[164:165]
	s_waitcnt lgkmcnt(0)
	v_mul_f64 v[164:165], v[182:183], v[166:167]
	v_add_f64 v[10:11], v[10:11], -v[196:197]
	v_fma_f64 v[164:165], v[180:181], v[190:191], -v[164:165]
	v_mul_f64 v[180:181], v[180:181], v[166:167]
	ds_read2_b64 v[196:199], v192 offset0:86 offset1:87
	v_fmac_f64_e32 v[180:181], v[182:183], v[190:191]
	s_waitcnt vmcnt(2)
	v_add_f64 v[6:7], v[6:7], -v[180:181]
	ds_read2_b64 v[180:183], v192 offset0:88 offset1:89
	v_add_f64 v[4:5], v[4:5], -v[164:165]
	s_waitcnt lgkmcnt(1)
	v_mul_f64 v[164:165], v[198:199], v[166:167]
	v_fma_f64 v[164:165], v[196:197], v[190:191], -v[164:165]
	s_waitcnt vmcnt(1)
	v_add_f64 v[0:1], v[0:1], -v[164:165]
	s_waitcnt lgkmcnt(0)
	v_mul_f64 v[164:165], v[182:183], v[166:167]
	v_mul_f64 v[196:197], v[196:197], v[166:167]
	v_fma_f64 v[164:165], v[180:181], v[190:191], -v[164:165]
	v_mul_f64 v[180:181], v[180:181], v[166:167]
	v_fmac_f64_e32 v[196:197], v[198:199], v[190:191]
	v_fmac_f64_e32 v[180:181], v[182:183], v[190:191]
	v_add_f64 v[2:3], v[2:3], -v[196:197]
	s_waitcnt vmcnt(0)
	v_add_f64 v[176:177], v[176:177], -v[164:165]
	v_add_f64 v[178:179], v[178:179], -v[180:181]
	v_mov_b64_e32 v[164:165], v[190:191]
.LBB88_104:
	s_or_b64 exec, exec, s[0:1]
	v_lshl_add_u32 v180, v193, 4, v192
	s_barrier
	s_waitcnt vmcnt(39)
	ds_write2_b64 v180, v[160:161], v[162:163] offset1:1
	s_waitcnt lgkmcnt(0)
	s_barrier
	ds_read2_b64 v[180:183], v192 offset0:10 offset1:11
	s_cmp_lt_i32 s20, 7
	v_mov_b32_e32 v190, 5
	s_cbranch_scc1 .LBB88_107
; %bb.105:
	v_add_u32_e32 v191, 0x60, v192
	s_mov_b32 s16, 6
	v_mov_b32_e32 v190, 5
.LBB88_106:                             ; =>This Inner Loop Header: Depth=1
	ds_read2_b64 v[196:199], v191 offset1:1
	s_waitcnt lgkmcnt(1)
	v_xor_b32_e32 v201, 0x80000000, v181
	v_xor_b32_e32 v203, 0x80000000, v183
	v_cmp_gt_f64_e32 vcc, 0, v[182:183]
	v_cmp_gt_f64_e64 s[0:1], 0, v[180:181]
	v_mov_b32_e32 v200, v180
	v_mov_b32_e32 v202, v182
	v_cndmask_b32_e64 v201, v181, v201, s[0:1]
	v_cndmask_b32_e32 v203, v183, v203, vcc
	v_add_f64 v[200:201], v[200:201], v[202:203]
	s_waitcnt lgkmcnt(0)
	v_xor_b32_e32 v203, 0x80000000, v197
	v_xor_b32_e32 v205, 0x80000000, v199
	v_cmp_gt_f64_e32 vcc, 0, v[198:199]
	v_cmp_gt_f64_e64 s[0:1], 0, v[196:197]
	v_mov_b32_e32 v202, v196
	v_mov_b32_e32 v204, v198
	v_cndmask_b32_e64 v203, v197, v203, s[0:1]
	v_cndmask_b32_e32 v205, v199, v205, vcc
	v_add_f64 v[202:203], v[202:203], v[204:205]
	v_mov_b32_e32 v206, s16
	s_add_i32 s16, s16, 1
	v_cmp_lt_f64_e32 vcc, v[200:201], v[202:203]
	v_add_u32_e32 v191, 16, v191
	s_cmp_lg_u32 s20, s16
	v_cndmask_b32_e32 v181, v181, v197, vcc
	v_cndmask_b32_e32 v180, v180, v196, vcc
	;; [unrolled: 1-line block ×5, first 2 shown]
	s_cbranch_scc1 .LBB88_106
.LBB88_107:
	s_waitcnt lgkmcnt(0)
	v_cmp_eq_f64_e32 vcc, 0, v[180:181]
	v_cmp_eq_f64_e64 s[0:1], 0, v[182:183]
	s_and_b64 s[0:1], vcc, s[0:1]
	s_and_saveexec_b64 s[16:17], s[0:1]
	s_xor_b64 s[0:1], exec, s[16:17]
; %bb.108:
	v_cmp_ne_u32_e32 vcc, 0, v194
	s_nop 1
	v_cndmask_b32_e32 v194, 6, v194, vcc
; %bb.109:
	s_andn2_saveexec_b64 s[0:1], s[0:1]
	s_cbranch_execz .LBB88_115
; %bb.110:
	v_cmp_ngt_f64_e64 s[16:17], |v[180:181]|, |v[182:183]|
	s_and_saveexec_b64 s[18:19], s[16:17]
	s_xor_b64 s[16:17], exec, s[18:19]
	s_cbranch_execz .LBB88_112
; %bb.111:
	v_div_scale_f64 v[196:197], s[18:19], v[182:183], v[182:183], v[180:181]
	v_rcp_f64_e32 v[198:199], v[196:197]
	v_div_scale_f64 v[200:201], vcc, v[180:181], v[182:183], v[180:181]
	v_fma_f64 v[202:203], -v[196:197], v[198:199], 1.0
	v_fmac_f64_e32 v[198:199], v[198:199], v[202:203]
	v_fma_f64 v[202:203], -v[196:197], v[198:199], 1.0
	v_fmac_f64_e32 v[198:199], v[198:199], v[202:203]
	v_mul_f64 v[202:203], v[200:201], v[198:199]
	v_fma_f64 v[196:197], -v[196:197], v[202:203], v[200:201]
	v_div_fmas_f64 v[196:197], v[196:197], v[198:199], v[202:203]
	v_div_fixup_f64 v[196:197], v[196:197], v[182:183], v[180:181]
	v_fmac_f64_e32 v[182:183], v[180:181], v[196:197]
	v_div_scale_f64 v[180:181], s[18:19], v[182:183], v[182:183], 1.0
	v_rcp_f64_e32 v[198:199], v[180:181]
	s_nop 0
	v_fma_f64 v[200:201], -v[180:181], v[198:199], 1.0
	v_fmac_f64_e32 v[198:199], v[198:199], v[200:201]
	v_fma_f64 v[200:201], -v[180:181], v[198:199], 1.0
	v_fmac_f64_e32 v[198:199], v[198:199], v[200:201]
	v_div_scale_f64 v[200:201], vcc, 1.0, v[182:183], 1.0
	v_mul_f64 v[202:203], v[200:201], v[198:199]
	v_fma_f64 v[180:181], -v[180:181], v[202:203], v[200:201]
	s_nop 1
	v_div_fmas_f64 v[180:181], v[180:181], v[198:199], v[202:203]
	v_div_fixup_f64 v[182:183], v[180:181], v[182:183], 1.0
	v_mul_f64 v[180:181], v[196:197], v[182:183]
	v_xor_b32_e32 v183, 0x80000000, v183
.LBB88_112:
	s_andn2_saveexec_b64 s[16:17], s[16:17]
	s_cbranch_execz .LBB88_114
; %bb.113:
	v_div_scale_f64 v[196:197], s[18:19], v[180:181], v[180:181], v[182:183]
	v_rcp_f64_e32 v[198:199], v[196:197]
	v_div_scale_f64 v[200:201], vcc, v[182:183], v[180:181], v[182:183]
	v_fma_f64 v[202:203], -v[196:197], v[198:199], 1.0
	v_fmac_f64_e32 v[198:199], v[198:199], v[202:203]
	v_fma_f64 v[202:203], -v[196:197], v[198:199], 1.0
	v_fmac_f64_e32 v[198:199], v[198:199], v[202:203]
	v_mul_f64 v[202:203], v[200:201], v[198:199]
	v_fma_f64 v[196:197], -v[196:197], v[202:203], v[200:201]
	v_div_fmas_f64 v[196:197], v[196:197], v[198:199], v[202:203]
	v_div_fixup_f64 v[196:197], v[196:197], v[180:181], v[182:183]
	v_fmac_f64_e32 v[180:181], v[182:183], v[196:197]
	v_div_scale_f64 v[182:183], s[18:19], v[180:181], v[180:181], 1.0
	v_rcp_f64_e32 v[198:199], v[182:183]
	s_nop 0
	v_fma_f64 v[200:201], -v[182:183], v[198:199], 1.0
	v_fmac_f64_e32 v[198:199], v[198:199], v[200:201]
	v_fma_f64 v[200:201], -v[182:183], v[198:199], 1.0
	v_fmac_f64_e32 v[198:199], v[198:199], v[200:201]
	v_div_scale_f64 v[200:201], vcc, 1.0, v[180:181], 1.0
	v_mul_f64 v[202:203], v[200:201], v[198:199]
	v_fma_f64 v[182:183], -v[182:183], v[202:203], v[200:201]
	s_nop 1
	v_div_fmas_f64 v[182:183], v[182:183], v[198:199], v[202:203]
	v_div_fixup_f64 v[180:181], v[182:183], v[180:181], 1.0
	v_mul_f64 v[182:183], v[196:197], -v[180:181]
.LBB88_114:
	s_or_b64 exec, exec, s[16:17]
.LBB88_115:
	s_or_b64 exec, exec, s[0:1]
	v_cmp_ne_u32_e32 vcc, v193, v190
	s_and_saveexec_b64 s[0:1], vcc
	s_xor_b64 s[0:1], exec, s[0:1]
	s_cbranch_execz .LBB88_121
; %bb.116:
	v_cmp_eq_u32_e32 vcc, 5, v193
	s_and_saveexec_b64 s[16:17], vcc
	s_cbranch_execz .LBB88_120
; %bb.117:
	v_cmp_ne_u32_e32 vcc, 5, v190
	s_xor_b64 s[18:19], s[14:15], -1
	s_and_b64 s[22:23], s[18:19], vcc
	s_and_saveexec_b64 s[18:19], s[22:23]
	s_cbranch_execz .LBB88_119
; %bb.118:
	v_ashrrev_i32_e32 v191, 31, v190
	v_lshl_add_u64 v[196:197], v[190:191], 2, v[188:189]
	global_load_dword v191, v[196:197], off
	global_load_dword v193, v[188:189], off offset:20
	s_waitcnt vmcnt(1)
	global_store_dword v[188:189], v191, off offset:20
	s_waitcnt vmcnt(1)
	global_store_dword v[196:197], v193, off
.LBB88_119:
	s_or_b64 exec, exec, s[18:19]
	v_mov_b32_e32 v193, v190
	v_mov_b32_e32 v195, v190
.LBB88_120:
	s_or_b64 exec, exec, s[16:17]
.LBB88_121:
	s_andn2_saveexec_b64 s[0:1], s[0:1]
	s_cbranch_execz .LBB88_123
; %bb.122:
	v_mov_b32_e32 v193, 5
	s_waitcnt vmcnt(38)
	ds_write2_b64 v192, v[156:157], v[158:159] offset0:12 offset1:13
	s_waitcnt vmcnt(37)
	ds_write2_b64 v192, v[152:153], v[154:155] offset0:14 offset1:15
	;; [unrolled: 2-line block ×39, first 2 shown]
.LBB88_123:
	s_or_b64 exec, exec, s[0:1]
	v_cmp_lt_i32_e32 vcc, 5, v193
	s_waitcnt lgkmcnt(0)
	s_barrier
	s_and_saveexec_b64 s[0:1], vcc
	s_cbranch_execz .LBB88_125
; %bb.124:
	ds_read2_b64 v[196:199], v192 offset0:12 offset1:13
	v_mul_f64 v[190:191], v[182:183], v[162:163]
	v_mul_f64 v[162:163], v[180:181], v[162:163]
	v_fmac_f64_e32 v[162:163], v[182:183], v[160:161]
	v_fma_f64 v[190:191], v[180:181], v[160:161], -v[190:191]
	ds_read2_b64 v[180:183], v192 offset0:14 offset1:15
	s_waitcnt lgkmcnt(1)
	v_mul_f64 v[160:161], v[198:199], v[162:163]
	v_fma_f64 v[160:161], v[196:197], v[190:191], -v[160:161]
	v_mul_f64 v[196:197], v[196:197], v[162:163]
	v_fmac_f64_e32 v[196:197], v[198:199], v[190:191]
	s_waitcnt vmcnt(38)
	v_add_f64 v[158:159], v[158:159], -v[196:197]
	ds_read2_b64 v[196:199], v192 offset0:16 offset1:17
	v_add_f64 v[156:157], v[156:157], -v[160:161]
	s_waitcnt lgkmcnt(1)
	v_mul_f64 v[160:161], v[182:183], v[162:163]
	v_fma_f64 v[160:161], v[180:181], v[190:191], -v[160:161]
	v_mul_f64 v[180:181], v[180:181], v[162:163]
	v_fmac_f64_e32 v[180:181], v[182:183], v[190:191]
	s_waitcnt vmcnt(37)
	v_add_f64 v[152:153], v[152:153], -v[160:161]
	v_add_f64 v[154:155], v[154:155], -v[180:181]
	ds_read2_b64 v[180:183], v192 offset0:18 offset1:19
	s_waitcnt lgkmcnt(1)
	v_mul_f64 v[160:161], v[198:199], v[162:163]
	v_fma_f64 v[160:161], v[196:197], v[190:191], -v[160:161]
	v_mul_f64 v[196:197], v[196:197], v[162:163]
	v_fmac_f64_e32 v[196:197], v[198:199], v[190:191]
	s_waitcnt vmcnt(36)
	v_add_f64 v[150:151], v[150:151], -v[196:197]
	ds_read2_b64 v[196:199], v192 offset0:20 offset1:21
	v_add_f64 v[148:149], v[148:149], -v[160:161]
	s_waitcnt lgkmcnt(1)
	v_mul_f64 v[160:161], v[182:183], v[162:163]
	v_fma_f64 v[160:161], v[180:181], v[190:191], -v[160:161]
	v_mul_f64 v[180:181], v[180:181], v[162:163]
	v_fmac_f64_e32 v[180:181], v[182:183], v[190:191]
	s_waitcnt vmcnt(35)
	v_add_f64 v[144:145], v[144:145], -v[160:161]
	v_add_f64 v[146:147], v[146:147], -v[180:181]
	;; [unrolled: 18-line block ×19, first 2 shown]
	s_waitcnt lgkmcnt(0)
	v_mul_f64 v[160:161], v[198:199], v[162:163]
	v_mul_f64 v[180:181], v[196:197], v[162:163]
	v_fma_f64 v[160:161], v[196:197], v[190:191], -v[160:161]
	v_fmac_f64_e32 v[180:181], v[198:199], v[190:191]
	s_waitcnt vmcnt(0)
	v_add_f64 v[176:177], v[176:177], -v[160:161]
	v_add_f64 v[178:179], v[178:179], -v[180:181]
	v_mov_b64_e32 v[160:161], v[190:191]
.LBB88_125:
	s_or_b64 exec, exec, s[0:1]
	v_lshl_add_u32 v180, v193, 4, v192
	s_barrier
	s_waitcnt vmcnt(38)
	ds_write2_b64 v180, v[156:157], v[158:159] offset1:1
	s_waitcnt lgkmcnt(0)
	s_barrier
	ds_read2_b64 v[180:183], v192 offset0:12 offset1:13
	s_cmp_lt_i32 s20, 8
	v_mov_b32_e32 v190, 6
	s_cbranch_scc1 .LBB88_128
; %bb.126:
	v_add_u32_e32 v191, 0x70, v192
	s_mov_b32 s16, 7
	v_mov_b32_e32 v190, 6
.LBB88_127:                             ; =>This Inner Loop Header: Depth=1
	ds_read2_b64 v[196:199], v191 offset1:1
	s_waitcnt lgkmcnt(1)
	v_xor_b32_e32 v201, 0x80000000, v181
	v_xor_b32_e32 v203, 0x80000000, v183
	v_cmp_gt_f64_e32 vcc, 0, v[182:183]
	v_cmp_gt_f64_e64 s[0:1], 0, v[180:181]
	v_mov_b32_e32 v200, v180
	v_mov_b32_e32 v202, v182
	v_cndmask_b32_e64 v201, v181, v201, s[0:1]
	v_cndmask_b32_e32 v203, v183, v203, vcc
	v_add_f64 v[200:201], v[200:201], v[202:203]
	s_waitcnt lgkmcnt(0)
	v_xor_b32_e32 v203, 0x80000000, v197
	v_xor_b32_e32 v205, 0x80000000, v199
	v_cmp_gt_f64_e32 vcc, 0, v[198:199]
	v_cmp_gt_f64_e64 s[0:1], 0, v[196:197]
	v_mov_b32_e32 v202, v196
	v_mov_b32_e32 v204, v198
	v_cndmask_b32_e64 v203, v197, v203, s[0:1]
	v_cndmask_b32_e32 v205, v199, v205, vcc
	v_add_f64 v[202:203], v[202:203], v[204:205]
	v_mov_b32_e32 v206, s16
	s_add_i32 s16, s16, 1
	v_cmp_lt_f64_e32 vcc, v[200:201], v[202:203]
	v_add_u32_e32 v191, 16, v191
	s_cmp_lg_u32 s20, s16
	v_cndmask_b32_e32 v181, v181, v197, vcc
	v_cndmask_b32_e32 v180, v180, v196, vcc
	;; [unrolled: 1-line block ×5, first 2 shown]
	s_cbranch_scc1 .LBB88_127
.LBB88_128:
	s_waitcnt lgkmcnt(0)
	v_cmp_eq_f64_e32 vcc, 0, v[180:181]
	v_cmp_eq_f64_e64 s[0:1], 0, v[182:183]
	s_and_b64 s[0:1], vcc, s[0:1]
	s_and_saveexec_b64 s[16:17], s[0:1]
	s_xor_b64 s[0:1], exec, s[16:17]
; %bb.129:
	v_cmp_ne_u32_e32 vcc, 0, v194
	s_nop 1
	v_cndmask_b32_e32 v194, 7, v194, vcc
; %bb.130:
	s_andn2_saveexec_b64 s[0:1], s[0:1]
	s_cbranch_execz .LBB88_136
; %bb.131:
	v_cmp_ngt_f64_e64 s[16:17], |v[180:181]|, |v[182:183]|
	s_and_saveexec_b64 s[18:19], s[16:17]
	s_xor_b64 s[16:17], exec, s[18:19]
	s_cbranch_execz .LBB88_133
; %bb.132:
	v_div_scale_f64 v[196:197], s[18:19], v[182:183], v[182:183], v[180:181]
	v_rcp_f64_e32 v[198:199], v[196:197]
	v_div_scale_f64 v[200:201], vcc, v[180:181], v[182:183], v[180:181]
	v_fma_f64 v[202:203], -v[196:197], v[198:199], 1.0
	v_fmac_f64_e32 v[198:199], v[198:199], v[202:203]
	v_fma_f64 v[202:203], -v[196:197], v[198:199], 1.0
	v_fmac_f64_e32 v[198:199], v[198:199], v[202:203]
	v_mul_f64 v[202:203], v[200:201], v[198:199]
	v_fma_f64 v[196:197], -v[196:197], v[202:203], v[200:201]
	v_div_fmas_f64 v[196:197], v[196:197], v[198:199], v[202:203]
	v_div_fixup_f64 v[196:197], v[196:197], v[182:183], v[180:181]
	v_fmac_f64_e32 v[182:183], v[180:181], v[196:197]
	v_div_scale_f64 v[180:181], s[18:19], v[182:183], v[182:183], 1.0
	v_rcp_f64_e32 v[198:199], v[180:181]
	s_nop 0
	v_fma_f64 v[200:201], -v[180:181], v[198:199], 1.0
	v_fmac_f64_e32 v[198:199], v[198:199], v[200:201]
	v_fma_f64 v[200:201], -v[180:181], v[198:199], 1.0
	v_fmac_f64_e32 v[198:199], v[198:199], v[200:201]
	v_div_scale_f64 v[200:201], vcc, 1.0, v[182:183], 1.0
	v_mul_f64 v[202:203], v[200:201], v[198:199]
	v_fma_f64 v[180:181], -v[180:181], v[202:203], v[200:201]
	s_nop 1
	v_div_fmas_f64 v[180:181], v[180:181], v[198:199], v[202:203]
	v_div_fixup_f64 v[182:183], v[180:181], v[182:183], 1.0
	v_mul_f64 v[180:181], v[196:197], v[182:183]
	v_xor_b32_e32 v183, 0x80000000, v183
.LBB88_133:
	s_andn2_saveexec_b64 s[16:17], s[16:17]
	s_cbranch_execz .LBB88_135
; %bb.134:
	v_div_scale_f64 v[196:197], s[18:19], v[180:181], v[180:181], v[182:183]
	v_rcp_f64_e32 v[198:199], v[196:197]
	v_div_scale_f64 v[200:201], vcc, v[182:183], v[180:181], v[182:183]
	v_fma_f64 v[202:203], -v[196:197], v[198:199], 1.0
	v_fmac_f64_e32 v[198:199], v[198:199], v[202:203]
	v_fma_f64 v[202:203], -v[196:197], v[198:199], 1.0
	v_fmac_f64_e32 v[198:199], v[198:199], v[202:203]
	v_mul_f64 v[202:203], v[200:201], v[198:199]
	v_fma_f64 v[196:197], -v[196:197], v[202:203], v[200:201]
	v_div_fmas_f64 v[196:197], v[196:197], v[198:199], v[202:203]
	v_div_fixup_f64 v[196:197], v[196:197], v[180:181], v[182:183]
	v_fmac_f64_e32 v[180:181], v[182:183], v[196:197]
	v_div_scale_f64 v[182:183], s[18:19], v[180:181], v[180:181], 1.0
	v_rcp_f64_e32 v[198:199], v[182:183]
	s_nop 0
	v_fma_f64 v[200:201], -v[182:183], v[198:199], 1.0
	v_fmac_f64_e32 v[198:199], v[198:199], v[200:201]
	v_fma_f64 v[200:201], -v[182:183], v[198:199], 1.0
	v_fmac_f64_e32 v[198:199], v[198:199], v[200:201]
	v_div_scale_f64 v[200:201], vcc, 1.0, v[180:181], 1.0
	v_mul_f64 v[202:203], v[200:201], v[198:199]
	v_fma_f64 v[182:183], -v[182:183], v[202:203], v[200:201]
	s_nop 1
	v_div_fmas_f64 v[182:183], v[182:183], v[198:199], v[202:203]
	v_div_fixup_f64 v[180:181], v[182:183], v[180:181], 1.0
	v_mul_f64 v[182:183], v[196:197], -v[180:181]
.LBB88_135:
	s_or_b64 exec, exec, s[16:17]
.LBB88_136:
	s_or_b64 exec, exec, s[0:1]
	v_cmp_ne_u32_e32 vcc, v193, v190
	s_and_saveexec_b64 s[0:1], vcc
	s_xor_b64 s[0:1], exec, s[0:1]
	s_cbranch_execz .LBB88_142
; %bb.137:
	v_cmp_eq_u32_e32 vcc, 6, v193
	s_and_saveexec_b64 s[16:17], vcc
	s_cbranch_execz .LBB88_141
; %bb.138:
	v_cmp_ne_u32_e32 vcc, 6, v190
	s_xor_b64 s[18:19], s[14:15], -1
	s_and_b64 s[22:23], s[18:19], vcc
	s_and_saveexec_b64 s[18:19], s[22:23]
	s_cbranch_execz .LBB88_140
; %bb.139:
	v_ashrrev_i32_e32 v191, 31, v190
	v_lshl_add_u64 v[196:197], v[190:191], 2, v[188:189]
	global_load_dword v191, v[196:197], off
	global_load_dword v193, v[188:189], off offset:24
	s_waitcnt vmcnt(1)
	global_store_dword v[188:189], v191, off offset:24
	s_waitcnt vmcnt(1)
	global_store_dword v[196:197], v193, off
.LBB88_140:
	s_or_b64 exec, exec, s[18:19]
	v_mov_b32_e32 v193, v190
	v_mov_b32_e32 v195, v190
.LBB88_141:
	s_or_b64 exec, exec, s[16:17]
.LBB88_142:
	s_andn2_saveexec_b64 s[0:1], s[0:1]
	s_cbranch_execz .LBB88_144
; %bb.143:
	v_mov_b32_e32 v193, 6
	s_waitcnt vmcnt(37)
	ds_write2_b64 v192, v[152:153], v[154:155] offset0:14 offset1:15
	s_waitcnt vmcnt(36)
	ds_write2_b64 v192, v[148:149], v[150:151] offset0:16 offset1:17
	;; [unrolled: 2-line block ×38, first 2 shown]
.LBB88_144:
	s_or_b64 exec, exec, s[0:1]
	v_cmp_lt_i32_e32 vcc, 6, v193
	s_waitcnt lgkmcnt(0)
	s_barrier
	s_and_saveexec_b64 s[0:1], vcc
	s_cbranch_execz .LBB88_146
; %bb.145:
	ds_read2_b64 v[196:199], v192 offset0:14 offset1:15
	v_mul_f64 v[190:191], v[182:183], v[158:159]
	v_mul_f64 v[158:159], v[180:181], v[158:159]
	v_fma_f64 v[190:191], v[180:181], v[156:157], -v[190:191]
	v_fmac_f64_e32 v[158:159], v[182:183], v[156:157]
	ds_read2_b64 v[180:183], v192 offset0:16 offset1:17
	s_waitcnt lgkmcnt(1)
	v_mul_f64 v[156:157], v[198:199], v[158:159]
	v_fma_f64 v[156:157], v[196:197], v[190:191], -v[156:157]
	v_mul_f64 v[196:197], v[196:197], v[158:159]
	v_fmac_f64_e32 v[196:197], v[198:199], v[190:191]
	s_waitcnt vmcnt(37)
	v_add_f64 v[152:153], v[152:153], -v[156:157]
	s_waitcnt lgkmcnt(0)
	v_mul_f64 v[156:157], v[182:183], v[158:159]
	v_add_f64 v[154:155], v[154:155], -v[196:197]
	v_fma_f64 v[156:157], v[180:181], v[190:191], -v[156:157]
	v_mul_f64 v[180:181], v[180:181], v[158:159]
	ds_read2_b64 v[196:199], v192 offset0:18 offset1:19
	v_fmac_f64_e32 v[180:181], v[182:183], v[190:191]
	s_waitcnt vmcnt(36)
	v_add_f64 v[150:151], v[150:151], -v[180:181]
	ds_read2_b64 v[180:183], v192 offset0:20 offset1:21
	v_add_f64 v[148:149], v[148:149], -v[156:157]
	s_waitcnt lgkmcnt(1)
	v_mul_f64 v[156:157], v[198:199], v[158:159]
	v_fma_f64 v[156:157], v[196:197], v[190:191], -v[156:157]
	v_mul_f64 v[196:197], v[196:197], v[158:159]
	v_fmac_f64_e32 v[196:197], v[198:199], v[190:191]
	s_waitcnt vmcnt(35)
	v_add_f64 v[144:145], v[144:145], -v[156:157]
	s_waitcnt lgkmcnt(0)
	v_mul_f64 v[156:157], v[182:183], v[158:159]
	v_add_f64 v[146:147], v[146:147], -v[196:197]
	v_fma_f64 v[156:157], v[180:181], v[190:191], -v[156:157]
	v_mul_f64 v[180:181], v[180:181], v[158:159]
	ds_read2_b64 v[196:199], v192 offset0:22 offset1:23
	v_fmac_f64_e32 v[180:181], v[182:183], v[190:191]
	s_waitcnt vmcnt(34)
	v_add_f64 v[142:143], v[142:143], -v[180:181]
	ds_read2_b64 v[180:183], v192 offset0:24 offset1:25
	v_add_f64 v[140:141], v[140:141], -v[156:157]
	;; [unrolled: 18-line block ×18, first 2 shown]
	s_waitcnt lgkmcnt(1)
	v_mul_f64 v[156:157], v[198:199], v[158:159]
	v_fma_f64 v[156:157], v[196:197], v[190:191], -v[156:157]
	s_waitcnt vmcnt(1)
	v_add_f64 v[0:1], v[0:1], -v[156:157]
	s_waitcnt lgkmcnt(0)
	v_mul_f64 v[156:157], v[182:183], v[158:159]
	v_mul_f64 v[196:197], v[196:197], v[158:159]
	v_fma_f64 v[156:157], v[180:181], v[190:191], -v[156:157]
	v_mul_f64 v[180:181], v[180:181], v[158:159]
	v_fmac_f64_e32 v[196:197], v[198:199], v[190:191]
	v_fmac_f64_e32 v[180:181], v[182:183], v[190:191]
	v_add_f64 v[2:3], v[2:3], -v[196:197]
	s_waitcnt vmcnt(0)
	v_add_f64 v[176:177], v[176:177], -v[156:157]
	v_add_f64 v[178:179], v[178:179], -v[180:181]
	v_mov_b64_e32 v[156:157], v[190:191]
.LBB88_146:
	s_or_b64 exec, exec, s[0:1]
	v_lshl_add_u32 v180, v193, 4, v192
	s_barrier
	s_waitcnt vmcnt(37)
	ds_write2_b64 v180, v[152:153], v[154:155] offset1:1
	s_waitcnt lgkmcnt(0)
	s_barrier
	ds_read2_b64 v[180:183], v192 offset0:14 offset1:15
	s_cmp_lt_i32 s20, 9
	v_mov_b32_e32 v190, 7
	s_cbranch_scc1 .LBB88_149
; %bb.147:
	v_add_u32_e32 v191, 0x80, v192
	s_mov_b32 s16, 8
	v_mov_b32_e32 v190, 7
.LBB88_148:                             ; =>This Inner Loop Header: Depth=1
	ds_read2_b64 v[196:199], v191 offset1:1
	s_waitcnt lgkmcnt(1)
	v_xor_b32_e32 v201, 0x80000000, v181
	v_xor_b32_e32 v203, 0x80000000, v183
	v_cmp_gt_f64_e32 vcc, 0, v[182:183]
	v_cmp_gt_f64_e64 s[0:1], 0, v[180:181]
	v_mov_b32_e32 v200, v180
	v_mov_b32_e32 v202, v182
	v_cndmask_b32_e64 v201, v181, v201, s[0:1]
	v_cndmask_b32_e32 v203, v183, v203, vcc
	v_add_f64 v[200:201], v[200:201], v[202:203]
	s_waitcnt lgkmcnt(0)
	v_xor_b32_e32 v203, 0x80000000, v197
	v_xor_b32_e32 v205, 0x80000000, v199
	v_cmp_gt_f64_e32 vcc, 0, v[198:199]
	v_cmp_gt_f64_e64 s[0:1], 0, v[196:197]
	v_mov_b32_e32 v202, v196
	v_mov_b32_e32 v204, v198
	v_cndmask_b32_e64 v203, v197, v203, s[0:1]
	v_cndmask_b32_e32 v205, v199, v205, vcc
	v_add_f64 v[202:203], v[202:203], v[204:205]
	v_mov_b32_e32 v206, s16
	s_add_i32 s16, s16, 1
	v_cmp_lt_f64_e32 vcc, v[200:201], v[202:203]
	v_add_u32_e32 v191, 16, v191
	s_cmp_lg_u32 s20, s16
	v_cndmask_b32_e32 v181, v181, v197, vcc
	v_cndmask_b32_e32 v180, v180, v196, vcc
	;; [unrolled: 1-line block ×5, first 2 shown]
	s_cbranch_scc1 .LBB88_148
.LBB88_149:
	s_waitcnt lgkmcnt(0)
	v_cmp_eq_f64_e32 vcc, 0, v[180:181]
	v_cmp_eq_f64_e64 s[0:1], 0, v[182:183]
	s_and_b64 s[0:1], vcc, s[0:1]
	s_and_saveexec_b64 s[16:17], s[0:1]
	s_xor_b64 s[0:1], exec, s[16:17]
; %bb.150:
	v_cmp_ne_u32_e32 vcc, 0, v194
	s_nop 1
	v_cndmask_b32_e32 v194, 8, v194, vcc
; %bb.151:
	s_andn2_saveexec_b64 s[0:1], s[0:1]
	s_cbranch_execz .LBB88_157
; %bb.152:
	v_cmp_ngt_f64_e64 s[16:17], |v[180:181]|, |v[182:183]|
	s_and_saveexec_b64 s[18:19], s[16:17]
	s_xor_b64 s[16:17], exec, s[18:19]
	s_cbranch_execz .LBB88_154
; %bb.153:
	v_div_scale_f64 v[196:197], s[18:19], v[182:183], v[182:183], v[180:181]
	v_rcp_f64_e32 v[198:199], v[196:197]
	v_div_scale_f64 v[200:201], vcc, v[180:181], v[182:183], v[180:181]
	v_fma_f64 v[202:203], -v[196:197], v[198:199], 1.0
	v_fmac_f64_e32 v[198:199], v[198:199], v[202:203]
	v_fma_f64 v[202:203], -v[196:197], v[198:199], 1.0
	v_fmac_f64_e32 v[198:199], v[198:199], v[202:203]
	v_mul_f64 v[202:203], v[200:201], v[198:199]
	v_fma_f64 v[196:197], -v[196:197], v[202:203], v[200:201]
	v_div_fmas_f64 v[196:197], v[196:197], v[198:199], v[202:203]
	v_div_fixup_f64 v[196:197], v[196:197], v[182:183], v[180:181]
	v_fmac_f64_e32 v[182:183], v[180:181], v[196:197]
	v_div_scale_f64 v[180:181], s[18:19], v[182:183], v[182:183], 1.0
	v_rcp_f64_e32 v[198:199], v[180:181]
	s_nop 0
	v_fma_f64 v[200:201], -v[180:181], v[198:199], 1.0
	v_fmac_f64_e32 v[198:199], v[198:199], v[200:201]
	v_fma_f64 v[200:201], -v[180:181], v[198:199], 1.0
	v_fmac_f64_e32 v[198:199], v[198:199], v[200:201]
	v_div_scale_f64 v[200:201], vcc, 1.0, v[182:183], 1.0
	v_mul_f64 v[202:203], v[200:201], v[198:199]
	v_fma_f64 v[180:181], -v[180:181], v[202:203], v[200:201]
	s_nop 1
	v_div_fmas_f64 v[180:181], v[180:181], v[198:199], v[202:203]
	v_div_fixup_f64 v[182:183], v[180:181], v[182:183], 1.0
	v_mul_f64 v[180:181], v[196:197], v[182:183]
	v_xor_b32_e32 v183, 0x80000000, v183
.LBB88_154:
	s_andn2_saveexec_b64 s[16:17], s[16:17]
	s_cbranch_execz .LBB88_156
; %bb.155:
	v_div_scale_f64 v[196:197], s[18:19], v[180:181], v[180:181], v[182:183]
	v_rcp_f64_e32 v[198:199], v[196:197]
	v_div_scale_f64 v[200:201], vcc, v[182:183], v[180:181], v[182:183]
	v_fma_f64 v[202:203], -v[196:197], v[198:199], 1.0
	v_fmac_f64_e32 v[198:199], v[198:199], v[202:203]
	v_fma_f64 v[202:203], -v[196:197], v[198:199], 1.0
	v_fmac_f64_e32 v[198:199], v[198:199], v[202:203]
	v_mul_f64 v[202:203], v[200:201], v[198:199]
	v_fma_f64 v[196:197], -v[196:197], v[202:203], v[200:201]
	v_div_fmas_f64 v[196:197], v[196:197], v[198:199], v[202:203]
	v_div_fixup_f64 v[196:197], v[196:197], v[180:181], v[182:183]
	v_fmac_f64_e32 v[180:181], v[182:183], v[196:197]
	v_div_scale_f64 v[182:183], s[18:19], v[180:181], v[180:181], 1.0
	v_rcp_f64_e32 v[198:199], v[182:183]
	s_nop 0
	v_fma_f64 v[200:201], -v[182:183], v[198:199], 1.0
	v_fmac_f64_e32 v[198:199], v[198:199], v[200:201]
	v_fma_f64 v[200:201], -v[182:183], v[198:199], 1.0
	v_fmac_f64_e32 v[198:199], v[198:199], v[200:201]
	v_div_scale_f64 v[200:201], vcc, 1.0, v[180:181], 1.0
	v_mul_f64 v[202:203], v[200:201], v[198:199]
	v_fma_f64 v[182:183], -v[182:183], v[202:203], v[200:201]
	s_nop 1
	v_div_fmas_f64 v[182:183], v[182:183], v[198:199], v[202:203]
	v_div_fixup_f64 v[180:181], v[182:183], v[180:181], 1.0
	v_mul_f64 v[182:183], v[196:197], -v[180:181]
.LBB88_156:
	s_or_b64 exec, exec, s[16:17]
.LBB88_157:
	s_or_b64 exec, exec, s[0:1]
	v_cmp_ne_u32_e32 vcc, v193, v190
	s_and_saveexec_b64 s[0:1], vcc
	s_xor_b64 s[0:1], exec, s[0:1]
	s_cbranch_execz .LBB88_163
; %bb.158:
	v_cmp_eq_u32_e32 vcc, 7, v193
	s_and_saveexec_b64 s[16:17], vcc
	s_cbranch_execz .LBB88_162
; %bb.159:
	v_cmp_ne_u32_e32 vcc, 7, v190
	s_xor_b64 s[18:19], s[14:15], -1
	s_and_b64 s[22:23], s[18:19], vcc
	s_and_saveexec_b64 s[18:19], s[22:23]
	s_cbranch_execz .LBB88_161
; %bb.160:
	v_ashrrev_i32_e32 v191, 31, v190
	v_lshl_add_u64 v[196:197], v[190:191], 2, v[188:189]
	global_load_dword v191, v[196:197], off
	global_load_dword v193, v[188:189], off offset:28
	s_waitcnt vmcnt(1)
	global_store_dword v[188:189], v191, off offset:28
	s_waitcnt vmcnt(1)
	global_store_dword v[196:197], v193, off
.LBB88_161:
	s_or_b64 exec, exec, s[18:19]
	v_mov_b32_e32 v193, v190
	v_mov_b32_e32 v195, v190
.LBB88_162:
	s_or_b64 exec, exec, s[16:17]
.LBB88_163:
	s_andn2_saveexec_b64 s[0:1], s[0:1]
	s_cbranch_execz .LBB88_165
; %bb.164:
	v_mov_b32_e32 v193, 7
	s_waitcnt vmcnt(36)
	ds_write2_b64 v192, v[148:149], v[150:151] offset0:16 offset1:17
	s_waitcnt vmcnt(35)
	ds_write2_b64 v192, v[144:145], v[146:147] offset0:18 offset1:19
	;; [unrolled: 2-line block ×37, first 2 shown]
.LBB88_165:
	s_or_b64 exec, exec, s[0:1]
	v_cmp_lt_i32_e32 vcc, 7, v193
	s_waitcnt lgkmcnt(0)
	s_barrier
	s_and_saveexec_b64 s[0:1], vcc
	s_cbranch_execz .LBB88_167
; %bb.166:
	ds_read2_b64 v[196:199], v192 offset0:16 offset1:17
	v_mul_f64 v[190:191], v[182:183], v[154:155]
	v_mul_f64 v[154:155], v[180:181], v[154:155]
	v_fmac_f64_e32 v[154:155], v[182:183], v[152:153]
	v_fma_f64 v[190:191], v[180:181], v[152:153], -v[190:191]
	ds_read2_b64 v[180:183], v192 offset0:18 offset1:19
	s_waitcnt lgkmcnt(1)
	v_mul_f64 v[152:153], v[198:199], v[154:155]
	v_fma_f64 v[152:153], v[196:197], v[190:191], -v[152:153]
	v_mul_f64 v[196:197], v[196:197], v[154:155]
	v_fmac_f64_e32 v[196:197], v[198:199], v[190:191]
	s_waitcnt vmcnt(36)
	v_add_f64 v[150:151], v[150:151], -v[196:197]
	ds_read2_b64 v[196:199], v192 offset0:20 offset1:21
	v_add_f64 v[148:149], v[148:149], -v[152:153]
	s_waitcnt lgkmcnt(1)
	v_mul_f64 v[152:153], v[182:183], v[154:155]
	v_fma_f64 v[152:153], v[180:181], v[190:191], -v[152:153]
	v_mul_f64 v[180:181], v[180:181], v[154:155]
	v_fmac_f64_e32 v[180:181], v[182:183], v[190:191]
	s_waitcnt vmcnt(35)
	v_add_f64 v[144:145], v[144:145], -v[152:153]
	v_add_f64 v[146:147], v[146:147], -v[180:181]
	ds_read2_b64 v[180:183], v192 offset0:22 offset1:23
	s_waitcnt lgkmcnt(1)
	v_mul_f64 v[152:153], v[198:199], v[154:155]
	v_fma_f64 v[152:153], v[196:197], v[190:191], -v[152:153]
	v_mul_f64 v[196:197], v[196:197], v[154:155]
	v_fmac_f64_e32 v[196:197], v[198:199], v[190:191]
	s_waitcnt vmcnt(34)
	v_add_f64 v[142:143], v[142:143], -v[196:197]
	ds_read2_b64 v[196:199], v192 offset0:24 offset1:25
	v_add_f64 v[140:141], v[140:141], -v[152:153]
	s_waitcnt lgkmcnt(1)
	v_mul_f64 v[152:153], v[182:183], v[154:155]
	v_fma_f64 v[152:153], v[180:181], v[190:191], -v[152:153]
	v_mul_f64 v[180:181], v[180:181], v[154:155]
	v_fmac_f64_e32 v[180:181], v[182:183], v[190:191]
	s_waitcnt vmcnt(33)
	v_add_f64 v[136:137], v[136:137], -v[152:153]
	v_add_f64 v[138:139], v[138:139], -v[180:181]
	ds_read2_b64 v[180:183], v192 offset0:26 offset1:27
	s_waitcnt lgkmcnt(1)
	v_mul_f64 v[152:153], v[198:199], v[154:155]
	v_fma_f64 v[152:153], v[196:197], v[190:191], -v[152:153]
	v_mul_f64 v[196:197], v[196:197], v[154:155]
	v_fmac_f64_e32 v[196:197], v[198:199], v[190:191]
	s_waitcnt vmcnt(32)
	v_add_f64 v[134:135], v[134:135], -v[196:197]
	ds_read2_b64 v[196:199], v192 offset0:28 offset1:29
	v_add_f64 v[132:133], v[132:133], -v[152:153]
	s_waitcnt lgkmcnt(1)
	v_mul_f64 v[152:153], v[182:183], v[154:155]
	v_fma_f64 v[152:153], v[180:181], v[190:191], -v[152:153]
	v_mul_f64 v[180:181], v[180:181], v[154:155]
	v_fmac_f64_e32 v[180:181], v[182:183], v[190:191]
	s_waitcnt vmcnt(31)
	v_add_f64 v[128:129], v[128:129], -v[152:153]
	v_add_f64 v[130:131], v[130:131], -v[180:181]
	ds_read2_b64 v[180:183], v192 offset0:30 offset1:31
	s_waitcnt lgkmcnt(1)
	v_mul_f64 v[152:153], v[198:199], v[154:155]
	v_fma_f64 v[152:153], v[196:197], v[190:191], -v[152:153]
	v_mul_f64 v[196:197], v[196:197], v[154:155]
	v_fmac_f64_e32 v[196:197], v[198:199], v[190:191]
	s_waitcnt vmcnt(30)
	v_add_f64 v[126:127], v[126:127], -v[196:197]
	ds_read2_b64 v[196:199], v192 offset0:32 offset1:33
	v_add_f64 v[124:125], v[124:125], -v[152:153]
	s_waitcnt lgkmcnt(1)
	v_mul_f64 v[152:153], v[182:183], v[154:155]
	v_fma_f64 v[152:153], v[180:181], v[190:191], -v[152:153]
	v_mul_f64 v[180:181], v[180:181], v[154:155]
	v_fmac_f64_e32 v[180:181], v[182:183], v[190:191]
	s_waitcnt vmcnt(29)
	v_add_f64 v[116:117], v[116:117], -v[152:153]
	v_add_f64 v[118:119], v[118:119], -v[180:181]
	ds_read2_b64 v[180:183], v192 offset0:34 offset1:35
	s_waitcnt lgkmcnt(1)
	v_mul_f64 v[152:153], v[198:199], v[154:155]
	v_fma_f64 v[152:153], v[196:197], v[190:191], -v[152:153]
	v_mul_f64 v[196:197], v[196:197], v[154:155]
	v_fmac_f64_e32 v[196:197], v[198:199], v[190:191]
	s_waitcnt vmcnt(28)
	v_add_f64 v[110:111], v[110:111], -v[196:197]
	ds_read2_b64 v[196:199], v192 offset0:36 offset1:37
	v_add_f64 v[108:109], v[108:109], -v[152:153]
	s_waitcnt lgkmcnt(1)
	v_mul_f64 v[152:153], v[182:183], v[154:155]
	v_fma_f64 v[152:153], v[180:181], v[190:191], -v[152:153]
	v_mul_f64 v[180:181], v[180:181], v[154:155]
	v_fmac_f64_e32 v[180:181], v[182:183], v[190:191]
	s_waitcnt vmcnt(27)
	v_add_f64 v[104:105], v[104:105], -v[152:153]
	v_add_f64 v[106:107], v[106:107], -v[180:181]
	ds_read2_b64 v[180:183], v192 offset0:38 offset1:39
	s_waitcnt lgkmcnt(1)
	v_mul_f64 v[152:153], v[198:199], v[154:155]
	v_fma_f64 v[152:153], v[196:197], v[190:191], -v[152:153]
	v_mul_f64 v[196:197], v[196:197], v[154:155]
	v_fmac_f64_e32 v[196:197], v[198:199], v[190:191]
	s_waitcnt vmcnt(26)
	v_add_f64 v[102:103], v[102:103], -v[196:197]
	ds_read2_b64 v[196:199], v192 offset0:40 offset1:41
	v_add_f64 v[100:101], v[100:101], -v[152:153]
	s_waitcnt lgkmcnt(1)
	v_mul_f64 v[152:153], v[182:183], v[154:155]
	v_fma_f64 v[152:153], v[180:181], v[190:191], -v[152:153]
	v_mul_f64 v[180:181], v[180:181], v[154:155]
	v_fmac_f64_e32 v[180:181], v[182:183], v[190:191]
	s_waitcnt vmcnt(25)
	v_add_f64 v[96:97], v[96:97], -v[152:153]
	v_add_f64 v[98:99], v[98:99], -v[180:181]
	ds_read2_b64 v[180:183], v192 offset0:42 offset1:43
	s_waitcnt lgkmcnt(1)
	v_mul_f64 v[152:153], v[198:199], v[154:155]
	v_fma_f64 v[152:153], v[196:197], v[190:191], -v[152:153]
	v_mul_f64 v[196:197], v[196:197], v[154:155]
	v_fmac_f64_e32 v[196:197], v[198:199], v[190:191]
	s_waitcnt vmcnt(24)
	v_add_f64 v[94:95], v[94:95], -v[196:197]
	ds_read2_b64 v[196:199], v192 offset0:44 offset1:45
	v_add_f64 v[92:93], v[92:93], -v[152:153]
	s_waitcnt lgkmcnt(1)
	v_mul_f64 v[152:153], v[182:183], v[154:155]
	v_fma_f64 v[152:153], v[180:181], v[190:191], -v[152:153]
	v_mul_f64 v[180:181], v[180:181], v[154:155]
	v_fmac_f64_e32 v[180:181], v[182:183], v[190:191]
	s_waitcnt vmcnt(23)
	v_add_f64 v[88:89], v[88:89], -v[152:153]
	v_add_f64 v[90:91], v[90:91], -v[180:181]
	ds_read2_b64 v[180:183], v192 offset0:46 offset1:47
	s_waitcnt lgkmcnt(1)
	v_mul_f64 v[152:153], v[198:199], v[154:155]
	v_fma_f64 v[152:153], v[196:197], v[190:191], -v[152:153]
	v_mul_f64 v[196:197], v[196:197], v[154:155]
	v_fmac_f64_e32 v[196:197], v[198:199], v[190:191]
	s_waitcnt vmcnt(22)
	v_add_f64 v[86:87], v[86:87], -v[196:197]
	ds_read2_b64 v[196:199], v192 offset0:48 offset1:49
	v_add_f64 v[84:85], v[84:85], -v[152:153]
	s_waitcnt lgkmcnt(1)
	v_mul_f64 v[152:153], v[182:183], v[154:155]
	v_fma_f64 v[152:153], v[180:181], v[190:191], -v[152:153]
	v_mul_f64 v[180:181], v[180:181], v[154:155]
	v_fmac_f64_e32 v[180:181], v[182:183], v[190:191]
	s_waitcnt vmcnt(21)
	v_add_f64 v[80:81], v[80:81], -v[152:153]
	v_add_f64 v[82:83], v[82:83], -v[180:181]
	ds_read2_b64 v[180:183], v192 offset0:50 offset1:51
	s_waitcnt lgkmcnt(1)
	v_mul_f64 v[152:153], v[198:199], v[154:155]
	v_fma_f64 v[152:153], v[196:197], v[190:191], -v[152:153]
	v_mul_f64 v[196:197], v[196:197], v[154:155]
	v_fmac_f64_e32 v[196:197], v[198:199], v[190:191]
	s_waitcnt vmcnt(20)
	v_add_f64 v[78:79], v[78:79], -v[196:197]
	ds_read2_b64 v[196:199], v192 offset0:52 offset1:53
	v_add_f64 v[76:77], v[76:77], -v[152:153]
	s_waitcnt lgkmcnt(1)
	v_mul_f64 v[152:153], v[182:183], v[154:155]
	v_fma_f64 v[152:153], v[180:181], v[190:191], -v[152:153]
	v_mul_f64 v[180:181], v[180:181], v[154:155]
	v_fmac_f64_e32 v[180:181], v[182:183], v[190:191]
	s_waitcnt vmcnt(19)
	v_add_f64 v[72:73], v[72:73], -v[152:153]
	v_add_f64 v[74:75], v[74:75], -v[180:181]
	ds_read2_b64 v[180:183], v192 offset0:54 offset1:55
	s_waitcnt lgkmcnt(1)
	v_mul_f64 v[152:153], v[198:199], v[154:155]
	v_fma_f64 v[152:153], v[196:197], v[190:191], -v[152:153]
	v_mul_f64 v[196:197], v[196:197], v[154:155]
	v_fmac_f64_e32 v[196:197], v[198:199], v[190:191]
	s_waitcnt vmcnt(18)
	v_add_f64 v[70:71], v[70:71], -v[196:197]
	ds_read2_b64 v[196:199], v192 offset0:56 offset1:57
	v_add_f64 v[68:69], v[68:69], -v[152:153]
	s_waitcnt lgkmcnt(1)
	v_mul_f64 v[152:153], v[182:183], v[154:155]
	v_fma_f64 v[152:153], v[180:181], v[190:191], -v[152:153]
	v_mul_f64 v[180:181], v[180:181], v[154:155]
	v_fmac_f64_e32 v[180:181], v[182:183], v[190:191]
	s_waitcnt vmcnt(17)
	v_add_f64 v[64:65], v[64:65], -v[152:153]
	v_add_f64 v[66:67], v[66:67], -v[180:181]
	ds_read2_b64 v[180:183], v192 offset0:58 offset1:59
	s_waitcnt lgkmcnt(1)
	v_mul_f64 v[152:153], v[198:199], v[154:155]
	v_fma_f64 v[152:153], v[196:197], v[190:191], -v[152:153]
	v_mul_f64 v[196:197], v[196:197], v[154:155]
	v_fmac_f64_e32 v[196:197], v[198:199], v[190:191]
	s_waitcnt vmcnt(16)
	v_add_f64 v[62:63], v[62:63], -v[196:197]
	ds_read2_b64 v[196:199], v192 offset0:60 offset1:61
	v_add_f64 v[60:61], v[60:61], -v[152:153]
	s_waitcnt lgkmcnt(1)
	v_mul_f64 v[152:153], v[182:183], v[154:155]
	v_fma_f64 v[152:153], v[180:181], v[190:191], -v[152:153]
	v_mul_f64 v[180:181], v[180:181], v[154:155]
	v_fmac_f64_e32 v[180:181], v[182:183], v[190:191]
	s_waitcnt vmcnt(15)
	v_add_f64 v[56:57], v[56:57], -v[152:153]
	v_add_f64 v[58:59], v[58:59], -v[180:181]
	ds_read2_b64 v[180:183], v192 offset0:62 offset1:63
	s_waitcnt lgkmcnt(1)
	v_mul_f64 v[152:153], v[198:199], v[154:155]
	v_fma_f64 v[152:153], v[196:197], v[190:191], -v[152:153]
	v_mul_f64 v[196:197], v[196:197], v[154:155]
	v_fmac_f64_e32 v[196:197], v[198:199], v[190:191]
	s_waitcnt vmcnt(14)
	v_add_f64 v[54:55], v[54:55], -v[196:197]
	ds_read2_b64 v[196:199], v192 offset0:64 offset1:65
	v_add_f64 v[52:53], v[52:53], -v[152:153]
	s_waitcnt lgkmcnt(1)
	v_mul_f64 v[152:153], v[182:183], v[154:155]
	v_fma_f64 v[152:153], v[180:181], v[190:191], -v[152:153]
	v_mul_f64 v[180:181], v[180:181], v[154:155]
	v_fmac_f64_e32 v[180:181], v[182:183], v[190:191]
	s_waitcnt vmcnt(13)
	v_add_f64 v[48:49], v[48:49], -v[152:153]
	v_add_f64 v[50:51], v[50:51], -v[180:181]
	ds_read2_b64 v[180:183], v192 offset0:66 offset1:67
	s_waitcnt lgkmcnt(1)
	v_mul_f64 v[152:153], v[198:199], v[154:155]
	v_fma_f64 v[152:153], v[196:197], v[190:191], -v[152:153]
	v_mul_f64 v[196:197], v[196:197], v[154:155]
	v_fmac_f64_e32 v[196:197], v[198:199], v[190:191]
	s_waitcnt vmcnt(12)
	v_add_f64 v[46:47], v[46:47], -v[196:197]
	ds_read2_b64 v[196:199], v192 offset0:68 offset1:69
	v_add_f64 v[44:45], v[44:45], -v[152:153]
	s_waitcnt lgkmcnt(1)
	v_mul_f64 v[152:153], v[182:183], v[154:155]
	v_fma_f64 v[152:153], v[180:181], v[190:191], -v[152:153]
	v_mul_f64 v[180:181], v[180:181], v[154:155]
	v_fmac_f64_e32 v[180:181], v[182:183], v[190:191]
	s_waitcnt vmcnt(11)
	v_add_f64 v[40:41], v[40:41], -v[152:153]
	v_add_f64 v[42:43], v[42:43], -v[180:181]
	ds_read2_b64 v[180:183], v192 offset0:70 offset1:71
	s_waitcnt lgkmcnt(1)
	v_mul_f64 v[152:153], v[198:199], v[154:155]
	v_fma_f64 v[152:153], v[196:197], v[190:191], -v[152:153]
	v_mul_f64 v[196:197], v[196:197], v[154:155]
	v_fmac_f64_e32 v[196:197], v[198:199], v[190:191]
	s_waitcnt vmcnt(10)
	v_add_f64 v[38:39], v[38:39], -v[196:197]
	ds_read2_b64 v[196:199], v192 offset0:72 offset1:73
	v_add_f64 v[36:37], v[36:37], -v[152:153]
	s_waitcnt lgkmcnt(1)
	v_mul_f64 v[152:153], v[182:183], v[154:155]
	v_fma_f64 v[152:153], v[180:181], v[190:191], -v[152:153]
	v_mul_f64 v[180:181], v[180:181], v[154:155]
	v_fmac_f64_e32 v[180:181], v[182:183], v[190:191]
	s_waitcnt vmcnt(9)
	v_add_f64 v[32:33], v[32:33], -v[152:153]
	v_add_f64 v[34:35], v[34:35], -v[180:181]
	ds_read2_b64 v[180:183], v192 offset0:74 offset1:75
	s_waitcnt lgkmcnt(1)
	v_mul_f64 v[152:153], v[198:199], v[154:155]
	v_fma_f64 v[152:153], v[196:197], v[190:191], -v[152:153]
	v_mul_f64 v[196:197], v[196:197], v[154:155]
	v_fmac_f64_e32 v[196:197], v[198:199], v[190:191]
	s_waitcnt vmcnt(8)
	v_add_f64 v[30:31], v[30:31], -v[196:197]
	ds_read2_b64 v[196:199], v192 offset0:76 offset1:77
	v_add_f64 v[28:29], v[28:29], -v[152:153]
	s_waitcnt lgkmcnt(1)
	v_mul_f64 v[152:153], v[182:183], v[154:155]
	v_fma_f64 v[152:153], v[180:181], v[190:191], -v[152:153]
	v_mul_f64 v[180:181], v[180:181], v[154:155]
	v_fmac_f64_e32 v[180:181], v[182:183], v[190:191]
	s_waitcnt vmcnt(7)
	v_add_f64 v[24:25], v[24:25], -v[152:153]
	v_add_f64 v[26:27], v[26:27], -v[180:181]
	ds_read2_b64 v[180:183], v192 offset0:78 offset1:79
	s_waitcnt lgkmcnt(1)
	v_mul_f64 v[152:153], v[198:199], v[154:155]
	v_fma_f64 v[152:153], v[196:197], v[190:191], -v[152:153]
	v_mul_f64 v[196:197], v[196:197], v[154:155]
	v_fmac_f64_e32 v[196:197], v[198:199], v[190:191]
	s_waitcnt vmcnt(6)
	v_add_f64 v[22:23], v[22:23], -v[196:197]
	ds_read2_b64 v[196:199], v192 offset0:80 offset1:81
	v_add_f64 v[20:21], v[20:21], -v[152:153]
	s_waitcnt lgkmcnt(1)
	v_mul_f64 v[152:153], v[182:183], v[154:155]
	v_fma_f64 v[152:153], v[180:181], v[190:191], -v[152:153]
	v_mul_f64 v[180:181], v[180:181], v[154:155]
	v_fmac_f64_e32 v[180:181], v[182:183], v[190:191]
	s_waitcnt vmcnt(5)
	v_add_f64 v[16:17], v[16:17], -v[152:153]
	v_add_f64 v[18:19], v[18:19], -v[180:181]
	ds_read2_b64 v[180:183], v192 offset0:82 offset1:83
	s_waitcnt lgkmcnt(1)
	v_mul_f64 v[152:153], v[198:199], v[154:155]
	v_fma_f64 v[152:153], v[196:197], v[190:191], -v[152:153]
	v_mul_f64 v[196:197], v[196:197], v[154:155]
	v_fmac_f64_e32 v[196:197], v[198:199], v[190:191]
	s_waitcnt vmcnt(4)
	v_add_f64 v[14:15], v[14:15], -v[196:197]
	ds_read2_b64 v[196:199], v192 offset0:84 offset1:85
	v_add_f64 v[12:13], v[12:13], -v[152:153]
	s_waitcnt lgkmcnt(1)
	v_mul_f64 v[152:153], v[182:183], v[154:155]
	v_fma_f64 v[152:153], v[180:181], v[190:191], -v[152:153]
	v_mul_f64 v[180:181], v[180:181], v[154:155]
	v_fmac_f64_e32 v[180:181], v[182:183], v[190:191]
	s_waitcnt vmcnt(3)
	v_add_f64 v[8:9], v[8:9], -v[152:153]
	v_add_f64 v[10:11], v[10:11], -v[180:181]
	ds_read2_b64 v[180:183], v192 offset0:86 offset1:87
	s_waitcnt lgkmcnt(1)
	v_mul_f64 v[152:153], v[198:199], v[154:155]
	v_fma_f64 v[152:153], v[196:197], v[190:191], -v[152:153]
	v_mul_f64 v[196:197], v[196:197], v[154:155]
	v_fmac_f64_e32 v[196:197], v[198:199], v[190:191]
	s_waitcnt vmcnt(2)
	v_add_f64 v[6:7], v[6:7], -v[196:197]
	ds_read2_b64 v[196:199], v192 offset0:88 offset1:89
	v_add_f64 v[4:5], v[4:5], -v[152:153]
	s_waitcnt lgkmcnt(1)
	v_mul_f64 v[152:153], v[182:183], v[154:155]
	v_fma_f64 v[152:153], v[180:181], v[190:191], -v[152:153]
	v_mul_f64 v[180:181], v[180:181], v[154:155]
	v_fmac_f64_e32 v[180:181], v[182:183], v[190:191]
	s_waitcnt vmcnt(1)
	v_add_f64 v[0:1], v[0:1], -v[152:153]
	v_add_f64 v[2:3], v[2:3], -v[180:181]
	s_waitcnt lgkmcnt(0)
	v_mul_f64 v[152:153], v[198:199], v[154:155]
	v_mul_f64 v[180:181], v[196:197], v[154:155]
	v_fma_f64 v[152:153], v[196:197], v[190:191], -v[152:153]
	v_fmac_f64_e32 v[180:181], v[198:199], v[190:191]
	s_waitcnt vmcnt(0)
	v_add_f64 v[176:177], v[176:177], -v[152:153]
	v_add_f64 v[178:179], v[178:179], -v[180:181]
	v_mov_b64_e32 v[152:153], v[190:191]
.LBB88_167:
	s_or_b64 exec, exec, s[0:1]
	v_lshl_add_u32 v180, v193, 4, v192
	s_barrier
	s_waitcnt vmcnt(36)
	ds_write2_b64 v180, v[148:149], v[150:151] offset1:1
	s_waitcnt lgkmcnt(0)
	s_barrier
	ds_read2_b64 v[180:183], v192 offset0:16 offset1:17
	s_cmp_lt_i32 s20, 10
	v_mov_b32_e32 v190, 8
	s_cbranch_scc1 .LBB88_170
; %bb.168:
	v_add_u32_e32 v191, 0x90, v192
	s_mov_b32 s16, 9
	v_mov_b32_e32 v190, 8
.LBB88_169:                             ; =>This Inner Loop Header: Depth=1
	ds_read2_b64 v[196:199], v191 offset1:1
	s_waitcnt lgkmcnt(1)
	v_xor_b32_e32 v201, 0x80000000, v181
	v_xor_b32_e32 v203, 0x80000000, v183
	v_cmp_gt_f64_e32 vcc, 0, v[182:183]
	v_cmp_gt_f64_e64 s[0:1], 0, v[180:181]
	v_mov_b32_e32 v200, v180
	v_mov_b32_e32 v202, v182
	v_cndmask_b32_e64 v201, v181, v201, s[0:1]
	v_cndmask_b32_e32 v203, v183, v203, vcc
	v_add_f64 v[200:201], v[200:201], v[202:203]
	s_waitcnt lgkmcnt(0)
	v_xor_b32_e32 v203, 0x80000000, v197
	v_xor_b32_e32 v205, 0x80000000, v199
	v_cmp_gt_f64_e32 vcc, 0, v[198:199]
	v_cmp_gt_f64_e64 s[0:1], 0, v[196:197]
	v_mov_b32_e32 v202, v196
	v_mov_b32_e32 v204, v198
	v_cndmask_b32_e64 v203, v197, v203, s[0:1]
	v_cndmask_b32_e32 v205, v199, v205, vcc
	v_add_f64 v[202:203], v[202:203], v[204:205]
	v_mov_b32_e32 v206, s16
	s_add_i32 s16, s16, 1
	v_cmp_lt_f64_e32 vcc, v[200:201], v[202:203]
	v_add_u32_e32 v191, 16, v191
	s_cmp_lg_u32 s20, s16
	v_cndmask_b32_e32 v181, v181, v197, vcc
	v_cndmask_b32_e32 v180, v180, v196, vcc
	;; [unrolled: 1-line block ×5, first 2 shown]
	s_cbranch_scc1 .LBB88_169
.LBB88_170:
	s_waitcnt lgkmcnt(0)
	v_cmp_eq_f64_e32 vcc, 0, v[180:181]
	v_cmp_eq_f64_e64 s[0:1], 0, v[182:183]
	s_and_b64 s[0:1], vcc, s[0:1]
	s_and_saveexec_b64 s[16:17], s[0:1]
	s_xor_b64 s[0:1], exec, s[16:17]
; %bb.171:
	v_cmp_ne_u32_e32 vcc, 0, v194
	s_nop 1
	v_cndmask_b32_e32 v194, 9, v194, vcc
; %bb.172:
	s_andn2_saveexec_b64 s[0:1], s[0:1]
	s_cbranch_execz .LBB88_178
; %bb.173:
	v_cmp_ngt_f64_e64 s[16:17], |v[180:181]|, |v[182:183]|
	s_and_saveexec_b64 s[18:19], s[16:17]
	s_xor_b64 s[16:17], exec, s[18:19]
	s_cbranch_execz .LBB88_175
; %bb.174:
	v_div_scale_f64 v[196:197], s[18:19], v[182:183], v[182:183], v[180:181]
	v_rcp_f64_e32 v[198:199], v[196:197]
	v_div_scale_f64 v[200:201], vcc, v[180:181], v[182:183], v[180:181]
	v_fma_f64 v[202:203], -v[196:197], v[198:199], 1.0
	v_fmac_f64_e32 v[198:199], v[198:199], v[202:203]
	v_fma_f64 v[202:203], -v[196:197], v[198:199], 1.0
	v_fmac_f64_e32 v[198:199], v[198:199], v[202:203]
	v_mul_f64 v[202:203], v[200:201], v[198:199]
	v_fma_f64 v[196:197], -v[196:197], v[202:203], v[200:201]
	v_div_fmas_f64 v[196:197], v[196:197], v[198:199], v[202:203]
	v_div_fixup_f64 v[196:197], v[196:197], v[182:183], v[180:181]
	v_fmac_f64_e32 v[182:183], v[180:181], v[196:197]
	v_div_scale_f64 v[180:181], s[18:19], v[182:183], v[182:183], 1.0
	v_rcp_f64_e32 v[198:199], v[180:181]
	s_nop 0
	v_fma_f64 v[200:201], -v[180:181], v[198:199], 1.0
	v_fmac_f64_e32 v[198:199], v[198:199], v[200:201]
	v_fma_f64 v[200:201], -v[180:181], v[198:199], 1.0
	v_fmac_f64_e32 v[198:199], v[198:199], v[200:201]
	v_div_scale_f64 v[200:201], vcc, 1.0, v[182:183], 1.0
	v_mul_f64 v[202:203], v[200:201], v[198:199]
	v_fma_f64 v[180:181], -v[180:181], v[202:203], v[200:201]
	s_nop 1
	v_div_fmas_f64 v[180:181], v[180:181], v[198:199], v[202:203]
	v_div_fixup_f64 v[182:183], v[180:181], v[182:183], 1.0
	v_mul_f64 v[180:181], v[196:197], v[182:183]
	v_xor_b32_e32 v183, 0x80000000, v183
.LBB88_175:
	s_andn2_saveexec_b64 s[16:17], s[16:17]
	s_cbranch_execz .LBB88_177
; %bb.176:
	v_div_scale_f64 v[196:197], s[18:19], v[180:181], v[180:181], v[182:183]
	v_rcp_f64_e32 v[198:199], v[196:197]
	v_div_scale_f64 v[200:201], vcc, v[182:183], v[180:181], v[182:183]
	v_fma_f64 v[202:203], -v[196:197], v[198:199], 1.0
	v_fmac_f64_e32 v[198:199], v[198:199], v[202:203]
	v_fma_f64 v[202:203], -v[196:197], v[198:199], 1.0
	v_fmac_f64_e32 v[198:199], v[198:199], v[202:203]
	v_mul_f64 v[202:203], v[200:201], v[198:199]
	v_fma_f64 v[196:197], -v[196:197], v[202:203], v[200:201]
	v_div_fmas_f64 v[196:197], v[196:197], v[198:199], v[202:203]
	v_div_fixup_f64 v[196:197], v[196:197], v[180:181], v[182:183]
	v_fmac_f64_e32 v[180:181], v[182:183], v[196:197]
	v_div_scale_f64 v[182:183], s[18:19], v[180:181], v[180:181], 1.0
	v_rcp_f64_e32 v[198:199], v[182:183]
	s_nop 0
	v_fma_f64 v[200:201], -v[182:183], v[198:199], 1.0
	v_fmac_f64_e32 v[198:199], v[198:199], v[200:201]
	v_fma_f64 v[200:201], -v[182:183], v[198:199], 1.0
	v_fmac_f64_e32 v[198:199], v[198:199], v[200:201]
	v_div_scale_f64 v[200:201], vcc, 1.0, v[180:181], 1.0
	v_mul_f64 v[202:203], v[200:201], v[198:199]
	v_fma_f64 v[182:183], -v[182:183], v[202:203], v[200:201]
	s_nop 1
	v_div_fmas_f64 v[182:183], v[182:183], v[198:199], v[202:203]
	v_div_fixup_f64 v[180:181], v[182:183], v[180:181], 1.0
	v_mul_f64 v[182:183], v[196:197], -v[180:181]
.LBB88_177:
	s_or_b64 exec, exec, s[16:17]
.LBB88_178:
	s_or_b64 exec, exec, s[0:1]
	v_cmp_ne_u32_e32 vcc, v193, v190
	s_and_saveexec_b64 s[0:1], vcc
	s_xor_b64 s[0:1], exec, s[0:1]
	s_cbranch_execz .LBB88_184
; %bb.179:
	v_cmp_eq_u32_e32 vcc, 8, v193
	s_and_saveexec_b64 s[16:17], vcc
	s_cbranch_execz .LBB88_183
; %bb.180:
	v_cmp_ne_u32_e32 vcc, 8, v190
	s_xor_b64 s[18:19], s[14:15], -1
	s_and_b64 s[22:23], s[18:19], vcc
	s_and_saveexec_b64 s[18:19], s[22:23]
	s_cbranch_execz .LBB88_182
; %bb.181:
	v_ashrrev_i32_e32 v191, 31, v190
	v_lshl_add_u64 v[196:197], v[190:191], 2, v[188:189]
	global_load_dword v191, v[196:197], off
	global_load_dword v193, v[188:189], off offset:32
	s_waitcnt vmcnt(1)
	global_store_dword v[188:189], v191, off offset:32
	s_waitcnt vmcnt(1)
	global_store_dword v[196:197], v193, off
.LBB88_182:
	s_or_b64 exec, exec, s[18:19]
	v_mov_b32_e32 v193, v190
	v_mov_b32_e32 v195, v190
.LBB88_183:
	s_or_b64 exec, exec, s[16:17]
.LBB88_184:
	s_andn2_saveexec_b64 s[0:1], s[0:1]
	s_cbranch_execz .LBB88_186
; %bb.185:
	v_mov_b32_e32 v193, 8
	s_waitcnt vmcnt(35)
	ds_write2_b64 v192, v[144:145], v[146:147] offset0:18 offset1:19
	s_waitcnt vmcnt(34)
	ds_write2_b64 v192, v[140:141], v[142:143] offset0:20 offset1:21
	;; [unrolled: 2-line block ×36, first 2 shown]
.LBB88_186:
	s_or_b64 exec, exec, s[0:1]
	v_cmp_lt_i32_e32 vcc, 8, v193
	s_waitcnt lgkmcnt(0)
	s_barrier
	s_and_saveexec_b64 s[0:1], vcc
	s_cbranch_execz .LBB88_188
; %bb.187:
	ds_read2_b64 v[196:199], v192 offset0:18 offset1:19
	v_mul_f64 v[190:191], v[182:183], v[150:151]
	v_mul_f64 v[150:151], v[180:181], v[150:151]
	v_fma_f64 v[190:191], v[180:181], v[148:149], -v[190:191]
	v_fmac_f64_e32 v[150:151], v[182:183], v[148:149]
	ds_read2_b64 v[180:183], v192 offset0:20 offset1:21
	s_waitcnt lgkmcnt(1)
	v_mul_f64 v[148:149], v[198:199], v[150:151]
	v_fma_f64 v[148:149], v[196:197], v[190:191], -v[148:149]
	v_mul_f64 v[196:197], v[196:197], v[150:151]
	v_fmac_f64_e32 v[196:197], v[198:199], v[190:191]
	s_waitcnt vmcnt(35)
	v_add_f64 v[144:145], v[144:145], -v[148:149]
	s_waitcnt lgkmcnt(0)
	v_mul_f64 v[148:149], v[182:183], v[150:151]
	v_add_f64 v[146:147], v[146:147], -v[196:197]
	v_fma_f64 v[148:149], v[180:181], v[190:191], -v[148:149]
	v_mul_f64 v[180:181], v[180:181], v[150:151]
	ds_read2_b64 v[196:199], v192 offset0:22 offset1:23
	v_fmac_f64_e32 v[180:181], v[182:183], v[190:191]
	s_waitcnt vmcnt(34)
	v_add_f64 v[142:143], v[142:143], -v[180:181]
	ds_read2_b64 v[180:183], v192 offset0:24 offset1:25
	v_add_f64 v[140:141], v[140:141], -v[148:149]
	s_waitcnt lgkmcnt(1)
	v_mul_f64 v[148:149], v[198:199], v[150:151]
	v_fma_f64 v[148:149], v[196:197], v[190:191], -v[148:149]
	v_mul_f64 v[196:197], v[196:197], v[150:151]
	v_fmac_f64_e32 v[196:197], v[198:199], v[190:191]
	s_waitcnt vmcnt(33)
	v_add_f64 v[136:137], v[136:137], -v[148:149]
	s_waitcnt lgkmcnt(0)
	v_mul_f64 v[148:149], v[182:183], v[150:151]
	v_add_f64 v[138:139], v[138:139], -v[196:197]
	v_fma_f64 v[148:149], v[180:181], v[190:191], -v[148:149]
	v_mul_f64 v[180:181], v[180:181], v[150:151]
	ds_read2_b64 v[196:199], v192 offset0:26 offset1:27
	v_fmac_f64_e32 v[180:181], v[182:183], v[190:191]
	s_waitcnt vmcnt(32)
	v_add_f64 v[134:135], v[134:135], -v[180:181]
	ds_read2_b64 v[180:183], v192 offset0:28 offset1:29
	v_add_f64 v[132:133], v[132:133], -v[148:149]
	s_waitcnt lgkmcnt(1)
	v_mul_f64 v[148:149], v[198:199], v[150:151]
	v_fma_f64 v[148:149], v[196:197], v[190:191], -v[148:149]
	v_mul_f64 v[196:197], v[196:197], v[150:151]
	v_fmac_f64_e32 v[196:197], v[198:199], v[190:191]
	s_waitcnt vmcnt(31)
	v_add_f64 v[128:129], v[128:129], -v[148:149]
	s_waitcnt lgkmcnt(0)
	v_mul_f64 v[148:149], v[182:183], v[150:151]
	v_add_f64 v[130:131], v[130:131], -v[196:197]
	v_fma_f64 v[148:149], v[180:181], v[190:191], -v[148:149]
	v_mul_f64 v[180:181], v[180:181], v[150:151]
	ds_read2_b64 v[196:199], v192 offset0:30 offset1:31
	v_fmac_f64_e32 v[180:181], v[182:183], v[190:191]
	s_waitcnt vmcnt(30)
	v_add_f64 v[126:127], v[126:127], -v[180:181]
	ds_read2_b64 v[180:183], v192 offset0:32 offset1:33
	v_add_f64 v[124:125], v[124:125], -v[148:149]
	s_waitcnt lgkmcnt(1)
	v_mul_f64 v[148:149], v[198:199], v[150:151]
	v_fma_f64 v[148:149], v[196:197], v[190:191], -v[148:149]
	v_mul_f64 v[196:197], v[196:197], v[150:151]
	v_fmac_f64_e32 v[196:197], v[198:199], v[190:191]
	s_waitcnt vmcnt(29)
	v_add_f64 v[116:117], v[116:117], -v[148:149]
	s_waitcnt lgkmcnt(0)
	v_mul_f64 v[148:149], v[182:183], v[150:151]
	v_add_f64 v[118:119], v[118:119], -v[196:197]
	v_fma_f64 v[148:149], v[180:181], v[190:191], -v[148:149]
	v_mul_f64 v[180:181], v[180:181], v[150:151]
	ds_read2_b64 v[196:199], v192 offset0:34 offset1:35
	v_fmac_f64_e32 v[180:181], v[182:183], v[190:191]
	s_waitcnt vmcnt(28)
	v_add_f64 v[110:111], v[110:111], -v[180:181]
	ds_read2_b64 v[180:183], v192 offset0:36 offset1:37
	v_add_f64 v[108:109], v[108:109], -v[148:149]
	s_waitcnt lgkmcnt(1)
	v_mul_f64 v[148:149], v[198:199], v[150:151]
	v_fma_f64 v[148:149], v[196:197], v[190:191], -v[148:149]
	v_mul_f64 v[196:197], v[196:197], v[150:151]
	v_fmac_f64_e32 v[196:197], v[198:199], v[190:191]
	s_waitcnt vmcnt(27)
	v_add_f64 v[104:105], v[104:105], -v[148:149]
	s_waitcnt lgkmcnt(0)
	v_mul_f64 v[148:149], v[182:183], v[150:151]
	v_add_f64 v[106:107], v[106:107], -v[196:197]
	v_fma_f64 v[148:149], v[180:181], v[190:191], -v[148:149]
	v_mul_f64 v[180:181], v[180:181], v[150:151]
	ds_read2_b64 v[196:199], v192 offset0:38 offset1:39
	v_fmac_f64_e32 v[180:181], v[182:183], v[190:191]
	s_waitcnt vmcnt(26)
	v_add_f64 v[102:103], v[102:103], -v[180:181]
	ds_read2_b64 v[180:183], v192 offset0:40 offset1:41
	v_add_f64 v[100:101], v[100:101], -v[148:149]
	s_waitcnt lgkmcnt(1)
	v_mul_f64 v[148:149], v[198:199], v[150:151]
	v_fma_f64 v[148:149], v[196:197], v[190:191], -v[148:149]
	v_mul_f64 v[196:197], v[196:197], v[150:151]
	v_fmac_f64_e32 v[196:197], v[198:199], v[190:191]
	s_waitcnt vmcnt(25)
	v_add_f64 v[96:97], v[96:97], -v[148:149]
	s_waitcnt lgkmcnt(0)
	v_mul_f64 v[148:149], v[182:183], v[150:151]
	v_add_f64 v[98:99], v[98:99], -v[196:197]
	v_fma_f64 v[148:149], v[180:181], v[190:191], -v[148:149]
	v_mul_f64 v[180:181], v[180:181], v[150:151]
	ds_read2_b64 v[196:199], v192 offset0:42 offset1:43
	v_fmac_f64_e32 v[180:181], v[182:183], v[190:191]
	s_waitcnt vmcnt(24)
	v_add_f64 v[94:95], v[94:95], -v[180:181]
	ds_read2_b64 v[180:183], v192 offset0:44 offset1:45
	v_add_f64 v[92:93], v[92:93], -v[148:149]
	s_waitcnt lgkmcnt(1)
	v_mul_f64 v[148:149], v[198:199], v[150:151]
	v_fma_f64 v[148:149], v[196:197], v[190:191], -v[148:149]
	v_mul_f64 v[196:197], v[196:197], v[150:151]
	v_fmac_f64_e32 v[196:197], v[198:199], v[190:191]
	s_waitcnt vmcnt(23)
	v_add_f64 v[88:89], v[88:89], -v[148:149]
	s_waitcnt lgkmcnt(0)
	v_mul_f64 v[148:149], v[182:183], v[150:151]
	v_add_f64 v[90:91], v[90:91], -v[196:197]
	v_fma_f64 v[148:149], v[180:181], v[190:191], -v[148:149]
	v_mul_f64 v[180:181], v[180:181], v[150:151]
	ds_read2_b64 v[196:199], v192 offset0:46 offset1:47
	v_fmac_f64_e32 v[180:181], v[182:183], v[190:191]
	s_waitcnt vmcnt(22)
	v_add_f64 v[86:87], v[86:87], -v[180:181]
	ds_read2_b64 v[180:183], v192 offset0:48 offset1:49
	v_add_f64 v[84:85], v[84:85], -v[148:149]
	s_waitcnt lgkmcnt(1)
	v_mul_f64 v[148:149], v[198:199], v[150:151]
	v_fma_f64 v[148:149], v[196:197], v[190:191], -v[148:149]
	v_mul_f64 v[196:197], v[196:197], v[150:151]
	v_fmac_f64_e32 v[196:197], v[198:199], v[190:191]
	s_waitcnt vmcnt(21)
	v_add_f64 v[80:81], v[80:81], -v[148:149]
	s_waitcnt lgkmcnt(0)
	v_mul_f64 v[148:149], v[182:183], v[150:151]
	v_add_f64 v[82:83], v[82:83], -v[196:197]
	v_fma_f64 v[148:149], v[180:181], v[190:191], -v[148:149]
	v_mul_f64 v[180:181], v[180:181], v[150:151]
	ds_read2_b64 v[196:199], v192 offset0:50 offset1:51
	v_fmac_f64_e32 v[180:181], v[182:183], v[190:191]
	s_waitcnt vmcnt(20)
	v_add_f64 v[78:79], v[78:79], -v[180:181]
	ds_read2_b64 v[180:183], v192 offset0:52 offset1:53
	v_add_f64 v[76:77], v[76:77], -v[148:149]
	s_waitcnt lgkmcnt(1)
	v_mul_f64 v[148:149], v[198:199], v[150:151]
	v_fma_f64 v[148:149], v[196:197], v[190:191], -v[148:149]
	v_mul_f64 v[196:197], v[196:197], v[150:151]
	v_fmac_f64_e32 v[196:197], v[198:199], v[190:191]
	s_waitcnt vmcnt(19)
	v_add_f64 v[72:73], v[72:73], -v[148:149]
	s_waitcnt lgkmcnt(0)
	v_mul_f64 v[148:149], v[182:183], v[150:151]
	v_add_f64 v[74:75], v[74:75], -v[196:197]
	v_fma_f64 v[148:149], v[180:181], v[190:191], -v[148:149]
	v_mul_f64 v[180:181], v[180:181], v[150:151]
	ds_read2_b64 v[196:199], v192 offset0:54 offset1:55
	v_fmac_f64_e32 v[180:181], v[182:183], v[190:191]
	s_waitcnt vmcnt(18)
	v_add_f64 v[70:71], v[70:71], -v[180:181]
	ds_read2_b64 v[180:183], v192 offset0:56 offset1:57
	v_add_f64 v[68:69], v[68:69], -v[148:149]
	s_waitcnt lgkmcnt(1)
	v_mul_f64 v[148:149], v[198:199], v[150:151]
	v_fma_f64 v[148:149], v[196:197], v[190:191], -v[148:149]
	v_mul_f64 v[196:197], v[196:197], v[150:151]
	v_fmac_f64_e32 v[196:197], v[198:199], v[190:191]
	s_waitcnt vmcnt(17)
	v_add_f64 v[64:65], v[64:65], -v[148:149]
	s_waitcnt lgkmcnt(0)
	v_mul_f64 v[148:149], v[182:183], v[150:151]
	v_add_f64 v[66:67], v[66:67], -v[196:197]
	v_fma_f64 v[148:149], v[180:181], v[190:191], -v[148:149]
	v_mul_f64 v[180:181], v[180:181], v[150:151]
	ds_read2_b64 v[196:199], v192 offset0:58 offset1:59
	v_fmac_f64_e32 v[180:181], v[182:183], v[190:191]
	s_waitcnt vmcnt(16)
	v_add_f64 v[62:63], v[62:63], -v[180:181]
	ds_read2_b64 v[180:183], v192 offset0:60 offset1:61
	v_add_f64 v[60:61], v[60:61], -v[148:149]
	s_waitcnt lgkmcnt(1)
	v_mul_f64 v[148:149], v[198:199], v[150:151]
	v_fma_f64 v[148:149], v[196:197], v[190:191], -v[148:149]
	v_mul_f64 v[196:197], v[196:197], v[150:151]
	v_fmac_f64_e32 v[196:197], v[198:199], v[190:191]
	s_waitcnt vmcnt(15)
	v_add_f64 v[56:57], v[56:57], -v[148:149]
	s_waitcnt lgkmcnt(0)
	v_mul_f64 v[148:149], v[182:183], v[150:151]
	v_add_f64 v[58:59], v[58:59], -v[196:197]
	v_fma_f64 v[148:149], v[180:181], v[190:191], -v[148:149]
	v_mul_f64 v[180:181], v[180:181], v[150:151]
	ds_read2_b64 v[196:199], v192 offset0:62 offset1:63
	v_fmac_f64_e32 v[180:181], v[182:183], v[190:191]
	s_waitcnt vmcnt(14)
	v_add_f64 v[54:55], v[54:55], -v[180:181]
	ds_read2_b64 v[180:183], v192 offset0:64 offset1:65
	v_add_f64 v[52:53], v[52:53], -v[148:149]
	s_waitcnt lgkmcnt(1)
	v_mul_f64 v[148:149], v[198:199], v[150:151]
	v_fma_f64 v[148:149], v[196:197], v[190:191], -v[148:149]
	v_mul_f64 v[196:197], v[196:197], v[150:151]
	v_fmac_f64_e32 v[196:197], v[198:199], v[190:191]
	s_waitcnt vmcnt(13)
	v_add_f64 v[48:49], v[48:49], -v[148:149]
	s_waitcnt lgkmcnt(0)
	v_mul_f64 v[148:149], v[182:183], v[150:151]
	v_add_f64 v[50:51], v[50:51], -v[196:197]
	v_fma_f64 v[148:149], v[180:181], v[190:191], -v[148:149]
	v_mul_f64 v[180:181], v[180:181], v[150:151]
	ds_read2_b64 v[196:199], v192 offset0:66 offset1:67
	v_fmac_f64_e32 v[180:181], v[182:183], v[190:191]
	s_waitcnt vmcnt(12)
	v_add_f64 v[46:47], v[46:47], -v[180:181]
	ds_read2_b64 v[180:183], v192 offset0:68 offset1:69
	v_add_f64 v[44:45], v[44:45], -v[148:149]
	s_waitcnt lgkmcnt(1)
	v_mul_f64 v[148:149], v[198:199], v[150:151]
	v_fma_f64 v[148:149], v[196:197], v[190:191], -v[148:149]
	v_mul_f64 v[196:197], v[196:197], v[150:151]
	v_fmac_f64_e32 v[196:197], v[198:199], v[190:191]
	s_waitcnt vmcnt(11)
	v_add_f64 v[40:41], v[40:41], -v[148:149]
	s_waitcnt lgkmcnt(0)
	v_mul_f64 v[148:149], v[182:183], v[150:151]
	v_add_f64 v[42:43], v[42:43], -v[196:197]
	v_fma_f64 v[148:149], v[180:181], v[190:191], -v[148:149]
	v_mul_f64 v[180:181], v[180:181], v[150:151]
	ds_read2_b64 v[196:199], v192 offset0:70 offset1:71
	v_fmac_f64_e32 v[180:181], v[182:183], v[190:191]
	s_waitcnt vmcnt(10)
	v_add_f64 v[38:39], v[38:39], -v[180:181]
	ds_read2_b64 v[180:183], v192 offset0:72 offset1:73
	v_add_f64 v[36:37], v[36:37], -v[148:149]
	s_waitcnt lgkmcnt(1)
	v_mul_f64 v[148:149], v[198:199], v[150:151]
	v_fma_f64 v[148:149], v[196:197], v[190:191], -v[148:149]
	v_mul_f64 v[196:197], v[196:197], v[150:151]
	v_fmac_f64_e32 v[196:197], v[198:199], v[190:191]
	s_waitcnt vmcnt(9)
	v_add_f64 v[32:33], v[32:33], -v[148:149]
	s_waitcnt lgkmcnt(0)
	v_mul_f64 v[148:149], v[182:183], v[150:151]
	v_add_f64 v[34:35], v[34:35], -v[196:197]
	v_fma_f64 v[148:149], v[180:181], v[190:191], -v[148:149]
	v_mul_f64 v[180:181], v[180:181], v[150:151]
	ds_read2_b64 v[196:199], v192 offset0:74 offset1:75
	v_fmac_f64_e32 v[180:181], v[182:183], v[190:191]
	s_waitcnt vmcnt(8)
	v_add_f64 v[30:31], v[30:31], -v[180:181]
	ds_read2_b64 v[180:183], v192 offset0:76 offset1:77
	v_add_f64 v[28:29], v[28:29], -v[148:149]
	s_waitcnt lgkmcnt(1)
	v_mul_f64 v[148:149], v[198:199], v[150:151]
	v_fma_f64 v[148:149], v[196:197], v[190:191], -v[148:149]
	v_mul_f64 v[196:197], v[196:197], v[150:151]
	v_fmac_f64_e32 v[196:197], v[198:199], v[190:191]
	s_waitcnt vmcnt(7)
	v_add_f64 v[24:25], v[24:25], -v[148:149]
	s_waitcnt lgkmcnt(0)
	v_mul_f64 v[148:149], v[182:183], v[150:151]
	v_add_f64 v[26:27], v[26:27], -v[196:197]
	v_fma_f64 v[148:149], v[180:181], v[190:191], -v[148:149]
	v_mul_f64 v[180:181], v[180:181], v[150:151]
	ds_read2_b64 v[196:199], v192 offset0:78 offset1:79
	v_fmac_f64_e32 v[180:181], v[182:183], v[190:191]
	s_waitcnt vmcnt(6)
	v_add_f64 v[22:23], v[22:23], -v[180:181]
	ds_read2_b64 v[180:183], v192 offset0:80 offset1:81
	v_add_f64 v[20:21], v[20:21], -v[148:149]
	s_waitcnt lgkmcnt(1)
	v_mul_f64 v[148:149], v[198:199], v[150:151]
	v_fma_f64 v[148:149], v[196:197], v[190:191], -v[148:149]
	v_mul_f64 v[196:197], v[196:197], v[150:151]
	v_fmac_f64_e32 v[196:197], v[198:199], v[190:191]
	s_waitcnt vmcnt(5)
	v_add_f64 v[16:17], v[16:17], -v[148:149]
	s_waitcnt lgkmcnt(0)
	v_mul_f64 v[148:149], v[182:183], v[150:151]
	v_add_f64 v[18:19], v[18:19], -v[196:197]
	v_fma_f64 v[148:149], v[180:181], v[190:191], -v[148:149]
	v_mul_f64 v[180:181], v[180:181], v[150:151]
	ds_read2_b64 v[196:199], v192 offset0:82 offset1:83
	v_fmac_f64_e32 v[180:181], v[182:183], v[190:191]
	s_waitcnt vmcnt(4)
	v_add_f64 v[14:15], v[14:15], -v[180:181]
	ds_read2_b64 v[180:183], v192 offset0:84 offset1:85
	v_add_f64 v[12:13], v[12:13], -v[148:149]
	s_waitcnt lgkmcnt(1)
	v_mul_f64 v[148:149], v[198:199], v[150:151]
	v_fma_f64 v[148:149], v[196:197], v[190:191], -v[148:149]
	v_mul_f64 v[196:197], v[196:197], v[150:151]
	v_fmac_f64_e32 v[196:197], v[198:199], v[190:191]
	s_waitcnt vmcnt(3)
	v_add_f64 v[8:9], v[8:9], -v[148:149]
	s_waitcnt lgkmcnt(0)
	v_mul_f64 v[148:149], v[182:183], v[150:151]
	v_add_f64 v[10:11], v[10:11], -v[196:197]
	v_fma_f64 v[148:149], v[180:181], v[190:191], -v[148:149]
	v_mul_f64 v[180:181], v[180:181], v[150:151]
	ds_read2_b64 v[196:199], v192 offset0:86 offset1:87
	v_fmac_f64_e32 v[180:181], v[182:183], v[190:191]
	s_waitcnt vmcnt(2)
	v_add_f64 v[6:7], v[6:7], -v[180:181]
	ds_read2_b64 v[180:183], v192 offset0:88 offset1:89
	v_add_f64 v[4:5], v[4:5], -v[148:149]
	s_waitcnt lgkmcnt(1)
	v_mul_f64 v[148:149], v[198:199], v[150:151]
	v_fma_f64 v[148:149], v[196:197], v[190:191], -v[148:149]
	s_waitcnt vmcnt(1)
	v_add_f64 v[0:1], v[0:1], -v[148:149]
	s_waitcnt lgkmcnt(0)
	v_mul_f64 v[148:149], v[182:183], v[150:151]
	v_mul_f64 v[196:197], v[196:197], v[150:151]
	v_fma_f64 v[148:149], v[180:181], v[190:191], -v[148:149]
	v_mul_f64 v[180:181], v[180:181], v[150:151]
	v_fmac_f64_e32 v[196:197], v[198:199], v[190:191]
	v_fmac_f64_e32 v[180:181], v[182:183], v[190:191]
	v_add_f64 v[2:3], v[2:3], -v[196:197]
	s_waitcnt vmcnt(0)
	v_add_f64 v[176:177], v[176:177], -v[148:149]
	v_add_f64 v[178:179], v[178:179], -v[180:181]
	v_mov_b64_e32 v[148:149], v[190:191]
.LBB88_188:
	s_or_b64 exec, exec, s[0:1]
	v_lshl_add_u32 v180, v193, 4, v192
	s_barrier
	s_waitcnt vmcnt(35)
	ds_write2_b64 v180, v[144:145], v[146:147] offset1:1
	s_waitcnt lgkmcnt(0)
	s_barrier
	ds_read2_b64 v[180:183], v192 offset0:18 offset1:19
	s_cmp_lt_i32 s20, 11
	v_mov_b32_e32 v190, 9
	s_cbranch_scc1 .LBB88_191
; %bb.189:
	v_add_u32_e32 v191, 0xa0, v192
	s_mov_b32 s16, 10
	v_mov_b32_e32 v190, 9
.LBB88_190:                             ; =>This Inner Loop Header: Depth=1
	ds_read2_b64 v[196:199], v191 offset1:1
	s_waitcnt lgkmcnt(1)
	v_xor_b32_e32 v201, 0x80000000, v181
	v_xor_b32_e32 v203, 0x80000000, v183
	v_cmp_gt_f64_e32 vcc, 0, v[182:183]
	v_cmp_gt_f64_e64 s[0:1], 0, v[180:181]
	v_mov_b32_e32 v200, v180
	v_mov_b32_e32 v202, v182
	v_cndmask_b32_e64 v201, v181, v201, s[0:1]
	v_cndmask_b32_e32 v203, v183, v203, vcc
	v_add_f64 v[200:201], v[200:201], v[202:203]
	s_waitcnt lgkmcnt(0)
	v_xor_b32_e32 v203, 0x80000000, v197
	v_xor_b32_e32 v205, 0x80000000, v199
	v_cmp_gt_f64_e32 vcc, 0, v[198:199]
	v_cmp_gt_f64_e64 s[0:1], 0, v[196:197]
	v_mov_b32_e32 v202, v196
	v_mov_b32_e32 v204, v198
	v_cndmask_b32_e64 v203, v197, v203, s[0:1]
	v_cndmask_b32_e32 v205, v199, v205, vcc
	v_add_f64 v[202:203], v[202:203], v[204:205]
	v_mov_b32_e32 v206, s16
	s_add_i32 s16, s16, 1
	v_cmp_lt_f64_e32 vcc, v[200:201], v[202:203]
	v_add_u32_e32 v191, 16, v191
	s_cmp_lg_u32 s20, s16
	v_cndmask_b32_e32 v181, v181, v197, vcc
	v_cndmask_b32_e32 v180, v180, v196, vcc
	;; [unrolled: 1-line block ×5, first 2 shown]
	s_cbranch_scc1 .LBB88_190
.LBB88_191:
	s_waitcnt lgkmcnt(0)
	v_cmp_eq_f64_e32 vcc, 0, v[180:181]
	v_cmp_eq_f64_e64 s[0:1], 0, v[182:183]
	s_and_b64 s[0:1], vcc, s[0:1]
	s_and_saveexec_b64 s[16:17], s[0:1]
	s_xor_b64 s[0:1], exec, s[16:17]
; %bb.192:
	v_cmp_ne_u32_e32 vcc, 0, v194
	s_nop 1
	v_cndmask_b32_e32 v194, 10, v194, vcc
; %bb.193:
	s_andn2_saveexec_b64 s[0:1], s[0:1]
	s_cbranch_execz .LBB88_199
; %bb.194:
	v_cmp_ngt_f64_e64 s[16:17], |v[180:181]|, |v[182:183]|
	s_and_saveexec_b64 s[18:19], s[16:17]
	s_xor_b64 s[16:17], exec, s[18:19]
	s_cbranch_execz .LBB88_196
; %bb.195:
	v_div_scale_f64 v[196:197], s[18:19], v[182:183], v[182:183], v[180:181]
	v_rcp_f64_e32 v[198:199], v[196:197]
	v_div_scale_f64 v[200:201], vcc, v[180:181], v[182:183], v[180:181]
	v_fma_f64 v[202:203], -v[196:197], v[198:199], 1.0
	v_fmac_f64_e32 v[198:199], v[198:199], v[202:203]
	v_fma_f64 v[202:203], -v[196:197], v[198:199], 1.0
	v_fmac_f64_e32 v[198:199], v[198:199], v[202:203]
	v_mul_f64 v[202:203], v[200:201], v[198:199]
	v_fma_f64 v[196:197], -v[196:197], v[202:203], v[200:201]
	v_div_fmas_f64 v[196:197], v[196:197], v[198:199], v[202:203]
	v_div_fixup_f64 v[196:197], v[196:197], v[182:183], v[180:181]
	v_fmac_f64_e32 v[182:183], v[180:181], v[196:197]
	v_div_scale_f64 v[180:181], s[18:19], v[182:183], v[182:183], 1.0
	v_rcp_f64_e32 v[198:199], v[180:181]
	s_nop 0
	v_fma_f64 v[200:201], -v[180:181], v[198:199], 1.0
	v_fmac_f64_e32 v[198:199], v[198:199], v[200:201]
	v_fma_f64 v[200:201], -v[180:181], v[198:199], 1.0
	v_fmac_f64_e32 v[198:199], v[198:199], v[200:201]
	v_div_scale_f64 v[200:201], vcc, 1.0, v[182:183], 1.0
	v_mul_f64 v[202:203], v[200:201], v[198:199]
	v_fma_f64 v[180:181], -v[180:181], v[202:203], v[200:201]
	s_nop 1
	v_div_fmas_f64 v[180:181], v[180:181], v[198:199], v[202:203]
	v_div_fixup_f64 v[182:183], v[180:181], v[182:183], 1.0
	v_mul_f64 v[180:181], v[196:197], v[182:183]
	v_xor_b32_e32 v183, 0x80000000, v183
.LBB88_196:
	s_andn2_saveexec_b64 s[16:17], s[16:17]
	s_cbranch_execz .LBB88_198
; %bb.197:
	v_div_scale_f64 v[196:197], s[18:19], v[180:181], v[180:181], v[182:183]
	v_rcp_f64_e32 v[198:199], v[196:197]
	v_div_scale_f64 v[200:201], vcc, v[182:183], v[180:181], v[182:183]
	v_fma_f64 v[202:203], -v[196:197], v[198:199], 1.0
	v_fmac_f64_e32 v[198:199], v[198:199], v[202:203]
	v_fma_f64 v[202:203], -v[196:197], v[198:199], 1.0
	v_fmac_f64_e32 v[198:199], v[198:199], v[202:203]
	v_mul_f64 v[202:203], v[200:201], v[198:199]
	v_fma_f64 v[196:197], -v[196:197], v[202:203], v[200:201]
	v_div_fmas_f64 v[196:197], v[196:197], v[198:199], v[202:203]
	v_div_fixup_f64 v[196:197], v[196:197], v[180:181], v[182:183]
	v_fmac_f64_e32 v[180:181], v[182:183], v[196:197]
	v_div_scale_f64 v[182:183], s[18:19], v[180:181], v[180:181], 1.0
	v_rcp_f64_e32 v[198:199], v[182:183]
	s_nop 0
	v_fma_f64 v[200:201], -v[182:183], v[198:199], 1.0
	v_fmac_f64_e32 v[198:199], v[198:199], v[200:201]
	v_fma_f64 v[200:201], -v[182:183], v[198:199], 1.0
	v_fmac_f64_e32 v[198:199], v[198:199], v[200:201]
	v_div_scale_f64 v[200:201], vcc, 1.0, v[180:181], 1.0
	v_mul_f64 v[202:203], v[200:201], v[198:199]
	v_fma_f64 v[182:183], -v[182:183], v[202:203], v[200:201]
	s_nop 1
	v_div_fmas_f64 v[182:183], v[182:183], v[198:199], v[202:203]
	v_div_fixup_f64 v[180:181], v[182:183], v[180:181], 1.0
	v_mul_f64 v[182:183], v[196:197], -v[180:181]
.LBB88_198:
	s_or_b64 exec, exec, s[16:17]
.LBB88_199:
	s_or_b64 exec, exec, s[0:1]
	v_cmp_ne_u32_e32 vcc, v193, v190
	s_and_saveexec_b64 s[0:1], vcc
	s_xor_b64 s[0:1], exec, s[0:1]
	s_cbranch_execz .LBB88_205
; %bb.200:
	v_cmp_eq_u32_e32 vcc, 9, v193
	s_and_saveexec_b64 s[16:17], vcc
	s_cbranch_execz .LBB88_204
; %bb.201:
	v_cmp_ne_u32_e32 vcc, 9, v190
	s_xor_b64 s[18:19], s[14:15], -1
	s_and_b64 s[22:23], s[18:19], vcc
	s_and_saveexec_b64 s[18:19], s[22:23]
	s_cbranch_execz .LBB88_203
; %bb.202:
	v_ashrrev_i32_e32 v191, 31, v190
	v_lshl_add_u64 v[196:197], v[190:191], 2, v[188:189]
	global_load_dword v191, v[196:197], off
	global_load_dword v193, v[188:189], off offset:36
	s_waitcnt vmcnt(1)
	global_store_dword v[188:189], v191, off offset:36
	s_waitcnt vmcnt(1)
	global_store_dword v[196:197], v193, off
.LBB88_203:
	s_or_b64 exec, exec, s[18:19]
	v_mov_b32_e32 v193, v190
	v_mov_b32_e32 v195, v190
.LBB88_204:
	s_or_b64 exec, exec, s[16:17]
.LBB88_205:
	s_andn2_saveexec_b64 s[0:1], s[0:1]
	s_cbranch_execz .LBB88_207
; %bb.206:
	v_mov_b32_e32 v193, 9
	s_waitcnt vmcnt(34)
	ds_write2_b64 v192, v[140:141], v[142:143] offset0:20 offset1:21
	s_waitcnt vmcnt(33)
	ds_write2_b64 v192, v[136:137], v[138:139] offset0:22 offset1:23
	;; [unrolled: 2-line block ×35, first 2 shown]
.LBB88_207:
	s_or_b64 exec, exec, s[0:1]
	v_cmp_lt_i32_e32 vcc, 9, v193
	s_waitcnt lgkmcnt(0)
	s_barrier
	s_and_saveexec_b64 s[0:1], vcc
	s_cbranch_execz .LBB88_209
; %bb.208:
	ds_read2_b64 v[196:199], v192 offset0:20 offset1:21
	v_mul_f64 v[190:191], v[182:183], v[146:147]
	v_mul_f64 v[146:147], v[180:181], v[146:147]
	v_fmac_f64_e32 v[146:147], v[182:183], v[144:145]
	v_fma_f64 v[190:191], v[180:181], v[144:145], -v[190:191]
	ds_read2_b64 v[180:183], v192 offset0:22 offset1:23
	s_waitcnt lgkmcnt(1)
	v_mul_f64 v[144:145], v[198:199], v[146:147]
	v_fma_f64 v[144:145], v[196:197], v[190:191], -v[144:145]
	v_mul_f64 v[196:197], v[196:197], v[146:147]
	v_fmac_f64_e32 v[196:197], v[198:199], v[190:191]
	s_waitcnt vmcnt(34)
	v_add_f64 v[142:143], v[142:143], -v[196:197]
	ds_read2_b64 v[196:199], v192 offset0:24 offset1:25
	v_add_f64 v[140:141], v[140:141], -v[144:145]
	s_waitcnt lgkmcnt(1)
	v_mul_f64 v[144:145], v[182:183], v[146:147]
	v_fma_f64 v[144:145], v[180:181], v[190:191], -v[144:145]
	v_mul_f64 v[180:181], v[180:181], v[146:147]
	v_fmac_f64_e32 v[180:181], v[182:183], v[190:191]
	s_waitcnt vmcnt(33)
	v_add_f64 v[136:137], v[136:137], -v[144:145]
	v_add_f64 v[138:139], v[138:139], -v[180:181]
	ds_read2_b64 v[180:183], v192 offset0:26 offset1:27
	s_waitcnt lgkmcnt(1)
	v_mul_f64 v[144:145], v[198:199], v[146:147]
	v_fma_f64 v[144:145], v[196:197], v[190:191], -v[144:145]
	v_mul_f64 v[196:197], v[196:197], v[146:147]
	v_fmac_f64_e32 v[196:197], v[198:199], v[190:191]
	s_waitcnt vmcnt(32)
	v_add_f64 v[134:135], v[134:135], -v[196:197]
	ds_read2_b64 v[196:199], v192 offset0:28 offset1:29
	v_add_f64 v[132:133], v[132:133], -v[144:145]
	s_waitcnt lgkmcnt(1)
	v_mul_f64 v[144:145], v[182:183], v[146:147]
	v_fma_f64 v[144:145], v[180:181], v[190:191], -v[144:145]
	v_mul_f64 v[180:181], v[180:181], v[146:147]
	v_fmac_f64_e32 v[180:181], v[182:183], v[190:191]
	s_waitcnt vmcnt(31)
	v_add_f64 v[128:129], v[128:129], -v[144:145]
	v_add_f64 v[130:131], v[130:131], -v[180:181]
	;; [unrolled: 18-line block ×17, first 2 shown]
	s_waitcnt lgkmcnt(0)
	v_mul_f64 v[144:145], v[198:199], v[146:147]
	v_mul_f64 v[180:181], v[196:197], v[146:147]
	v_fma_f64 v[144:145], v[196:197], v[190:191], -v[144:145]
	v_fmac_f64_e32 v[180:181], v[198:199], v[190:191]
	s_waitcnt vmcnt(0)
	v_add_f64 v[176:177], v[176:177], -v[144:145]
	v_add_f64 v[178:179], v[178:179], -v[180:181]
	v_mov_b64_e32 v[144:145], v[190:191]
.LBB88_209:
	s_or_b64 exec, exec, s[0:1]
	v_lshl_add_u32 v180, v193, 4, v192
	s_barrier
	s_waitcnt vmcnt(34)
	ds_write2_b64 v180, v[140:141], v[142:143] offset1:1
	s_waitcnt lgkmcnt(0)
	s_barrier
	ds_read2_b64 v[180:183], v192 offset0:20 offset1:21
	s_cmp_lt_i32 s20, 12
	v_mov_b32_e32 v190, 10
	s_cbranch_scc1 .LBB88_212
; %bb.210:
	v_add_u32_e32 v191, 0xb0, v192
	s_mov_b32 s16, 11
	v_mov_b32_e32 v190, 10
.LBB88_211:                             ; =>This Inner Loop Header: Depth=1
	ds_read2_b64 v[196:199], v191 offset1:1
	s_waitcnt lgkmcnt(1)
	v_xor_b32_e32 v201, 0x80000000, v181
	v_xor_b32_e32 v203, 0x80000000, v183
	v_cmp_gt_f64_e32 vcc, 0, v[182:183]
	v_cmp_gt_f64_e64 s[0:1], 0, v[180:181]
	v_mov_b32_e32 v200, v180
	v_mov_b32_e32 v202, v182
	v_cndmask_b32_e64 v201, v181, v201, s[0:1]
	v_cndmask_b32_e32 v203, v183, v203, vcc
	v_add_f64 v[200:201], v[200:201], v[202:203]
	s_waitcnt lgkmcnt(0)
	v_xor_b32_e32 v203, 0x80000000, v197
	v_xor_b32_e32 v205, 0x80000000, v199
	v_cmp_gt_f64_e32 vcc, 0, v[198:199]
	v_cmp_gt_f64_e64 s[0:1], 0, v[196:197]
	v_mov_b32_e32 v202, v196
	v_mov_b32_e32 v204, v198
	v_cndmask_b32_e64 v203, v197, v203, s[0:1]
	v_cndmask_b32_e32 v205, v199, v205, vcc
	v_add_f64 v[202:203], v[202:203], v[204:205]
	v_mov_b32_e32 v206, s16
	s_add_i32 s16, s16, 1
	v_cmp_lt_f64_e32 vcc, v[200:201], v[202:203]
	v_add_u32_e32 v191, 16, v191
	s_cmp_lg_u32 s20, s16
	v_cndmask_b32_e32 v181, v181, v197, vcc
	v_cndmask_b32_e32 v180, v180, v196, vcc
	v_cndmask_b32_e32 v183, v183, v199, vcc
	v_cndmask_b32_e32 v182, v182, v198, vcc
	v_cndmask_b32_e32 v190, v190, v206, vcc
	s_cbranch_scc1 .LBB88_211
.LBB88_212:
	s_waitcnt lgkmcnt(0)
	v_cmp_eq_f64_e32 vcc, 0, v[180:181]
	v_cmp_eq_f64_e64 s[0:1], 0, v[182:183]
	s_and_b64 s[0:1], vcc, s[0:1]
	s_and_saveexec_b64 s[16:17], s[0:1]
	s_xor_b64 s[0:1], exec, s[16:17]
; %bb.213:
	v_cmp_ne_u32_e32 vcc, 0, v194
	s_nop 1
	v_cndmask_b32_e32 v194, 11, v194, vcc
; %bb.214:
	s_andn2_saveexec_b64 s[0:1], s[0:1]
	s_cbranch_execz .LBB88_220
; %bb.215:
	v_cmp_ngt_f64_e64 s[16:17], |v[180:181]|, |v[182:183]|
	s_and_saveexec_b64 s[18:19], s[16:17]
	s_xor_b64 s[16:17], exec, s[18:19]
	s_cbranch_execz .LBB88_217
; %bb.216:
	v_div_scale_f64 v[196:197], s[18:19], v[182:183], v[182:183], v[180:181]
	v_rcp_f64_e32 v[198:199], v[196:197]
	v_div_scale_f64 v[200:201], vcc, v[180:181], v[182:183], v[180:181]
	v_fma_f64 v[202:203], -v[196:197], v[198:199], 1.0
	v_fmac_f64_e32 v[198:199], v[198:199], v[202:203]
	v_fma_f64 v[202:203], -v[196:197], v[198:199], 1.0
	v_fmac_f64_e32 v[198:199], v[198:199], v[202:203]
	v_mul_f64 v[202:203], v[200:201], v[198:199]
	v_fma_f64 v[196:197], -v[196:197], v[202:203], v[200:201]
	v_div_fmas_f64 v[196:197], v[196:197], v[198:199], v[202:203]
	v_div_fixup_f64 v[196:197], v[196:197], v[182:183], v[180:181]
	v_fmac_f64_e32 v[182:183], v[180:181], v[196:197]
	v_div_scale_f64 v[180:181], s[18:19], v[182:183], v[182:183], 1.0
	v_rcp_f64_e32 v[198:199], v[180:181]
	s_nop 0
	v_fma_f64 v[200:201], -v[180:181], v[198:199], 1.0
	v_fmac_f64_e32 v[198:199], v[198:199], v[200:201]
	v_fma_f64 v[200:201], -v[180:181], v[198:199], 1.0
	v_fmac_f64_e32 v[198:199], v[198:199], v[200:201]
	v_div_scale_f64 v[200:201], vcc, 1.0, v[182:183], 1.0
	v_mul_f64 v[202:203], v[200:201], v[198:199]
	v_fma_f64 v[180:181], -v[180:181], v[202:203], v[200:201]
	s_nop 1
	v_div_fmas_f64 v[180:181], v[180:181], v[198:199], v[202:203]
	v_div_fixup_f64 v[182:183], v[180:181], v[182:183], 1.0
	v_mul_f64 v[180:181], v[196:197], v[182:183]
	v_xor_b32_e32 v183, 0x80000000, v183
.LBB88_217:
	s_andn2_saveexec_b64 s[16:17], s[16:17]
	s_cbranch_execz .LBB88_219
; %bb.218:
	v_div_scale_f64 v[196:197], s[18:19], v[180:181], v[180:181], v[182:183]
	v_rcp_f64_e32 v[198:199], v[196:197]
	v_div_scale_f64 v[200:201], vcc, v[182:183], v[180:181], v[182:183]
	v_fma_f64 v[202:203], -v[196:197], v[198:199], 1.0
	v_fmac_f64_e32 v[198:199], v[198:199], v[202:203]
	v_fma_f64 v[202:203], -v[196:197], v[198:199], 1.0
	v_fmac_f64_e32 v[198:199], v[198:199], v[202:203]
	v_mul_f64 v[202:203], v[200:201], v[198:199]
	v_fma_f64 v[196:197], -v[196:197], v[202:203], v[200:201]
	v_div_fmas_f64 v[196:197], v[196:197], v[198:199], v[202:203]
	v_div_fixup_f64 v[196:197], v[196:197], v[180:181], v[182:183]
	v_fmac_f64_e32 v[180:181], v[182:183], v[196:197]
	v_div_scale_f64 v[182:183], s[18:19], v[180:181], v[180:181], 1.0
	v_rcp_f64_e32 v[198:199], v[182:183]
	s_nop 0
	v_fma_f64 v[200:201], -v[182:183], v[198:199], 1.0
	v_fmac_f64_e32 v[198:199], v[198:199], v[200:201]
	v_fma_f64 v[200:201], -v[182:183], v[198:199], 1.0
	v_fmac_f64_e32 v[198:199], v[198:199], v[200:201]
	v_div_scale_f64 v[200:201], vcc, 1.0, v[180:181], 1.0
	v_mul_f64 v[202:203], v[200:201], v[198:199]
	v_fma_f64 v[182:183], -v[182:183], v[202:203], v[200:201]
	s_nop 1
	v_div_fmas_f64 v[182:183], v[182:183], v[198:199], v[202:203]
	v_div_fixup_f64 v[180:181], v[182:183], v[180:181], 1.0
	v_mul_f64 v[182:183], v[196:197], -v[180:181]
.LBB88_219:
	s_or_b64 exec, exec, s[16:17]
.LBB88_220:
	s_or_b64 exec, exec, s[0:1]
	v_cmp_ne_u32_e32 vcc, v193, v190
	s_and_saveexec_b64 s[0:1], vcc
	s_xor_b64 s[0:1], exec, s[0:1]
	s_cbranch_execz .LBB88_226
; %bb.221:
	v_cmp_eq_u32_e32 vcc, 10, v193
	s_and_saveexec_b64 s[16:17], vcc
	s_cbranch_execz .LBB88_225
; %bb.222:
	v_cmp_ne_u32_e32 vcc, 10, v190
	s_xor_b64 s[18:19], s[14:15], -1
	s_and_b64 s[22:23], s[18:19], vcc
	s_and_saveexec_b64 s[18:19], s[22:23]
	s_cbranch_execz .LBB88_224
; %bb.223:
	v_ashrrev_i32_e32 v191, 31, v190
	v_lshl_add_u64 v[196:197], v[190:191], 2, v[188:189]
	global_load_dword v191, v[196:197], off
	global_load_dword v193, v[188:189], off offset:40
	s_waitcnt vmcnt(1)
	global_store_dword v[188:189], v191, off offset:40
	s_waitcnt vmcnt(1)
	global_store_dword v[196:197], v193, off
.LBB88_224:
	s_or_b64 exec, exec, s[18:19]
	v_mov_b32_e32 v193, v190
	v_mov_b32_e32 v195, v190
.LBB88_225:
	s_or_b64 exec, exec, s[16:17]
.LBB88_226:
	s_andn2_saveexec_b64 s[0:1], s[0:1]
	s_cbranch_execz .LBB88_228
; %bb.227:
	v_mov_b32_e32 v193, 10
	s_waitcnt vmcnt(33)
	ds_write2_b64 v192, v[136:137], v[138:139] offset0:22 offset1:23
	s_waitcnt vmcnt(32)
	ds_write2_b64 v192, v[132:133], v[134:135] offset0:24 offset1:25
	;; [unrolled: 2-line block ×34, first 2 shown]
.LBB88_228:
	s_or_b64 exec, exec, s[0:1]
	v_cmp_lt_i32_e32 vcc, 10, v193
	s_waitcnt lgkmcnt(0)
	s_barrier
	s_and_saveexec_b64 s[0:1], vcc
	s_cbranch_execz .LBB88_230
; %bb.229:
	ds_read2_b64 v[196:199], v192 offset0:22 offset1:23
	v_mul_f64 v[190:191], v[182:183], v[142:143]
	v_mul_f64 v[142:143], v[180:181], v[142:143]
	v_fma_f64 v[190:191], v[180:181], v[140:141], -v[190:191]
	v_fmac_f64_e32 v[142:143], v[182:183], v[140:141]
	ds_read2_b64 v[180:183], v192 offset0:24 offset1:25
	s_waitcnt lgkmcnt(1)
	v_mul_f64 v[140:141], v[198:199], v[142:143]
	v_fma_f64 v[140:141], v[196:197], v[190:191], -v[140:141]
	v_mul_f64 v[196:197], v[196:197], v[142:143]
	v_fmac_f64_e32 v[196:197], v[198:199], v[190:191]
	s_waitcnt vmcnt(33)
	v_add_f64 v[136:137], v[136:137], -v[140:141]
	s_waitcnt lgkmcnt(0)
	v_mul_f64 v[140:141], v[182:183], v[142:143]
	v_add_f64 v[138:139], v[138:139], -v[196:197]
	v_fma_f64 v[140:141], v[180:181], v[190:191], -v[140:141]
	v_mul_f64 v[180:181], v[180:181], v[142:143]
	ds_read2_b64 v[196:199], v192 offset0:26 offset1:27
	v_fmac_f64_e32 v[180:181], v[182:183], v[190:191]
	s_waitcnt vmcnt(32)
	v_add_f64 v[134:135], v[134:135], -v[180:181]
	ds_read2_b64 v[180:183], v192 offset0:28 offset1:29
	v_add_f64 v[132:133], v[132:133], -v[140:141]
	s_waitcnt lgkmcnt(1)
	v_mul_f64 v[140:141], v[198:199], v[142:143]
	v_fma_f64 v[140:141], v[196:197], v[190:191], -v[140:141]
	v_mul_f64 v[196:197], v[196:197], v[142:143]
	v_fmac_f64_e32 v[196:197], v[198:199], v[190:191]
	s_waitcnt vmcnt(31)
	v_add_f64 v[128:129], v[128:129], -v[140:141]
	s_waitcnt lgkmcnt(0)
	v_mul_f64 v[140:141], v[182:183], v[142:143]
	v_add_f64 v[130:131], v[130:131], -v[196:197]
	v_fma_f64 v[140:141], v[180:181], v[190:191], -v[140:141]
	v_mul_f64 v[180:181], v[180:181], v[142:143]
	ds_read2_b64 v[196:199], v192 offset0:30 offset1:31
	v_fmac_f64_e32 v[180:181], v[182:183], v[190:191]
	s_waitcnt vmcnt(30)
	v_add_f64 v[126:127], v[126:127], -v[180:181]
	ds_read2_b64 v[180:183], v192 offset0:32 offset1:33
	v_add_f64 v[124:125], v[124:125], -v[140:141]
	;; [unrolled: 18-line block ×16, first 2 shown]
	s_waitcnt lgkmcnt(1)
	v_mul_f64 v[140:141], v[198:199], v[142:143]
	v_fma_f64 v[140:141], v[196:197], v[190:191], -v[140:141]
	s_waitcnt vmcnt(1)
	v_add_f64 v[0:1], v[0:1], -v[140:141]
	s_waitcnt lgkmcnt(0)
	v_mul_f64 v[140:141], v[182:183], v[142:143]
	v_mul_f64 v[196:197], v[196:197], v[142:143]
	v_fma_f64 v[140:141], v[180:181], v[190:191], -v[140:141]
	v_mul_f64 v[180:181], v[180:181], v[142:143]
	v_fmac_f64_e32 v[196:197], v[198:199], v[190:191]
	v_fmac_f64_e32 v[180:181], v[182:183], v[190:191]
	v_add_f64 v[2:3], v[2:3], -v[196:197]
	s_waitcnt vmcnt(0)
	v_add_f64 v[176:177], v[176:177], -v[140:141]
	v_add_f64 v[178:179], v[178:179], -v[180:181]
	v_mov_b64_e32 v[140:141], v[190:191]
.LBB88_230:
	s_or_b64 exec, exec, s[0:1]
	v_lshl_add_u32 v180, v193, 4, v192
	s_barrier
	s_waitcnt vmcnt(33)
	ds_write2_b64 v180, v[136:137], v[138:139] offset1:1
	s_waitcnt lgkmcnt(0)
	s_barrier
	ds_read2_b64 v[180:183], v192 offset0:22 offset1:23
	s_cmp_lt_i32 s20, 13
	v_mov_b32_e32 v190, 11
	s_cbranch_scc1 .LBB88_233
; %bb.231:
	v_add_u32_e32 v191, 0xc0, v192
	s_mov_b32 s16, 12
	v_mov_b32_e32 v190, 11
.LBB88_232:                             ; =>This Inner Loop Header: Depth=1
	ds_read2_b64 v[196:199], v191 offset1:1
	s_waitcnt lgkmcnt(1)
	v_xor_b32_e32 v201, 0x80000000, v181
	v_xor_b32_e32 v203, 0x80000000, v183
	v_cmp_gt_f64_e32 vcc, 0, v[182:183]
	v_cmp_gt_f64_e64 s[0:1], 0, v[180:181]
	v_mov_b32_e32 v200, v180
	v_mov_b32_e32 v202, v182
	v_cndmask_b32_e64 v201, v181, v201, s[0:1]
	v_cndmask_b32_e32 v203, v183, v203, vcc
	v_add_f64 v[200:201], v[200:201], v[202:203]
	s_waitcnt lgkmcnt(0)
	v_xor_b32_e32 v203, 0x80000000, v197
	v_xor_b32_e32 v205, 0x80000000, v199
	v_cmp_gt_f64_e32 vcc, 0, v[198:199]
	v_cmp_gt_f64_e64 s[0:1], 0, v[196:197]
	v_mov_b32_e32 v202, v196
	v_mov_b32_e32 v204, v198
	v_cndmask_b32_e64 v203, v197, v203, s[0:1]
	v_cndmask_b32_e32 v205, v199, v205, vcc
	v_add_f64 v[202:203], v[202:203], v[204:205]
	v_mov_b32_e32 v206, s16
	s_add_i32 s16, s16, 1
	v_cmp_lt_f64_e32 vcc, v[200:201], v[202:203]
	v_add_u32_e32 v191, 16, v191
	s_cmp_lg_u32 s20, s16
	v_cndmask_b32_e32 v181, v181, v197, vcc
	v_cndmask_b32_e32 v180, v180, v196, vcc
	;; [unrolled: 1-line block ×5, first 2 shown]
	s_cbranch_scc1 .LBB88_232
.LBB88_233:
	s_waitcnt lgkmcnt(0)
	v_cmp_eq_f64_e32 vcc, 0, v[180:181]
	v_cmp_eq_f64_e64 s[0:1], 0, v[182:183]
	s_and_b64 s[0:1], vcc, s[0:1]
	s_and_saveexec_b64 s[16:17], s[0:1]
	s_xor_b64 s[0:1], exec, s[16:17]
; %bb.234:
	v_cmp_ne_u32_e32 vcc, 0, v194
	s_nop 1
	v_cndmask_b32_e32 v194, 12, v194, vcc
; %bb.235:
	s_andn2_saveexec_b64 s[0:1], s[0:1]
	s_cbranch_execz .LBB88_241
; %bb.236:
	v_cmp_ngt_f64_e64 s[16:17], |v[180:181]|, |v[182:183]|
	s_and_saveexec_b64 s[18:19], s[16:17]
	s_xor_b64 s[16:17], exec, s[18:19]
	s_cbranch_execz .LBB88_238
; %bb.237:
	v_div_scale_f64 v[196:197], s[18:19], v[182:183], v[182:183], v[180:181]
	v_rcp_f64_e32 v[198:199], v[196:197]
	v_div_scale_f64 v[200:201], vcc, v[180:181], v[182:183], v[180:181]
	v_fma_f64 v[202:203], -v[196:197], v[198:199], 1.0
	v_fmac_f64_e32 v[198:199], v[198:199], v[202:203]
	v_fma_f64 v[202:203], -v[196:197], v[198:199], 1.0
	v_fmac_f64_e32 v[198:199], v[198:199], v[202:203]
	v_mul_f64 v[202:203], v[200:201], v[198:199]
	v_fma_f64 v[196:197], -v[196:197], v[202:203], v[200:201]
	v_div_fmas_f64 v[196:197], v[196:197], v[198:199], v[202:203]
	v_div_fixup_f64 v[196:197], v[196:197], v[182:183], v[180:181]
	v_fmac_f64_e32 v[182:183], v[180:181], v[196:197]
	v_div_scale_f64 v[180:181], s[18:19], v[182:183], v[182:183], 1.0
	v_rcp_f64_e32 v[198:199], v[180:181]
	s_nop 0
	v_fma_f64 v[200:201], -v[180:181], v[198:199], 1.0
	v_fmac_f64_e32 v[198:199], v[198:199], v[200:201]
	v_fma_f64 v[200:201], -v[180:181], v[198:199], 1.0
	v_fmac_f64_e32 v[198:199], v[198:199], v[200:201]
	v_div_scale_f64 v[200:201], vcc, 1.0, v[182:183], 1.0
	v_mul_f64 v[202:203], v[200:201], v[198:199]
	v_fma_f64 v[180:181], -v[180:181], v[202:203], v[200:201]
	s_nop 1
	v_div_fmas_f64 v[180:181], v[180:181], v[198:199], v[202:203]
	v_div_fixup_f64 v[182:183], v[180:181], v[182:183], 1.0
	v_mul_f64 v[180:181], v[196:197], v[182:183]
	v_xor_b32_e32 v183, 0x80000000, v183
.LBB88_238:
	s_andn2_saveexec_b64 s[16:17], s[16:17]
	s_cbranch_execz .LBB88_240
; %bb.239:
	v_div_scale_f64 v[196:197], s[18:19], v[180:181], v[180:181], v[182:183]
	v_rcp_f64_e32 v[198:199], v[196:197]
	v_div_scale_f64 v[200:201], vcc, v[182:183], v[180:181], v[182:183]
	v_fma_f64 v[202:203], -v[196:197], v[198:199], 1.0
	v_fmac_f64_e32 v[198:199], v[198:199], v[202:203]
	v_fma_f64 v[202:203], -v[196:197], v[198:199], 1.0
	v_fmac_f64_e32 v[198:199], v[198:199], v[202:203]
	v_mul_f64 v[202:203], v[200:201], v[198:199]
	v_fma_f64 v[196:197], -v[196:197], v[202:203], v[200:201]
	v_div_fmas_f64 v[196:197], v[196:197], v[198:199], v[202:203]
	v_div_fixup_f64 v[196:197], v[196:197], v[180:181], v[182:183]
	v_fmac_f64_e32 v[180:181], v[182:183], v[196:197]
	v_div_scale_f64 v[182:183], s[18:19], v[180:181], v[180:181], 1.0
	v_rcp_f64_e32 v[198:199], v[182:183]
	s_nop 0
	v_fma_f64 v[200:201], -v[182:183], v[198:199], 1.0
	v_fmac_f64_e32 v[198:199], v[198:199], v[200:201]
	v_fma_f64 v[200:201], -v[182:183], v[198:199], 1.0
	v_fmac_f64_e32 v[198:199], v[198:199], v[200:201]
	v_div_scale_f64 v[200:201], vcc, 1.0, v[180:181], 1.0
	v_mul_f64 v[202:203], v[200:201], v[198:199]
	v_fma_f64 v[182:183], -v[182:183], v[202:203], v[200:201]
	s_nop 1
	v_div_fmas_f64 v[182:183], v[182:183], v[198:199], v[202:203]
	v_div_fixup_f64 v[180:181], v[182:183], v[180:181], 1.0
	v_mul_f64 v[182:183], v[196:197], -v[180:181]
.LBB88_240:
	s_or_b64 exec, exec, s[16:17]
.LBB88_241:
	s_or_b64 exec, exec, s[0:1]
	v_cmp_ne_u32_e32 vcc, v193, v190
	s_and_saveexec_b64 s[0:1], vcc
	s_xor_b64 s[0:1], exec, s[0:1]
	s_cbranch_execz .LBB88_247
; %bb.242:
	v_cmp_eq_u32_e32 vcc, 11, v193
	s_and_saveexec_b64 s[16:17], vcc
	s_cbranch_execz .LBB88_246
; %bb.243:
	v_cmp_ne_u32_e32 vcc, 11, v190
	s_xor_b64 s[18:19], s[14:15], -1
	s_and_b64 s[22:23], s[18:19], vcc
	s_and_saveexec_b64 s[18:19], s[22:23]
	s_cbranch_execz .LBB88_245
; %bb.244:
	v_ashrrev_i32_e32 v191, 31, v190
	v_lshl_add_u64 v[196:197], v[190:191], 2, v[188:189]
	global_load_dword v191, v[196:197], off
	global_load_dword v193, v[188:189], off offset:44
	s_waitcnt vmcnt(1)
	global_store_dword v[188:189], v191, off offset:44
	s_waitcnt vmcnt(1)
	global_store_dword v[196:197], v193, off
.LBB88_245:
	s_or_b64 exec, exec, s[18:19]
	v_mov_b32_e32 v193, v190
	v_mov_b32_e32 v195, v190
.LBB88_246:
	s_or_b64 exec, exec, s[16:17]
.LBB88_247:
	s_andn2_saveexec_b64 s[0:1], s[0:1]
	s_cbranch_execz .LBB88_249
; %bb.248:
	v_mov_b32_e32 v193, 11
	s_waitcnt vmcnt(32)
	ds_write2_b64 v192, v[132:133], v[134:135] offset0:24 offset1:25
	s_waitcnt vmcnt(31)
	ds_write2_b64 v192, v[128:129], v[130:131] offset0:26 offset1:27
	;; [unrolled: 2-line block ×33, first 2 shown]
.LBB88_249:
	s_or_b64 exec, exec, s[0:1]
	v_cmp_lt_i32_e32 vcc, 11, v193
	s_waitcnt lgkmcnt(0)
	s_barrier
	s_and_saveexec_b64 s[0:1], vcc
	s_cbranch_execz .LBB88_251
; %bb.250:
	ds_read2_b64 v[196:199], v192 offset0:24 offset1:25
	v_mul_f64 v[190:191], v[182:183], v[138:139]
	v_mul_f64 v[138:139], v[180:181], v[138:139]
	v_fmac_f64_e32 v[138:139], v[182:183], v[136:137]
	v_fma_f64 v[190:191], v[180:181], v[136:137], -v[190:191]
	ds_read2_b64 v[180:183], v192 offset0:26 offset1:27
	s_waitcnt lgkmcnt(1)
	v_mul_f64 v[136:137], v[198:199], v[138:139]
	v_fma_f64 v[136:137], v[196:197], v[190:191], -v[136:137]
	v_mul_f64 v[196:197], v[196:197], v[138:139]
	v_fmac_f64_e32 v[196:197], v[198:199], v[190:191]
	s_waitcnt vmcnt(32)
	v_add_f64 v[134:135], v[134:135], -v[196:197]
	ds_read2_b64 v[196:199], v192 offset0:28 offset1:29
	v_add_f64 v[132:133], v[132:133], -v[136:137]
	s_waitcnt lgkmcnt(1)
	v_mul_f64 v[136:137], v[182:183], v[138:139]
	v_fma_f64 v[136:137], v[180:181], v[190:191], -v[136:137]
	v_mul_f64 v[180:181], v[180:181], v[138:139]
	v_fmac_f64_e32 v[180:181], v[182:183], v[190:191]
	s_waitcnt vmcnt(31)
	v_add_f64 v[128:129], v[128:129], -v[136:137]
	v_add_f64 v[130:131], v[130:131], -v[180:181]
	ds_read2_b64 v[180:183], v192 offset0:30 offset1:31
	s_waitcnt lgkmcnt(1)
	v_mul_f64 v[136:137], v[198:199], v[138:139]
	v_fma_f64 v[136:137], v[196:197], v[190:191], -v[136:137]
	v_mul_f64 v[196:197], v[196:197], v[138:139]
	v_fmac_f64_e32 v[196:197], v[198:199], v[190:191]
	s_waitcnt vmcnt(30)
	v_add_f64 v[126:127], v[126:127], -v[196:197]
	ds_read2_b64 v[196:199], v192 offset0:32 offset1:33
	v_add_f64 v[124:125], v[124:125], -v[136:137]
	s_waitcnt lgkmcnt(1)
	v_mul_f64 v[136:137], v[182:183], v[138:139]
	v_fma_f64 v[136:137], v[180:181], v[190:191], -v[136:137]
	v_mul_f64 v[180:181], v[180:181], v[138:139]
	v_fmac_f64_e32 v[180:181], v[182:183], v[190:191]
	s_waitcnt vmcnt(29)
	v_add_f64 v[116:117], v[116:117], -v[136:137]
	v_add_f64 v[118:119], v[118:119], -v[180:181]
	;; [unrolled: 18-line block ×16, first 2 shown]
	s_waitcnt lgkmcnt(0)
	v_mul_f64 v[136:137], v[198:199], v[138:139]
	v_mul_f64 v[180:181], v[196:197], v[138:139]
	v_fma_f64 v[136:137], v[196:197], v[190:191], -v[136:137]
	v_fmac_f64_e32 v[180:181], v[198:199], v[190:191]
	s_waitcnt vmcnt(0)
	v_add_f64 v[176:177], v[176:177], -v[136:137]
	v_add_f64 v[178:179], v[178:179], -v[180:181]
	v_mov_b64_e32 v[136:137], v[190:191]
.LBB88_251:
	s_or_b64 exec, exec, s[0:1]
	v_lshl_add_u32 v180, v193, 4, v192
	s_barrier
	s_waitcnt vmcnt(32)
	ds_write2_b64 v180, v[132:133], v[134:135] offset1:1
	s_waitcnt lgkmcnt(0)
	s_barrier
	ds_read2_b64 v[180:183], v192 offset0:24 offset1:25
	s_cmp_lt_i32 s20, 14
	v_mov_b32_e32 v190, 12
	s_cbranch_scc1 .LBB88_254
; %bb.252:
	v_add_u32_e32 v191, 0xd0, v192
	s_mov_b32 s16, 13
	v_mov_b32_e32 v190, 12
.LBB88_253:                             ; =>This Inner Loop Header: Depth=1
	ds_read2_b64 v[196:199], v191 offset1:1
	s_waitcnt lgkmcnt(1)
	v_xor_b32_e32 v201, 0x80000000, v181
	v_xor_b32_e32 v203, 0x80000000, v183
	v_cmp_gt_f64_e32 vcc, 0, v[182:183]
	v_cmp_gt_f64_e64 s[0:1], 0, v[180:181]
	v_mov_b32_e32 v200, v180
	v_mov_b32_e32 v202, v182
	v_cndmask_b32_e64 v201, v181, v201, s[0:1]
	v_cndmask_b32_e32 v203, v183, v203, vcc
	v_add_f64 v[200:201], v[200:201], v[202:203]
	s_waitcnt lgkmcnt(0)
	v_xor_b32_e32 v203, 0x80000000, v197
	v_xor_b32_e32 v205, 0x80000000, v199
	v_cmp_gt_f64_e32 vcc, 0, v[198:199]
	v_cmp_gt_f64_e64 s[0:1], 0, v[196:197]
	v_mov_b32_e32 v202, v196
	v_mov_b32_e32 v204, v198
	v_cndmask_b32_e64 v203, v197, v203, s[0:1]
	v_cndmask_b32_e32 v205, v199, v205, vcc
	v_add_f64 v[202:203], v[202:203], v[204:205]
	v_mov_b32_e32 v206, s16
	s_add_i32 s16, s16, 1
	v_cmp_lt_f64_e32 vcc, v[200:201], v[202:203]
	v_add_u32_e32 v191, 16, v191
	s_cmp_lg_u32 s20, s16
	v_cndmask_b32_e32 v181, v181, v197, vcc
	v_cndmask_b32_e32 v180, v180, v196, vcc
	;; [unrolled: 1-line block ×5, first 2 shown]
	s_cbranch_scc1 .LBB88_253
.LBB88_254:
	s_waitcnt lgkmcnt(0)
	v_cmp_eq_f64_e32 vcc, 0, v[180:181]
	v_cmp_eq_f64_e64 s[0:1], 0, v[182:183]
	s_and_b64 s[0:1], vcc, s[0:1]
	s_and_saveexec_b64 s[16:17], s[0:1]
	s_xor_b64 s[0:1], exec, s[16:17]
; %bb.255:
	v_cmp_ne_u32_e32 vcc, 0, v194
	s_nop 1
	v_cndmask_b32_e32 v194, 13, v194, vcc
; %bb.256:
	s_andn2_saveexec_b64 s[0:1], s[0:1]
	s_cbranch_execz .LBB88_262
; %bb.257:
	v_cmp_ngt_f64_e64 s[16:17], |v[180:181]|, |v[182:183]|
	s_and_saveexec_b64 s[18:19], s[16:17]
	s_xor_b64 s[16:17], exec, s[18:19]
	s_cbranch_execz .LBB88_259
; %bb.258:
	v_div_scale_f64 v[196:197], s[18:19], v[182:183], v[182:183], v[180:181]
	v_rcp_f64_e32 v[198:199], v[196:197]
	v_div_scale_f64 v[200:201], vcc, v[180:181], v[182:183], v[180:181]
	v_fma_f64 v[202:203], -v[196:197], v[198:199], 1.0
	v_fmac_f64_e32 v[198:199], v[198:199], v[202:203]
	v_fma_f64 v[202:203], -v[196:197], v[198:199], 1.0
	v_fmac_f64_e32 v[198:199], v[198:199], v[202:203]
	v_mul_f64 v[202:203], v[200:201], v[198:199]
	v_fma_f64 v[196:197], -v[196:197], v[202:203], v[200:201]
	v_div_fmas_f64 v[196:197], v[196:197], v[198:199], v[202:203]
	v_div_fixup_f64 v[196:197], v[196:197], v[182:183], v[180:181]
	v_fmac_f64_e32 v[182:183], v[180:181], v[196:197]
	v_div_scale_f64 v[180:181], s[18:19], v[182:183], v[182:183], 1.0
	v_rcp_f64_e32 v[198:199], v[180:181]
	s_nop 0
	v_fma_f64 v[200:201], -v[180:181], v[198:199], 1.0
	v_fmac_f64_e32 v[198:199], v[198:199], v[200:201]
	v_fma_f64 v[200:201], -v[180:181], v[198:199], 1.0
	v_fmac_f64_e32 v[198:199], v[198:199], v[200:201]
	v_div_scale_f64 v[200:201], vcc, 1.0, v[182:183], 1.0
	v_mul_f64 v[202:203], v[200:201], v[198:199]
	v_fma_f64 v[180:181], -v[180:181], v[202:203], v[200:201]
	s_nop 1
	v_div_fmas_f64 v[180:181], v[180:181], v[198:199], v[202:203]
	v_div_fixup_f64 v[182:183], v[180:181], v[182:183], 1.0
	v_mul_f64 v[180:181], v[196:197], v[182:183]
	v_xor_b32_e32 v183, 0x80000000, v183
.LBB88_259:
	s_andn2_saveexec_b64 s[16:17], s[16:17]
	s_cbranch_execz .LBB88_261
; %bb.260:
	v_div_scale_f64 v[196:197], s[18:19], v[180:181], v[180:181], v[182:183]
	v_rcp_f64_e32 v[198:199], v[196:197]
	v_div_scale_f64 v[200:201], vcc, v[182:183], v[180:181], v[182:183]
	v_fma_f64 v[202:203], -v[196:197], v[198:199], 1.0
	v_fmac_f64_e32 v[198:199], v[198:199], v[202:203]
	v_fma_f64 v[202:203], -v[196:197], v[198:199], 1.0
	v_fmac_f64_e32 v[198:199], v[198:199], v[202:203]
	v_mul_f64 v[202:203], v[200:201], v[198:199]
	v_fma_f64 v[196:197], -v[196:197], v[202:203], v[200:201]
	v_div_fmas_f64 v[196:197], v[196:197], v[198:199], v[202:203]
	v_div_fixup_f64 v[196:197], v[196:197], v[180:181], v[182:183]
	v_fmac_f64_e32 v[180:181], v[182:183], v[196:197]
	v_div_scale_f64 v[182:183], s[18:19], v[180:181], v[180:181], 1.0
	v_rcp_f64_e32 v[198:199], v[182:183]
	s_nop 0
	v_fma_f64 v[200:201], -v[182:183], v[198:199], 1.0
	v_fmac_f64_e32 v[198:199], v[198:199], v[200:201]
	v_fma_f64 v[200:201], -v[182:183], v[198:199], 1.0
	v_fmac_f64_e32 v[198:199], v[198:199], v[200:201]
	v_div_scale_f64 v[200:201], vcc, 1.0, v[180:181], 1.0
	v_mul_f64 v[202:203], v[200:201], v[198:199]
	v_fma_f64 v[182:183], -v[182:183], v[202:203], v[200:201]
	s_nop 1
	v_div_fmas_f64 v[182:183], v[182:183], v[198:199], v[202:203]
	v_div_fixup_f64 v[180:181], v[182:183], v[180:181], 1.0
	v_mul_f64 v[182:183], v[196:197], -v[180:181]
.LBB88_261:
	s_or_b64 exec, exec, s[16:17]
.LBB88_262:
	s_or_b64 exec, exec, s[0:1]
	v_cmp_ne_u32_e32 vcc, v193, v190
	s_and_saveexec_b64 s[0:1], vcc
	s_xor_b64 s[0:1], exec, s[0:1]
	s_cbranch_execz .LBB88_268
; %bb.263:
	v_cmp_eq_u32_e32 vcc, 12, v193
	s_and_saveexec_b64 s[16:17], vcc
	s_cbranch_execz .LBB88_267
; %bb.264:
	v_cmp_ne_u32_e32 vcc, 12, v190
	s_xor_b64 s[18:19], s[14:15], -1
	s_and_b64 s[22:23], s[18:19], vcc
	s_and_saveexec_b64 s[18:19], s[22:23]
	s_cbranch_execz .LBB88_266
; %bb.265:
	v_ashrrev_i32_e32 v191, 31, v190
	v_lshl_add_u64 v[196:197], v[190:191], 2, v[188:189]
	global_load_dword v191, v[196:197], off
	global_load_dword v193, v[188:189], off offset:48
	s_waitcnt vmcnt(1)
	global_store_dword v[188:189], v191, off offset:48
	s_waitcnt vmcnt(1)
	global_store_dword v[196:197], v193, off
.LBB88_266:
	s_or_b64 exec, exec, s[18:19]
	v_mov_b32_e32 v193, v190
	v_mov_b32_e32 v195, v190
.LBB88_267:
	s_or_b64 exec, exec, s[16:17]
.LBB88_268:
	s_andn2_saveexec_b64 s[0:1], s[0:1]
	s_cbranch_execz .LBB88_270
; %bb.269:
	v_mov_b32_e32 v193, 12
	s_waitcnt vmcnt(31)
	ds_write2_b64 v192, v[128:129], v[130:131] offset0:26 offset1:27
	s_waitcnt vmcnt(30)
	ds_write2_b64 v192, v[124:125], v[126:127] offset0:28 offset1:29
	;; [unrolled: 2-line block ×32, first 2 shown]
.LBB88_270:
	s_or_b64 exec, exec, s[0:1]
	v_cmp_lt_i32_e32 vcc, 12, v193
	s_waitcnt lgkmcnt(0)
	s_barrier
	s_and_saveexec_b64 s[0:1], vcc
	s_cbranch_execz .LBB88_272
; %bb.271:
	ds_read2_b64 v[196:199], v192 offset0:26 offset1:27
	v_mul_f64 v[190:191], v[182:183], v[134:135]
	v_mul_f64 v[134:135], v[180:181], v[134:135]
	v_fma_f64 v[190:191], v[180:181], v[132:133], -v[190:191]
	v_fmac_f64_e32 v[134:135], v[182:183], v[132:133]
	ds_read2_b64 v[180:183], v192 offset0:28 offset1:29
	s_waitcnt lgkmcnt(1)
	v_mul_f64 v[132:133], v[198:199], v[134:135]
	v_fma_f64 v[132:133], v[196:197], v[190:191], -v[132:133]
	v_mul_f64 v[196:197], v[196:197], v[134:135]
	v_fmac_f64_e32 v[196:197], v[198:199], v[190:191]
	s_waitcnt vmcnt(31)
	v_add_f64 v[128:129], v[128:129], -v[132:133]
	s_waitcnt lgkmcnt(0)
	v_mul_f64 v[132:133], v[182:183], v[134:135]
	v_add_f64 v[130:131], v[130:131], -v[196:197]
	v_fma_f64 v[132:133], v[180:181], v[190:191], -v[132:133]
	v_mul_f64 v[180:181], v[180:181], v[134:135]
	ds_read2_b64 v[196:199], v192 offset0:30 offset1:31
	v_fmac_f64_e32 v[180:181], v[182:183], v[190:191]
	s_waitcnt vmcnt(30)
	v_add_f64 v[126:127], v[126:127], -v[180:181]
	ds_read2_b64 v[180:183], v192 offset0:32 offset1:33
	v_add_f64 v[124:125], v[124:125], -v[132:133]
	s_waitcnt lgkmcnt(1)
	v_mul_f64 v[132:133], v[198:199], v[134:135]
	v_fma_f64 v[132:133], v[196:197], v[190:191], -v[132:133]
	v_mul_f64 v[196:197], v[196:197], v[134:135]
	v_fmac_f64_e32 v[196:197], v[198:199], v[190:191]
	s_waitcnt vmcnt(29)
	v_add_f64 v[116:117], v[116:117], -v[132:133]
	s_waitcnt lgkmcnt(0)
	v_mul_f64 v[132:133], v[182:183], v[134:135]
	v_add_f64 v[118:119], v[118:119], -v[196:197]
	v_fma_f64 v[132:133], v[180:181], v[190:191], -v[132:133]
	v_mul_f64 v[180:181], v[180:181], v[134:135]
	ds_read2_b64 v[196:199], v192 offset0:34 offset1:35
	v_fmac_f64_e32 v[180:181], v[182:183], v[190:191]
	s_waitcnt vmcnt(28)
	v_add_f64 v[110:111], v[110:111], -v[180:181]
	ds_read2_b64 v[180:183], v192 offset0:36 offset1:37
	v_add_f64 v[108:109], v[108:109], -v[132:133]
	;; [unrolled: 18-line block ×15, first 2 shown]
	s_waitcnt lgkmcnt(1)
	v_mul_f64 v[132:133], v[198:199], v[134:135]
	v_fma_f64 v[132:133], v[196:197], v[190:191], -v[132:133]
	s_waitcnt vmcnt(1)
	v_add_f64 v[0:1], v[0:1], -v[132:133]
	s_waitcnt lgkmcnt(0)
	v_mul_f64 v[132:133], v[182:183], v[134:135]
	v_mul_f64 v[196:197], v[196:197], v[134:135]
	v_fma_f64 v[132:133], v[180:181], v[190:191], -v[132:133]
	v_mul_f64 v[180:181], v[180:181], v[134:135]
	v_fmac_f64_e32 v[196:197], v[198:199], v[190:191]
	v_fmac_f64_e32 v[180:181], v[182:183], v[190:191]
	v_add_f64 v[2:3], v[2:3], -v[196:197]
	s_waitcnt vmcnt(0)
	v_add_f64 v[176:177], v[176:177], -v[132:133]
	v_add_f64 v[178:179], v[178:179], -v[180:181]
	v_mov_b64_e32 v[132:133], v[190:191]
.LBB88_272:
	s_or_b64 exec, exec, s[0:1]
	v_lshl_add_u32 v180, v193, 4, v192
	s_barrier
	s_waitcnt vmcnt(31)
	ds_write2_b64 v180, v[128:129], v[130:131] offset1:1
	s_waitcnt lgkmcnt(0)
	s_barrier
	ds_read2_b64 v[180:183], v192 offset0:26 offset1:27
	s_cmp_lt_i32 s20, 15
	v_mov_b32_e32 v190, 13
	s_cbranch_scc1 .LBB88_275
; %bb.273:
	v_add_u32_e32 v191, 0xe0, v192
	s_mov_b32 s16, 14
	v_mov_b32_e32 v190, 13
.LBB88_274:                             ; =>This Inner Loop Header: Depth=1
	ds_read2_b64 v[196:199], v191 offset1:1
	s_waitcnt lgkmcnt(1)
	v_xor_b32_e32 v201, 0x80000000, v181
	v_xor_b32_e32 v203, 0x80000000, v183
	v_cmp_gt_f64_e32 vcc, 0, v[182:183]
	v_cmp_gt_f64_e64 s[0:1], 0, v[180:181]
	v_mov_b32_e32 v200, v180
	v_mov_b32_e32 v202, v182
	v_cndmask_b32_e64 v201, v181, v201, s[0:1]
	v_cndmask_b32_e32 v203, v183, v203, vcc
	v_add_f64 v[200:201], v[200:201], v[202:203]
	s_waitcnt lgkmcnt(0)
	v_xor_b32_e32 v203, 0x80000000, v197
	v_xor_b32_e32 v205, 0x80000000, v199
	v_cmp_gt_f64_e32 vcc, 0, v[198:199]
	v_cmp_gt_f64_e64 s[0:1], 0, v[196:197]
	v_mov_b32_e32 v202, v196
	v_mov_b32_e32 v204, v198
	v_cndmask_b32_e64 v203, v197, v203, s[0:1]
	v_cndmask_b32_e32 v205, v199, v205, vcc
	v_add_f64 v[202:203], v[202:203], v[204:205]
	v_mov_b32_e32 v206, s16
	s_add_i32 s16, s16, 1
	v_cmp_lt_f64_e32 vcc, v[200:201], v[202:203]
	v_add_u32_e32 v191, 16, v191
	s_cmp_lg_u32 s20, s16
	v_cndmask_b32_e32 v181, v181, v197, vcc
	v_cndmask_b32_e32 v180, v180, v196, vcc
	;; [unrolled: 1-line block ×5, first 2 shown]
	s_cbranch_scc1 .LBB88_274
.LBB88_275:
	s_waitcnt lgkmcnt(0)
	v_cmp_eq_f64_e32 vcc, 0, v[180:181]
	v_cmp_eq_f64_e64 s[0:1], 0, v[182:183]
	s_and_b64 s[0:1], vcc, s[0:1]
	s_and_saveexec_b64 s[16:17], s[0:1]
	s_xor_b64 s[0:1], exec, s[16:17]
; %bb.276:
	v_cmp_ne_u32_e32 vcc, 0, v194
	s_nop 1
	v_cndmask_b32_e32 v194, 14, v194, vcc
; %bb.277:
	s_andn2_saveexec_b64 s[0:1], s[0:1]
	s_cbranch_execz .LBB88_283
; %bb.278:
	v_cmp_ngt_f64_e64 s[16:17], |v[180:181]|, |v[182:183]|
	s_and_saveexec_b64 s[18:19], s[16:17]
	s_xor_b64 s[16:17], exec, s[18:19]
	s_cbranch_execz .LBB88_280
; %bb.279:
	v_div_scale_f64 v[196:197], s[18:19], v[182:183], v[182:183], v[180:181]
	v_rcp_f64_e32 v[198:199], v[196:197]
	v_div_scale_f64 v[200:201], vcc, v[180:181], v[182:183], v[180:181]
	v_fma_f64 v[202:203], -v[196:197], v[198:199], 1.0
	v_fmac_f64_e32 v[198:199], v[198:199], v[202:203]
	v_fma_f64 v[202:203], -v[196:197], v[198:199], 1.0
	v_fmac_f64_e32 v[198:199], v[198:199], v[202:203]
	v_mul_f64 v[202:203], v[200:201], v[198:199]
	v_fma_f64 v[196:197], -v[196:197], v[202:203], v[200:201]
	v_div_fmas_f64 v[196:197], v[196:197], v[198:199], v[202:203]
	v_div_fixup_f64 v[196:197], v[196:197], v[182:183], v[180:181]
	v_fmac_f64_e32 v[182:183], v[180:181], v[196:197]
	v_div_scale_f64 v[180:181], s[18:19], v[182:183], v[182:183], 1.0
	v_rcp_f64_e32 v[198:199], v[180:181]
	s_nop 0
	v_fma_f64 v[200:201], -v[180:181], v[198:199], 1.0
	v_fmac_f64_e32 v[198:199], v[198:199], v[200:201]
	v_fma_f64 v[200:201], -v[180:181], v[198:199], 1.0
	v_fmac_f64_e32 v[198:199], v[198:199], v[200:201]
	v_div_scale_f64 v[200:201], vcc, 1.0, v[182:183], 1.0
	v_mul_f64 v[202:203], v[200:201], v[198:199]
	v_fma_f64 v[180:181], -v[180:181], v[202:203], v[200:201]
	s_nop 1
	v_div_fmas_f64 v[180:181], v[180:181], v[198:199], v[202:203]
	v_div_fixup_f64 v[182:183], v[180:181], v[182:183], 1.0
	v_mul_f64 v[180:181], v[196:197], v[182:183]
	v_xor_b32_e32 v183, 0x80000000, v183
.LBB88_280:
	s_andn2_saveexec_b64 s[16:17], s[16:17]
	s_cbranch_execz .LBB88_282
; %bb.281:
	v_div_scale_f64 v[196:197], s[18:19], v[180:181], v[180:181], v[182:183]
	v_rcp_f64_e32 v[198:199], v[196:197]
	v_div_scale_f64 v[200:201], vcc, v[182:183], v[180:181], v[182:183]
	v_fma_f64 v[202:203], -v[196:197], v[198:199], 1.0
	v_fmac_f64_e32 v[198:199], v[198:199], v[202:203]
	v_fma_f64 v[202:203], -v[196:197], v[198:199], 1.0
	v_fmac_f64_e32 v[198:199], v[198:199], v[202:203]
	v_mul_f64 v[202:203], v[200:201], v[198:199]
	v_fma_f64 v[196:197], -v[196:197], v[202:203], v[200:201]
	v_div_fmas_f64 v[196:197], v[196:197], v[198:199], v[202:203]
	v_div_fixup_f64 v[196:197], v[196:197], v[180:181], v[182:183]
	v_fmac_f64_e32 v[180:181], v[182:183], v[196:197]
	v_div_scale_f64 v[182:183], s[18:19], v[180:181], v[180:181], 1.0
	v_rcp_f64_e32 v[198:199], v[182:183]
	s_nop 0
	v_fma_f64 v[200:201], -v[182:183], v[198:199], 1.0
	v_fmac_f64_e32 v[198:199], v[198:199], v[200:201]
	v_fma_f64 v[200:201], -v[182:183], v[198:199], 1.0
	v_fmac_f64_e32 v[198:199], v[198:199], v[200:201]
	v_div_scale_f64 v[200:201], vcc, 1.0, v[180:181], 1.0
	v_mul_f64 v[202:203], v[200:201], v[198:199]
	v_fma_f64 v[182:183], -v[182:183], v[202:203], v[200:201]
	s_nop 1
	v_div_fmas_f64 v[182:183], v[182:183], v[198:199], v[202:203]
	v_div_fixup_f64 v[180:181], v[182:183], v[180:181], 1.0
	v_mul_f64 v[182:183], v[196:197], -v[180:181]
.LBB88_282:
	s_or_b64 exec, exec, s[16:17]
.LBB88_283:
	s_or_b64 exec, exec, s[0:1]
	v_cmp_ne_u32_e32 vcc, v193, v190
	s_and_saveexec_b64 s[0:1], vcc
	s_xor_b64 s[0:1], exec, s[0:1]
	s_cbranch_execz .LBB88_289
; %bb.284:
	v_cmp_eq_u32_e32 vcc, 13, v193
	s_and_saveexec_b64 s[16:17], vcc
	s_cbranch_execz .LBB88_288
; %bb.285:
	v_cmp_ne_u32_e32 vcc, 13, v190
	s_xor_b64 s[18:19], s[14:15], -1
	s_and_b64 s[22:23], s[18:19], vcc
	s_and_saveexec_b64 s[18:19], s[22:23]
	s_cbranch_execz .LBB88_287
; %bb.286:
	v_ashrrev_i32_e32 v191, 31, v190
	v_lshl_add_u64 v[196:197], v[190:191], 2, v[188:189]
	global_load_dword v191, v[196:197], off
	global_load_dword v193, v[188:189], off offset:52
	s_waitcnt vmcnt(1)
	global_store_dword v[188:189], v191, off offset:52
	s_waitcnt vmcnt(1)
	global_store_dword v[196:197], v193, off
.LBB88_287:
	s_or_b64 exec, exec, s[18:19]
	v_mov_b32_e32 v193, v190
	v_mov_b32_e32 v195, v190
.LBB88_288:
	s_or_b64 exec, exec, s[16:17]
.LBB88_289:
	s_andn2_saveexec_b64 s[0:1], s[0:1]
	s_cbranch_execz .LBB88_291
; %bb.290:
	v_mov_b32_e32 v193, 13
	s_waitcnt vmcnt(30)
	ds_write2_b64 v192, v[124:125], v[126:127] offset0:28 offset1:29
	s_waitcnt vmcnt(29)
	ds_write2_b64 v192, v[116:117], v[118:119] offset0:30 offset1:31
	;; [unrolled: 2-line block ×31, first 2 shown]
.LBB88_291:
	s_or_b64 exec, exec, s[0:1]
	v_cmp_lt_i32_e32 vcc, 13, v193
	s_waitcnt lgkmcnt(0)
	s_barrier
	s_and_saveexec_b64 s[0:1], vcc
	s_cbranch_execz .LBB88_293
; %bb.292:
	ds_read2_b64 v[196:199], v192 offset0:28 offset1:29
	v_mul_f64 v[190:191], v[182:183], v[130:131]
	v_mul_f64 v[130:131], v[180:181], v[130:131]
	v_fmac_f64_e32 v[130:131], v[182:183], v[128:129]
	v_fma_f64 v[190:191], v[180:181], v[128:129], -v[190:191]
	ds_read2_b64 v[180:183], v192 offset0:30 offset1:31
	s_waitcnt lgkmcnt(1)
	v_mul_f64 v[128:129], v[198:199], v[130:131]
	v_fma_f64 v[128:129], v[196:197], v[190:191], -v[128:129]
	v_mul_f64 v[196:197], v[196:197], v[130:131]
	v_fmac_f64_e32 v[196:197], v[198:199], v[190:191]
	s_waitcnt vmcnt(30)
	v_add_f64 v[126:127], v[126:127], -v[196:197]
	ds_read2_b64 v[196:199], v192 offset0:32 offset1:33
	v_add_f64 v[124:125], v[124:125], -v[128:129]
	s_waitcnt lgkmcnt(1)
	v_mul_f64 v[128:129], v[182:183], v[130:131]
	v_fma_f64 v[128:129], v[180:181], v[190:191], -v[128:129]
	v_mul_f64 v[180:181], v[180:181], v[130:131]
	v_fmac_f64_e32 v[180:181], v[182:183], v[190:191]
	s_waitcnt vmcnt(29)
	v_add_f64 v[116:117], v[116:117], -v[128:129]
	v_add_f64 v[118:119], v[118:119], -v[180:181]
	ds_read2_b64 v[180:183], v192 offset0:34 offset1:35
	s_waitcnt lgkmcnt(1)
	v_mul_f64 v[128:129], v[198:199], v[130:131]
	v_fma_f64 v[128:129], v[196:197], v[190:191], -v[128:129]
	v_mul_f64 v[196:197], v[196:197], v[130:131]
	v_fmac_f64_e32 v[196:197], v[198:199], v[190:191]
	s_waitcnt vmcnt(28)
	v_add_f64 v[110:111], v[110:111], -v[196:197]
	ds_read2_b64 v[196:199], v192 offset0:36 offset1:37
	v_add_f64 v[108:109], v[108:109], -v[128:129]
	s_waitcnt lgkmcnt(1)
	v_mul_f64 v[128:129], v[182:183], v[130:131]
	v_fma_f64 v[128:129], v[180:181], v[190:191], -v[128:129]
	v_mul_f64 v[180:181], v[180:181], v[130:131]
	v_fmac_f64_e32 v[180:181], v[182:183], v[190:191]
	s_waitcnt vmcnt(27)
	v_add_f64 v[104:105], v[104:105], -v[128:129]
	v_add_f64 v[106:107], v[106:107], -v[180:181]
	;; [unrolled: 18-line block ×15, first 2 shown]
	s_waitcnt lgkmcnt(0)
	v_mul_f64 v[128:129], v[198:199], v[130:131]
	v_mul_f64 v[180:181], v[196:197], v[130:131]
	v_fma_f64 v[128:129], v[196:197], v[190:191], -v[128:129]
	v_fmac_f64_e32 v[180:181], v[198:199], v[190:191]
	s_waitcnt vmcnt(0)
	v_add_f64 v[176:177], v[176:177], -v[128:129]
	v_add_f64 v[178:179], v[178:179], -v[180:181]
	v_mov_b64_e32 v[128:129], v[190:191]
.LBB88_293:
	s_or_b64 exec, exec, s[0:1]
	v_lshl_add_u32 v180, v193, 4, v192
	s_barrier
	s_waitcnt vmcnt(30)
	ds_write2_b64 v180, v[124:125], v[126:127] offset1:1
	s_waitcnt lgkmcnt(0)
	s_barrier
	ds_read2_b64 v[180:183], v192 offset0:28 offset1:29
	s_cmp_lt_i32 s20, 16
	v_mov_b32_e32 v190, 14
	s_cbranch_scc1 .LBB88_296
; %bb.294:
	v_add_u32_e32 v191, 0xf0, v192
	s_mov_b32 s16, 15
	v_mov_b32_e32 v190, 14
.LBB88_295:                             ; =>This Inner Loop Header: Depth=1
	ds_read2_b64 v[196:199], v191 offset1:1
	s_waitcnt lgkmcnt(1)
	v_xor_b32_e32 v201, 0x80000000, v181
	v_xor_b32_e32 v203, 0x80000000, v183
	v_cmp_gt_f64_e32 vcc, 0, v[182:183]
	v_cmp_gt_f64_e64 s[0:1], 0, v[180:181]
	v_mov_b32_e32 v200, v180
	v_mov_b32_e32 v202, v182
	v_cndmask_b32_e64 v201, v181, v201, s[0:1]
	v_cndmask_b32_e32 v203, v183, v203, vcc
	v_add_f64 v[200:201], v[200:201], v[202:203]
	s_waitcnt lgkmcnt(0)
	v_xor_b32_e32 v203, 0x80000000, v197
	v_xor_b32_e32 v205, 0x80000000, v199
	v_cmp_gt_f64_e32 vcc, 0, v[198:199]
	v_cmp_gt_f64_e64 s[0:1], 0, v[196:197]
	v_mov_b32_e32 v202, v196
	v_mov_b32_e32 v204, v198
	v_cndmask_b32_e64 v203, v197, v203, s[0:1]
	v_cndmask_b32_e32 v205, v199, v205, vcc
	v_add_f64 v[202:203], v[202:203], v[204:205]
	v_mov_b32_e32 v206, s16
	s_add_i32 s16, s16, 1
	v_cmp_lt_f64_e32 vcc, v[200:201], v[202:203]
	v_add_u32_e32 v191, 16, v191
	s_cmp_lg_u32 s20, s16
	v_cndmask_b32_e32 v181, v181, v197, vcc
	v_cndmask_b32_e32 v180, v180, v196, vcc
	;; [unrolled: 1-line block ×5, first 2 shown]
	s_cbranch_scc1 .LBB88_295
.LBB88_296:
	s_waitcnt lgkmcnt(0)
	v_cmp_eq_f64_e32 vcc, 0, v[180:181]
	v_cmp_eq_f64_e64 s[0:1], 0, v[182:183]
	s_and_b64 s[0:1], vcc, s[0:1]
	s_and_saveexec_b64 s[16:17], s[0:1]
	s_xor_b64 s[0:1], exec, s[16:17]
; %bb.297:
	v_cmp_ne_u32_e32 vcc, 0, v194
	s_nop 1
	v_cndmask_b32_e32 v194, 15, v194, vcc
; %bb.298:
	s_andn2_saveexec_b64 s[0:1], s[0:1]
	s_cbranch_execz .LBB88_304
; %bb.299:
	v_cmp_ngt_f64_e64 s[16:17], |v[180:181]|, |v[182:183]|
	s_and_saveexec_b64 s[18:19], s[16:17]
	s_xor_b64 s[16:17], exec, s[18:19]
	s_cbranch_execz .LBB88_301
; %bb.300:
	v_div_scale_f64 v[196:197], s[18:19], v[182:183], v[182:183], v[180:181]
	v_rcp_f64_e32 v[198:199], v[196:197]
	v_div_scale_f64 v[200:201], vcc, v[180:181], v[182:183], v[180:181]
	v_fma_f64 v[202:203], -v[196:197], v[198:199], 1.0
	v_fmac_f64_e32 v[198:199], v[198:199], v[202:203]
	v_fma_f64 v[202:203], -v[196:197], v[198:199], 1.0
	v_fmac_f64_e32 v[198:199], v[198:199], v[202:203]
	v_mul_f64 v[202:203], v[200:201], v[198:199]
	v_fma_f64 v[196:197], -v[196:197], v[202:203], v[200:201]
	v_div_fmas_f64 v[196:197], v[196:197], v[198:199], v[202:203]
	v_div_fixup_f64 v[196:197], v[196:197], v[182:183], v[180:181]
	v_fmac_f64_e32 v[182:183], v[180:181], v[196:197]
	v_div_scale_f64 v[180:181], s[18:19], v[182:183], v[182:183], 1.0
	v_rcp_f64_e32 v[198:199], v[180:181]
	s_nop 0
	v_fma_f64 v[200:201], -v[180:181], v[198:199], 1.0
	v_fmac_f64_e32 v[198:199], v[198:199], v[200:201]
	v_fma_f64 v[200:201], -v[180:181], v[198:199], 1.0
	v_fmac_f64_e32 v[198:199], v[198:199], v[200:201]
	v_div_scale_f64 v[200:201], vcc, 1.0, v[182:183], 1.0
	v_mul_f64 v[202:203], v[200:201], v[198:199]
	v_fma_f64 v[180:181], -v[180:181], v[202:203], v[200:201]
	s_nop 1
	v_div_fmas_f64 v[180:181], v[180:181], v[198:199], v[202:203]
	v_div_fixup_f64 v[182:183], v[180:181], v[182:183], 1.0
	v_mul_f64 v[180:181], v[196:197], v[182:183]
	v_xor_b32_e32 v183, 0x80000000, v183
.LBB88_301:
	s_andn2_saveexec_b64 s[16:17], s[16:17]
	s_cbranch_execz .LBB88_303
; %bb.302:
	v_div_scale_f64 v[196:197], s[18:19], v[180:181], v[180:181], v[182:183]
	v_rcp_f64_e32 v[198:199], v[196:197]
	v_div_scale_f64 v[200:201], vcc, v[182:183], v[180:181], v[182:183]
	v_fma_f64 v[202:203], -v[196:197], v[198:199], 1.0
	v_fmac_f64_e32 v[198:199], v[198:199], v[202:203]
	v_fma_f64 v[202:203], -v[196:197], v[198:199], 1.0
	v_fmac_f64_e32 v[198:199], v[198:199], v[202:203]
	v_mul_f64 v[202:203], v[200:201], v[198:199]
	v_fma_f64 v[196:197], -v[196:197], v[202:203], v[200:201]
	v_div_fmas_f64 v[196:197], v[196:197], v[198:199], v[202:203]
	v_div_fixup_f64 v[196:197], v[196:197], v[180:181], v[182:183]
	v_fmac_f64_e32 v[180:181], v[182:183], v[196:197]
	v_div_scale_f64 v[182:183], s[18:19], v[180:181], v[180:181], 1.0
	v_rcp_f64_e32 v[198:199], v[182:183]
	s_nop 0
	v_fma_f64 v[200:201], -v[182:183], v[198:199], 1.0
	v_fmac_f64_e32 v[198:199], v[198:199], v[200:201]
	v_fma_f64 v[200:201], -v[182:183], v[198:199], 1.0
	v_fmac_f64_e32 v[198:199], v[198:199], v[200:201]
	v_div_scale_f64 v[200:201], vcc, 1.0, v[180:181], 1.0
	v_mul_f64 v[202:203], v[200:201], v[198:199]
	v_fma_f64 v[182:183], -v[182:183], v[202:203], v[200:201]
	s_nop 1
	v_div_fmas_f64 v[182:183], v[182:183], v[198:199], v[202:203]
	v_div_fixup_f64 v[180:181], v[182:183], v[180:181], 1.0
	v_mul_f64 v[182:183], v[196:197], -v[180:181]
.LBB88_303:
	s_or_b64 exec, exec, s[16:17]
.LBB88_304:
	s_or_b64 exec, exec, s[0:1]
	v_cmp_ne_u32_e32 vcc, v193, v190
	s_and_saveexec_b64 s[0:1], vcc
	s_xor_b64 s[0:1], exec, s[0:1]
	s_cbranch_execz .LBB88_310
; %bb.305:
	v_cmp_eq_u32_e32 vcc, 14, v193
	s_and_saveexec_b64 s[16:17], vcc
	s_cbranch_execz .LBB88_309
; %bb.306:
	v_cmp_ne_u32_e32 vcc, 14, v190
	s_xor_b64 s[18:19], s[14:15], -1
	s_and_b64 s[22:23], s[18:19], vcc
	s_and_saveexec_b64 s[18:19], s[22:23]
	s_cbranch_execz .LBB88_308
; %bb.307:
	v_ashrrev_i32_e32 v191, 31, v190
	v_lshl_add_u64 v[196:197], v[190:191], 2, v[188:189]
	global_load_dword v191, v[196:197], off
	global_load_dword v193, v[188:189], off offset:56
	s_waitcnt vmcnt(1)
	global_store_dword v[188:189], v191, off offset:56
	s_waitcnt vmcnt(1)
	global_store_dword v[196:197], v193, off
.LBB88_308:
	s_or_b64 exec, exec, s[18:19]
	v_mov_b32_e32 v193, v190
	v_mov_b32_e32 v195, v190
.LBB88_309:
	s_or_b64 exec, exec, s[16:17]
.LBB88_310:
	s_andn2_saveexec_b64 s[0:1], s[0:1]
	s_cbranch_execz .LBB88_312
; %bb.311:
	v_mov_b32_e32 v193, 14
	s_waitcnt vmcnt(29)
	ds_write2_b64 v192, v[116:117], v[118:119] offset0:30 offset1:31
	s_waitcnt vmcnt(28)
	ds_write2_b64 v192, v[108:109], v[110:111] offset0:32 offset1:33
	;; [unrolled: 2-line block ×30, first 2 shown]
.LBB88_312:
	s_or_b64 exec, exec, s[0:1]
	v_cmp_lt_i32_e32 vcc, 14, v193
	s_waitcnt lgkmcnt(0)
	s_barrier
	s_and_saveexec_b64 s[0:1], vcc
	s_cbranch_execz .LBB88_314
; %bb.313:
	ds_read2_b64 v[196:199], v192 offset0:30 offset1:31
	v_mul_f64 v[190:191], v[182:183], v[126:127]
	v_mul_f64 v[126:127], v[180:181], v[126:127]
	v_fma_f64 v[190:191], v[180:181], v[124:125], -v[190:191]
	v_fmac_f64_e32 v[126:127], v[182:183], v[124:125]
	ds_read2_b64 v[180:183], v192 offset0:32 offset1:33
	s_waitcnt lgkmcnt(1)
	v_mul_f64 v[124:125], v[198:199], v[126:127]
	v_fma_f64 v[124:125], v[196:197], v[190:191], -v[124:125]
	v_mul_f64 v[196:197], v[196:197], v[126:127]
	v_fmac_f64_e32 v[196:197], v[198:199], v[190:191]
	s_waitcnt vmcnt(29)
	v_add_f64 v[116:117], v[116:117], -v[124:125]
	s_waitcnt lgkmcnt(0)
	v_mul_f64 v[124:125], v[182:183], v[126:127]
	v_add_f64 v[118:119], v[118:119], -v[196:197]
	v_fma_f64 v[124:125], v[180:181], v[190:191], -v[124:125]
	v_mul_f64 v[180:181], v[180:181], v[126:127]
	ds_read2_b64 v[196:199], v192 offset0:34 offset1:35
	v_fmac_f64_e32 v[180:181], v[182:183], v[190:191]
	s_waitcnt vmcnt(28)
	v_add_f64 v[110:111], v[110:111], -v[180:181]
	ds_read2_b64 v[180:183], v192 offset0:36 offset1:37
	v_add_f64 v[108:109], v[108:109], -v[124:125]
	s_waitcnt lgkmcnt(1)
	v_mul_f64 v[124:125], v[198:199], v[126:127]
	v_fma_f64 v[124:125], v[196:197], v[190:191], -v[124:125]
	v_mul_f64 v[196:197], v[196:197], v[126:127]
	v_fmac_f64_e32 v[196:197], v[198:199], v[190:191]
	s_waitcnt vmcnt(27)
	v_add_f64 v[104:105], v[104:105], -v[124:125]
	s_waitcnt lgkmcnt(0)
	v_mul_f64 v[124:125], v[182:183], v[126:127]
	v_add_f64 v[106:107], v[106:107], -v[196:197]
	v_fma_f64 v[124:125], v[180:181], v[190:191], -v[124:125]
	v_mul_f64 v[180:181], v[180:181], v[126:127]
	ds_read2_b64 v[196:199], v192 offset0:38 offset1:39
	v_fmac_f64_e32 v[180:181], v[182:183], v[190:191]
	s_waitcnt vmcnt(26)
	v_add_f64 v[102:103], v[102:103], -v[180:181]
	ds_read2_b64 v[180:183], v192 offset0:40 offset1:41
	v_add_f64 v[100:101], v[100:101], -v[124:125]
	;; [unrolled: 18-line block ×14, first 2 shown]
	s_waitcnt lgkmcnt(1)
	v_mul_f64 v[124:125], v[198:199], v[126:127]
	v_fma_f64 v[124:125], v[196:197], v[190:191], -v[124:125]
	s_waitcnt vmcnt(1)
	v_add_f64 v[0:1], v[0:1], -v[124:125]
	s_waitcnt lgkmcnt(0)
	v_mul_f64 v[124:125], v[182:183], v[126:127]
	v_mul_f64 v[196:197], v[196:197], v[126:127]
	v_fma_f64 v[124:125], v[180:181], v[190:191], -v[124:125]
	v_mul_f64 v[180:181], v[180:181], v[126:127]
	v_fmac_f64_e32 v[196:197], v[198:199], v[190:191]
	v_fmac_f64_e32 v[180:181], v[182:183], v[190:191]
	v_add_f64 v[2:3], v[2:3], -v[196:197]
	s_waitcnt vmcnt(0)
	v_add_f64 v[176:177], v[176:177], -v[124:125]
	v_add_f64 v[178:179], v[178:179], -v[180:181]
	v_mov_b64_e32 v[124:125], v[190:191]
.LBB88_314:
	s_or_b64 exec, exec, s[0:1]
	v_lshl_add_u32 v180, v193, 4, v192
	s_barrier
	s_waitcnt vmcnt(29)
	ds_write2_b64 v180, v[116:117], v[118:119] offset1:1
	s_waitcnt lgkmcnt(0)
	s_barrier
	ds_read2_b64 v[180:183], v192 offset0:30 offset1:31
	s_cmp_lt_i32 s20, 17
	v_mov_b32_e32 v190, 15
	s_cbranch_scc1 .LBB88_317
; %bb.315:
	v_add_u32_e32 v191, 0x100, v192
	s_mov_b32 s16, 16
	v_mov_b32_e32 v190, 15
.LBB88_316:                             ; =>This Inner Loop Header: Depth=1
	ds_read2_b64 v[196:199], v191 offset1:1
	s_waitcnt lgkmcnt(1)
	v_xor_b32_e32 v201, 0x80000000, v181
	v_xor_b32_e32 v203, 0x80000000, v183
	v_cmp_gt_f64_e32 vcc, 0, v[182:183]
	v_cmp_gt_f64_e64 s[0:1], 0, v[180:181]
	v_mov_b32_e32 v200, v180
	v_mov_b32_e32 v202, v182
	v_cndmask_b32_e64 v201, v181, v201, s[0:1]
	v_cndmask_b32_e32 v203, v183, v203, vcc
	v_add_f64 v[200:201], v[200:201], v[202:203]
	s_waitcnt lgkmcnt(0)
	v_xor_b32_e32 v203, 0x80000000, v197
	v_xor_b32_e32 v205, 0x80000000, v199
	v_cmp_gt_f64_e32 vcc, 0, v[198:199]
	v_cmp_gt_f64_e64 s[0:1], 0, v[196:197]
	v_mov_b32_e32 v202, v196
	v_mov_b32_e32 v204, v198
	v_cndmask_b32_e64 v203, v197, v203, s[0:1]
	v_cndmask_b32_e32 v205, v199, v205, vcc
	v_add_f64 v[202:203], v[202:203], v[204:205]
	v_mov_b32_e32 v206, s16
	s_add_i32 s16, s16, 1
	v_cmp_lt_f64_e32 vcc, v[200:201], v[202:203]
	v_add_u32_e32 v191, 16, v191
	s_cmp_lg_u32 s20, s16
	v_cndmask_b32_e32 v181, v181, v197, vcc
	v_cndmask_b32_e32 v180, v180, v196, vcc
	;; [unrolled: 1-line block ×5, first 2 shown]
	s_cbranch_scc1 .LBB88_316
.LBB88_317:
	s_waitcnt lgkmcnt(0)
	v_cmp_eq_f64_e32 vcc, 0, v[180:181]
	v_cmp_eq_f64_e64 s[0:1], 0, v[182:183]
	s_and_b64 s[0:1], vcc, s[0:1]
	s_and_saveexec_b64 s[16:17], s[0:1]
	s_xor_b64 s[0:1], exec, s[16:17]
; %bb.318:
	v_cmp_ne_u32_e32 vcc, 0, v194
	s_nop 1
	v_cndmask_b32_e32 v194, 16, v194, vcc
; %bb.319:
	s_andn2_saveexec_b64 s[0:1], s[0:1]
	s_cbranch_execz .LBB88_325
; %bb.320:
	v_cmp_ngt_f64_e64 s[16:17], |v[180:181]|, |v[182:183]|
	s_and_saveexec_b64 s[18:19], s[16:17]
	s_xor_b64 s[16:17], exec, s[18:19]
	s_cbranch_execz .LBB88_322
; %bb.321:
	v_div_scale_f64 v[196:197], s[18:19], v[182:183], v[182:183], v[180:181]
	v_rcp_f64_e32 v[198:199], v[196:197]
	v_div_scale_f64 v[200:201], vcc, v[180:181], v[182:183], v[180:181]
	v_fma_f64 v[202:203], -v[196:197], v[198:199], 1.0
	v_fmac_f64_e32 v[198:199], v[198:199], v[202:203]
	v_fma_f64 v[202:203], -v[196:197], v[198:199], 1.0
	v_fmac_f64_e32 v[198:199], v[198:199], v[202:203]
	v_mul_f64 v[202:203], v[200:201], v[198:199]
	v_fma_f64 v[196:197], -v[196:197], v[202:203], v[200:201]
	v_div_fmas_f64 v[196:197], v[196:197], v[198:199], v[202:203]
	v_div_fixup_f64 v[196:197], v[196:197], v[182:183], v[180:181]
	v_fmac_f64_e32 v[182:183], v[180:181], v[196:197]
	v_div_scale_f64 v[180:181], s[18:19], v[182:183], v[182:183], 1.0
	v_rcp_f64_e32 v[198:199], v[180:181]
	s_nop 0
	v_fma_f64 v[200:201], -v[180:181], v[198:199], 1.0
	v_fmac_f64_e32 v[198:199], v[198:199], v[200:201]
	v_fma_f64 v[200:201], -v[180:181], v[198:199], 1.0
	v_fmac_f64_e32 v[198:199], v[198:199], v[200:201]
	v_div_scale_f64 v[200:201], vcc, 1.0, v[182:183], 1.0
	v_mul_f64 v[202:203], v[200:201], v[198:199]
	v_fma_f64 v[180:181], -v[180:181], v[202:203], v[200:201]
	s_nop 1
	v_div_fmas_f64 v[180:181], v[180:181], v[198:199], v[202:203]
	v_div_fixup_f64 v[182:183], v[180:181], v[182:183], 1.0
	v_mul_f64 v[180:181], v[196:197], v[182:183]
	v_xor_b32_e32 v183, 0x80000000, v183
.LBB88_322:
	s_andn2_saveexec_b64 s[16:17], s[16:17]
	s_cbranch_execz .LBB88_324
; %bb.323:
	v_div_scale_f64 v[196:197], s[18:19], v[180:181], v[180:181], v[182:183]
	v_rcp_f64_e32 v[198:199], v[196:197]
	v_div_scale_f64 v[200:201], vcc, v[182:183], v[180:181], v[182:183]
	v_fma_f64 v[202:203], -v[196:197], v[198:199], 1.0
	v_fmac_f64_e32 v[198:199], v[198:199], v[202:203]
	v_fma_f64 v[202:203], -v[196:197], v[198:199], 1.0
	v_fmac_f64_e32 v[198:199], v[198:199], v[202:203]
	v_mul_f64 v[202:203], v[200:201], v[198:199]
	v_fma_f64 v[196:197], -v[196:197], v[202:203], v[200:201]
	v_div_fmas_f64 v[196:197], v[196:197], v[198:199], v[202:203]
	v_div_fixup_f64 v[196:197], v[196:197], v[180:181], v[182:183]
	v_fmac_f64_e32 v[180:181], v[182:183], v[196:197]
	v_div_scale_f64 v[182:183], s[18:19], v[180:181], v[180:181], 1.0
	v_rcp_f64_e32 v[198:199], v[182:183]
	s_nop 0
	v_fma_f64 v[200:201], -v[182:183], v[198:199], 1.0
	v_fmac_f64_e32 v[198:199], v[198:199], v[200:201]
	v_fma_f64 v[200:201], -v[182:183], v[198:199], 1.0
	v_fmac_f64_e32 v[198:199], v[198:199], v[200:201]
	v_div_scale_f64 v[200:201], vcc, 1.0, v[180:181], 1.0
	v_mul_f64 v[202:203], v[200:201], v[198:199]
	v_fma_f64 v[182:183], -v[182:183], v[202:203], v[200:201]
	s_nop 1
	v_div_fmas_f64 v[182:183], v[182:183], v[198:199], v[202:203]
	v_div_fixup_f64 v[180:181], v[182:183], v[180:181], 1.0
	v_mul_f64 v[182:183], v[196:197], -v[180:181]
.LBB88_324:
	s_or_b64 exec, exec, s[16:17]
.LBB88_325:
	s_or_b64 exec, exec, s[0:1]
	v_cmp_ne_u32_e32 vcc, v193, v190
	s_and_saveexec_b64 s[0:1], vcc
	s_xor_b64 s[0:1], exec, s[0:1]
	s_cbranch_execz .LBB88_331
; %bb.326:
	v_cmp_eq_u32_e32 vcc, 15, v193
	s_and_saveexec_b64 s[16:17], vcc
	s_cbranch_execz .LBB88_330
; %bb.327:
	v_cmp_ne_u32_e32 vcc, 15, v190
	s_xor_b64 s[18:19], s[14:15], -1
	s_and_b64 s[22:23], s[18:19], vcc
	s_and_saveexec_b64 s[18:19], s[22:23]
	s_cbranch_execz .LBB88_329
; %bb.328:
	v_ashrrev_i32_e32 v191, 31, v190
	v_lshl_add_u64 v[196:197], v[190:191], 2, v[188:189]
	global_load_dword v191, v[196:197], off
	global_load_dword v193, v[188:189], off offset:60
	s_waitcnt vmcnt(1)
	global_store_dword v[188:189], v191, off offset:60
	s_waitcnt vmcnt(1)
	global_store_dword v[196:197], v193, off
.LBB88_329:
	s_or_b64 exec, exec, s[18:19]
	v_mov_b32_e32 v193, v190
	v_mov_b32_e32 v195, v190
.LBB88_330:
	s_or_b64 exec, exec, s[16:17]
.LBB88_331:
	s_andn2_saveexec_b64 s[0:1], s[0:1]
	s_cbranch_execz .LBB88_333
; %bb.332:
	v_mov_b32_e32 v193, 15
	s_waitcnt vmcnt(28)
	ds_write2_b64 v192, v[108:109], v[110:111] offset0:32 offset1:33
	s_waitcnt vmcnt(27)
	ds_write2_b64 v192, v[104:105], v[106:107] offset0:34 offset1:35
	;; [unrolled: 2-line block ×29, first 2 shown]
.LBB88_333:
	s_or_b64 exec, exec, s[0:1]
	v_cmp_lt_i32_e32 vcc, 15, v193
	s_waitcnt lgkmcnt(0)
	s_barrier
	s_and_saveexec_b64 s[0:1], vcc
	s_cbranch_execz .LBB88_335
; %bb.334:
	ds_read2_b64 v[196:199], v192 offset0:32 offset1:33
	v_mul_f64 v[190:191], v[182:183], v[118:119]
	v_mul_f64 v[118:119], v[180:181], v[118:119]
	v_fmac_f64_e32 v[118:119], v[182:183], v[116:117]
	v_fma_f64 v[190:191], v[180:181], v[116:117], -v[190:191]
	ds_read2_b64 v[180:183], v192 offset0:34 offset1:35
	s_waitcnt lgkmcnt(1)
	v_mul_f64 v[116:117], v[198:199], v[118:119]
	v_fma_f64 v[116:117], v[196:197], v[190:191], -v[116:117]
	v_mul_f64 v[196:197], v[196:197], v[118:119]
	v_fmac_f64_e32 v[196:197], v[198:199], v[190:191]
	s_waitcnt vmcnt(28)
	v_add_f64 v[110:111], v[110:111], -v[196:197]
	ds_read2_b64 v[196:199], v192 offset0:36 offset1:37
	v_add_f64 v[108:109], v[108:109], -v[116:117]
	s_waitcnt lgkmcnt(1)
	v_mul_f64 v[116:117], v[182:183], v[118:119]
	v_fma_f64 v[116:117], v[180:181], v[190:191], -v[116:117]
	v_mul_f64 v[180:181], v[180:181], v[118:119]
	v_fmac_f64_e32 v[180:181], v[182:183], v[190:191]
	s_waitcnt vmcnt(27)
	v_add_f64 v[104:105], v[104:105], -v[116:117]
	v_add_f64 v[106:107], v[106:107], -v[180:181]
	ds_read2_b64 v[180:183], v192 offset0:38 offset1:39
	s_waitcnt lgkmcnt(1)
	v_mul_f64 v[116:117], v[198:199], v[118:119]
	v_fma_f64 v[116:117], v[196:197], v[190:191], -v[116:117]
	v_mul_f64 v[196:197], v[196:197], v[118:119]
	v_fmac_f64_e32 v[196:197], v[198:199], v[190:191]
	s_waitcnt vmcnt(26)
	v_add_f64 v[102:103], v[102:103], -v[196:197]
	ds_read2_b64 v[196:199], v192 offset0:40 offset1:41
	v_add_f64 v[100:101], v[100:101], -v[116:117]
	s_waitcnt lgkmcnt(1)
	v_mul_f64 v[116:117], v[182:183], v[118:119]
	v_fma_f64 v[116:117], v[180:181], v[190:191], -v[116:117]
	v_mul_f64 v[180:181], v[180:181], v[118:119]
	v_fmac_f64_e32 v[180:181], v[182:183], v[190:191]
	s_waitcnt vmcnt(25)
	v_add_f64 v[96:97], v[96:97], -v[116:117]
	v_add_f64 v[98:99], v[98:99], -v[180:181]
	;; [unrolled: 18-line block ×14, first 2 shown]
	s_waitcnt lgkmcnt(0)
	v_mul_f64 v[116:117], v[198:199], v[118:119]
	v_mul_f64 v[180:181], v[196:197], v[118:119]
	v_fma_f64 v[116:117], v[196:197], v[190:191], -v[116:117]
	v_fmac_f64_e32 v[180:181], v[198:199], v[190:191]
	s_waitcnt vmcnt(0)
	v_add_f64 v[176:177], v[176:177], -v[116:117]
	v_add_f64 v[178:179], v[178:179], -v[180:181]
	v_mov_b64_e32 v[116:117], v[190:191]
.LBB88_335:
	s_or_b64 exec, exec, s[0:1]
	v_lshl_add_u32 v180, v193, 4, v192
	s_barrier
	s_waitcnt vmcnt(28)
	ds_write2_b64 v180, v[108:109], v[110:111] offset1:1
	s_waitcnt lgkmcnt(0)
	s_barrier
	ds_read2_b64 v[180:183], v192 offset0:32 offset1:33
	s_cmp_lt_i32 s20, 18
	v_mov_b32_e32 v190, 16
	s_cbranch_scc1 .LBB88_338
; %bb.336:
	v_add_u32_e32 v191, 0x110, v192
	s_mov_b32 s16, 17
	v_mov_b32_e32 v190, 16
.LBB88_337:                             ; =>This Inner Loop Header: Depth=1
	ds_read2_b64 v[196:199], v191 offset1:1
	s_waitcnt lgkmcnt(1)
	v_xor_b32_e32 v201, 0x80000000, v181
	v_xor_b32_e32 v203, 0x80000000, v183
	v_cmp_gt_f64_e32 vcc, 0, v[182:183]
	v_cmp_gt_f64_e64 s[0:1], 0, v[180:181]
	v_mov_b32_e32 v200, v180
	v_mov_b32_e32 v202, v182
	v_cndmask_b32_e64 v201, v181, v201, s[0:1]
	v_cndmask_b32_e32 v203, v183, v203, vcc
	v_add_f64 v[200:201], v[200:201], v[202:203]
	s_waitcnt lgkmcnt(0)
	v_xor_b32_e32 v203, 0x80000000, v197
	v_xor_b32_e32 v205, 0x80000000, v199
	v_cmp_gt_f64_e32 vcc, 0, v[198:199]
	v_cmp_gt_f64_e64 s[0:1], 0, v[196:197]
	v_mov_b32_e32 v202, v196
	v_mov_b32_e32 v204, v198
	v_cndmask_b32_e64 v203, v197, v203, s[0:1]
	v_cndmask_b32_e32 v205, v199, v205, vcc
	v_add_f64 v[202:203], v[202:203], v[204:205]
	v_mov_b32_e32 v206, s16
	s_add_i32 s16, s16, 1
	v_cmp_lt_f64_e32 vcc, v[200:201], v[202:203]
	v_add_u32_e32 v191, 16, v191
	s_cmp_lg_u32 s20, s16
	v_cndmask_b32_e32 v181, v181, v197, vcc
	v_cndmask_b32_e32 v180, v180, v196, vcc
	;; [unrolled: 1-line block ×5, first 2 shown]
	s_cbranch_scc1 .LBB88_337
.LBB88_338:
	s_waitcnt lgkmcnt(0)
	v_cmp_eq_f64_e32 vcc, 0, v[180:181]
	v_cmp_eq_f64_e64 s[0:1], 0, v[182:183]
	s_and_b64 s[0:1], vcc, s[0:1]
	s_and_saveexec_b64 s[16:17], s[0:1]
	s_xor_b64 s[0:1], exec, s[16:17]
; %bb.339:
	v_cmp_ne_u32_e32 vcc, 0, v194
	s_nop 1
	v_cndmask_b32_e32 v194, 17, v194, vcc
; %bb.340:
	s_andn2_saveexec_b64 s[0:1], s[0:1]
	s_cbranch_execz .LBB88_346
; %bb.341:
	v_cmp_ngt_f64_e64 s[16:17], |v[180:181]|, |v[182:183]|
	s_and_saveexec_b64 s[18:19], s[16:17]
	s_xor_b64 s[16:17], exec, s[18:19]
	s_cbranch_execz .LBB88_343
; %bb.342:
	v_div_scale_f64 v[196:197], s[18:19], v[182:183], v[182:183], v[180:181]
	v_rcp_f64_e32 v[198:199], v[196:197]
	v_div_scale_f64 v[200:201], vcc, v[180:181], v[182:183], v[180:181]
	v_fma_f64 v[202:203], -v[196:197], v[198:199], 1.0
	v_fmac_f64_e32 v[198:199], v[198:199], v[202:203]
	v_fma_f64 v[202:203], -v[196:197], v[198:199], 1.0
	v_fmac_f64_e32 v[198:199], v[198:199], v[202:203]
	v_mul_f64 v[202:203], v[200:201], v[198:199]
	v_fma_f64 v[196:197], -v[196:197], v[202:203], v[200:201]
	v_div_fmas_f64 v[196:197], v[196:197], v[198:199], v[202:203]
	v_div_fixup_f64 v[196:197], v[196:197], v[182:183], v[180:181]
	v_fmac_f64_e32 v[182:183], v[180:181], v[196:197]
	v_div_scale_f64 v[180:181], s[18:19], v[182:183], v[182:183], 1.0
	v_rcp_f64_e32 v[198:199], v[180:181]
	s_nop 0
	v_fma_f64 v[200:201], -v[180:181], v[198:199], 1.0
	v_fmac_f64_e32 v[198:199], v[198:199], v[200:201]
	v_fma_f64 v[200:201], -v[180:181], v[198:199], 1.0
	v_fmac_f64_e32 v[198:199], v[198:199], v[200:201]
	v_div_scale_f64 v[200:201], vcc, 1.0, v[182:183], 1.0
	v_mul_f64 v[202:203], v[200:201], v[198:199]
	v_fma_f64 v[180:181], -v[180:181], v[202:203], v[200:201]
	s_nop 1
	v_div_fmas_f64 v[180:181], v[180:181], v[198:199], v[202:203]
	v_div_fixup_f64 v[182:183], v[180:181], v[182:183], 1.0
	v_mul_f64 v[180:181], v[196:197], v[182:183]
	v_xor_b32_e32 v183, 0x80000000, v183
.LBB88_343:
	s_andn2_saveexec_b64 s[16:17], s[16:17]
	s_cbranch_execz .LBB88_345
; %bb.344:
	v_div_scale_f64 v[196:197], s[18:19], v[180:181], v[180:181], v[182:183]
	v_rcp_f64_e32 v[198:199], v[196:197]
	v_div_scale_f64 v[200:201], vcc, v[182:183], v[180:181], v[182:183]
	v_fma_f64 v[202:203], -v[196:197], v[198:199], 1.0
	v_fmac_f64_e32 v[198:199], v[198:199], v[202:203]
	v_fma_f64 v[202:203], -v[196:197], v[198:199], 1.0
	v_fmac_f64_e32 v[198:199], v[198:199], v[202:203]
	v_mul_f64 v[202:203], v[200:201], v[198:199]
	v_fma_f64 v[196:197], -v[196:197], v[202:203], v[200:201]
	v_div_fmas_f64 v[196:197], v[196:197], v[198:199], v[202:203]
	v_div_fixup_f64 v[196:197], v[196:197], v[180:181], v[182:183]
	v_fmac_f64_e32 v[180:181], v[182:183], v[196:197]
	v_div_scale_f64 v[182:183], s[18:19], v[180:181], v[180:181], 1.0
	v_rcp_f64_e32 v[198:199], v[182:183]
	s_nop 0
	v_fma_f64 v[200:201], -v[182:183], v[198:199], 1.0
	v_fmac_f64_e32 v[198:199], v[198:199], v[200:201]
	v_fma_f64 v[200:201], -v[182:183], v[198:199], 1.0
	v_fmac_f64_e32 v[198:199], v[198:199], v[200:201]
	v_div_scale_f64 v[200:201], vcc, 1.0, v[180:181], 1.0
	v_mul_f64 v[202:203], v[200:201], v[198:199]
	v_fma_f64 v[182:183], -v[182:183], v[202:203], v[200:201]
	s_nop 1
	v_div_fmas_f64 v[182:183], v[182:183], v[198:199], v[202:203]
	v_div_fixup_f64 v[180:181], v[182:183], v[180:181], 1.0
	v_mul_f64 v[182:183], v[196:197], -v[180:181]
.LBB88_345:
	s_or_b64 exec, exec, s[16:17]
.LBB88_346:
	s_or_b64 exec, exec, s[0:1]
	v_cmp_ne_u32_e32 vcc, v193, v190
	s_and_saveexec_b64 s[0:1], vcc
	s_xor_b64 s[0:1], exec, s[0:1]
	s_cbranch_execz .LBB88_352
; %bb.347:
	v_cmp_eq_u32_e32 vcc, 16, v193
	s_and_saveexec_b64 s[16:17], vcc
	s_cbranch_execz .LBB88_351
; %bb.348:
	v_cmp_ne_u32_e32 vcc, 16, v190
	s_xor_b64 s[18:19], s[14:15], -1
	s_and_b64 s[22:23], s[18:19], vcc
	s_and_saveexec_b64 s[18:19], s[22:23]
	s_cbranch_execz .LBB88_350
; %bb.349:
	v_ashrrev_i32_e32 v191, 31, v190
	v_lshl_add_u64 v[196:197], v[190:191], 2, v[188:189]
	global_load_dword v191, v[196:197], off
	global_load_dword v193, v[188:189], off offset:64
	s_waitcnt vmcnt(1)
	global_store_dword v[188:189], v191, off offset:64
	s_waitcnt vmcnt(1)
	global_store_dword v[196:197], v193, off
.LBB88_350:
	s_or_b64 exec, exec, s[18:19]
	v_mov_b32_e32 v193, v190
	v_mov_b32_e32 v195, v190
.LBB88_351:
	s_or_b64 exec, exec, s[16:17]
.LBB88_352:
	s_andn2_saveexec_b64 s[0:1], s[0:1]
	s_cbranch_execz .LBB88_354
; %bb.353:
	v_mov_b32_e32 v193, 16
	s_waitcnt vmcnt(27)
	ds_write2_b64 v192, v[104:105], v[106:107] offset0:34 offset1:35
	s_waitcnt vmcnt(26)
	ds_write2_b64 v192, v[100:101], v[102:103] offset0:36 offset1:37
	;; [unrolled: 2-line block ×28, first 2 shown]
.LBB88_354:
	s_or_b64 exec, exec, s[0:1]
	v_cmp_lt_i32_e32 vcc, 16, v193
	s_waitcnt lgkmcnt(0)
	s_barrier
	s_and_saveexec_b64 s[0:1], vcc
	s_cbranch_execz .LBB88_356
; %bb.355:
	ds_read2_b64 v[196:199], v192 offset0:34 offset1:35
	v_mul_f64 v[190:191], v[182:183], v[110:111]
	v_mul_f64 v[110:111], v[180:181], v[110:111]
	v_fma_f64 v[190:191], v[180:181], v[108:109], -v[190:191]
	v_fmac_f64_e32 v[110:111], v[182:183], v[108:109]
	ds_read2_b64 v[180:183], v192 offset0:36 offset1:37
	s_waitcnt lgkmcnt(1)
	v_mul_f64 v[108:109], v[198:199], v[110:111]
	v_fma_f64 v[108:109], v[196:197], v[190:191], -v[108:109]
	v_mul_f64 v[196:197], v[196:197], v[110:111]
	v_fmac_f64_e32 v[196:197], v[198:199], v[190:191]
	s_waitcnt vmcnt(27)
	v_add_f64 v[104:105], v[104:105], -v[108:109]
	s_waitcnt lgkmcnt(0)
	v_mul_f64 v[108:109], v[182:183], v[110:111]
	v_add_f64 v[106:107], v[106:107], -v[196:197]
	v_fma_f64 v[108:109], v[180:181], v[190:191], -v[108:109]
	v_mul_f64 v[180:181], v[180:181], v[110:111]
	ds_read2_b64 v[196:199], v192 offset0:38 offset1:39
	v_fmac_f64_e32 v[180:181], v[182:183], v[190:191]
	s_waitcnt vmcnt(26)
	v_add_f64 v[102:103], v[102:103], -v[180:181]
	ds_read2_b64 v[180:183], v192 offset0:40 offset1:41
	v_add_f64 v[100:101], v[100:101], -v[108:109]
	s_waitcnt lgkmcnt(1)
	v_mul_f64 v[108:109], v[198:199], v[110:111]
	v_fma_f64 v[108:109], v[196:197], v[190:191], -v[108:109]
	v_mul_f64 v[196:197], v[196:197], v[110:111]
	v_fmac_f64_e32 v[196:197], v[198:199], v[190:191]
	s_waitcnt vmcnt(25)
	v_add_f64 v[96:97], v[96:97], -v[108:109]
	s_waitcnt lgkmcnt(0)
	v_mul_f64 v[108:109], v[182:183], v[110:111]
	v_add_f64 v[98:99], v[98:99], -v[196:197]
	v_fma_f64 v[108:109], v[180:181], v[190:191], -v[108:109]
	v_mul_f64 v[180:181], v[180:181], v[110:111]
	ds_read2_b64 v[196:199], v192 offset0:42 offset1:43
	v_fmac_f64_e32 v[180:181], v[182:183], v[190:191]
	s_waitcnt vmcnt(24)
	v_add_f64 v[94:95], v[94:95], -v[180:181]
	ds_read2_b64 v[180:183], v192 offset0:44 offset1:45
	v_add_f64 v[92:93], v[92:93], -v[108:109]
	;; [unrolled: 18-line block ×13, first 2 shown]
	s_waitcnt lgkmcnt(1)
	v_mul_f64 v[108:109], v[198:199], v[110:111]
	v_fma_f64 v[108:109], v[196:197], v[190:191], -v[108:109]
	s_waitcnt vmcnt(1)
	v_add_f64 v[0:1], v[0:1], -v[108:109]
	s_waitcnt lgkmcnt(0)
	v_mul_f64 v[108:109], v[182:183], v[110:111]
	v_mul_f64 v[196:197], v[196:197], v[110:111]
	v_fma_f64 v[108:109], v[180:181], v[190:191], -v[108:109]
	v_mul_f64 v[180:181], v[180:181], v[110:111]
	v_fmac_f64_e32 v[196:197], v[198:199], v[190:191]
	v_fmac_f64_e32 v[180:181], v[182:183], v[190:191]
	v_add_f64 v[2:3], v[2:3], -v[196:197]
	s_waitcnt vmcnt(0)
	v_add_f64 v[176:177], v[176:177], -v[108:109]
	v_add_f64 v[178:179], v[178:179], -v[180:181]
	v_mov_b64_e32 v[108:109], v[190:191]
.LBB88_356:
	s_or_b64 exec, exec, s[0:1]
	v_lshl_add_u32 v180, v193, 4, v192
	s_barrier
	s_waitcnt vmcnt(27)
	ds_write2_b64 v180, v[104:105], v[106:107] offset1:1
	s_waitcnt lgkmcnt(0)
	s_barrier
	ds_read2_b64 v[180:183], v192 offset0:34 offset1:35
	s_cmp_lt_i32 s20, 19
	v_mov_b32_e32 v190, 17
	s_cbranch_scc1 .LBB88_359
; %bb.357:
	v_add_u32_e32 v191, 0x120, v192
	s_mov_b32 s16, 18
	v_mov_b32_e32 v190, 17
.LBB88_358:                             ; =>This Inner Loop Header: Depth=1
	ds_read2_b64 v[196:199], v191 offset1:1
	s_waitcnt lgkmcnt(1)
	v_xor_b32_e32 v201, 0x80000000, v181
	v_xor_b32_e32 v203, 0x80000000, v183
	v_cmp_gt_f64_e32 vcc, 0, v[182:183]
	v_cmp_gt_f64_e64 s[0:1], 0, v[180:181]
	v_mov_b32_e32 v200, v180
	v_mov_b32_e32 v202, v182
	v_cndmask_b32_e64 v201, v181, v201, s[0:1]
	v_cndmask_b32_e32 v203, v183, v203, vcc
	v_add_f64 v[200:201], v[200:201], v[202:203]
	s_waitcnt lgkmcnt(0)
	v_xor_b32_e32 v203, 0x80000000, v197
	v_xor_b32_e32 v205, 0x80000000, v199
	v_cmp_gt_f64_e32 vcc, 0, v[198:199]
	v_cmp_gt_f64_e64 s[0:1], 0, v[196:197]
	v_mov_b32_e32 v202, v196
	v_mov_b32_e32 v204, v198
	v_cndmask_b32_e64 v203, v197, v203, s[0:1]
	v_cndmask_b32_e32 v205, v199, v205, vcc
	v_add_f64 v[202:203], v[202:203], v[204:205]
	v_mov_b32_e32 v206, s16
	s_add_i32 s16, s16, 1
	v_cmp_lt_f64_e32 vcc, v[200:201], v[202:203]
	v_add_u32_e32 v191, 16, v191
	s_cmp_lg_u32 s20, s16
	v_cndmask_b32_e32 v181, v181, v197, vcc
	v_cndmask_b32_e32 v180, v180, v196, vcc
	;; [unrolled: 1-line block ×5, first 2 shown]
	s_cbranch_scc1 .LBB88_358
.LBB88_359:
	s_waitcnt lgkmcnt(0)
	v_cmp_eq_f64_e32 vcc, 0, v[180:181]
	v_cmp_eq_f64_e64 s[0:1], 0, v[182:183]
	s_and_b64 s[0:1], vcc, s[0:1]
	s_and_saveexec_b64 s[16:17], s[0:1]
	s_xor_b64 s[0:1], exec, s[16:17]
; %bb.360:
	v_cmp_ne_u32_e32 vcc, 0, v194
	s_nop 1
	v_cndmask_b32_e32 v194, 18, v194, vcc
; %bb.361:
	s_andn2_saveexec_b64 s[0:1], s[0:1]
	s_cbranch_execz .LBB88_367
; %bb.362:
	v_cmp_ngt_f64_e64 s[16:17], |v[180:181]|, |v[182:183]|
	s_and_saveexec_b64 s[18:19], s[16:17]
	s_xor_b64 s[16:17], exec, s[18:19]
	s_cbranch_execz .LBB88_364
; %bb.363:
	v_div_scale_f64 v[196:197], s[18:19], v[182:183], v[182:183], v[180:181]
	v_rcp_f64_e32 v[198:199], v[196:197]
	v_div_scale_f64 v[200:201], vcc, v[180:181], v[182:183], v[180:181]
	v_fma_f64 v[202:203], -v[196:197], v[198:199], 1.0
	v_fmac_f64_e32 v[198:199], v[198:199], v[202:203]
	v_fma_f64 v[202:203], -v[196:197], v[198:199], 1.0
	v_fmac_f64_e32 v[198:199], v[198:199], v[202:203]
	v_mul_f64 v[202:203], v[200:201], v[198:199]
	v_fma_f64 v[196:197], -v[196:197], v[202:203], v[200:201]
	v_div_fmas_f64 v[196:197], v[196:197], v[198:199], v[202:203]
	v_div_fixup_f64 v[196:197], v[196:197], v[182:183], v[180:181]
	v_fmac_f64_e32 v[182:183], v[180:181], v[196:197]
	v_div_scale_f64 v[180:181], s[18:19], v[182:183], v[182:183], 1.0
	v_rcp_f64_e32 v[198:199], v[180:181]
	s_nop 0
	v_fma_f64 v[200:201], -v[180:181], v[198:199], 1.0
	v_fmac_f64_e32 v[198:199], v[198:199], v[200:201]
	v_fma_f64 v[200:201], -v[180:181], v[198:199], 1.0
	v_fmac_f64_e32 v[198:199], v[198:199], v[200:201]
	v_div_scale_f64 v[200:201], vcc, 1.0, v[182:183], 1.0
	v_mul_f64 v[202:203], v[200:201], v[198:199]
	v_fma_f64 v[180:181], -v[180:181], v[202:203], v[200:201]
	s_nop 1
	v_div_fmas_f64 v[180:181], v[180:181], v[198:199], v[202:203]
	v_div_fixup_f64 v[182:183], v[180:181], v[182:183], 1.0
	v_mul_f64 v[180:181], v[196:197], v[182:183]
	v_xor_b32_e32 v183, 0x80000000, v183
.LBB88_364:
	s_andn2_saveexec_b64 s[16:17], s[16:17]
	s_cbranch_execz .LBB88_366
; %bb.365:
	v_div_scale_f64 v[196:197], s[18:19], v[180:181], v[180:181], v[182:183]
	v_rcp_f64_e32 v[198:199], v[196:197]
	v_div_scale_f64 v[200:201], vcc, v[182:183], v[180:181], v[182:183]
	v_fma_f64 v[202:203], -v[196:197], v[198:199], 1.0
	v_fmac_f64_e32 v[198:199], v[198:199], v[202:203]
	v_fma_f64 v[202:203], -v[196:197], v[198:199], 1.0
	v_fmac_f64_e32 v[198:199], v[198:199], v[202:203]
	v_mul_f64 v[202:203], v[200:201], v[198:199]
	v_fma_f64 v[196:197], -v[196:197], v[202:203], v[200:201]
	v_div_fmas_f64 v[196:197], v[196:197], v[198:199], v[202:203]
	v_div_fixup_f64 v[196:197], v[196:197], v[180:181], v[182:183]
	v_fmac_f64_e32 v[180:181], v[182:183], v[196:197]
	v_div_scale_f64 v[182:183], s[18:19], v[180:181], v[180:181], 1.0
	v_rcp_f64_e32 v[198:199], v[182:183]
	s_nop 0
	v_fma_f64 v[200:201], -v[182:183], v[198:199], 1.0
	v_fmac_f64_e32 v[198:199], v[198:199], v[200:201]
	v_fma_f64 v[200:201], -v[182:183], v[198:199], 1.0
	v_fmac_f64_e32 v[198:199], v[198:199], v[200:201]
	v_div_scale_f64 v[200:201], vcc, 1.0, v[180:181], 1.0
	v_mul_f64 v[202:203], v[200:201], v[198:199]
	v_fma_f64 v[182:183], -v[182:183], v[202:203], v[200:201]
	s_nop 1
	v_div_fmas_f64 v[182:183], v[182:183], v[198:199], v[202:203]
	v_div_fixup_f64 v[180:181], v[182:183], v[180:181], 1.0
	v_mul_f64 v[182:183], v[196:197], -v[180:181]
.LBB88_366:
	s_or_b64 exec, exec, s[16:17]
.LBB88_367:
	s_or_b64 exec, exec, s[0:1]
	v_cmp_ne_u32_e32 vcc, v193, v190
	s_and_saveexec_b64 s[0:1], vcc
	s_xor_b64 s[0:1], exec, s[0:1]
	s_cbranch_execz .LBB88_373
; %bb.368:
	v_cmp_eq_u32_e32 vcc, 17, v193
	s_and_saveexec_b64 s[16:17], vcc
	s_cbranch_execz .LBB88_372
; %bb.369:
	v_cmp_ne_u32_e32 vcc, 17, v190
	s_xor_b64 s[18:19], s[14:15], -1
	s_and_b64 s[22:23], s[18:19], vcc
	s_and_saveexec_b64 s[18:19], s[22:23]
	s_cbranch_execz .LBB88_371
; %bb.370:
	v_ashrrev_i32_e32 v191, 31, v190
	v_lshl_add_u64 v[196:197], v[190:191], 2, v[188:189]
	global_load_dword v191, v[196:197], off
	global_load_dword v193, v[188:189], off offset:68
	s_waitcnt vmcnt(1)
	global_store_dword v[188:189], v191, off offset:68
	s_waitcnt vmcnt(1)
	global_store_dword v[196:197], v193, off
.LBB88_371:
	s_or_b64 exec, exec, s[18:19]
	v_mov_b32_e32 v193, v190
	v_mov_b32_e32 v195, v190
.LBB88_372:
	s_or_b64 exec, exec, s[16:17]
.LBB88_373:
	s_andn2_saveexec_b64 s[0:1], s[0:1]
	s_cbranch_execz .LBB88_375
; %bb.374:
	v_mov_b32_e32 v193, 17
	s_waitcnt vmcnt(26)
	ds_write2_b64 v192, v[100:101], v[102:103] offset0:36 offset1:37
	s_waitcnt vmcnt(25)
	ds_write2_b64 v192, v[96:97], v[98:99] offset0:38 offset1:39
	;; [unrolled: 2-line block ×27, first 2 shown]
.LBB88_375:
	s_or_b64 exec, exec, s[0:1]
	v_cmp_lt_i32_e32 vcc, 17, v193
	s_waitcnt lgkmcnt(0)
	s_barrier
	s_and_saveexec_b64 s[0:1], vcc
	s_cbranch_execz .LBB88_377
; %bb.376:
	ds_read2_b64 v[196:199], v192 offset0:36 offset1:37
	v_mul_f64 v[190:191], v[182:183], v[106:107]
	v_mul_f64 v[106:107], v[180:181], v[106:107]
	v_fmac_f64_e32 v[106:107], v[182:183], v[104:105]
	v_fma_f64 v[190:191], v[180:181], v[104:105], -v[190:191]
	ds_read2_b64 v[180:183], v192 offset0:38 offset1:39
	s_waitcnt lgkmcnt(1)
	v_mul_f64 v[104:105], v[198:199], v[106:107]
	v_fma_f64 v[104:105], v[196:197], v[190:191], -v[104:105]
	v_mul_f64 v[196:197], v[196:197], v[106:107]
	v_fmac_f64_e32 v[196:197], v[198:199], v[190:191]
	s_waitcnt vmcnt(26)
	v_add_f64 v[102:103], v[102:103], -v[196:197]
	ds_read2_b64 v[196:199], v192 offset0:40 offset1:41
	v_add_f64 v[100:101], v[100:101], -v[104:105]
	s_waitcnt lgkmcnt(1)
	v_mul_f64 v[104:105], v[182:183], v[106:107]
	v_fma_f64 v[104:105], v[180:181], v[190:191], -v[104:105]
	v_mul_f64 v[180:181], v[180:181], v[106:107]
	v_fmac_f64_e32 v[180:181], v[182:183], v[190:191]
	s_waitcnt vmcnt(25)
	v_add_f64 v[96:97], v[96:97], -v[104:105]
	v_add_f64 v[98:99], v[98:99], -v[180:181]
	ds_read2_b64 v[180:183], v192 offset0:42 offset1:43
	s_waitcnt lgkmcnt(1)
	v_mul_f64 v[104:105], v[198:199], v[106:107]
	v_fma_f64 v[104:105], v[196:197], v[190:191], -v[104:105]
	v_mul_f64 v[196:197], v[196:197], v[106:107]
	v_fmac_f64_e32 v[196:197], v[198:199], v[190:191]
	s_waitcnt vmcnt(24)
	v_add_f64 v[94:95], v[94:95], -v[196:197]
	ds_read2_b64 v[196:199], v192 offset0:44 offset1:45
	v_add_f64 v[92:93], v[92:93], -v[104:105]
	s_waitcnt lgkmcnt(1)
	v_mul_f64 v[104:105], v[182:183], v[106:107]
	v_fma_f64 v[104:105], v[180:181], v[190:191], -v[104:105]
	v_mul_f64 v[180:181], v[180:181], v[106:107]
	v_fmac_f64_e32 v[180:181], v[182:183], v[190:191]
	s_waitcnt vmcnt(23)
	v_add_f64 v[88:89], v[88:89], -v[104:105]
	v_add_f64 v[90:91], v[90:91], -v[180:181]
	ds_read2_b64 v[180:183], v192 offset0:46 offset1:47
	s_waitcnt lgkmcnt(1)
	v_mul_f64 v[104:105], v[198:199], v[106:107]
	v_fma_f64 v[104:105], v[196:197], v[190:191], -v[104:105]
	v_mul_f64 v[196:197], v[196:197], v[106:107]
	v_fmac_f64_e32 v[196:197], v[198:199], v[190:191]
	s_waitcnt vmcnt(22)
	v_add_f64 v[86:87], v[86:87], -v[196:197]
	ds_read2_b64 v[196:199], v192 offset0:48 offset1:49
	v_add_f64 v[84:85], v[84:85], -v[104:105]
	s_waitcnt lgkmcnt(1)
	v_mul_f64 v[104:105], v[182:183], v[106:107]
	v_fma_f64 v[104:105], v[180:181], v[190:191], -v[104:105]
	v_mul_f64 v[180:181], v[180:181], v[106:107]
	v_fmac_f64_e32 v[180:181], v[182:183], v[190:191]
	s_waitcnt vmcnt(21)
	v_add_f64 v[80:81], v[80:81], -v[104:105]
	v_add_f64 v[82:83], v[82:83], -v[180:181]
	ds_read2_b64 v[180:183], v192 offset0:50 offset1:51
	s_waitcnt lgkmcnt(1)
	v_mul_f64 v[104:105], v[198:199], v[106:107]
	v_fma_f64 v[104:105], v[196:197], v[190:191], -v[104:105]
	v_mul_f64 v[196:197], v[196:197], v[106:107]
	v_fmac_f64_e32 v[196:197], v[198:199], v[190:191]
	s_waitcnt vmcnt(20)
	v_add_f64 v[78:79], v[78:79], -v[196:197]
	ds_read2_b64 v[196:199], v192 offset0:52 offset1:53
	v_add_f64 v[76:77], v[76:77], -v[104:105]
	s_waitcnt lgkmcnt(1)
	v_mul_f64 v[104:105], v[182:183], v[106:107]
	v_fma_f64 v[104:105], v[180:181], v[190:191], -v[104:105]
	v_mul_f64 v[180:181], v[180:181], v[106:107]
	v_fmac_f64_e32 v[180:181], v[182:183], v[190:191]
	s_waitcnt vmcnt(19)
	v_add_f64 v[72:73], v[72:73], -v[104:105]
	v_add_f64 v[74:75], v[74:75], -v[180:181]
	ds_read2_b64 v[180:183], v192 offset0:54 offset1:55
	s_waitcnt lgkmcnt(1)
	v_mul_f64 v[104:105], v[198:199], v[106:107]
	v_fma_f64 v[104:105], v[196:197], v[190:191], -v[104:105]
	v_mul_f64 v[196:197], v[196:197], v[106:107]
	v_fmac_f64_e32 v[196:197], v[198:199], v[190:191]
	s_waitcnt vmcnt(18)
	v_add_f64 v[70:71], v[70:71], -v[196:197]
	ds_read2_b64 v[196:199], v192 offset0:56 offset1:57
	v_add_f64 v[68:69], v[68:69], -v[104:105]
	s_waitcnt lgkmcnt(1)
	v_mul_f64 v[104:105], v[182:183], v[106:107]
	v_fma_f64 v[104:105], v[180:181], v[190:191], -v[104:105]
	v_mul_f64 v[180:181], v[180:181], v[106:107]
	v_fmac_f64_e32 v[180:181], v[182:183], v[190:191]
	s_waitcnt vmcnt(17)
	v_add_f64 v[64:65], v[64:65], -v[104:105]
	v_add_f64 v[66:67], v[66:67], -v[180:181]
	ds_read2_b64 v[180:183], v192 offset0:58 offset1:59
	s_waitcnt lgkmcnt(1)
	v_mul_f64 v[104:105], v[198:199], v[106:107]
	v_fma_f64 v[104:105], v[196:197], v[190:191], -v[104:105]
	v_mul_f64 v[196:197], v[196:197], v[106:107]
	v_fmac_f64_e32 v[196:197], v[198:199], v[190:191]
	s_waitcnt vmcnt(16)
	v_add_f64 v[62:63], v[62:63], -v[196:197]
	ds_read2_b64 v[196:199], v192 offset0:60 offset1:61
	v_add_f64 v[60:61], v[60:61], -v[104:105]
	s_waitcnt lgkmcnt(1)
	v_mul_f64 v[104:105], v[182:183], v[106:107]
	v_fma_f64 v[104:105], v[180:181], v[190:191], -v[104:105]
	v_mul_f64 v[180:181], v[180:181], v[106:107]
	v_fmac_f64_e32 v[180:181], v[182:183], v[190:191]
	s_waitcnt vmcnt(15)
	v_add_f64 v[56:57], v[56:57], -v[104:105]
	v_add_f64 v[58:59], v[58:59], -v[180:181]
	ds_read2_b64 v[180:183], v192 offset0:62 offset1:63
	s_waitcnt lgkmcnt(1)
	v_mul_f64 v[104:105], v[198:199], v[106:107]
	v_fma_f64 v[104:105], v[196:197], v[190:191], -v[104:105]
	v_mul_f64 v[196:197], v[196:197], v[106:107]
	v_fmac_f64_e32 v[196:197], v[198:199], v[190:191]
	s_waitcnt vmcnt(14)
	v_add_f64 v[54:55], v[54:55], -v[196:197]
	ds_read2_b64 v[196:199], v192 offset0:64 offset1:65
	v_add_f64 v[52:53], v[52:53], -v[104:105]
	s_waitcnt lgkmcnt(1)
	v_mul_f64 v[104:105], v[182:183], v[106:107]
	v_fma_f64 v[104:105], v[180:181], v[190:191], -v[104:105]
	v_mul_f64 v[180:181], v[180:181], v[106:107]
	v_fmac_f64_e32 v[180:181], v[182:183], v[190:191]
	s_waitcnt vmcnt(13)
	v_add_f64 v[48:49], v[48:49], -v[104:105]
	v_add_f64 v[50:51], v[50:51], -v[180:181]
	ds_read2_b64 v[180:183], v192 offset0:66 offset1:67
	s_waitcnt lgkmcnt(1)
	v_mul_f64 v[104:105], v[198:199], v[106:107]
	v_fma_f64 v[104:105], v[196:197], v[190:191], -v[104:105]
	v_mul_f64 v[196:197], v[196:197], v[106:107]
	v_fmac_f64_e32 v[196:197], v[198:199], v[190:191]
	s_waitcnt vmcnt(12)
	v_add_f64 v[46:47], v[46:47], -v[196:197]
	ds_read2_b64 v[196:199], v192 offset0:68 offset1:69
	v_add_f64 v[44:45], v[44:45], -v[104:105]
	s_waitcnt lgkmcnt(1)
	v_mul_f64 v[104:105], v[182:183], v[106:107]
	v_fma_f64 v[104:105], v[180:181], v[190:191], -v[104:105]
	v_mul_f64 v[180:181], v[180:181], v[106:107]
	v_fmac_f64_e32 v[180:181], v[182:183], v[190:191]
	s_waitcnt vmcnt(11)
	v_add_f64 v[40:41], v[40:41], -v[104:105]
	v_add_f64 v[42:43], v[42:43], -v[180:181]
	ds_read2_b64 v[180:183], v192 offset0:70 offset1:71
	s_waitcnt lgkmcnt(1)
	v_mul_f64 v[104:105], v[198:199], v[106:107]
	v_fma_f64 v[104:105], v[196:197], v[190:191], -v[104:105]
	v_mul_f64 v[196:197], v[196:197], v[106:107]
	v_fmac_f64_e32 v[196:197], v[198:199], v[190:191]
	s_waitcnt vmcnt(10)
	v_add_f64 v[38:39], v[38:39], -v[196:197]
	ds_read2_b64 v[196:199], v192 offset0:72 offset1:73
	v_add_f64 v[36:37], v[36:37], -v[104:105]
	s_waitcnt lgkmcnt(1)
	v_mul_f64 v[104:105], v[182:183], v[106:107]
	v_fma_f64 v[104:105], v[180:181], v[190:191], -v[104:105]
	v_mul_f64 v[180:181], v[180:181], v[106:107]
	v_fmac_f64_e32 v[180:181], v[182:183], v[190:191]
	s_waitcnt vmcnt(9)
	v_add_f64 v[32:33], v[32:33], -v[104:105]
	v_add_f64 v[34:35], v[34:35], -v[180:181]
	ds_read2_b64 v[180:183], v192 offset0:74 offset1:75
	s_waitcnt lgkmcnt(1)
	v_mul_f64 v[104:105], v[198:199], v[106:107]
	v_fma_f64 v[104:105], v[196:197], v[190:191], -v[104:105]
	v_mul_f64 v[196:197], v[196:197], v[106:107]
	v_fmac_f64_e32 v[196:197], v[198:199], v[190:191]
	s_waitcnt vmcnt(8)
	v_add_f64 v[30:31], v[30:31], -v[196:197]
	ds_read2_b64 v[196:199], v192 offset0:76 offset1:77
	v_add_f64 v[28:29], v[28:29], -v[104:105]
	s_waitcnt lgkmcnt(1)
	v_mul_f64 v[104:105], v[182:183], v[106:107]
	v_fma_f64 v[104:105], v[180:181], v[190:191], -v[104:105]
	v_mul_f64 v[180:181], v[180:181], v[106:107]
	v_fmac_f64_e32 v[180:181], v[182:183], v[190:191]
	s_waitcnt vmcnt(7)
	v_add_f64 v[24:25], v[24:25], -v[104:105]
	v_add_f64 v[26:27], v[26:27], -v[180:181]
	ds_read2_b64 v[180:183], v192 offset0:78 offset1:79
	s_waitcnt lgkmcnt(1)
	v_mul_f64 v[104:105], v[198:199], v[106:107]
	v_fma_f64 v[104:105], v[196:197], v[190:191], -v[104:105]
	v_mul_f64 v[196:197], v[196:197], v[106:107]
	v_fmac_f64_e32 v[196:197], v[198:199], v[190:191]
	s_waitcnt vmcnt(6)
	v_add_f64 v[22:23], v[22:23], -v[196:197]
	ds_read2_b64 v[196:199], v192 offset0:80 offset1:81
	v_add_f64 v[20:21], v[20:21], -v[104:105]
	s_waitcnt lgkmcnt(1)
	v_mul_f64 v[104:105], v[182:183], v[106:107]
	v_fma_f64 v[104:105], v[180:181], v[190:191], -v[104:105]
	v_mul_f64 v[180:181], v[180:181], v[106:107]
	v_fmac_f64_e32 v[180:181], v[182:183], v[190:191]
	s_waitcnt vmcnt(5)
	v_add_f64 v[16:17], v[16:17], -v[104:105]
	v_add_f64 v[18:19], v[18:19], -v[180:181]
	ds_read2_b64 v[180:183], v192 offset0:82 offset1:83
	s_waitcnt lgkmcnt(1)
	v_mul_f64 v[104:105], v[198:199], v[106:107]
	v_fma_f64 v[104:105], v[196:197], v[190:191], -v[104:105]
	v_mul_f64 v[196:197], v[196:197], v[106:107]
	v_fmac_f64_e32 v[196:197], v[198:199], v[190:191]
	s_waitcnt vmcnt(4)
	v_add_f64 v[14:15], v[14:15], -v[196:197]
	ds_read2_b64 v[196:199], v192 offset0:84 offset1:85
	v_add_f64 v[12:13], v[12:13], -v[104:105]
	s_waitcnt lgkmcnt(1)
	v_mul_f64 v[104:105], v[182:183], v[106:107]
	v_fma_f64 v[104:105], v[180:181], v[190:191], -v[104:105]
	v_mul_f64 v[180:181], v[180:181], v[106:107]
	v_fmac_f64_e32 v[180:181], v[182:183], v[190:191]
	s_waitcnt vmcnt(3)
	v_add_f64 v[8:9], v[8:9], -v[104:105]
	v_add_f64 v[10:11], v[10:11], -v[180:181]
	ds_read2_b64 v[180:183], v192 offset0:86 offset1:87
	s_waitcnt lgkmcnt(1)
	v_mul_f64 v[104:105], v[198:199], v[106:107]
	v_fma_f64 v[104:105], v[196:197], v[190:191], -v[104:105]
	v_mul_f64 v[196:197], v[196:197], v[106:107]
	v_fmac_f64_e32 v[196:197], v[198:199], v[190:191]
	s_waitcnt vmcnt(2)
	v_add_f64 v[6:7], v[6:7], -v[196:197]
	ds_read2_b64 v[196:199], v192 offset0:88 offset1:89
	v_add_f64 v[4:5], v[4:5], -v[104:105]
	s_waitcnt lgkmcnt(1)
	v_mul_f64 v[104:105], v[182:183], v[106:107]
	v_fma_f64 v[104:105], v[180:181], v[190:191], -v[104:105]
	v_mul_f64 v[180:181], v[180:181], v[106:107]
	v_fmac_f64_e32 v[180:181], v[182:183], v[190:191]
	s_waitcnt vmcnt(1)
	v_add_f64 v[0:1], v[0:1], -v[104:105]
	v_add_f64 v[2:3], v[2:3], -v[180:181]
	s_waitcnt lgkmcnt(0)
	v_mul_f64 v[104:105], v[198:199], v[106:107]
	v_mul_f64 v[180:181], v[196:197], v[106:107]
	v_fma_f64 v[104:105], v[196:197], v[190:191], -v[104:105]
	v_fmac_f64_e32 v[180:181], v[198:199], v[190:191]
	s_waitcnt vmcnt(0)
	v_add_f64 v[176:177], v[176:177], -v[104:105]
	v_add_f64 v[178:179], v[178:179], -v[180:181]
	v_mov_b64_e32 v[104:105], v[190:191]
.LBB88_377:
	s_or_b64 exec, exec, s[0:1]
	v_lshl_add_u32 v180, v193, 4, v192
	s_barrier
	s_waitcnt vmcnt(26)
	ds_write2_b64 v180, v[100:101], v[102:103] offset1:1
	s_waitcnt lgkmcnt(0)
	s_barrier
	ds_read2_b64 v[180:183], v192 offset0:36 offset1:37
	s_cmp_lt_i32 s20, 20
	v_mov_b32_e32 v190, 18
	s_cbranch_scc1 .LBB88_380
; %bb.378:
	v_add_u32_e32 v191, 0x130, v192
	s_mov_b32 s16, 19
	v_mov_b32_e32 v190, 18
.LBB88_379:                             ; =>This Inner Loop Header: Depth=1
	ds_read2_b64 v[196:199], v191 offset1:1
	s_waitcnt lgkmcnt(1)
	v_xor_b32_e32 v201, 0x80000000, v181
	v_xor_b32_e32 v203, 0x80000000, v183
	v_cmp_gt_f64_e32 vcc, 0, v[182:183]
	v_cmp_gt_f64_e64 s[0:1], 0, v[180:181]
	v_mov_b32_e32 v200, v180
	v_mov_b32_e32 v202, v182
	v_cndmask_b32_e64 v201, v181, v201, s[0:1]
	v_cndmask_b32_e32 v203, v183, v203, vcc
	v_add_f64 v[200:201], v[200:201], v[202:203]
	s_waitcnt lgkmcnt(0)
	v_xor_b32_e32 v203, 0x80000000, v197
	v_xor_b32_e32 v205, 0x80000000, v199
	v_cmp_gt_f64_e32 vcc, 0, v[198:199]
	v_cmp_gt_f64_e64 s[0:1], 0, v[196:197]
	v_mov_b32_e32 v202, v196
	v_mov_b32_e32 v204, v198
	v_cndmask_b32_e64 v203, v197, v203, s[0:1]
	v_cndmask_b32_e32 v205, v199, v205, vcc
	v_add_f64 v[202:203], v[202:203], v[204:205]
	v_mov_b32_e32 v206, s16
	s_add_i32 s16, s16, 1
	v_cmp_lt_f64_e32 vcc, v[200:201], v[202:203]
	v_add_u32_e32 v191, 16, v191
	s_cmp_lg_u32 s20, s16
	v_cndmask_b32_e32 v181, v181, v197, vcc
	v_cndmask_b32_e32 v180, v180, v196, vcc
	;; [unrolled: 1-line block ×5, first 2 shown]
	s_cbranch_scc1 .LBB88_379
.LBB88_380:
	s_waitcnt lgkmcnt(0)
	v_cmp_eq_f64_e32 vcc, 0, v[180:181]
	v_cmp_eq_f64_e64 s[0:1], 0, v[182:183]
	s_and_b64 s[0:1], vcc, s[0:1]
	s_and_saveexec_b64 s[16:17], s[0:1]
	s_xor_b64 s[0:1], exec, s[16:17]
; %bb.381:
	v_cmp_ne_u32_e32 vcc, 0, v194
	s_nop 1
	v_cndmask_b32_e32 v194, 19, v194, vcc
; %bb.382:
	s_andn2_saveexec_b64 s[0:1], s[0:1]
	s_cbranch_execz .LBB88_388
; %bb.383:
	v_cmp_ngt_f64_e64 s[16:17], |v[180:181]|, |v[182:183]|
	s_and_saveexec_b64 s[18:19], s[16:17]
	s_xor_b64 s[16:17], exec, s[18:19]
	s_cbranch_execz .LBB88_385
; %bb.384:
	v_div_scale_f64 v[196:197], s[18:19], v[182:183], v[182:183], v[180:181]
	v_rcp_f64_e32 v[198:199], v[196:197]
	v_div_scale_f64 v[200:201], vcc, v[180:181], v[182:183], v[180:181]
	v_fma_f64 v[202:203], -v[196:197], v[198:199], 1.0
	v_fmac_f64_e32 v[198:199], v[198:199], v[202:203]
	v_fma_f64 v[202:203], -v[196:197], v[198:199], 1.0
	v_fmac_f64_e32 v[198:199], v[198:199], v[202:203]
	v_mul_f64 v[202:203], v[200:201], v[198:199]
	v_fma_f64 v[196:197], -v[196:197], v[202:203], v[200:201]
	v_div_fmas_f64 v[196:197], v[196:197], v[198:199], v[202:203]
	v_div_fixup_f64 v[196:197], v[196:197], v[182:183], v[180:181]
	v_fmac_f64_e32 v[182:183], v[180:181], v[196:197]
	v_div_scale_f64 v[180:181], s[18:19], v[182:183], v[182:183], 1.0
	v_rcp_f64_e32 v[198:199], v[180:181]
	s_nop 0
	v_fma_f64 v[200:201], -v[180:181], v[198:199], 1.0
	v_fmac_f64_e32 v[198:199], v[198:199], v[200:201]
	v_fma_f64 v[200:201], -v[180:181], v[198:199], 1.0
	v_fmac_f64_e32 v[198:199], v[198:199], v[200:201]
	v_div_scale_f64 v[200:201], vcc, 1.0, v[182:183], 1.0
	v_mul_f64 v[202:203], v[200:201], v[198:199]
	v_fma_f64 v[180:181], -v[180:181], v[202:203], v[200:201]
	s_nop 1
	v_div_fmas_f64 v[180:181], v[180:181], v[198:199], v[202:203]
	v_div_fixup_f64 v[182:183], v[180:181], v[182:183], 1.0
	v_mul_f64 v[180:181], v[196:197], v[182:183]
	v_xor_b32_e32 v183, 0x80000000, v183
.LBB88_385:
	s_andn2_saveexec_b64 s[16:17], s[16:17]
	s_cbranch_execz .LBB88_387
; %bb.386:
	v_div_scale_f64 v[196:197], s[18:19], v[180:181], v[180:181], v[182:183]
	v_rcp_f64_e32 v[198:199], v[196:197]
	v_div_scale_f64 v[200:201], vcc, v[182:183], v[180:181], v[182:183]
	v_fma_f64 v[202:203], -v[196:197], v[198:199], 1.0
	v_fmac_f64_e32 v[198:199], v[198:199], v[202:203]
	v_fma_f64 v[202:203], -v[196:197], v[198:199], 1.0
	v_fmac_f64_e32 v[198:199], v[198:199], v[202:203]
	v_mul_f64 v[202:203], v[200:201], v[198:199]
	v_fma_f64 v[196:197], -v[196:197], v[202:203], v[200:201]
	v_div_fmas_f64 v[196:197], v[196:197], v[198:199], v[202:203]
	v_div_fixup_f64 v[196:197], v[196:197], v[180:181], v[182:183]
	v_fmac_f64_e32 v[180:181], v[182:183], v[196:197]
	v_div_scale_f64 v[182:183], s[18:19], v[180:181], v[180:181], 1.0
	v_rcp_f64_e32 v[198:199], v[182:183]
	s_nop 0
	v_fma_f64 v[200:201], -v[182:183], v[198:199], 1.0
	v_fmac_f64_e32 v[198:199], v[198:199], v[200:201]
	v_fma_f64 v[200:201], -v[182:183], v[198:199], 1.0
	v_fmac_f64_e32 v[198:199], v[198:199], v[200:201]
	v_div_scale_f64 v[200:201], vcc, 1.0, v[180:181], 1.0
	v_mul_f64 v[202:203], v[200:201], v[198:199]
	v_fma_f64 v[182:183], -v[182:183], v[202:203], v[200:201]
	s_nop 1
	v_div_fmas_f64 v[182:183], v[182:183], v[198:199], v[202:203]
	v_div_fixup_f64 v[180:181], v[182:183], v[180:181], 1.0
	v_mul_f64 v[182:183], v[196:197], -v[180:181]
.LBB88_387:
	s_or_b64 exec, exec, s[16:17]
.LBB88_388:
	s_or_b64 exec, exec, s[0:1]
	v_cmp_ne_u32_e32 vcc, v193, v190
	s_and_saveexec_b64 s[0:1], vcc
	s_xor_b64 s[0:1], exec, s[0:1]
	s_cbranch_execz .LBB88_394
; %bb.389:
	v_cmp_eq_u32_e32 vcc, 18, v193
	s_and_saveexec_b64 s[16:17], vcc
	s_cbranch_execz .LBB88_393
; %bb.390:
	v_cmp_ne_u32_e32 vcc, 18, v190
	s_xor_b64 s[18:19], s[14:15], -1
	s_and_b64 s[22:23], s[18:19], vcc
	s_and_saveexec_b64 s[18:19], s[22:23]
	s_cbranch_execz .LBB88_392
; %bb.391:
	v_ashrrev_i32_e32 v191, 31, v190
	v_lshl_add_u64 v[196:197], v[190:191], 2, v[188:189]
	global_load_dword v191, v[196:197], off
	global_load_dword v193, v[188:189], off offset:72
	s_waitcnt vmcnt(1)
	global_store_dword v[188:189], v191, off offset:72
	s_waitcnt vmcnt(1)
	global_store_dword v[196:197], v193, off
.LBB88_392:
	s_or_b64 exec, exec, s[18:19]
	v_mov_b32_e32 v193, v190
	v_mov_b32_e32 v195, v190
.LBB88_393:
	s_or_b64 exec, exec, s[16:17]
.LBB88_394:
	s_andn2_saveexec_b64 s[0:1], s[0:1]
	s_cbranch_execz .LBB88_396
; %bb.395:
	v_mov_b32_e32 v193, 18
	s_waitcnt vmcnt(25)
	ds_write2_b64 v192, v[96:97], v[98:99] offset0:38 offset1:39
	s_waitcnt vmcnt(24)
	ds_write2_b64 v192, v[92:93], v[94:95] offset0:40 offset1:41
	;; [unrolled: 2-line block ×26, first 2 shown]
.LBB88_396:
	s_or_b64 exec, exec, s[0:1]
	v_cmp_lt_i32_e32 vcc, 18, v193
	s_waitcnt lgkmcnt(0)
	s_barrier
	s_and_saveexec_b64 s[0:1], vcc
	s_cbranch_execz .LBB88_398
; %bb.397:
	ds_read2_b64 v[196:199], v192 offset0:38 offset1:39
	v_mul_f64 v[190:191], v[182:183], v[102:103]
	v_mul_f64 v[102:103], v[180:181], v[102:103]
	v_fma_f64 v[190:191], v[180:181], v[100:101], -v[190:191]
	v_fmac_f64_e32 v[102:103], v[182:183], v[100:101]
	ds_read2_b64 v[180:183], v192 offset0:40 offset1:41
	s_waitcnt lgkmcnt(1)
	v_mul_f64 v[100:101], v[198:199], v[102:103]
	v_fma_f64 v[100:101], v[196:197], v[190:191], -v[100:101]
	v_mul_f64 v[196:197], v[196:197], v[102:103]
	v_fmac_f64_e32 v[196:197], v[198:199], v[190:191]
	s_waitcnt vmcnt(25)
	v_add_f64 v[96:97], v[96:97], -v[100:101]
	s_waitcnt lgkmcnt(0)
	v_mul_f64 v[100:101], v[182:183], v[102:103]
	v_add_f64 v[98:99], v[98:99], -v[196:197]
	v_fma_f64 v[100:101], v[180:181], v[190:191], -v[100:101]
	v_mul_f64 v[180:181], v[180:181], v[102:103]
	ds_read2_b64 v[196:199], v192 offset0:42 offset1:43
	v_fmac_f64_e32 v[180:181], v[182:183], v[190:191]
	s_waitcnt vmcnt(24)
	v_add_f64 v[94:95], v[94:95], -v[180:181]
	ds_read2_b64 v[180:183], v192 offset0:44 offset1:45
	v_add_f64 v[92:93], v[92:93], -v[100:101]
	s_waitcnt lgkmcnt(1)
	v_mul_f64 v[100:101], v[198:199], v[102:103]
	v_fma_f64 v[100:101], v[196:197], v[190:191], -v[100:101]
	v_mul_f64 v[196:197], v[196:197], v[102:103]
	v_fmac_f64_e32 v[196:197], v[198:199], v[190:191]
	s_waitcnt vmcnt(23)
	v_add_f64 v[88:89], v[88:89], -v[100:101]
	s_waitcnt lgkmcnt(0)
	v_mul_f64 v[100:101], v[182:183], v[102:103]
	v_add_f64 v[90:91], v[90:91], -v[196:197]
	v_fma_f64 v[100:101], v[180:181], v[190:191], -v[100:101]
	v_mul_f64 v[180:181], v[180:181], v[102:103]
	ds_read2_b64 v[196:199], v192 offset0:46 offset1:47
	v_fmac_f64_e32 v[180:181], v[182:183], v[190:191]
	s_waitcnt vmcnt(22)
	v_add_f64 v[86:87], v[86:87], -v[180:181]
	ds_read2_b64 v[180:183], v192 offset0:48 offset1:49
	v_add_f64 v[84:85], v[84:85], -v[100:101]
	;; [unrolled: 18-line block ×12, first 2 shown]
	s_waitcnt lgkmcnt(1)
	v_mul_f64 v[100:101], v[198:199], v[102:103]
	v_fma_f64 v[100:101], v[196:197], v[190:191], -v[100:101]
	s_waitcnt vmcnt(1)
	v_add_f64 v[0:1], v[0:1], -v[100:101]
	s_waitcnt lgkmcnt(0)
	v_mul_f64 v[100:101], v[182:183], v[102:103]
	v_mul_f64 v[196:197], v[196:197], v[102:103]
	v_fma_f64 v[100:101], v[180:181], v[190:191], -v[100:101]
	v_mul_f64 v[180:181], v[180:181], v[102:103]
	v_fmac_f64_e32 v[196:197], v[198:199], v[190:191]
	v_fmac_f64_e32 v[180:181], v[182:183], v[190:191]
	v_add_f64 v[2:3], v[2:3], -v[196:197]
	s_waitcnt vmcnt(0)
	v_add_f64 v[176:177], v[176:177], -v[100:101]
	v_add_f64 v[178:179], v[178:179], -v[180:181]
	v_mov_b64_e32 v[100:101], v[190:191]
.LBB88_398:
	s_or_b64 exec, exec, s[0:1]
	v_lshl_add_u32 v180, v193, 4, v192
	s_barrier
	s_waitcnt vmcnt(25)
	ds_write2_b64 v180, v[96:97], v[98:99] offset1:1
	s_waitcnt lgkmcnt(0)
	s_barrier
	ds_read2_b64 v[180:183], v192 offset0:38 offset1:39
	s_cmp_lt_i32 s20, 21
	v_mov_b32_e32 v190, 19
	s_cbranch_scc1 .LBB88_401
; %bb.399:
	v_add_u32_e32 v191, 0x140, v192
	s_mov_b32 s16, 20
	v_mov_b32_e32 v190, 19
.LBB88_400:                             ; =>This Inner Loop Header: Depth=1
	ds_read2_b64 v[196:199], v191 offset1:1
	s_waitcnt lgkmcnt(1)
	v_xor_b32_e32 v201, 0x80000000, v181
	v_xor_b32_e32 v203, 0x80000000, v183
	v_cmp_gt_f64_e32 vcc, 0, v[182:183]
	v_cmp_gt_f64_e64 s[0:1], 0, v[180:181]
	v_mov_b32_e32 v200, v180
	v_mov_b32_e32 v202, v182
	v_cndmask_b32_e64 v201, v181, v201, s[0:1]
	v_cndmask_b32_e32 v203, v183, v203, vcc
	v_add_f64 v[200:201], v[200:201], v[202:203]
	s_waitcnt lgkmcnt(0)
	v_xor_b32_e32 v203, 0x80000000, v197
	v_xor_b32_e32 v205, 0x80000000, v199
	v_cmp_gt_f64_e32 vcc, 0, v[198:199]
	v_cmp_gt_f64_e64 s[0:1], 0, v[196:197]
	v_mov_b32_e32 v202, v196
	v_mov_b32_e32 v204, v198
	v_cndmask_b32_e64 v203, v197, v203, s[0:1]
	v_cndmask_b32_e32 v205, v199, v205, vcc
	v_add_f64 v[202:203], v[202:203], v[204:205]
	v_mov_b32_e32 v206, s16
	s_add_i32 s16, s16, 1
	v_cmp_lt_f64_e32 vcc, v[200:201], v[202:203]
	v_add_u32_e32 v191, 16, v191
	s_cmp_lg_u32 s20, s16
	v_cndmask_b32_e32 v181, v181, v197, vcc
	v_cndmask_b32_e32 v180, v180, v196, vcc
	v_cndmask_b32_e32 v183, v183, v199, vcc
	v_cndmask_b32_e32 v182, v182, v198, vcc
	v_cndmask_b32_e32 v190, v190, v206, vcc
	s_cbranch_scc1 .LBB88_400
.LBB88_401:
	s_waitcnt lgkmcnt(0)
	v_cmp_eq_f64_e32 vcc, 0, v[180:181]
	v_cmp_eq_f64_e64 s[0:1], 0, v[182:183]
	s_and_b64 s[0:1], vcc, s[0:1]
	s_and_saveexec_b64 s[16:17], s[0:1]
	s_xor_b64 s[0:1], exec, s[16:17]
; %bb.402:
	v_cmp_ne_u32_e32 vcc, 0, v194
	s_nop 1
	v_cndmask_b32_e32 v194, 20, v194, vcc
; %bb.403:
	s_andn2_saveexec_b64 s[0:1], s[0:1]
	s_cbranch_execz .LBB88_409
; %bb.404:
	v_cmp_ngt_f64_e64 s[16:17], |v[180:181]|, |v[182:183]|
	s_and_saveexec_b64 s[18:19], s[16:17]
	s_xor_b64 s[16:17], exec, s[18:19]
	s_cbranch_execz .LBB88_406
; %bb.405:
	v_div_scale_f64 v[196:197], s[18:19], v[182:183], v[182:183], v[180:181]
	v_rcp_f64_e32 v[198:199], v[196:197]
	v_div_scale_f64 v[200:201], vcc, v[180:181], v[182:183], v[180:181]
	v_fma_f64 v[202:203], -v[196:197], v[198:199], 1.0
	v_fmac_f64_e32 v[198:199], v[198:199], v[202:203]
	v_fma_f64 v[202:203], -v[196:197], v[198:199], 1.0
	v_fmac_f64_e32 v[198:199], v[198:199], v[202:203]
	v_mul_f64 v[202:203], v[200:201], v[198:199]
	v_fma_f64 v[196:197], -v[196:197], v[202:203], v[200:201]
	v_div_fmas_f64 v[196:197], v[196:197], v[198:199], v[202:203]
	v_div_fixup_f64 v[196:197], v[196:197], v[182:183], v[180:181]
	v_fmac_f64_e32 v[182:183], v[180:181], v[196:197]
	v_div_scale_f64 v[180:181], s[18:19], v[182:183], v[182:183], 1.0
	v_rcp_f64_e32 v[198:199], v[180:181]
	s_nop 0
	v_fma_f64 v[200:201], -v[180:181], v[198:199], 1.0
	v_fmac_f64_e32 v[198:199], v[198:199], v[200:201]
	v_fma_f64 v[200:201], -v[180:181], v[198:199], 1.0
	v_fmac_f64_e32 v[198:199], v[198:199], v[200:201]
	v_div_scale_f64 v[200:201], vcc, 1.0, v[182:183], 1.0
	v_mul_f64 v[202:203], v[200:201], v[198:199]
	v_fma_f64 v[180:181], -v[180:181], v[202:203], v[200:201]
	s_nop 1
	v_div_fmas_f64 v[180:181], v[180:181], v[198:199], v[202:203]
	v_div_fixup_f64 v[182:183], v[180:181], v[182:183], 1.0
	v_mul_f64 v[180:181], v[196:197], v[182:183]
	v_xor_b32_e32 v183, 0x80000000, v183
.LBB88_406:
	s_andn2_saveexec_b64 s[16:17], s[16:17]
	s_cbranch_execz .LBB88_408
; %bb.407:
	v_div_scale_f64 v[196:197], s[18:19], v[180:181], v[180:181], v[182:183]
	v_rcp_f64_e32 v[198:199], v[196:197]
	v_div_scale_f64 v[200:201], vcc, v[182:183], v[180:181], v[182:183]
	v_fma_f64 v[202:203], -v[196:197], v[198:199], 1.0
	v_fmac_f64_e32 v[198:199], v[198:199], v[202:203]
	v_fma_f64 v[202:203], -v[196:197], v[198:199], 1.0
	v_fmac_f64_e32 v[198:199], v[198:199], v[202:203]
	v_mul_f64 v[202:203], v[200:201], v[198:199]
	v_fma_f64 v[196:197], -v[196:197], v[202:203], v[200:201]
	v_div_fmas_f64 v[196:197], v[196:197], v[198:199], v[202:203]
	v_div_fixup_f64 v[196:197], v[196:197], v[180:181], v[182:183]
	v_fmac_f64_e32 v[180:181], v[182:183], v[196:197]
	v_div_scale_f64 v[182:183], s[18:19], v[180:181], v[180:181], 1.0
	v_rcp_f64_e32 v[198:199], v[182:183]
	s_nop 0
	v_fma_f64 v[200:201], -v[182:183], v[198:199], 1.0
	v_fmac_f64_e32 v[198:199], v[198:199], v[200:201]
	v_fma_f64 v[200:201], -v[182:183], v[198:199], 1.0
	v_fmac_f64_e32 v[198:199], v[198:199], v[200:201]
	v_div_scale_f64 v[200:201], vcc, 1.0, v[180:181], 1.0
	v_mul_f64 v[202:203], v[200:201], v[198:199]
	v_fma_f64 v[182:183], -v[182:183], v[202:203], v[200:201]
	s_nop 1
	v_div_fmas_f64 v[182:183], v[182:183], v[198:199], v[202:203]
	v_div_fixup_f64 v[180:181], v[182:183], v[180:181], 1.0
	v_mul_f64 v[182:183], v[196:197], -v[180:181]
.LBB88_408:
	s_or_b64 exec, exec, s[16:17]
.LBB88_409:
	s_or_b64 exec, exec, s[0:1]
	v_cmp_ne_u32_e32 vcc, v193, v190
	s_and_saveexec_b64 s[0:1], vcc
	s_xor_b64 s[0:1], exec, s[0:1]
	s_cbranch_execz .LBB88_415
; %bb.410:
	v_cmp_eq_u32_e32 vcc, 19, v193
	s_and_saveexec_b64 s[16:17], vcc
	s_cbranch_execz .LBB88_414
; %bb.411:
	v_cmp_ne_u32_e32 vcc, 19, v190
	s_xor_b64 s[18:19], s[14:15], -1
	s_and_b64 s[22:23], s[18:19], vcc
	s_and_saveexec_b64 s[18:19], s[22:23]
	s_cbranch_execz .LBB88_413
; %bb.412:
	v_ashrrev_i32_e32 v191, 31, v190
	v_lshl_add_u64 v[196:197], v[190:191], 2, v[188:189]
	global_load_dword v191, v[196:197], off
	global_load_dword v193, v[188:189], off offset:76
	s_waitcnt vmcnt(1)
	global_store_dword v[188:189], v191, off offset:76
	s_waitcnt vmcnt(1)
	global_store_dword v[196:197], v193, off
.LBB88_413:
	s_or_b64 exec, exec, s[18:19]
	v_mov_b32_e32 v193, v190
	v_mov_b32_e32 v195, v190
.LBB88_414:
	s_or_b64 exec, exec, s[16:17]
.LBB88_415:
	s_andn2_saveexec_b64 s[0:1], s[0:1]
	s_cbranch_execz .LBB88_417
; %bb.416:
	v_mov_b32_e32 v193, 19
	s_waitcnt vmcnt(24)
	ds_write2_b64 v192, v[92:93], v[94:95] offset0:40 offset1:41
	s_waitcnt vmcnt(23)
	ds_write2_b64 v192, v[88:89], v[90:91] offset0:42 offset1:43
	;; [unrolled: 2-line block ×25, first 2 shown]
.LBB88_417:
	s_or_b64 exec, exec, s[0:1]
	v_cmp_lt_i32_e32 vcc, 19, v193
	s_waitcnt lgkmcnt(0)
	s_barrier
	s_and_saveexec_b64 s[0:1], vcc
	s_cbranch_execz .LBB88_419
; %bb.418:
	ds_read2_b64 v[196:199], v192 offset0:40 offset1:41
	v_mul_f64 v[190:191], v[182:183], v[98:99]
	v_mul_f64 v[98:99], v[180:181], v[98:99]
	v_fmac_f64_e32 v[98:99], v[182:183], v[96:97]
	v_fma_f64 v[190:191], v[180:181], v[96:97], -v[190:191]
	ds_read2_b64 v[180:183], v192 offset0:42 offset1:43
	s_waitcnt lgkmcnt(1)
	v_mul_f64 v[96:97], v[198:199], v[98:99]
	v_fma_f64 v[96:97], v[196:197], v[190:191], -v[96:97]
	v_mul_f64 v[196:197], v[196:197], v[98:99]
	v_fmac_f64_e32 v[196:197], v[198:199], v[190:191]
	s_waitcnt vmcnt(24)
	v_add_f64 v[94:95], v[94:95], -v[196:197]
	ds_read2_b64 v[196:199], v192 offset0:44 offset1:45
	v_add_f64 v[92:93], v[92:93], -v[96:97]
	s_waitcnt lgkmcnt(1)
	v_mul_f64 v[96:97], v[182:183], v[98:99]
	v_fma_f64 v[96:97], v[180:181], v[190:191], -v[96:97]
	v_mul_f64 v[180:181], v[180:181], v[98:99]
	v_fmac_f64_e32 v[180:181], v[182:183], v[190:191]
	s_waitcnt vmcnt(23)
	v_add_f64 v[88:89], v[88:89], -v[96:97]
	v_add_f64 v[90:91], v[90:91], -v[180:181]
	ds_read2_b64 v[180:183], v192 offset0:46 offset1:47
	s_waitcnt lgkmcnt(1)
	v_mul_f64 v[96:97], v[198:199], v[98:99]
	v_fma_f64 v[96:97], v[196:197], v[190:191], -v[96:97]
	v_mul_f64 v[196:197], v[196:197], v[98:99]
	v_fmac_f64_e32 v[196:197], v[198:199], v[190:191]
	s_waitcnt vmcnt(22)
	v_add_f64 v[86:87], v[86:87], -v[196:197]
	ds_read2_b64 v[196:199], v192 offset0:48 offset1:49
	v_add_f64 v[84:85], v[84:85], -v[96:97]
	s_waitcnt lgkmcnt(1)
	v_mul_f64 v[96:97], v[182:183], v[98:99]
	v_fma_f64 v[96:97], v[180:181], v[190:191], -v[96:97]
	v_mul_f64 v[180:181], v[180:181], v[98:99]
	v_fmac_f64_e32 v[180:181], v[182:183], v[190:191]
	s_waitcnt vmcnt(21)
	v_add_f64 v[80:81], v[80:81], -v[96:97]
	v_add_f64 v[82:83], v[82:83], -v[180:181]
	;; [unrolled: 18-line block ×12, first 2 shown]
	s_waitcnt lgkmcnt(0)
	v_mul_f64 v[96:97], v[198:199], v[98:99]
	v_mul_f64 v[180:181], v[196:197], v[98:99]
	v_fma_f64 v[96:97], v[196:197], v[190:191], -v[96:97]
	v_fmac_f64_e32 v[180:181], v[198:199], v[190:191]
	s_waitcnt vmcnt(0)
	v_add_f64 v[176:177], v[176:177], -v[96:97]
	v_add_f64 v[178:179], v[178:179], -v[180:181]
	v_mov_b64_e32 v[96:97], v[190:191]
.LBB88_419:
	s_or_b64 exec, exec, s[0:1]
	v_lshl_add_u32 v180, v193, 4, v192
	s_barrier
	s_waitcnt vmcnt(24)
	ds_write2_b64 v180, v[92:93], v[94:95] offset1:1
	s_waitcnt lgkmcnt(0)
	s_barrier
	ds_read2_b64 v[180:183], v192 offset0:40 offset1:41
	s_cmp_lt_i32 s20, 22
	v_mov_b32_e32 v190, 20
	s_cbranch_scc1 .LBB88_422
; %bb.420:
	v_add_u32_e32 v191, 0x150, v192
	s_mov_b32 s16, 21
	v_mov_b32_e32 v190, 20
.LBB88_421:                             ; =>This Inner Loop Header: Depth=1
	ds_read2_b64 v[196:199], v191 offset1:1
	s_waitcnt lgkmcnt(1)
	v_xor_b32_e32 v201, 0x80000000, v181
	v_xor_b32_e32 v203, 0x80000000, v183
	v_cmp_gt_f64_e32 vcc, 0, v[182:183]
	v_cmp_gt_f64_e64 s[0:1], 0, v[180:181]
	v_mov_b32_e32 v200, v180
	v_mov_b32_e32 v202, v182
	v_cndmask_b32_e64 v201, v181, v201, s[0:1]
	v_cndmask_b32_e32 v203, v183, v203, vcc
	v_add_f64 v[200:201], v[200:201], v[202:203]
	s_waitcnt lgkmcnt(0)
	v_xor_b32_e32 v203, 0x80000000, v197
	v_xor_b32_e32 v205, 0x80000000, v199
	v_cmp_gt_f64_e32 vcc, 0, v[198:199]
	v_cmp_gt_f64_e64 s[0:1], 0, v[196:197]
	v_mov_b32_e32 v202, v196
	v_mov_b32_e32 v204, v198
	v_cndmask_b32_e64 v203, v197, v203, s[0:1]
	v_cndmask_b32_e32 v205, v199, v205, vcc
	v_add_f64 v[202:203], v[202:203], v[204:205]
	v_mov_b32_e32 v206, s16
	s_add_i32 s16, s16, 1
	v_cmp_lt_f64_e32 vcc, v[200:201], v[202:203]
	v_add_u32_e32 v191, 16, v191
	s_cmp_lg_u32 s20, s16
	v_cndmask_b32_e32 v181, v181, v197, vcc
	v_cndmask_b32_e32 v180, v180, v196, vcc
	;; [unrolled: 1-line block ×5, first 2 shown]
	s_cbranch_scc1 .LBB88_421
.LBB88_422:
	s_waitcnt lgkmcnt(0)
	v_cmp_eq_f64_e32 vcc, 0, v[180:181]
	v_cmp_eq_f64_e64 s[0:1], 0, v[182:183]
	s_and_b64 s[0:1], vcc, s[0:1]
	s_and_saveexec_b64 s[16:17], s[0:1]
	s_xor_b64 s[0:1], exec, s[16:17]
; %bb.423:
	v_cmp_ne_u32_e32 vcc, 0, v194
	s_nop 1
	v_cndmask_b32_e32 v194, 21, v194, vcc
; %bb.424:
	s_andn2_saveexec_b64 s[0:1], s[0:1]
	s_cbranch_execz .LBB88_430
; %bb.425:
	v_cmp_ngt_f64_e64 s[16:17], |v[180:181]|, |v[182:183]|
	s_and_saveexec_b64 s[18:19], s[16:17]
	s_xor_b64 s[16:17], exec, s[18:19]
	s_cbranch_execz .LBB88_427
; %bb.426:
	v_div_scale_f64 v[196:197], s[18:19], v[182:183], v[182:183], v[180:181]
	v_rcp_f64_e32 v[198:199], v[196:197]
	v_div_scale_f64 v[200:201], vcc, v[180:181], v[182:183], v[180:181]
	v_fma_f64 v[202:203], -v[196:197], v[198:199], 1.0
	v_fmac_f64_e32 v[198:199], v[198:199], v[202:203]
	v_fma_f64 v[202:203], -v[196:197], v[198:199], 1.0
	v_fmac_f64_e32 v[198:199], v[198:199], v[202:203]
	v_mul_f64 v[202:203], v[200:201], v[198:199]
	v_fma_f64 v[196:197], -v[196:197], v[202:203], v[200:201]
	v_div_fmas_f64 v[196:197], v[196:197], v[198:199], v[202:203]
	v_div_fixup_f64 v[196:197], v[196:197], v[182:183], v[180:181]
	v_fmac_f64_e32 v[182:183], v[180:181], v[196:197]
	v_div_scale_f64 v[180:181], s[18:19], v[182:183], v[182:183], 1.0
	v_rcp_f64_e32 v[198:199], v[180:181]
	s_nop 0
	v_fma_f64 v[200:201], -v[180:181], v[198:199], 1.0
	v_fmac_f64_e32 v[198:199], v[198:199], v[200:201]
	v_fma_f64 v[200:201], -v[180:181], v[198:199], 1.0
	v_fmac_f64_e32 v[198:199], v[198:199], v[200:201]
	v_div_scale_f64 v[200:201], vcc, 1.0, v[182:183], 1.0
	v_mul_f64 v[202:203], v[200:201], v[198:199]
	v_fma_f64 v[180:181], -v[180:181], v[202:203], v[200:201]
	s_nop 1
	v_div_fmas_f64 v[180:181], v[180:181], v[198:199], v[202:203]
	v_div_fixup_f64 v[182:183], v[180:181], v[182:183], 1.0
	v_mul_f64 v[180:181], v[196:197], v[182:183]
	v_xor_b32_e32 v183, 0x80000000, v183
.LBB88_427:
	s_andn2_saveexec_b64 s[16:17], s[16:17]
	s_cbranch_execz .LBB88_429
; %bb.428:
	v_div_scale_f64 v[196:197], s[18:19], v[180:181], v[180:181], v[182:183]
	v_rcp_f64_e32 v[198:199], v[196:197]
	v_div_scale_f64 v[200:201], vcc, v[182:183], v[180:181], v[182:183]
	v_fma_f64 v[202:203], -v[196:197], v[198:199], 1.0
	v_fmac_f64_e32 v[198:199], v[198:199], v[202:203]
	v_fma_f64 v[202:203], -v[196:197], v[198:199], 1.0
	v_fmac_f64_e32 v[198:199], v[198:199], v[202:203]
	v_mul_f64 v[202:203], v[200:201], v[198:199]
	v_fma_f64 v[196:197], -v[196:197], v[202:203], v[200:201]
	v_div_fmas_f64 v[196:197], v[196:197], v[198:199], v[202:203]
	v_div_fixup_f64 v[196:197], v[196:197], v[180:181], v[182:183]
	v_fmac_f64_e32 v[180:181], v[182:183], v[196:197]
	v_div_scale_f64 v[182:183], s[18:19], v[180:181], v[180:181], 1.0
	v_rcp_f64_e32 v[198:199], v[182:183]
	s_nop 0
	v_fma_f64 v[200:201], -v[182:183], v[198:199], 1.0
	v_fmac_f64_e32 v[198:199], v[198:199], v[200:201]
	v_fma_f64 v[200:201], -v[182:183], v[198:199], 1.0
	v_fmac_f64_e32 v[198:199], v[198:199], v[200:201]
	v_div_scale_f64 v[200:201], vcc, 1.0, v[180:181], 1.0
	v_mul_f64 v[202:203], v[200:201], v[198:199]
	v_fma_f64 v[182:183], -v[182:183], v[202:203], v[200:201]
	s_nop 1
	v_div_fmas_f64 v[182:183], v[182:183], v[198:199], v[202:203]
	v_div_fixup_f64 v[180:181], v[182:183], v[180:181], 1.0
	v_mul_f64 v[182:183], v[196:197], -v[180:181]
.LBB88_429:
	s_or_b64 exec, exec, s[16:17]
.LBB88_430:
	s_or_b64 exec, exec, s[0:1]
	v_cmp_ne_u32_e32 vcc, v193, v190
	s_and_saveexec_b64 s[0:1], vcc
	s_xor_b64 s[0:1], exec, s[0:1]
	s_cbranch_execz .LBB88_436
; %bb.431:
	v_cmp_eq_u32_e32 vcc, 20, v193
	s_and_saveexec_b64 s[16:17], vcc
	s_cbranch_execz .LBB88_435
; %bb.432:
	v_cmp_ne_u32_e32 vcc, 20, v190
	s_xor_b64 s[18:19], s[14:15], -1
	s_and_b64 s[22:23], s[18:19], vcc
	s_and_saveexec_b64 s[18:19], s[22:23]
	s_cbranch_execz .LBB88_434
; %bb.433:
	v_ashrrev_i32_e32 v191, 31, v190
	v_lshl_add_u64 v[196:197], v[190:191], 2, v[188:189]
	global_load_dword v191, v[196:197], off
	global_load_dword v193, v[188:189], off offset:80
	s_waitcnt vmcnt(1)
	global_store_dword v[188:189], v191, off offset:80
	s_waitcnt vmcnt(1)
	global_store_dword v[196:197], v193, off
.LBB88_434:
	s_or_b64 exec, exec, s[18:19]
	v_mov_b32_e32 v193, v190
	v_mov_b32_e32 v195, v190
.LBB88_435:
	s_or_b64 exec, exec, s[16:17]
.LBB88_436:
	s_andn2_saveexec_b64 s[0:1], s[0:1]
	s_cbranch_execz .LBB88_438
; %bb.437:
	v_mov_b32_e32 v193, 20
	s_waitcnt vmcnt(23)
	ds_write2_b64 v192, v[88:89], v[90:91] offset0:42 offset1:43
	s_waitcnt vmcnt(22)
	ds_write2_b64 v192, v[84:85], v[86:87] offset0:44 offset1:45
	;; [unrolled: 2-line block ×24, first 2 shown]
.LBB88_438:
	s_or_b64 exec, exec, s[0:1]
	v_cmp_lt_i32_e32 vcc, 20, v193
	s_waitcnt lgkmcnt(0)
	s_barrier
	s_and_saveexec_b64 s[0:1], vcc
	s_cbranch_execz .LBB88_440
; %bb.439:
	ds_read2_b64 v[196:199], v192 offset0:42 offset1:43
	v_mul_f64 v[190:191], v[182:183], v[94:95]
	v_mul_f64 v[94:95], v[180:181], v[94:95]
	v_fma_f64 v[190:191], v[180:181], v[92:93], -v[190:191]
	v_fmac_f64_e32 v[94:95], v[182:183], v[92:93]
	ds_read2_b64 v[180:183], v192 offset0:44 offset1:45
	s_waitcnt lgkmcnt(1)
	v_mul_f64 v[92:93], v[198:199], v[94:95]
	v_fma_f64 v[92:93], v[196:197], v[190:191], -v[92:93]
	v_mul_f64 v[196:197], v[196:197], v[94:95]
	v_fmac_f64_e32 v[196:197], v[198:199], v[190:191]
	s_waitcnt vmcnt(23)
	v_add_f64 v[88:89], v[88:89], -v[92:93]
	s_waitcnt lgkmcnt(0)
	v_mul_f64 v[92:93], v[182:183], v[94:95]
	v_add_f64 v[90:91], v[90:91], -v[196:197]
	v_fma_f64 v[92:93], v[180:181], v[190:191], -v[92:93]
	v_mul_f64 v[180:181], v[180:181], v[94:95]
	ds_read2_b64 v[196:199], v192 offset0:46 offset1:47
	v_fmac_f64_e32 v[180:181], v[182:183], v[190:191]
	s_waitcnt vmcnt(22)
	v_add_f64 v[86:87], v[86:87], -v[180:181]
	ds_read2_b64 v[180:183], v192 offset0:48 offset1:49
	v_add_f64 v[84:85], v[84:85], -v[92:93]
	s_waitcnt lgkmcnt(1)
	v_mul_f64 v[92:93], v[198:199], v[94:95]
	v_fma_f64 v[92:93], v[196:197], v[190:191], -v[92:93]
	v_mul_f64 v[196:197], v[196:197], v[94:95]
	v_fmac_f64_e32 v[196:197], v[198:199], v[190:191]
	s_waitcnt vmcnt(21)
	v_add_f64 v[80:81], v[80:81], -v[92:93]
	s_waitcnt lgkmcnt(0)
	v_mul_f64 v[92:93], v[182:183], v[94:95]
	v_add_f64 v[82:83], v[82:83], -v[196:197]
	v_fma_f64 v[92:93], v[180:181], v[190:191], -v[92:93]
	v_mul_f64 v[180:181], v[180:181], v[94:95]
	ds_read2_b64 v[196:199], v192 offset0:50 offset1:51
	v_fmac_f64_e32 v[180:181], v[182:183], v[190:191]
	s_waitcnt vmcnt(20)
	v_add_f64 v[78:79], v[78:79], -v[180:181]
	ds_read2_b64 v[180:183], v192 offset0:52 offset1:53
	v_add_f64 v[76:77], v[76:77], -v[92:93]
	;; [unrolled: 18-line block ×11, first 2 shown]
	s_waitcnt lgkmcnt(1)
	v_mul_f64 v[92:93], v[198:199], v[94:95]
	v_fma_f64 v[92:93], v[196:197], v[190:191], -v[92:93]
	s_waitcnt vmcnt(1)
	v_add_f64 v[0:1], v[0:1], -v[92:93]
	s_waitcnt lgkmcnt(0)
	v_mul_f64 v[92:93], v[182:183], v[94:95]
	v_mul_f64 v[196:197], v[196:197], v[94:95]
	v_fma_f64 v[92:93], v[180:181], v[190:191], -v[92:93]
	v_mul_f64 v[180:181], v[180:181], v[94:95]
	v_fmac_f64_e32 v[196:197], v[198:199], v[190:191]
	v_fmac_f64_e32 v[180:181], v[182:183], v[190:191]
	v_add_f64 v[2:3], v[2:3], -v[196:197]
	s_waitcnt vmcnt(0)
	v_add_f64 v[176:177], v[176:177], -v[92:93]
	v_add_f64 v[178:179], v[178:179], -v[180:181]
	v_mov_b64_e32 v[92:93], v[190:191]
.LBB88_440:
	s_or_b64 exec, exec, s[0:1]
	v_lshl_add_u32 v180, v193, 4, v192
	s_barrier
	s_waitcnt vmcnt(23)
	ds_write2_b64 v180, v[88:89], v[90:91] offset1:1
	s_waitcnt lgkmcnt(0)
	s_barrier
	ds_read2_b64 v[180:183], v192 offset0:42 offset1:43
	s_cmp_lt_i32 s20, 23
	v_mov_b32_e32 v190, 21
	s_cbranch_scc1 .LBB88_443
; %bb.441:
	v_add_u32_e32 v191, 0x160, v192
	s_mov_b32 s16, 22
	v_mov_b32_e32 v190, 21
.LBB88_442:                             ; =>This Inner Loop Header: Depth=1
	ds_read2_b64 v[196:199], v191 offset1:1
	s_waitcnt lgkmcnt(1)
	v_xor_b32_e32 v201, 0x80000000, v181
	v_xor_b32_e32 v203, 0x80000000, v183
	v_cmp_gt_f64_e32 vcc, 0, v[182:183]
	v_cmp_gt_f64_e64 s[0:1], 0, v[180:181]
	v_mov_b32_e32 v200, v180
	v_mov_b32_e32 v202, v182
	v_cndmask_b32_e64 v201, v181, v201, s[0:1]
	v_cndmask_b32_e32 v203, v183, v203, vcc
	v_add_f64 v[200:201], v[200:201], v[202:203]
	s_waitcnt lgkmcnt(0)
	v_xor_b32_e32 v203, 0x80000000, v197
	v_xor_b32_e32 v205, 0x80000000, v199
	v_cmp_gt_f64_e32 vcc, 0, v[198:199]
	v_cmp_gt_f64_e64 s[0:1], 0, v[196:197]
	v_mov_b32_e32 v202, v196
	v_mov_b32_e32 v204, v198
	v_cndmask_b32_e64 v203, v197, v203, s[0:1]
	v_cndmask_b32_e32 v205, v199, v205, vcc
	v_add_f64 v[202:203], v[202:203], v[204:205]
	v_mov_b32_e32 v206, s16
	s_add_i32 s16, s16, 1
	v_cmp_lt_f64_e32 vcc, v[200:201], v[202:203]
	v_add_u32_e32 v191, 16, v191
	s_cmp_lg_u32 s20, s16
	v_cndmask_b32_e32 v181, v181, v197, vcc
	v_cndmask_b32_e32 v180, v180, v196, vcc
	;; [unrolled: 1-line block ×5, first 2 shown]
	s_cbranch_scc1 .LBB88_442
.LBB88_443:
	s_waitcnt lgkmcnt(0)
	v_cmp_eq_f64_e32 vcc, 0, v[180:181]
	v_cmp_eq_f64_e64 s[0:1], 0, v[182:183]
	s_and_b64 s[0:1], vcc, s[0:1]
	s_and_saveexec_b64 s[16:17], s[0:1]
	s_xor_b64 s[0:1], exec, s[16:17]
; %bb.444:
	v_cmp_ne_u32_e32 vcc, 0, v194
	s_nop 1
	v_cndmask_b32_e32 v194, 22, v194, vcc
; %bb.445:
	s_andn2_saveexec_b64 s[0:1], s[0:1]
	s_cbranch_execz .LBB88_451
; %bb.446:
	v_cmp_ngt_f64_e64 s[16:17], |v[180:181]|, |v[182:183]|
	s_and_saveexec_b64 s[18:19], s[16:17]
	s_xor_b64 s[16:17], exec, s[18:19]
	s_cbranch_execz .LBB88_448
; %bb.447:
	v_div_scale_f64 v[196:197], s[18:19], v[182:183], v[182:183], v[180:181]
	v_rcp_f64_e32 v[198:199], v[196:197]
	v_div_scale_f64 v[200:201], vcc, v[180:181], v[182:183], v[180:181]
	v_fma_f64 v[202:203], -v[196:197], v[198:199], 1.0
	v_fmac_f64_e32 v[198:199], v[198:199], v[202:203]
	v_fma_f64 v[202:203], -v[196:197], v[198:199], 1.0
	v_fmac_f64_e32 v[198:199], v[198:199], v[202:203]
	v_mul_f64 v[202:203], v[200:201], v[198:199]
	v_fma_f64 v[196:197], -v[196:197], v[202:203], v[200:201]
	v_div_fmas_f64 v[196:197], v[196:197], v[198:199], v[202:203]
	v_div_fixup_f64 v[196:197], v[196:197], v[182:183], v[180:181]
	v_fmac_f64_e32 v[182:183], v[180:181], v[196:197]
	v_div_scale_f64 v[180:181], s[18:19], v[182:183], v[182:183], 1.0
	v_rcp_f64_e32 v[198:199], v[180:181]
	s_nop 0
	v_fma_f64 v[200:201], -v[180:181], v[198:199], 1.0
	v_fmac_f64_e32 v[198:199], v[198:199], v[200:201]
	v_fma_f64 v[200:201], -v[180:181], v[198:199], 1.0
	v_fmac_f64_e32 v[198:199], v[198:199], v[200:201]
	v_div_scale_f64 v[200:201], vcc, 1.0, v[182:183], 1.0
	v_mul_f64 v[202:203], v[200:201], v[198:199]
	v_fma_f64 v[180:181], -v[180:181], v[202:203], v[200:201]
	s_nop 1
	v_div_fmas_f64 v[180:181], v[180:181], v[198:199], v[202:203]
	v_div_fixup_f64 v[182:183], v[180:181], v[182:183], 1.0
	v_mul_f64 v[180:181], v[196:197], v[182:183]
	v_xor_b32_e32 v183, 0x80000000, v183
.LBB88_448:
	s_andn2_saveexec_b64 s[16:17], s[16:17]
	s_cbranch_execz .LBB88_450
; %bb.449:
	v_div_scale_f64 v[196:197], s[18:19], v[180:181], v[180:181], v[182:183]
	v_rcp_f64_e32 v[198:199], v[196:197]
	v_div_scale_f64 v[200:201], vcc, v[182:183], v[180:181], v[182:183]
	v_fma_f64 v[202:203], -v[196:197], v[198:199], 1.0
	v_fmac_f64_e32 v[198:199], v[198:199], v[202:203]
	v_fma_f64 v[202:203], -v[196:197], v[198:199], 1.0
	v_fmac_f64_e32 v[198:199], v[198:199], v[202:203]
	v_mul_f64 v[202:203], v[200:201], v[198:199]
	v_fma_f64 v[196:197], -v[196:197], v[202:203], v[200:201]
	v_div_fmas_f64 v[196:197], v[196:197], v[198:199], v[202:203]
	v_div_fixup_f64 v[196:197], v[196:197], v[180:181], v[182:183]
	v_fmac_f64_e32 v[180:181], v[182:183], v[196:197]
	v_div_scale_f64 v[182:183], s[18:19], v[180:181], v[180:181], 1.0
	v_rcp_f64_e32 v[198:199], v[182:183]
	s_nop 0
	v_fma_f64 v[200:201], -v[182:183], v[198:199], 1.0
	v_fmac_f64_e32 v[198:199], v[198:199], v[200:201]
	v_fma_f64 v[200:201], -v[182:183], v[198:199], 1.0
	v_fmac_f64_e32 v[198:199], v[198:199], v[200:201]
	v_div_scale_f64 v[200:201], vcc, 1.0, v[180:181], 1.0
	v_mul_f64 v[202:203], v[200:201], v[198:199]
	v_fma_f64 v[182:183], -v[182:183], v[202:203], v[200:201]
	s_nop 1
	v_div_fmas_f64 v[182:183], v[182:183], v[198:199], v[202:203]
	v_div_fixup_f64 v[180:181], v[182:183], v[180:181], 1.0
	v_mul_f64 v[182:183], v[196:197], -v[180:181]
.LBB88_450:
	s_or_b64 exec, exec, s[16:17]
.LBB88_451:
	s_or_b64 exec, exec, s[0:1]
	v_cmp_ne_u32_e32 vcc, v193, v190
	s_and_saveexec_b64 s[0:1], vcc
	s_xor_b64 s[0:1], exec, s[0:1]
	s_cbranch_execz .LBB88_457
; %bb.452:
	v_cmp_eq_u32_e32 vcc, 21, v193
	s_and_saveexec_b64 s[16:17], vcc
	s_cbranch_execz .LBB88_456
; %bb.453:
	v_cmp_ne_u32_e32 vcc, 21, v190
	s_xor_b64 s[18:19], s[14:15], -1
	s_and_b64 s[22:23], s[18:19], vcc
	s_and_saveexec_b64 s[18:19], s[22:23]
	s_cbranch_execz .LBB88_455
; %bb.454:
	v_ashrrev_i32_e32 v191, 31, v190
	v_lshl_add_u64 v[196:197], v[190:191], 2, v[188:189]
	global_load_dword v191, v[196:197], off
	global_load_dword v193, v[188:189], off offset:84
	s_waitcnt vmcnt(1)
	global_store_dword v[188:189], v191, off offset:84
	s_waitcnt vmcnt(1)
	global_store_dword v[196:197], v193, off
.LBB88_455:
	s_or_b64 exec, exec, s[18:19]
	v_mov_b32_e32 v193, v190
	v_mov_b32_e32 v195, v190
.LBB88_456:
	s_or_b64 exec, exec, s[16:17]
.LBB88_457:
	s_andn2_saveexec_b64 s[0:1], s[0:1]
	s_cbranch_execz .LBB88_459
; %bb.458:
	v_mov_b32_e32 v193, 21
	s_waitcnt vmcnt(22)
	ds_write2_b64 v192, v[84:85], v[86:87] offset0:44 offset1:45
	s_waitcnt vmcnt(21)
	ds_write2_b64 v192, v[80:81], v[82:83] offset0:46 offset1:47
	;; [unrolled: 2-line block ×23, first 2 shown]
.LBB88_459:
	s_or_b64 exec, exec, s[0:1]
	v_cmp_lt_i32_e32 vcc, 21, v193
	s_waitcnt lgkmcnt(0)
	s_barrier
	s_and_saveexec_b64 s[0:1], vcc
	s_cbranch_execz .LBB88_461
; %bb.460:
	ds_read2_b64 v[196:199], v192 offset0:44 offset1:45
	v_mul_f64 v[190:191], v[182:183], v[90:91]
	v_mul_f64 v[90:91], v[180:181], v[90:91]
	v_fmac_f64_e32 v[90:91], v[182:183], v[88:89]
	v_fma_f64 v[190:191], v[180:181], v[88:89], -v[190:191]
	ds_read2_b64 v[180:183], v192 offset0:46 offset1:47
	s_waitcnt lgkmcnt(1)
	v_mul_f64 v[88:89], v[198:199], v[90:91]
	v_fma_f64 v[88:89], v[196:197], v[190:191], -v[88:89]
	v_mul_f64 v[196:197], v[196:197], v[90:91]
	v_fmac_f64_e32 v[196:197], v[198:199], v[190:191]
	s_waitcnt vmcnt(22)
	v_add_f64 v[86:87], v[86:87], -v[196:197]
	ds_read2_b64 v[196:199], v192 offset0:48 offset1:49
	v_add_f64 v[84:85], v[84:85], -v[88:89]
	s_waitcnt lgkmcnt(1)
	v_mul_f64 v[88:89], v[182:183], v[90:91]
	v_fma_f64 v[88:89], v[180:181], v[190:191], -v[88:89]
	v_mul_f64 v[180:181], v[180:181], v[90:91]
	v_fmac_f64_e32 v[180:181], v[182:183], v[190:191]
	s_waitcnt vmcnt(21)
	v_add_f64 v[80:81], v[80:81], -v[88:89]
	v_add_f64 v[82:83], v[82:83], -v[180:181]
	ds_read2_b64 v[180:183], v192 offset0:50 offset1:51
	s_waitcnt lgkmcnt(1)
	v_mul_f64 v[88:89], v[198:199], v[90:91]
	v_fma_f64 v[88:89], v[196:197], v[190:191], -v[88:89]
	v_mul_f64 v[196:197], v[196:197], v[90:91]
	v_fmac_f64_e32 v[196:197], v[198:199], v[190:191]
	s_waitcnt vmcnt(20)
	v_add_f64 v[78:79], v[78:79], -v[196:197]
	ds_read2_b64 v[196:199], v192 offset0:52 offset1:53
	v_add_f64 v[76:77], v[76:77], -v[88:89]
	s_waitcnt lgkmcnt(1)
	v_mul_f64 v[88:89], v[182:183], v[90:91]
	v_fma_f64 v[88:89], v[180:181], v[190:191], -v[88:89]
	v_mul_f64 v[180:181], v[180:181], v[90:91]
	v_fmac_f64_e32 v[180:181], v[182:183], v[190:191]
	s_waitcnt vmcnt(19)
	v_add_f64 v[72:73], v[72:73], -v[88:89]
	v_add_f64 v[74:75], v[74:75], -v[180:181]
	;; [unrolled: 18-line block ×11, first 2 shown]
	s_waitcnt lgkmcnt(0)
	v_mul_f64 v[88:89], v[198:199], v[90:91]
	v_mul_f64 v[180:181], v[196:197], v[90:91]
	v_fma_f64 v[88:89], v[196:197], v[190:191], -v[88:89]
	v_fmac_f64_e32 v[180:181], v[198:199], v[190:191]
	s_waitcnt vmcnt(0)
	v_add_f64 v[176:177], v[176:177], -v[88:89]
	v_add_f64 v[178:179], v[178:179], -v[180:181]
	v_mov_b64_e32 v[88:89], v[190:191]
.LBB88_461:
	s_or_b64 exec, exec, s[0:1]
	v_lshl_add_u32 v180, v193, 4, v192
	s_barrier
	s_waitcnt vmcnt(22)
	ds_write2_b64 v180, v[84:85], v[86:87] offset1:1
	s_waitcnt lgkmcnt(0)
	s_barrier
	ds_read2_b64 v[180:183], v192 offset0:44 offset1:45
	s_cmp_lt_i32 s20, 24
	v_mov_b32_e32 v190, 22
	s_cbranch_scc1 .LBB88_464
; %bb.462:
	v_add_u32_e32 v191, 0x170, v192
	s_mov_b32 s16, 23
	v_mov_b32_e32 v190, 22
.LBB88_463:                             ; =>This Inner Loop Header: Depth=1
	ds_read2_b64 v[196:199], v191 offset1:1
	s_waitcnt lgkmcnt(1)
	v_xor_b32_e32 v201, 0x80000000, v181
	v_xor_b32_e32 v203, 0x80000000, v183
	v_cmp_gt_f64_e32 vcc, 0, v[182:183]
	v_cmp_gt_f64_e64 s[0:1], 0, v[180:181]
	v_mov_b32_e32 v200, v180
	v_mov_b32_e32 v202, v182
	v_cndmask_b32_e64 v201, v181, v201, s[0:1]
	v_cndmask_b32_e32 v203, v183, v203, vcc
	v_add_f64 v[200:201], v[200:201], v[202:203]
	s_waitcnt lgkmcnt(0)
	v_xor_b32_e32 v203, 0x80000000, v197
	v_xor_b32_e32 v205, 0x80000000, v199
	v_cmp_gt_f64_e32 vcc, 0, v[198:199]
	v_cmp_gt_f64_e64 s[0:1], 0, v[196:197]
	v_mov_b32_e32 v202, v196
	v_mov_b32_e32 v204, v198
	v_cndmask_b32_e64 v203, v197, v203, s[0:1]
	v_cndmask_b32_e32 v205, v199, v205, vcc
	v_add_f64 v[202:203], v[202:203], v[204:205]
	v_mov_b32_e32 v206, s16
	s_add_i32 s16, s16, 1
	v_cmp_lt_f64_e32 vcc, v[200:201], v[202:203]
	v_add_u32_e32 v191, 16, v191
	s_cmp_lg_u32 s20, s16
	v_cndmask_b32_e32 v181, v181, v197, vcc
	v_cndmask_b32_e32 v180, v180, v196, vcc
	;; [unrolled: 1-line block ×5, first 2 shown]
	s_cbranch_scc1 .LBB88_463
.LBB88_464:
	s_waitcnt lgkmcnt(0)
	v_cmp_eq_f64_e32 vcc, 0, v[180:181]
	v_cmp_eq_f64_e64 s[0:1], 0, v[182:183]
	s_and_b64 s[0:1], vcc, s[0:1]
	s_and_saveexec_b64 s[16:17], s[0:1]
	s_xor_b64 s[0:1], exec, s[16:17]
; %bb.465:
	v_cmp_ne_u32_e32 vcc, 0, v194
	s_nop 1
	v_cndmask_b32_e32 v194, 23, v194, vcc
; %bb.466:
	s_andn2_saveexec_b64 s[0:1], s[0:1]
	s_cbranch_execz .LBB88_472
; %bb.467:
	v_cmp_ngt_f64_e64 s[16:17], |v[180:181]|, |v[182:183]|
	s_and_saveexec_b64 s[18:19], s[16:17]
	s_xor_b64 s[16:17], exec, s[18:19]
	s_cbranch_execz .LBB88_469
; %bb.468:
	v_div_scale_f64 v[196:197], s[18:19], v[182:183], v[182:183], v[180:181]
	v_rcp_f64_e32 v[198:199], v[196:197]
	v_div_scale_f64 v[200:201], vcc, v[180:181], v[182:183], v[180:181]
	v_fma_f64 v[202:203], -v[196:197], v[198:199], 1.0
	v_fmac_f64_e32 v[198:199], v[198:199], v[202:203]
	v_fma_f64 v[202:203], -v[196:197], v[198:199], 1.0
	v_fmac_f64_e32 v[198:199], v[198:199], v[202:203]
	v_mul_f64 v[202:203], v[200:201], v[198:199]
	v_fma_f64 v[196:197], -v[196:197], v[202:203], v[200:201]
	v_div_fmas_f64 v[196:197], v[196:197], v[198:199], v[202:203]
	v_div_fixup_f64 v[196:197], v[196:197], v[182:183], v[180:181]
	v_fmac_f64_e32 v[182:183], v[180:181], v[196:197]
	v_div_scale_f64 v[180:181], s[18:19], v[182:183], v[182:183], 1.0
	v_rcp_f64_e32 v[198:199], v[180:181]
	s_nop 0
	v_fma_f64 v[200:201], -v[180:181], v[198:199], 1.0
	v_fmac_f64_e32 v[198:199], v[198:199], v[200:201]
	v_fma_f64 v[200:201], -v[180:181], v[198:199], 1.0
	v_fmac_f64_e32 v[198:199], v[198:199], v[200:201]
	v_div_scale_f64 v[200:201], vcc, 1.0, v[182:183], 1.0
	v_mul_f64 v[202:203], v[200:201], v[198:199]
	v_fma_f64 v[180:181], -v[180:181], v[202:203], v[200:201]
	s_nop 1
	v_div_fmas_f64 v[180:181], v[180:181], v[198:199], v[202:203]
	v_div_fixup_f64 v[182:183], v[180:181], v[182:183], 1.0
	v_mul_f64 v[180:181], v[196:197], v[182:183]
	v_xor_b32_e32 v183, 0x80000000, v183
.LBB88_469:
	s_andn2_saveexec_b64 s[16:17], s[16:17]
	s_cbranch_execz .LBB88_471
; %bb.470:
	v_div_scale_f64 v[196:197], s[18:19], v[180:181], v[180:181], v[182:183]
	v_rcp_f64_e32 v[198:199], v[196:197]
	v_div_scale_f64 v[200:201], vcc, v[182:183], v[180:181], v[182:183]
	v_fma_f64 v[202:203], -v[196:197], v[198:199], 1.0
	v_fmac_f64_e32 v[198:199], v[198:199], v[202:203]
	v_fma_f64 v[202:203], -v[196:197], v[198:199], 1.0
	v_fmac_f64_e32 v[198:199], v[198:199], v[202:203]
	v_mul_f64 v[202:203], v[200:201], v[198:199]
	v_fma_f64 v[196:197], -v[196:197], v[202:203], v[200:201]
	v_div_fmas_f64 v[196:197], v[196:197], v[198:199], v[202:203]
	v_div_fixup_f64 v[196:197], v[196:197], v[180:181], v[182:183]
	v_fmac_f64_e32 v[180:181], v[182:183], v[196:197]
	v_div_scale_f64 v[182:183], s[18:19], v[180:181], v[180:181], 1.0
	v_rcp_f64_e32 v[198:199], v[182:183]
	s_nop 0
	v_fma_f64 v[200:201], -v[182:183], v[198:199], 1.0
	v_fmac_f64_e32 v[198:199], v[198:199], v[200:201]
	v_fma_f64 v[200:201], -v[182:183], v[198:199], 1.0
	v_fmac_f64_e32 v[198:199], v[198:199], v[200:201]
	v_div_scale_f64 v[200:201], vcc, 1.0, v[180:181], 1.0
	v_mul_f64 v[202:203], v[200:201], v[198:199]
	v_fma_f64 v[182:183], -v[182:183], v[202:203], v[200:201]
	s_nop 1
	v_div_fmas_f64 v[182:183], v[182:183], v[198:199], v[202:203]
	v_div_fixup_f64 v[180:181], v[182:183], v[180:181], 1.0
	v_mul_f64 v[182:183], v[196:197], -v[180:181]
.LBB88_471:
	s_or_b64 exec, exec, s[16:17]
.LBB88_472:
	s_or_b64 exec, exec, s[0:1]
	v_cmp_ne_u32_e32 vcc, v193, v190
	s_and_saveexec_b64 s[0:1], vcc
	s_xor_b64 s[0:1], exec, s[0:1]
	s_cbranch_execz .LBB88_478
; %bb.473:
	v_cmp_eq_u32_e32 vcc, 22, v193
	s_and_saveexec_b64 s[16:17], vcc
	s_cbranch_execz .LBB88_477
; %bb.474:
	v_cmp_ne_u32_e32 vcc, 22, v190
	s_xor_b64 s[18:19], s[14:15], -1
	s_and_b64 s[22:23], s[18:19], vcc
	s_and_saveexec_b64 s[18:19], s[22:23]
	s_cbranch_execz .LBB88_476
; %bb.475:
	v_ashrrev_i32_e32 v191, 31, v190
	v_lshl_add_u64 v[196:197], v[190:191], 2, v[188:189]
	global_load_dword v191, v[196:197], off
	global_load_dword v193, v[188:189], off offset:88
	s_waitcnt vmcnt(1)
	global_store_dword v[188:189], v191, off offset:88
	s_waitcnt vmcnt(1)
	global_store_dword v[196:197], v193, off
.LBB88_476:
	s_or_b64 exec, exec, s[18:19]
	v_mov_b32_e32 v193, v190
	v_mov_b32_e32 v195, v190
.LBB88_477:
	s_or_b64 exec, exec, s[16:17]
.LBB88_478:
	s_andn2_saveexec_b64 s[0:1], s[0:1]
	s_cbranch_execz .LBB88_480
; %bb.479:
	v_mov_b32_e32 v193, 22
	s_waitcnt vmcnt(21)
	ds_write2_b64 v192, v[80:81], v[82:83] offset0:46 offset1:47
	s_waitcnt vmcnt(20)
	ds_write2_b64 v192, v[76:77], v[78:79] offset0:48 offset1:49
	;; [unrolled: 2-line block ×22, first 2 shown]
.LBB88_480:
	s_or_b64 exec, exec, s[0:1]
	v_cmp_lt_i32_e32 vcc, 22, v193
	s_waitcnt lgkmcnt(0)
	s_barrier
	s_and_saveexec_b64 s[0:1], vcc
	s_cbranch_execz .LBB88_482
; %bb.481:
	ds_read2_b64 v[196:199], v192 offset0:46 offset1:47
	v_mul_f64 v[190:191], v[182:183], v[86:87]
	v_mul_f64 v[86:87], v[180:181], v[86:87]
	v_fma_f64 v[190:191], v[180:181], v[84:85], -v[190:191]
	v_fmac_f64_e32 v[86:87], v[182:183], v[84:85]
	ds_read2_b64 v[180:183], v192 offset0:48 offset1:49
	s_waitcnt lgkmcnt(1)
	v_mul_f64 v[84:85], v[198:199], v[86:87]
	v_fma_f64 v[84:85], v[196:197], v[190:191], -v[84:85]
	v_mul_f64 v[196:197], v[196:197], v[86:87]
	v_fmac_f64_e32 v[196:197], v[198:199], v[190:191]
	s_waitcnt vmcnt(21)
	v_add_f64 v[80:81], v[80:81], -v[84:85]
	s_waitcnt lgkmcnt(0)
	v_mul_f64 v[84:85], v[182:183], v[86:87]
	v_add_f64 v[82:83], v[82:83], -v[196:197]
	v_fma_f64 v[84:85], v[180:181], v[190:191], -v[84:85]
	v_mul_f64 v[180:181], v[180:181], v[86:87]
	ds_read2_b64 v[196:199], v192 offset0:50 offset1:51
	v_fmac_f64_e32 v[180:181], v[182:183], v[190:191]
	s_waitcnt vmcnt(20)
	v_add_f64 v[78:79], v[78:79], -v[180:181]
	ds_read2_b64 v[180:183], v192 offset0:52 offset1:53
	v_add_f64 v[76:77], v[76:77], -v[84:85]
	s_waitcnt lgkmcnt(1)
	v_mul_f64 v[84:85], v[198:199], v[86:87]
	v_fma_f64 v[84:85], v[196:197], v[190:191], -v[84:85]
	v_mul_f64 v[196:197], v[196:197], v[86:87]
	v_fmac_f64_e32 v[196:197], v[198:199], v[190:191]
	s_waitcnt vmcnt(19)
	v_add_f64 v[72:73], v[72:73], -v[84:85]
	s_waitcnt lgkmcnt(0)
	v_mul_f64 v[84:85], v[182:183], v[86:87]
	v_add_f64 v[74:75], v[74:75], -v[196:197]
	v_fma_f64 v[84:85], v[180:181], v[190:191], -v[84:85]
	v_mul_f64 v[180:181], v[180:181], v[86:87]
	ds_read2_b64 v[196:199], v192 offset0:54 offset1:55
	v_fmac_f64_e32 v[180:181], v[182:183], v[190:191]
	s_waitcnt vmcnt(18)
	v_add_f64 v[70:71], v[70:71], -v[180:181]
	ds_read2_b64 v[180:183], v192 offset0:56 offset1:57
	v_add_f64 v[68:69], v[68:69], -v[84:85]
	;; [unrolled: 18-line block ×10, first 2 shown]
	s_waitcnt lgkmcnt(1)
	v_mul_f64 v[84:85], v[198:199], v[86:87]
	v_fma_f64 v[84:85], v[196:197], v[190:191], -v[84:85]
	s_waitcnt vmcnt(1)
	v_add_f64 v[0:1], v[0:1], -v[84:85]
	s_waitcnt lgkmcnt(0)
	v_mul_f64 v[84:85], v[182:183], v[86:87]
	v_mul_f64 v[196:197], v[196:197], v[86:87]
	v_fma_f64 v[84:85], v[180:181], v[190:191], -v[84:85]
	v_mul_f64 v[180:181], v[180:181], v[86:87]
	v_fmac_f64_e32 v[196:197], v[198:199], v[190:191]
	v_fmac_f64_e32 v[180:181], v[182:183], v[190:191]
	v_add_f64 v[2:3], v[2:3], -v[196:197]
	s_waitcnt vmcnt(0)
	v_add_f64 v[176:177], v[176:177], -v[84:85]
	v_add_f64 v[178:179], v[178:179], -v[180:181]
	v_mov_b64_e32 v[84:85], v[190:191]
.LBB88_482:
	s_or_b64 exec, exec, s[0:1]
	v_lshl_add_u32 v180, v193, 4, v192
	s_barrier
	s_waitcnt vmcnt(21)
	ds_write2_b64 v180, v[80:81], v[82:83] offset1:1
	s_waitcnt lgkmcnt(0)
	s_barrier
	ds_read2_b64 v[180:183], v192 offset0:46 offset1:47
	s_cmp_lt_i32 s20, 25
	v_mov_b32_e32 v190, 23
	s_cbranch_scc1 .LBB88_485
; %bb.483:
	v_add_u32_e32 v191, 0x180, v192
	s_mov_b32 s16, 24
	v_mov_b32_e32 v190, 23
.LBB88_484:                             ; =>This Inner Loop Header: Depth=1
	ds_read2_b64 v[196:199], v191 offset1:1
	s_waitcnt lgkmcnt(1)
	v_xor_b32_e32 v201, 0x80000000, v181
	v_xor_b32_e32 v203, 0x80000000, v183
	v_cmp_gt_f64_e32 vcc, 0, v[182:183]
	v_cmp_gt_f64_e64 s[0:1], 0, v[180:181]
	v_mov_b32_e32 v200, v180
	v_mov_b32_e32 v202, v182
	v_cndmask_b32_e64 v201, v181, v201, s[0:1]
	v_cndmask_b32_e32 v203, v183, v203, vcc
	v_add_f64 v[200:201], v[200:201], v[202:203]
	s_waitcnt lgkmcnt(0)
	v_xor_b32_e32 v203, 0x80000000, v197
	v_xor_b32_e32 v205, 0x80000000, v199
	v_cmp_gt_f64_e32 vcc, 0, v[198:199]
	v_cmp_gt_f64_e64 s[0:1], 0, v[196:197]
	v_mov_b32_e32 v202, v196
	v_mov_b32_e32 v204, v198
	v_cndmask_b32_e64 v203, v197, v203, s[0:1]
	v_cndmask_b32_e32 v205, v199, v205, vcc
	v_add_f64 v[202:203], v[202:203], v[204:205]
	v_mov_b32_e32 v206, s16
	s_add_i32 s16, s16, 1
	v_cmp_lt_f64_e32 vcc, v[200:201], v[202:203]
	v_add_u32_e32 v191, 16, v191
	s_cmp_lg_u32 s20, s16
	v_cndmask_b32_e32 v181, v181, v197, vcc
	v_cndmask_b32_e32 v180, v180, v196, vcc
	v_cndmask_b32_e32 v183, v183, v199, vcc
	v_cndmask_b32_e32 v182, v182, v198, vcc
	v_cndmask_b32_e32 v190, v190, v206, vcc
	s_cbranch_scc1 .LBB88_484
.LBB88_485:
	s_waitcnt lgkmcnt(0)
	v_cmp_eq_f64_e32 vcc, 0, v[180:181]
	v_cmp_eq_f64_e64 s[0:1], 0, v[182:183]
	s_and_b64 s[0:1], vcc, s[0:1]
	s_and_saveexec_b64 s[16:17], s[0:1]
	s_xor_b64 s[0:1], exec, s[16:17]
; %bb.486:
	v_cmp_ne_u32_e32 vcc, 0, v194
	s_nop 1
	v_cndmask_b32_e32 v194, 24, v194, vcc
; %bb.487:
	s_andn2_saveexec_b64 s[0:1], s[0:1]
	s_cbranch_execz .LBB88_493
; %bb.488:
	v_cmp_ngt_f64_e64 s[16:17], |v[180:181]|, |v[182:183]|
	s_and_saveexec_b64 s[18:19], s[16:17]
	s_xor_b64 s[16:17], exec, s[18:19]
	s_cbranch_execz .LBB88_490
; %bb.489:
	v_div_scale_f64 v[196:197], s[18:19], v[182:183], v[182:183], v[180:181]
	v_rcp_f64_e32 v[198:199], v[196:197]
	v_div_scale_f64 v[200:201], vcc, v[180:181], v[182:183], v[180:181]
	v_fma_f64 v[202:203], -v[196:197], v[198:199], 1.0
	v_fmac_f64_e32 v[198:199], v[198:199], v[202:203]
	v_fma_f64 v[202:203], -v[196:197], v[198:199], 1.0
	v_fmac_f64_e32 v[198:199], v[198:199], v[202:203]
	v_mul_f64 v[202:203], v[200:201], v[198:199]
	v_fma_f64 v[196:197], -v[196:197], v[202:203], v[200:201]
	v_div_fmas_f64 v[196:197], v[196:197], v[198:199], v[202:203]
	v_div_fixup_f64 v[196:197], v[196:197], v[182:183], v[180:181]
	v_fmac_f64_e32 v[182:183], v[180:181], v[196:197]
	v_div_scale_f64 v[180:181], s[18:19], v[182:183], v[182:183], 1.0
	v_rcp_f64_e32 v[198:199], v[180:181]
	s_nop 0
	v_fma_f64 v[200:201], -v[180:181], v[198:199], 1.0
	v_fmac_f64_e32 v[198:199], v[198:199], v[200:201]
	v_fma_f64 v[200:201], -v[180:181], v[198:199], 1.0
	v_fmac_f64_e32 v[198:199], v[198:199], v[200:201]
	v_div_scale_f64 v[200:201], vcc, 1.0, v[182:183], 1.0
	v_mul_f64 v[202:203], v[200:201], v[198:199]
	v_fma_f64 v[180:181], -v[180:181], v[202:203], v[200:201]
	s_nop 1
	v_div_fmas_f64 v[180:181], v[180:181], v[198:199], v[202:203]
	v_div_fixup_f64 v[182:183], v[180:181], v[182:183], 1.0
	v_mul_f64 v[180:181], v[196:197], v[182:183]
	v_xor_b32_e32 v183, 0x80000000, v183
.LBB88_490:
	s_andn2_saveexec_b64 s[16:17], s[16:17]
	s_cbranch_execz .LBB88_492
; %bb.491:
	v_div_scale_f64 v[196:197], s[18:19], v[180:181], v[180:181], v[182:183]
	v_rcp_f64_e32 v[198:199], v[196:197]
	v_div_scale_f64 v[200:201], vcc, v[182:183], v[180:181], v[182:183]
	v_fma_f64 v[202:203], -v[196:197], v[198:199], 1.0
	v_fmac_f64_e32 v[198:199], v[198:199], v[202:203]
	v_fma_f64 v[202:203], -v[196:197], v[198:199], 1.0
	v_fmac_f64_e32 v[198:199], v[198:199], v[202:203]
	v_mul_f64 v[202:203], v[200:201], v[198:199]
	v_fma_f64 v[196:197], -v[196:197], v[202:203], v[200:201]
	v_div_fmas_f64 v[196:197], v[196:197], v[198:199], v[202:203]
	v_div_fixup_f64 v[196:197], v[196:197], v[180:181], v[182:183]
	v_fmac_f64_e32 v[180:181], v[182:183], v[196:197]
	v_div_scale_f64 v[182:183], s[18:19], v[180:181], v[180:181], 1.0
	v_rcp_f64_e32 v[198:199], v[182:183]
	s_nop 0
	v_fma_f64 v[200:201], -v[182:183], v[198:199], 1.0
	v_fmac_f64_e32 v[198:199], v[198:199], v[200:201]
	v_fma_f64 v[200:201], -v[182:183], v[198:199], 1.0
	v_fmac_f64_e32 v[198:199], v[198:199], v[200:201]
	v_div_scale_f64 v[200:201], vcc, 1.0, v[180:181], 1.0
	v_mul_f64 v[202:203], v[200:201], v[198:199]
	v_fma_f64 v[182:183], -v[182:183], v[202:203], v[200:201]
	s_nop 1
	v_div_fmas_f64 v[182:183], v[182:183], v[198:199], v[202:203]
	v_div_fixup_f64 v[180:181], v[182:183], v[180:181], 1.0
	v_mul_f64 v[182:183], v[196:197], -v[180:181]
.LBB88_492:
	s_or_b64 exec, exec, s[16:17]
.LBB88_493:
	s_or_b64 exec, exec, s[0:1]
	v_cmp_ne_u32_e32 vcc, v193, v190
	s_and_saveexec_b64 s[0:1], vcc
	s_xor_b64 s[0:1], exec, s[0:1]
	s_cbranch_execz .LBB88_499
; %bb.494:
	v_cmp_eq_u32_e32 vcc, 23, v193
	s_and_saveexec_b64 s[16:17], vcc
	s_cbranch_execz .LBB88_498
; %bb.495:
	v_cmp_ne_u32_e32 vcc, 23, v190
	s_xor_b64 s[18:19], s[14:15], -1
	s_and_b64 s[22:23], s[18:19], vcc
	s_and_saveexec_b64 s[18:19], s[22:23]
	s_cbranch_execz .LBB88_497
; %bb.496:
	v_ashrrev_i32_e32 v191, 31, v190
	v_lshl_add_u64 v[196:197], v[190:191], 2, v[188:189]
	global_load_dword v191, v[196:197], off
	global_load_dword v193, v[188:189], off offset:92
	s_waitcnt vmcnt(1)
	global_store_dword v[188:189], v191, off offset:92
	s_waitcnt vmcnt(1)
	global_store_dword v[196:197], v193, off
.LBB88_497:
	s_or_b64 exec, exec, s[18:19]
	v_mov_b32_e32 v193, v190
	v_mov_b32_e32 v195, v190
.LBB88_498:
	s_or_b64 exec, exec, s[16:17]
.LBB88_499:
	s_andn2_saveexec_b64 s[0:1], s[0:1]
	s_cbranch_execz .LBB88_501
; %bb.500:
	v_mov_b32_e32 v193, 23
	s_waitcnt vmcnt(20)
	ds_write2_b64 v192, v[76:77], v[78:79] offset0:48 offset1:49
	s_waitcnt vmcnt(19)
	ds_write2_b64 v192, v[72:73], v[74:75] offset0:50 offset1:51
	;; [unrolled: 2-line block ×21, first 2 shown]
.LBB88_501:
	s_or_b64 exec, exec, s[0:1]
	v_cmp_lt_i32_e32 vcc, 23, v193
	s_waitcnt lgkmcnt(0)
	s_barrier
	s_and_saveexec_b64 s[0:1], vcc
	s_cbranch_execz .LBB88_503
; %bb.502:
	ds_read2_b64 v[196:199], v192 offset0:48 offset1:49
	v_mul_f64 v[190:191], v[182:183], v[82:83]
	v_mul_f64 v[82:83], v[180:181], v[82:83]
	v_fmac_f64_e32 v[82:83], v[182:183], v[80:81]
	v_fma_f64 v[190:191], v[180:181], v[80:81], -v[190:191]
	ds_read2_b64 v[180:183], v192 offset0:50 offset1:51
	s_waitcnt lgkmcnt(1)
	v_mul_f64 v[80:81], v[198:199], v[82:83]
	v_fma_f64 v[80:81], v[196:197], v[190:191], -v[80:81]
	v_mul_f64 v[196:197], v[196:197], v[82:83]
	v_fmac_f64_e32 v[196:197], v[198:199], v[190:191]
	s_waitcnt vmcnt(20)
	v_add_f64 v[78:79], v[78:79], -v[196:197]
	ds_read2_b64 v[196:199], v192 offset0:52 offset1:53
	v_add_f64 v[76:77], v[76:77], -v[80:81]
	s_waitcnt lgkmcnt(1)
	v_mul_f64 v[80:81], v[182:183], v[82:83]
	v_fma_f64 v[80:81], v[180:181], v[190:191], -v[80:81]
	v_mul_f64 v[180:181], v[180:181], v[82:83]
	v_fmac_f64_e32 v[180:181], v[182:183], v[190:191]
	s_waitcnt vmcnt(19)
	v_add_f64 v[72:73], v[72:73], -v[80:81]
	v_add_f64 v[74:75], v[74:75], -v[180:181]
	ds_read2_b64 v[180:183], v192 offset0:54 offset1:55
	s_waitcnt lgkmcnt(1)
	v_mul_f64 v[80:81], v[198:199], v[82:83]
	v_fma_f64 v[80:81], v[196:197], v[190:191], -v[80:81]
	v_mul_f64 v[196:197], v[196:197], v[82:83]
	v_fmac_f64_e32 v[196:197], v[198:199], v[190:191]
	s_waitcnt vmcnt(18)
	v_add_f64 v[70:71], v[70:71], -v[196:197]
	ds_read2_b64 v[196:199], v192 offset0:56 offset1:57
	v_add_f64 v[68:69], v[68:69], -v[80:81]
	s_waitcnt lgkmcnt(1)
	v_mul_f64 v[80:81], v[182:183], v[82:83]
	v_fma_f64 v[80:81], v[180:181], v[190:191], -v[80:81]
	v_mul_f64 v[180:181], v[180:181], v[82:83]
	v_fmac_f64_e32 v[180:181], v[182:183], v[190:191]
	s_waitcnt vmcnt(17)
	v_add_f64 v[64:65], v[64:65], -v[80:81]
	v_add_f64 v[66:67], v[66:67], -v[180:181]
	;; [unrolled: 18-line block ×10, first 2 shown]
	s_waitcnt lgkmcnt(0)
	v_mul_f64 v[80:81], v[198:199], v[82:83]
	v_mul_f64 v[180:181], v[196:197], v[82:83]
	v_fma_f64 v[80:81], v[196:197], v[190:191], -v[80:81]
	v_fmac_f64_e32 v[180:181], v[198:199], v[190:191]
	s_waitcnt vmcnt(0)
	v_add_f64 v[176:177], v[176:177], -v[80:81]
	v_add_f64 v[178:179], v[178:179], -v[180:181]
	v_mov_b64_e32 v[80:81], v[190:191]
.LBB88_503:
	s_or_b64 exec, exec, s[0:1]
	v_lshl_add_u32 v180, v193, 4, v192
	s_barrier
	s_waitcnt vmcnt(20)
	ds_write2_b64 v180, v[76:77], v[78:79] offset1:1
	s_waitcnt lgkmcnt(0)
	s_barrier
	ds_read2_b64 v[180:183], v192 offset0:48 offset1:49
	s_cmp_lt_i32 s20, 26
	v_mov_b32_e32 v190, 24
	s_cbranch_scc1 .LBB88_506
; %bb.504:
	v_add_u32_e32 v191, 0x190, v192
	s_mov_b32 s16, 25
	v_mov_b32_e32 v190, 24
.LBB88_505:                             ; =>This Inner Loop Header: Depth=1
	ds_read2_b64 v[196:199], v191 offset1:1
	s_waitcnt lgkmcnt(1)
	v_xor_b32_e32 v201, 0x80000000, v181
	v_xor_b32_e32 v203, 0x80000000, v183
	v_cmp_gt_f64_e32 vcc, 0, v[182:183]
	v_cmp_gt_f64_e64 s[0:1], 0, v[180:181]
	v_mov_b32_e32 v200, v180
	v_mov_b32_e32 v202, v182
	v_cndmask_b32_e64 v201, v181, v201, s[0:1]
	v_cndmask_b32_e32 v203, v183, v203, vcc
	v_add_f64 v[200:201], v[200:201], v[202:203]
	s_waitcnt lgkmcnt(0)
	v_xor_b32_e32 v203, 0x80000000, v197
	v_xor_b32_e32 v205, 0x80000000, v199
	v_cmp_gt_f64_e32 vcc, 0, v[198:199]
	v_cmp_gt_f64_e64 s[0:1], 0, v[196:197]
	v_mov_b32_e32 v202, v196
	v_mov_b32_e32 v204, v198
	v_cndmask_b32_e64 v203, v197, v203, s[0:1]
	v_cndmask_b32_e32 v205, v199, v205, vcc
	v_add_f64 v[202:203], v[202:203], v[204:205]
	v_mov_b32_e32 v206, s16
	s_add_i32 s16, s16, 1
	v_cmp_lt_f64_e32 vcc, v[200:201], v[202:203]
	v_add_u32_e32 v191, 16, v191
	s_cmp_lg_u32 s20, s16
	v_cndmask_b32_e32 v181, v181, v197, vcc
	v_cndmask_b32_e32 v180, v180, v196, vcc
	;; [unrolled: 1-line block ×5, first 2 shown]
	s_cbranch_scc1 .LBB88_505
.LBB88_506:
	s_waitcnt lgkmcnt(0)
	v_cmp_eq_f64_e32 vcc, 0, v[180:181]
	v_cmp_eq_f64_e64 s[0:1], 0, v[182:183]
	s_and_b64 s[0:1], vcc, s[0:1]
	s_and_saveexec_b64 s[16:17], s[0:1]
	s_xor_b64 s[0:1], exec, s[16:17]
; %bb.507:
	v_cmp_ne_u32_e32 vcc, 0, v194
	s_nop 1
	v_cndmask_b32_e32 v194, 25, v194, vcc
; %bb.508:
	s_andn2_saveexec_b64 s[0:1], s[0:1]
	s_cbranch_execz .LBB88_514
; %bb.509:
	v_cmp_ngt_f64_e64 s[16:17], |v[180:181]|, |v[182:183]|
	s_and_saveexec_b64 s[18:19], s[16:17]
	s_xor_b64 s[16:17], exec, s[18:19]
	s_cbranch_execz .LBB88_511
; %bb.510:
	v_div_scale_f64 v[196:197], s[18:19], v[182:183], v[182:183], v[180:181]
	v_rcp_f64_e32 v[198:199], v[196:197]
	v_div_scale_f64 v[200:201], vcc, v[180:181], v[182:183], v[180:181]
	v_fma_f64 v[202:203], -v[196:197], v[198:199], 1.0
	v_fmac_f64_e32 v[198:199], v[198:199], v[202:203]
	v_fma_f64 v[202:203], -v[196:197], v[198:199], 1.0
	v_fmac_f64_e32 v[198:199], v[198:199], v[202:203]
	v_mul_f64 v[202:203], v[200:201], v[198:199]
	v_fma_f64 v[196:197], -v[196:197], v[202:203], v[200:201]
	v_div_fmas_f64 v[196:197], v[196:197], v[198:199], v[202:203]
	v_div_fixup_f64 v[196:197], v[196:197], v[182:183], v[180:181]
	v_fmac_f64_e32 v[182:183], v[180:181], v[196:197]
	v_div_scale_f64 v[180:181], s[18:19], v[182:183], v[182:183], 1.0
	v_rcp_f64_e32 v[198:199], v[180:181]
	s_nop 0
	v_fma_f64 v[200:201], -v[180:181], v[198:199], 1.0
	v_fmac_f64_e32 v[198:199], v[198:199], v[200:201]
	v_fma_f64 v[200:201], -v[180:181], v[198:199], 1.0
	v_fmac_f64_e32 v[198:199], v[198:199], v[200:201]
	v_div_scale_f64 v[200:201], vcc, 1.0, v[182:183], 1.0
	v_mul_f64 v[202:203], v[200:201], v[198:199]
	v_fma_f64 v[180:181], -v[180:181], v[202:203], v[200:201]
	s_nop 1
	v_div_fmas_f64 v[180:181], v[180:181], v[198:199], v[202:203]
	v_div_fixup_f64 v[182:183], v[180:181], v[182:183], 1.0
	v_mul_f64 v[180:181], v[196:197], v[182:183]
	v_xor_b32_e32 v183, 0x80000000, v183
.LBB88_511:
	s_andn2_saveexec_b64 s[16:17], s[16:17]
	s_cbranch_execz .LBB88_513
; %bb.512:
	v_div_scale_f64 v[196:197], s[18:19], v[180:181], v[180:181], v[182:183]
	v_rcp_f64_e32 v[198:199], v[196:197]
	v_div_scale_f64 v[200:201], vcc, v[182:183], v[180:181], v[182:183]
	v_fma_f64 v[202:203], -v[196:197], v[198:199], 1.0
	v_fmac_f64_e32 v[198:199], v[198:199], v[202:203]
	v_fma_f64 v[202:203], -v[196:197], v[198:199], 1.0
	v_fmac_f64_e32 v[198:199], v[198:199], v[202:203]
	v_mul_f64 v[202:203], v[200:201], v[198:199]
	v_fma_f64 v[196:197], -v[196:197], v[202:203], v[200:201]
	v_div_fmas_f64 v[196:197], v[196:197], v[198:199], v[202:203]
	v_div_fixup_f64 v[196:197], v[196:197], v[180:181], v[182:183]
	v_fmac_f64_e32 v[180:181], v[182:183], v[196:197]
	v_div_scale_f64 v[182:183], s[18:19], v[180:181], v[180:181], 1.0
	v_rcp_f64_e32 v[198:199], v[182:183]
	s_nop 0
	v_fma_f64 v[200:201], -v[182:183], v[198:199], 1.0
	v_fmac_f64_e32 v[198:199], v[198:199], v[200:201]
	v_fma_f64 v[200:201], -v[182:183], v[198:199], 1.0
	v_fmac_f64_e32 v[198:199], v[198:199], v[200:201]
	v_div_scale_f64 v[200:201], vcc, 1.0, v[180:181], 1.0
	v_mul_f64 v[202:203], v[200:201], v[198:199]
	v_fma_f64 v[182:183], -v[182:183], v[202:203], v[200:201]
	s_nop 1
	v_div_fmas_f64 v[182:183], v[182:183], v[198:199], v[202:203]
	v_div_fixup_f64 v[180:181], v[182:183], v[180:181], 1.0
	v_mul_f64 v[182:183], v[196:197], -v[180:181]
.LBB88_513:
	s_or_b64 exec, exec, s[16:17]
.LBB88_514:
	s_or_b64 exec, exec, s[0:1]
	v_cmp_ne_u32_e32 vcc, v193, v190
	s_and_saveexec_b64 s[0:1], vcc
	s_xor_b64 s[0:1], exec, s[0:1]
	s_cbranch_execz .LBB88_520
; %bb.515:
	v_cmp_eq_u32_e32 vcc, 24, v193
	s_and_saveexec_b64 s[16:17], vcc
	s_cbranch_execz .LBB88_519
; %bb.516:
	v_cmp_ne_u32_e32 vcc, 24, v190
	s_xor_b64 s[18:19], s[14:15], -1
	s_and_b64 s[22:23], s[18:19], vcc
	s_and_saveexec_b64 s[18:19], s[22:23]
	s_cbranch_execz .LBB88_518
; %bb.517:
	v_ashrrev_i32_e32 v191, 31, v190
	v_lshl_add_u64 v[196:197], v[190:191], 2, v[188:189]
	global_load_dword v191, v[196:197], off
	global_load_dword v193, v[188:189], off offset:96
	s_waitcnt vmcnt(1)
	global_store_dword v[188:189], v191, off offset:96
	s_waitcnt vmcnt(1)
	global_store_dword v[196:197], v193, off
.LBB88_518:
	s_or_b64 exec, exec, s[18:19]
	v_mov_b32_e32 v193, v190
	v_mov_b32_e32 v195, v190
.LBB88_519:
	s_or_b64 exec, exec, s[16:17]
.LBB88_520:
	s_andn2_saveexec_b64 s[0:1], s[0:1]
	s_cbranch_execz .LBB88_522
; %bb.521:
	v_mov_b32_e32 v193, 24
	s_waitcnt vmcnt(19)
	ds_write2_b64 v192, v[72:73], v[74:75] offset0:50 offset1:51
	s_waitcnt vmcnt(18)
	ds_write2_b64 v192, v[68:69], v[70:71] offset0:52 offset1:53
	;; [unrolled: 2-line block ×20, first 2 shown]
.LBB88_522:
	s_or_b64 exec, exec, s[0:1]
	v_cmp_lt_i32_e32 vcc, 24, v193
	s_waitcnt lgkmcnt(0)
	s_barrier
	s_and_saveexec_b64 s[0:1], vcc
	s_cbranch_execz .LBB88_524
; %bb.523:
	ds_read2_b64 v[196:199], v192 offset0:50 offset1:51
	v_mul_f64 v[190:191], v[182:183], v[78:79]
	v_mul_f64 v[78:79], v[180:181], v[78:79]
	v_fma_f64 v[190:191], v[180:181], v[76:77], -v[190:191]
	v_fmac_f64_e32 v[78:79], v[182:183], v[76:77]
	ds_read2_b64 v[180:183], v192 offset0:52 offset1:53
	s_waitcnt lgkmcnt(1)
	v_mul_f64 v[76:77], v[198:199], v[78:79]
	v_fma_f64 v[76:77], v[196:197], v[190:191], -v[76:77]
	v_mul_f64 v[196:197], v[196:197], v[78:79]
	v_fmac_f64_e32 v[196:197], v[198:199], v[190:191]
	s_waitcnt vmcnt(19)
	v_add_f64 v[72:73], v[72:73], -v[76:77]
	s_waitcnt lgkmcnt(0)
	v_mul_f64 v[76:77], v[182:183], v[78:79]
	v_add_f64 v[74:75], v[74:75], -v[196:197]
	v_fma_f64 v[76:77], v[180:181], v[190:191], -v[76:77]
	v_mul_f64 v[180:181], v[180:181], v[78:79]
	ds_read2_b64 v[196:199], v192 offset0:54 offset1:55
	v_fmac_f64_e32 v[180:181], v[182:183], v[190:191]
	s_waitcnt vmcnt(18)
	v_add_f64 v[70:71], v[70:71], -v[180:181]
	ds_read2_b64 v[180:183], v192 offset0:56 offset1:57
	v_add_f64 v[68:69], v[68:69], -v[76:77]
	s_waitcnt lgkmcnt(1)
	v_mul_f64 v[76:77], v[198:199], v[78:79]
	v_fma_f64 v[76:77], v[196:197], v[190:191], -v[76:77]
	v_mul_f64 v[196:197], v[196:197], v[78:79]
	v_fmac_f64_e32 v[196:197], v[198:199], v[190:191]
	s_waitcnt vmcnt(17)
	v_add_f64 v[64:65], v[64:65], -v[76:77]
	s_waitcnt lgkmcnt(0)
	v_mul_f64 v[76:77], v[182:183], v[78:79]
	v_add_f64 v[66:67], v[66:67], -v[196:197]
	v_fma_f64 v[76:77], v[180:181], v[190:191], -v[76:77]
	v_mul_f64 v[180:181], v[180:181], v[78:79]
	ds_read2_b64 v[196:199], v192 offset0:58 offset1:59
	v_fmac_f64_e32 v[180:181], v[182:183], v[190:191]
	s_waitcnt vmcnt(16)
	v_add_f64 v[62:63], v[62:63], -v[180:181]
	ds_read2_b64 v[180:183], v192 offset0:60 offset1:61
	v_add_f64 v[60:61], v[60:61], -v[76:77]
	;; [unrolled: 18-line block ×9, first 2 shown]
	s_waitcnt lgkmcnt(1)
	v_mul_f64 v[76:77], v[198:199], v[78:79]
	v_fma_f64 v[76:77], v[196:197], v[190:191], -v[76:77]
	s_waitcnt vmcnt(1)
	v_add_f64 v[0:1], v[0:1], -v[76:77]
	s_waitcnt lgkmcnt(0)
	v_mul_f64 v[76:77], v[182:183], v[78:79]
	v_mul_f64 v[196:197], v[196:197], v[78:79]
	v_fma_f64 v[76:77], v[180:181], v[190:191], -v[76:77]
	v_mul_f64 v[180:181], v[180:181], v[78:79]
	v_fmac_f64_e32 v[196:197], v[198:199], v[190:191]
	v_fmac_f64_e32 v[180:181], v[182:183], v[190:191]
	v_add_f64 v[2:3], v[2:3], -v[196:197]
	s_waitcnt vmcnt(0)
	v_add_f64 v[176:177], v[176:177], -v[76:77]
	v_add_f64 v[178:179], v[178:179], -v[180:181]
	v_mov_b64_e32 v[76:77], v[190:191]
.LBB88_524:
	s_or_b64 exec, exec, s[0:1]
	v_lshl_add_u32 v180, v193, 4, v192
	s_barrier
	s_waitcnt vmcnt(19)
	ds_write2_b64 v180, v[72:73], v[74:75] offset1:1
	s_waitcnt lgkmcnt(0)
	s_barrier
	ds_read2_b64 v[180:183], v192 offset0:50 offset1:51
	s_cmp_lt_i32 s20, 27
	v_mov_b32_e32 v190, 25
	s_cbranch_scc1 .LBB88_527
; %bb.525:
	v_add_u32_e32 v191, 0x1a0, v192
	s_mov_b32 s16, 26
	v_mov_b32_e32 v190, 25
.LBB88_526:                             ; =>This Inner Loop Header: Depth=1
	ds_read2_b64 v[196:199], v191 offset1:1
	s_waitcnt lgkmcnt(1)
	v_xor_b32_e32 v201, 0x80000000, v181
	v_xor_b32_e32 v203, 0x80000000, v183
	v_cmp_gt_f64_e32 vcc, 0, v[182:183]
	v_cmp_gt_f64_e64 s[0:1], 0, v[180:181]
	v_mov_b32_e32 v200, v180
	v_mov_b32_e32 v202, v182
	v_cndmask_b32_e64 v201, v181, v201, s[0:1]
	v_cndmask_b32_e32 v203, v183, v203, vcc
	v_add_f64 v[200:201], v[200:201], v[202:203]
	s_waitcnt lgkmcnt(0)
	v_xor_b32_e32 v203, 0x80000000, v197
	v_xor_b32_e32 v205, 0x80000000, v199
	v_cmp_gt_f64_e32 vcc, 0, v[198:199]
	v_cmp_gt_f64_e64 s[0:1], 0, v[196:197]
	v_mov_b32_e32 v202, v196
	v_mov_b32_e32 v204, v198
	v_cndmask_b32_e64 v203, v197, v203, s[0:1]
	v_cndmask_b32_e32 v205, v199, v205, vcc
	v_add_f64 v[202:203], v[202:203], v[204:205]
	v_mov_b32_e32 v206, s16
	s_add_i32 s16, s16, 1
	v_cmp_lt_f64_e32 vcc, v[200:201], v[202:203]
	v_add_u32_e32 v191, 16, v191
	s_cmp_lg_u32 s20, s16
	v_cndmask_b32_e32 v181, v181, v197, vcc
	v_cndmask_b32_e32 v180, v180, v196, vcc
	;; [unrolled: 1-line block ×5, first 2 shown]
	s_cbranch_scc1 .LBB88_526
.LBB88_527:
	s_waitcnt lgkmcnt(0)
	v_cmp_eq_f64_e32 vcc, 0, v[180:181]
	v_cmp_eq_f64_e64 s[0:1], 0, v[182:183]
	s_and_b64 s[0:1], vcc, s[0:1]
	s_and_saveexec_b64 s[16:17], s[0:1]
	s_xor_b64 s[0:1], exec, s[16:17]
; %bb.528:
	v_cmp_ne_u32_e32 vcc, 0, v194
	s_nop 1
	v_cndmask_b32_e32 v194, 26, v194, vcc
; %bb.529:
	s_andn2_saveexec_b64 s[0:1], s[0:1]
	s_cbranch_execz .LBB88_535
; %bb.530:
	v_cmp_ngt_f64_e64 s[16:17], |v[180:181]|, |v[182:183]|
	s_and_saveexec_b64 s[18:19], s[16:17]
	s_xor_b64 s[16:17], exec, s[18:19]
	s_cbranch_execz .LBB88_532
; %bb.531:
	v_div_scale_f64 v[196:197], s[18:19], v[182:183], v[182:183], v[180:181]
	v_rcp_f64_e32 v[198:199], v[196:197]
	v_div_scale_f64 v[200:201], vcc, v[180:181], v[182:183], v[180:181]
	v_fma_f64 v[202:203], -v[196:197], v[198:199], 1.0
	v_fmac_f64_e32 v[198:199], v[198:199], v[202:203]
	v_fma_f64 v[202:203], -v[196:197], v[198:199], 1.0
	v_fmac_f64_e32 v[198:199], v[198:199], v[202:203]
	v_mul_f64 v[202:203], v[200:201], v[198:199]
	v_fma_f64 v[196:197], -v[196:197], v[202:203], v[200:201]
	v_div_fmas_f64 v[196:197], v[196:197], v[198:199], v[202:203]
	v_div_fixup_f64 v[196:197], v[196:197], v[182:183], v[180:181]
	v_fmac_f64_e32 v[182:183], v[180:181], v[196:197]
	v_div_scale_f64 v[180:181], s[18:19], v[182:183], v[182:183], 1.0
	v_rcp_f64_e32 v[198:199], v[180:181]
	s_nop 0
	v_fma_f64 v[200:201], -v[180:181], v[198:199], 1.0
	v_fmac_f64_e32 v[198:199], v[198:199], v[200:201]
	v_fma_f64 v[200:201], -v[180:181], v[198:199], 1.0
	v_fmac_f64_e32 v[198:199], v[198:199], v[200:201]
	v_div_scale_f64 v[200:201], vcc, 1.0, v[182:183], 1.0
	v_mul_f64 v[202:203], v[200:201], v[198:199]
	v_fma_f64 v[180:181], -v[180:181], v[202:203], v[200:201]
	s_nop 1
	v_div_fmas_f64 v[180:181], v[180:181], v[198:199], v[202:203]
	v_div_fixup_f64 v[182:183], v[180:181], v[182:183], 1.0
	v_mul_f64 v[180:181], v[196:197], v[182:183]
	v_xor_b32_e32 v183, 0x80000000, v183
.LBB88_532:
	s_andn2_saveexec_b64 s[16:17], s[16:17]
	s_cbranch_execz .LBB88_534
; %bb.533:
	v_div_scale_f64 v[196:197], s[18:19], v[180:181], v[180:181], v[182:183]
	v_rcp_f64_e32 v[198:199], v[196:197]
	v_div_scale_f64 v[200:201], vcc, v[182:183], v[180:181], v[182:183]
	v_fma_f64 v[202:203], -v[196:197], v[198:199], 1.0
	v_fmac_f64_e32 v[198:199], v[198:199], v[202:203]
	v_fma_f64 v[202:203], -v[196:197], v[198:199], 1.0
	v_fmac_f64_e32 v[198:199], v[198:199], v[202:203]
	v_mul_f64 v[202:203], v[200:201], v[198:199]
	v_fma_f64 v[196:197], -v[196:197], v[202:203], v[200:201]
	v_div_fmas_f64 v[196:197], v[196:197], v[198:199], v[202:203]
	v_div_fixup_f64 v[196:197], v[196:197], v[180:181], v[182:183]
	v_fmac_f64_e32 v[180:181], v[182:183], v[196:197]
	v_div_scale_f64 v[182:183], s[18:19], v[180:181], v[180:181], 1.0
	v_rcp_f64_e32 v[198:199], v[182:183]
	s_nop 0
	v_fma_f64 v[200:201], -v[182:183], v[198:199], 1.0
	v_fmac_f64_e32 v[198:199], v[198:199], v[200:201]
	v_fma_f64 v[200:201], -v[182:183], v[198:199], 1.0
	v_fmac_f64_e32 v[198:199], v[198:199], v[200:201]
	v_div_scale_f64 v[200:201], vcc, 1.0, v[180:181], 1.0
	v_mul_f64 v[202:203], v[200:201], v[198:199]
	v_fma_f64 v[182:183], -v[182:183], v[202:203], v[200:201]
	s_nop 1
	v_div_fmas_f64 v[182:183], v[182:183], v[198:199], v[202:203]
	v_div_fixup_f64 v[180:181], v[182:183], v[180:181], 1.0
	v_mul_f64 v[182:183], v[196:197], -v[180:181]
.LBB88_534:
	s_or_b64 exec, exec, s[16:17]
.LBB88_535:
	s_or_b64 exec, exec, s[0:1]
	v_cmp_ne_u32_e32 vcc, v193, v190
	s_and_saveexec_b64 s[0:1], vcc
	s_xor_b64 s[0:1], exec, s[0:1]
	s_cbranch_execz .LBB88_541
; %bb.536:
	v_cmp_eq_u32_e32 vcc, 25, v193
	s_and_saveexec_b64 s[16:17], vcc
	s_cbranch_execz .LBB88_540
; %bb.537:
	v_cmp_ne_u32_e32 vcc, 25, v190
	s_xor_b64 s[18:19], s[14:15], -1
	s_and_b64 s[22:23], s[18:19], vcc
	s_and_saveexec_b64 s[18:19], s[22:23]
	s_cbranch_execz .LBB88_539
; %bb.538:
	v_ashrrev_i32_e32 v191, 31, v190
	v_lshl_add_u64 v[196:197], v[190:191], 2, v[188:189]
	global_load_dword v191, v[196:197], off
	global_load_dword v193, v[188:189], off offset:100
	s_waitcnt vmcnt(1)
	global_store_dword v[188:189], v191, off offset:100
	s_waitcnt vmcnt(1)
	global_store_dword v[196:197], v193, off
.LBB88_539:
	s_or_b64 exec, exec, s[18:19]
	v_mov_b32_e32 v193, v190
	v_mov_b32_e32 v195, v190
.LBB88_540:
	s_or_b64 exec, exec, s[16:17]
.LBB88_541:
	s_andn2_saveexec_b64 s[0:1], s[0:1]
	s_cbranch_execz .LBB88_543
; %bb.542:
	v_mov_b32_e32 v193, 25
	s_waitcnt vmcnt(18)
	ds_write2_b64 v192, v[68:69], v[70:71] offset0:52 offset1:53
	s_waitcnt vmcnt(17)
	ds_write2_b64 v192, v[64:65], v[66:67] offset0:54 offset1:55
	;; [unrolled: 2-line block ×19, first 2 shown]
.LBB88_543:
	s_or_b64 exec, exec, s[0:1]
	v_cmp_lt_i32_e32 vcc, 25, v193
	s_waitcnt lgkmcnt(0)
	s_barrier
	s_and_saveexec_b64 s[0:1], vcc
	s_cbranch_execz .LBB88_545
; %bb.544:
	ds_read2_b64 v[196:199], v192 offset0:52 offset1:53
	v_mul_f64 v[190:191], v[182:183], v[74:75]
	v_mul_f64 v[74:75], v[180:181], v[74:75]
	v_fmac_f64_e32 v[74:75], v[182:183], v[72:73]
	v_fma_f64 v[190:191], v[180:181], v[72:73], -v[190:191]
	ds_read2_b64 v[180:183], v192 offset0:54 offset1:55
	s_waitcnt lgkmcnt(1)
	v_mul_f64 v[72:73], v[198:199], v[74:75]
	v_fma_f64 v[72:73], v[196:197], v[190:191], -v[72:73]
	v_mul_f64 v[196:197], v[196:197], v[74:75]
	v_fmac_f64_e32 v[196:197], v[198:199], v[190:191]
	s_waitcnt vmcnt(18)
	v_add_f64 v[70:71], v[70:71], -v[196:197]
	ds_read2_b64 v[196:199], v192 offset0:56 offset1:57
	v_add_f64 v[68:69], v[68:69], -v[72:73]
	s_waitcnt lgkmcnt(1)
	v_mul_f64 v[72:73], v[182:183], v[74:75]
	v_fma_f64 v[72:73], v[180:181], v[190:191], -v[72:73]
	v_mul_f64 v[180:181], v[180:181], v[74:75]
	v_fmac_f64_e32 v[180:181], v[182:183], v[190:191]
	s_waitcnt vmcnt(17)
	v_add_f64 v[64:65], v[64:65], -v[72:73]
	v_add_f64 v[66:67], v[66:67], -v[180:181]
	ds_read2_b64 v[180:183], v192 offset0:58 offset1:59
	s_waitcnt lgkmcnt(1)
	v_mul_f64 v[72:73], v[198:199], v[74:75]
	v_fma_f64 v[72:73], v[196:197], v[190:191], -v[72:73]
	v_mul_f64 v[196:197], v[196:197], v[74:75]
	v_fmac_f64_e32 v[196:197], v[198:199], v[190:191]
	s_waitcnt vmcnt(16)
	v_add_f64 v[62:63], v[62:63], -v[196:197]
	ds_read2_b64 v[196:199], v192 offset0:60 offset1:61
	v_add_f64 v[60:61], v[60:61], -v[72:73]
	s_waitcnt lgkmcnt(1)
	v_mul_f64 v[72:73], v[182:183], v[74:75]
	v_fma_f64 v[72:73], v[180:181], v[190:191], -v[72:73]
	v_mul_f64 v[180:181], v[180:181], v[74:75]
	v_fmac_f64_e32 v[180:181], v[182:183], v[190:191]
	s_waitcnt vmcnt(15)
	v_add_f64 v[56:57], v[56:57], -v[72:73]
	v_add_f64 v[58:59], v[58:59], -v[180:181]
	;; [unrolled: 18-line block ×9, first 2 shown]
	s_waitcnt lgkmcnt(0)
	v_mul_f64 v[72:73], v[198:199], v[74:75]
	v_mul_f64 v[180:181], v[196:197], v[74:75]
	v_fma_f64 v[72:73], v[196:197], v[190:191], -v[72:73]
	v_fmac_f64_e32 v[180:181], v[198:199], v[190:191]
	s_waitcnt vmcnt(0)
	v_add_f64 v[176:177], v[176:177], -v[72:73]
	v_add_f64 v[178:179], v[178:179], -v[180:181]
	v_mov_b64_e32 v[72:73], v[190:191]
.LBB88_545:
	s_or_b64 exec, exec, s[0:1]
	v_lshl_add_u32 v180, v193, 4, v192
	s_barrier
	s_waitcnt vmcnt(18)
	ds_write2_b64 v180, v[68:69], v[70:71] offset1:1
	s_waitcnt lgkmcnt(0)
	s_barrier
	ds_read2_b64 v[180:183], v192 offset0:52 offset1:53
	s_cmp_lt_i32 s20, 28
	v_mov_b32_e32 v190, 26
	s_cbranch_scc1 .LBB88_548
; %bb.546:
	v_add_u32_e32 v191, 0x1b0, v192
	s_mov_b32 s16, 27
	v_mov_b32_e32 v190, 26
.LBB88_547:                             ; =>This Inner Loop Header: Depth=1
	ds_read2_b64 v[196:199], v191 offset1:1
	s_waitcnt lgkmcnt(1)
	v_xor_b32_e32 v201, 0x80000000, v181
	v_xor_b32_e32 v203, 0x80000000, v183
	v_cmp_gt_f64_e32 vcc, 0, v[182:183]
	v_cmp_gt_f64_e64 s[0:1], 0, v[180:181]
	v_mov_b32_e32 v200, v180
	v_mov_b32_e32 v202, v182
	v_cndmask_b32_e64 v201, v181, v201, s[0:1]
	v_cndmask_b32_e32 v203, v183, v203, vcc
	v_add_f64 v[200:201], v[200:201], v[202:203]
	s_waitcnt lgkmcnt(0)
	v_xor_b32_e32 v203, 0x80000000, v197
	v_xor_b32_e32 v205, 0x80000000, v199
	v_cmp_gt_f64_e32 vcc, 0, v[198:199]
	v_cmp_gt_f64_e64 s[0:1], 0, v[196:197]
	v_mov_b32_e32 v202, v196
	v_mov_b32_e32 v204, v198
	v_cndmask_b32_e64 v203, v197, v203, s[0:1]
	v_cndmask_b32_e32 v205, v199, v205, vcc
	v_add_f64 v[202:203], v[202:203], v[204:205]
	v_mov_b32_e32 v206, s16
	s_add_i32 s16, s16, 1
	v_cmp_lt_f64_e32 vcc, v[200:201], v[202:203]
	v_add_u32_e32 v191, 16, v191
	s_cmp_lg_u32 s20, s16
	v_cndmask_b32_e32 v181, v181, v197, vcc
	v_cndmask_b32_e32 v180, v180, v196, vcc
	;; [unrolled: 1-line block ×5, first 2 shown]
	s_cbranch_scc1 .LBB88_547
.LBB88_548:
	s_waitcnt lgkmcnt(0)
	v_cmp_eq_f64_e32 vcc, 0, v[180:181]
	v_cmp_eq_f64_e64 s[0:1], 0, v[182:183]
	s_and_b64 s[0:1], vcc, s[0:1]
	s_and_saveexec_b64 s[16:17], s[0:1]
	s_xor_b64 s[0:1], exec, s[16:17]
; %bb.549:
	v_cmp_ne_u32_e32 vcc, 0, v194
	s_nop 1
	v_cndmask_b32_e32 v194, 27, v194, vcc
; %bb.550:
	s_andn2_saveexec_b64 s[0:1], s[0:1]
	s_cbranch_execz .LBB88_556
; %bb.551:
	v_cmp_ngt_f64_e64 s[16:17], |v[180:181]|, |v[182:183]|
	s_and_saveexec_b64 s[18:19], s[16:17]
	s_xor_b64 s[16:17], exec, s[18:19]
	s_cbranch_execz .LBB88_553
; %bb.552:
	v_div_scale_f64 v[196:197], s[18:19], v[182:183], v[182:183], v[180:181]
	v_rcp_f64_e32 v[198:199], v[196:197]
	v_div_scale_f64 v[200:201], vcc, v[180:181], v[182:183], v[180:181]
	v_fma_f64 v[202:203], -v[196:197], v[198:199], 1.0
	v_fmac_f64_e32 v[198:199], v[198:199], v[202:203]
	v_fma_f64 v[202:203], -v[196:197], v[198:199], 1.0
	v_fmac_f64_e32 v[198:199], v[198:199], v[202:203]
	v_mul_f64 v[202:203], v[200:201], v[198:199]
	v_fma_f64 v[196:197], -v[196:197], v[202:203], v[200:201]
	v_div_fmas_f64 v[196:197], v[196:197], v[198:199], v[202:203]
	v_div_fixup_f64 v[196:197], v[196:197], v[182:183], v[180:181]
	v_fmac_f64_e32 v[182:183], v[180:181], v[196:197]
	v_div_scale_f64 v[180:181], s[18:19], v[182:183], v[182:183], 1.0
	v_rcp_f64_e32 v[198:199], v[180:181]
	s_nop 0
	v_fma_f64 v[200:201], -v[180:181], v[198:199], 1.0
	v_fmac_f64_e32 v[198:199], v[198:199], v[200:201]
	v_fma_f64 v[200:201], -v[180:181], v[198:199], 1.0
	v_fmac_f64_e32 v[198:199], v[198:199], v[200:201]
	v_div_scale_f64 v[200:201], vcc, 1.0, v[182:183], 1.0
	v_mul_f64 v[202:203], v[200:201], v[198:199]
	v_fma_f64 v[180:181], -v[180:181], v[202:203], v[200:201]
	s_nop 1
	v_div_fmas_f64 v[180:181], v[180:181], v[198:199], v[202:203]
	v_div_fixup_f64 v[182:183], v[180:181], v[182:183], 1.0
	v_mul_f64 v[180:181], v[196:197], v[182:183]
	v_xor_b32_e32 v183, 0x80000000, v183
.LBB88_553:
	s_andn2_saveexec_b64 s[16:17], s[16:17]
	s_cbranch_execz .LBB88_555
; %bb.554:
	v_div_scale_f64 v[196:197], s[18:19], v[180:181], v[180:181], v[182:183]
	v_rcp_f64_e32 v[198:199], v[196:197]
	v_div_scale_f64 v[200:201], vcc, v[182:183], v[180:181], v[182:183]
	v_fma_f64 v[202:203], -v[196:197], v[198:199], 1.0
	v_fmac_f64_e32 v[198:199], v[198:199], v[202:203]
	v_fma_f64 v[202:203], -v[196:197], v[198:199], 1.0
	v_fmac_f64_e32 v[198:199], v[198:199], v[202:203]
	v_mul_f64 v[202:203], v[200:201], v[198:199]
	v_fma_f64 v[196:197], -v[196:197], v[202:203], v[200:201]
	v_div_fmas_f64 v[196:197], v[196:197], v[198:199], v[202:203]
	v_div_fixup_f64 v[196:197], v[196:197], v[180:181], v[182:183]
	v_fmac_f64_e32 v[180:181], v[182:183], v[196:197]
	v_div_scale_f64 v[182:183], s[18:19], v[180:181], v[180:181], 1.0
	v_rcp_f64_e32 v[198:199], v[182:183]
	s_nop 0
	v_fma_f64 v[200:201], -v[182:183], v[198:199], 1.0
	v_fmac_f64_e32 v[198:199], v[198:199], v[200:201]
	v_fma_f64 v[200:201], -v[182:183], v[198:199], 1.0
	v_fmac_f64_e32 v[198:199], v[198:199], v[200:201]
	v_div_scale_f64 v[200:201], vcc, 1.0, v[180:181], 1.0
	v_mul_f64 v[202:203], v[200:201], v[198:199]
	v_fma_f64 v[182:183], -v[182:183], v[202:203], v[200:201]
	s_nop 1
	v_div_fmas_f64 v[182:183], v[182:183], v[198:199], v[202:203]
	v_div_fixup_f64 v[180:181], v[182:183], v[180:181], 1.0
	v_mul_f64 v[182:183], v[196:197], -v[180:181]
.LBB88_555:
	s_or_b64 exec, exec, s[16:17]
.LBB88_556:
	s_or_b64 exec, exec, s[0:1]
	v_cmp_ne_u32_e32 vcc, v193, v190
	s_and_saveexec_b64 s[0:1], vcc
	s_xor_b64 s[0:1], exec, s[0:1]
	s_cbranch_execz .LBB88_562
; %bb.557:
	v_cmp_eq_u32_e32 vcc, 26, v193
	s_and_saveexec_b64 s[16:17], vcc
	s_cbranch_execz .LBB88_561
; %bb.558:
	v_cmp_ne_u32_e32 vcc, 26, v190
	s_xor_b64 s[18:19], s[14:15], -1
	s_and_b64 s[22:23], s[18:19], vcc
	s_and_saveexec_b64 s[18:19], s[22:23]
	s_cbranch_execz .LBB88_560
; %bb.559:
	v_ashrrev_i32_e32 v191, 31, v190
	v_lshl_add_u64 v[196:197], v[190:191], 2, v[188:189]
	global_load_dword v191, v[196:197], off
	global_load_dword v193, v[188:189], off offset:104
	s_waitcnt vmcnt(1)
	global_store_dword v[188:189], v191, off offset:104
	s_waitcnt vmcnt(1)
	global_store_dword v[196:197], v193, off
.LBB88_560:
	s_or_b64 exec, exec, s[18:19]
	v_mov_b32_e32 v193, v190
	v_mov_b32_e32 v195, v190
.LBB88_561:
	s_or_b64 exec, exec, s[16:17]
.LBB88_562:
	s_andn2_saveexec_b64 s[0:1], s[0:1]
	s_cbranch_execz .LBB88_564
; %bb.563:
	v_mov_b32_e32 v193, 26
	s_waitcnt vmcnt(17)
	ds_write2_b64 v192, v[64:65], v[66:67] offset0:54 offset1:55
	s_waitcnt vmcnt(16)
	ds_write2_b64 v192, v[60:61], v[62:63] offset0:56 offset1:57
	;; [unrolled: 2-line block ×18, first 2 shown]
.LBB88_564:
	s_or_b64 exec, exec, s[0:1]
	v_cmp_lt_i32_e32 vcc, 26, v193
	s_waitcnt lgkmcnt(0)
	s_barrier
	s_and_saveexec_b64 s[0:1], vcc
	s_cbranch_execz .LBB88_566
; %bb.565:
	ds_read2_b64 v[196:199], v192 offset0:54 offset1:55
	v_mul_f64 v[190:191], v[182:183], v[70:71]
	v_mul_f64 v[70:71], v[180:181], v[70:71]
	v_fma_f64 v[190:191], v[180:181], v[68:69], -v[190:191]
	v_fmac_f64_e32 v[70:71], v[182:183], v[68:69]
	ds_read2_b64 v[180:183], v192 offset0:56 offset1:57
	s_waitcnt lgkmcnt(1)
	v_mul_f64 v[68:69], v[198:199], v[70:71]
	v_fma_f64 v[68:69], v[196:197], v[190:191], -v[68:69]
	v_mul_f64 v[196:197], v[196:197], v[70:71]
	v_fmac_f64_e32 v[196:197], v[198:199], v[190:191]
	s_waitcnt vmcnt(17)
	v_add_f64 v[64:65], v[64:65], -v[68:69]
	s_waitcnt lgkmcnt(0)
	v_mul_f64 v[68:69], v[182:183], v[70:71]
	v_add_f64 v[66:67], v[66:67], -v[196:197]
	v_fma_f64 v[68:69], v[180:181], v[190:191], -v[68:69]
	v_mul_f64 v[180:181], v[180:181], v[70:71]
	ds_read2_b64 v[196:199], v192 offset0:58 offset1:59
	v_fmac_f64_e32 v[180:181], v[182:183], v[190:191]
	s_waitcnt vmcnt(16)
	v_add_f64 v[62:63], v[62:63], -v[180:181]
	ds_read2_b64 v[180:183], v192 offset0:60 offset1:61
	v_add_f64 v[60:61], v[60:61], -v[68:69]
	s_waitcnt lgkmcnt(1)
	v_mul_f64 v[68:69], v[198:199], v[70:71]
	v_fma_f64 v[68:69], v[196:197], v[190:191], -v[68:69]
	v_mul_f64 v[196:197], v[196:197], v[70:71]
	v_fmac_f64_e32 v[196:197], v[198:199], v[190:191]
	s_waitcnt vmcnt(15)
	v_add_f64 v[56:57], v[56:57], -v[68:69]
	s_waitcnt lgkmcnt(0)
	v_mul_f64 v[68:69], v[182:183], v[70:71]
	v_add_f64 v[58:59], v[58:59], -v[196:197]
	v_fma_f64 v[68:69], v[180:181], v[190:191], -v[68:69]
	v_mul_f64 v[180:181], v[180:181], v[70:71]
	ds_read2_b64 v[196:199], v192 offset0:62 offset1:63
	v_fmac_f64_e32 v[180:181], v[182:183], v[190:191]
	s_waitcnt vmcnt(14)
	v_add_f64 v[54:55], v[54:55], -v[180:181]
	ds_read2_b64 v[180:183], v192 offset0:64 offset1:65
	v_add_f64 v[52:53], v[52:53], -v[68:69]
	;; [unrolled: 18-line block ×8, first 2 shown]
	s_waitcnt lgkmcnt(1)
	v_mul_f64 v[68:69], v[198:199], v[70:71]
	v_fma_f64 v[68:69], v[196:197], v[190:191], -v[68:69]
	s_waitcnt vmcnt(1)
	v_add_f64 v[0:1], v[0:1], -v[68:69]
	s_waitcnt lgkmcnt(0)
	v_mul_f64 v[68:69], v[182:183], v[70:71]
	v_mul_f64 v[196:197], v[196:197], v[70:71]
	v_fma_f64 v[68:69], v[180:181], v[190:191], -v[68:69]
	v_mul_f64 v[180:181], v[180:181], v[70:71]
	v_fmac_f64_e32 v[196:197], v[198:199], v[190:191]
	v_fmac_f64_e32 v[180:181], v[182:183], v[190:191]
	v_add_f64 v[2:3], v[2:3], -v[196:197]
	s_waitcnt vmcnt(0)
	v_add_f64 v[176:177], v[176:177], -v[68:69]
	v_add_f64 v[178:179], v[178:179], -v[180:181]
	v_mov_b64_e32 v[68:69], v[190:191]
.LBB88_566:
	s_or_b64 exec, exec, s[0:1]
	v_lshl_add_u32 v180, v193, 4, v192
	s_barrier
	s_waitcnt vmcnt(17)
	ds_write2_b64 v180, v[64:65], v[66:67] offset1:1
	s_waitcnt lgkmcnt(0)
	s_barrier
	ds_read2_b64 v[180:183], v192 offset0:54 offset1:55
	s_cmp_lt_i32 s20, 29
	v_mov_b32_e32 v190, 27
	s_cbranch_scc1 .LBB88_569
; %bb.567:
	v_add_u32_e32 v191, 0x1c0, v192
	s_mov_b32 s16, 28
	v_mov_b32_e32 v190, 27
.LBB88_568:                             ; =>This Inner Loop Header: Depth=1
	ds_read2_b64 v[196:199], v191 offset1:1
	s_waitcnt lgkmcnt(1)
	v_xor_b32_e32 v201, 0x80000000, v181
	v_xor_b32_e32 v203, 0x80000000, v183
	v_cmp_gt_f64_e32 vcc, 0, v[182:183]
	v_cmp_gt_f64_e64 s[0:1], 0, v[180:181]
	v_mov_b32_e32 v200, v180
	v_mov_b32_e32 v202, v182
	v_cndmask_b32_e64 v201, v181, v201, s[0:1]
	v_cndmask_b32_e32 v203, v183, v203, vcc
	v_add_f64 v[200:201], v[200:201], v[202:203]
	s_waitcnt lgkmcnt(0)
	v_xor_b32_e32 v203, 0x80000000, v197
	v_xor_b32_e32 v205, 0x80000000, v199
	v_cmp_gt_f64_e32 vcc, 0, v[198:199]
	v_cmp_gt_f64_e64 s[0:1], 0, v[196:197]
	v_mov_b32_e32 v202, v196
	v_mov_b32_e32 v204, v198
	v_cndmask_b32_e64 v203, v197, v203, s[0:1]
	v_cndmask_b32_e32 v205, v199, v205, vcc
	v_add_f64 v[202:203], v[202:203], v[204:205]
	v_mov_b32_e32 v206, s16
	s_add_i32 s16, s16, 1
	v_cmp_lt_f64_e32 vcc, v[200:201], v[202:203]
	v_add_u32_e32 v191, 16, v191
	s_cmp_lg_u32 s20, s16
	v_cndmask_b32_e32 v181, v181, v197, vcc
	v_cndmask_b32_e32 v180, v180, v196, vcc
	;; [unrolled: 1-line block ×5, first 2 shown]
	s_cbranch_scc1 .LBB88_568
.LBB88_569:
	s_waitcnt lgkmcnt(0)
	v_cmp_eq_f64_e32 vcc, 0, v[180:181]
	v_cmp_eq_f64_e64 s[0:1], 0, v[182:183]
	s_and_b64 s[0:1], vcc, s[0:1]
	s_and_saveexec_b64 s[16:17], s[0:1]
	s_xor_b64 s[0:1], exec, s[16:17]
; %bb.570:
	v_cmp_ne_u32_e32 vcc, 0, v194
	s_nop 1
	v_cndmask_b32_e32 v194, 28, v194, vcc
; %bb.571:
	s_andn2_saveexec_b64 s[0:1], s[0:1]
	s_cbranch_execz .LBB88_577
; %bb.572:
	v_cmp_ngt_f64_e64 s[16:17], |v[180:181]|, |v[182:183]|
	s_and_saveexec_b64 s[18:19], s[16:17]
	s_xor_b64 s[16:17], exec, s[18:19]
	s_cbranch_execz .LBB88_574
; %bb.573:
	v_div_scale_f64 v[196:197], s[18:19], v[182:183], v[182:183], v[180:181]
	v_rcp_f64_e32 v[198:199], v[196:197]
	v_div_scale_f64 v[200:201], vcc, v[180:181], v[182:183], v[180:181]
	v_fma_f64 v[202:203], -v[196:197], v[198:199], 1.0
	v_fmac_f64_e32 v[198:199], v[198:199], v[202:203]
	v_fma_f64 v[202:203], -v[196:197], v[198:199], 1.0
	v_fmac_f64_e32 v[198:199], v[198:199], v[202:203]
	v_mul_f64 v[202:203], v[200:201], v[198:199]
	v_fma_f64 v[196:197], -v[196:197], v[202:203], v[200:201]
	v_div_fmas_f64 v[196:197], v[196:197], v[198:199], v[202:203]
	v_div_fixup_f64 v[196:197], v[196:197], v[182:183], v[180:181]
	v_fmac_f64_e32 v[182:183], v[180:181], v[196:197]
	v_div_scale_f64 v[180:181], s[18:19], v[182:183], v[182:183], 1.0
	v_rcp_f64_e32 v[198:199], v[180:181]
	s_nop 0
	v_fma_f64 v[200:201], -v[180:181], v[198:199], 1.0
	v_fmac_f64_e32 v[198:199], v[198:199], v[200:201]
	v_fma_f64 v[200:201], -v[180:181], v[198:199], 1.0
	v_fmac_f64_e32 v[198:199], v[198:199], v[200:201]
	v_div_scale_f64 v[200:201], vcc, 1.0, v[182:183], 1.0
	v_mul_f64 v[202:203], v[200:201], v[198:199]
	v_fma_f64 v[180:181], -v[180:181], v[202:203], v[200:201]
	s_nop 1
	v_div_fmas_f64 v[180:181], v[180:181], v[198:199], v[202:203]
	v_div_fixup_f64 v[182:183], v[180:181], v[182:183], 1.0
	v_mul_f64 v[180:181], v[196:197], v[182:183]
	v_xor_b32_e32 v183, 0x80000000, v183
.LBB88_574:
	s_andn2_saveexec_b64 s[16:17], s[16:17]
	s_cbranch_execz .LBB88_576
; %bb.575:
	v_div_scale_f64 v[196:197], s[18:19], v[180:181], v[180:181], v[182:183]
	v_rcp_f64_e32 v[198:199], v[196:197]
	v_div_scale_f64 v[200:201], vcc, v[182:183], v[180:181], v[182:183]
	v_fma_f64 v[202:203], -v[196:197], v[198:199], 1.0
	v_fmac_f64_e32 v[198:199], v[198:199], v[202:203]
	v_fma_f64 v[202:203], -v[196:197], v[198:199], 1.0
	v_fmac_f64_e32 v[198:199], v[198:199], v[202:203]
	v_mul_f64 v[202:203], v[200:201], v[198:199]
	v_fma_f64 v[196:197], -v[196:197], v[202:203], v[200:201]
	v_div_fmas_f64 v[196:197], v[196:197], v[198:199], v[202:203]
	v_div_fixup_f64 v[196:197], v[196:197], v[180:181], v[182:183]
	v_fmac_f64_e32 v[180:181], v[182:183], v[196:197]
	v_div_scale_f64 v[182:183], s[18:19], v[180:181], v[180:181], 1.0
	v_rcp_f64_e32 v[198:199], v[182:183]
	s_nop 0
	v_fma_f64 v[200:201], -v[182:183], v[198:199], 1.0
	v_fmac_f64_e32 v[198:199], v[198:199], v[200:201]
	v_fma_f64 v[200:201], -v[182:183], v[198:199], 1.0
	v_fmac_f64_e32 v[198:199], v[198:199], v[200:201]
	v_div_scale_f64 v[200:201], vcc, 1.0, v[180:181], 1.0
	v_mul_f64 v[202:203], v[200:201], v[198:199]
	v_fma_f64 v[182:183], -v[182:183], v[202:203], v[200:201]
	s_nop 1
	v_div_fmas_f64 v[182:183], v[182:183], v[198:199], v[202:203]
	v_div_fixup_f64 v[180:181], v[182:183], v[180:181], 1.0
	v_mul_f64 v[182:183], v[196:197], -v[180:181]
.LBB88_576:
	s_or_b64 exec, exec, s[16:17]
.LBB88_577:
	s_or_b64 exec, exec, s[0:1]
	v_cmp_ne_u32_e32 vcc, v193, v190
	s_and_saveexec_b64 s[0:1], vcc
	s_xor_b64 s[0:1], exec, s[0:1]
	s_cbranch_execz .LBB88_583
; %bb.578:
	v_cmp_eq_u32_e32 vcc, 27, v193
	s_and_saveexec_b64 s[16:17], vcc
	s_cbranch_execz .LBB88_582
; %bb.579:
	v_cmp_ne_u32_e32 vcc, 27, v190
	s_xor_b64 s[18:19], s[14:15], -1
	s_and_b64 s[22:23], s[18:19], vcc
	s_and_saveexec_b64 s[18:19], s[22:23]
	s_cbranch_execz .LBB88_581
; %bb.580:
	v_ashrrev_i32_e32 v191, 31, v190
	v_lshl_add_u64 v[196:197], v[190:191], 2, v[188:189]
	global_load_dword v191, v[196:197], off
	global_load_dword v193, v[188:189], off offset:108
	s_waitcnt vmcnt(1)
	global_store_dword v[188:189], v191, off offset:108
	s_waitcnt vmcnt(1)
	global_store_dword v[196:197], v193, off
.LBB88_581:
	s_or_b64 exec, exec, s[18:19]
	v_mov_b32_e32 v193, v190
	v_mov_b32_e32 v195, v190
.LBB88_582:
	s_or_b64 exec, exec, s[16:17]
.LBB88_583:
	s_andn2_saveexec_b64 s[0:1], s[0:1]
	s_cbranch_execz .LBB88_585
; %bb.584:
	v_mov_b32_e32 v193, 27
	s_waitcnt vmcnt(16)
	ds_write2_b64 v192, v[60:61], v[62:63] offset0:56 offset1:57
	s_waitcnt vmcnt(15)
	ds_write2_b64 v192, v[56:57], v[58:59] offset0:58 offset1:59
	s_waitcnt vmcnt(14)
	ds_write2_b64 v192, v[52:53], v[54:55] offset0:60 offset1:61
	s_waitcnt vmcnt(13)
	ds_write2_b64 v192, v[48:49], v[50:51] offset0:62 offset1:63
	s_waitcnt vmcnt(12)
	ds_write2_b64 v192, v[44:45], v[46:47] offset0:64 offset1:65
	s_waitcnt vmcnt(11)
	ds_write2_b64 v192, v[40:41], v[42:43] offset0:66 offset1:67
	s_waitcnt vmcnt(10)
	ds_write2_b64 v192, v[36:37], v[38:39] offset0:68 offset1:69
	s_waitcnt vmcnt(9)
	ds_write2_b64 v192, v[32:33], v[34:35] offset0:70 offset1:71
	s_waitcnt vmcnt(8)
	ds_write2_b64 v192, v[28:29], v[30:31] offset0:72 offset1:73
	s_waitcnt vmcnt(7)
	ds_write2_b64 v192, v[24:25], v[26:27] offset0:74 offset1:75
	s_waitcnt vmcnt(6)
	ds_write2_b64 v192, v[20:21], v[22:23] offset0:76 offset1:77
	s_waitcnt vmcnt(5)
	ds_write2_b64 v192, v[16:17], v[18:19] offset0:78 offset1:79
	s_waitcnt vmcnt(4)
	ds_write2_b64 v192, v[12:13], v[14:15] offset0:80 offset1:81
	s_waitcnt vmcnt(3)
	ds_write2_b64 v192, v[8:9], v[10:11] offset0:82 offset1:83
	s_waitcnt vmcnt(2)
	ds_write2_b64 v192, v[4:5], v[6:7] offset0:84 offset1:85
	s_waitcnt vmcnt(1)
	ds_write2_b64 v192, v[0:1], v[2:3] offset0:86 offset1:87
	s_waitcnt vmcnt(0)
	ds_write2_b64 v192, v[176:177], v[178:179] offset0:88 offset1:89
.LBB88_585:
	s_or_b64 exec, exec, s[0:1]
	v_cmp_lt_i32_e32 vcc, 27, v193
	s_waitcnt lgkmcnt(0)
	s_barrier
	s_and_saveexec_b64 s[0:1], vcc
	s_cbranch_execz .LBB88_587
; %bb.586:
	ds_read2_b64 v[196:199], v192 offset0:56 offset1:57
	v_mul_f64 v[190:191], v[182:183], v[66:67]
	v_mul_f64 v[66:67], v[180:181], v[66:67]
	v_fmac_f64_e32 v[66:67], v[182:183], v[64:65]
	v_fma_f64 v[190:191], v[180:181], v[64:65], -v[190:191]
	ds_read2_b64 v[180:183], v192 offset0:58 offset1:59
	s_waitcnt lgkmcnt(1)
	v_mul_f64 v[64:65], v[198:199], v[66:67]
	v_fma_f64 v[64:65], v[196:197], v[190:191], -v[64:65]
	v_mul_f64 v[196:197], v[196:197], v[66:67]
	v_fmac_f64_e32 v[196:197], v[198:199], v[190:191]
	s_waitcnt vmcnt(16)
	v_add_f64 v[62:63], v[62:63], -v[196:197]
	ds_read2_b64 v[196:199], v192 offset0:60 offset1:61
	v_add_f64 v[60:61], v[60:61], -v[64:65]
	s_waitcnt lgkmcnt(1)
	v_mul_f64 v[64:65], v[182:183], v[66:67]
	v_fma_f64 v[64:65], v[180:181], v[190:191], -v[64:65]
	v_mul_f64 v[180:181], v[180:181], v[66:67]
	v_fmac_f64_e32 v[180:181], v[182:183], v[190:191]
	s_waitcnt vmcnt(15)
	v_add_f64 v[56:57], v[56:57], -v[64:65]
	v_add_f64 v[58:59], v[58:59], -v[180:181]
	ds_read2_b64 v[180:183], v192 offset0:62 offset1:63
	s_waitcnt lgkmcnt(1)
	v_mul_f64 v[64:65], v[198:199], v[66:67]
	v_fma_f64 v[64:65], v[196:197], v[190:191], -v[64:65]
	v_mul_f64 v[196:197], v[196:197], v[66:67]
	v_fmac_f64_e32 v[196:197], v[198:199], v[190:191]
	s_waitcnt vmcnt(14)
	v_add_f64 v[54:55], v[54:55], -v[196:197]
	ds_read2_b64 v[196:199], v192 offset0:64 offset1:65
	v_add_f64 v[52:53], v[52:53], -v[64:65]
	s_waitcnt lgkmcnt(1)
	v_mul_f64 v[64:65], v[182:183], v[66:67]
	v_fma_f64 v[64:65], v[180:181], v[190:191], -v[64:65]
	v_mul_f64 v[180:181], v[180:181], v[66:67]
	v_fmac_f64_e32 v[180:181], v[182:183], v[190:191]
	s_waitcnt vmcnt(13)
	v_add_f64 v[48:49], v[48:49], -v[64:65]
	v_add_f64 v[50:51], v[50:51], -v[180:181]
	ds_read2_b64 v[180:183], v192 offset0:66 offset1:67
	s_waitcnt lgkmcnt(1)
	v_mul_f64 v[64:65], v[198:199], v[66:67]
	v_fma_f64 v[64:65], v[196:197], v[190:191], -v[64:65]
	v_mul_f64 v[196:197], v[196:197], v[66:67]
	v_fmac_f64_e32 v[196:197], v[198:199], v[190:191]
	s_waitcnt vmcnt(12)
	v_add_f64 v[46:47], v[46:47], -v[196:197]
	ds_read2_b64 v[196:199], v192 offset0:68 offset1:69
	v_add_f64 v[44:45], v[44:45], -v[64:65]
	s_waitcnt lgkmcnt(1)
	v_mul_f64 v[64:65], v[182:183], v[66:67]
	v_fma_f64 v[64:65], v[180:181], v[190:191], -v[64:65]
	v_mul_f64 v[180:181], v[180:181], v[66:67]
	v_fmac_f64_e32 v[180:181], v[182:183], v[190:191]
	s_waitcnt vmcnt(11)
	v_add_f64 v[40:41], v[40:41], -v[64:65]
	v_add_f64 v[42:43], v[42:43], -v[180:181]
	ds_read2_b64 v[180:183], v192 offset0:70 offset1:71
	s_waitcnt lgkmcnt(1)
	v_mul_f64 v[64:65], v[198:199], v[66:67]
	v_fma_f64 v[64:65], v[196:197], v[190:191], -v[64:65]
	v_mul_f64 v[196:197], v[196:197], v[66:67]
	v_fmac_f64_e32 v[196:197], v[198:199], v[190:191]
	s_waitcnt vmcnt(10)
	v_add_f64 v[38:39], v[38:39], -v[196:197]
	ds_read2_b64 v[196:199], v192 offset0:72 offset1:73
	v_add_f64 v[36:37], v[36:37], -v[64:65]
	s_waitcnt lgkmcnt(1)
	v_mul_f64 v[64:65], v[182:183], v[66:67]
	v_fma_f64 v[64:65], v[180:181], v[190:191], -v[64:65]
	v_mul_f64 v[180:181], v[180:181], v[66:67]
	v_fmac_f64_e32 v[180:181], v[182:183], v[190:191]
	s_waitcnt vmcnt(9)
	v_add_f64 v[32:33], v[32:33], -v[64:65]
	v_add_f64 v[34:35], v[34:35], -v[180:181]
	ds_read2_b64 v[180:183], v192 offset0:74 offset1:75
	s_waitcnt lgkmcnt(1)
	v_mul_f64 v[64:65], v[198:199], v[66:67]
	v_fma_f64 v[64:65], v[196:197], v[190:191], -v[64:65]
	v_mul_f64 v[196:197], v[196:197], v[66:67]
	v_fmac_f64_e32 v[196:197], v[198:199], v[190:191]
	s_waitcnt vmcnt(8)
	v_add_f64 v[30:31], v[30:31], -v[196:197]
	ds_read2_b64 v[196:199], v192 offset0:76 offset1:77
	v_add_f64 v[28:29], v[28:29], -v[64:65]
	s_waitcnt lgkmcnt(1)
	v_mul_f64 v[64:65], v[182:183], v[66:67]
	v_fma_f64 v[64:65], v[180:181], v[190:191], -v[64:65]
	v_mul_f64 v[180:181], v[180:181], v[66:67]
	v_fmac_f64_e32 v[180:181], v[182:183], v[190:191]
	s_waitcnt vmcnt(7)
	v_add_f64 v[24:25], v[24:25], -v[64:65]
	v_add_f64 v[26:27], v[26:27], -v[180:181]
	ds_read2_b64 v[180:183], v192 offset0:78 offset1:79
	s_waitcnt lgkmcnt(1)
	v_mul_f64 v[64:65], v[198:199], v[66:67]
	v_fma_f64 v[64:65], v[196:197], v[190:191], -v[64:65]
	v_mul_f64 v[196:197], v[196:197], v[66:67]
	v_fmac_f64_e32 v[196:197], v[198:199], v[190:191]
	s_waitcnt vmcnt(6)
	v_add_f64 v[22:23], v[22:23], -v[196:197]
	ds_read2_b64 v[196:199], v192 offset0:80 offset1:81
	v_add_f64 v[20:21], v[20:21], -v[64:65]
	s_waitcnt lgkmcnt(1)
	v_mul_f64 v[64:65], v[182:183], v[66:67]
	v_fma_f64 v[64:65], v[180:181], v[190:191], -v[64:65]
	v_mul_f64 v[180:181], v[180:181], v[66:67]
	v_fmac_f64_e32 v[180:181], v[182:183], v[190:191]
	s_waitcnt vmcnt(5)
	v_add_f64 v[16:17], v[16:17], -v[64:65]
	v_add_f64 v[18:19], v[18:19], -v[180:181]
	ds_read2_b64 v[180:183], v192 offset0:82 offset1:83
	s_waitcnt lgkmcnt(1)
	v_mul_f64 v[64:65], v[198:199], v[66:67]
	v_fma_f64 v[64:65], v[196:197], v[190:191], -v[64:65]
	v_mul_f64 v[196:197], v[196:197], v[66:67]
	v_fmac_f64_e32 v[196:197], v[198:199], v[190:191]
	s_waitcnt vmcnt(4)
	v_add_f64 v[14:15], v[14:15], -v[196:197]
	ds_read2_b64 v[196:199], v192 offset0:84 offset1:85
	v_add_f64 v[12:13], v[12:13], -v[64:65]
	s_waitcnt lgkmcnt(1)
	v_mul_f64 v[64:65], v[182:183], v[66:67]
	v_fma_f64 v[64:65], v[180:181], v[190:191], -v[64:65]
	v_mul_f64 v[180:181], v[180:181], v[66:67]
	v_fmac_f64_e32 v[180:181], v[182:183], v[190:191]
	s_waitcnt vmcnt(3)
	v_add_f64 v[8:9], v[8:9], -v[64:65]
	v_add_f64 v[10:11], v[10:11], -v[180:181]
	ds_read2_b64 v[180:183], v192 offset0:86 offset1:87
	s_waitcnt lgkmcnt(1)
	v_mul_f64 v[64:65], v[198:199], v[66:67]
	v_fma_f64 v[64:65], v[196:197], v[190:191], -v[64:65]
	v_mul_f64 v[196:197], v[196:197], v[66:67]
	v_fmac_f64_e32 v[196:197], v[198:199], v[190:191]
	s_waitcnt vmcnt(2)
	v_add_f64 v[6:7], v[6:7], -v[196:197]
	ds_read2_b64 v[196:199], v192 offset0:88 offset1:89
	v_add_f64 v[4:5], v[4:5], -v[64:65]
	s_waitcnt lgkmcnt(1)
	v_mul_f64 v[64:65], v[182:183], v[66:67]
	v_fma_f64 v[64:65], v[180:181], v[190:191], -v[64:65]
	v_mul_f64 v[180:181], v[180:181], v[66:67]
	v_fmac_f64_e32 v[180:181], v[182:183], v[190:191]
	s_waitcnt vmcnt(1)
	v_add_f64 v[0:1], v[0:1], -v[64:65]
	v_add_f64 v[2:3], v[2:3], -v[180:181]
	s_waitcnt lgkmcnt(0)
	v_mul_f64 v[64:65], v[198:199], v[66:67]
	v_mul_f64 v[180:181], v[196:197], v[66:67]
	v_fma_f64 v[64:65], v[196:197], v[190:191], -v[64:65]
	v_fmac_f64_e32 v[180:181], v[198:199], v[190:191]
	s_waitcnt vmcnt(0)
	v_add_f64 v[176:177], v[176:177], -v[64:65]
	v_add_f64 v[178:179], v[178:179], -v[180:181]
	v_mov_b64_e32 v[64:65], v[190:191]
.LBB88_587:
	s_or_b64 exec, exec, s[0:1]
	v_lshl_add_u32 v180, v193, 4, v192
	s_barrier
	s_waitcnt vmcnt(16)
	ds_write2_b64 v180, v[60:61], v[62:63] offset1:1
	s_waitcnt lgkmcnt(0)
	s_barrier
	ds_read2_b64 v[180:183], v192 offset0:56 offset1:57
	s_cmp_lt_i32 s20, 30
	v_mov_b32_e32 v190, 28
	s_cbranch_scc1 .LBB88_590
; %bb.588:
	v_add_u32_e32 v191, 0x1d0, v192
	s_mov_b32 s16, 29
	v_mov_b32_e32 v190, 28
.LBB88_589:                             ; =>This Inner Loop Header: Depth=1
	ds_read2_b64 v[196:199], v191 offset1:1
	s_waitcnt lgkmcnt(1)
	v_xor_b32_e32 v201, 0x80000000, v181
	v_xor_b32_e32 v203, 0x80000000, v183
	v_cmp_gt_f64_e32 vcc, 0, v[182:183]
	v_cmp_gt_f64_e64 s[0:1], 0, v[180:181]
	v_mov_b32_e32 v200, v180
	v_mov_b32_e32 v202, v182
	v_cndmask_b32_e64 v201, v181, v201, s[0:1]
	v_cndmask_b32_e32 v203, v183, v203, vcc
	v_add_f64 v[200:201], v[200:201], v[202:203]
	s_waitcnt lgkmcnt(0)
	v_xor_b32_e32 v203, 0x80000000, v197
	v_xor_b32_e32 v205, 0x80000000, v199
	v_cmp_gt_f64_e32 vcc, 0, v[198:199]
	v_cmp_gt_f64_e64 s[0:1], 0, v[196:197]
	v_mov_b32_e32 v202, v196
	v_mov_b32_e32 v204, v198
	v_cndmask_b32_e64 v203, v197, v203, s[0:1]
	v_cndmask_b32_e32 v205, v199, v205, vcc
	v_add_f64 v[202:203], v[202:203], v[204:205]
	v_mov_b32_e32 v206, s16
	s_add_i32 s16, s16, 1
	v_cmp_lt_f64_e32 vcc, v[200:201], v[202:203]
	v_add_u32_e32 v191, 16, v191
	s_cmp_lg_u32 s20, s16
	v_cndmask_b32_e32 v181, v181, v197, vcc
	v_cndmask_b32_e32 v180, v180, v196, vcc
	;; [unrolled: 1-line block ×5, first 2 shown]
	s_cbranch_scc1 .LBB88_589
.LBB88_590:
	s_waitcnt lgkmcnt(0)
	v_cmp_eq_f64_e32 vcc, 0, v[180:181]
	v_cmp_eq_f64_e64 s[0:1], 0, v[182:183]
	s_and_b64 s[0:1], vcc, s[0:1]
	s_and_saveexec_b64 s[16:17], s[0:1]
	s_xor_b64 s[0:1], exec, s[16:17]
; %bb.591:
	v_cmp_ne_u32_e32 vcc, 0, v194
	s_nop 1
	v_cndmask_b32_e32 v194, 29, v194, vcc
; %bb.592:
	s_andn2_saveexec_b64 s[0:1], s[0:1]
	s_cbranch_execz .LBB88_598
; %bb.593:
	v_cmp_ngt_f64_e64 s[16:17], |v[180:181]|, |v[182:183]|
	s_and_saveexec_b64 s[18:19], s[16:17]
	s_xor_b64 s[16:17], exec, s[18:19]
	s_cbranch_execz .LBB88_595
; %bb.594:
	v_div_scale_f64 v[196:197], s[18:19], v[182:183], v[182:183], v[180:181]
	v_rcp_f64_e32 v[198:199], v[196:197]
	v_div_scale_f64 v[200:201], vcc, v[180:181], v[182:183], v[180:181]
	v_fma_f64 v[202:203], -v[196:197], v[198:199], 1.0
	v_fmac_f64_e32 v[198:199], v[198:199], v[202:203]
	v_fma_f64 v[202:203], -v[196:197], v[198:199], 1.0
	v_fmac_f64_e32 v[198:199], v[198:199], v[202:203]
	v_mul_f64 v[202:203], v[200:201], v[198:199]
	v_fma_f64 v[196:197], -v[196:197], v[202:203], v[200:201]
	v_div_fmas_f64 v[196:197], v[196:197], v[198:199], v[202:203]
	v_div_fixup_f64 v[196:197], v[196:197], v[182:183], v[180:181]
	v_fmac_f64_e32 v[182:183], v[180:181], v[196:197]
	v_div_scale_f64 v[180:181], s[18:19], v[182:183], v[182:183], 1.0
	v_rcp_f64_e32 v[198:199], v[180:181]
	s_nop 0
	v_fma_f64 v[200:201], -v[180:181], v[198:199], 1.0
	v_fmac_f64_e32 v[198:199], v[198:199], v[200:201]
	v_fma_f64 v[200:201], -v[180:181], v[198:199], 1.0
	v_fmac_f64_e32 v[198:199], v[198:199], v[200:201]
	v_div_scale_f64 v[200:201], vcc, 1.0, v[182:183], 1.0
	v_mul_f64 v[202:203], v[200:201], v[198:199]
	v_fma_f64 v[180:181], -v[180:181], v[202:203], v[200:201]
	s_nop 1
	v_div_fmas_f64 v[180:181], v[180:181], v[198:199], v[202:203]
	v_div_fixup_f64 v[182:183], v[180:181], v[182:183], 1.0
	v_mul_f64 v[180:181], v[196:197], v[182:183]
	v_xor_b32_e32 v183, 0x80000000, v183
.LBB88_595:
	s_andn2_saveexec_b64 s[16:17], s[16:17]
	s_cbranch_execz .LBB88_597
; %bb.596:
	v_div_scale_f64 v[196:197], s[18:19], v[180:181], v[180:181], v[182:183]
	v_rcp_f64_e32 v[198:199], v[196:197]
	v_div_scale_f64 v[200:201], vcc, v[182:183], v[180:181], v[182:183]
	v_fma_f64 v[202:203], -v[196:197], v[198:199], 1.0
	v_fmac_f64_e32 v[198:199], v[198:199], v[202:203]
	v_fma_f64 v[202:203], -v[196:197], v[198:199], 1.0
	v_fmac_f64_e32 v[198:199], v[198:199], v[202:203]
	v_mul_f64 v[202:203], v[200:201], v[198:199]
	v_fma_f64 v[196:197], -v[196:197], v[202:203], v[200:201]
	v_div_fmas_f64 v[196:197], v[196:197], v[198:199], v[202:203]
	v_div_fixup_f64 v[196:197], v[196:197], v[180:181], v[182:183]
	v_fmac_f64_e32 v[180:181], v[182:183], v[196:197]
	v_div_scale_f64 v[182:183], s[18:19], v[180:181], v[180:181], 1.0
	v_rcp_f64_e32 v[198:199], v[182:183]
	s_nop 0
	v_fma_f64 v[200:201], -v[182:183], v[198:199], 1.0
	v_fmac_f64_e32 v[198:199], v[198:199], v[200:201]
	v_fma_f64 v[200:201], -v[182:183], v[198:199], 1.0
	v_fmac_f64_e32 v[198:199], v[198:199], v[200:201]
	v_div_scale_f64 v[200:201], vcc, 1.0, v[180:181], 1.0
	v_mul_f64 v[202:203], v[200:201], v[198:199]
	v_fma_f64 v[182:183], -v[182:183], v[202:203], v[200:201]
	s_nop 1
	v_div_fmas_f64 v[182:183], v[182:183], v[198:199], v[202:203]
	v_div_fixup_f64 v[180:181], v[182:183], v[180:181], 1.0
	v_mul_f64 v[182:183], v[196:197], -v[180:181]
.LBB88_597:
	s_or_b64 exec, exec, s[16:17]
.LBB88_598:
	s_or_b64 exec, exec, s[0:1]
	v_cmp_ne_u32_e32 vcc, v193, v190
	s_and_saveexec_b64 s[0:1], vcc
	s_xor_b64 s[0:1], exec, s[0:1]
	s_cbranch_execz .LBB88_604
; %bb.599:
	v_cmp_eq_u32_e32 vcc, 28, v193
	s_and_saveexec_b64 s[16:17], vcc
	s_cbranch_execz .LBB88_603
; %bb.600:
	v_cmp_ne_u32_e32 vcc, 28, v190
	s_xor_b64 s[18:19], s[14:15], -1
	s_and_b64 s[22:23], s[18:19], vcc
	s_and_saveexec_b64 s[18:19], s[22:23]
	s_cbranch_execz .LBB88_602
; %bb.601:
	v_ashrrev_i32_e32 v191, 31, v190
	v_lshl_add_u64 v[196:197], v[190:191], 2, v[188:189]
	global_load_dword v191, v[196:197], off
	global_load_dword v193, v[188:189], off offset:112
	s_waitcnt vmcnt(1)
	global_store_dword v[188:189], v191, off offset:112
	s_waitcnt vmcnt(1)
	global_store_dword v[196:197], v193, off
.LBB88_602:
	s_or_b64 exec, exec, s[18:19]
	v_mov_b32_e32 v193, v190
	v_mov_b32_e32 v195, v190
.LBB88_603:
	s_or_b64 exec, exec, s[16:17]
.LBB88_604:
	s_andn2_saveexec_b64 s[0:1], s[0:1]
	s_cbranch_execz .LBB88_606
; %bb.605:
	v_mov_b32_e32 v193, 28
	s_waitcnt vmcnt(15)
	ds_write2_b64 v192, v[56:57], v[58:59] offset0:58 offset1:59
	s_waitcnt vmcnt(14)
	ds_write2_b64 v192, v[52:53], v[54:55] offset0:60 offset1:61
	;; [unrolled: 2-line block ×16, first 2 shown]
.LBB88_606:
	s_or_b64 exec, exec, s[0:1]
	v_cmp_lt_i32_e32 vcc, 28, v193
	s_waitcnt lgkmcnt(0)
	s_barrier
	s_and_saveexec_b64 s[0:1], vcc
	s_cbranch_execz .LBB88_608
; %bb.607:
	ds_read2_b64 v[196:199], v192 offset0:58 offset1:59
	v_mul_f64 v[190:191], v[180:181], v[62:63]
	v_mul_f64 v[62:63], v[182:183], v[62:63]
	v_fmac_f64_e32 v[190:191], v[182:183], v[60:61]
	v_fma_f64 v[60:61], v[180:181], v[60:61], -v[62:63]
	ds_read2_b64 v[180:183], v192 offset0:60 offset1:61
	s_waitcnt lgkmcnt(1)
	v_mul_f64 v[62:63], v[198:199], v[190:191]
	v_fma_f64 v[62:63], v[196:197], v[60:61], -v[62:63]
	v_mul_f64 v[196:197], v[196:197], v[190:191]
	v_fmac_f64_e32 v[196:197], v[198:199], v[60:61]
	s_waitcnt vmcnt(15)
	v_add_f64 v[56:57], v[56:57], -v[62:63]
	s_waitcnt lgkmcnt(0)
	v_mul_f64 v[62:63], v[182:183], v[190:191]
	v_add_f64 v[58:59], v[58:59], -v[196:197]
	v_fma_f64 v[62:63], v[180:181], v[60:61], -v[62:63]
	v_mul_f64 v[180:181], v[180:181], v[190:191]
	ds_read2_b64 v[196:199], v192 offset0:62 offset1:63
	v_fmac_f64_e32 v[180:181], v[182:183], v[60:61]
	s_waitcnt vmcnt(14)
	v_add_f64 v[54:55], v[54:55], -v[180:181]
	ds_read2_b64 v[180:183], v192 offset0:64 offset1:65
	v_add_f64 v[52:53], v[52:53], -v[62:63]
	s_waitcnt lgkmcnt(1)
	v_mul_f64 v[62:63], v[198:199], v[190:191]
	v_fma_f64 v[62:63], v[196:197], v[60:61], -v[62:63]
	v_mul_f64 v[196:197], v[196:197], v[190:191]
	v_fmac_f64_e32 v[196:197], v[198:199], v[60:61]
	s_waitcnt vmcnt(13)
	v_add_f64 v[48:49], v[48:49], -v[62:63]
	s_waitcnt lgkmcnt(0)
	v_mul_f64 v[62:63], v[182:183], v[190:191]
	v_add_f64 v[50:51], v[50:51], -v[196:197]
	v_fma_f64 v[62:63], v[180:181], v[60:61], -v[62:63]
	v_mul_f64 v[180:181], v[180:181], v[190:191]
	ds_read2_b64 v[196:199], v192 offset0:66 offset1:67
	v_fmac_f64_e32 v[180:181], v[182:183], v[60:61]
	s_waitcnt vmcnt(12)
	v_add_f64 v[46:47], v[46:47], -v[180:181]
	ds_read2_b64 v[180:183], v192 offset0:68 offset1:69
	v_add_f64 v[44:45], v[44:45], -v[62:63]
	;; [unrolled: 18-line block ×7, first 2 shown]
	s_waitcnt lgkmcnt(1)
	v_mul_f64 v[62:63], v[198:199], v[190:191]
	v_fma_f64 v[62:63], v[196:197], v[60:61], -v[62:63]
	s_waitcnt vmcnt(1)
	v_add_f64 v[0:1], v[0:1], -v[62:63]
	s_waitcnt lgkmcnt(0)
	v_mul_f64 v[62:63], v[182:183], v[190:191]
	v_mul_f64 v[196:197], v[196:197], v[190:191]
	v_fma_f64 v[62:63], v[180:181], v[60:61], -v[62:63]
	v_mul_f64 v[180:181], v[180:181], v[190:191]
	v_fmac_f64_e32 v[196:197], v[198:199], v[60:61]
	v_fmac_f64_e32 v[180:181], v[182:183], v[60:61]
	v_add_f64 v[2:3], v[2:3], -v[196:197]
	s_waitcnt vmcnt(0)
	v_add_f64 v[176:177], v[176:177], -v[62:63]
	v_add_f64 v[178:179], v[178:179], -v[180:181]
	v_mov_b64_e32 v[62:63], v[190:191]
.LBB88_608:
	s_or_b64 exec, exec, s[0:1]
	v_lshl_add_u32 v180, v193, 4, v192
	s_barrier
	s_waitcnt vmcnt(15)
	ds_write2_b64 v180, v[56:57], v[58:59] offset1:1
	s_waitcnt lgkmcnt(0)
	s_barrier
	ds_read2_b64 v[180:183], v192 offset0:58 offset1:59
	s_cmp_lt_i32 s20, 31
	v_mov_b32_e32 v190, 29
	s_cbranch_scc1 .LBB88_611
; %bb.609:
	v_add_u32_e32 v191, 0x1e0, v192
	s_mov_b32 s16, 30
	v_mov_b32_e32 v190, 29
.LBB88_610:                             ; =>This Inner Loop Header: Depth=1
	ds_read2_b64 v[196:199], v191 offset1:1
	s_waitcnt lgkmcnt(1)
	v_xor_b32_e32 v201, 0x80000000, v181
	v_xor_b32_e32 v203, 0x80000000, v183
	v_cmp_gt_f64_e32 vcc, 0, v[182:183]
	v_cmp_gt_f64_e64 s[0:1], 0, v[180:181]
	v_mov_b32_e32 v200, v180
	v_mov_b32_e32 v202, v182
	v_cndmask_b32_e64 v201, v181, v201, s[0:1]
	v_cndmask_b32_e32 v203, v183, v203, vcc
	v_add_f64 v[200:201], v[200:201], v[202:203]
	s_waitcnt lgkmcnt(0)
	v_xor_b32_e32 v203, 0x80000000, v197
	v_xor_b32_e32 v205, 0x80000000, v199
	v_cmp_gt_f64_e32 vcc, 0, v[198:199]
	v_cmp_gt_f64_e64 s[0:1], 0, v[196:197]
	v_mov_b32_e32 v202, v196
	v_mov_b32_e32 v204, v198
	v_cndmask_b32_e64 v203, v197, v203, s[0:1]
	v_cndmask_b32_e32 v205, v199, v205, vcc
	v_add_f64 v[202:203], v[202:203], v[204:205]
	v_mov_b32_e32 v206, s16
	s_add_i32 s16, s16, 1
	v_cmp_lt_f64_e32 vcc, v[200:201], v[202:203]
	v_add_u32_e32 v191, 16, v191
	s_cmp_lg_u32 s20, s16
	v_cndmask_b32_e32 v181, v181, v197, vcc
	v_cndmask_b32_e32 v180, v180, v196, vcc
	;; [unrolled: 1-line block ×5, first 2 shown]
	s_cbranch_scc1 .LBB88_610
.LBB88_611:
	s_waitcnt lgkmcnt(0)
	v_cmp_eq_f64_e32 vcc, 0, v[180:181]
	v_cmp_eq_f64_e64 s[0:1], 0, v[182:183]
	s_and_b64 s[0:1], vcc, s[0:1]
	s_and_saveexec_b64 s[16:17], s[0:1]
	s_xor_b64 s[0:1], exec, s[16:17]
; %bb.612:
	v_cmp_ne_u32_e32 vcc, 0, v194
	s_nop 1
	v_cndmask_b32_e32 v194, 30, v194, vcc
; %bb.613:
	s_andn2_saveexec_b64 s[0:1], s[0:1]
	s_cbranch_execz .LBB88_619
; %bb.614:
	v_cmp_ngt_f64_e64 s[16:17], |v[180:181]|, |v[182:183]|
	s_and_saveexec_b64 s[18:19], s[16:17]
	s_xor_b64 s[16:17], exec, s[18:19]
	s_cbranch_execz .LBB88_616
; %bb.615:
	v_div_scale_f64 v[196:197], s[18:19], v[182:183], v[182:183], v[180:181]
	v_rcp_f64_e32 v[198:199], v[196:197]
	v_div_scale_f64 v[200:201], vcc, v[180:181], v[182:183], v[180:181]
	v_fma_f64 v[202:203], -v[196:197], v[198:199], 1.0
	v_fmac_f64_e32 v[198:199], v[198:199], v[202:203]
	v_fma_f64 v[202:203], -v[196:197], v[198:199], 1.0
	v_fmac_f64_e32 v[198:199], v[198:199], v[202:203]
	v_mul_f64 v[202:203], v[200:201], v[198:199]
	v_fma_f64 v[196:197], -v[196:197], v[202:203], v[200:201]
	v_div_fmas_f64 v[196:197], v[196:197], v[198:199], v[202:203]
	v_div_fixup_f64 v[196:197], v[196:197], v[182:183], v[180:181]
	v_fmac_f64_e32 v[182:183], v[180:181], v[196:197]
	v_div_scale_f64 v[180:181], s[18:19], v[182:183], v[182:183], 1.0
	v_rcp_f64_e32 v[198:199], v[180:181]
	s_nop 0
	v_fma_f64 v[200:201], -v[180:181], v[198:199], 1.0
	v_fmac_f64_e32 v[198:199], v[198:199], v[200:201]
	v_fma_f64 v[200:201], -v[180:181], v[198:199], 1.0
	v_fmac_f64_e32 v[198:199], v[198:199], v[200:201]
	v_div_scale_f64 v[200:201], vcc, 1.0, v[182:183], 1.0
	v_mul_f64 v[202:203], v[200:201], v[198:199]
	v_fma_f64 v[180:181], -v[180:181], v[202:203], v[200:201]
	s_nop 1
	v_div_fmas_f64 v[180:181], v[180:181], v[198:199], v[202:203]
	v_div_fixup_f64 v[182:183], v[180:181], v[182:183], 1.0
	v_mul_f64 v[180:181], v[196:197], v[182:183]
	v_xor_b32_e32 v183, 0x80000000, v183
.LBB88_616:
	s_andn2_saveexec_b64 s[16:17], s[16:17]
	s_cbranch_execz .LBB88_618
; %bb.617:
	v_div_scale_f64 v[196:197], s[18:19], v[180:181], v[180:181], v[182:183]
	v_rcp_f64_e32 v[198:199], v[196:197]
	v_div_scale_f64 v[200:201], vcc, v[182:183], v[180:181], v[182:183]
	v_fma_f64 v[202:203], -v[196:197], v[198:199], 1.0
	v_fmac_f64_e32 v[198:199], v[198:199], v[202:203]
	v_fma_f64 v[202:203], -v[196:197], v[198:199], 1.0
	v_fmac_f64_e32 v[198:199], v[198:199], v[202:203]
	v_mul_f64 v[202:203], v[200:201], v[198:199]
	v_fma_f64 v[196:197], -v[196:197], v[202:203], v[200:201]
	v_div_fmas_f64 v[196:197], v[196:197], v[198:199], v[202:203]
	v_div_fixup_f64 v[196:197], v[196:197], v[180:181], v[182:183]
	v_fmac_f64_e32 v[180:181], v[182:183], v[196:197]
	v_div_scale_f64 v[182:183], s[18:19], v[180:181], v[180:181], 1.0
	v_rcp_f64_e32 v[198:199], v[182:183]
	s_nop 0
	v_fma_f64 v[200:201], -v[182:183], v[198:199], 1.0
	v_fmac_f64_e32 v[198:199], v[198:199], v[200:201]
	v_fma_f64 v[200:201], -v[182:183], v[198:199], 1.0
	v_fmac_f64_e32 v[198:199], v[198:199], v[200:201]
	v_div_scale_f64 v[200:201], vcc, 1.0, v[180:181], 1.0
	v_mul_f64 v[202:203], v[200:201], v[198:199]
	v_fma_f64 v[182:183], -v[182:183], v[202:203], v[200:201]
	s_nop 1
	v_div_fmas_f64 v[182:183], v[182:183], v[198:199], v[202:203]
	v_div_fixup_f64 v[180:181], v[182:183], v[180:181], 1.0
	v_mul_f64 v[182:183], v[196:197], -v[180:181]
.LBB88_618:
	s_or_b64 exec, exec, s[16:17]
.LBB88_619:
	s_or_b64 exec, exec, s[0:1]
	v_cmp_ne_u32_e32 vcc, v193, v190
	s_and_saveexec_b64 s[0:1], vcc
	s_xor_b64 s[0:1], exec, s[0:1]
	s_cbranch_execz .LBB88_625
; %bb.620:
	v_cmp_eq_u32_e32 vcc, 29, v193
	s_and_saveexec_b64 s[16:17], vcc
	s_cbranch_execz .LBB88_624
; %bb.621:
	v_cmp_ne_u32_e32 vcc, 29, v190
	s_xor_b64 s[18:19], s[14:15], -1
	s_and_b64 s[22:23], s[18:19], vcc
	s_and_saveexec_b64 s[18:19], s[22:23]
	s_cbranch_execz .LBB88_623
; %bb.622:
	v_ashrrev_i32_e32 v191, 31, v190
	v_lshl_add_u64 v[196:197], v[190:191], 2, v[188:189]
	global_load_dword v191, v[196:197], off
	global_load_dword v193, v[188:189], off offset:116
	s_waitcnt vmcnt(1)
	global_store_dword v[188:189], v191, off offset:116
	s_waitcnt vmcnt(1)
	global_store_dword v[196:197], v193, off
.LBB88_623:
	s_or_b64 exec, exec, s[18:19]
	v_mov_b32_e32 v193, v190
	v_mov_b32_e32 v195, v190
.LBB88_624:
	s_or_b64 exec, exec, s[16:17]
.LBB88_625:
	s_andn2_saveexec_b64 s[0:1], s[0:1]
	s_cbranch_execz .LBB88_627
; %bb.626:
	v_mov_b32_e32 v193, 29
	s_waitcnt vmcnt(14)
	ds_write2_b64 v192, v[52:53], v[54:55] offset0:60 offset1:61
	s_waitcnt vmcnt(13)
	ds_write2_b64 v192, v[48:49], v[50:51] offset0:62 offset1:63
	;; [unrolled: 2-line block ×15, first 2 shown]
.LBB88_627:
	s_or_b64 exec, exec, s[0:1]
	v_cmp_lt_i32_e32 vcc, 29, v193
	s_waitcnt lgkmcnt(0)
	s_barrier
	s_and_saveexec_b64 s[0:1], vcc
	s_cbranch_execz .LBB88_629
; %bb.628:
	ds_read2_b64 v[196:199], v192 offset0:60 offset1:61
	v_mul_f64 v[190:191], v[180:181], v[58:59]
	v_fmac_f64_e32 v[190:191], v[182:183], v[56:57]
	v_mul_f64 v[58:59], v[182:183], v[58:59]
	v_fma_f64 v[56:57], v[180:181], v[56:57], -v[58:59]
	ds_read2_b64 v[180:183], v192 offset0:62 offset1:63
	s_waitcnt lgkmcnt(1)
	v_mul_f64 v[58:59], v[198:199], v[190:191]
	v_fma_f64 v[58:59], v[196:197], v[56:57], -v[58:59]
	v_mul_f64 v[196:197], v[196:197], v[190:191]
	v_fmac_f64_e32 v[196:197], v[198:199], v[56:57]
	s_waitcnt vmcnt(14)
	v_add_f64 v[54:55], v[54:55], -v[196:197]
	ds_read2_b64 v[196:199], v192 offset0:64 offset1:65
	v_add_f64 v[52:53], v[52:53], -v[58:59]
	s_waitcnt lgkmcnt(1)
	v_mul_f64 v[58:59], v[182:183], v[190:191]
	v_fma_f64 v[58:59], v[180:181], v[56:57], -v[58:59]
	v_mul_f64 v[180:181], v[180:181], v[190:191]
	v_fmac_f64_e32 v[180:181], v[182:183], v[56:57]
	s_waitcnt vmcnt(13)
	v_add_f64 v[48:49], v[48:49], -v[58:59]
	v_add_f64 v[50:51], v[50:51], -v[180:181]
	ds_read2_b64 v[180:183], v192 offset0:66 offset1:67
	s_waitcnt lgkmcnt(1)
	v_mul_f64 v[58:59], v[198:199], v[190:191]
	v_fma_f64 v[58:59], v[196:197], v[56:57], -v[58:59]
	v_mul_f64 v[196:197], v[196:197], v[190:191]
	v_fmac_f64_e32 v[196:197], v[198:199], v[56:57]
	s_waitcnt vmcnt(12)
	v_add_f64 v[46:47], v[46:47], -v[196:197]
	ds_read2_b64 v[196:199], v192 offset0:68 offset1:69
	v_add_f64 v[44:45], v[44:45], -v[58:59]
	s_waitcnt lgkmcnt(1)
	v_mul_f64 v[58:59], v[182:183], v[190:191]
	v_fma_f64 v[58:59], v[180:181], v[56:57], -v[58:59]
	v_mul_f64 v[180:181], v[180:181], v[190:191]
	v_fmac_f64_e32 v[180:181], v[182:183], v[56:57]
	s_waitcnt vmcnt(11)
	v_add_f64 v[40:41], v[40:41], -v[58:59]
	v_add_f64 v[42:43], v[42:43], -v[180:181]
	;; [unrolled: 18-line block ×7, first 2 shown]
	s_waitcnt lgkmcnt(0)
	v_mul_f64 v[58:59], v[198:199], v[190:191]
	v_mul_f64 v[180:181], v[196:197], v[190:191]
	v_fma_f64 v[58:59], v[196:197], v[56:57], -v[58:59]
	v_fmac_f64_e32 v[180:181], v[198:199], v[56:57]
	s_waitcnt vmcnt(0)
	v_add_f64 v[176:177], v[176:177], -v[58:59]
	v_add_f64 v[178:179], v[178:179], -v[180:181]
	v_mov_b64_e32 v[58:59], v[190:191]
.LBB88_629:
	s_or_b64 exec, exec, s[0:1]
	v_lshl_add_u32 v180, v193, 4, v192
	s_barrier
	s_waitcnt vmcnt(14)
	ds_write2_b64 v180, v[52:53], v[54:55] offset1:1
	s_waitcnt lgkmcnt(0)
	s_barrier
	ds_read2_b64 v[180:183], v192 offset0:60 offset1:61
	s_cmp_lt_i32 s20, 32
	v_mov_b32_e32 v190, 30
	s_cbranch_scc1 .LBB88_632
; %bb.630:
	v_add_u32_e32 v191, 0x1f0, v192
	s_mov_b32 s16, 31
	v_mov_b32_e32 v190, 30
.LBB88_631:                             ; =>This Inner Loop Header: Depth=1
	ds_read2_b64 v[196:199], v191 offset1:1
	s_waitcnt lgkmcnt(1)
	v_xor_b32_e32 v201, 0x80000000, v181
	v_xor_b32_e32 v203, 0x80000000, v183
	v_cmp_gt_f64_e32 vcc, 0, v[182:183]
	v_cmp_gt_f64_e64 s[0:1], 0, v[180:181]
	v_mov_b32_e32 v200, v180
	v_mov_b32_e32 v202, v182
	v_cndmask_b32_e64 v201, v181, v201, s[0:1]
	v_cndmask_b32_e32 v203, v183, v203, vcc
	v_add_f64 v[200:201], v[200:201], v[202:203]
	s_waitcnt lgkmcnt(0)
	v_xor_b32_e32 v203, 0x80000000, v197
	v_xor_b32_e32 v205, 0x80000000, v199
	v_cmp_gt_f64_e32 vcc, 0, v[198:199]
	v_cmp_gt_f64_e64 s[0:1], 0, v[196:197]
	v_mov_b32_e32 v202, v196
	v_mov_b32_e32 v204, v198
	v_cndmask_b32_e64 v203, v197, v203, s[0:1]
	v_cndmask_b32_e32 v205, v199, v205, vcc
	v_add_f64 v[202:203], v[202:203], v[204:205]
	v_mov_b32_e32 v206, s16
	s_add_i32 s16, s16, 1
	v_cmp_lt_f64_e32 vcc, v[200:201], v[202:203]
	v_add_u32_e32 v191, 16, v191
	s_cmp_lg_u32 s20, s16
	v_cndmask_b32_e32 v181, v181, v197, vcc
	v_cndmask_b32_e32 v180, v180, v196, vcc
	;; [unrolled: 1-line block ×5, first 2 shown]
	s_cbranch_scc1 .LBB88_631
.LBB88_632:
	s_waitcnt lgkmcnt(0)
	v_cmp_eq_f64_e32 vcc, 0, v[180:181]
	v_cmp_eq_f64_e64 s[0:1], 0, v[182:183]
	s_and_b64 s[0:1], vcc, s[0:1]
	s_and_saveexec_b64 s[16:17], s[0:1]
	s_xor_b64 s[0:1], exec, s[16:17]
; %bb.633:
	v_cmp_ne_u32_e32 vcc, 0, v194
	s_nop 1
	v_cndmask_b32_e32 v194, 31, v194, vcc
; %bb.634:
	s_andn2_saveexec_b64 s[0:1], s[0:1]
	s_cbranch_execz .LBB88_640
; %bb.635:
	v_cmp_ngt_f64_e64 s[16:17], |v[180:181]|, |v[182:183]|
	s_and_saveexec_b64 s[18:19], s[16:17]
	s_xor_b64 s[16:17], exec, s[18:19]
	s_cbranch_execz .LBB88_637
; %bb.636:
	v_div_scale_f64 v[196:197], s[18:19], v[182:183], v[182:183], v[180:181]
	v_rcp_f64_e32 v[198:199], v[196:197]
	v_div_scale_f64 v[200:201], vcc, v[180:181], v[182:183], v[180:181]
	v_fma_f64 v[202:203], -v[196:197], v[198:199], 1.0
	v_fmac_f64_e32 v[198:199], v[198:199], v[202:203]
	v_fma_f64 v[202:203], -v[196:197], v[198:199], 1.0
	v_fmac_f64_e32 v[198:199], v[198:199], v[202:203]
	v_mul_f64 v[202:203], v[200:201], v[198:199]
	v_fma_f64 v[196:197], -v[196:197], v[202:203], v[200:201]
	v_div_fmas_f64 v[196:197], v[196:197], v[198:199], v[202:203]
	v_div_fixup_f64 v[196:197], v[196:197], v[182:183], v[180:181]
	v_fmac_f64_e32 v[182:183], v[180:181], v[196:197]
	v_div_scale_f64 v[180:181], s[18:19], v[182:183], v[182:183], 1.0
	v_rcp_f64_e32 v[198:199], v[180:181]
	s_nop 0
	v_fma_f64 v[200:201], -v[180:181], v[198:199], 1.0
	v_fmac_f64_e32 v[198:199], v[198:199], v[200:201]
	v_fma_f64 v[200:201], -v[180:181], v[198:199], 1.0
	v_fmac_f64_e32 v[198:199], v[198:199], v[200:201]
	v_div_scale_f64 v[200:201], vcc, 1.0, v[182:183], 1.0
	v_mul_f64 v[202:203], v[200:201], v[198:199]
	v_fma_f64 v[180:181], -v[180:181], v[202:203], v[200:201]
	s_nop 1
	v_div_fmas_f64 v[180:181], v[180:181], v[198:199], v[202:203]
	v_div_fixup_f64 v[182:183], v[180:181], v[182:183], 1.0
	v_mul_f64 v[180:181], v[196:197], v[182:183]
	v_xor_b32_e32 v183, 0x80000000, v183
.LBB88_637:
	s_andn2_saveexec_b64 s[16:17], s[16:17]
	s_cbranch_execz .LBB88_639
; %bb.638:
	v_div_scale_f64 v[196:197], s[18:19], v[180:181], v[180:181], v[182:183]
	v_rcp_f64_e32 v[198:199], v[196:197]
	v_div_scale_f64 v[200:201], vcc, v[182:183], v[180:181], v[182:183]
	v_fma_f64 v[202:203], -v[196:197], v[198:199], 1.0
	v_fmac_f64_e32 v[198:199], v[198:199], v[202:203]
	v_fma_f64 v[202:203], -v[196:197], v[198:199], 1.0
	v_fmac_f64_e32 v[198:199], v[198:199], v[202:203]
	v_mul_f64 v[202:203], v[200:201], v[198:199]
	v_fma_f64 v[196:197], -v[196:197], v[202:203], v[200:201]
	v_div_fmas_f64 v[196:197], v[196:197], v[198:199], v[202:203]
	v_div_fixup_f64 v[196:197], v[196:197], v[180:181], v[182:183]
	v_fmac_f64_e32 v[180:181], v[182:183], v[196:197]
	v_div_scale_f64 v[182:183], s[18:19], v[180:181], v[180:181], 1.0
	v_rcp_f64_e32 v[198:199], v[182:183]
	s_nop 0
	v_fma_f64 v[200:201], -v[182:183], v[198:199], 1.0
	v_fmac_f64_e32 v[198:199], v[198:199], v[200:201]
	v_fma_f64 v[200:201], -v[182:183], v[198:199], 1.0
	v_fmac_f64_e32 v[198:199], v[198:199], v[200:201]
	v_div_scale_f64 v[200:201], vcc, 1.0, v[180:181], 1.0
	v_mul_f64 v[202:203], v[200:201], v[198:199]
	v_fma_f64 v[182:183], -v[182:183], v[202:203], v[200:201]
	s_nop 1
	v_div_fmas_f64 v[182:183], v[182:183], v[198:199], v[202:203]
	v_div_fixup_f64 v[180:181], v[182:183], v[180:181], 1.0
	v_mul_f64 v[182:183], v[196:197], -v[180:181]
.LBB88_639:
	s_or_b64 exec, exec, s[16:17]
.LBB88_640:
	s_or_b64 exec, exec, s[0:1]
	v_cmp_ne_u32_e32 vcc, v193, v190
	s_and_saveexec_b64 s[0:1], vcc
	s_xor_b64 s[0:1], exec, s[0:1]
	s_cbranch_execz .LBB88_646
; %bb.641:
	v_cmp_eq_u32_e32 vcc, 30, v193
	s_and_saveexec_b64 s[16:17], vcc
	s_cbranch_execz .LBB88_645
; %bb.642:
	v_cmp_ne_u32_e32 vcc, 30, v190
	s_xor_b64 s[18:19], s[14:15], -1
	s_and_b64 s[22:23], s[18:19], vcc
	s_and_saveexec_b64 s[18:19], s[22:23]
	s_cbranch_execz .LBB88_644
; %bb.643:
	v_ashrrev_i32_e32 v191, 31, v190
	v_lshl_add_u64 v[196:197], v[190:191], 2, v[188:189]
	global_load_dword v191, v[196:197], off
	global_load_dword v193, v[188:189], off offset:120
	s_waitcnt vmcnt(1)
	global_store_dword v[188:189], v191, off offset:120
	s_waitcnt vmcnt(1)
	global_store_dword v[196:197], v193, off
.LBB88_644:
	s_or_b64 exec, exec, s[18:19]
	v_mov_b32_e32 v193, v190
	v_mov_b32_e32 v195, v190
.LBB88_645:
	s_or_b64 exec, exec, s[16:17]
.LBB88_646:
	s_andn2_saveexec_b64 s[0:1], s[0:1]
	s_cbranch_execz .LBB88_648
; %bb.647:
	v_mov_b32_e32 v193, 30
	s_waitcnt vmcnt(13)
	ds_write2_b64 v192, v[48:49], v[50:51] offset0:62 offset1:63
	s_waitcnt vmcnt(12)
	ds_write2_b64 v192, v[44:45], v[46:47] offset0:64 offset1:65
	;; [unrolled: 2-line block ×14, first 2 shown]
.LBB88_648:
	s_or_b64 exec, exec, s[0:1]
	v_cmp_lt_i32_e32 vcc, 30, v193
	s_waitcnt lgkmcnt(0)
	s_barrier
	s_and_saveexec_b64 s[0:1], vcc
	s_cbranch_execz .LBB88_650
; %bb.649:
	ds_read2_b64 v[196:199], v192 offset0:62 offset1:63
	v_mul_f64 v[190:191], v[180:181], v[54:55]
	v_mul_f64 v[54:55], v[182:183], v[54:55]
	v_fmac_f64_e32 v[190:191], v[182:183], v[52:53]
	v_fma_f64 v[52:53], v[180:181], v[52:53], -v[54:55]
	ds_read2_b64 v[180:183], v192 offset0:64 offset1:65
	s_waitcnt lgkmcnt(1)
	v_mul_f64 v[54:55], v[198:199], v[190:191]
	v_fma_f64 v[54:55], v[196:197], v[52:53], -v[54:55]
	v_mul_f64 v[196:197], v[196:197], v[190:191]
	v_fmac_f64_e32 v[196:197], v[198:199], v[52:53]
	s_waitcnt vmcnt(13)
	v_add_f64 v[48:49], v[48:49], -v[54:55]
	s_waitcnt lgkmcnt(0)
	v_mul_f64 v[54:55], v[182:183], v[190:191]
	v_add_f64 v[50:51], v[50:51], -v[196:197]
	v_fma_f64 v[54:55], v[180:181], v[52:53], -v[54:55]
	v_mul_f64 v[180:181], v[180:181], v[190:191]
	ds_read2_b64 v[196:199], v192 offset0:66 offset1:67
	v_fmac_f64_e32 v[180:181], v[182:183], v[52:53]
	s_waitcnt vmcnt(12)
	v_add_f64 v[46:47], v[46:47], -v[180:181]
	ds_read2_b64 v[180:183], v192 offset0:68 offset1:69
	v_add_f64 v[44:45], v[44:45], -v[54:55]
	s_waitcnt lgkmcnt(1)
	v_mul_f64 v[54:55], v[198:199], v[190:191]
	v_fma_f64 v[54:55], v[196:197], v[52:53], -v[54:55]
	v_mul_f64 v[196:197], v[196:197], v[190:191]
	v_fmac_f64_e32 v[196:197], v[198:199], v[52:53]
	s_waitcnt vmcnt(11)
	v_add_f64 v[40:41], v[40:41], -v[54:55]
	s_waitcnt lgkmcnt(0)
	v_mul_f64 v[54:55], v[182:183], v[190:191]
	v_add_f64 v[42:43], v[42:43], -v[196:197]
	v_fma_f64 v[54:55], v[180:181], v[52:53], -v[54:55]
	v_mul_f64 v[180:181], v[180:181], v[190:191]
	ds_read2_b64 v[196:199], v192 offset0:70 offset1:71
	v_fmac_f64_e32 v[180:181], v[182:183], v[52:53]
	s_waitcnt vmcnt(10)
	v_add_f64 v[38:39], v[38:39], -v[180:181]
	ds_read2_b64 v[180:183], v192 offset0:72 offset1:73
	v_add_f64 v[36:37], v[36:37], -v[54:55]
	;; [unrolled: 18-line block ×6, first 2 shown]
	s_waitcnt lgkmcnt(1)
	v_mul_f64 v[54:55], v[198:199], v[190:191]
	v_fma_f64 v[54:55], v[196:197], v[52:53], -v[54:55]
	s_waitcnt vmcnt(1)
	v_add_f64 v[0:1], v[0:1], -v[54:55]
	s_waitcnt lgkmcnt(0)
	v_mul_f64 v[54:55], v[182:183], v[190:191]
	v_mul_f64 v[196:197], v[196:197], v[190:191]
	v_fma_f64 v[54:55], v[180:181], v[52:53], -v[54:55]
	v_mul_f64 v[180:181], v[180:181], v[190:191]
	v_fmac_f64_e32 v[196:197], v[198:199], v[52:53]
	v_fmac_f64_e32 v[180:181], v[182:183], v[52:53]
	v_add_f64 v[2:3], v[2:3], -v[196:197]
	s_waitcnt vmcnt(0)
	v_add_f64 v[176:177], v[176:177], -v[54:55]
	v_add_f64 v[178:179], v[178:179], -v[180:181]
	v_mov_b64_e32 v[54:55], v[190:191]
.LBB88_650:
	s_or_b64 exec, exec, s[0:1]
	v_lshl_add_u32 v180, v193, 4, v192
	s_barrier
	s_waitcnt vmcnt(13)
	ds_write2_b64 v180, v[48:49], v[50:51] offset1:1
	s_waitcnt lgkmcnt(0)
	s_barrier
	ds_read2_b64 v[180:183], v192 offset0:62 offset1:63
	s_cmp_lt_i32 s20, 33
	v_mov_b32_e32 v190, 31
	s_cbranch_scc1 .LBB88_653
; %bb.651:
	v_add_u32_e32 v191, 0x200, v192
	s_mov_b32 s16, 32
	v_mov_b32_e32 v190, 31
.LBB88_652:                             ; =>This Inner Loop Header: Depth=1
	ds_read2_b64 v[196:199], v191 offset1:1
	s_waitcnt lgkmcnt(1)
	v_xor_b32_e32 v201, 0x80000000, v181
	v_xor_b32_e32 v203, 0x80000000, v183
	v_cmp_gt_f64_e32 vcc, 0, v[182:183]
	v_cmp_gt_f64_e64 s[0:1], 0, v[180:181]
	v_mov_b32_e32 v200, v180
	v_mov_b32_e32 v202, v182
	v_cndmask_b32_e64 v201, v181, v201, s[0:1]
	v_cndmask_b32_e32 v203, v183, v203, vcc
	v_add_f64 v[200:201], v[200:201], v[202:203]
	s_waitcnt lgkmcnt(0)
	v_xor_b32_e32 v203, 0x80000000, v197
	v_xor_b32_e32 v205, 0x80000000, v199
	v_cmp_gt_f64_e32 vcc, 0, v[198:199]
	v_cmp_gt_f64_e64 s[0:1], 0, v[196:197]
	v_mov_b32_e32 v202, v196
	v_mov_b32_e32 v204, v198
	v_cndmask_b32_e64 v203, v197, v203, s[0:1]
	v_cndmask_b32_e32 v205, v199, v205, vcc
	v_add_f64 v[202:203], v[202:203], v[204:205]
	v_mov_b32_e32 v206, s16
	s_add_i32 s16, s16, 1
	v_cmp_lt_f64_e32 vcc, v[200:201], v[202:203]
	v_add_u32_e32 v191, 16, v191
	s_cmp_lg_u32 s20, s16
	v_cndmask_b32_e32 v181, v181, v197, vcc
	v_cndmask_b32_e32 v180, v180, v196, vcc
	;; [unrolled: 1-line block ×5, first 2 shown]
	s_cbranch_scc1 .LBB88_652
.LBB88_653:
	s_waitcnt lgkmcnt(0)
	v_cmp_eq_f64_e32 vcc, 0, v[180:181]
	v_cmp_eq_f64_e64 s[0:1], 0, v[182:183]
	s_and_b64 s[0:1], vcc, s[0:1]
	s_and_saveexec_b64 s[16:17], s[0:1]
	s_xor_b64 s[0:1], exec, s[16:17]
; %bb.654:
	v_cmp_ne_u32_e32 vcc, 0, v194
	s_nop 1
	v_cndmask_b32_e32 v194, 32, v194, vcc
; %bb.655:
	s_andn2_saveexec_b64 s[0:1], s[0:1]
	s_cbranch_execz .LBB88_661
; %bb.656:
	v_cmp_ngt_f64_e64 s[16:17], |v[180:181]|, |v[182:183]|
	s_and_saveexec_b64 s[18:19], s[16:17]
	s_xor_b64 s[16:17], exec, s[18:19]
	s_cbranch_execz .LBB88_658
; %bb.657:
	v_div_scale_f64 v[196:197], s[18:19], v[182:183], v[182:183], v[180:181]
	v_rcp_f64_e32 v[198:199], v[196:197]
	v_div_scale_f64 v[200:201], vcc, v[180:181], v[182:183], v[180:181]
	v_fma_f64 v[202:203], -v[196:197], v[198:199], 1.0
	v_fmac_f64_e32 v[198:199], v[198:199], v[202:203]
	v_fma_f64 v[202:203], -v[196:197], v[198:199], 1.0
	v_fmac_f64_e32 v[198:199], v[198:199], v[202:203]
	v_mul_f64 v[202:203], v[200:201], v[198:199]
	v_fma_f64 v[196:197], -v[196:197], v[202:203], v[200:201]
	v_div_fmas_f64 v[196:197], v[196:197], v[198:199], v[202:203]
	v_div_fixup_f64 v[196:197], v[196:197], v[182:183], v[180:181]
	v_fmac_f64_e32 v[182:183], v[180:181], v[196:197]
	v_div_scale_f64 v[180:181], s[18:19], v[182:183], v[182:183], 1.0
	v_rcp_f64_e32 v[198:199], v[180:181]
	s_nop 0
	v_fma_f64 v[200:201], -v[180:181], v[198:199], 1.0
	v_fmac_f64_e32 v[198:199], v[198:199], v[200:201]
	v_fma_f64 v[200:201], -v[180:181], v[198:199], 1.0
	v_fmac_f64_e32 v[198:199], v[198:199], v[200:201]
	v_div_scale_f64 v[200:201], vcc, 1.0, v[182:183], 1.0
	v_mul_f64 v[202:203], v[200:201], v[198:199]
	v_fma_f64 v[180:181], -v[180:181], v[202:203], v[200:201]
	s_nop 1
	v_div_fmas_f64 v[180:181], v[180:181], v[198:199], v[202:203]
	v_div_fixup_f64 v[182:183], v[180:181], v[182:183], 1.0
	v_mul_f64 v[180:181], v[196:197], v[182:183]
	v_xor_b32_e32 v183, 0x80000000, v183
.LBB88_658:
	s_andn2_saveexec_b64 s[16:17], s[16:17]
	s_cbranch_execz .LBB88_660
; %bb.659:
	v_div_scale_f64 v[196:197], s[18:19], v[180:181], v[180:181], v[182:183]
	v_rcp_f64_e32 v[198:199], v[196:197]
	v_div_scale_f64 v[200:201], vcc, v[182:183], v[180:181], v[182:183]
	v_fma_f64 v[202:203], -v[196:197], v[198:199], 1.0
	v_fmac_f64_e32 v[198:199], v[198:199], v[202:203]
	v_fma_f64 v[202:203], -v[196:197], v[198:199], 1.0
	v_fmac_f64_e32 v[198:199], v[198:199], v[202:203]
	v_mul_f64 v[202:203], v[200:201], v[198:199]
	v_fma_f64 v[196:197], -v[196:197], v[202:203], v[200:201]
	v_div_fmas_f64 v[196:197], v[196:197], v[198:199], v[202:203]
	v_div_fixup_f64 v[196:197], v[196:197], v[180:181], v[182:183]
	v_fmac_f64_e32 v[180:181], v[182:183], v[196:197]
	v_div_scale_f64 v[182:183], s[18:19], v[180:181], v[180:181], 1.0
	v_rcp_f64_e32 v[198:199], v[182:183]
	s_nop 0
	v_fma_f64 v[200:201], -v[182:183], v[198:199], 1.0
	v_fmac_f64_e32 v[198:199], v[198:199], v[200:201]
	v_fma_f64 v[200:201], -v[182:183], v[198:199], 1.0
	v_fmac_f64_e32 v[198:199], v[198:199], v[200:201]
	v_div_scale_f64 v[200:201], vcc, 1.0, v[180:181], 1.0
	v_mul_f64 v[202:203], v[200:201], v[198:199]
	v_fma_f64 v[182:183], -v[182:183], v[202:203], v[200:201]
	s_nop 1
	v_div_fmas_f64 v[182:183], v[182:183], v[198:199], v[202:203]
	v_div_fixup_f64 v[180:181], v[182:183], v[180:181], 1.0
	v_mul_f64 v[182:183], v[196:197], -v[180:181]
.LBB88_660:
	s_or_b64 exec, exec, s[16:17]
.LBB88_661:
	s_or_b64 exec, exec, s[0:1]
	v_cmp_ne_u32_e32 vcc, v193, v190
	s_and_saveexec_b64 s[0:1], vcc
	s_xor_b64 s[0:1], exec, s[0:1]
	s_cbranch_execz .LBB88_667
; %bb.662:
	v_cmp_eq_u32_e32 vcc, 31, v193
	s_and_saveexec_b64 s[16:17], vcc
	s_cbranch_execz .LBB88_666
; %bb.663:
	v_cmp_ne_u32_e32 vcc, 31, v190
	s_xor_b64 s[18:19], s[14:15], -1
	s_and_b64 s[22:23], s[18:19], vcc
	s_and_saveexec_b64 s[18:19], s[22:23]
	s_cbranch_execz .LBB88_665
; %bb.664:
	v_ashrrev_i32_e32 v191, 31, v190
	v_lshl_add_u64 v[196:197], v[190:191], 2, v[188:189]
	global_load_dword v191, v[196:197], off
	global_load_dword v193, v[188:189], off offset:124
	s_waitcnt vmcnt(1)
	global_store_dword v[188:189], v191, off offset:124
	s_waitcnt vmcnt(1)
	global_store_dword v[196:197], v193, off
.LBB88_665:
	s_or_b64 exec, exec, s[18:19]
	v_mov_b32_e32 v193, v190
	v_mov_b32_e32 v195, v190
.LBB88_666:
	s_or_b64 exec, exec, s[16:17]
.LBB88_667:
	s_andn2_saveexec_b64 s[0:1], s[0:1]
	s_cbranch_execz .LBB88_669
; %bb.668:
	v_mov_b32_e32 v193, 31
	s_waitcnt vmcnt(12)
	ds_write2_b64 v192, v[44:45], v[46:47] offset0:64 offset1:65
	s_waitcnt vmcnt(11)
	ds_write2_b64 v192, v[40:41], v[42:43] offset0:66 offset1:67
	s_waitcnt vmcnt(10)
	ds_write2_b64 v192, v[36:37], v[38:39] offset0:68 offset1:69
	s_waitcnt vmcnt(9)
	ds_write2_b64 v192, v[32:33], v[34:35] offset0:70 offset1:71
	s_waitcnt vmcnt(8)
	ds_write2_b64 v192, v[28:29], v[30:31] offset0:72 offset1:73
	s_waitcnt vmcnt(7)
	ds_write2_b64 v192, v[24:25], v[26:27] offset0:74 offset1:75
	s_waitcnt vmcnt(6)
	ds_write2_b64 v192, v[20:21], v[22:23] offset0:76 offset1:77
	s_waitcnt vmcnt(5)
	ds_write2_b64 v192, v[16:17], v[18:19] offset0:78 offset1:79
	s_waitcnt vmcnt(4)
	ds_write2_b64 v192, v[12:13], v[14:15] offset0:80 offset1:81
	s_waitcnt vmcnt(3)
	ds_write2_b64 v192, v[8:9], v[10:11] offset0:82 offset1:83
	s_waitcnt vmcnt(2)
	ds_write2_b64 v192, v[4:5], v[6:7] offset0:84 offset1:85
	s_waitcnt vmcnt(1)
	ds_write2_b64 v192, v[0:1], v[2:3] offset0:86 offset1:87
	s_waitcnt vmcnt(0)
	ds_write2_b64 v192, v[176:177], v[178:179] offset0:88 offset1:89
.LBB88_669:
	s_or_b64 exec, exec, s[0:1]
	v_cmp_lt_i32_e32 vcc, 31, v193
	s_waitcnt lgkmcnt(0)
	s_barrier
	s_and_saveexec_b64 s[0:1], vcc
	s_cbranch_execz .LBB88_671
; %bb.670:
	ds_read2_b64 v[196:199], v192 offset0:64 offset1:65
	v_mul_f64 v[190:191], v[180:181], v[50:51]
	v_fmac_f64_e32 v[190:191], v[182:183], v[48:49]
	v_mul_f64 v[50:51], v[182:183], v[50:51]
	v_fma_f64 v[48:49], v[180:181], v[48:49], -v[50:51]
	ds_read2_b64 v[180:183], v192 offset0:66 offset1:67
	s_waitcnt lgkmcnt(1)
	v_mul_f64 v[50:51], v[198:199], v[190:191]
	v_fma_f64 v[50:51], v[196:197], v[48:49], -v[50:51]
	v_mul_f64 v[196:197], v[196:197], v[190:191]
	v_fmac_f64_e32 v[196:197], v[198:199], v[48:49]
	s_waitcnt vmcnt(12)
	v_add_f64 v[46:47], v[46:47], -v[196:197]
	ds_read2_b64 v[196:199], v192 offset0:68 offset1:69
	v_add_f64 v[44:45], v[44:45], -v[50:51]
	s_waitcnt lgkmcnt(1)
	v_mul_f64 v[50:51], v[182:183], v[190:191]
	v_fma_f64 v[50:51], v[180:181], v[48:49], -v[50:51]
	v_mul_f64 v[180:181], v[180:181], v[190:191]
	v_fmac_f64_e32 v[180:181], v[182:183], v[48:49]
	s_waitcnt vmcnt(11)
	v_add_f64 v[40:41], v[40:41], -v[50:51]
	v_add_f64 v[42:43], v[42:43], -v[180:181]
	ds_read2_b64 v[180:183], v192 offset0:70 offset1:71
	s_waitcnt lgkmcnt(1)
	v_mul_f64 v[50:51], v[198:199], v[190:191]
	v_fma_f64 v[50:51], v[196:197], v[48:49], -v[50:51]
	v_mul_f64 v[196:197], v[196:197], v[190:191]
	v_fmac_f64_e32 v[196:197], v[198:199], v[48:49]
	s_waitcnt vmcnt(10)
	v_add_f64 v[38:39], v[38:39], -v[196:197]
	ds_read2_b64 v[196:199], v192 offset0:72 offset1:73
	v_add_f64 v[36:37], v[36:37], -v[50:51]
	s_waitcnt lgkmcnt(1)
	v_mul_f64 v[50:51], v[182:183], v[190:191]
	v_fma_f64 v[50:51], v[180:181], v[48:49], -v[50:51]
	v_mul_f64 v[180:181], v[180:181], v[190:191]
	v_fmac_f64_e32 v[180:181], v[182:183], v[48:49]
	s_waitcnt vmcnt(9)
	v_add_f64 v[32:33], v[32:33], -v[50:51]
	v_add_f64 v[34:35], v[34:35], -v[180:181]
	;; [unrolled: 18-line block ×6, first 2 shown]
	s_waitcnt lgkmcnt(0)
	v_mul_f64 v[50:51], v[198:199], v[190:191]
	v_mul_f64 v[180:181], v[196:197], v[190:191]
	v_fma_f64 v[50:51], v[196:197], v[48:49], -v[50:51]
	v_fmac_f64_e32 v[180:181], v[198:199], v[48:49]
	s_waitcnt vmcnt(0)
	v_add_f64 v[176:177], v[176:177], -v[50:51]
	v_add_f64 v[178:179], v[178:179], -v[180:181]
	v_mov_b64_e32 v[50:51], v[190:191]
.LBB88_671:
	s_or_b64 exec, exec, s[0:1]
	v_lshl_add_u32 v180, v193, 4, v192
	s_barrier
	s_waitcnt vmcnt(12)
	ds_write2_b64 v180, v[44:45], v[46:47] offset1:1
	s_waitcnt lgkmcnt(0)
	s_barrier
	ds_read2_b64 v[180:183], v192 offset0:64 offset1:65
	s_cmp_lt_i32 s20, 34
	v_mov_b32_e32 v190, 32
	s_cbranch_scc1 .LBB88_674
; %bb.672:
	v_add_u32_e32 v191, 0x210, v192
	s_mov_b32 s16, 33
	v_mov_b32_e32 v190, 32
.LBB88_673:                             ; =>This Inner Loop Header: Depth=1
	ds_read2_b64 v[196:199], v191 offset1:1
	s_waitcnt lgkmcnt(1)
	v_xor_b32_e32 v201, 0x80000000, v181
	v_xor_b32_e32 v203, 0x80000000, v183
	v_cmp_gt_f64_e32 vcc, 0, v[182:183]
	v_cmp_gt_f64_e64 s[0:1], 0, v[180:181]
	v_mov_b32_e32 v200, v180
	v_mov_b32_e32 v202, v182
	v_cndmask_b32_e64 v201, v181, v201, s[0:1]
	v_cndmask_b32_e32 v203, v183, v203, vcc
	v_add_f64 v[200:201], v[200:201], v[202:203]
	s_waitcnt lgkmcnt(0)
	v_xor_b32_e32 v203, 0x80000000, v197
	v_xor_b32_e32 v205, 0x80000000, v199
	v_cmp_gt_f64_e32 vcc, 0, v[198:199]
	v_cmp_gt_f64_e64 s[0:1], 0, v[196:197]
	v_mov_b32_e32 v202, v196
	v_mov_b32_e32 v204, v198
	v_cndmask_b32_e64 v203, v197, v203, s[0:1]
	v_cndmask_b32_e32 v205, v199, v205, vcc
	v_add_f64 v[202:203], v[202:203], v[204:205]
	v_mov_b32_e32 v206, s16
	s_add_i32 s16, s16, 1
	v_cmp_lt_f64_e32 vcc, v[200:201], v[202:203]
	v_add_u32_e32 v191, 16, v191
	s_cmp_lg_u32 s20, s16
	v_cndmask_b32_e32 v181, v181, v197, vcc
	v_cndmask_b32_e32 v180, v180, v196, vcc
	;; [unrolled: 1-line block ×5, first 2 shown]
	s_cbranch_scc1 .LBB88_673
.LBB88_674:
	s_waitcnt lgkmcnt(0)
	v_cmp_eq_f64_e32 vcc, 0, v[180:181]
	v_cmp_eq_f64_e64 s[0:1], 0, v[182:183]
	s_and_b64 s[0:1], vcc, s[0:1]
	s_and_saveexec_b64 s[16:17], s[0:1]
	s_xor_b64 s[0:1], exec, s[16:17]
; %bb.675:
	v_cmp_ne_u32_e32 vcc, 0, v194
	s_nop 1
	v_cndmask_b32_e32 v194, 33, v194, vcc
; %bb.676:
	s_andn2_saveexec_b64 s[0:1], s[0:1]
	s_cbranch_execz .LBB88_682
; %bb.677:
	v_cmp_ngt_f64_e64 s[16:17], |v[180:181]|, |v[182:183]|
	s_and_saveexec_b64 s[18:19], s[16:17]
	s_xor_b64 s[16:17], exec, s[18:19]
	s_cbranch_execz .LBB88_679
; %bb.678:
	v_div_scale_f64 v[196:197], s[18:19], v[182:183], v[182:183], v[180:181]
	v_rcp_f64_e32 v[198:199], v[196:197]
	v_div_scale_f64 v[200:201], vcc, v[180:181], v[182:183], v[180:181]
	v_fma_f64 v[202:203], -v[196:197], v[198:199], 1.0
	v_fmac_f64_e32 v[198:199], v[198:199], v[202:203]
	v_fma_f64 v[202:203], -v[196:197], v[198:199], 1.0
	v_fmac_f64_e32 v[198:199], v[198:199], v[202:203]
	v_mul_f64 v[202:203], v[200:201], v[198:199]
	v_fma_f64 v[196:197], -v[196:197], v[202:203], v[200:201]
	v_div_fmas_f64 v[196:197], v[196:197], v[198:199], v[202:203]
	v_div_fixup_f64 v[196:197], v[196:197], v[182:183], v[180:181]
	v_fmac_f64_e32 v[182:183], v[180:181], v[196:197]
	v_div_scale_f64 v[180:181], s[18:19], v[182:183], v[182:183], 1.0
	v_rcp_f64_e32 v[198:199], v[180:181]
	s_nop 0
	v_fma_f64 v[200:201], -v[180:181], v[198:199], 1.0
	v_fmac_f64_e32 v[198:199], v[198:199], v[200:201]
	v_fma_f64 v[200:201], -v[180:181], v[198:199], 1.0
	v_fmac_f64_e32 v[198:199], v[198:199], v[200:201]
	v_div_scale_f64 v[200:201], vcc, 1.0, v[182:183], 1.0
	v_mul_f64 v[202:203], v[200:201], v[198:199]
	v_fma_f64 v[180:181], -v[180:181], v[202:203], v[200:201]
	s_nop 1
	v_div_fmas_f64 v[180:181], v[180:181], v[198:199], v[202:203]
	v_div_fixup_f64 v[182:183], v[180:181], v[182:183], 1.0
	v_mul_f64 v[180:181], v[196:197], v[182:183]
	v_xor_b32_e32 v183, 0x80000000, v183
.LBB88_679:
	s_andn2_saveexec_b64 s[16:17], s[16:17]
	s_cbranch_execz .LBB88_681
; %bb.680:
	v_div_scale_f64 v[196:197], s[18:19], v[180:181], v[180:181], v[182:183]
	v_rcp_f64_e32 v[198:199], v[196:197]
	v_div_scale_f64 v[200:201], vcc, v[182:183], v[180:181], v[182:183]
	v_fma_f64 v[202:203], -v[196:197], v[198:199], 1.0
	v_fmac_f64_e32 v[198:199], v[198:199], v[202:203]
	v_fma_f64 v[202:203], -v[196:197], v[198:199], 1.0
	v_fmac_f64_e32 v[198:199], v[198:199], v[202:203]
	v_mul_f64 v[202:203], v[200:201], v[198:199]
	v_fma_f64 v[196:197], -v[196:197], v[202:203], v[200:201]
	v_div_fmas_f64 v[196:197], v[196:197], v[198:199], v[202:203]
	v_div_fixup_f64 v[196:197], v[196:197], v[180:181], v[182:183]
	v_fmac_f64_e32 v[180:181], v[182:183], v[196:197]
	v_div_scale_f64 v[182:183], s[18:19], v[180:181], v[180:181], 1.0
	v_rcp_f64_e32 v[198:199], v[182:183]
	s_nop 0
	v_fma_f64 v[200:201], -v[182:183], v[198:199], 1.0
	v_fmac_f64_e32 v[198:199], v[198:199], v[200:201]
	v_fma_f64 v[200:201], -v[182:183], v[198:199], 1.0
	v_fmac_f64_e32 v[198:199], v[198:199], v[200:201]
	v_div_scale_f64 v[200:201], vcc, 1.0, v[180:181], 1.0
	v_mul_f64 v[202:203], v[200:201], v[198:199]
	v_fma_f64 v[182:183], -v[182:183], v[202:203], v[200:201]
	s_nop 1
	v_div_fmas_f64 v[182:183], v[182:183], v[198:199], v[202:203]
	v_div_fixup_f64 v[180:181], v[182:183], v[180:181], 1.0
	v_mul_f64 v[182:183], v[196:197], -v[180:181]
.LBB88_681:
	s_or_b64 exec, exec, s[16:17]
.LBB88_682:
	s_or_b64 exec, exec, s[0:1]
	v_cmp_ne_u32_e32 vcc, v193, v190
	s_and_saveexec_b64 s[0:1], vcc
	s_xor_b64 s[0:1], exec, s[0:1]
	s_cbranch_execz .LBB88_688
; %bb.683:
	v_cmp_eq_u32_e32 vcc, 32, v193
	s_and_saveexec_b64 s[16:17], vcc
	s_cbranch_execz .LBB88_687
; %bb.684:
	v_cmp_ne_u32_e32 vcc, 32, v190
	s_xor_b64 s[18:19], s[14:15], -1
	s_and_b64 s[22:23], s[18:19], vcc
	s_and_saveexec_b64 s[18:19], s[22:23]
	s_cbranch_execz .LBB88_686
; %bb.685:
	v_ashrrev_i32_e32 v191, 31, v190
	v_lshl_add_u64 v[196:197], v[190:191], 2, v[188:189]
	global_load_dword v191, v[196:197], off
	global_load_dword v193, v[188:189], off offset:128
	s_waitcnt vmcnt(1)
	global_store_dword v[188:189], v191, off offset:128
	s_waitcnt vmcnt(1)
	global_store_dword v[196:197], v193, off
.LBB88_686:
	s_or_b64 exec, exec, s[18:19]
	v_mov_b32_e32 v193, v190
	v_mov_b32_e32 v195, v190
.LBB88_687:
	s_or_b64 exec, exec, s[16:17]
.LBB88_688:
	s_andn2_saveexec_b64 s[0:1], s[0:1]
	s_cbranch_execz .LBB88_690
; %bb.689:
	v_mov_b32_e32 v193, 32
	s_waitcnt vmcnt(11)
	ds_write2_b64 v192, v[40:41], v[42:43] offset0:66 offset1:67
	s_waitcnt vmcnt(10)
	ds_write2_b64 v192, v[36:37], v[38:39] offset0:68 offset1:69
	;; [unrolled: 2-line block ×12, first 2 shown]
.LBB88_690:
	s_or_b64 exec, exec, s[0:1]
	v_cmp_lt_i32_e32 vcc, 32, v193
	s_waitcnt lgkmcnt(0)
	s_barrier
	s_and_saveexec_b64 s[0:1], vcc
	s_cbranch_execz .LBB88_692
; %bb.691:
	ds_read2_b64 v[196:199], v192 offset0:66 offset1:67
	v_mul_f64 v[190:191], v[180:181], v[46:47]
	v_mul_f64 v[46:47], v[182:183], v[46:47]
	v_fmac_f64_e32 v[190:191], v[182:183], v[44:45]
	v_fma_f64 v[44:45], v[180:181], v[44:45], -v[46:47]
	ds_read2_b64 v[180:183], v192 offset0:68 offset1:69
	s_waitcnt lgkmcnt(1)
	v_mul_f64 v[46:47], v[198:199], v[190:191]
	v_fma_f64 v[46:47], v[196:197], v[44:45], -v[46:47]
	v_mul_f64 v[196:197], v[196:197], v[190:191]
	v_fmac_f64_e32 v[196:197], v[198:199], v[44:45]
	s_waitcnt vmcnt(11)
	v_add_f64 v[40:41], v[40:41], -v[46:47]
	s_waitcnt lgkmcnt(0)
	v_mul_f64 v[46:47], v[182:183], v[190:191]
	v_add_f64 v[42:43], v[42:43], -v[196:197]
	v_fma_f64 v[46:47], v[180:181], v[44:45], -v[46:47]
	v_mul_f64 v[180:181], v[180:181], v[190:191]
	ds_read2_b64 v[196:199], v192 offset0:70 offset1:71
	v_fmac_f64_e32 v[180:181], v[182:183], v[44:45]
	s_waitcnt vmcnt(10)
	v_add_f64 v[38:39], v[38:39], -v[180:181]
	ds_read2_b64 v[180:183], v192 offset0:72 offset1:73
	v_add_f64 v[36:37], v[36:37], -v[46:47]
	s_waitcnt lgkmcnt(1)
	v_mul_f64 v[46:47], v[198:199], v[190:191]
	v_fma_f64 v[46:47], v[196:197], v[44:45], -v[46:47]
	v_mul_f64 v[196:197], v[196:197], v[190:191]
	v_fmac_f64_e32 v[196:197], v[198:199], v[44:45]
	s_waitcnt vmcnt(9)
	v_add_f64 v[32:33], v[32:33], -v[46:47]
	s_waitcnt lgkmcnt(0)
	v_mul_f64 v[46:47], v[182:183], v[190:191]
	v_add_f64 v[34:35], v[34:35], -v[196:197]
	v_fma_f64 v[46:47], v[180:181], v[44:45], -v[46:47]
	v_mul_f64 v[180:181], v[180:181], v[190:191]
	ds_read2_b64 v[196:199], v192 offset0:74 offset1:75
	v_fmac_f64_e32 v[180:181], v[182:183], v[44:45]
	s_waitcnt vmcnt(8)
	v_add_f64 v[30:31], v[30:31], -v[180:181]
	ds_read2_b64 v[180:183], v192 offset0:76 offset1:77
	v_add_f64 v[28:29], v[28:29], -v[46:47]
	;; [unrolled: 18-line block ×5, first 2 shown]
	s_waitcnt lgkmcnt(1)
	v_mul_f64 v[46:47], v[198:199], v[190:191]
	v_fma_f64 v[46:47], v[196:197], v[44:45], -v[46:47]
	s_waitcnt vmcnt(1)
	v_add_f64 v[0:1], v[0:1], -v[46:47]
	s_waitcnt lgkmcnt(0)
	v_mul_f64 v[46:47], v[182:183], v[190:191]
	v_mul_f64 v[196:197], v[196:197], v[190:191]
	v_fma_f64 v[46:47], v[180:181], v[44:45], -v[46:47]
	v_mul_f64 v[180:181], v[180:181], v[190:191]
	v_fmac_f64_e32 v[196:197], v[198:199], v[44:45]
	v_fmac_f64_e32 v[180:181], v[182:183], v[44:45]
	v_add_f64 v[2:3], v[2:3], -v[196:197]
	s_waitcnt vmcnt(0)
	v_add_f64 v[176:177], v[176:177], -v[46:47]
	v_add_f64 v[178:179], v[178:179], -v[180:181]
	v_mov_b64_e32 v[46:47], v[190:191]
.LBB88_692:
	s_or_b64 exec, exec, s[0:1]
	v_lshl_add_u32 v180, v193, 4, v192
	s_barrier
	s_waitcnt vmcnt(11)
	ds_write2_b64 v180, v[40:41], v[42:43] offset1:1
	s_waitcnt lgkmcnt(0)
	s_barrier
	ds_read2_b64 v[180:183], v192 offset0:66 offset1:67
	s_cmp_lt_i32 s20, 35
	v_mov_b32_e32 v190, 33
	s_cbranch_scc1 .LBB88_695
; %bb.693:
	v_add_u32_e32 v191, 0x220, v192
	s_mov_b32 s16, 34
	v_mov_b32_e32 v190, 33
.LBB88_694:                             ; =>This Inner Loop Header: Depth=1
	ds_read2_b64 v[196:199], v191 offset1:1
	s_waitcnt lgkmcnt(1)
	v_xor_b32_e32 v201, 0x80000000, v181
	v_xor_b32_e32 v203, 0x80000000, v183
	v_cmp_gt_f64_e32 vcc, 0, v[182:183]
	v_cmp_gt_f64_e64 s[0:1], 0, v[180:181]
	v_mov_b32_e32 v200, v180
	v_mov_b32_e32 v202, v182
	v_cndmask_b32_e64 v201, v181, v201, s[0:1]
	v_cndmask_b32_e32 v203, v183, v203, vcc
	v_add_f64 v[200:201], v[200:201], v[202:203]
	s_waitcnt lgkmcnt(0)
	v_xor_b32_e32 v203, 0x80000000, v197
	v_xor_b32_e32 v205, 0x80000000, v199
	v_cmp_gt_f64_e32 vcc, 0, v[198:199]
	v_cmp_gt_f64_e64 s[0:1], 0, v[196:197]
	v_mov_b32_e32 v202, v196
	v_mov_b32_e32 v204, v198
	v_cndmask_b32_e64 v203, v197, v203, s[0:1]
	v_cndmask_b32_e32 v205, v199, v205, vcc
	v_add_f64 v[202:203], v[202:203], v[204:205]
	v_mov_b32_e32 v206, s16
	s_add_i32 s16, s16, 1
	v_cmp_lt_f64_e32 vcc, v[200:201], v[202:203]
	v_add_u32_e32 v191, 16, v191
	s_cmp_lg_u32 s20, s16
	v_cndmask_b32_e32 v181, v181, v197, vcc
	v_cndmask_b32_e32 v180, v180, v196, vcc
	;; [unrolled: 1-line block ×5, first 2 shown]
	s_cbranch_scc1 .LBB88_694
.LBB88_695:
	s_waitcnt lgkmcnt(0)
	v_cmp_eq_f64_e32 vcc, 0, v[180:181]
	v_cmp_eq_f64_e64 s[0:1], 0, v[182:183]
	s_and_b64 s[0:1], vcc, s[0:1]
	s_and_saveexec_b64 s[16:17], s[0:1]
	s_xor_b64 s[0:1], exec, s[16:17]
; %bb.696:
	v_cmp_ne_u32_e32 vcc, 0, v194
	s_nop 1
	v_cndmask_b32_e32 v194, 34, v194, vcc
; %bb.697:
	s_andn2_saveexec_b64 s[0:1], s[0:1]
	s_cbranch_execz .LBB88_703
; %bb.698:
	v_cmp_ngt_f64_e64 s[16:17], |v[180:181]|, |v[182:183]|
	s_and_saveexec_b64 s[18:19], s[16:17]
	s_xor_b64 s[16:17], exec, s[18:19]
	s_cbranch_execz .LBB88_700
; %bb.699:
	v_div_scale_f64 v[196:197], s[18:19], v[182:183], v[182:183], v[180:181]
	v_rcp_f64_e32 v[198:199], v[196:197]
	v_div_scale_f64 v[200:201], vcc, v[180:181], v[182:183], v[180:181]
	v_fma_f64 v[202:203], -v[196:197], v[198:199], 1.0
	v_fmac_f64_e32 v[198:199], v[198:199], v[202:203]
	v_fma_f64 v[202:203], -v[196:197], v[198:199], 1.0
	v_fmac_f64_e32 v[198:199], v[198:199], v[202:203]
	v_mul_f64 v[202:203], v[200:201], v[198:199]
	v_fma_f64 v[196:197], -v[196:197], v[202:203], v[200:201]
	v_div_fmas_f64 v[196:197], v[196:197], v[198:199], v[202:203]
	v_div_fixup_f64 v[196:197], v[196:197], v[182:183], v[180:181]
	v_fmac_f64_e32 v[182:183], v[180:181], v[196:197]
	v_div_scale_f64 v[180:181], s[18:19], v[182:183], v[182:183], 1.0
	v_rcp_f64_e32 v[198:199], v[180:181]
	s_nop 0
	v_fma_f64 v[200:201], -v[180:181], v[198:199], 1.0
	v_fmac_f64_e32 v[198:199], v[198:199], v[200:201]
	v_fma_f64 v[200:201], -v[180:181], v[198:199], 1.0
	v_fmac_f64_e32 v[198:199], v[198:199], v[200:201]
	v_div_scale_f64 v[200:201], vcc, 1.0, v[182:183], 1.0
	v_mul_f64 v[202:203], v[200:201], v[198:199]
	v_fma_f64 v[180:181], -v[180:181], v[202:203], v[200:201]
	s_nop 1
	v_div_fmas_f64 v[180:181], v[180:181], v[198:199], v[202:203]
	v_div_fixup_f64 v[182:183], v[180:181], v[182:183], 1.0
	v_mul_f64 v[180:181], v[196:197], v[182:183]
	v_xor_b32_e32 v183, 0x80000000, v183
.LBB88_700:
	s_andn2_saveexec_b64 s[16:17], s[16:17]
	s_cbranch_execz .LBB88_702
; %bb.701:
	v_div_scale_f64 v[196:197], s[18:19], v[180:181], v[180:181], v[182:183]
	v_rcp_f64_e32 v[198:199], v[196:197]
	v_div_scale_f64 v[200:201], vcc, v[182:183], v[180:181], v[182:183]
	v_fma_f64 v[202:203], -v[196:197], v[198:199], 1.0
	v_fmac_f64_e32 v[198:199], v[198:199], v[202:203]
	v_fma_f64 v[202:203], -v[196:197], v[198:199], 1.0
	v_fmac_f64_e32 v[198:199], v[198:199], v[202:203]
	v_mul_f64 v[202:203], v[200:201], v[198:199]
	v_fma_f64 v[196:197], -v[196:197], v[202:203], v[200:201]
	v_div_fmas_f64 v[196:197], v[196:197], v[198:199], v[202:203]
	v_div_fixup_f64 v[196:197], v[196:197], v[180:181], v[182:183]
	v_fmac_f64_e32 v[180:181], v[182:183], v[196:197]
	v_div_scale_f64 v[182:183], s[18:19], v[180:181], v[180:181], 1.0
	v_rcp_f64_e32 v[198:199], v[182:183]
	s_nop 0
	v_fma_f64 v[200:201], -v[182:183], v[198:199], 1.0
	v_fmac_f64_e32 v[198:199], v[198:199], v[200:201]
	v_fma_f64 v[200:201], -v[182:183], v[198:199], 1.0
	v_fmac_f64_e32 v[198:199], v[198:199], v[200:201]
	v_div_scale_f64 v[200:201], vcc, 1.0, v[180:181], 1.0
	v_mul_f64 v[202:203], v[200:201], v[198:199]
	v_fma_f64 v[182:183], -v[182:183], v[202:203], v[200:201]
	s_nop 1
	v_div_fmas_f64 v[182:183], v[182:183], v[198:199], v[202:203]
	v_div_fixup_f64 v[180:181], v[182:183], v[180:181], 1.0
	v_mul_f64 v[182:183], v[196:197], -v[180:181]
.LBB88_702:
	s_or_b64 exec, exec, s[16:17]
.LBB88_703:
	s_or_b64 exec, exec, s[0:1]
	v_cmp_ne_u32_e32 vcc, v193, v190
	s_and_saveexec_b64 s[0:1], vcc
	s_xor_b64 s[0:1], exec, s[0:1]
	s_cbranch_execz .LBB88_709
; %bb.704:
	v_cmp_eq_u32_e32 vcc, 33, v193
	s_and_saveexec_b64 s[16:17], vcc
	s_cbranch_execz .LBB88_708
; %bb.705:
	v_cmp_ne_u32_e32 vcc, 33, v190
	s_xor_b64 s[18:19], s[14:15], -1
	s_and_b64 s[22:23], s[18:19], vcc
	s_and_saveexec_b64 s[18:19], s[22:23]
	s_cbranch_execz .LBB88_707
; %bb.706:
	v_ashrrev_i32_e32 v191, 31, v190
	v_lshl_add_u64 v[196:197], v[190:191], 2, v[188:189]
	global_load_dword v191, v[196:197], off
	global_load_dword v193, v[188:189], off offset:132
	s_waitcnt vmcnt(1)
	global_store_dword v[188:189], v191, off offset:132
	s_waitcnt vmcnt(1)
	global_store_dword v[196:197], v193, off
.LBB88_707:
	s_or_b64 exec, exec, s[18:19]
	v_mov_b32_e32 v193, v190
	v_mov_b32_e32 v195, v190
.LBB88_708:
	s_or_b64 exec, exec, s[16:17]
.LBB88_709:
	s_andn2_saveexec_b64 s[0:1], s[0:1]
	s_cbranch_execz .LBB88_711
; %bb.710:
	v_mov_b32_e32 v193, 33
	s_waitcnt vmcnt(10)
	ds_write2_b64 v192, v[36:37], v[38:39] offset0:68 offset1:69
	s_waitcnt vmcnt(9)
	ds_write2_b64 v192, v[32:33], v[34:35] offset0:70 offset1:71
	;; [unrolled: 2-line block ×11, first 2 shown]
.LBB88_711:
	s_or_b64 exec, exec, s[0:1]
	v_cmp_lt_i32_e32 vcc, 33, v193
	s_waitcnt lgkmcnt(0)
	s_barrier
	s_and_saveexec_b64 s[0:1], vcc
	s_cbranch_execz .LBB88_713
; %bb.712:
	ds_read2_b64 v[196:199], v192 offset0:68 offset1:69
	v_mul_f64 v[190:191], v[180:181], v[42:43]
	v_fmac_f64_e32 v[190:191], v[182:183], v[40:41]
	v_mul_f64 v[42:43], v[182:183], v[42:43]
	v_fma_f64 v[40:41], v[180:181], v[40:41], -v[42:43]
	ds_read2_b64 v[180:183], v192 offset0:70 offset1:71
	s_waitcnt lgkmcnt(1)
	v_mul_f64 v[42:43], v[198:199], v[190:191]
	v_fma_f64 v[42:43], v[196:197], v[40:41], -v[42:43]
	v_mul_f64 v[196:197], v[196:197], v[190:191]
	v_fmac_f64_e32 v[196:197], v[198:199], v[40:41]
	s_waitcnt vmcnt(10)
	v_add_f64 v[38:39], v[38:39], -v[196:197]
	ds_read2_b64 v[196:199], v192 offset0:72 offset1:73
	v_add_f64 v[36:37], v[36:37], -v[42:43]
	s_waitcnt lgkmcnt(1)
	v_mul_f64 v[42:43], v[182:183], v[190:191]
	v_fma_f64 v[42:43], v[180:181], v[40:41], -v[42:43]
	v_mul_f64 v[180:181], v[180:181], v[190:191]
	v_fmac_f64_e32 v[180:181], v[182:183], v[40:41]
	s_waitcnt vmcnt(9)
	v_add_f64 v[32:33], v[32:33], -v[42:43]
	v_add_f64 v[34:35], v[34:35], -v[180:181]
	ds_read2_b64 v[180:183], v192 offset0:74 offset1:75
	s_waitcnt lgkmcnt(1)
	v_mul_f64 v[42:43], v[198:199], v[190:191]
	v_fma_f64 v[42:43], v[196:197], v[40:41], -v[42:43]
	v_mul_f64 v[196:197], v[196:197], v[190:191]
	v_fmac_f64_e32 v[196:197], v[198:199], v[40:41]
	s_waitcnt vmcnt(8)
	v_add_f64 v[30:31], v[30:31], -v[196:197]
	ds_read2_b64 v[196:199], v192 offset0:76 offset1:77
	v_add_f64 v[28:29], v[28:29], -v[42:43]
	s_waitcnt lgkmcnt(1)
	v_mul_f64 v[42:43], v[182:183], v[190:191]
	v_fma_f64 v[42:43], v[180:181], v[40:41], -v[42:43]
	v_mul_f64 v[180:181], v[180:181], v[190:191]
	v_fmac_f64_e32 v[180:181], v[182:183], v[40:41]
	s_waitcnt vmcnt(7)
	v_add_f64 v[24:25], v[24:25], -v[42:43]
	v_add_f64 v[26:27], v[26:27], -v[180:181]
	;; [unrolled: 18-line block ×5, first 2 shown]
	s_waitcnt lgkmcnt(0)
	v_mul_f64 v[42:43], v[198:199], v[190:191]
	v_mul_f64 v[180:181], v[196:197], v[190:191]
	v_fma_f64 v[42:43], v[196:197], v[40:41], -v[42:43]
	v_fmac_f64_e32 v[180:181], v[198:199], v[40:41]
	s_waitcnt vmcnt(0)
	v_add_f64 v[176:177], v[176:177], -v[42:43]
	v_add_f64 v[178:179], v[178:179], -v[180:181]
	v_mov_b64_e32 v[42:43], v[190:191]
.LBB88_713:
	s_or_b64 exec, exec, s[0:1]
	v_lshl_add_u32 v180, v193, 4, v192
	s_barrier
	s_waitcnt vmcnt(10)
	ds_write2_b64 v180, v[36:37], v[38:39] offset1:1
	s_waitcnt lgkmcnt(0)
	s_barrier
	ds_read2_b64 v[180:183], v192 offset0:68 offset1:69
	s_cmp_lt_i32 s20, 36
	v_mov_b32_e32 v190, 34
	s_cbranch_scc1 .LBB88_716
; %bb.714:
	v_add_u32_e32 v191, 0x230, v192
	s_mov_b32 s16, 35
	v_mov_b32_e32 v190, 34
.LBB88_715:                             ; =>This Inner Loop Header: Depth=1
	ds_read2_b64 v[196:199], v191 offset1:1
	s_waitcnt lgkmcnt(1)
	v_xor_b32_e32 v201, 0x80000000, v181
	v_xor_b32_e32 v203, 0x80000000, v183
	v_cmp_gt_f64_e32 vcc, 0, v[182:183]
	v_cmp_gt_f64_e64 s[0:1], 0, v[180:181]
	v_mov_b32_e32 v200, v180
	v_mov_b32_e32 v202, v182
	v_cndmask_b32_e64 v201, v181, v201, s[0:1]
	v_cndmask_b32_e32 v203, v183, v203, vcc
	v_add_f64 v[200:201], v[200:201], v[202:203]
	s_waitcnt lgkmcnt(0)
	v_xor_b32_e32 v203, 0x80000000, v197
	v_xor_b32_e32 v205, 0x80000000, v199
	v_cmp_gt_f64_e32 vcc, 0, v[198:199]
	v_cmp_gt_f64_e64 s[0:1], 0, v[196:197]
	v_mov_b32_e32 v202, v196
	v_mov_b32_e32 v204, v198
	v_cndmask_b32_e64 v203, v197, v203, s[0:1]
	v_cndmask_b32_e32 v205, v199, v205, vcc
	v_add_f64 v[202:203], v[202:203], v[204:205]
	v_mov_b32_e32 v206, s16
	s_add_i32 s16, s16, 1
	v_cmp_lt_f64_e32 vcc, v[200:201], v[202:203]
	v_add_u32_e32 v191, 16, v191
	s_cmp_lg_u32 s20, s16
	v_cndmask_b32_e32 v181, v181, v197, vcc
	v_cndmask_b32_e32 v180, v180, v196, vcc
	;; [unrolled: 1-line block ×5, first 2 shown]
	s_cbranch_scc1 .LBB88_715
.LBB88_716:
	s_waitcnt lgkmcnt(0)
	v_cmp_eq_f64_e32 vcc, 0, v[180:181]
	v_cmp_eq_f64_e64 s[0:1], 0, v[182:183]
	s_and_b64 s[0:1], vcc, s[0:1]
	s_and_saveexec_b64 s[16:17], s[0:1]
	s_xor_b64 s[0:1], exec, s[16:17]
; %bb.717:
	v_cmp_ne_u32_e32 vcc, 0, v194
	s_nop 1
	v_cndmask_b32_e32 v194, 35, v194, vcc
; %bb.718:
	s_andn2_saveexec_b64 s[0:1], s[0:1]
	s_cbranch_execz .LBB88_724
; %bb.719:
	v_cmp_ngt_f64_e64 s[16:17], |v[180:181]|, |v[182:183]|
	s_and_saveexec_b64 s[18:19], s[16:17]
	s_xor_b64 s[16:17], exec, s[18:19]
	s_cbranch_execz .LBB88_721
; %bb.720:
	v_div_scale_f64 v[196:197], s[18:19], v[182:183], v[182:183], v[180:181]
	v_rcp_f64_e32 v[198:199], v[196:197]
	v_div_scale_f64 v[200:201], vcc, v[180:181], v[182:183], v[180:181]
	v_fma_f64 v[202:203], -v[196:197], v[198:199], 1.0
	v_fmac_f64_e32 v[198:199], v[198:199], v[202:203]
	v_fma_f64 v[202:203], -v[196:197], v[198:199], 1.0
	v_fmac_f64_e32 v[198:199], v[198:199], v[202:203]
	v_mul_f64 v[202:203], v[200:201], v[198:199]
	v_fma_f64 v[196:197], -v[196:197], v[202:203], v[200:201]
	v_div_fmas_f64 v[196:197], v[196:197], v[198:199], v[202:203]
	v_div_fixup_f64 v[196:197], v[196:197], v[182:183], v[180:181]
	v_fmac_f64_e32 v[182:183], v[180:181], v[196:197]
	v_div_scale_f64 v[180:181], s[18:19], v[182:183], v[182:183], 1.0
	v_rcp_f64_e32 v[198:199], v[180:181]
	s_nop 0
	v_fma_f64 v[200:201], -v[180:181], v[198:199], 1.0
	v_fmac_f64_e32 v[198:199], v[198:199], v[200:201]
	v_fma_f64 v[200:201], -v[180:181], v[198:199], 1.0
	v_fmac_f64_e32 v[198:199], v[198:199], v[200:201]
	v_div_scale_f64 v[200:201], vcc, 1.0, v[182:183], 1.0
	v_mul_f64 v[202:203], v[200:201], v[198:199]
	v_fma_f64 v[180:181], -v[180:181], v[202:203], v[200:201]
	s_nop 1
	v_div_fmas_f64 v[180:181], v[180:181], v[198:199], v[202:203]
	v_div_fixup_f64 v[182:183], v[180:181], v[182:183], 1.0
	v_mul_f64 v[180:181], v[196:197], v[182:183]
	v_xor_b32_e32 v183, 0x80000000, v183
.LBB88_721:
	s_andn2_saveexec_b64 s[16:17], s[16:17]
	s_cbranch_execz .LBB88_723
; %bb.722:
	v_div_scale_f64 v[196:197], s[18:19], v[180:181], v[180:181], v[182:183]
	v_rcp_f64_e32 v[198:199], v[196:197]
	v_div_scale_f64 v[200:201], vcc, v[182:183], v[180:181], v[182:183]
	v_fma_f64 v[202:203], -v[196:197], v[198:199], 1.0
	v_fmac_f64_e32 v[198:199], v[198:199], v[202:203]
	v_fma_f64 v[202:203], -v[196:197], v[198:199], 1.0
	v_fmac_f64_e32 v[198:199], v[198:199], v[202:203]
	v_mul_f64 v[202:203], v[200:201], v[198:199]
	v_fma_f64 v[196:197], -v[196:197], v[202:203], v[200:201]
	v_div_fmas_f64 v[196:197], v[196:197], v[198:199], v[202:203]
	v_div_fixup_f64 v[196:197], v[196:197], v[180:181], v[182:183]
	v_fmac_f64_e32 v[180:181], v[182:183], v[196:197]
	v_div_scale_f64 v[182:183], s[18:19], v[180:181], v[180:181], 1.0
	v_rcp_f64_e32 v[198:199], v[182:183]
	s_nop 0
	v_fma_f64 v[200:201], -v[182:183], v[198:199], 1.0
	v_fmac_f64_e32 v[198:199], v[198:199], v[200:201]
	v_fma_f64 v[200:201], -v[182:183], v[198:199], 1.0
	v_fmac_f64_e32 v[198:199], v[198:199], v[200:201]
	v_div_scale_f64 v[200:201], vcc, 1.0, v[180:181], 1.0
	v_mul_f64 v[202:203], v[200:201], v[198:199]
	v_fma_f64 v[182:183], -v[182:183], v[202:203], v[200:201]
	s_nop 1
	v_div_fmas_f64 v[182:183], v[182:183], v[198:199], v[202:203]
	v_div_fixup_f64 v[180:181], v[182:183], v[180:181], 1.0
	v_mul_f64 v[182:183], v[196:197], -v[180:181]
.LBB88_723:
	s_or_b64 exec, exec, s[16:17]
.LBB88_724:
	s_or_b64 exec, exec, s[0:1]
	v_cmp_ne_u32_e32 vcc, v193, v190
	s_and_saveexec_b64 s[0:1], vcc
	s_xor_b64 s[0:1], exec, s[0:1]
	s_cbranch_execz .LBB88_730
; %bb.725:
	v_cmp_eq_u32_e32 vcc, 34, v193
	s_and_saveexec_b64 s[16:17], vcc
	s_cbranch_execz .LBB88_729
; %bb.726:
	v_cmp_ne_u32_e32 vcc, 34, v190
	s_xor_b64 s[18:19], s[14:15], -1
	s_and_b64 s[22:23], s[18:19], vcc
	s_and_saveexec_b64 s[18:19], s[22:23]
	s_cbranch_execz .LBB88_728
; %bb.727:
	v_ashrrev_i32_e32 v191, 31, v190
	v_lshl_add_u64 v[196:197], v[190:191], 2, v[188:189]
	global_load_dword v191, v[196:197], off
	global_load_dword v193, v[188:189], off offset:136
	s_waitcnt vmcnt(1)
	global_store_dword v[188:189], v191, off offset:136
	s_waitcnt vmcnt(1)
	global_store_dword v[196:197], v193, off
.LBB88_728:
	s_or_b64 exec, exec, s[18:19]
	v_mov_b32_e32 v193, v190
	v_mov_b32_e32 v195, v190
.LBB88_729:
	s_or_b64 exec, exec, s[16:17]
.LBB88_730:
	s_andn2_saveexec_b64 s[0:1], s[0:1]
	s_cbranch_execz .LBB88_732
; %bb.731:
	v_mov_b32_e32 v193, 34
	s_waitcnt vmcnt(9)
	ds_write2_b64 v192, v[32:33], v[34:35] offset0:70 offset1:71
	s_waitcnt vmcnt(8)
	ds_write2_b64 v192, v[28:29], v[30:31] offset0:72 offset1:73
	;; [unrolled: 2-line block ×10, first 2 shown]
.LBB88_732:
	s_or_b64 exec, exec, s[0:1]
	v_cmp_lt_i32_e32 vcc, 34, v193
	s_waitcnt lgkmcnt(0)
	s_barrier
	s_and_saveexec_b64 s[0:1], vcc
	s_cbranch_execz .LBB88_734
; %bb.733:
	ds_read2_b64 v[196:199], v192 offset0:70 offset1:71
	v_mul_f64 v[190:191], v[180:181], v[38:39]
	v_mul_f64 v[38:39], v[182:183], v[38:39]
	v_fmac_f64_e32 v[190:191], v[182:183], v[36:37]
	v_fma_f64 v[36:37], v[180:181], v[36:37], -v[38:39]
	ds_read2_b64 v[180:183], v192 offset0:72 offset1:73
	s_waitcnt lgkmcnt(1)
	v_mul_f64 v[38:39], v[198:199], v[190:191]
	v_fma_f64 v[38:39], v[196:197], v[36:37], -v[38:39]
	v_mul_f64 v[196:197], v[196:197], v[190:191]
	v_fmac_f64_e32 v[196:197], v[198:199], v[36:37]
	s_waitcnt vmcnt(9)
	v_add_f64 v[32:33], v[32:33], -v[38:39]
	s_waitcnt lgkmcnt(0)
	v_mul_f64 v[38:39], v[182:183], v[190:191]
	v_add_f64 v[34:35], v[34:35], -v[196:197]
	v_fma_f64 v[38:39], v[180:181], v[36:37], -v[38:39]
	v_mul_f64 v[180:181], v[180:181], v[190:191]
	ds_read2_b64 v[196:199], v192 offset0:74 offset1:75
	v_fmac_f64_e32 v[180:181], v[182:183], v[36:37]
	s_waitcnt vmcnt(8)
	v_add_f64 v[30:31], v[30:31], -v[180:181]
	ds_read2_b64 v[180:183], v192 offset0:76 offset1:77
	v_add_f64 v[28:29], v[28:29], -v[38:39]
	s_waitcnt lgkmcnt(1)
	v_mul_f64 v[38:39], v[198:199], v[190:191]
	v_fma_f64 v[38:39], v[196:197], v[36:37], -v[38:39]
	v_mul_f64 v[196:197], v[196:197], v[190:191]
	v_fmac_f64_e32 v[196:197], v[198:199], v[36:37]
	s_waitcnt vmcnt(7)
	v_add_f64 v[24:25], v[24:25], -v[38:39]
	s_waitcnt lgkmcnt(0)
	v_mul_f64 v[38:39], v[182:183], v[190:191]
	v_add_f64 v[26:27], v[26:27], -v[196:197]
	v_fma_f64 v[38:39], v[180:181], v[36:37], -v[38:39]
	v_mul_f64 v[180:181], v[180:181], v[190:191]
	ds_read2_b64 v[196:199], v192 offset0:78 offset1:79
	v_fmac_f64_e32 v[180:181], v[182:183], v[36:37]
	s_waitcnt vmcnt(6)
	v_add_f64 v[22:23], v[22:23], -v[180:181]
	ds_read2_b64 v[180:183], v192 offset0:80 offset1:81
	v_add_f64 v[20:21], v[20:21], -v[38:39]
	;; [unrolled: 18-line block ×4, first 2 shown]
	s_waitcnt lgkmcnt(1)
	v_mul_f64 v[38:39], v[198:199], v[190:191]
	v_fma_f64 v[38:39], v[196:197], v[36:37], -v[38:39]
	s_waitcnt vmcnt(1)
	v_add_f64 v[0:1], v[0:1], -v[38:39]
	s_waitcnt lgkmcnt(0)
	v_mul_f64 v[38:39], v[182:183], v[190:191]
	v_mul_f64 v[196:197], v[196:197], v[190:191]
	v_fma_f64 v[38:39], v[180:181], v[36:37], -v[38:39]
	v_mul_f64 v[180:181], v[180:181], v[190:191]
	v_fmac_f64_e32 v[196:197], v[198:199], v[36:37]
	v_fmac_f64_e32 v[180:181], v[182:183], v[36:37]
	v_add_f64 v[2:3], v[2:3], -v[196:197]
	s_waitcnt vmcnt(0)
	v_add_f64 v[176:177], v[176:177], -v[38:39]
	v_add_f64 v[178:179], v[178:179], -v[180:181]
	v_mov_b64_e32 v[38:39], v[190:191]
.LBB88_734:
	s_or_b64 exec, exec, s[0:1]
	v_lshl_add_u32 v180, v193, 4, v192
	s_barrier
	s_waitcnt vmcnt(9)
	ds_write2_b64 v180, v[32:33], v[34:35] offset1:1
	s_waitcnt lgkmcnt(0)
	s_barrier
	ds_read2_b64 v[180:183], v192 offset0:70 offset1:71
	s_cmp_lt_i32 s20, 37
	v_mov_b32_e32 v190, 35
	s_cbranch_scc1 .LBB88_737
; %bb.735:
	v_add_u32_e32 v191, 0x240, v192
	s_mov_b32 s16, 36
	v_mov_b32_e32 v190, 35
.LBB88_736:                             ; =>This Inner Loop Header: Depth=1
	ds_read2_b64 v[196:199], v191 offset1:1
	s_waitcnt lgkmcnt(1)
	v_xor_b32_e32 v201, 0x80000000, v181
	v_xor_b32_e32 v203, 0x80000000, v183
	v_cmp_gt_f64_e32 vcc, 0, v[182:183]
	v_cmp_gt_f64_e64 s[0:1], 0, v[180:181]
	v_mov_b32_e32 v200, v180
	v_mov_b32_e32 v202, v182
	v_cndmask_b32_e64 v201, v181, v201, s[0:1]
	v_cndmask_b32_e32 v203, v183, v203, vcc
	v_add_f64 v[200:201], v[200:201], v[202:203]
	s_waitcnt lgkmcnt(0)
	v_xor_b32_e32 v203, 0x80000000, v197
	v_xor_b32_e32 v205, 0x80000000, v199
	v_cmp_gt_f64_e32 vcc, 0, v[198:199]
	v_cmp_gt_f64_e64 s[0:1], 0, v[196:197]
	v_mov_b32_e32 v202, v196
	v_mov_b32_e32 v204, v198
	v_cndmask_b32_e64 v203, v197, v203, s[0:1]
	v_cndmask_b32_e32 v205, v199, v205, vcc
	v_add_f64 v[202:203], v[202:203], v[204:205]
	v_mov_b32_e32 v206, s16
	s_add_i32 s16, s16, 1
	v_cmp_lt_f64_e32 vcc, v[200:201], v[202:203]
	v_add_u32_e32 v191, 16, v191
	s_cmp_lg_u32 s20, s16
	v_cndmask_b32_e32 v181, v181, v197, vcc
	v_cndmask_b32_e32 v180, v180, v196, vcc
	;; [unrolled: 1-line block ×5, first 2 shown]
	s_cbranch_scc1 .LBB88_736
.LBB88_737:
	s_waitcnt lgkmcnt(0)
	v_cmp_eq_f64_e32 vcc, 0, v[180:181]
	v_cmp_eq_f64_e64 s[0:1], 0, v[182:183]
	s_and_b64 s[0:1], vcc, s[0:1]
	s_and_saveexec_b64 s[16:17], s[0:1]
	s_xor_b64 s[0:1], exec, s[16:17]
; %bb.738:
	v_cmp_ne_u32_e32 vcc, 0, v194
	s_nop 1
	v_cndmask_b32_e32 v194, 36, v194, vcc
; %bb.739:
	s_andn2_saveexec_b64 s[0:1], s[0:1]
	s_cbranch_execz .LBB88_745
; %bb.740:
	v_cmp_ngt_f64_e64 s[16:17], |v[180:181]|, |v[182:183]|
	s_and_saveexec_b64 s[18:19], s[16:17]
	s_xor_b64 s[16:17], exec, s[18:19]
	s_cbranch_execz .LBB88_742
; %bb.741:
	v_div_scale_f64 v[196:197], s[18:19], v[182:183], v[182:183], v[180:181]
	v_rcp_f64_e32 v[198:199], v[196:197]
	v_div_scale_f64 v[200:201], vcc, v[180:181], v[182:183], v[180:181]
	v_fma_f64 v[202:203], -v[196:197], v[198:199], 1.0
	v_fmac_f64_e32 v[198:199], v[198:199], v[202:203]
	v_fma_f64 v[202:203], -v[196:197], v[198:199], 1.0
	v_fmac_f64_e32 v[198:199], v[198:199], v[202:203]
	v_mul_f64 v[202:203], v[200:201], v[198:199]
	v_fma_f64 v[196:197], -v[196:197], v[202:203], v[200:201]
	v_div_fmas_f64 v[196:197], v[196:197], v[198:199], v[202:203]
	v_div_fixup_f64 v[196:197], v[196:197], v[182:183], v[180:181]
	v_fmac_f64_e32 v[182:183], v[180:181], v[196:197]
	v_div_scale_f64 v[180:181], s[18:19], v[182:183], v[182:183], 1.0
	v_rcp_f64_e32 v[198:199], v[180:181]
	s_nop 0
	v_fma_f64 v[200:201], -v[180:181], v[198:199], 1.0
	v_fmac_f64_e32 v[198:199], v[198:199], v[200:201]
	v_fma_f64 v[200:201], -v[180:181], v[198:199], 1.0
	v_fmac_f64_e32 v[198:199], v[198:199], v[200:201]
	v_div_scale_f64 v[200:201], vcc, 1.0, v[182:183], 1.0
	v_mul_f64 v[202:203], v[200:201], v[198:199]
	v_fma_f64 v[180:181], -v[180:181], v[202:203], v[200:201]
	s_nop 1
	v_div_fmas_f64 v[180:181], v[180:181], v[198:199], v[202:203]
	v_div_fixup_f64 v[182:183], v[180:181], v[182:183], 1.0
	v_mul_f64 v[180:181], v[196:197], v[182:183]
	v_xor_b32_e32 v183, 0x80000000, v183
.LBB88_742:
	s_andn2_saveexec_b64 s[16:17], s[16:17]
	s_cbranch_execz .LBB88_744
; %bb.743:
	v_div_scale_f64 v[196:197], s[18:19], v[180:181], v[180:181], v[182:183]
	v_rcp_f64_e32 v[198:199], v[196:197]
	v_div_scale_f64 v[200:201], vcc, v[182:183], v[180:181], v[182:183]
	v_fma_f64 v[202:203], -v[196:197], v[198:199], 1.0
	v_fmac_f64_e32 v[198:199], v[198:199], v[202:203]
	v_fma_f64 v[202:203], -v[196:197], v[198:199], 1.0
	v_fmac_f64_e32 v[198:199], v[198:199], v[202:203]
	v_mul_f64 v[202:203], v[200:201], v[198:199]
	v_fma_f64 v[196:197], -v[196:197], v[202:203], v[200:201]
	v_div_fmas_f64 v[196:197], v[196:197], v[198:199], v[202:203]
	v_div_fixup_f64 v[196:197], v[196:197], v[180:181], v[182:183]
	v_fmac_f64_e32 v[180:181], v[182:183], v[196:197]
	v_div_scale_f64 v[182:183], s[18:19], v[180:181], v[180:181], 1.0
	v_rcp_f64_e32 v[198:199], v[182:183]
	s_nop 0
	v_fma_f64 v[200:201], -v[182:183], v[198:199], 1.0
	v_fmac_f64_e32 v[198:199], v[198:199], v[200:201]
	v_fma_f64 v[200:201], -v[182:183], v[198:199], 1.0
	v_fmac_f64_e32 v[198:199], v[198:199], v[200:201]
	v_div_scale_f64 v[200:201], vcc, 1.0, v[180:181], 1.0
	v_mul_f64 v[202:203], v[200:201], v[198:199]
	v_fma_f64 v[182:183], -v[182:183], v[202:203], v[200:201]
	s_nop 1
	v_div_fmas_f64 v[182:183], v[182:183], v[198:199], v[202:203]
	v_div_fixup_f64 v[180:181], v[182:183], v[180:181], 1.0
	v_mul_f64 v[182:183], v[196:197], -v[180:181]
.LBB88_744:
	s_or_b64 exec, exec, s[16:17]
.LBB88_745:
	s_or_b64 exec, exec, s[0:1]
	v_cmp_ne_u32_e32 vcc, v193, v190
	s_and_saveexec_b64 s[0:1], vcc
	s_xor_b64 s[0:1], exec, s[0:1]
	s_cbranch_execz .LBB88_751
; %bb.746:
	v_cmp_eq_u32_e32 vcc, 35, v193
	s_and_saveexec_b64 s[16:17], vcc
	s_cbranch_execz .LBB88_750
; %bb.747:
	v_cmp_ne_u32_e32 vcc, 35, v190
	s_xor_b64 s[18:19], s[14:15], -1
	s_and_b64 s[22:23], s[18:19], vcc
	s_and_saveexec_b64 s[18:19], s[22:23]
	s_cbranch_execz .LBB88_749
; %bb.748:
	v_ashrrev_i32_e32 v191, 31, v190
	v_lshl_add_u64 v[196:197], v[190:191], 2, v[188:189]
	global_load_dword v191, v[196:197], off
	global_load_dword v193, v[188:189], off offset:140
	s_waitcnt vmcnt(1)
	global_store_dword v[188:189], v191, off offset:140
	s_waitcnt vmcnt(1)
	global_store_dword v[196:197], v193, off
.LBB88_749:
	s_or_b64 exec, exec, s[18:19]
	v_mov_b32_e32 v193, v190
	v_mov_b32_e32 v195, v190
.LBB88_750:
	s_or_b64 exec, exec, s[16:17]
.LBB88_751:
	s_andn2_saveexec_b64 s[0:1], s[0:1]
	s_cbranch_execz .LBB88_753
; %bb.752:
	v_mov_b32_e32 v193, 35
	s_waitcnt vmcnt(8)
	ds_write2_b64 v192, v[28:29], v[30:31] offset0:72 offset1:73
	s_waitcnt vmcnt(7)
	ds_write2_b64 v192, v[24:25], v[26:27] offset0:74 offset1:75
	s_waitcnt vmcnt(6)
	ds_write2_b64 v192, v[20:21], v[22:23] offset0:76 offset1:77
	s_waitcnt vmcnt(5)
	ds_write2_b64 v192, v[16:17], v[18:19] offset0:78 offset1:79
	s_waitcnt vmcnt(4)
	ds_write2_b64 v192, v[12:13], v[14:15] offset0:80 offset1:81
	s_waitcnt vmcnt(3)
	ds_write2_b64 v192, v[8:9], v[10:11] offset0:82 offset1:83
	s_waitcnt vmcnt(2)
	ds_write2_b64 v192, v[4:5], v[6:7] offset0:84 offset1:85
	s_waitcnt vmcnt(1)
	ds_write2_b64 v192, v[0:1], v[2:3] offset0:86 offset1:87
	s_waitcnt vmcnt(0)
	ds_write2_b64 v192, v[176:177], v[178:179] offset0:88 offset1:89
.LBB88_753:
	s_or_b64 exec, exec, s[0:1]
	v_cmp_lt_i32_e32 vcc, 35, v193
	s_waitcnt lgkmcnt(0)
	s_barrier
	s_and_saveexec_b64 s[0:1], vcc
	s_cbranch_execz .LBB88_755
; %bb.754:
	ds_read2_b64 v[196:199], v192 offset0:72 offset1:73
	v_mul_f64 v[190:191], v[180:181], v[34:35]
	v_fmac_f64_e32 v[190:191], v[182:183], v[32:33]
	v_mul_f64 v[34:35], v[182:183], v[34:35]
	v_fma_f64 v[32:33], v[180:181], v[32:33], -v[34:35]
	ds_read2_b64 v[180:183], v192 offset0:74 offset1:75
	s_waitcnt lgkmcnt(1)
	v_mul_f64 v[34:35], v[198:199], v[190:191]
	v_fma_f64 v[34:35], v[196:197], v[32:33], -v[34:35]
	v_mul_f64 v[196:197], v[196:197], v[190:191]
	v_fmac_f64_e32 v[196:197], v[198:199], v[32:33]
	s_waitcnt vmcnt(8)
	v_add_f64 v[30:31], v[30:31], -v[196:197]
	ds_read2_b64 v[196:199], v192 offset0:76 offset1:77
	v_add_f64 v[28:29], v[28:29], -v[34:35]
	s_waitcnt lgkmcnt(1)
	v_mul_f64 v[34:35], v[182:183], v[190:191]
	v_fma_f64 v[34:35], v[180:181], v[32:33], -v[34:35]
	v_mul_f64 v[180:181], v[180:181], v[190:191]
	v_fmac_f64_e32 v[180:181], v[182:183], v[32:33]
	s_waitcnt vmcnt(7)
	v_add_f64 v[24:25], v[24:25], -v[34:35]
	v_add_f64 v[26:27], v[26:27], -v[180:181]
	ds_read2_b64 v[180:183], v192 offset0:78 offset1:79
	s_waitcnt lgkmcnt(1)
	v_mul_f64 v[34:35], v[198:199], v[190:191]
	v_fma_f64 v[34:35], v[196:197], v[32:33], -v[34:35]
	v_mul_f64 v[196:197], v[196:197], v[190:191]
	v_fmac_f64_e32 v[196:197], v[198:199], v[32:33]
	s_waitcnt vmcnt(6)
	v_add_f64 v[22:23], v[22:23], -v[196:197]
	ds_read2_b64 v[196:199], v192 offset0:80 offset1:81
	v_add_f64 v[20:21], v[20:21], -v[34:35]
	s_waitcnt lgkmcnt(1)
	v_mul_f64 v[34:35], v[182:183], v[190:191]
	v_fma_f64 v[34:35], v[180:181], v[32:33], -v[34:35]
	v_mul_f64 v[180:181], v[180:181], v[190:191]
	v_fmac_f64_e32 v[180:181], v[182:183], v[32:33]
	s_waitcnt vmcnt(5)
	v_add_f64 v[16:17], v[16:17], -v[34:35]
	v_add_f64 v[18:19], v[18:19], -v[180:181]
	;; [unrolled: 18-line block ×4, first 2 shown]
	s_waitcnt lgkmcnt(0)
	v_mul_f64 v[34:35], v[198:199], v[190:191]
	v_mul_f64 v[180:181], v[196:197], v[190:191]
	v_fma_f64 v[34:35], v[196:197], v[32:33], -v[34:35]
	v_fmac_f64_e32 v[180:181], v[198:199], v[32:33]
	s_waitcnt vmcnt(0)
	v_add_f64 v[176:177], v[176:177], -v[34:35]
	v_add_f64 v[178:179], v[178:179], -v[180:181]
	v_mov_b64_e32 v[34:35], v[190:191]
.LBB88_755:
	s_or_b64 exec, exec, s[0:1]
	v_lshl_add_u32 v180, v193, 4, v192
	s_barrier
	s_waitcnt vmcnt(8)
	ds_write2_b64 v180, v[28:29], v[30:31] offset1:1
	s_waitcnt lgkmcnt(0)
	s_barrier
	ds_read2_b64 v[180:183], v192 offset0:72 offset1:73
	s_cmp_lt_i32 s20, 38
	v_mov_b32_e32 v190, 36
	s_cbranch_scc1 .LBB88_758
; %bb.756:
	v_add_u32_e32 v191, 0x250, v192
	s_mov_b32 s16, 37
	v_mov_b32_e32 v190, 36
.LBB88_757:                             ; =>This Inner Loop Header: Depth=1
	ds_read2_b64 v[196:199], v191 offset1:1
	s_waitcnt lgkmcnt(1)
	v_xor_b32_e32 v201, 0x80000000, v181
	v_xor_b32_e32 v203, 0x80000000, v183
	v_cmp_gt_f64_e32 vcc, 0, v[182:183]
	v_cmp_gt_f64_e64 s[0:1], 0, v[180:181]
	v_mov_b32_e32 v200, v180
	v_mov_b32_e32 v202, v182
	v_cndmask_b32_e64 v201, v181, v201, s[0:1]
	v_cndmask_b32_e32 v203, v183, v203, vcc
	v_add_f64 v[200:201], v[200:201], v[202:203]
	s_waitcnt lgkmcnt(0)
	v_xor_b32_e32 v203, 0x80000000, v197
	v_xor_b32_e32 v205, 0x80000000, v199
	v_cmp_gt_f64_e32 vcc, 0, v[198:199]
	v_cmp_gt_f64_e64 s[0:1], 0, v[196:197]
	v_mov_b32_e32 v202, v196
	v_mov_b32_e32 v204, v198
	v_cndmask_b32_e64 v203, v197, v203, s[0:1]
	v_cndmask_b32_e32 v205, v199, v205, vcc
	v_add_f64 v[202:203], v[202:203], v[204:205]
	v_mov_b32_e32 v206, s16
	s_add_i32 s16, s16, 1
	v_cmp_lt_f64_e32 vcc, v[200:201], v[202:203]
	v_add_u32_e32 v191, 16, v191
	s_cmp_lg_u32 s20, s16
	v_cndmask_b32_e32 v181, v181, v197, vcc
	v_cndmask_b32_e32 v180, v180, v196, vcc
	;; [unrolled: 1-line block ×5, first 2 shown]
	s_cbranch_scc1 .LBB88_757
.LBB88_758:
	s_waitcnt lgkmcnt(0)
	v_cmp_eq_f64_e32 vcc, 0, v[180:181]
	v_cmp_eq_f64_e64 s[0:1], 0, v[182:183]
	s_and_b64 s[0:1], vcc, s[0:1]
	s_and_saveexec_b64 s[16:17], s[0:1]
	s_xor_b64 s[0:1], exec, s[16:17]
; %bb.759:
	v_cmp_ne_u32_e32 vcc, 0, v194
	s_nop 1
	v_cndmask_b32_e32 v194, 37, v194, vcc
; %bb.760:
	s_andn2_saveexec_b64 s[0:1], s[0:1]
	s_cbranch_execz .LBB88_766
; %bb.761:
	v_cmp_ngt_f64_e64 s[16:17], |v[180:181]|, |v[182:183]|
	s_and_saveexec_b64 s[18:19], s[16:17]
	s_xor_b64 s[16:17], exec, s[18:19]
	s_cbranch_execz .LBB88_763
; %bb.762:
	v_div_scale_f64 v[196:197], s[18:19], v[182:183], v[182:183], v[180:181]
	v_rcp_f64_e32 v[198:199], v[196:197]
	v_div_scale_f64 v[200:201], vcc, v[180:181], v[182:183], v[180:181]
	v_fma_f64 v[202:203], -v[196:197], v[198:199], 1.0
	v_fmac_f64_e32 v[198:199], v[198:199], v[202:203]
	v_fma_f64 v[202:203], -v[196:197], v[198:199], 1.0
	v_fmac_f64_e32 v[198:199], v[198:199], v[202:203]
	v_mul_f64 v[202:203], v[200:201], v[198:199]
	v_fma_f64 v[196:197], -v[196:197], v[202:203], v[200:201]
	v_div_fmas_f64 v[196:197], v[196:197], v[198:199], v[202:203]
	v_div_fixup_f64 v[196:197], v[196:197], v[182:183], v[180:181]
	v_fmac_f64_e32 v[182:183], v[180:181], v[196:197]
	v_div_scale_f64 v[180:181], s[18:19], v[182:183], v[182:183], 1.0
	v_rcp_f64_e32 v[198:199], v[180:181]
	s_nop 0
	v_fma_f64 v[200:201], -v[180:181], v[198:199], 1.0
	v_fmac_f64_e32 v[198:199], v[198:199], v[200:201]
	v_fma_f64 v[200:201], -v[180:181], v[198:199], 1.0
	v_fmac_f64_e32 v[198:199], v[198:199], v[200:201]
	v_div_scale_f64 v[200:201], vcc, 1.0, v[182:183], 1.0
	v_mul_f64 v[202:203], v[200:201], v[198:199]
	v_fma_f64 v[180:181], -v[180:181], v[202:203], v[200:201]
	s_nop 1
	v_div_fmas_f64 v[180:181], v[180:181], v[198:199], v[202:203]
	v_div_fixup_f64 v[182:183], v[180:181], v[182:183], 1.0
	v_mul_f64 v[180:181], v[196:197], v[182:183]
	v_xor_b32_e32 v183, 0x80000000, v183
.LBB88_763:
	s_andn2_saveexec_b64 s[16:17], s[16:17]
	s_cbranch_execz .LBB88_765
; %bb.764:
	v_div_scale_f64 v[196:197], s[18:19], v[180:181], v[180:181], v[182:183]
	v_rcp_f64_e32 v[198:199], v[196:197]
	v_div_scale_f64 v[200:201], vcc, v[182:183], v[180:181], v[182:183]
	v_fma_f64 v[202:203], -v[196:197], v[198:199], 1.0
	v_fmac_f64_e32 v[198:199], v[198:199], v[202:203]
	v_fma_f64 v[202:203], -v[196:197], v[198:199], 1.0
	v_fmac_f64_e32 v[198:199], v[198:199], v[202:203]
	v_mul_f64 v[202:203], v[200:201], v[198:199]
	v_fma_f64 v[196:197], -v[196:197], v[202:203], v[200:201]
	v_div_fmas_f64 v[196:197], v[196:197], v[198:199], v[202:203]
	v_div_fixup_f64 v[196:197], v[196:197], v[180:181], v[182:183]
	v_fmac_f64_e32 v[180:181], v[182:183], v[196:197]
	v_div_scale_f64 v[182:183], s[18:19], v[180:181], v[180:181], 1.0
	v_rcp_f64_e32 v[198:199], v[182:183]
	s_nop 0
	v_fma_f64 v[200:201], -v[182:183], v[198:199], 1.0
	v_fmac_f64_e32 v[198:199], v[198:199], v[200:201]
	v_fma_f64 v[200:201], -v[182:183], v[198:199], 1.0
	v_fmac_f64_e32 v[198:199], v[198:199], v[200:201]
	v_div_scale_f64 v[200:201], vcc, 1.0, v[180:181], 1.0
	v_mul_f64 v[202:203], v[200:201], v[198:199]
	v_fma_f64 v[182:183], -v[182:183], v[202:203], v[200:201]
	s_nop 1
	v_div_fmas_f64 v[182:183], v[182:183], v[198:199], v[202:203]
	v_div_fixup_f64 v[180:181], v[182:183], v[180:181], 1.0
	v_mul_f64 v[182:183], v[196:197], -v[180:181]
.LBB88_765:
	s_or_b64 exec, exec, s[16:17]
.LBB88_766:
	s_or_b64 exec, exec, s[0:1]
	v_cmp_ne_u32_e32 vcc, v193, v190
	s_and_saveexec_b64 s[0:1], vcc
	s_xor_b64 s[0:1], exec, s[0:1]
	s_cbranch_execz .LBB88_772
; %bb.767:
	v_cmp_eq_u32_e32 vcc, 36, v193
	s_and_saveexec_b64 s[16:17], vcc
	s_cbranch_execz .LBB88_771
; %bb.768:
	v_cmp_ne_u32_e32 vcc, 36, v190
	s_xor_b64 s[18:19], s[14:15], -1
	s_and_b64 s[22:23], s[18:19], vcc
	s_and_saveexec_b64 s[18:19], s[22:23]
	s_cbranch_execz .LBB88_770
; %bb.769:
	v_ashrrev_i32_e32 v191, 31, v190
	v_lshl_add_u64 v[196:197], v[190:191], 2, v[188:189]
	global_load_dword v191, v[196:197], off
	global_load_dword v193, v[188:189], off offset:144
	s_waitcnt vmcnt(1)
	global_store_dword v[188:189], v191, off offset:144
	s_waitcnt vmcnt(1)
	global_store_dword v[196:197], v193, off
.LBB88_770:
	s_or_b64 exec, exec, s[18:19]
	v_mov_b32_e32 v193, v190
	v_mov_b32_e32 v195, v190
.LBB88_771:
	s_or_b64 exec, exec, s[16:17]
.LBB88_772:
	s_andn2_saveexec_b64 s[0:1], s[0:1]
	s_cbranch_execz .LBB88_774
; %bb.773:
	v_mov_b32_e32 v193, 36
	s_waitcnt vmcnt(7)
	ds_write2_b64 v192, v[24:25], v[26:27] offset0:74 offset1:75
	s_waitcnt vmcnt(6)
	ds_write2_b64 v192, v[20:21], v[22:23] offset0:76 offset1:77
	;; [unrolled: 2-line block ×8, first 2 shown]
.LBB88_774:
	s_or_b64 exec, exec, s[0:1]
	v_cmp_lt_i32_e32 vcc, 36, v193
	s_waitcnt lgkmcnt(0)
	s_barrier
	s_and_saveexec_b64 s[0:1], vcc
	s_cbranch_execz .LBB88_776
; %bb.775:
	ds_read2_b64 v[196:199], v192 offset0:74 offset1:75
	v_mul_f64 v[190:191], v[180:181], v[30:31]
	v_mul_f64 v[30:31], v[182:183], v[30:31]
	v_fmac_f64_e32 v[190:191], v[182:183], v[28:29]
	v_fma_f64 v[28:29], v[180:181], v[28:29], -v[30:31]
	ds_read2_b64 v[180:183], v192 offset0:76 offset1:77
	s_waitcnt lgkmcnt(1)
	v_mul_f64 v[30:31], v[198:199], v[190:191]
	v_fma_f64 v[30:31], v[196:197], v[28:29], -v[30:31]
	v_mul_f64 v[196:197], v[196:197], v[190:191]
	v_fmac_f64_e32 v[196:197], v[198:199], v[28:29]
	s_waitcnt vmcnt(7)
	v_add_f64 v[24:25], v[24:25], -v[30:31]
	s_waitcnt lgkmcnt(0)
	v_mul_f64 v[30:31], v[182:183], v[190:191]
	v_add_f64 v[26:27], v[26:27], -v[196:197]
	v_fma_f64 v[30:31], v[180:181], v[28:29], -v[30:31]
	v_mul_f64 v[180:181], v[180:181], v[190:191]
	ds_read2_b64 v[196:199], v192 offset0:78 offset1:79
	v_fmac_f64_e32 v[180:181], v[182:183], v[28:29]
	s_waitcnt vmcnt(6)
	v_add_f64 v[22:23], v[22:23], -v[180:181]
	ds_read2_b64 v[180:183], v192 offset0:80 offset1:81
	v_add_f64 v[20:21], v[20:21], -v[30:31]
	s_waitcnt lgkmcnt(1)
	v_mul_f64 v[30:31], v[198:199], v[190:191]
	v_fma_f64 v[30:31], v[196:197], v[28:29], -v[30:31]
	v_mul_f64 v[196:197], v[196:197], v[190:191]
	v_fmac_f64_e32 v[196:197], v[198:199], v[28:29]
	s_waitcnt vmcnt(5)
	v_add_f64 v[16:17], v[16:17], -v[30:31]
	s_waitcnt lgkmcnt(0)
	v_mul_f64 v[30:31], v[182:183], v[190:191]
	v_add_f64 v[18:19], v[18:19], -v[196:197]
	v_fma_f64 v[30:31], v[180:181], v[28:29], -v[30:31]
	v_mul_f64 v[180:181], v[180:181], v[190:191]
	ds_read2_b64 v[196:199], v192 offset0:82 offset1:83
	v_fmac_f64_e32 v[180:181], v[182:183], v[28:29]
	s_waitcnt vmcnt(4)
	v_add_f64 v[14:15], v[14:15], -v[180:181]
	ds_read2_b64 v[180:183], v192 offset0:84 offset1:85
	v_add_f64 v[12:13], v[12:13], -v[30:31]
	;; [unrolled: 18-line block ×3, first 2 shown]
	s_waitcnt lgkmcnt(1)
	v_mul_f64 v[30:31], v[198:199], v[190:191]
	v_fma_f64 v[30:31], v[196:197], v[28:29], -v[30:31]
	s_waitcnt vmcnt(1)
	v_add_f64 v[0:1], v[0:1], -v[30:31]
	s_waitcnt lgkmcnt(0)
	v_mul_f64 v[30:31], v[182:183], v[190:191]
	v_mul_f64 v[196:197], v[196:197], v[190:191]
	v_fma_f64 v[30:31], v[180:181], v[28:29], -v[30:31]
	v_mul_f64 v[180:181], v[180:181], v[190:191]
	v_fmac_f64_e32 v[196:197], v[198:199], v[28:29]
	v_fmac_f64_e32 v[180:181], v[182:183], v[28:29]
	v_add_f64 v[2:3], v[2:3], -v[196:197]
	s_waitcnt vmcnt(0)
	v_add_f64 v[176:177], v[176:177], -v[30:31]
	v_add_f64 v[178:179], v[178:179], -v[180:181]
	v_mov_b64_e32 v[30:31], v[190:191]
.LBB88_776:
	s_or_b64 exec, exec, s[0:1]
	v_lshl_add_u32 v180, v193, 4, v192
	s_barrier
	s_waitcnt vmcnt(7)
	ds_write2_b64 v180, v[24:25], v[26:27] offset1:1
	s_waitcnt lgkmcnt(0)
	s_barrier
	ds_read2_b64 v[180:183], v192 offset0:74 offset1:75
	s_cmp_lt_i32 s20, 39
	v_mov_b32_e32 v190, 37
	s_cbranch_scc1 .LBB88_779
; %bb.777:
	v_add_u32_e32 v191, 0x260, v192
	s_mov_b32 s16, 38
	v_mov_b32_e32 v190, 37
.LBB88_778:                             ; =>This Inner Loop Header: Depth=1
	ds_read2_b64 v[196:199], v191 offset1:1
	s_waitcnt lgkmcnt(1)
	v_xor_b32_e32 v201, 0x80000000, v181
	v_xor_b32_e32 v203, 0x80000000, v183
	v_cmp_gt_f64_e32 vcc, 0, v[182:183]
	v_cmp_gt_f64_e64 s[0:1], 0, v[180:181]
	v_mov_b32_e32 v200, v180
	v_mov_b32_e32 v202, v182
	v_cndmask_b32_e64 v201, v181, v201, s[0:1]
	v_cndmask_b32_e32 v203, v183, v203, vcc
	v_add_f64 v[200:201], v[200:201], v[202:203]
	s_waitcnt lgkmcnt(0)
	v_xor_b32_e32 v203, 0x80000000, v197
	v_xor_b32_e32 v205, 0x80000000, v199
	v_cmp_gt_f64_e32 vcc, 0, v[198:199]
	v_cmp_gt_f64_e64 s[0:1], 0, v[196:197]
	v_mov_b32_e32 v202, v196
	v_mov_b32_e32 v204, v198
	v_cndmask_b32_e64 v203, v197, v203, s[0:1]
	v_cndmask_b32_e32 v205, v199, v205, vcc
	v_add_f64 v[202:203], v[202:203], v[204:205]
	v_mov_b32_e32 v206, s16
	s_add_i32 s16, s16, 1
	v_cmp_lt_f64_e32 vcc, v[200:201], v[202:203]
	v_add_u32_e32 v191, 16, v191
	s_cmp_lg_u32 s20, s16
	v_cndmask_b32_e32 v181, v181, v197, vcc
	v_cndmask_b32_e32 v180, v180, v196, vcc
	;; [unrolled: 1-line block ×5, first 2 shown]
	s_cbranch_scc1 .LBB88_778
.LBB88_779:
	s_waitcnt lgkmcnt(0)
	v_cmp_eq_f64_e32 vcc, 0, v[180:181]
	v_cmp_eq_f64_e64 s[0:1], 0, v[182:183]
	s_and_b64 s[0:1], vcc, s[0:1]
	s_and_saveexec_b64 s[16:17], s[0:1]
	s_xor_b64 s[0:1], exec, s[16:17]
; %bb.780:
	v_cmp_ne_u32_e32 vcc, 0, v194
	s_nop 1
	v_cndmask_b32_e32 v194, 38, v194, vcc
; %bb.781:
	s_andn2_saveexec_b64 s[0:1], s[0:1]
	s_cbranch_execz .LBB88_787
; %bb.782:
	v_cmp_ngt_f64_e64 s[16:17], |v[180:181]|, |v[182:183]|
	s_and_saveexec_b64 s[18:19], s[16:17]
	s_xor_b64 s[16:17], exec, s[18:19]
	s_cbranch_execz .LBB88_784
; %bb.783:
	v_div_scale_f64 v[196:197], s[18:19], v[182:183], v[182:183], v[180:181]
	v_rcp_f64_e32 v[198:199], v[196:197]
	v_div_scale_f64 v[200:201], vcc, v[180:181], v[182:183], v[180:181]
	v_fma_f64 v[202:203], -v[196:197], v[198:199], 1.0
	v_fmac_f64_e32 v[198:199], v[198:199], v[202:203]
	v_fma_f64 v[202:203], -v[196:197], v[198:199], 1.0
	v_fmac_f64_e32 v[198:199], v[198:199], v[202:203]
	v_mul_f64 v[202:203], v[200:201], v[198:199]
	v_fma_f64 v[196:197], -v[196:197], v[202:203], v[200:201]
	v_div_fmas_f64 v[196:197], v[196:197], v[198:199], v[202:203]
	v_div_fixup_f64 v[196:197], v[196:197], v[182:183], v[180:181]
	v_fmac_f64_e32 v[182:183], v[180:181], v[196:197]
	v_div_scale_f64 v[180:181], s[18:19], v[182:183], v[182:183], 1.0
	v_rcp_f64_e32 v[198:199], v[180:181]
	s_nop 0
	v_fma_f64 v[200:201], -v[180:181], v[198:199], 1.0
	v_fmac_f64_e32 v[198:199], v[198:199], v[200:201]
	v_fma_f64 v[200:201], -v[180:181], v[198:199], 1.0
	v_fmac_f64_e32 v[198:199], v[198:199], v[200:201]
	v_div_scale_f64 v[200:201], vcc, 1.0, v[182:183], 1.0
	v_mul_f64 v[202:203], v[200:201], v[198:199]
	v_fma_f64 v[180:181], -v[180:181], v[202:203], v[200:201]
	s_nop 1
	v_div_fmas_f64 v[180:181], v[180:181], v[198:199], v[202:203]
	v_div_fixup_f64 v[182:183], v[180:181], v[182:183], 1.0
	v_mul_f64 v[180:181], v[196:197], v[182:183]
	v_xor_b32_e32 v183, 0x80000000, v183
.LBB88_784:
	s_andn2_saveexec_b64 s[16:17], s[16:17]
	s_cbranch_execz .LBB88_786
; %bb.785:
	v_div_scale_f64 v[196:197], s[18:19], v[180:181], v[180:181], v[182:183]
	v_rcp_f64_e32 v[198:199], v[196:197]
	v_div_scale_f64 v[200:201], vcc, v[182:183], v[180:181], v[182:183]
	v_fma_f64 v[202:203], -v[196:197], v[198:199], 1.0
	v_fmac_f64_e32 v[198:199], v[198:199], v[202:203]
	v_fma_f64 v[202:203], -v[196:197], v[198:199], 1.0
	v_fmac_f64_e32 v[198:199], v[198:199], v[202:203]
	v_mul_f64 v[202:203], v[200:201], v[198:199]
	v_fma_f64 v[196:197], -v[196:197], v[202:203], v[200:201]
	v_div_fmas_f64 v[196:197], v[196:197], v[198:199], v[202:203]
	v_div_fixup_f64 v[196:197], v[196:197], v[180:181], v[182:183]
	v_fmac_f64_e32 v[180:181], v[182:183], v[196:197]
	v_div_scale_f64 v[182:183], s[18:19], v[180:181], v[180:181], 1.0
	v_rcp_f64_e32 v[198:199], v[182:183]
	s_nop 0
	v_fma_f64 v[200:201], -v[182:183], v[198:199], 1.0
	v_fmac_f64_e32 v[198:199], v[198:199], v[200:201]
	v_fma_f64 v[200:201], -v[182:183], v[198:199], 1.0
	v_fmac_f64_e32 v[198:199], v[198:199], v[200:201]
	v_div_scale_f64 v[200:201], vcc, 1.0, v[180:181], 1.0
	v_mul_f64 v[202:203], v[200:201], v[198:199]
	v_fma_f64 v[182:183], -v[182:183], v[202:203], v[200:201]
	s_nop 1
	v_div_fmas_f64 v[182:183], v[182:183], v[198:199], v[202:203]
	v_div_fixup_f64 v[180:181], v[182:183], v[180:181], 1.0
	v_mul_f64 v[182:183], v[196:197], -v[180:181]
.LBB88_786:
	s_or_b64 exec, exec, s[16:17]
.LBB88_787:
	s_or_b64 exec, exec, s[0:1]
	v_cmp_ne_u32_e32 vcc, v193, v190
	s_and_saveexec_b64 s[0:1], vcc
	s_xor_b64 s[0:1], exec, s[0:1]
	s_cbranch_execz .LBB88_793
; %bb.788:
	v_cmp_eq_u32_e32 vcc, 37, v193
	s_and_saveexec_b64 s[16:17], vcc
	s_cbranch_execz .LBB88_792
; %bb.789:
	v_cmp_ne_u32_e32 vcc, 37, v190
	s_xor_b64 s[18:19], s[14:15], -1
	s_and_b64 s[22:23], s[18:19], vcc
	s_and_saveexec_b64 s[18:19], s[22:23]
	s_cbranch_execz .LBB88_791
; %bb.790:
	v_ashrrev_i32_e32 v191, 31, v190
	v_lshl_add_u64 v[196:197], v[190:191], 2, v[188:189]
	global_load_dword v191, v[196:197], off
	global_load_dword v193, v[188:189], off offset:148
	s_waitcnt vmcnt(1)
	global_store_dword v[188:189], v191, off offset:148
	s_waitcnt vmcnt(1)
	global_store_dword v[196:197], v193, off
.LBB88_791:
	s_or_b64 exec, exec, s[18:19]
	v_mov_b32_e32 v193, v190
	v_mov_b32_e32 v195, v190
.LBB88_792:
	s_or_b64 exec, exec, s[16:17]
.LBB88_793:
	s_andn2_saveexec_b64 s[0:1], s[0:1]
	s_cbranch_execz .LBB88_795
; %bb.794:
	v_mov_b32_e32 v193, 37
	s_waitcnt vmcnt(6)
	ds_write2_b64 v192, v[20:21], v[22:23] offset0:76 offset1:77
	s_waitcnt vmcnt(5)
	ds_write2_b64 v192, v[16:17], v[18:19] offset0:78 offset1:79
	s_waitcnt vmcnt(4)
	ds_write2_b64 v192, v[12:13], v[14:15] offset0:80 offset1:81
	s_waitcnt vmcnt(3)
	ds_write2_b64 v192, v[8:9], v[10:11] offset0:82 offset1:83
	s_waitcnt vmcnt(2)
	ds_write2_b64 v192, v[4:5], v[6:7] offset0:84 offset1:85
	s_waitcnt vmcnt(1)
	ds_write2_b64 v192, v[0:1], v[2:3] offset0:86 offset1:87
	s_waitcnt vmcnt(0)
	ds_write2_b64 v192, v[176:177], v[178:179] offset0:88 offset1:89
.LBB88_795:
	s_or_b64 exec, exec, s[0:1]
	v_cmp_lt_i32_e32 vcc, 37, v193
	s_waitcnt lgkmcnt(0)
	s_barrier
	s_and_saveexec_b64 s[0:1], vcc
	s_cbranch_execz .LBB88_797
; %bb.796:
	ds_read2_b64 v[196:199], v192 offset0:76 offset1:77
	v_mul_f64 v[190:191], v[180:181], v[26:27]
	v_fmac_f64_e32 v[190:191], v[182:183], v[24:25]
	v_mul_f64 v[26:27], v[182:183], v[26:27]
	v_fma_f64 v[24:25], v[180:181], v[24:25], -v[26:27]
	ds_read2_b64 v[180:183], v192 offset0:78 offset1:79
	s_waitcnt lgkmcnt(1)
	v_mul_f64 v[26:27], v[198:199], v[190:191]
	v_fma_f64 v[26:27], v[196:197], v[24:25], -v[26:27]
	v_mul_f64 v[196:197], v[196:197], v[190:191]
	v_fmac_f64_e32 v[196:197], v[198:199], v[24:25]
	s_waitcnt vmcnt(6)
	v_add_f64 v[22:23], v[22:23], -v[196:197]
	ds_read2_b64 v[196:199], v192 offset0:80 offset1:81
	v_add_f64 v[20:21], v[20:21], -v[26:27]
	s_waitcnt lgkmcnt(1)
	v_mul_f64 v[26:27], v[182:183], v[190:191]
	v_fma_f64 v[26:27], v[180:181], v[24:25], -v[26:27]
	v_mul_f64 v[180:181], v[180:181], v[190:191]
	v_fmac_f64_e32 v[180:181], v[182:183], v[24:25]
	s_waitcnt vmcnt(5)
	v_add_f64 v[16:17], v[16:17], -v[26:27]
	v_add_f64 v[18:19], v[18:19], -v[180:181]
	ds_read2_b64 v[180:183], v192 offset0:82 offset1:83
	s_waitcnt lgkmcnt(1)
	v_mul_f64 v[26:27], v[198:199], v[190:191]
	v_fma_f64 v[26:27], v[196:197], v[24:25], -v[26:27]
	v_mul_f64 v[196:197], v[196:197], v[190:191]
	v_fmac_f64_e32 v[196:197], v[198:199], v[24:25]
	s_waitcnt vmcnt(4)
	v_add_f64 v[14:15], v[14:15], -v[196:197]
	ds_read2_b64 v[196:199], v192 offset0:84 offset1:85
	v_add_f64 v[12:13], v[12:13], -v[26:27]
	s_waitcnt lgkmcnt(1)
	v_mul_f64 v[26:27], v[182:183], v[190:191]
	v_fma_f64 v[26:27], v[180:181], v[24:25], -v[26:27]
	v_mul_f64 v[180:181], v[180:181], v[190:191]
	v_fmac_f64_e32 v[180:181], v[182:183], v[24:25]
	s_waitcnt vmcnt(3)
	v_add_f64 v[8:9], v[8:9], -v[26:27]
	v_add_f64 v[10:11], v[10:11], -v[180:181]
	;; [unrolled: 18-line block ×3, first 2 shown]
	s_waitcnt lgkmcnt(0)
	v_mul_f64 v[26:27], v[198:199], v[190:191]
	v_mul_f64 v[180:181], v[196:197], v[190:191]
	v_fma_f64 v[26:27], v[196:197], v[24:25], -v[26:27]
	v_fmac_f64_e32 v[180:181], v[198:199], v[24:25]
	s_waitcnt vmcnt(0)
	v_add_f64 v[176:177], v[176:177], -v[26:27]
	v_add_f64 v[178:179], v[178:179], -v[180:181]
	v_mov_b64_e32 v[26:27], v[190:191]
.LBB88_797:
	s_or_b64 exec, exec, s[0:1]
	v_lshl_add_u32 v180, v193, 4, v192
	s_barrier
	s_waitcnt vmcnt(6)
	ds_write2_b64 v180, v[20:21], v[22:23] offset1:1
	s_waitcnt lgkmcnt(0)
	s_barrier
	ds_read2_b64 v[180:183], v192 offset0:76 offset1:77
	s_cmp_lt_i32 s20, 40
	v_mov_b32_e32 v190, 38
	s_cbranch_scc1 .LBB88_800
; %bb.798:
	v_add_u32_e32 v191, 0x270, v192
	s_mov_b32 s16, 39
	v_mov_b32_e32 v190, 38
.LBB88_799:                             ; =>This Inner Loop Header: Depth=1
	ds_read2_b64 v[196:199], v191 offset1:1
	s_waitcnt lgkmcnt(1)
	v_xor_b32_e32 v201, 0x80000000, v181
	v_xor_b32_e32 v203, 0x80000000, v183
	v_cmp_gt_f64_e32 vcc, 0, v[182:183]
	v_cmp_gt_f64_e64 s[0:1], 0, v[180:181]
	v_mov_b32_e32 v200, v180
	v_mov_b32_e32 v202, v182
	v_cndmask_b32_e64 v201, v181, v201, s[0:1]
	v_cndmask_b32_e32 v203, v183, v203, vcc
	v_add_f64 v[200:201], v[200:201], v[202:203]
	s_waitcnt lgkmcnt(0)
	v_xor_b32_e32 v203, 0x80000000, v197
	v_xor_b32_e32 v205, 0x80000000, v199
	v_cmp_gt_f64_e32 vcc, 0, v[198:199]
	v_cmp_gt_f64_e64 s[0:1], 0, v[196:197]
	v_mov_b32_e32 v202, v196
	v_mov_b32_e32 v204, v198
	v_cndmask_b32_e64 v203, v197, v203, s[0:1]
	v_cndmask_b32_e32 v205, v199, v205, vcc
	v_add_f64 v[202:203], v[202:203], v[204:205]
	v_mov_b32_e32 v206, s16
	s_add_i32 s16, s16, 1
	v_cmp_lt_f64_e32 vcc, v[200:201], v[202:203]
	v_add_u32_e32 v191, 16, v191
	s_cmp_lg_u32 s20, s16
	v_cndmask_b32_e32 v181, v181, v197, vcc
	v_cndmask_b32_e32 v180, v180, v196, vcc
	;; [unrolled: 1-line block ×5, first 2 shown]
	s_cbranch_scc1 .LBB88_799
.LBB88_800:
	s_waitcnt lgkmcnt(0)
	v_cmp_eq_f64_e32 vcc, 0, v[180:181]
	v_cmp_eq_f64_e64 s[0:1], 0, v[182:183]
	s_and_b64 s[0:1], vcc, s[0:1]
	s_and_saveexec_b64 s[16:17], s[0:1]
	s_xor_b64 s[0:1], exec, s[16:17]
; %bb.801:
	v_cmp_ne_u32_e32 vcc, 0, v194
	s_nop 1
	v_cndmask_b32_e32 v194, 39, v194, vcc
; %bb.802:
	s_andn2_saveexec_b64 s[0:1], s[0:1]
	s_cbranch_execz .LBB88_808
; %bb.803:
	v_cmp_ngt_f64_e64 s[16:17], |v[180:181]|, |v[182:183]|
	s_and_saveexec_b64 s[18:19], s[16:17]
	s_xor_b64 s[16:17], exec, s[18:19]
	s_cbranch_execz .LBB88_805
; %bb.804:
	v_div_scale_f64 v[196:197], s[18:19], v[182:183], v[182:183], v[180:181]
	v_rcp_f64_e32 v[198:199], v[196:197]
	v_div_scale_f64 v[200:201], vcc, v[180:181], v[182:183], v[180:181]
	v_fma_f64 v[202:203], -v[196:197], v[198:199], 1.0
	v_fmac_f64_e32 v[198:199], v[198:199], v[202:203]
	v_fma_f64 v[202:203], -v[196:197], v[198:199], 1.0
	v_fmac_f64_e32 v[198:199], v[198:199], v[202:203]
	v_mul_f64 v[202:203], v[200:201], v[198:199]
	v_fma_f64 v[196:197], -v[196:197], v[202:203], v[200:201]
	v_div_fmas_f64 v[196:197], v[196:197], v[198:199], v[202:203]
	v_div_fixup_f64 v[196:197], v[196:197], v[182:183], v[180:181]
	v_fmac_f64_e32 v[182:183], v[180:181], v[196:197]
	v_div_scale_f64 v[180:181], s[18:19], v[182:183], v[182:183], 1.0
	v_rcp_f64_e32 v[198:199], v[180:181]
	s_nop 0
	v_fma_f64 v[200:201], -v[180:181], v[198:199], 1.0
	v_fmac_f64_e32 v[198:199], v[198:199], v[200:201]
	v_fma_f64 v[200:201], -v[180:181], v[198:199], 1.0
	v_fmac_f64_e32 v[198:199], v[198:199], v[200:201]
	v_div_scale_f64 v[200:201], vcc, 1.0, v[182:183], 1.0
	v_mul_f64 v[202:203], v[200:201], v[198:199]
	v_fma_f64 v[180:181], -v[180:181], v[202:203], v[200:201]
	s_nop 1
	v_div_fmas_f64 v[180:181], v[180:181], v[198:199], v[202:203]
	v_div_fixup_f64 v[182:183], v[180:181], v[182:183], 1.0
	v_mul_f64 v[180:181], v[196:197], v[182:183]
	v_xor_b32_e32 v183, 0x80000000, v183
.LBB88_805:
	s_andn2_saveexec_b64 s[16:17], s[16:17]
	s_cbranch_execz .LBB88_807
; %bb.806:
	v_div_scale_f64 v[196:197], s[18:19], v[180:181], v[180:181], v[182:183]
	v_rcp_f64_e32 v[198:199], v[196:197]
	v_div_scale_f64 v[200:201], vcc, v[182:183], v[180:181], v[182:183]
	v_fma_f64 v[202:203], -v[196:197], v[198:199], 1.0
	v_fmac_f64_e32 v[198:199], v[198:199], v[202:203]
	v_fma_f64 v[202:203], -v[196:197], v[198:199], 1.0
	v_fmac_f64_e32 v[198:199], v[198:199], v[202:203]
	v_mul_f64 v[202:203], v[200:201], v[198:199]
	v_fma_f64 v[196:197], -v[196:197], v[202:203], v[200:201]
	v_div_fmas_f64 v[196:197], v[196:197], v[198:199], v[202:203]
	v_div_fixup_f64 v[196:197], v[196:197], v[180:181], v[182:183]
	v_fmac_f64_e32 v[180:181], v[182:183], v[196:197]
	v_div_scale_f64 v[182:183], s[18:19], v[180:181], v[180:181], 1.0
	v_rcp_f64_e32 v[198:199], v[182:183]
	s_nop 0
	v_fma_f64 v[200:201], -v[182:183], v[198:199], 1.0
	v_fmac_f64_e32 v[198:199], v[198:199], v[200:201]
	v_fma_f64 v[200:201], -v[182:183], v[198:199], 1.0
	v_fmac_f64_e32 v[198:199], v[198:199], v[200:201]
	v_div_scale_f64 v[200:201], vcc, 1.0, v[180:181], 1.0
	v_mul_f64 v[202:203], v[200:201], v[198:199]
	v_fma_f64 v[182:183], -v[182:183], v[202:203], v[200:201]
	s_nop 1
	v_div_fmas_f64 v[182:183], v[182:183], v[198:199], v[202:203]
	v_div_fixup_f64 v[180:181], v[182:183], v[180:181], 1.0
	v_mul_f64 v[182:183], v[196:197], -v[180:181]
.LBB88_807:
	s_or_b64 exec, exec, s[16:17]
.LBB88_808:
	s_or_b64 exec, exec, s[0:1]
	v_cmp_ne_u32_e32 vcc, v193, v190
	s_and_saveexec_b64 s[0:1], vcc
	s_xor_b64 s[0:1], exec, s[0:1]
	s_cbranch_execz .LBB88_814
; %bb.809:
	v_cmp_eq_u32_e32 vcc, 38, v193
	s_and_saveexec_b64 s[16:17], vcc
	s_cbranch_execz .LBB88_813
; %bb.810:
	v_cmp_ne_u32_e32 vcc, 38, v190
	s_xor_b64 s[18:19], s[14:15], -1
	s_and_b64 s[22:23], s[18:19], vcc
	s_and_saveexec_b64 s[18:19], s[22:23]
	s_cbranch_execz .LBB88_812
; %bb.811:
	v_ashrrev_i32_e32 v191, 31, v190
	v_lshl_add_u64 v[196:197], v[190:191], 2, v[188:189]
	global_load_dword v191, v[196:197], off
	global_load_dword v193, v[188:189], off offset:152
	s_waitcnt vmcnt(1)
	global_store_dword v[188:189], v191, off offset:152
	s_waitcnt vmcnt(1)
	global_store_dword v[196:197], v193, off
.LBB88_812:
	s_or_b64 exec, exec, s[18:19]
	v_mov_b32_e32 v193, v190
	v_mov_b32_e32 v195, v190
.LBB88_813:
	s_or_b64 exec, exec, s[16:17]
.LBB88_814:
	s_andn2_saveexec_b64 s[0:1], s[0:1]
	s_cbranch_execz .LBB88_816
; %bb.815:
	v_mov_b32_e32 v193, 38
	s_waitcnt vmcnt(5)
	ds_write2_b64 v192, v[16:17], v[18:19] offset0:78 offset1:79
	s_waitcnt vmcnt(4)
	ds_write2_b64 v192, v[12:13], v[14:15] offset0:80 offset1:81
	s_waitcnt vmcnt(3)
	ds_write2_b64 v192, v[8:9], v[10:11] offset0:82 offset1:83
	s_waitcnt vmcnt(2)
	ds_write2_b64 v192, v[4:5], v[6:7] offset0:84 offset1:85
	s_waitcnt vmcnt(1)
	ds_write2_b64 v192, v[0:1], v[2:3] offset0:86 offset1:87
	s_waitcnt vmcnt(0)
	ds_write2_b64 v192, v[176:177], v[178:179] offset0:88 offset1:89
.LBB88_816:
	s_or_b64 exec, exec, s[0:1]
	v_cmp_lt_i32_e32 vcc, 38, v193
	s_waitcnt lgkmcnt(0)
	s_barrier
	s_and_saveexec_b64 s[0:1], vcc
	s_cbranch_execz .LBB88_818
; %bb.817:
	ds_read2_b64 v[196:199], v192 offset0:78 offset1:79
	v_mul_f64 v[190:191], v[180:181], v[22:23]
	v_mul_f64 v[22:23], v[182:183], v[22:23]
	v_fmac_f64_e32 v[190:191], v[182:183], v[20:21]
	v_fma_f64 v[20:21], v[180:181], v[20:21], -v[22:23]
	ds_read2_b64 v[180:183], v192 offset0:80 offset1:81
	s_waitcnt lgkmcnt(1)
	v_mul_f64 v[22:23], v[198:199], v[190:191]
	v_fma_f64 v[22:23], v[196:197], v[20:21], -v[22:23]
	v_mul_f64 v[196:197], v[196:197], v[190:191]
	v_fmac_f64_e32 v[196:197], v[198:199], v[20:21]
	s_waitcnt vmcnt(5)
	v_add_f64 v[16:17], v[16:17], -v[22:23]
	s_waitcnt lgkmcnt(0)
	v_mul_f64 v[22:23], v[182:183], v[190:191]
	v_add_f64 v[18:19], v[18:19], -v[196:197]
	v_fma_f64 v[22:23], v[180:181], v[20:21], -v[22:23]
	v_mul_f64 v[180:181], v[180:181], v[190:191]
	ds_read2_b64 v[196:199], v192 offset0:82 offset1:83
	v_fmac_f64_e32 v[180:181], v[182:183], v[20:21]
	s_waitcnt vmcnt(4)
	v_add_f64 v[14:15], v[14:15], -v[180:181]
	ds_read2_b64 v[180:183], v192 offset0:84 offset1:85
	v_add_f64 v[12:13], v[12:13], -v[22:23]
	s_waitcnt lgkmcnt(1)
	v_mul_f64 v[22:23], v[198:199], v[190:191]
	v_fma_f64 v[22:23], v[196:197], v[20:21], -v[22:23]
	v_mul_f64 v[196:197], v[196:197], v[190:191]
	v_fmac_f64_e32 v[196:197], v[198:199], v[20:21]
	s_waitcnt vmcnt(3)
	v_add_f64 v[8:9], v[8:9], -v[22:23]
	s_waitcnt lgkmcnt(0)
	v_mul_f64 v[22:23], v[182:183], v[190:191]
	v_add_f64 v[10:11], v[10:11], -v[196:197]
	v_fma_f64 v[22:23], v[180:181], v[20:21], -v[22:23]
	v_mul_f64 v[180:181], v[180:181], v[190:191]
	ds_read2_b64 v[196:199], v192 offset0:86 offset1:87
	v_fmac_f64_e32 v[180:181], v[182:183], v[20:21]
	s_waitcnt vmcnt(2)
	v_add_f64 v[6:7], v[6:7], -v[180:181]
	ds_read2_b64 v[180:183], v192 offset0:88 offset1:89
	v_add_f64 v[4:5], v[4:5], -v[22:23]
	s_waitcnt lgkmcnt(1)
	v_mul_f64 v[22:23], v[198:199], v[190:191]
	v_fma_f64 v[22:23], v[196:197], v[20:21], -v[22:23]
	s_waitcnt vmcnt(1)
	v_add_f64 v[0:1], v[0:1], -v[22:23]
	s_waitcnt lgkmcnt(0)
	v_mul_f64 v[22:23], v[182:183], v[190:191]
	v_mul_f64 v[196:197], v[196:197], v[190:191]
	v_fma_f64 v[22:23], v[180:181], v[20:21], -v[22:23]
	v_mul_f64 v[180:181], v[180:181], v[190:191]
	v_fmac_f64_e32 v[196:197], v[198:199], v[20:21]
	v_fmac_f64_e32 v[180:181], v[182:183], v[20:21]
	v_add_f64 v[2:3], v[2:3], -v[196:197]
	s_waitcnt vmcnt(0)
	v_add_f64 v[176:177], v[176:177], -v[22:23]
	v_add_f64 v[178:179], v[178:179], -v[180:181]
	v_mov_b64_e32 v[22:23], v[190:191]
.LBB88_818:
	s_or_b64 exec, exec, s[0:1]
	v_lshl_add_u32 v180, v193, 4, v192
	s_barrier
	s_waitcnt vmcnt(5)
	ds_write2_b64 v180, v[16:17], v[18:19] offset1:1
	s_waitcnt lgkmcnt(0)
	s_barrier
	ds_read2_b64 v[180:183], v192 offset0:78 offset1:79
	s_cmp_lt_i32 s20, 41
	v_mov_b32_e32 v190, 39
	s_cbranch_scc1 .LBB88_821
; %bb.819:
	v_add_u32_e32 v191, 0x280, v192
	s_mov_b32 s16, 40
	v_mov_b32_e32 v190, 39
.LBB88_820:                             ; =>This Inner Loop Header: Depth=1
	ds_read2_b64 v[196:199], v191 offset1:1
	s_waitcnt lgkmcnt(1)
	v_xor_b32_e32 v201, 0x80000000, v181
	v_xor_b32_e32 v203, 0x80000000, v183
	v_cmp_gt_f64_e32 vcc, 0, v[182:183]
	v_cmp_gt_f64_e64 s[0:1], 0, v[180:181]
	v_mov_b32_e32 v200, v180
	v_mov_b32_e32 v202, v182
	v_cndmask_b32_e64 v201, v181, v201, s[0:1]
	v_cndmask_b32_e32 v203, v183, v203, vcc
	v_add_f64 v[200:201], v[200:201], v[202:203]
	s_waitcnt lgkmcnt(0)
	v_xor_b32_e32 v203, 0x80000000, v197
	v_xor_b32_e32 v205, 0x80000000, v199
	v_cmp_gt_f64_e32 vcc, 0, v[198:199]
	v_cmp_gt_f64_e64 s[0:1], 0, v[196:197]
	v_mov_b32_e32 v202, v196
	v_mov_b32_e32 v204, v198
	v_cndmask_b32_e64 v203, v197, v203, s[0:1]
	v_cndmask_b32_e32 v205, v199, v205, vcc
	v_add_f64 v[202:203], v[202:203], v[204:205]
	v_mov_b32_e32 v206, s16
	s_add_i32 s16, s16, 1
	v_cmp_lt_f64_e32 vcc, v[200:201], v[202:203]
	v_add_u32_e32 v191, 16, v191
	s_cmp_lg_u32 s20, s16
	v_cndmask_b32_e32 v181, v181, v197, vcc
	v_cndmask_b32_e32 v180, v180, v196, vcc
	;; [unrolled: 1-line block ×5, first 2 shown]
	s_cbranch_scc1 .LBB88_820
.LBB88_821:
	s_waitcnt lgkmcnt(0)
	v_cmp_eq_f64_e32 vcc, 0, v[180:181]
	v_cmp_eq_f64_e64 s[0:1], 0, v[182:183]
	s_and_b64 s[0:1], vcc, s[0:1]
	s_and_saveexec_b64 s[16:17], s[0:1]
	s_xor_b64 s[0:1], exec, s[16:17]
; %bb.822:
	v_cmp_ne_u32_e32 vcc, 0, v194
	s_nop 1
	v_cndmask_b32_e32 v194, 40, v194, vcc
; %bb.823:
	s_andn2_saveexec_b64 s[0:1], s[0:1]
	s_cbranch_execz .LBB88_829
; %bb.824:
	v_cmp_ngt_f64_e64 s[16:17], |v[180:181]|, |v[182:183]|
	s_and_saveexec_b64 s[18:19], s[16:17]
	s_xor_b64 s[16:17], exec, s[18:19]
	s_cbranch_execz .LBB88_826
; %bb.825:
	v_div_scale_f64 v[196:197], s[18:19], v[182:183], v[182:183], v[180:181]
	v_rcp_f64_e32 v[198:199], v[196:197]
	v_div_scale_f64 v[200:201], vcc, v[180:181], v[182:183], v[180:181]
	v_fma_f64 v[202:203], -v[196:197], v[198:199], 1.0
	v_fmac_f64_e32 v[198:199], v[198:199], v[202:203]
	v_fma_f64 v[202:203], -v[196:197], v[198:199], 1.0
	v_fmac_f64_e32 v[198:199], v[198:199], v[202:203]
	v_mul_f64 v[202:203], v[200:201], v[198:199]
	v_fma_f64 v[196:197], -v[196:197], v[202:203], v[200:201]
	v_div_fmas_f64 v[196:197], v[196:197], v[198:199], v[202:203]
	v_div_fixup_f64 v[196:197], v[196:197], v[182:183], v[180:181]
	v_fmac_f64_e32 v[182:183], v[180:181], v[196:197]
	v_div_scale_f64 v[180:181], s[18:19], v[182:183], v[182:183], 1.0
	v_rcp_f64_e32 v[198:199], v[180:181]
	s_nop 0
	v_fma_f64 v[200:201], -v[180:181], v[198:199], 1.0
	v_fmac_f64_e32 v[198:199], v[198:199], v[200:201]
	v_fma_f64 v[200:201], -v[180:181], v[198:199], 1.0
	v_fmac_f64_e32 v[198:199], v[198:199], v[200:201]
	v_div_scale_f64 v[200:201], vcc, 1.0, v[182:183], 1.0
	v_mul_f64 v[202:203], v[200:201], v[198:199]
	v_fma_f64 v[180:181], -v[180:181], v[202:203], v[200:201]
	s_nop 1
	v_div_fmas_f64 v[180:181], v[180:181], v[198:199], v[202:203]
	v_div_fixup_f64 v[182:183], v[180:181], v[182:183], 1.0
	v_mul_f64 v[180:181], v[196:197], v[182:183]
	v_xor_b32_e32 v183, 0x80000000, v183
.LBB88_826:
	s_andn2_saveexec_b64 s[16:17], s[16:17]
	s_cbranch_execz .LBB88_828
; %bb.827:
	v_div_scale_f64 v[196:197], s[18:19], v[180:181], v[180:181], v[182:183]
	v_rcp_f64_e32 v[198:199], v[196:197]
	v_div_scale_f64 v[200:201], vcc, v[182:183], v[180:181], v[182:183]
	v_fma_f64 v[202:203], -v[196:197], v[198:199], 1.0
	v_fmac_f64_e32 v[198:199], v[198:199], v[202:203]
	v_fma_f64 v[202:203], -v[196:197], v[198:199], 1.0
	v_fmac_f64_e32 v[198:199], v[198:199], v[202:203]
	v_mul_f64 v[202:203], v[200:201], v[198:199]
	v_fma_f64 v[196:197], -v[196:197], v[202:203], v[200:201]
	v_div_fmas_f64 v[196:197], v[196:197], v[198:199], v[202:203]
	v_div_fixup_f64 v[196:197], v[196:197], v[180:181], v[182:183]
	v_fmac_f64_e32 v[180:181], v[182:183], v[196:197]
	v_div_scale_f64 v[182:183], s[18:19], v[180:181], v[180:181], 1.0
	v_rcp_f64_e32 v[198:199], v[182:183]
	s_nop 0
	v_fma_f64 v[200:201], -v[182:183], v[198:199], 1.0
	v_fmac_f64_e32 v[198:199], v[198:199], v[200:201]
	v_fma_f64 v[200:201], -v[182:183], v[198:199], 1.0
	v_fmac_f64_e32 v[198:199], v[198:199], v[200:201]
	v_div_scale_f64 v[200:201], vcc, 1.0, v[180:181], 1.0
	v_mul_f64 v[202:203], v[200:201], v[198:199]
	v_fma_f64 v[182:183], -v[182:183], v[202:203], v[200:201]
	s_nop 1
	v_div_fmas_f64 v[182:183], v[182:183], v[198:199], v[202:203]
	v_div_fixup_f64 v[180:181], v[182:183], v[180:181], 1.0
	v_mul_f64 v[182:183], v[196:197], -v[180:181]
.LBB88_828:
	s_or_b64 exec, exec, s[16:17]
.LBB88_829:
	s_or_b64 exec, exec, s[0:1]
	v_cmp_ne_u32_e32 vcc, v193, v190
	s_and_saveexec_b64 s[0:1], vcc
	s_xor_b64 s[0:1], exec, s[0:1]
	s_cbranch_execz .LBB88_835
; %bb.830:
	v_cmp_eq_u32_e32 vcc, 39, v193
	s_and_saveexec_b64 s[16:17], vcc
	s_cbranch_execz .LBB88_834
; %bb.831:
	v_cmp_ne_u32_e32 vcc, 39, v190
	s_xor_b64 s[18:19], s[14:15], -1
	s_and_b64 s[22:23], s[18:19], vcc
	s_and_saveexec_b64 s[18:19], s[22:23]
	s_cbranch_execz .LBB88_833
; %bb.832:
	v_ashrrev_i32_e32 v191, 31, v190
	v_lshl_add_u64 v[196:197], v[190:191], 2, v[188:189]
	global_load_dword v191, v[196:197], off
	global_load_dword v193, v[188:189], off offset:156
	s_waitcnt vmcnt(1)
	global_store_dword v[188:189], v191, off offset:156
	s_waitcnt vmcnt(1)
	global_store_dword v[196:197], v193, off
.LBB88_833:
	s_or_b64 exec, exec, s[18:19]
	v_mov_b32_e32 v193, v190
	v_mov_b32_e32 v195, v190
.LBB88_834:
	s_or_b64 exec, exec, s[16:17]
.LBB88_835:
	s_andn2_saveexec_b64 s[0:1], s[0:1]
	s_cbranch_execz .LBB88_837
; %bb.836:
	v_mov_b32_e32 v193, 39
	s_waitcnt vmcnt(4)
	ds_write2_b64 v192, v[12:13], v[14:15] offset0:80 offset1:81
	s_waitcnt vmcnt(3)
	ds_write2_b64 v192, v[8:9], v[10:11] offset0:82 offset1:83
	;; [unrolled: 2-line block ×5, first 2 shown]
.LBB88_837:
	s_or_b64 exec, exec, s[0:1]
	v_cmp_lt_i32_e32 vcc, 39, v193
	s_waitcnt lgkmcnt(0)
	s_barrier
	s_and_saveexec_b64 s[0:1], vcc
	s_cbranch_execz .LBB88_839
; %bb.838:
	ds_read2_b64 v[196:199], v192 offset0:80 offset1:81
	v_mul_f64 v[190:191], v[180:181], v[18:19]
	v_fmac_f64_e32 v[190:191], v[182:183], v[16:17]
	v_mul_f64 v[18:19], v[182:183], v[18:19]
	v_fma_f64 v[16:17], v[180:181], v[16:17], -v[18:19]
	ds_read2_b64 v[180:183], v192 offset0:82 offset1:83
	s_waitcnt lgkmcnt(1)
	v_mul_f64 v[18:19], v[198:199], v[190:191]
	v_fma_f64 v[18:19], v[196:197], v[16:17], -v[18:19]
	v_mul_f64 v[196:197], v[196:197], v[190:191]
	v_fmac_f64_e32 v[196:197], v[198:199], v[16:17]
	s_waitcnt vmcnt(4)
	v_add_f64 v[14:15], v[14:15], -v[196:197]
	ds_read2_b64 v[196:199], v192 offset0:84 offset1:85
	v_add_f64 v[12:13], v[12:13], -v[18:19]
	s_waitcnt lgkmcnt(1)
	v_mul_f64 v[18:19], v[182:183], v[190:191]
	v_fma_f64 v[18:19], v[180:181], v[16:17], -v[18:19]
	v_mul_f64 v[180:181], v[180:181], v[190:191]
	v_fmac_f64_e32 v[180:181], v[182:183], v[16:17]
	s_waitcnt vmcnt(3)
	v_add_f64 v[8:9], v[8:9], -v[18:19]
	v_add_f64 v[10:11], v[10:11], -v[180:181]
	ds_read2_b64 v[180:183], v192 offset0:86 offset1:87
	s_waitcnt lgkmcnt(1)
	v_mul_f64 v[18:19], v[198:199], v[190:191]
	v_fma_f64 v[18:19], v[196:197], v[16:17], -v[18:19]
	v_mul_f64 v[196:197], v[196:197], v[190:191]
	v_fmac_f64_e32 v[196:197], v[198:199], v[16:17]
	s_waitcnt vmcnt(2)
	v_add_f64 v[6:7], v[6:7], -v[196:197]
	ds_read2_b64 v[196:199], v192 offset0:88 offset1:89
	v_add_f64 v[4:5], v[4:5], -v[18:19]
	s_waitcnt lgkmcnt(1)
	v_mul_f64 v[18:19], v[182:183], v[190:191]
	v_fma_f64 v[18:19], v[180:181], v[16:17], -v[18:19]
	v_mul_f64 v[180:181], v[180:181], v[190:191]
	v_fmac_f64_e32 v[180:181], v[182:183], v[16:17]
	s_waitcnt vmcnt(1)
	v_add_f64 v[0:1], v[0:1], -v[18:19]
	v_add_f64 v[2:3], v[2:3], -v[180:181]
	s_waitcnt lgkmcnt(0)
	v_mul_f64 v[18:19], v[198:199], v[190:191]
	v_mul_f64 v[180:181], v[196:197], v[190:191]
	v_fma_f64 v[18:19], v[196:197], v[16:17], -v[18:19]
	v_fmac_f64_e32 v[180:181], v[198:199], v[16:17]
	s_waitcnt vmcnt(0)
	v_add_f64 v[176:177], v[176:177], -v[18:19]
	v_add_f64 v[178:179], v[178:179], -v[180:181]
	v_mov_b64_e32 v[18:19], v[190:191]
.LBB88_839:
	s_or_b64 exec, exec, s[0:1]
	v_lshl_add_u32 v180, v193, 4, v192
	s_barrier
	s_waitcnt vmcnt(4)
	ds_write2_b64 v180, v[12:13], v[14:15] offset1:1
	s_waitcnt lgkmcnt(0)
	s_barrier
	ds_read2_b64 v[180:183], v192 offset0:80 offset1:81
	s_cmp_lt_i32 s20, 42
	v_mov_b32_e32 v190, 40
	s_cbranch_scc1 .LBB88_842
; %bb.840:
	v_add_u32_e32 v191, 0x290, v192
	s_mov_b32 s16, 41
	v_mov_b32_e32 v190, 40
.LBB88_841:                             ; =>This Inner Loop Header: Depth=1
	ds_read2_b64 v[196:199], v191 offset1:1
	s_waitcnt lgkmcnt(1)
	v_xor_b32_e32 v201, 0x80000000, v181
	v_xor_b32_e32 v203, 0x80000000, v183
	v_cmp_gt_f64_e32 vcc, 0, v[182:183]
	v_cmp_gt_f64_e64 s[0:1], 0, v[180:181]
	v_mov_b32_e32 v200, v180
	v_mov_b32_e32 v202, v182
	v_cndmask_b32_e64 v201, v181, v201, s[0:1]
	v_cndmask_b32_e32 v203, v183, v203, vcc
	v_add_f64 v[200:201], v[200:201], v[202:203]
	s_waitcnt lgkmcnt(0)
	v_xor_b32_e32 v203, 0x80000000, v197
	v_xor_b32_e32 v205, 0x80000000, v199
	v_cmp_gt_f64_e32 vcc, 0, v[198:199]
	v_cmp_gt_f64_e64 s[0:1], 0, v[196:197]
	v_mov_b32_e32 v202, v196
	v_mov_b32_e32 v204, v198
	v_cndmask_b32_e64 v203, v197, v203, s[0:1]
	v_cndmask_b32_e32 v205, v199, v205, vcc
	v_add_f64 v[202:203], v[202:203], v[204:205]
	v_mov_b32_e32 v206, s16
	s_add_i32 s16, s16, 1
	v_cmp_lt_f64_e32 vcc, v[200:201], v[202:203]
	v_add_u32_e32 v191, 16, v191
	s_cmp_lg_u32 s20, s16
	v_cndmask_b32_e32 v181, v181, v197, vcc
	v_cndmask_b32_e32 v180, v180, v196, vcc
	;; [unrolled: 1-line block ×5, first 2 shown]
	s_cbranch_scc1 .LBB88_841
.LBB88_842:
	s_waitcnt lgkmcnt(0)
	v_cmp_eq_f64_e32 vcc, 0, v[180:181]
	v_cmp_eq_f64_e64 s[0:1], 0, v[182:183]
	s_and_b64 s[0:1], vcc, s[0:1]
	s_and_saveexec_b64 s[16:17], s[0:1]
	s_xor_b64 s[0:1], exec, s[16:17]
; %bb.843:
	v_cmp_ne_u32_e32 vcc, 0, v194
	s_nop 1
	v_cndmask_b32_e32 v194, 41, v194, vcc
; %bb.844:
	s_andn2_saveexec_b64 s[0:1], s[0:1]
	s_cbranch_execz .LBB88_850
; %bb.845:
	v_cmp_ngt_f64_e64 s[16:17], |v[180:181]|, |v[182:183]|
	s_and_saveexec_b64 s[18:19], s[16:17]
	s_xor_b64 s[16:17], exec, s[18:19]
	s_cbranch_execz .LBB88_847
; %bb.846:
	v_div_scale_f64 v[196:197], s[18:19], v[182:183], v[182:183], v[180:181]
	v_rcp_f64_e32 v[198:199], v[196:197]
	v_div_scale_f64 v[200:201], vcc, v[180:181], v[182:183], v[180:181]
	v_fma_f64 v[202:203], -v[196:197], v[198:199], 1.0
	v_fmac_f64_e32 v[198:199], v[198:199], v[202:203]
	v_fma_f64 v[202:203], -v[196:197], v[198:199], 1.0
	v_fmac_f64_e32 v[198:199], v[198:199], v[202:203]
	v_mul_f64 v[202:203], v[200:201], v[198:199]
	v_fma_f64 v[196:197], -v[196:197], v[202:203], v[200:201]
	v_div_fmas_f64 v[196:197], v[196:197], v[198:199], v[202:203]
	v_div_fixup_f64 v[196:197], v[196:197], v[182:183], v[180:181]
	v_fmac_f64_e32 v[182:183], v[180:181], v[196:197]
	v_div_scale_f64 v[180:181], s[18:19], v[182:183], v[182:183], 1.0
	v_rcp_f64_e32 v[198:199], v[180:181]
	s_nop 0
	v_fma_f64 v[200:201], -v[180:181], v[198:199], 1.0
	v_fmac_f64_e32 v[198:199], v[198:199], v[200:201]
	v_fma_f64 v[200:201], -v[180:181], v[198:199], 1.0
	v_fmac_f64_e32 v[198:199], v[198:199], v[200:201]
	v_div_scale_f64 v[200:201], vcc, 1.0, v[182:183], 1.0
	v_mul_f64 v[202:203], v[200:201], v[198:199]
	v_fma_f64 v[180:181], -v[180:181], v[202:203], v[200:201]
	s_nop 1
	v_div_fmas_f64 v[180:181], v[180:181], v[198:199], v[202:203]
	v_div_fixup_f64 v[182:183], v[180:181], v[182:183], 1.0
	v_mul_f64 v[180:181], v[196:197], v[182:183]
	v_xor_b32_e32 v183, 0x80000000, v183
.LBB88_847:
	s_andn2_saveexec_b64 s[16:17], s[16:17]
	s_cbranch_execz .LBB88_849
; %bb.848:
	v_div_scale_f64 v[196:197], s[18:19], v[180:181], v[180:181], v[182:183]
	v_rcp_f64_e32 v[198:199], v[196:197]
	v_div_scale_f64 v[200:201], vcc, v[182:183], v[180:181], v[182:183]
	v_fma_f64 v[202:203], -v[196:197], v[198:199], 1.0
	v_fmac_f64_e32 v[198:199], v[198:199], v[202:203]
	v_fma_f64 v[202:203], -v[196:197], v[198:199], 1.0
	v_fmac_f64_e32 v[198:199], v[198:199], v[202:203]
	v_mul_f64 v[202:203], v[200:201], v[198:199]
	v_fma_f64 v[196:197], -v[196:197], v[202:203], v[200:201]
	v_div_fmas_f64 v[196:197], v[196:197], v[198:199], v[202:203]
	v_div_fixup_f64 v[196:197], v[196:197], v[180:181], v[182:183]
	v_fmac_f64_e32 v[180:181], v[182:183], v[196:197]
	v_div_scale_f64 v[182:183], s[18:19], v[180:181], v[180:181], 1.0
	v_rcp_f64_e32 v[198:199], v[182:183]
	s_nop 0
	v_fma_f64 v[200:201], -v[182:183], v[198:199], 1.0
	v_fmac_f64_e32 v[198:199], v[198:199], v[200:201]
	v_fma_f64 v[200:201], -v[182:183], v[198:199], 1.0
	v_fmac_f64_e32 v[198:199], v[198:199], v[200:201]
	v_div_scale_f64 v[200:201], vcc, 1.0, v[180:181], 1.0
	v_mul_f64 v[202:203], v[200:201], v[198:199]
	v_fma_f64 v[182:183], -v[182:183], v[202:203], v[200:201]
	s_nop 1
	v_div_fmas_f64 v[182:183], v[182:183], v[198:199], v[202:203]
	v_div_fixup_f64 v[180:181], v[182:183], v[180:181], 1.0
	v_mul_f64 v[182:183], v[196:197], -v[180:181]
.LBB88_849:
	s_or_b64 exec, exec, s[16:17]
.LBB88_850:
	s_or_b64 exec, exec, s[0:1]
	v_cmp_ne_u32_e32 vcc, v193, v190
	s_and_saveexec_b64 s[0:1], vcc
	s_xor_b64 s[0:1], exec, s[0:1]
	s_cbranch_execz .LBB88_856
; %bb.851:
	v_cmp_eq_u32_e32 vcc, 40, v193
	s_and_saveexec_b64 s[16:17], vcc
	s_cbranch_execz .LBB88_855
; %bb.852:
	v_cmp_ne_u32_e32 vcc, 40, v190
	s_xor_b64 s[18:19], s[14:15], -1
	s_and_b64 s[22:23], s[18:19], vcc
	s_and_saveexec_b64 s[18:19], s[22:23]
	s_cbranch_execz .LBB88_854
; %bb.853:
	v_ashrrev_i32_e32 v191, 31, v190
	v_lshl_add_u64 v[196:197], v[190:191], 2, v[188:189]
	global_load_dword v191, v[196:197], off
	global_load_dword v193, v[188:189], off offset:160
	s_waitcnt vmcnt(1)
	global_store_dword v[188:189], v191, off offset:160
	s_waitcnt vmcnt(1)
	global_store_dword v[196:197], v193, off
.LBB88_854:
	s_or_b64 exec, exec, s[18:19]
	v_mov_b32_e32 v193, v190
	v_mov_b32_e32 v195, v190
.LBB88_855:
	s_or_b64 exec, exec, s[16:17]
.LBB88_856:
	s_andn2_saveexec_b64 s[0:1], s[0:1]
	s_cbranch_execz .LBB88_858
; %bb.857:
	v_mov_b32_e32 v193, 40
	s_waitcnt vmcnt(3)
	ds_write2_b64 v192, v[8:9], v[10:11] offset0:82 offset1:83
	s_waitcnt vmcnt(2)
	ds_write2_b64 v192, v[4:5], v[6:7] offset0:84 offset1:85
	;; [unrolled: 2-line block ×4, first 2 shown]
.LBB88_858:
	s_or_b64 exec, exec, s[0:1]
	v_cmp_lt_i32_e32 vcc, 40, v193
	s_waitcnt lgkmcnt(0)
	s_barrier
	s_and_saveexec_b64 s[0:1], vcc
	s_cbranch_execz .LBB88_860
; %bb.859:
	ds_read2_b64 v[196:199], v192 offset0:82 offset1:83
	v_mul_f64 v[190:191], v[180:181], v[14:15]
	v_mul_f64 v[14:15], v[182:183], v[14:15]
	v_fmac_f64_e32 v[190:191], v[182:183], v[12:13]
	v_fma_f64 v[12:13], v[180:181], v[12:13], -v[14:15]
	ds_read2_b64 v[180:183], v192 offset0:84 offset1:85
	s_waitcnt lgkmcnt(1)
	v_mul_f64 v[14:15], v[198:199], v[190:191]
	v_fma_f64 v[14:15], v[196:197], v[12:13], -v[14:15]
	v_mul_f64 v[196:197], v[196:197], v[190:191]
	v_fmac_f64_e32 v[196:197], v[198:199], v[12:13]
	s_waitcnt vmcnt(3)
	v_add_f64 v[8:9], v[8:9], -v[14:15]
	s_waitcnt lgkmcnt(0)
	v_mul_f64 v[14:15], v[182:183], v[190:191]
	v_add_f64 v[10:11], v[10:11], -v[196:197]
	v_fma_f64 v[14:15], v[180:181], v[12:13], -v[14:15]
	v_mul_f64 v[180:181], v[180:181], v[190:191]
	ds_read2_b64 v[196:199], v192 offset0:86 offset1:87
	v_fmac_f64_e32 v[180:181], v[182:183], v[12:13]
	s_waitcnt vmcnt(2)
	v_add_f64 v[6:7], v[6:7], -v[180:181]
	ds_read2_b64 v[180:183], v192 offset0:88 offset1:89
	v_add_f64 v[4:5], v[4:5], -v[14:15]
	s_waitcnt lgkmcnt(1)
	v_mul_f64 v[14:15], v[198:199], v[190:191]
	v_fma_f64 v[14:15], v[196:197], v[12:13], -v[14:15]
	s_waitcnt vmcnt(1)
	v_add_f64 v[0:1], v[0:1], -v[14:15]
	s_waitcnt lgkmcnt(0)
	v_mul_f64 v[14:15], v[182:183], v[190:191]
	v_mul_f64 v[196:197], v[196:197], v[190:191]
	v_fma_f64 v[14:15], v[180:181], v[12:13], -v[14:15]
	v_mul_f64 v[180:181], v[180:181], v[190:191]
	v_fmac_f64_e32 v[196:197], v[198:199], v[12:13]
	v_fmac_f64_e32 v[180:181], v[182:183], v[12:13]
	v_add_f64 v[2:3], v[2:3], -v[196:197]
	s_waitcnt vmcnt(0)
	v_add_f64 v[176:177], v[176:177], -v[14:15]
	v_add_f64 v[178:179], v[178:179], -v[180:181]
	v_mov_b64_e32 v[14:15], v[190:191]
.LBB88_860:
	s_or_b64 exec, exec, s[0:1]
	v_lshl_add_u32 v180, v193, 4, v192
	s_barrier
	s_waitcnt vmcnt(3)
	ds_write2_b64 v180, v[8:9], v[10:11] offset1:1
	s_waitcnt lgkmcnt(0)
	s_barrier
	ds_read2_b64 v[180:183], v192 offset0:82 offset1:83
	s_cmp_lt_i32 s20, 43
	v_mov_b32_e32 v190, 41
	s_cbranch_scc1 .LBB88_863
; %bb.861:
	v_add_u32_e32 v191, 0x2a0, v192
	s_mov_b32 s16, 42
	v_mov_b32_e32 v190, 41
.LBB88_862:                             ; =>This Inner Loop Header: Depth=1
	ds_read2_b64 v[196:199], v191 offset1:1
	s_waitcnt lgkmcnt(1)
	v_xor_b32_e32 v201, 0x80000000, v181
	v_xor_b32_e32 v203, 0x80000000, v183
	v_cmp_gt_f64_e32 vcc, 0, v[182:183]
	v_cmp_gt_f64_e64 s[0:1], 0, v[180:181]
	v_mov_b32_e32 v200, v180
	v_mov_b32_e32 v202, v182
	v_cndmask_b32_e64 v201, v181, v201, s[0:1]
	v_cndmask_b32_e32 v203, v183, v203, vcc
	v_add_f64 v[200:201], v[200:201], v[202:203]
	s_waitcnt lgkmcnt(0)
	v_xor_b32_e32 v203, 0x80000000, v197
	v_xor_b32_e32 v205, 0x80000000, v199
	v_cmp_gt_f64_e32 vcc, 0, v[198:199]
	v_cmp_gt_f64_e64 s[0:1], 0, v[196:197]
	v_mov_b32_e32 v202, v196
	v_mov_b32_e32 v204, v198
	v_cndmask_b32_e64 v203, v197, v203, s[0:1]
	v_cndmask_b32_e32 v205, v199, v205, vcc
	v_add_f64 v[202:203], v[202:203], v[204:205]
	v_mov_b32_e32 v206, s16
	s_add_i32 s16, s16, 1
	v_cmp_lt_f64_e32 vcc, v[200:201], v[202:203]
	v_add_u32_e32 v191, 16, v191
	s_cmp_lg_u32 s20, s16
	v_cndmask_b32_e32 v181, v181, v197, vcc
	v_cndmask_b32_e32 v180, v180, v196, vcc
	;; [unrolled: 1-line block ×5, first 2 shown]
	s_cbranch_scc1 .LBB88_862
.LBB88_863:
	s_waitcnt lgkmcnt(0)
	v_cmp_eq_f64_e32 vcc, 0, v[180:181]
	v_cmp_eq_f64_e64 s[0:1], 0, v[182:183]
	s_and_b64 s[0:1], vcc, s[0:1]
	s_and_saveexec_b64 s[16:17], s[0:1]
	s_xor_b64 s[0:1], exec, s[16:17]
; %bb.864:
	v_cmp_ne_u32_e32 vcc, 0, v194
	s_nop 1
	v_cndmask_b32_e32 v194, 42, v194, vcc
; %bb.865:
	s_andn2_saveexec_b64 s[0:1], s[0:1]
	s_cbranch_execz .LBB88_871
; %bb.866:
	v_cmp_ngt_f64_e64 s[16:17], |v[180:181]|, |v[182:183]|
	s_and_saveexec_b64 s[18:19], s[16:17]
	s_xor_b64 s[16:17], exec, s[18:19]
	s_cbranch_execz .LBB88_868
; %bb.867:
	v_div_scale_f64 v[196:197], s[18:19], v[182:183], v[182:183], v[180:181]
	v_rcp_f64_e32 v[198:199], v[196:197]
	v_div_scale_f64 v[200:201], vcc, v[180:181], v[182:183], v[180:181]
	v_fma_f64 v[202:203], -v[196:197], v[198:199], 1.0
	v_fmac_f64_e32 v[198:199], v[198:199], v[202:203]
	v_fma_f64 v[202:203], -v[196:197], v[198:199], 1.0
	v_fmac_f64_e32 v[198:199], v[198:199], v[202:203]
	v_mul_f64 v[202:203], v[200:201], v[198:199]
	v_fma_f64 v[196:197], -v[196:197], v[202:203], v[200:201]
	v_div_fmas_f64 v[196:197], v[196:197], v[198:199], v[202:203]
	v_div_fixup_f64 v[196:197], v[196:197], v[182:183], v[180:181]
	v_fmac_f64_e32 v[182:183], v[180:181], v[196:197]
	v_div_scale_f64 v[180:181], s[18:19], v[182:183], v[182:183], 1.0
	v_rcp_f64_e32 v[198:199], v[180:181]
	s_nop 0
	v_fma_f64 v[200:201], -v[180:181], v[198:199], 1.0
	v_fmac_f64_e32 v[198:199], v[198:199], v[200:201]
	v_fma_f64 v[200:201], -v[180:181], v[198:199], 1.0
	v_fmac_f64_e32 v[198:199], v[198:199], v[200:201]
	v_div_scale_f64 v[200:201], vcc, 1.0, v[182:183], 1.0
	v_mul_f64 v[202:203], v[200:201], v[198:199]
	v_fma_f64 v[180:181], -v[180:181], v[202:203], v[200:201]
	s_nop 1
	v_div_fmas_f64 v[180:181], v[180:181], v[198:199], v[202:203]
	v_div_fixup_f64 v[182:183], v[180:181], v[182:183], 1.0
	v_mul_f64 v[180:181], v[196:197], v[182:183]
	v_xor_b32_e32 v183, 0x80000000, v183
.LBB88_868:
	s_andn2_saveexec_b64 s[16:17], s[16:17]
	s_cbranch_execz .LBB88_870
; %bb.869:
	v_div_scale_f64 v[196:197], s[18:19], v[180:181], v[180:181], v[182:183]
	v_rcp_f64_e32 v[198:199], v[196:197]
	v_div_scale_f64 v[200:201], vcc, v[182:183], v[180:181], v[182:183]
	v_fma_f64 v[202:203], -v[196:197], v[198:199], 1.0
	v_fmac_f64_e32 v[198:199], v[198:199], v[202:203]
	v_fma_f64 v[202:203], -v[196:197], v[198:199], 1.0
	v_fmac_f64_e32 v[198:199], v[198:199], v[202:203]
	v_mul_f64 v[202:203], v[200:201], v[198:199]
	v_fma_f64 v[196:197], -v[196:197], v[202:203], v[200:201]
	v_div_fmas_f64 v[196:197], v[196:197], v[198:199], v[202:203]
	v_div_fixup_f64 v[196:197], v[196:197], v[180:181], v[182:183]
	v_fmac_f64_e32 v[180:181], v[182:183], v[196:197]
	v_div_scale_f64 v[182:183], s[18:19], v[180:181], v[180:181], 1.0
	v_rcp_f64_e32 v[198:199], v[182:183]
	s_nop 0
	v_fma_f64 v[200:201], -v[182:183], v[198:199], 1.0
	v_fmac_f64_e32 v[198:199], v[198:199], v[200:201]
	v_fma_f64 v[200:201], -v[182:183], v[198:199], 1.0
	v_fmac_f64_e32 v[198:199], v[198:199], v[200:201]
	v_div_scale_f64 v[200:201], vcc, 1.0, v[180:181], 1.0
	v_mul_f64 v[202:203], v[200:201], v[198:199]
	v_fma_f64 v[182:183], -v[182:183], v[202:203], v[200:201]
	s_nop 1
	v_div_fmas_f64 v[182:183], v[182:183], v[198:199], v[202:203]
	v_div_fixup_f64 v[180:181], v[182:183], v[180:181], 1.0
	v_mul_f64 v[182:183], v[196:197], -v[180:181]
.LBB88_870:
	s_or_b64 exec, exec, s[16:17]
.LBB88_871:
	s_or_b64 exec, exec, s[0:1]
	v_cmp_ne_u32_e32 vcc, v193, v190
	s_and_saveexec_b64 s[0:1], vcc
	s_xor_b64 s[0:1], exec, s[0:1]
	s_cbranch_execz .LBB88_877
; %bb.872:
	v_cmp_eq_u32_e32 vcc, 41, v193
	s_and_saveexec_b64 s[16:17], vcc
	s_cbranch_execz .LBB88_876
; %bb.873:
	v_cmp_ne_u32_e32 vcc, 41, v190
	s_xor_b64 s[18:19], s[14:15], -1
	s_and_b64 s[22:23], s[18:19], vcc
	s_and_saveexec_b64 s[18:19], s[22:23]
	s_cbranch_execz .LBB88_875
; %bb.874:
	v_ashrrev_i32_e32 v191, 31, v190
	v_lshl_add_u64 v[196:197], v[190:191], 2, v[188:189]
	global_load_dword v191, v[196:197], off
	global_load_dword v193, v[188:189], off offset:164
	s_waitcnt vmcnt(1)
	global_store_dword v[188:189], v191, off offset:164
	s_waitcnt vmcnt(1)
	global_store_dword v[196:197], v193, off
.LBB88_875:
	s_or_b64 exec, exec, s[18:19]
	v_mov_b32_e32 v193, v190
	v_mov_b32_e32 v195, v190
.LBB88_876:
	s_or_b64 exec, exec, s[16:17]
.LBB88_877:
	s_andn2_saveexec_b64 s[0:1], s[0:1]
	s_cbranch_execz .LBB88_879
; %bb.878:
	v_mov_b32_e32 v193, 41
	s_waitcnt vmcnt(2)
	ds_write2_b64 v192, v[4:5], v[6:7] offset0:84 offset1:85
	s_waitcnt vmcnt(1)
	ds_write2_b64 v192, v[0:1], v[2:3] offset0:86 offset1:87
	;; [unrolled: 2-line block ×3, first 2 shown]
.LBB88_879:
	s_or_b64 exec, exec, s[0:1]
	v_cmp_lt_i32_e32 vcc, 41, v193
	s_waitcnt lgkmcnt(0)
	s_barrier
	s_and_saveexec_b64 s[0:1], vcc
	s_cbranch_execz .LBB88_881
; %bb.880:
	ds_read2_b64 v[196:199], v192 offset0:84 offset1:85
	v_mul_f64 v[190:191], v[180:181], v[10:11]
	v_fmac_f64_e32 v[190:191], v[182:183], v[8:9]
	v_mul_f64 v[10:11], v[182:183], v[10:11]
	v_fma_f64 v[8:9], v[180:181], v[8:9], -v[10:11]
	ds_read2_b64 v[180:183], v192 offset0:86 offset1:87
	s_waitcnt lgkmcnt(1)
	v_mul_f64 v[10:11], v[198:199], v[190:191]
	v_fma_f64 v[10:11], v[196:197], v[8:9], -v[10:11]
	v_mul_f64 v[196:197], v[196:197], v[190:191]
	v_fmac_f64_e32 v[196:197], v[198:199], v[8:9]
	s_waitcnt vmcnt(2)
	v_add_f64 v[6:7], v[6:7], -v[196:197]
	ds_read2_b64 v[196:199], v192 offset0:88 offset1:89
	v_add_f64 v[4:5], v[4:5], -v[10:11]
	s_waitcnt lgkmcnt(1)
	v_mul_f64 v[10:11], v[182:183], v[190:191]
	v_fma_f64 v[10:11], v[180:181], v[8:9], -v[10:11]
	v_mul_f64 v[180:181], v[180:181], v[190:191]
	v_fmac_f64_e32 v[180:181], v[182:183], v[8:9]
	s_waitcnt vmcnt(1)
	v_add_f64 v[0:1], v[0:1], -v[10:11]
	v_add_f64 v[2:3], v[2:3], -v[180:181]
	s_waitcnt lgkmcnt(0)
	v_mul_f64 v[10:11], v[198:199], v[190:191]
	v_mul_f64 v[180:181], v[196:197], v[190:191]
	v_fma_f64 v[10:11], v[196:197], v[8:9], -v[10:11]
	v_fmac_f64_e32 v[180:181], v[198:199], v[8:9]
	s_waitcnt vmcnt(0)
	v_add_f64 v[176:177], v[176:177], -v[10:11]
	v_add_f64 v[178:179], v[178:179], -v[180:181]
	v_mov_b64_e32 v[10:11], v[190:191]
.LBB88_881:
	s_or_b64 exec, exec, s[0:1]
	v_lshl_add_u32 v180, v193, 4, v192
	s_barrier
	s_waitcnt vmcnt(2)
	ds_write2_b64 v180, v[4:5], v[6:7] offset1:1
	s_waitcnt lgkmcnt(0)
	s_barrier
	ds_read2_b64 v[180:183], v192 offset0:84 offset1:85
	s_cmp_lt_i32 s20, 44
	v_mov_b32_e32 v190, 42
	s_cbranch_scc1 .LBB88_884
; %bb.882:
	v_add_u32_e32 v191, 0x2b0, v192
	s_mov_b32 s16, 43
	v_mov_b32_e32 v190, 42
.LBB88_883:                             ; =>This Inner Loop Header: Depth=1
	ds_read2_b64 v[196:199], v191 offset1:1
	s_waitcnt lgkmcnt(1)
	v_xor_b32_e32 v201, 0x80000000, v181
	v_xor_b32_e32 v203, 0x80000000, v183
	v_cmp_gt_f64_e32 vcc, 0, v[182:183]
	v_cmp_gt_f64_e64 s[0:1], 0, v[180:181]
	v_mov_b32_e32 v200, v180
	v_mov_b32_e32 v202, v182
	v_cndmask_b32_e64 v201, v181, v201, s[0:1]
	v_cndmask_b32_e32 v203, v183, v203, vcc
	v_add_f64 v[200:201], v[200:201], v[202:203]
	s_waitcnt lgkmcnt(0)
	v_xor_b32_e32 v203, 0x80000000, v197
	v_xor_b32_e32 v205, 0x80000000, v199
	v_cmp_gt_f64_e32 vcc, 0, v[198:199]
	v_cmp_gt_f64_e64 s[0:1], 0, v[196:197]
	v_mov_b32_e32 v202, v196
	v_mov_b32_e32 v204, v198
	v_cndmask_b32_e64 v203, v197, v203, s[0:1]
	v_cndmask_b32_e32 v205, v199, v205, vcc
	v_add_f64 v[202:203], v[202:203], v[204:205]
	v_mov_b32_e32 v206, s16
	s_add_i32 s16, s16, 1
	v_cmp_lt_f64_e32 vcc, v[200:201], v[202:203]
	v_add_u32_e32 v191, 16, v191
	s_cmp_lg_u32 s20, s16
	v_cndmask_b32_e32 v181, v181, v197, vcc
	v_cndmask_b32_e32 v180, v180, v196, vcc
	;; [unrolled: 1-line block ×5, first 2 shown]
	s_cbranch_scc1 .LBB88_883
.LBB88_884:
	s_waitcnt lgkmcnt(0)
	v_cmp_eq_f64_e32 vcc, 0, v[180:181]
	v_cmp_eq_f64_e64 s[0:1], 0, v[182:183]
	s_and_b64 s[0:1], vcc, s[0:1]
	s_and_saveexec_b64 s[16:17], s[0:1]
	s_xor_b64 s[0:1], exec, s[16:17]
; %bb.885:
	v_cmp_ne_u32_e32 vcc, 0, v194
	s_nop 1
	v_cndmask_b32_e32 v194, 43, v194, vcc
; %bb.886:
	s_andn2_saveexec_b64 s[0:1], s[0:1]
	s_cbranch_execz .LBB88_892
; %bb.887:
	v_cmp_ngt_f64_e64 s[16:17], |v[180:181]|, |v[182:183]|
	s_and_saveexec_b64 s[18:19], s[16:17]
	s_xor_b64 s[16:17], exec, s[18:19]
	s_cbranch_execz .LBB88_889
; %bb.888:
	v_div_scale_f64 v[196:197], s[18:19], v[182:183], v[182:183], v[180:181]
	v_rcp_f64_e32 v[198:199], v[196:197]
	v_div_scale_f64 v[200:201], vcc, v[180:181], v[182:183], v[180:181]
	v_fma_f64 v[202:203], -v[196:197], v[198:199], 1.0
	v_fmac_f64_e32 v[198:199], v[198:199], v[202:203]
	v_fma_f64 v[202:203], -v[196:197], v[198:199], 1.0
	v_fmac_f64_e32 v[198:199], v[198:199], v[202:203]
	v_mul_f64 v[202:203], v[200:201], v[198:199]
	v_fma_f64 v[196:197], -v[196:197], v[202:203], v[200:201]
	v_div_fmas_f64 v[196:197], v[196:197], v[198:199], v[202:203]
	v_div_fixup_f64 v[196:197], v[196:197], v[182:183], v[180:181]
	v_fmac_f64_e32 v[182:183], v[180:181], v[196:197]
	v_div_scale_f64 v[180:181], s[18:19], v[182:183], v[182:183], 1.0
	v_rcp_f64_e32 v[198:199], v[180:181]
	s_nop 0
	v_fma_f64 v[200:201], -v[180:181], v[198:199], 1.0
	v_fmac_f64_e32 v[198:199], v[198:199], v[200:201]
	v_fma_f64 v[200:201], -v[180:181], v[198:199], 1.0
	v_fmac_f64_e32 v[198:199], v[198:199], v[200:201]
	v_div_scale_f64 v[200:201], vcc, 1.0, v[182:183], 1.0
	v_mul_f64 v[202:203], v[200:201], v[198:199]
	v_fma_f64 v[180:181], -v[180:181], v[202:203], v[200:201]
	s_nop 1
	v_div_fmas_f64 v[180:181], v[180:181], v[198:199], v[202:203]
	v_div_fixup_f64 v[182:183], v[180:181], v[182:183], 1.0
	v_mul_f64 v[180:181], v[196:197], v[182:183]
	v_xor_b32_e32 v183, 0x80000000, v183
.LBB88_889:
	s_andn2_saveexec_b64 s[16:17], s[16:17]
	s_cbranch_execz .LBB88_891
; %bb.890:
	v_div_scale_f64 v[196:197], s[18:19], v[180:181], v[180:181], v[182:183]
	v_rcp_f64_e32 v[198:199], v[196:197]
	v_div_scale_f64 v[200:201], vcc, v[182:183], v[180:181], v[182:183]
	v_fma_f64 v[202:203], -v[196:197], v[198:199], 1.0
	v_fmac_f64_e32 v[198:199], v[198:199], v[202:203]
	v_fma_f64 v[202:203], -v[196:197], v[198:199], 1.0
	v_fmac_f64_e32 v[198:199], v[198:199], v[202:203]
	v_mul_f64 v[202:203], v[200:201], v[198:199]
	v_fma_f64 v[196:197], -v[196:197], v[202:203], v[200:201]
	v_div_fmas_f64 v[196:197], v[196:197], v[198:199], v[202:203]
	v_div_fixup_f64 v[196:197], v[196:197], v[180:181], v[182:183]
	v_fmac_f64_e32 v[180:181], v[182:183], v[196:197]
	v_div_scale_f64 v[182:183], s[18:19], v[180:181], v[180:181], 1.0
	v_rcp_f64_e32 v[198:199], v[182:183]
	s_nop 0
	v_fma_f64 v[200:201], -v[182:183], v[198:199], 1.0
	v_fmac_f64_e32 v[198:199], v[198:199], v[200:201]
	v_fma_f64 v[200:201], -v[182:183], v[198:199], 1.0
	v_fmac_f64_e32 v[198:199], v[198:199], v[200:201]
	v_div_scale_f64 v[200:201], vcc, 1.0, v[180:181], 1.0
	v_mul_f64 v[202:203], v[200:201], v[198:199]
	v_fma_f64 v[182:183], -v[182:183], v[202:203], v[200:201]
	s_nop 1
	v_div_fmas_f64 v[182:183], v[182:183], v[198:199], v[202:203]
	v_div_fixup_f64 v[180:181], v[182:183], v[180:181], 1.0
	v_mul_f64 v[182:183], v[196:197], -v[180:181]
.LBB88_891:
	s_or_b64 exec, exec, s[16:17]
.LBB88_892:
	s_or_b64 exec, exec, s[0:1]
	v_cmp_ne_u32_e32 vcc, v193, v190
	s_and_saveexec_b64 s[0:1], vcc
	s_xor_b64 s[0:1], exec, s[0:1]
	s_cbranch_execz .LBB88_898
; %bb.893:
	v_cmp_eq_u32_e32 vcc, 42, v193
	s_and_saveexec_b64 s[16:17], vcc
	s_cbranch_execz .LBB88_897
; %bb.894:
	v_cmp_ne_u32_e32 vcc, 42, v190
	s_xor_b64 s[18:19], s[14:15], -1
	s_and_b64 s[22:23], s[18:19], vcc
	s_and_saveexec_b64 s[18:19], s[22:23]
	s_cbranch_execz .LBB88_896
; %bb.895:
	v_ashrrev_i32_e32 v191, 31, v190
	v_lshl_add_u64 v[196:197], v[190:191], 2, v[188:189]
	global_load_dword v191, v[196:197], off
	global_load_dword v193, v[188:189], off offset:168
	s_waitcnt vmcnt(1)
	global_store_dword v[188:189], v191, off offset:168
	s_waitcnt vmcnt(1)
	global_store_dword v[196:197], v193, off
.LBB88_896:
	s_or_b64 exec, exec, s[18:19]
	v_mov_b32_e32 v193, v190
	v_mov_b32_e32 v195, v190
.LBB88_897:
	s_or_b64 exec, exec, s[16:17]
.LBB88_898:
	s_andn2_saveexec_b64 s[0:1], s[0:1]
	s_cbranch_execz .LBB88_900
; %bb.899:
	v_mov_b32_e32 v193, 42
	s_waitcnt vmcnt(1)
	ds_write2_b64 v192, v[0:1], v[2:3] offset0:86 offset1:87
	s_waitcnt vmcnt(0)
	ds_write2_b64 v192, v[176:177], v[178:179] offset0:88 offset1:89
.LBB88_900:
	s_or_b64 exec, exec, s[0:1]
	v_cmp_lt_i32_e32 vcc, 42, v193
	s_waitcnt lgkmcnt(0)
	s_barrier
	s_and_saveexec_b64 s[0:1], vcc
	s_cbranch_execz .LBB88_902
; %bb.901:
	ds_read2_b64 v[196:199], v192 offset0:86 offset1:87
	v_mul_f64 v[190:191], v[180:181], v[6:7]
	v_mul_f64 v[6:7], v[182:183], v[6:7]
	v_fmac_f64_e32 v[190:191], v[182:183], v[4:5]
	v_fma_f64 v[4:5], v[180:181], v[4:5], -v[6:7]
	ds_read2_b64 v[180:183], v192 offset0:88 offset1:89
	s_waitcnt lgkmcnt(1)
	v_mul_f64 v[6:7], v[198:199], v[190:191]
	v_fma_f64 v[6:7], v[196:197], v[4:5], -v[6:7]
	s_waitcnt vmcnt(1)
	v_add_f64 v[0:1], v[0:1], -v[6:7]
	v_mul_f64 v[196:197], v[196:197], v[190:191]
	s_waitcnt lgkmcnt(0)
	v_mul_f64 v[6:7], v[182:183], v[190:191]
	v_fma_f64 v[6:7], v[180:181], v[4:5], -v[6:7]
	v_mul_f64 v[180:181], v[180:181], v[190:191]
	v_fmac_f64_e32 v[196:197], v[198:199], v[4:5]
	v_fmac_f64_e32 v[180:181], v[182:183], v[4:5]
	v_add_f64 v[2:3], v[2:3], -v[196:197]
	s_waitcnt vmcnt(0)
	v_add_f64 v[176:177], v[176:177], -v[6:7]
	v_add_f64 v[178:179], v[178:179], -v[180:181]
	v_mov_b64_e32 v[6:7], v[190:191]
.LBB88_902:
	s_or_b64 exec, exec, s[0:1]
	v_lshl_add_u32 v180, v193, 4, v192
	s_barrier
	s_waitcnt vmcnt(1)
	ds_write2_b64 v180, v[0:1], v[2:3] offset1:1
	s_waitcnt lgkmcnt(0)
	s_barrier
	ds_read2_b64 v[180:183], v192 offset0:86 offset1:87
	s_cmp_lt_i32 s20, 45
	v_mov_b32_e32 v190, 43
	s_cbranch_scc1 .LBB88_905
; %bb.903:
	v_add_u32_e32 v191, 0x2c0, v192
	s_mov_b32 s16, 44
	v_mov_b32_e32 v190, 43
.LBB88_904:                             ; =>This Inner Loop Header: Depth=1
	ds_read2_b64 v[196:199], v191 offset1:1
	s_waitcnt lgkmcnt(1)
	v_xor_b32_e32 v201, 0x80000000, v181
	v_xor_b32_e32 v203, 0x80000000, v183
	v_cmp_gt_f64_e32 vcc, 0, v[182:183]
	v_cmp_gt_f64_e64 s[0:1], 0, v[180:181]
	v_mov_b32_e32 v200, v180
	v_mov_b32_e32 v202, v182
	v_cndmask_b32_e64 v201, v181, v201, s[0:1]
	v_cndmask_b32_e32 v203, v183, v203, vcc
	v_add_f64 v[200:201], v[200:201], v[202:203]
	s_waitcnt lgkmcnt(0)
	v_xor_b32_e32 v203, 0x80000000, v197
	v_xor_b32_e32 v205, 0x80000000, v199
	v_cmp_gt_f64_e32 vcc, 0, v[198:199]
	v_cmp_gt_f64_e64 s[0:1], 0, v[196:197]
	v_mov_b32_e32 v202, v196
	v_mov_b32_e32 v204, v198
	v_cndmask_b32_e64 v203, v197, v203, s[0:1]
	v_cndmask_b32_e32 v205, v199, v205, vcc
	v_add_f64 v[202:203], v[202:203], v[204:205]
	v_mov_b32_e32 v206, s16
	s_add_i32 s16, s16, 1
	v_cmp_lt_f64_e32 vcc, v[200:201], v[202:203]
	v_add_u32_e32 v191, 16, v191
	s_cmp_lg_u32 s20, s16
	v_cndmask_b32_e32 v181, v181, v197, vcc
	v_cndmask_b32_e32 v180, v180, v196, vcc
	;; [unrolled: 1-line block ×5, first 2 shown]
	s_cbranch_scc1 .LBB88_904
.LBB88_905:
	s_waitcnt lgkmcnt(0)
	v_cmp_eq_f64_e32 vcc, 0, v[180:181]
	v_cmp_eq_f64_e64 s[0:1], 0, v[182:183]
	s_and_b64 s[0:1], vcc, s[0:1]
	s_and_saveexec_b64 s[16:17], s[0:1]
	s_xor_b64 s[0:1], exec, s[16:17]
; %bb.906:
	v_cmp_ne_u32_e32 vcc, 0, v194
	s_nop 1
	v_cndmask_b32_e32 v194, 44, v194, vcc
; %bb.907:
	s_andn2_saveexec_b64 s[0:1], s[0:1]
	s_cbranch_execz .LBB88_913
; %bb.908:
	v_cmp_ngt_f64_e64 s[16:17], |v[180:181]|, |v[182:183]|
	s_and_saveexec_b64 s[18:19], s[16:17]
	s_xor_b64 s[16:17], exec, s[18:19]
	s_cbranch_execz .LBB88_910
; %bb.909:
	v_div_scale_f64 v[196:197], s[18:19], v[182:183], v[182:183], v[180:181]
	v_rcp_f64_e32 v[198:199], v[196:197]
	v_div_scale_f64 v[200:201], vcc, v[180:181], v[182:183], v[180:181]
	v_fma_f64 v[202:203], -v[196:197], v[198:199], 1.0
	v_fmac_f64_e32 v[198:199], v[198:199], v[202:203]
	v_fma_f64 v[202:203], -v[196:197], v[198:199], 1.0
	v_fmac_f64_e32 v[198:199], v[198:199], v[202:203]
	v_mul_f64 v[202:203], v[200:201], v[198:199]
	v_fma_f64 v[196:197], -v[196:197], v[202:203], v[200:201]
	v_div_fmas_f64 v[196:197], v[196:197], v[198:199], v[202:203]
	v_div_fixup_f64 v[196:197], v[196:197], v[182:183], v[180:181]
	v_fmac_f64_e32 v[182:183], v[180:181], v[196:197]
	v_div_scale_f64 v[180:181], s[18:19], v[182:183], v[182:183], 1.0
	v_rcp_f64_e32 v[198:199], v[180:181]
	s_nop 0
	v_fma_f64 v[200:201], -v[180:181], v[198:199], 1.0
	v_fmac_f64_e32 v[198:199], v[198:199], v[200:201]
	v_fma_f64 v[200:201], -v[180:181], v[198:199], 1.0
	v_fmac_f64_e32 v[198:199], v[198:199], v[200:201]
	v_div_scale_f64 v[200:201], vcc, 1.0, v[182:183], 1.0
	v_mul_f64 v[202:203], v[200:201], v[198:199]
	v_fma_f64 v[180:181], -v[180:181], v[202:203], v[200:201]
	s_nop 1
	v_div_fmas_f64 v[180:181], v[180:181], v[198:199], v[202:203]
	v_div_fixup_f64 v[182:183], v[180:181], v[182:183], 1.0
	v_mul_f64 v[180:181], v[196:197], v[182:183]
	v_xor_b32_e32 v183, 0x80000000, v183
.LBB88_910:
	s_andn2_saveexec_b64 s[16:17], s[16:17]
	s_cbranch_execz .LBB88_912
; %bb.911:
	v_div_scale_f64 v[196:197], s[18:19], v[180:181], v[180:181], v[182:183]
	v_rcp_f64_e32 v[198:199], v[196:197]
	v_div_scale_f64 v[200:201], vcc, v[182:183], v[180:181], v[182:183]
	v_fma_f64 v[202:203], -v[196:197], v[198:199], 1.0
	v_fmac_f64_e32 v[198:199], v[198:199], v[202:203]
	v_fma_f64 v[202:203], -v[196:197], v[198:199], 1.0
	v_fmac_f64_e32 v[198:199], v[198:199], v[202:203]
	v_mul_f64 v[202:203], v[200:201], v[198:199]
	v_fma_f64 v[196:197], -v[196:197], v[202:203], v[200:201]
	v_div_fmas_f64 v[196:197], v[196:197], v[198:199], v[202:203]
	v_div_fixup_f64 v[196:197], v[196:197], v[180:181], v[182:183]
	v_fmac_f64_e32 v[180:181], v[182:183], v[196:197]
	v_div_scale_f64 v[182:183], s[18:19], v[180:181], v[180:181], 1.0
	v_rcp_f64_e32 v[198:199], v[182:183]
	s_nop 0
	v_fma_f64 v[200:201], -v[182:183], v[198:199], 1.0
	v_fmac_f64_e32 v[198:199], v[198:199], v[200:201]
	v_fma_f64 v[200:201], -v[182:183], v[198:199], 1.0
	v_fmac_f64_e32 v[198:199], v[198:199], v[200:201]
	v_div_scale_f64 v[200:201], vcc, 1.0, v[180:181], 1.0
	v_mul_f64 v[202:203], v[200:201], v[198:199]
	v_fma_f64 v[182:183], -v[182:183], v[202:203], v[200:201]
	s_nop 1
	v_div_fmas_f64 v[182:183], v[182:183], v[198:199], v[202:203]
	v_div_fixup_f64 v[180:181], v[182:183], v[180:181], 1.0
	v_mul_f64 v[182:183], v[196:197], -v[180:181]
.LBB88_912:
	s_or_b64 exec, exec, s[16:17]
.LBB88_913:
	s_or_b64 exec, exec, s[0:1]
	v_cmp_ne_u32_e32 vcc, v193, v190
	s_and_saveexec_b64 s[0:1], vcc
	s_xor_b64 s[0:1], exec, s[0:1]
	s_cbranch_execz .LBB88_919
; %bb.914:
	v_cmp_eq_u32_e32 vcc, 43, v193
	s_and_saveexec_b64 s[16:17], vcc
	s_cbranch_execz .LBB88_918
; %bb.915:
	v_cmp_ne_u32_e32 vcc, 43, v190
	s_xor_b64 s[18:19], s[14:15], -1
	s_and_b64 s[22:23], s[18:19], vcc
	s_and_saveexec_b64 s[18:19], s[22:23]
	s_cbranch_execz .LBB88_917
; %bb.916:
	v_ashrrev_i32_e32 v191, 31, v190
	v_lshl_add_u64 v[196:197], v[190:191], 2, v[188:189]
	global_load_dword v191, v[196:197], off
	global_load_dword v193, v[188:189], off offset:172
	s_waitcnt vmcnt(1)
	global_store_dword v[188:189], v191, off offset:172
	s_waitcnt vmcnt(1)
	global_store_dword v[196:197], v193, off
.LBB88_917:
	s_or_b64 exec, exec, s[18:19]
	v_mov_b32_e32 v193, v190
	v_mov_b32_e32 v195, v190
.LBB88_918:
	s_or_b64 exec, exec, s[16:17]
.LBB88_919:
	s_andn2_saveexec_b64 s[0:1], s[0:1]
	s_cbranch_execz .LBB88_921
; %bb.920:
	v_mov_b32_e32 v193, 43
	s_waitcnt vmcnt(0)
	ds_write2_b64 v192, v[176:177], v[178:179] offset0:88 offset1:89
.LBB88_921:
	s_or_b64 exec, exec, s[0:1]
	v_cmp_lt_i32_e32 vcc, 43, v193
	s_waitcnt lgkmcnt(0)
	s_barrier
	s_and_saveexec_b64 s[0:1], vcc
	s_cbranch_execz .LBB88_923
; %bb.922:
	ds_read2_b64 v[196:199], v192 offset0:88 offset1:89
	v_mul_f64 v[190:191], v[180:181], v[2:3]
	v_mul_f64 v[2:3], v[182:183], v[2:3]
	v_fmac_f64_e32 v[190:191], v[182:183], v[0:1]
	v_fma_f64 v[0:1], v[180:181], v[0:1], -v[2:3]
	s_waitcnt lgkmcnt(0)
	v_mul_f64 v[2:3], v[198:199], v[190:191]
	v_mul_f64 v[180:181], v[196:197], v[190:191]
	v_fma_f64 v[2:3], v[196:197], v[0:1], -v[2:3]
	v_fmac_f64_e32 v[180:181], v[198:199], v[0:1]
	s_waitcnt vmcnt(0)
	v_add_f64 v[176:177], v[176:177], -v[2:3]
	v_add_f64 v[178:179], v[178:179], -v[180:181]
	v_mov_b64_e32 v[2:3], v[190:191]
.LBB88_923:
	s_or_b64 exec, exec, s[0:1]
	v_lshl_add_u32 v180, v193, 4, v192
	s_barrier
	s_waitcnt vmcnt(0)
	ds_write2_b64 v180, v[176:177], v[178:179] offset1:1
	s_waitcnt lgkmcnt(0)
	s_barrier
	ds_read2_b64 v[180:183], v192 offset0:88 offset1:89
	s_cmp_lt_i32 s20, 46
	v_mov_b32_e32 v190, 44
	s_cbranch_scc1 .LBB88_926
; %bb.924:
	v_add_u32_e32 v191, 0x2d0, v192
	s_mov_b32 s16, 45
	v_mov_b32_e32 v190, 44
.LBB88_925:                             ; =>This Inner Loop Header: Depth=1
	ds_read2_b64 v[196:199], v191 offset1:1
	s_waitcnt lgkmcnt(1)
	v_xor_b32_e32 v192, 0x80000000, v181
	v_xor_b32_e32 v203, 0x80000000, v183
	v_cmp_gt_f64_e32 vcc, 0, v[182:183]
	v_cmp_gt_f64_e64 s[0:1], 0, v[180:181]
	v_mov_b32_e32 v200, v180
	v_mov_b32_e32 v202, v182
	v_cndmask_b32_e64 v201, v181, v192, s[0:1]
	v_cndmask_b32_e32 v203, v183, v203, vcc
	s_waitcnt lgkmcnt(0)
	v_xor_b32_e32 v192, 0x80000000, v197
	v_xor_b32_e32 v205, 0x80000000, v199
	v_cmp_gt_f64_e32 vcc, 0, v[198:199]
	v_cmp_gt_f64_e64 s[0:1], 0, v[196:197]
	v_add_f64 v[200:201], v[200:201], v[202:203]
	v_mov_b32_e32 v202, v196
	v_mov_b32_e32 v204, v198
	v_cndmask_b32_e64 v203, v197, v192, s[0:1]
	v_cndmask_b32_e32 v205, v199, v205, vcc
	v_add_f64 v[202:203], v[202:203], v[204:205]
	v_mov_b32_e32 v206, s16
	s_add_i32 s16, s16, 1
	v_cmp_lt_f64_e32 vcc, v[200:201], v[202:203]
	v_add_u32_e32 v191, 16, v191
	s_cmp_lg_u32 s20, s16
	v_cndmask_b32_e32 v181, v181, v197, vcc
	v_cndmask_b32_e32 v180, v180, v196, vcc
	v_cndmask_b32_e32 v183, v183, v199, vcc
	v_cndmask_b32_e32 v182, v182, v198, vcc
	v_cndmask_b32_e32 v190, v190, v206, vcc
	s_cbranch_scc1 .LBB88_925
.LBB88_926:
	s_waitcnt lgkmcnt(0)
	v_cmp_eq_f64_e32 vcc, 0, v[180:181]
	v_cmp_eq_f64_e64 s[0:1], 0, v[182:183]
	s_and_b64 s[0:1], vcc, s[0:1]
	s_and_saveexec_b64 s[16:17], s[0:1]
	s_xor_b64 s[0:1], exec, s[16:17]
; %bb.927:
	v_cmp_ne_u32_e32 vcc, 0, v194
	s_nop 1
	v_cndmask_b32_e32 v194, 45, v194, vcc
; %bb.928:
	s_andn2_saveexec_b64 s[0:1], s[0:1]
	s_cbranch_execz .LBB88_934
; %bb.929:
	v_cmp_ngt_f64_e64 s[16:17], |v[180:181]|, |v[182:183]|
	s_and_saveexec_b64 s[18:19], s[16:17]
	s_xor_b64 s[16:17], exec, s[18:19]
	s_cbranch_execz .LBB88_931
; %bb.930:
	v_div_scale_f64 v[196:197], s[18:19], v[182:183], v[182:183], v[180:181]
	v_rcp_f64_e32 v[198:199], v[196:197]
	v_div_scale_f64 v[200:201], vcc, v[180:181], v[182:183], v[180:181]
	v_fma_f64 v[202:203], -v[196:197], v[198:199], 1.0
	v_fmac_f64_e32 v[198:199], v[198:199], v[202:203]
	v_fma_f64 v[202:203], -v[196:197], v[198:199], 1.0
	v_fmac_f64_e32 v[198:199], v[198:199], v[202:203]
	v_mul_f64 v[202:203], v[200:201], v[198:199]
	v_fma_f64 v[196:197], -v[196:197], v[202:203], v[200:201]
	v_div_fmas_f64 v[196:197], v[196:197], v[198:199], v[202:203]
	v_div_fixup_f64 v[196:197], v[196:197], v[182:183], v[180:181]
	v_fmac_f64_e32 v[182:183], v[180:181], v[196:197]
	v_div_scale_f64 v[180:181], s[18:19], v[182:183], v[182:183], 1.0
	v_rcp_f64_e32 v[198:199], v[180:181]
	s_nop 0
	v_fma_f64 v[200:201], -v[180:181], v[198:199], 1.0
	v_fmac_f64_e32 v[198:199], v[198:199], v[200:201]
	v_fma_f64 v[200:201], -v[180:181], v[198:199], 1.0
	v_fmac_f64_e32 v[198:199], v[198:199], v[200:201]
	v_div_scale_f64 v[200:201], vcc, 1.0, v[182:183], 1.0
	v_mul_f64 v[202:203], v[200:201], v[198:199]
	v_fma_f64 v[180:181], -v[180:181], v[202:203], v[200:201]
	s_nop 1
	v_div_fmas_f64 v[180:181], v[180:181], v[198:199], v[202:203]
	v_div_fixup_f64 v[182:183], v[180:181], v[182:183], 1.0
	v_mul_f64 v[180:181], v[196:197], v[182:183]
	v_xor_b32_e32 v183, 0x80000000, v183
.LBB88_931:
	s_andn2_saveexec_b64 s[16:17], s[16:17]
	s_cbranch_execz .LBB88_933
; %bb.932:
	v_div_scale_f64 v[196:197], s[18:19], v[180:181], v[180:181], v[182:183]
	v_rcp_f64_e32 v[198:199], v[196:197]
	v_div_scale_f64 v[200:201], vcc, v[182:183], v[180:181], v[182:183]
	v_fma_f64 v[202:203], -v[196:197], v[198:199], 1.0
	v_fmac_f64_e32 v[198:199], v[198:199], v[202:203]
	v_fma_f64 v[202:203], -v[196:197], v[198:199], 1.0
	v_fmac_f64_e32 v[198:199], v[198:199], v[202:203]
	v_mul_f64 v[202:203], v[200:201], v[198:199]
	v_fma_f64 v[196:197], -v[196:197], v[202:203], v[200:201]
	v_div_fmas_f64 v[196:197], v[196:197], v[198:199], v[202:203]
	v_div_fixup_f64 v[196:197], v[196:197], v[180:181], v[182:183]
	v_fmac_f64_e32 v[180:181], v[182:183], v[196:197]
	v_div_scale_f64 v[182:183], s[18:19], v[180:181], v[180:181], 1.0
	v_rcp_f64_e32 v[198:199], v[182:183]
	s_nop 0
	v_fma_f64 v[200:201], -v[182:183], v[198:199], 1.0
	v_fmac_f64_e32 v[198:199], v[198:199], v[200:201]
	v_fma_f64 v[200:201], -v[182:183], v[198:199], 1.0
	v_fmac_f64_e32 v[198:199], v[198:199], v[200:201]
	v_div_scale_f64 v[200:201], vcc, 1.0, v[180:181], 1.0
	v_mul_f64 v[202:203], v[200:201], v[198:199]
	v_fma_f64 v[182:183], -v[182:183], v[202:203], v[200:201]
	s_nop 1
	v_div_fmas_f64 v[182:183], v[182:183], v[198:199], v[202:203]
	v_div_fixup_f64 v[180:181], v[182:183], v[180:181], 1.0
	v_mul_f64 v[182:183], v[196:197], -v[180:181]
.LBB88_933:
	s_or_b64 exec, exec, s[16:17]
.LBB88_934:
	s_or_b64 exec, exec, s[0:1]
	v_cmp_ne_u32_e32 vcc, v193, v190
	v_mov_b32_e32 v192, 44
	s_and_saveexec_b64 s[0:1], vcc
	s_cbranch_execz .LBB88_940
; %bb.935:
	v_cmp_eq_u32_e32 vcc, 44, v193
	s_and_saveexec_b64 s[16:17], vcc
	s_cbranch_execz .LBB88_939
; %bb.936:
	v_cmp_ne_u32_e32 vcc, 44, v190
	s_xor_b64 s[14:15], s[14:15], -1
	s_and_b64 s[18:19], s[14:15], vcc
	s_and_saveexec_b64 s[14:15], s[18:19]
	s_cbranch_execz .LBB88_938
; %bb.937:
	v_ashrrev_i32_e32 v191, 31, v190
	v_lshl_add_u64 v[192:193], v[190:191], 2, v[188:189]
	global_load_dword v191, v[192:193], off
	global_load_dword v195, v[188:189], off offset:176
	s_waitcnt vmcnt(1)
	global_store_dword v[188:189], v191, off offset:176
	s_waitcnt vmcnt(1)
	global_store_dword v[192:193], v195, off
.LBB88_938:
	s_or_b64 exec, exec, s[14:15]
	v_mov_b32_e32 v193, v190
	v_mov_b32_e32 v195, v190
.LBB88_939:
	s_or_b64 exec, exec, s[16:17]
	v_mov_b32_e32 v192, v193
.LBB88_940:
	s_or_b64 exec, exec, s[0:1]
	v_cmp_gt_i32_e32 vcc, 45, v192
	v_ashrrev_i32_e32 v193, 31, v192
	s_barrier
	s_barrier
	s_and_saveexec_b64 s[0:1], vcc
	s_cbranch_execz .LBB88_942
; %bb.941:
	v_mov_b32_e32 v188, s6
	v_mov_b32_e32 v189, s7
	v_mul_lo_u32 v196, s11, v186
	v_mul_lo_u32 v197, s10, v187
	v_mad_u64_u32 v[190:191], s[6:7], s10, v186, 0
	v_add3_u32 v191, v191, v197, v196
	v_lshl_add_u64 v[188:189], v[190:191], 2, v[188:189]
	v_lshl_add_u64 v[188:189], s[8:9], 2, v[188:189]
	;; [unrolled: 1-line block ×3, first 2 shown]
	v_add3_u32 v190, v195, s13, 1
	global_store_dword v[188:189], v190, off
.LBB88_942:
	s_or_b64 exec, exec, s[0:1]
	v_cmp_eq_u32_e32 vcc, 0, v192
	s_and_saveexec_b64 s[6:7], vcc
	s_cbranch_execz .LBB88_945
; %bb.943:
	v_mov_b32_e32 v188, s4
	v_mov_b32_e32 v189, s5
	v_lshl_add_u64 v[186:187], v[186:187], 2, v[188:189]
	global_load_dword v188, v[186:187], off
	v_cmp_ne_u32_e64 s[0:1], 0, v194
	s_waitcnt vmcnt(0)
	v_cmp_eq_u32_e32 vcc, 0, v188
	s_and_b64 s[0:1], vcc, s[0:1]
	s_and_b64 exec, exec, s[0:1]
	s_cbranch_execz .LBB88_945
; %bb.944:
	v_add_u32_e32 v188, s13, v194
	global_store_dword v[186:187], v188, off
.LBB88_945:
	s_or_b64 exec, exec, s[6:7]
	v_mul_f64 v[186:187], v[182:183], v[178:179]
	v_fma_f64 v[186:187], v[180:181], v[176:177], -v[186:187]
	v_mul_f64 v[180:181], v[180:181], v[178:179]
	v_fmac_f64_e32 v[180:181], v[182:183], v[176:177]
	v_cmp_lt_i32_e32 vcc, 44, v192
	s_nop 1
	v_cndmask_b32_e32 v179, v179, v181, vcc
	v_cndmask_b32_e32 v178, v178, v180, vcc
	v_lshl_add_u64 v[180:181], v[192:193], 4, v[184:185]
	global_store_dwordx4 v[180:181], v[120:123], off
	v_cndmask_b32_e32 v177, v177, v187, vcc
	v_cndmask_b32_e32 v176, v176, v186, vcc
	v_lshl_add_u64 v[120:121], s[2:3], 4, v[180:181]
	global_store_dwordx4 v[120:121], v[112:115], off
	s_nop 1
	v_add_u32_e32 v112, s12, v192
	v_ashrrev_i32_e32 v113, 31, v112
	v_lshl_add_u64 v[114:115], v[112:113], 4, v[184:185]
	v_add_u32_e32 v112, s2, v112
	v_ashrrev_i32_e32 v113, 31, v112
	global_store_dwordx4 v[114:115], v[172:175], off
	v_lshl_add_u64 v[114:115], v[112:113], 4, v[184:185]
	v_add_u32_e32 v112, s2, v112
	v_ashrrev_i32_e32 v113, 31, v112
	global_store_dwordx4 v[114:115], v[168:171], off
	;; [unrolled: 4-line block ×14, first 2 shown]
	v_lshl_add_u64 v[114:115], v[112:113], 4, v[184:185]
	global_store_dwordx4 v[114:115], v[108:111], off
	s_nop 1
	v_add_u32_e32 v108, s2, v112
	v_ashrrev_i32_e32 v109, 31, v108
	v_lshl_add_u64 v[110:111], v[108:109], 4, v[184:185]
	global_store_dwordx4 v[110:111], v[104:107], off
	s_nop 1
	v_add_u32_e32 v104, s2, v108
	v_ashrrev_i32_e32 v105, 31, v104
	;; [unrolled: 5-line block ×28, first 2 shown]
	v_lshl_add_u64 v[0:1], v[0:1], 4, v[184:185]
	global_store_dwordx4 v[0:1], v[176:179], off
.LBB88_946:
	s_endpgm
	.section	.rodata,"a",@progbits
	.p2align	6, 0x0
	.amdhsa_kernel _ZN9rocsolver6v33100L18getf2_small_kernelILi45E19rocblas_complex_numIdEiiPS3_EEvT1_T3_lS5_lPS5_llPT2_S5_S5_S7_l
		.amdhsa_group_segment_fixed_size 0
		.amdhsa_private_segment_fixed_size 0
		.amdhsa_kernarg_size 352
		.amdhsa_user_sgpr_count 2
		.amdhsa_user_sgpr_dispatch_ptr 0
		.amdhsa_user_sgpr_queue_ptr 0
		.amdhsa_user_sgpr_kernarg_segment_ptr 1
		.amdhsa_user_sgpr_dispatch_id 0
		.amdhsa_user_sgpr_kernarg_preload_length 0
		.amdhsa_user_sgpr_kernarg_preload_offset 0
		.amdhsa_user_sgpr_private_segment_size 0
		.amdhsa_uses_dynamic_stack 0
		.amdhsa_enable_private_segment 0
		.amdhsa_system_sgpr_workgroup_id_x 1
		.amdhsa_system_sgpr_workgroup_id_y 1
		.amdhsa_system_sgpr_workgroup_id_z 0
		.amdhsa_system_sgpr_workgroup_info 0
		.amdhsa_system_vgpr_workitem_id 1
		.amdhsa_next_free_vgpr 218
		.amdhsa_next_free_sgpr 24
		.amdhsa_accum_offset 220
		.amdhsa_reserve_vcc 1
		.amdhsa_float_round_mode_32 0
		.amdhsa_float_round_mode_16_64 0
		.amdhsa_float_denorm_mode_32 3
		.amdhsa_float_denorm_mode_16_64 3
		.amdhsa_dx10_clamp 1
		.amdhsa_ieee_mode 1
		.amdhsa_fp16_overflow 0
		.amdhsa_tg_split 0
		.amdhsa_exception_fp_ieee_invalid_op 0
		.amdhsa_exception_fp_denorm_src 0
		.amdhsa_exception_fp_ieee_div_zero 0
		.amdhsa_exception_fp_ieee_overflow 0
		.amdhsa_exception_fp_ieee_underflow 0
		.amdhsa_exception_fp_ieee_inexact 0
		.amdhsa_exception_int_div_zero 0
	.end_amdhsa_kernel
	.section	.text._ZN9rocsolver6v33100L18getf2_small_kernelILi45E19rocblas_complex_numIdEiiPS3_EEvT1_T3_lS5_lPS5_llPT2_S5_S5_S7_l,"axG",@progbits,_ZN9rocsolver6v33100L18getf2_small_kernelILi45E19rocblas_complex_numIdEiiPS3_EEvT1_T3_lS5_lPS5_llPT2_S5_S5_S7_l,comdat
.Lfunc_end88:
	.size	_ZN9rocsolver6v33100L18getf2_small_kernelILi45E19rocblas_complex_numIdEiiPS3_EEvT1_T3_lS5_lPS5_llPT2_S5_S5_S7_l, .Lfunc_end88-_ZN9rocsolver6v33100L18getf2_small_kernelILi45E19rocblas_complex_numIdEiiPS3_EEvT1_T3_lS5_lPS5_llPT2_S5_S5_S7_l
                                        ; -- End function
	.set _ZN9rocsolver6v33100L18getf2_small_kernelILi45E19rocblas_complex_numIdEiiPS3_EEvT1_T3_lS5_lPS5_llPT2_S5_S5_S7_l.num_vgpr, 218
	.set _ZN9rocsolver6v33100L18getf2_small_kernelILi45E19rocblas_complex_numIdEiiPS3_EEvT1_T3_lS5_lPS5_llPT2_S5_S5_S7_l.num_agpr, 0
	.set _ZN9rocsolver6v33100L18getf2_small_kernelILi45E19rocblas_complex_numIdEiiPS3_EEvT1_T3_lS5_lPS5_llPT2_S5_S5_S7_l.numbered_sgpr, 24
	.set _ZN9rocsolver6v33100L18getf2_small_kernelILi45E19rocblas_complex_numIdEiiPS3_EEvT1_T3_lS5_lPS5_llPT2_S5_S5_S7_l.num_named_barrier, 0
	.set _ZN9rocsolver6v33100L18getf2_small_kernelILi45E19rocblas_complex_numIdEiiPS3_EEvT1_T3_lS5_lPS5_llPT2_S5_S5_S7_l.private_seg_size, 0
	.set _ZN9rocsolver6v33100L18getf2_small_kernelILi45E19rocblas_complex_numIdEiiPS3_EEvT1_T3_lS5_lPS5_llPT2_S5_S5_S7_l.uses_vcc, 1
	.set _ZN9rocsolver6v33100L18getf2_small_kernelILi45E19rocblas_complex_numIdEiiPS3_EEvT1_T3_lS5_lPS5_llPT2_S5_S5_S7_l.uses_flat_scratch, 0
	.set _ZN9rocsolver6v33100L18getf2_small_kernelILi45E19rocblas_complex_numIdEiiPS3_EEvT1_T3_lS5_lPS5_llPT2_S5_S5_S7_l.has_dyn_sized_stack, 0
	.set _ZN9rocsolver6v33100L18getf2_small_kernelILi45E19rocblas_complex_numIdEiiPS3_EEvT1_T3_lS5_lPS5_llPT2_S5_S5_S7_l.has_recursion, 0
	.set _ZN9rocsolver6v33100L18getf2_small_kernelILi45E19rocblas_complex_numIdEiiPS3_EEvT1_T3_lS5_lPS5_llPT2_S5_S5_S7_l.has_indirect_call, 0
	.section	.AMDGPU.csdata,"",@progbits
; Kernel info:
; codeLenInByte = 112844
; TotalNumSgprs: 30
; NumVgprs: 218
; NumAgprs: 0
; TotalNumVgprs: 218
; ScratchSize: 0
; MemoryBound: 0
; FloatMode: 240
; IeeeMode: 1
; LDSByteSize: 0 bytes/workgroup (compile time only)
; SGPRBlocks: 3
; VGPRBlocks: 27
; NumSGPRsForWavesPerEU: 30
; NumVGPRsForWavesPerEU: 218
; AccumOffset: 220
; Occupancy: 2
; WaveLimiterHint : 0
; COMPUTE_PGM_RSRC2:SCRATCH_EN: 0
; COMPUTE_PGM_RSRC2:USER_SGPR: 2
; COMPUTE_PGM_RSRC2:TRAP_HANDLER: 0
; COMPUTE_PGM_RSRC2:TGID_X_EN: 1
; COMPUTE_PGM_RSRC2:TGID_Y_EN: 1
; COMPUTE_PGM_RSRC2:TGID_Z_EN: 0
; COMPUTE_PGM_RSRC2:TIDIG_COMP_CNT: 1
; COMPUTE_PGM_RSRC3_GFX90A:ACCUM_OFFSET: 54
; COMPUTE_PGM_RSRC3_GFX90A:TG_SPLIT: 0
	.section	.text._ZN9rocsolver6v33100L23getf2_npvt_small_kernelILi45E19rocblas_complex_numIdEiiPS3_EEvT1_T3_lS5_lPT2_S5_S5_,"axG",@progbits,_ZN9rocsolver6v33100L23getf2_npvt_small_kernelILi45E19rocblas_complex_numIdEiiPS3_EEvT1_T3_lS5_lPT2_S5_S5_,comdat
	.globl	_ZN9rocsolver6v33100L23getf2_npvt_small_kernelILi45E19rocblas_complex_numIdEiiPS3_EEvT1_T3_lS5_lPT2_S5_S5_ ; -- Begin function _ZN9rocsolver6v33100L23getf2_npvt_small_kernelILi45E19rocblas_complex_numIdEiiPS3_EEvT1_T3_lS5_lPT2_S5_S5_
	.p2align	8
	.type	_ZN9rocsolver6v33100L23getf2_npvt_small_kernelILi45E19rocblas_complex_numIdEiiPS3_EEvT1_T3_lS5_lPT2_S5_S5_,@function
_ZN9rocsolver6v33100L23getf2_npvt_small_kernelILi45E19rocblas_complex_numIdEiiPS3_EEvT1_T3_lS5_lPT2_S5_S5_: ; @_ZN9rocsolver6v33100L23getf2_npvt_small_kernelILi45E19rocblas_complex_numIdEiiPS3_EEvT1_T3_lS5_lPT2_S5_S5_
; %bb.0:
	s_load_dword s2, s[0:1], 0x44
	s_load_dwordx2 s[8:9], s[0:1], 0x30
	v_bfe_u32 v2, v0, 10, 10
	s_waitcnt lgkmcnt(0)
	s_lshr_b32 s2, s2, 16
	s_mul_i32 s3, s3, s2
	v_add_u32_e32 v240, s3, v2
	v_cmp_gt_i32_e32 vcc, s8, v240
	s_and_saveexec_b64 s[4:5], vcc
	s_cbranch_execz .LBB89_408
; %bb.1:
	s_load_dwordx4 s[12:15], s[0:1], 0x8
	s_load_dword s10, s[0:1], 0x18
	s_load_dwordx4 s[4:7], s[0:1], 0x20
	v_ashrrev_i32_e32 v241, 31, v240
	v_and_b32_e32 v210, 0x3ff, v0
	s_waitcnt lgkmcnt(0)
	v_mov_b32_e32 v0, s12
	v_mov_b32_e32 v1, s13
	v_mul_lo_u32 v3, s5, v240
	v_mul_lo_u32 v6, s4, v241
	v_mad_u64_u32 v[4:5], s[0:1], s4, v240, 0
	v_add3_u32 v5, v5, v6, v3
	v_lshl_add_u64 v[0:1], v[4:5], 4, v[0:1]
	v_lshl_add_u64 v[0:1], s[14:15], 4, v[0:1]
	v_lshlrev_b32_e32 v4, 4, v210
	v_mov_b32_e32 v5, 0
	s_add_i32 s0, s10, s10
	v_lshl_add_u64 v[216:217], v[0:1], 0, v[4:5]
	v_add_u32_e32 v4, s0, v210
	v_ashrrev_i32_e32 v5, 31, v4
	v_lshl_add_u64 v[6:7], v[4:5], 4, v[0:1]
	v_add_u32_e32 v4, s10, v4
	v_ashrrev_i32_e32 v5, 31, v4
	;; [unrolled: 3-line block ×42, first 2 shown]
	v_lshl_add_u64 v[122:123], v[4:5], 4, v[0:1]
	v_add_u32_e32 v4, s10, v4
	s_mulk_i32 s2, 0x2d0
	v_ashrrev_i32_e32 v5, 31, v4
	s_movk_i32 s0, 0x2d0
	s_add_i32 s1, s2, 0
	v_lshl_add_u64 v[120:121], v[4:5], 4, v[0:1]
	v_mad_u32_u24 v209, v2, s0, 0
	v_lshl_add_u32 v208, v2, 4, s1
	global_load_dwordx4 v[0:3], v[216:217], off
	s_ashr_i32 s11, s10, 31
	v_lshl_add_u64 v[172:173], s[10:11], 4, v[216:217]
	v_cmp_ne_u32_e64 s[2:3], 0, v210
	v_cmp_eq_u32_e64 s[0:1], 0, v210
	s_waitcnt vmcnt(0)
	scratch_store_dwordx4 off, v[0:3], off offset:192 ; 16-byte Folded Spill
	global_load_dwordx4 v[0:3], v[172:173], off
	s_waitcnt vmcnt(0)
	scratch_store_dwordx4 off, v[0:3], off offset:176 ; 16-byte Folded Spill
	scratch_store_dwordx2 off, v[6:7], off offset:816 ; 8-byte Folded Spill
	global_load_dwordx4 v[0:3], v[6:7], off
	s_waitcnt vmcnt(0)
	scratch_store_dwordx4 off, v[0:3], off offset:160 ; 16-byte Folded Spill
	scratch_store_dwordx2 off, v[8:9], off offset:824 ; 8-byte Folded Spill
	;; [unrolled: 4-line block ×4, first 2 shown]
	global_load_dwordx4 v[0:3], v[12:13], off
	s_waitcnt vmcnt(0)
	scratch_store_dwordx4 off, v[0:3], off offset:112 ; 16-byte Folded Spill
	global_load_dwordx4 v[0:3], v[228:229], off
	s_waitcnt vmcnt(0)
	scratch_store_dwordx4 off, v[0:3], off offset:96 ; 16-byte Folded Spill
	;; [unrolled: 3-line block ×7, first 2 shown]
	global_load_dwordx4 v[0:3], v[238:239], off
	s_waitcnt vmcnt(0)
	scratch_store_dwordx4 off, v[0:3], off  ; 16-byte Folded Spill
	global_load_dwordx4 v[252:255], v[174:175], off
	global_load_dwordx4 v[116:119], v[242:243], off
	;; [unrolled: 1-line block ×32, first 2 shown]
	s_and_saveexec_b64 s[10:11], s[0:1]
	s_cbranch_execz .LBB89_8
; %bb.2:
	scratch_load_dwordx4 v[180:183], off, off offset:192 ; 16-byte Folded Reload
	s_waitcnt vmcnt(0)
	ds_write2_b64 v208, v[180:181], v[182:183] offset1:1
	scratch_load_dwordx4 v[180:183], off, off offset:176 ; 16-byte Folded Reload
	s_waitcnt vmcnt(0)
	ds_write2_b64 v209, v[180:181], v[182:183] offset0:2 offset1:3
	scratch_load_dwordx4 v[180:183], off, off offset:160 ; 16-byte Folded Reload
	s_waitcnt vmcnt(0)
	ds_write2_b64 v209, v[180:181], v[182:183] offset0:4 offset1:5
	;; [unrolled: 3-line block ×11, first 2 shown]
	scratch_load_dwordx4 v[180:183], off, off ; 16-byte Folded Reload
	s_waitcnt vmcnt(0)
	ds_write2_b64 v209, v[180:181], v[182:183] offset0:24 offset1:25
	ds_write2_b64 v209, v[252:253], v[254:255] offset0:26 offset1:27
	;; [unrolled: 1-line block ×33, first 2 shown]
	ds_read2_b64 v[180:183], v208 offset1:1
	s_waitcnt lgkmcnt(0)
	v_cmp_neq_f64_e32 vcc, 0, v[180:181]
	v_cmp_neq_f64_e64 s[4:5], 0, v[182:183]
	s_or_b64 s[4:5], vcc, s[4:5]
	s_and_b64 exec, exec, s[4:5]
	s_cbranch_execz .LBB89_8
; %bb.3:
	v_cmp_ngt_f64_e64 s[4:5], |v[180:181]|, |v[182:183]|
                                        ; implicit-def: $vgpr184_vgpr185
	s_and_saveexec_b64 s[12:13], s[4:5]
	s_xor_b64 s[4:5], exec, s[12:13]
                                        ; implicit-def: $vgpr186_vgpr187
	s_cbranch_execz .LBB89_5
; %bb.4:
	v_div_scale_f64 v[184:185], s[12:13], v[182:183], v[182:183], v[180:181]
	v_rcp_f64_e32 v[186:187], v[184:185]
	v_div_scale_f64 v[188:189], vcc, v[180:181], v[182:183], v[180:181]
	v_fma_f64 v[190:191], -v[184:185], v[186:187], 1.0
	v_fmac_f64_e32 v[186:187], v[186:187], v[190:191]
	v_fma_f64 v[190:191], -v[184:185], v[186:187], 1.0
	v_fmac_f64_e32 v[186:187], v[186:187], v[190:191]
	v_mul_f64 v[190:191], v[188:189], v[186:187]
	v_fma_f64 v[184:185], -v[184:185], v[190:191], v[188:189]
	v_div_fmas_f64 v[184:185], v[184:185], v[186:187], v[190:191]
	v_div_fixup_f64 v[184:185], v[184:185], v[182:183], v[180:181]
	v_fmac_f64_e32 v[182:183], v[180:181], v[184:185]
	v_div_scale_f64 v[180:181], s[12:13], v[182:183], v[182:183], 1.0
	v_rcp_f64_e32 v[186:187], v[180:181]
	s_nop 0
	v_fma_f64 v[188:189], -v[180:181], v[186:187], 1.0
	v_fmac_f64_e32 v[186:187], v[186:187], v[188:189]
	v_fma_f64 v[188:189], -v[180:181], v[186:187], 1.0
	v_fmac_f64_e32 v[186:187], v[186:187], v[188:189]
	v_div_scale_f64 v[188:189], vcc, 1.0, v[182:183], 1.0
	v_mul_f64 v[190:191], v[188:189], v[186:187]
	v_fma_f64 v[180:181], -v[180:181], v[190:191], v[188:189]
	s_nop 1
	v_div_fmas_f64 v[180:181], v[180:181], v[186:187], v[190:191]
	v_div_fixup_f64 v[186:187], v[180:181], v[182:183], 1.0
	v_mul_f64 v[184:185], v[184:185], v[186:187]
	v_xor_b32_e32 v187, 0x80000000, v187
                                        ; implicit-def: $vgpr180_vgpr181
.LBB89_5:
	s_andn2_saveexec_b64 s[4:5], s[4:5]
	s_cbranch_execz .LBB89_7
; %bb.6:
	v_div_scale_f64 v[184:185], s[12:13], v[180:181], v[180:181], v[182:183]
	v_rcp_f64_e32 v[186:187], v[184:185]
	v_div_scale_f64 v[188:189], vcc, v[182:183], v[180:181], v[182:183]
	v_fma_f64 v[190:191], -v[184:185], v[186:187], 1.0
	v_fmac_f64_e32 v[186:187], v[186:187], v[190:191]
	v_fma_f64 v[190:191], -v[184:185], v[186:187], 1.0
	v_fmac_f64_e32 v[186:187], v[186:187], v[190:191]
	v_mul_f64 v[190:191], v[188:189], v[186:187]
	v_fma_f64 v[184:185], -v[184:185], v[190:191], v[188:189]
	v_div_fmas_f64 v[184:185], v[184:185], v[186:187], v[190:191]
	v_div_fixup_f64 v[186:187], v[184:185], v[180:181], v[182:183]
	v_fmac_f64_e32 v[180:181], v[182:183], v[186:187]
	v_div_scale_f64 v[182:183], s[12:13], v[180:181], v[180:181], 1.0
	v_rcp_f64_e32 v[184:185], v[182:183]
	s_nop 0
	v_fma_f64 v[188:189], -v[182:183], v[184:185], 1.0
	v_fmac_f64_e32 v[184:185], v[184:185], v[188:189]
	v_fma_f64 v[188:189], -v[182:183], v[184:185], 1.0
	v_fmac_f64_e32 v[184:185], v[184:185], v[188:189]
	v_div_scale_f64 v[188:189], vcc, 1.0, v[180:181], 1.0
	v_mul_f64 v[190:191], v[188:189], v[184:185]
	v_fma_f64 v[182:183], -v[182:183], v[190:191], v[188:189]
	s_nop 1
	v_div_fmas_f64 v[182:183], v[182:183], v[184:185], v[190:191]
	v_div_fixup_f64 v[184:185], v[182:183], v[180:181], 1.0
	v_mul_f64 v[186:187], v[186:187], -v[184:185]
.LBB89_7:
	s_or_b64 exec, exec, s[4:5]
	ds_write2_b64 v208, v[184:185], v[186:187] offset1:1
.LBB89_8:
	s_or_b64 exec, exec, s[10:11]
	s_waitcnt lgkmcnt(0)
	s_barrier
	ds_read2_b64 v[180:183], v208 offset1:1
	s_waitcnt lgkmcnt(0)
	scratch_store_dwordx4 off, v[180:183], off offset:208 ; 16-byte Folded Spill
	s_and_saveexec_b64 s[4:5], s[2:3]
	s_cbranch_execz .LBB89_10
; %bb.9:
	scratch_load_dwordx4 v[186:189], off, off offset:192 ; 16-byte Folded Reload
	scratch_load_dwordx4 v[182:185], off, off offset:208 ; 16-byte Folded Reload
	v_mov_b64_e32 v[168:169], v[172:173]
	s_waitcnt vmcnt(0)
	v_mul_f64 v[180:181], v[184:185], v[188:189]
	v_mul_f64 v[188:189], v[182:183], v[188:189]
	v_fma_f64 v[180:181], v[182:183], v[186:187], -v[180:181]
	v_fmac_f64_e32 v[188:189], v[184:185], v[186:187]
	ds_read2_b64 v[182:185], v209 offset0:2 offset1:3
	s_waitcnt lgkmcnt(0)
	v_mul_f64 v[172:173], v[184:185], v[188:189]
	v_fma_f64 v[172:173], v[182:183], v[180:181], -v[172:173]
	v_mul_f64 v[182:183], v[182:183], v[188:189]
	v_fmac_f64_e32 v[182:183], v[184:185], v[180:181]
	scratch_load_dwordx4 v[184:187], off, off offset:176 ; 16-byte Folded Reload
	s_waitcnt vmcnt(0)
	v_add_f64 v[184:185], v[184:185], -v[172:173]
	v_add_f64 v[186:187], v[186:187], -v[182:183]
	scratch_store_dwordx4 off, v[184:187], off offset:176 ; 16-byte Folded Spill
	ds_read2_b64 v[182:185], v209 offset0:4 offset1:5
	s_waitcnt lgkmcnt(0)
	v_mul_f64 v[172:173], v[184:185], v[188:189]
	v_fma_f64 v[172:173], v[182:183], v[180:181], -v[172:173]
	v_mul_f64 v[182:183], v[182:183], v[188:189]
	v_fmac_f64_e32 v[182:183], v[184:185], v[180:181]
	scratch_load_dwordx4 v[184:187], off, off offset:160 ; 16-byte Folded Reload
	s_waitcnt vmcnt(0)
	v_add_f64 v[184:185], v[184:185], -v[172:173]
	v_add_f64 v[186:187], v[186:187], -v[182:183]
	scratch_store_dwordx4 off, v[184:187], off offset:160 ; 16-byte Folded Spill
	;; [unrolled: 11-line block ×11, first 2 shown]
	ds_read2_b64 v[182:185], v209 offset0:24 offset1:25
	s_waitcnt lgkmcnt(0)
	v_mul_f64 v[172:173], v[184:185], v[188:189]
	v_fma_f64 v[172:173], v[182:183], v[180:181], -v[172:173]
	v_mul_f64 v[182:183], v[182:183], v[188:189]
	v_fmac_f64_e32 v[182:183], v[184:185], v[180:181]
	scratch_load_dwordx4 v[184:187], off, off ; 16-byte Folded Reload
	s_waitcnt vmcnt(0)
	v_add_f64 v[184:185], v[184:185], -v[172:173]
	v_add_f64 v[186:187], v[186:187], -v[182:183]
	scratch_store_dwordx4 off, v[184:187], off ; 16-byte Folded Spill
	ds_read2_b64 v[182:185], v209 offset0:26 offset1:27
	s_waitcnt lgkmcnt(0)
	v_mul_f64 v[172:173], v[184:185], v[188:189]
	v_fma_f64 v[172:173], v[182:183], v[180:181], -v[172:173]
	v_mul_f64 v[182:183], v[182:183], v[188:189]
	v_fmac_f64_e32 v[182:183], v[184:185], v[180:181]
	v_add_f64 v[254:255], v[254:255], -v[182:183]
	ds_read2_b64 v[182:185], v209 offset0:28 offset1:29
	v_add_f64 v[252:253], v[252:253], -v[172:173]
	v_mov_b64_e32 v[186:187], v[180:181]
	scratch_store_dwordx4 off, v[186:189], off offset:192 ; 16-byte Folded Spill
	s_waitcnt lgkmcnt(0)
	v_mul_f64 v[172:173], v[184:185], v[188:189]
	v_fma_f64 v[172:173], v[182:183], v[180:181], -v[172:173]
	v_mul_f64 v[182:183], v[182:183], v[188:189]
	v_fmac_f64_e32 v[182:183], v[184:185], v[180:181]
	v_add_f64 v[118:119], v[118:119], -v[182:183]
	ds_read2_b64 v[182:185], v209 offset0:30 offset1:31
	v_add_f64 v[116:117], v[116:117], -v[172:173]
	s_waitcnt lgkmcnt(0)
	v_mul_f64 v[172:173], v[184:185], v[188:189]
	v_fma_f64 v[172:173], v[182:183], v[180:181], -v[172:173]
	v_mul_f64 v[182:183], v[182:183], v[188:189]
	v_fmac_f64_e32 v[182:183], v[184:185], v[180:181]
	v_add_f64 v[114:115], v[114:115], -v[182:183]
	ds_read2_b64 v[182:185], v209 offset0:32 offset1:33
	v_add_f64 v[112:113], v[112:113], -v[172:173]
	;; [unrolled: 8-line block ×30, first 2 shown]
	s_waitcnt lgkmcnt(0)
	v_mul_f64 v[172:173], v[184:185], v[188:189]
	v_fma_f64 v[172:173], v[182:183], v[180:181], -v[172:173]
	v_mul_f64 v[182:183], v[182:183], v[188:189]
	v_fmac_f64_e32 v[182:183], v[184:185], v[180:181]
	v_add_f64 v[176:177], v[176:177], -v[172:173]
	v_mov_b64_e32 v[172:173], v[168:169]
	v_add_f64 v[178:179], v[178:179], -v[182:183]
.LBB89_10:
	s_or_b64 exec, exec, s[4:5]
	v_cmp_eq_u32_e32 vcc, 1, v210
	s_barrier
	s_and_saveexec_b64 s[4:5], vcc
	s_cbranch_execz .LBB89_17
; %bb.11:
	scratch_load_dwordx4 v[180:183], off, off offset:176 ; 16-byte Folded Reload
	s_waitcnt vmcnt(0)
	ds_write2_b64 v208, v[180:181], v[182:183] offset1:1
	scratch_load_dwordx4 v[180:183], off, off offset:160 ; 16-byte Folded Reload
	s_waitcnt vmcnt(0)
	ds_write2_b64 v209, v[180:181], v[182:183] offset0:4 offset1:5
	scratch_load_dwordx4 v[180:183], off, off offset:144 ; 16-byte Folded Reload
	s_waitcnt vmcnt(0)
	ds_write2_b64 v209, v[180:181], v[182:183] offset0:6 offset1:7
	;; [unrolled: 3-line block ×10, first 2 shown]
	scratch_load_dwordx4 v[180:183], off, off ; 16-byte Folded Reload
	s_waitcnt vmcnt(0)
	ds_write2_b64 v209, v[180:181], v[182:183] offset0:24 offset1:25
	ds_write2_b64 v209, v[252:253], v[254:255] offset0:26 offset1:27
	;; [unrolled: 1-line block ×33, first 2 shown]
	ds_read2_b64 v[180:183], v208 offset1:1
	s_waitcnt lgkmcnt(0)
	v_cmp_neq_f64_e32 vcc, 0, v[180:181]
	v_cmp_neq_f64_e64 s[2:3], 0, v[182:183]
	s_or_b64 s[2:3], vcc, s[2:3]
	s_and_b64 exec, exec, s[2:3]
	s_cbranch_execz .LBB89_17
; %bb.12:
	v_cmp_ngt_f64_e64 s[2:3], |v[180:181]|, |v[182:183]|
                                        ; implicit-def: $vgpr184_vgpr185
	s_and_saveexec_b64 s[10:11], s[2:3]
	s_xor_b64 s[2:3], exec, s[10:11]
                                        ; implicit-def: $vgpr186_vgpr187
	s_cbranch_execz .LBB89_14
; %bb.13:
	v_div_scale_f64 v[184:185], s[10:11], v[182:183], v[182:183], v[180:181]
	v_rcp_f64_e32 v[186:187], v[184:185]
	v_div_scale_f64 v[188:189], vcc, v[180:181], v[182:183], v[180:181]
	v_fma_f64 v[190:191], -v[184:185], v[186:187], 1.0
	v_fmac_f64_e32 v[186:187], v[186:187], v[190:191]
	v_fma_f64 v[190:191], -v[184:185], v[186:187], 1.0
	v_fmac_f64_e32 v[186:187], v[186:187], v[190:191]
	v_mul_f64 v[190:191], v[188:189], v[186:187]
	v_fma_f64 v[184:185], -v[184:185], v[190:191], v[188:189]
	v_div_fmas_f64 v[184:185], v[184:185], v[186:187], v[190:191]
	v_div_fixup_f64 v[184:185], v[184:185], v[182:183], v[180:181]
	v_fmac_f64_e32 v[182:183], v[180:181], v[184:185]
	v_div_scale_f64 v[180:181], s[10:11], v[182:183], v[182:183], 1.0
	v_rcp_f64_e32 v[186:187], v[180:181]
	s_nop 0
	v_fma_f64 v[188:189], -v[180:181], v[186:187], 1.0
	v_fmac_f64_e32 v[186:187], v[186:187], v[188:189]
	v_fma_f64 v[188:189], -v[180:181], v[186:187], 1.0
	v_fmac_f64_e32 v[186:187], v[186:187], v[188:189]
	v_div_scale_f64 v[188:189], vcc, 1.0, v[182:183], 1.0
	v_mul_f64 v[190:191], v[188:189], v[186:187]
	v_fma_f64 v[180:181], -v[180:181], v[190:191], v[188:189]
	s_nop 1
	v_div_fmas_f64 v[180:181], v[180:181], v[186:187], v[190:191]
	v_div_fixup_f64 v[186:187], v[180:181], v[182:183], 1.0
	v_mul_f64 v[184:185], v[184:185], v[186:187]
	v_xor_b32_e32 v187, 0x80000000, v187
                                        ; implicit-def: $vgpr180_vgpr181
.LBB89_14:
	s_andn2_saveexec_b64 s[2:3], s[2:3]
	s_cbranch_execz .LBB89_16
; %bb.15:
	v_div_scale_f64 v[184:185], s[10:11], v[180:181], v[180:181], v[182:183]
	v_rcp_f64_e32 v[186:187], v[184:185]
	v_div_scale_f64 v[188:189], vcc, v[182:183], v[180:181], v[182:183]
	v_fma_f64 v[190:191], -v[184:185], v[186:187], 1.0
	v_fmac_f64_e32 v[186:187], v[186:187], v[190:191]
	v_fma_f64 v[190:191], -v[184:185], v[186:187], 1.0
	v_fmac_f64_e32 v[186:187], v[186:187], v[190:191]
	v_mul_f64 v[190:191], v[188:189], v[186:187]
	v_fma_f64 v[184:185], -v[184:185], v[190:191], v[188:189]
	v_div_fmas_f64 v[184:185], v[184:185], v[186:187], v[190:191]
	v_div_fixup_f64 v[186:187], v[184:185], v[180:181], v[182:183]
	v_fmac_f64_e32 v[180:181], v[182:183], v[186:187]
	v_div_scale_f64 v[182:183], s[10:11], v[180:181], v[180:181], 1.0
	v_rcp_f64_e32 v[184:185], v[182:183]
	s_nop 0
	v_fma_f64 v[188:189], -v[182:183], v[184:185], 1.0
	v_fmac_f64_e32 v[184:185], v[184:185], v[188:189]
	v_fma_f64 v[188:189], -v[182:183], v[184:185], 1.0
	v_fmac_f64_e32 v[184:185], v[184:185], v[188:189]
	v_div_scale_f64 v[188:189], vcc, 1.0, v[180:181], 1.0
	v_mul_f64 v[190:191], v[188:189], v[184:185]
	v_fma_f64 v[182:183], -v[182:183], v[190:191], v[188:189]
	s_nop 1
	v_div_fmas_f64 v[182:183], v[182:183], v[184:185], v[190:191]
	v_div_fixup_f64 v[184:185], v[182:183], v[180:181], 1.0
	v_mul_f64 v[186:187], v[186:187], -v[184:185]
.LBB89_16:
	s_or_b64 exec, exec, s[2:3]
	ds_write2_b64 v208, v[184:185], v[186:187] offset1:1
.LBB89_17:
	s_or_b64 exec, exec, s[4:5]
	s_waitcnt lgkmcnt(0)
	s_barrier
	ds_read2_b64 v[180:183], v208 offset1:1
	v_cmp_lt_u32_e32 vcc, 1, v210
	s_waitcnt lgkmcnt(0)
	scratch_store_dwordx4 off, v[180:183], off offset:224 ; 16-byte Folded Spill
	s_and_saveexec_b64 s[2:3], vcc
	s_cbranch_execz .LBB89_19
; %bb.18:
	scratch_load_dwordx4 v[186:189], off, off offset:176 ; 16-byte Folded Reload
	scratch_load_dwordx4 v[182:185], off, off offset:224 ; 16-byte Folded Reload
	s_waitcnt vmcnt(0)
	v_mul_f64 v[180:181], v[184:185], v[188:189]
	v_mul_f64 v[188:189], v[182:183], v[188:189]
	v_fma_f64 v[180:181], v[182:183], v[186:187], -v[180:181]
	v_fmac_f64_e32 v[188:189], v[184:185], v[186:187]
	ds_read2_b64 v[182:185], v209 offset0:4 offset1:5
	s_waitcnt lgkmcnt(0)
	v_mul_f64 v[168:169], v[184:185], v[188:189]
	v_fma_f64 v[168:169], v[182:183], v[180:181], -v[168:169]
	v_mul_f64 v[182:183], v[182:183], v[188:189]
	v_fmac_f64_e32 v[182:183], v[184:185], v[180:181]
	scratch_load_dwordx4 v[184:187], off, off offset:160 ; 16-byte Folded Reload
	s_waitcnt vmcnt(0)
	v_add_f64 v[184:185], v[184:185], -v[168:169]
	v_add_f64 v[186:187], v[186:187], -v[182:183]
	scratch_store_dwordx4 off, v[184:187], off offset:160 ; 16-byte Folded Spill
	ds_read2_b64 v[182:185], v209 offset0:6 offset1:7
	s_waitcnt lgkmcnt(0)
	v_mul_f64 v[168:169], v[184:185], v[188:189]
	v_fma_f64 v[168:169], v[182:183], v[180:181], -v[168:169]
	v_mul_f64 v[182:183], v[182:183], v[188:189]
	v_fmac_f64_e32 v[182:183], v[184:185], v[180:181]
	scratch_load_dwordx4 v[184:187], off, off offset:144 ; 16-byte Folded Reload
	s_waitcnt vmcnt(0)
	v_add_f64 v[184:185], v[184:185], -v[168:169]
	v_add_f64 v[186:187], v[186:187], -v[182:183]
	scratch_store_dwordx4 off, v[184:187], off offset:144 ; 16-byte Folded Spill
	;; [unrolled: 11-line block ×10, first 2 shown]
	ds_read2_b64 v[182:185], v209 offset0:24 offset1:25
	s_waitcnt lgkmcnt(0)
	v_mul_f64 v[168:169], v[184:185], v[188:189]
	v_fma_f64 v[168:169], v[182:183], v[180:181], -v[168:169]
	v_mul_f64 v[182:183], v[182:183], v[188:189]
	v_fmac_f64_e32 v[182:183], v[184:185], v[180:181]
	scratch_load_dwordx4 v[184:187], off, off ; 16-byte Folded Reload
	s_waitcnt vmcnt(0)
	v_add_f64 v[184:185], v[184:185], -v[168:169]
	v_add_f64 v[186:187], v[186:187], -v[182:183]
	scratch_store_dwordx4 off, v[184:187], off ; 16-byte Folded Spill
	ds_read2_b64 v[182:185], v209 offset0:26 offset1:27
	s_waitcnt lgkmcnt(0)
	v_mul_f64 v[168:169], v[184:185], v[188:189]
	v_fma_f64 v[168:169], v[182:183], v[180:181], -v[168:169]
	v_mul_f64 v[182:183], v[182:183], v[188:189]
	v_fmac_f64_e32 v[182:183], v[184:185], v[180:181]
	v_add_f64 v[254:255], v[254:255], -v[182:183]
	ds_read2_b64 v[182:185], v209 offset0:28 offset1:29
	v_add_f64 v[252:253], v[252:253], -v[168:169]
	v_mov_b64_e32 v[186:187], v[180:181]
	scratch_store_dwordx4 off, v[186:189], off offset:176 ; 16-byte Folded Spill
	s_waitcnt lgkmcnt(0)
	v_mul_f64 v[168:169], v[184:185], v[188:189]
	v_fma_f64 v[168:169], v[182:183], v[180:181], -v[168:169]
	v_mul_f64 v[182:183], v[182:183], v[188:189]
	v_fmac_f64_e32 v[182:183], v[184:185], v[180:181]
	v_add_f64 v[118:119], v[118:119], -v[182:183]
	ds_read2_b64 v[182:185], v209 offset0:30 offset1:31
	v_add_f64 v[116:117], v[116:117], -v[168:169]
	s_waitcnt lgkmcnt(0)
	v_mul_f64 v[168:169], v[184:185], v[188:189]
	v_fma_f64 v[168:169], v[182:183], v[180:181], -v[168:169]
	v_mul_f64 v[182:183], v[182:183], v[188:189]
	v_fmac_f64_e32 v[182:183], v[184:185], v[180:181]
	v_add_f64 v[114:115], v[114:115], -v[182:183]
	ds_read2_b64 v[182:185], v209 offset0:32 offset1:33
	v_add_f64 v[112:113], v[112:113], -v[168:169]
	;; [unrolled: 8-line block ×30, first 2 shown]
	s_waitcnt lgkmcnt(0)
	v_mul_f64 v[168:169], v[184:185], v[188:189]
	v_fma_f64 v[168:169], v[182:183], v[180:181], -v[168:169]
	v_mul_f64 v[182:183], v[182:183], v[188:189]
	v_fmac_f64_e32 v[182:183], v[184:185], v[180:181]
	v_add_f64 v[176:177], v[176:177], -v[168:169]
	v_add_f64 v[178:179], v[178:179], -v[182:183]
.LBB89_19:
	s_or_b64 exec, exec, s[2:3]
	v_cmp_eq_u32_e32 vcc, 2, v210
	s_barrier
	s_and_saveexec_b64 s[4:5], vcc
	s_cbranch_execz .LBB89_26
; %bb.20:
	scratch_load_dwordx4 v[180:183], off, off offset:160 ; 16-byte Folded Reload
	s_waitcnt vmcnt(0)
	ds_write2_b64 v208, v[180:181], v[182:183] offset1:1
	scratch_load_dwordx4 v[180:183], off, off offset:144 ; 16-byte Folded Reload
	s_waitcnt vmcnt(0)
	ds_write2_b64 v209, v[180:181], v[182:183] offset0:6 offset1:7
	scratch_load_dwordx4 v[180:183], off, off offset:128 ; 16-byte Folded Reload
	s_waitcnt vmcnt(0)
	ds_write2_b64 v209, v[180:181], v[182:183] offset0:8 offset1:9
	;; [unrolled: 3-line block ×9, first 2 shown]
	scratch_load_dwordx4 v[180:183], off, off ; 16-byte Folded Reload
	s_waitcnt vmcnt(0)
	ds_write2_b64 v209, v[180:181], v[182:183] offset0:24 offset1:25
	ds_write2_b64 v209, v[252:253], v[254:255] offset0:26 offset1:27
	;; [unrolled: 1-line block ×33, first 2 shown]
	ds_read2_b64 v[180:183], v208 offset1:1
	s_waitcnt lgkmcnt(0)
	v_cmp_neq_f64_e32 vcc, 0, v[180:181]
	v_cmp_neq_f64_e64 s[2:3], 0, v[182:183]
	s_or_b64 s[2:3], vcc, s[2:3]
	s_and_b64 exec, exec, s[2:3]
	s_cbranch_execz .LBB89_26
; %bb.21:
	v_cmp_ngt_f64_e64 s[2:3], |v[180:181]|, |v[182:183]|
                                        ; implicit-def: $vgpr184_vgpr185
	s_and_saveexec_b64 s[10:11], s[2:3]
	s_xor_b64 s[2:3], exec, s[10:11]
                                        ; implicit-def: $vgpr186_vgpr187
	s_cbranch_execz .LBB89_23
; %bb.22:
	v_div_scale_f64 v[184:185], s[10:11], v[182:183], v[182:183], v[180:181]
	v_rcp_f64_e32 v[186:187], v[184:185]
	v_div_scale_f64 v[188:189], vcc, v[180:181], v[182:183], v[180:181]
	v_fma_f64 v[190:191], -v[184:185], v[186:187], 1.0
	v_fmac_f64_e32 v[186:187], v[186:187], v[190:191]
	v_fma_f64 v[190:191], -v[184:185], v[186:187], 1.0
	v_fmac_f64_e32 v[186:187], v[186:187], v[190:191]
	v_mul_f64 v[190:191], v[188:189], v[186:187]
	v_fma_f64 v[184:185], -v[184:185], v[190:191], v[188:189]
	v_div_fmas_f64 v[184:185], v[184:185], v[186:187], v[190:191]
	v_div_fixup_f64 v[184:185], v[184:185], v[182:183], v[180:181]
	v_fmac_f64_e32 v[182:183], v[180:181], v[184:185]
	v_div_scale_f64 v[180:181], s[10:11], v[182:183], v[182:183], 1.0
	v_rcp_f64_e32 v[186:187], v[180:181]
	s_nop 0
	v_fma_f64 v[188:189], -v[180:181], v[186:187], 1.0
	v_fmac_f64_e32 v[186:187], v[186:187], v[188:189]
	v_fma_f64 v[188:189], -v[180:181], v[186:187], 1.0
	v_fmac_f64_e32 v[186:187], v[186:187], v[188:189]
	v_div_scale_f64 v[188:189], vcc, 1.0, v[182:183], 1.0
	v_mul_f64 v[190:191], v[188:189], v[186:187]
	v_fma_f64 v[180:181], -v[180:181], v[190:191], v[188:189]
	s_nop 1
	v_div_fmas_f64 v[180:181], v[180:181], v[186:187], v[190:191]
	v_div_fixup_f64 v[186:187], v[180:181], v[182:183], 1.0
	v_mul_f64 v[184:185], v[184:185], v[186:187]
	v_xor_b32_e32 v187, 0x80000000, v187
                                        ; implicit-def: $vgpr180_vgpr181
.LBB89_23:
	s_andn2_saveexec_b64 s[2:3], s[2:3]
	s_cbranch_execz .LBB89_25
; %bb.24:
	v_div_scale_f64 v[184:185], s[10:11], v[180:181], v[180:181], v[182:183]
	v_rcp_f64_e32 v[186:187], v[184:185]
	v_div_scale_f64 v[188:189], vcc, v[182:183], v[180:181], v[182:183]
	v_fma_f64 v[190:191], -v[184:185], v[186:187], 1.0
	v_fmac_f64_e32 v[186:187], v[186:187], v[190:191]
	v_fma_f64 v[190:191], -v[184:185], v[186:187], 1.0
	v_fmac_f64_e32 v[186:187], v[186:187], v[190:191]
	v_mul_f64 v[190:191], v[188:189], v[186:187]
	v_fma_f64 v[184:185], -v[184:185], v[190:191], v[188:189]
	v_div_fmas_f64 v[184:185], v[184:185], v[186:187], v[190:191]
	v_div_fixup_f64 v[186:187], v[184:185], v[180:181], v[182:183]
	v_fmac_f64_e32 v[180:181], v[182:183], v[186:187]
	v_div_scale_f64 v[182:183], s[10:11], v[180:181], v[180:181], 1.0
	v_rcp_f64_e32 v[184:185], v[182:183]
	s_nop 0
	v_fma_f64 v[188:189], -v[182:183], v[184:185], 1.0
	v_fmac_f64_e32 v[184:185], v[184:185], v[188:189]
	v_fma_f64 v[188:189], -v[182:183], v[184:185], 1.0
	v_fmac_f64_e32 v[184:185], v[184:185], v[188:189]
	v_div_scale_f64 v[188:189], vcc, 1.0, v[180:181], 1.0
	v_mul_f64 v[190:191], v[188:189], v[184:185]
	v_fma_f64 v[182:183], -v[182:183], v[190:191], v[188:189]
	s_nop 1
	v_div_fmas_f64 v[182:183], v[182:183], v[184:185], v[190:191]
	v_div_fixup_f64 v[184:185], v[182:183], v[180:181], 1.0
	v_mul_f64 v[186:187], v[186:187], -v[184:185]
.LBB89_25:
	s_or_b64 exec, exec, s[2:3]
	ds_write2_b64 v208, v[184:185], v[186:187] offset1:1
.LBB89_26:
	s_or_b64 exec, exec, s[4:5]
	s_waitcnt lgkmcnt(0)
	s_barrier
	ds_read2_b64 v[180:183], v208 offset1:1
	v_cmp_lt_u32_e32 vcc, 2, v210
	s_waitcnt lgkmcnt(0)
	scratch_store_dwordx4 off, v[180:183], off offset:240 ; 16-byte Folded Spill
	s_and_saveexec_b64 s[2:3], vcc
	s_cbranch_execz .LBB89_28
; %bb.27:
	scratch_load_dwordx4 v[186:189], off, off offset:160 ; 16-byte Folded Reload
	scratch_load_dwordx4 v[182:185], off, off offset:240 ; 16-byte Folded Reload
	v_mov_b64_e32 v[168:169], v[164:165]
	s_waitcnt vmcnt(0)
	v_mul_f64 v[180:181], v[184:185], v[188:189]
	v_mul_f64 v[188:189], v[182:183], v[188:189]
	v_fma_f64 v[180:181], v[182:183], v[186:187], -v[180:181]
	v_fmac_f64_e32 v[188:189], v[184:185], v[186:187]
	ds_read2_b64 v[182:185], v209 offset0:6 offset1:7
	s_waitcnt lgkmcnt(0)
	v_mul_f64 v[164:165], v[184:185], v[188:189]
	v_fma_f64 v[164:165], v[182:183], v[180:181], -v[164:165]
	v_mul_f64 v[182:183], v[182:183], v[188:189]
	v_fmac_f64_e32 v[182:183], v[184:185], v[180:181]
	scratch_load_dwordx4 v[184:187], off, off offset:144 ; 16-byte Folded Reload
	s_waitcnt vmcnt(0)
	v_add_f64 v[184:185], v[184:185], -v[164:165]
	v_add_f64 v[186:187], v[186:187], -v[182:183]
	scratch_store_dwordx4 off, v[184:187], off offset:144 ; 16-byte Folded Spill
	ds_read2_b64 v[182:185], v209 offset0:8 offset1:9
	s_waitcnt lgkmcnt(0)
	v_mul_f64 v[164:165], v[184:185], v[188:189]
	v_fma_f64 v[164:165], v[182:183], v[180:181], -v[164:165]
	v_mul_f64 v[182:183], v[182:183], v[188:189]
	v_fmac_f64_e32 v[182:183], v[184:185], v[180:181]
	scratch_load_dwordx4 v[184:187], off, off offset:128 ; 16-byte Folded Reload
	s_waitcnt vmcnt(0)
	v_add_f64 v[184:185], v[184:185], -v[164:165]
	v_add_f64 v[186:187], v[186:187], -v[182:183]
	scratch_store_dwordx4 off, v[184:187], off offset:128 ; 16-byte Folded Spill
	;; [unrolled: 11-line block ×9, first 2 shown]
	ds_read2_b64 v[182:185], v209 offset0:24 offset1:25
	s_waitcnt lgkmcnt(0)
	v_mul_f64 v[164:165], v[184:185], v[188:189]
	v_fma_f64 v[164:165], v[182:183], v[180:181], -v[164:165]
	v_mul_f64 v[182:183], v[182:183], v[188:189]
	v_fmac_f64_e32 v[182:183], v[184:185], v[180:181]
	scratch_load_dwordx4 v[184:187], off, off ; 16-byte Folded Reload
	s_waitcnt vmcnt(0)
	v_add_f64 v[184:185], v[184:185], -v[164:165]
	v_add_f64 v[186:187], v[186:187], -v[182:183]
	scratch_store_dwordx4 off, v[184:187], off ; 16-byte Folded Spill
	ds_read2_b64 v[182:185], v209 offset0:26 offset1:27
	s_waitcnt lgkmcnt(0)
	v_mul_f64 v[164:165], v[184:185], v[188:189]
	v_fma_f64 v[164:165], v[182:183], v[180:181], -v[164:165]
	v_mul_f64 v[182:183], v[182:183], v[188:189]
	v_fmac_f64_e32 v[182:183], v[184:185], v[180:181]
	v_add_f64 v[254:255], v[254:255], -v[182:183]
	ds_read2_b64 v[182:185], v209 offset0:28 offset1:29
	v_add_f64 v[252:253], v[252:253], -v[164:165]
	v_mov_b64_e32 v[186:187], v[180:181]
	scratch_store_dwordx4 off, v[186:189], off offset:160 ; 16-byte Folded Spill
	s_waitcnt lgkmcnt(0)
	v_mul_f64 v[164:165], v[184:185], v[188:189]
	v_fma_f64 v[164:165], v[182:183], v[180:181], -v[164:165]
	v_mul_f64 v[182:183], v[182:183], v[188:189]
	v_fmac_f64_e32 v[182:183], v[184:185], v[180:181]
	v_add_f64 v[118:119], v[118:119], -v[182:183]
	ds_read2_b64 v[182:185], v209 offset0:30 offset1:31
	v_add_f64 v[116:117], v[116:117], -v[164:165]
	s_waitcnt lgkmcnt(0)
	v_mul_f64 v[164:165], v[184:185], v[188:189]
	v_fma_f64 v[164:165], v[182:183], v[180:181], -v[164:165]
	v_mul_f64 v[182:183], v[182:183], v[188:189]
	v_fmac_f64_e32 v[182:183], v[184:185], v[180:181]
	v_add_f64 v[114:115], v[114:115], -v[182:183]
	ds_read2_b64 v[182:185], v209 offset0:32 offset1:33
	v_add_f64 v[112:113], v[112:113], -v[164:165]
	;; [unrolled: 8-line block ×30, first 2 shown]
	s_waitcnt lgkmcnt(0)
	v_mul_f64 v[164:165], v[184:185], v[188:189]
	v_fma_f64 v[164:165], v[182:183], v[180:181], -v[164:165]
	v_mul_f64 v[182:183], v[182:183], v[188:189]
	v_fmac_f64_e32 v[182:183], v[184:185], v[180:181]
	v_add_f64 v[176:177], v[176:177], -v[164:165]
	v_mov_b64_e32 v[164:165], v[168:169]
	v_add_f64 v[178:179], v[178:179], -v[182:183]
.LBB89_28:
	s_or_b64 exec, exec, s[2:3]
	v_cmp_eq_u32_e32 vcc, 3, v210
	s_barrier
	s_and_saveexec_b64 s[4:5], vcc
	s_cbranch_execz .LBB89_35
; %bb.29:
	scratch_load_dwordx4 v[180:183], off, off offset:144 ; 16-byte Folded Reload
	s_waitcnt vmcnt(0)
	ds_write2_b64 v208, v[180:181], v[182:183] offset1:1
	scratch_load_dwordx4 v[180:183], off, off offset:128 ; 16-byte Folded Reload
	s_waitcnt vmcnt(0)
	ds_write2_b64 v209, v[180:181], v[182:183] offset0:8 offset1:9
	scratch_load_dwordx4 v[180:183], off, off offset:112 ; 16-byte Folded Reload
	s_waitcnt vmcnt(0)
	ds_write2_b64 v209, v[180:181], v[182:183] offset0:10 offset1:11
	;; [unrolled: 3-line block ×8, first 2 shown]
	scratch_load_dwordx4 v[180:183], off, off ; 16-byte Folded Reload
	s_waitcnt vmcnt(0)
	ds_write2_b64 v209, v[180:181], v[182:183] offset0:24 offset1:25
	ds_write2_b64 v209, v[252:253], v[254:255] offset0:26 offset1:27
	;; [unrolled: 1-line block ×33, first 2 shown]
	ds_read2_b64 v[180:183], v208 offset1:1
	s_waitcnt lgkmcnt(0)
	v_cmp_neq_f64_e32 vcc, 0, v[180:181]
	v_cmp_neq_f64_e64 s[2:3], 0, v[182:183]
	s_or_b64 s[2:3], vcc, s[2:3]
	s_and_b64 exec, exec, s[2:3]
	s_cbranch_execz .LBB89_35
; %bb.30:
	v_cmp_ngt_f64_e64 s[2:3], |v[180:181]|, |v[182:183]|
                                        ; implicit-def: $vgpr184_vgpr185
	s_and_saveexec_b64 s[10:11], s[2:3]
	s_xor_b64 s[2:3], exec, s[10:11]
                                        ; implicit-def: $vgpr186_vgpr187
	s_cbranch_execz .LBB89_32
; %bb.31:
	v_div_scale_f64 v[184:185], s[10:11], v[182:183], v[182:183], v[180:181]
	v_rcp_f64_e32 v[186:187], v[184:185]
	v_div_scale_f64 v[188:189], vcc, v[180:181], v[182:183], v[180:181]
	v_fma_f64 v[190:191], -v[184:185], v[186:187], 1.0
	v_fmac_f64_e32 v[186:187], v[186:187], v[190:191]
	v_fma_f64 v[190:191], -v[184:185], v[186:187], 1.0
	v_fmac_f64_e32 v[186:187], v[186:187], v[190:191]
	v_mul_f64 v[190:191], v[188:189], v[186:187]
	v_fma_f64 v[184:185], -v[184:185], v[190:191], v[188:189]
	v_div_fmas_f64 v[184:185], v[184:185], v[186:187], v[190:191]
	v_div_fixup_f64 v[184:185], v[184:185], v[182:183], v[180:181]
	v_fmac_f64_e32 v[182:183], v[180:181], v[184:185]
	v_div_scale_f64 v[180:181], s[10:11], v[182:183], v[182:183], 1.0
	v_rcp_f64_e32 v[186:187], v[180:181]
	s_nop 0
	v_fma_f64 v[188:189], -v[180:181], v[186:187], 1.0
	v_fmac_f64_e32 v[186:187], v[186:187], v[188:189]
	v_fma_f64 v[188:189], -v[180:181], v[186:187], 1.0
	v_fmac_f64_e32 v[186:187], v[186:187], v[188:189]
	v_div_scale_f64 v[188:189], vcc, 1.0, v[182:183], 1.0
	v_mul_f64 v[190:191], v[188:189], v[186:187]
	v_fma_f64 v[180:181], -v[180:181], v[190:191], v[188:189]
	s_nop 1
	v_div_fmas_f64 v[180:181], v[180:181], v[186:187], v[190:191]
	v_div_fixup_f64 v[186:187], v[180:181], v[182:183], 1.0
	v_mul_f64 v[184:185], v[184:185], v[186:187]
	v_xor_b32_e32 v187, 0x80000000, v187
                                        ; implicit-def: $vgpr180_vgpr181
.LBB89_32:
	s_andn2_saveexec_b64 s[2:3], s[2:3]
	s_cbranch_execz .LBB89_34
; %bb.33:
	v_div_scale_f64 v[184:185], s[10:11], v[180:181], v[180:181], v[182:183]
	v_rcp_f64_e32 v[186:187], v[184:185]
	v_div_scale_f64 v[188:189], vcc, v[182:183], v[180:181], v[182:183]
	v_fma_f64 v[190:191], -v[184:185], v[186:187], 1.0
	v_fmac_f64_e32 v[186:187], v[186:187], v[190:191]
	v_fma_f64 v[190:191], -v[184:185], v[186:187], 1.0
	v_fmac_f64_e32 v[186:187], v[186:187], v[190:191]
	v_mul_f64 v[190:191], v[188:189], v[186:187]
	v_fma_f64 v[184:185], -v[184:185], v[190:191], v[188:189]
	v_div_fmas_f64 v[184:185], v[184:185], v[186:187], v[190:191]
	v_div_fixup_f64 v[186:187], v[184:185], v[180:181], v[182:183]
	v_fmac_f64_e32 v[180:181], v[182:183], v[186:187]
	v_div_scale_f64 v[182:183], s[10:11], v[180:181], v[180:181], 1.0
	v_rcp_f64_e32 v[184:185], v[182:183]
	s_nop 0
	v_fma_f64 v[188:189], -v[182:183], v[184:185], 1.0
	v_fmac_f64_e32 v[184:185], v[184:185], v[188:189]
	v_fma_f64 v[188:189], -v[182:183], v[184:185], 1.0
	v_fmac_f64_e32 v[184:185], v[184:185], v[188:189]
	v_div_scale_f64 v[188:189], vcc, 1.0, v[180:181], 1.0
	v_mul_f64 v[190:191], v[188:189], v[184:185]
	v_fma_f64 v[182:183], -v[182:183], v[190:191], v[188:189]
	s_nop 1
	v_div_fmas_f64 v[182:183], v[182:183], v[184:185], v[190:191]
	v_div_fixup_f64 v[184:185], v[182:183], v[180:181], 1.0
	v_mul_f64 v[186:187], v[186:187], -v[184:185]
.LBB89_34:
	s_or_b64 exec, exec, s[2:3]
	ds_write2_b64 v208, v[184:185], v[186:187] offset1:1
.LBB89_35:
	s_or_b64 exec, exec, s[4:5]
	s_waitcnt lgkmcnt(0)
	s_barrier
	ds_read2_b64 v[180:183], v208 offset1:1
	v_cmp_lt_u32_e32 vcc, 3, v210
	s_waitcnt lgkmcnt(0)
	scratch_store_dwordx4 off, v[180:183], off offset:256 ; 16-byte Folded Spill
	s_and_saveexec_b64 s[2:3], vcc
	s_cbranch_execz .LBB89_37
; %bb.36:
	scratch_load_dwordx4 v[186:189], off, off offset:144 ; 16-byte Folded Reload
	scratch_load_dwordx4 v[182:185], off, off offset:256 ; 16-byte Folded Reload
	v_mov_b64_e32 v[168:169], v[160:161]
	s_waitcnt vmcnt(0)
	v_mul_f64 v[180:181], v[184:185], v[188:189]
	v_mul_f64 v[188:189], v[182:183], v[188:189]
	v_fma_f64 v[180:181], v[182:183], v[186:187], -v[180:181]
	v_fmac_f64_e32 v[188:189], v[184:185], v[186:187]
	ds_read2_b64 v[182:185], v209 offset0:8 offset1:9
	s_waitcnt lgkmcnt(0)
	v_mul_f64 v[160:161], v[184:185], v[188:189]
	v_fma_f64 v[160:161], v[182:183], v[180:181], -v[160:161]
	v_mul_f64 v[182:183], v[182:183], v[188:189]
	v_fmac_f64_e32 v[182:183], v[184:185], v[180:181]
	scratch_load_dwordx4 v[184:187], off, off offset:128 ; 16-byte Folded Reload
	s_waitcnt vmcnt(0)
	v_add_f64 v[184:185], v[184:185], -v[160:161]
	v_add_f64 v[186:187], v[186:187], -v[182:183]
	scratch_store_dwordx4 off, v[184:187], off offset:128 ; 16-byte Folded Spill
	ds_read2_b64 v[182:185], v209 offset0:10 offset1:11
	s_waitcnt lgkmcnt(0)
	v_mul_f64 v[160:161], v[184:185], v[188:189]
	v_fma_f64 v[160:161], v[182:183], v[180:181], -v[160:161]
	v_mul_f64 v[182:183], v[182:183], v[188:189]
	v_fmac_f64_e32 v[182:183], v[184:185], v[180:181]
	scratch_load_dwordx4 v[184:187], off, off offset:112 ; 16-byte Folded Reload
	s_waitcnt vmcnt(0)
	v_add_f64 v[184:185], v[184:185], -v[160:161]
	v_add_f64 v[186:187], v[186:187], -v[182:183]
	scratch_store_dwordx4 off, v[184:187], off offset:112 ; 16-byte Folded Spill
	;; [unrolled: 11-line block ×8, first 2 shown]
	ds_read2_b64 v[182:185], v209 offset0:24 offset1:25
	s_waitcnt lgkmcnt(0)
	v_mul_f64 v[160:161], v[184:185], v[188:189]
	v_fma_f64 v[160:161], v[182:183], v[180:181], -v[160:161]
	v_mul_f64 v[182:183], v[182:183], v[188:189]
	v_fmac_f64_e32 v[182:183], v[184:185], v[180:181]
	scratch_load_dwordx4 v[184:187], off, off ; 16-byte Folded Reload
	s_waitcnt vmcnt(0)
	v_add_f64 v[184:185], v[184:185], -v[160:161]
	v_add_f64 v[186:187], v[186:187], -v[182:183]
	scratch_store_dwordx4 off, v[184:187], off ; 16-byte Folded Spill
	ds_read2_b64 v[182:185], v209 offset0:26 offset1:27
	s_waitcnt lgkmcnt(0)
	v_mul_f64 v[160:161], v[184:185], v[188:189]
	v_fma_f64 v[160:161], v[182:183], v[180:181], -v[160:161]
	v_mul_f64 v[182:183], v[182:183], v[188:189]
	v_fmac_f64_e32 v[182:183], v[184:185], v[180:181]
	v_add_f64 v[254:255], v[254:255], -v[182:183]
	ds_read2_b64 v[182:185], v209 offset0:28 offset1:29
	v_add_f64 v[252:253], v[252:253], -v[160:161]
	v_mov_b64_e32 v[186:187], v[180:181]
	scratch_store_dwordx4 off, v[186:189], off offset:144 ; 16-byte Folded Spill
	s_waitcnt lgkmcnt(0)
	v_mul_f64 v[160:161], v[184:185], v[188:189]
	v_fma_f64 v[160:161], v[182:183], v[180:181], -v[160:161]
	v_mul_f64 v[182:183], v[182:183], v[188:189]
	v_fmac_f64_e32 v[182:183], v[184:185], v[180:181]
	v_add_f64 v[118:119], v[118:119], -v[182:183]
	ds_read2_b64 v[182:185], v209 offset0:30 offset1:31
	v_add_f64 v[116:117], v[116:117], -v[160:161]
	s_waitcnt lgkmcnt(0)
	v_mul_f64 v[160:161], v[184:185], v[188:189]
	v_fma_f64 v[160:161], v[182:183], v[180:181], -v[160:161]
	v_mul_f64 v[182:183], v[182:183], v[188:189]
	v_fmac_f64_e32 v[182:183], v[184:185], v[180:181]
	v_add_f64 v[114:115], v[114:115], -v[182:183]
	ds_read2_b64 v[182:185], v209 offset0:32 offset1:33
	v_add_f64 v[112:113], v[112:113], -v[160:161]
	;; [unrolled: 8-line block ×30, first 2 shown]
	s_waitcnt lgkmcnt(0)
	v_mul_f64 v[160:161], v[184:185], v[188:189]
	v_fma_f64 v[160:161], v[182:183], v[180:181], -v[160:161]
	v_mul_f64 v[182:183], v[182:183], v[188:189]
	v_fmac_f64_e32 v[182:183], v[184:185], v[180:181]
	v_add_f64 v[176:177], v[176:177], -v[160:161]
	v_mov_b64_e32 v[160:161], v[168:169]
	v_add_f64 v[178:179], v[178:179], -v[182:183]
.LBB89_37:
	s_or_b64 exec, exec, s[2:3]
	v_cmp_eq_u32_e32 vcc, 4, v210
	s_barrier
	s_and_saveexec_b64 s[4:5], vcc
	s_cbranch_execz .LBB89_44
; %bb.38:
	scratch_load_dwordx4 v[180:183], off, off offset:128 ; 16-byte Folded Reload
	s_waitcnt vmcnt(0)
	ds_write2_b64 v208, v[180:181], v[182:183] offset1:1
	scratch_load_dwordx4 v[180:183], off, off offset:112 ; 16-byte Folded Reload
	s_waitcnt vmcnt(0)
	ds_write2_b64 v209, v[180:181], v[182:183] offset0:10 offset1:11
	scratch_load_dwordx4 v[180:183], off, off offset:96 ; 16-byte Folded Reload
	s_waitcnt vmcnt(0)
	ds_write2_b64 v209, v[180:181], v[182:183] offset0:12 offset1:13
	;; [unrolled: 3-line block ×7, first 2 shown]
	scratch_load_dwordx4 v[180:183], off, off ; 16-byte Folded Reload
	s_waitcnt vmcnt(0)
	ds_write2_b64 v209, v[180:181], v[182:183] offset0:24 offset1:25
	ds_write2_b64 v209, v[252:253], v[254:255] offset0:26 offset1:27
	;; [unrolled: 1-line block ×33, first 2 shown]
	ds_read2_b64 v[180:183], v208 offset1:1
	s_waitcnt lgkmcnt(0)
	v_cmp_neq_f64_e32 vcc, 0, v[180:181]
	v_cmp_neq_f64_e64 s[2:3], 0, v[182:183]
	s_or_b64 s[2:3], vcc, s[2:3]
	s_and_b64 exec, exec, s[2:3]
	s_cbranch_execz .LBB89_44
; %bb.39:
	v_cmp_ngt_f64_e64 s[2:3], |v[180:181]|, |v[182:183]|
                                        ; implicit-def: $vgpr184_vgpr185
	s_and_saveexec_b64 s[10:11], s[2:3]
	s_xor_b64 s[2:3], exec, s[10:11]
                                        ; implicit-def: $vgpr186_vgpr187
	s_cbranch_execz .LBB89_41
; %bb.40:
	v_div_scale_f64 v[184:185], s[10:11], v[182:183], v[182:183], v[180:181]
	v_rcp_f64_e32 v[186:187], v[184:185]
	v_div_scale_f64 v[188:189], vcc, v[180:181], v[182:183], v[180:181]
	v_fma_f64 v[190:191], -v[184:185], v[186:187], 1.0
	v_fmac_f64_e32 v[186:187], v[186:187], v[190:191]
	v_fma_f64 v[190:191], -v[184:185], v[186:187], 1.0
	v_fmac_f64_e32 v[186:187], v[186:187], v[190:191]
	v_mul_f64 v[190:191], v[188:189], v[186:187]
	v_fma_f64 v[184:185], -v[184:185], v[190:191], v[188:189]
	v_div_fmas_f64 v[184:185], v[184:185], v[186:187], v[190:191]
	v_div_fixup_f64 v[184:185], v[184:185], v[182:183], v[180:181]
	v_fmac_f64_e32 v[182:183], v[180:181], v[184:185]
	v_div_scale_f64 v[180:181], s[10:11], v[182:183], v[182:183], 1.0
	v_rcp_f64_e32 v[186:187], v[180:181]
	s_nop 0
	v_fma_f64 v[188:189], -v[180:181], v[186:187], 1.0
	v_fmac_f64_e32 v[186:187], v[186:187], v[188:189]
	v_fma_f64 v[188:189], -v[180:181], v[186:187], 1.0
	v_fmac_f64_e32 v[186:187], v[186:187], v[188:189]
	v_div_scale_f64 v[188:189], vcc, 1.0, v[182:183], 1.0
	v_mul_f64 v[190:191], v[188:189], v[186:187]
	v_fma_f64 v[180:181], -v[180:181], v[190:191], v[188:189]
	s_nop 1
	v_div_fmas_f64 v[180:181], v[180:181], v[186:187], v[190:191]
	v_div_fixup_f64 v[186:187], v[180:181], v[182:183], 1.0
	v_mul_f64 v[184:185], v[184:185], v[186:187]
	v_xor_b32_e32 v187, 0x80000000, v187
                                        ; implicit-def: $vgpr180_vgpr181
.LBB89_41:
	s_andn2_saveexec_b64 s[2:3], s[2:3]
	s_cbranch_execz .LBB89_43
; %bb.42:
	v_div_scale_f64 v[184:185], s[10:11], v[180:181], v[180:181], v[182:183]
	v_rcp_f64_e32 v[186:187], v[184:185]
	v_div_scale_f64 v[188:189], vcc, v[182:183], v[180:181], v[182:183]
	v_fma_f64 v[190:191], -v[184:185], v[186:187], 1.0
	v_fmac_f64_e32 v[186:187], v[186:187], v[190:191]
	v_fma_f64 v[190:191], -v[184:185], v[186:187], 1.0
	v_fmac_f64_e32 v[186:187], v[186:187], v[190:191]
	v_mul_f64 v[190:191], v[188:189], v[186:187]
	v_fma_f64 v[184:185], -v[184:185], v[190:191], v[188:189]
	v_div_fmas_f64 v[184:185], v[184:185], v[186:187], v[190:191]
	v_div_fixup_f64 v[186:187], v[184:185], v[180:181], v[182:183]
	v_fmac_f64_e32 v[180:181], v[182:183], v[186:187]
	v_div_scale_f64 v[182:183], s[10:11], v[180:181], v[180:181], 1.0
	v_rcp_f64_e32 v[184:185], v[182:183]
	s_nop 0
	v_fma_f64 v[188:189], -v[182:183], v[184:185], 1.0
	v_fmac_f64_e32 v[184:185], v[184:185], v[188:189]
	v_fma_f64 v[188:189], -v[182:183], v[184:185], 1.0
	v_fmac_f64_e32 v[184:185], v[184:185], v[188:189]
	v_div_scale_f64 v[188:189], vcc, 1.0, v[180:181], 1.0
	v_mul_f64 v[190:191], v[188:189], v[184:185]
	v_fma_f64 v[182:183], -v[182:183], v[190:191], v[188:189]
	s_nop 1
	v_div_fmas_f64 v[182:183], v[182:183], v[184:185], v[190:191]
	v_div_fixup_f64 v[184:185], v[182:183], v[180:181], 1.0
	v_mul_f64 v[186:187], v[186:187], -v[184:185]
.LBB89_43:
	s_or_b64 exec, exec, s[2:3]
	ds_write2_b64 v208, v[184:185], v[186:187] offset1:1
.LBB89_44:
	s_or_b64 exec, exec, s[4:5]
	s_waitcnt lgkmcnt(0)
	s_barrier
	ds_read2_b64 v[180:183], v208 offset1:1
	v_cmp_lt_u32_e32 vcc, 4, v210
	s_waitcnt lgkmcnt(0)
	scratch_store_dwordx4 off, v[180:183], off offset:272 ; 16-byte Folded Spill
	s_and_saveexec_b64 s[2:3], vcc
	s_cbranch_execz .LBB89_46
; %bb.45:
	scratch_load_dwordx4 v[186:189], off, off offset:128 ; 16-byte Folded Reload
	scratch_load_dwordx4 v[182:185], off, off offset:272 ; 16-byte Folded Reload
	v_mov_b64_e32 v[168:169], v[156:157]
	s_waitcnt vmcnt(0)
	v_mul_f64 v[180:181], v[184:185], v[188:189]
	v_mul_f64 v[188:189], v[182:183], v[188:189]
	v_fma_f64 v[180:181], v[182:183], v[186:187], -v[180:181]
	v_fmac_f64_e32 v[188:189], v[184:185], v[186:187]
	ds_read2_b64 v[182:185], v209 offset0:10 offset1:11
	s_waitcnt lgkmcnt(0)
	v_mul_f64 v[156:157], v[184:185], v[188:189]
	v_fma_f64 v[156:157], v[182:183], v[180:181], -v[156:157]
	v_mul_f64 v[182:183], v[182:183], v[188:189]
	v_fmac_f64_e32 v[182:183], v[184:185], v[180:181]
	scratch_load_dwordx4 v[184:187], off, off offset:112 ; 16-byte Folded Reload
	s_waitcnt vmcnt(0)
	v_add_f64 v[184:185], v[184:185], -v[156:157]
	v_add_f64 v[186:187], v[186:187], -v[182:183]
	scratch_store_dwordx4 off, v[184:187], off offset:112 ; 16-byte Folded Spill
	ds_read2_b64 v[182:185], v209 offset0:12 offset1:13
	s_waitcnt lgkmcnt(0)
	v_mul_f64 v[156:157], v[184:185], v[188:189]
	v_fma_f64 v[156:157], v[182:183], v[180:181], -v[156:157]
	v_mul_f64 v[182:183], v[182:183], v[188:189]
	v_fmac_f64_e32 v[182:183], v[184:185], v[180:181]
	scratch_load_dwordx4 v[184:187], off, off offset:96 ; 16-byte Folded Reload
	s_waitcnt vmcnt(0)
	v_add_f64 v[184:185], v[184:185], -v[156:157]
	v_add_f64 v[186:187], v[186:187], -v[182:183]
	scratch_store_dwordx4 off, v[184:187], off offset:96 ; 16-byte Folded Spill
	;; [unrolled: 11-line block ×7, first 2 shown]
	ds_read2_b64 v[182:185], v209 offset0:24 offset1:25
	s_waitcnt lgkmcnt(0)
	v_mul_f64 v[156:157], v[184:185], v[188:189]
	v_fma_f64 v[156:157], v[182:183], v[180:181], -v[156:157]
	v_mul_f64 v[182:183], v[182:183], v[188:189]
	v_fmac_f64_e32 v[182:183], v[184:185], v[180:181]
	scratch_load_dwordx4 v[184:187], off, off ; 16-byte Folded Reload
	s_waitcnt vmcnt(0)
	v_add_f64 v[184:185], v[184:185], -v[156:157]
	v_add_f64 v[186:187], v[186:187], -v[182:183]
	scratch_store_dwordx4 off, v[184:187], off ; 16-byte Folded Spill
	ds_read2_b64 v[182:185], v209 offset0:26 offset1:27
	s_waitcnt lgkmcnt(0)
	v_mul_f64 v[156:157], v[184:185], v[188:189]
	v_fma_f64 v[156:157], v[182:183], v[180:181], -v[156:157]
	v_mul_f64 v[182:183], v[182:183], v[188:189]
	v_fmac_f64_e32 v[182:183], v[184:185], v[180:181]
	v_add_f64 v[254:255], v[254:255], -v[182:183]
	ds_read2_b64 v[182:185], v209 offset0:28 offset1:29
	v_add_f64 v[252:253], v[252:253], -v[156:157]
	v_mov_b64_e32 v[186:187], v[180:181]
	scratch_store_dwordx4 off, v[186:189], off offset:128 ; 16-byte Folded Spill
	s_waitcnt lgkmcnt(0)
	v_mul_f64 v[156:157], v[184:185], v[188:189]
	v_fma_f64 v[156:157], v[182:183], v[180:181], -v[156:157]
	v_mul_f64 v[182:183], v[182:183], v[188:189]
	v_fmac_f64_e32 v[182:183], v[184:185], v[180:181]
	v_add_f64 v[118:119], v[118:119], -v[182:183]
	ds_read2_b64 v[182:185], v209 offset0:30 offset1:31
	v_add_f64 v[116:117], v[116:117], -v[156:157]
	s_waitcnt lgkmcnt(0)
	v_mul_f64 v[156:157], v[184:185], v[188:189]
	v_fma_f64 v[156:157], v[182:183], v[180:181], -v[156:157]
	v_mul_f64 v[182:183], v[182:183], v[188:189]
	v_fmac_f64_e32 v[182:183], v[184:185], v[180:181]
	v_add_f64 v[114:115], v[114:115], -v[182:183]
	ds_read2_b64 v[182:185], v209 offset0:32 offset1:33
	v_add_f64 v[112:113], v[112:113], -v[156:157]
	;; [unrolled: 8-line block ×30, first 2 shown]
	s_waitcnt lgkmcnt(0)
	v_mul_f64 v[156:157], v[184:185], v[188:189]
	v_fma_f64 v[156:157], v[182:183], v[180:181], -v[156:157]
	v_mul_f64 v[182:183], v[182:183], v[188:189]
	v_fmac_f64_e32 v[182:183], v[184:185], v[180:181]
	v_add_f64 v[176:177], v[176:177], -v[156:157]
	v_mov_b64_e32 v[156:157], v[168:169]
	v_add_f64 v[178:179], v[178:179], -v[182:183]
.LBB89_46:
	s_or_b64 exec, exec, s[2:3]
	v_cmp_eq_u32_e32 vcc, 5, v210
	s_barrier
	s_and_saveexec_b64 s[4:5], vcc
	s_cbranch_execz .LBB89_53
; %bb.47:
	scratch_load_dwordx4 v[180:183], off, off offset:112 ; 16-byte Folded Reload
	s_waitcnt vmcnt(0)
	ds_write2_b64 v208, v[180:181], v[182:183] offset1:1
	scratch_load_dwordx4 v[180:183], off, off offset:96 ; 16-byte Folded Reload
	s_waitcnt vmcnt(0)
	ds_write2_b64 v209, v[180:181], v[182:183] offset0:12 offset1:13
	scratch_load_dwordx4 v[180:183], off, off offset:80 ; 16-byte Folded Reload
	s_waitcnt vmcnt(0)
	ds_write2_b64 v209, v[180:181], v[182:183] offset0:14 offset1:15
	scratch_load_dwordx4 v[180:183], off, off offset:64 ; 16-byte Folded Reload
	s_waitcnt vmcnt(0)
	ds_write2_b64 v209, v[180:181], v[182:183] offset0:16 offset1:17
	scratch_load_dwordx4 v[180:183], off, off offset:48 ; 16-byte Folded Reload
	s_waitcnt vmcnt(0)
	ds_write2_b64 v209, v[180:181], v[182:183] offset0:18 offset1:19
	scratch_load_dwordx4 v[180:183], off, off offset:32 ; 16-byte Folded Reload
	s_waitcnt vmcnt(0)
	ds_write2_b64 v209, v[180:181], v[182:183] offset0:20 offset1:21
	scratch_load_dwordx4 v[180:183], off, off offset:16 ; 16-byte Folded Reload
	s_waitcnt vmcnt(0)
	ds_write2_b64 v209, v[180:181], v[182:183] offset0:22 offset1:23
	scratch_load_dwordx4 v[180:183], off, off ; 16-byte Folded Reload
	s_waitcnt vmcnt(0)
	ds_write2_b64 v209, v[180:181], v[182:183] offset0:24 offset1:25
	ds_write2_b64 v209, v[252:253], v[254:255] offset0:26 offset1:27
	;; [unrolled: 1-line block ×33, first 2 shown]
	ds_read2_b64 v[180:183], v208 offset1:1
	s_waitcnt lgkmcnt(0)
	v_cmp_neq_f64_e32 vcc, 0, v[180:181]
	v_cmp_neq_f64_e64 s[2:3], 0, v[182:183]
	s_or_b64 s[2:3], vcc, s[2:3]
	s_and_b64 exec, exec, s[2:3]
	s_cbranch_execz .LBB89_53
; %bb.48:
	v_cmp_ngt_f64_e64 s[2:3], |v[180:181]|, |v[182:183]|
                                        ; implicit-def: $vgpr184_vgpr185
	s_and_saveexec_b64 s[10:11], s[2:3]
	s_xor_b64 s[2:3], exec, s[10:11]
                                        ; implicit-def: $vgpr186_vgpr187
	s_cbranch_execz .LBB89_50
; %bb.49:
	v_div_scale_f64 v[184:185], s[10:11], v[182:183], v[182:183], v[180:181]
	v_rcp_f64_e32 v[186:187], v[184:185]
	v_div_scale_f64 v[188:189], vcc, v[180:181], v[182:183], v[180:181]
	v_fma_f64 v[190:191], -v[184:185], v[186:187], 1.0
	v_fmac_f64_e32 v[186:187], v[186:187], v[190:191]
	v_fma_f64 v[190:191], -v[184:185], v[186:187], 1.0
	v_fmac_f64_e32 v[186:187], v[186:187], v[190:191]
	v_mul_f64 v[190:191], v[188:189], v[186:187]
	v_fma_f64 v[184:185], -v[184:185], v[190:191], v[188:189]
	v_div_fmas_f64 v[184:185], v[184:185], v[186:187], v[190:191]
	v_div_fixup_f64 v[184:185], v[184:185], v[182:183], v[180:181]
	v_fmac_f64_e32 v[182:183], v[180:181], v[184:185]
	v_div_scale_f64 v[180:181], s[10:11], v[182:183], v[182:183], 1.0
	v_rcp_f64_e32 v[186:187], v[180:181]
	s_nop 0
	v_fma_f64 v[188:189], -v[180:181], v[186:187], 1.0
	v_fmac_f64_e32 v[186:187], v[186:187], v[188:189]
	v_fma_f64 v[188:189], -v[180:181], v[186:187], 1.0
	v_fmac_f64_e32 v[186:187], v[186:187], v[188:189]
	v_div_scale_f64 v[188:189], vcc, 1.0, v[182:183], 1.0
	v_mul_f64 v[190:191], v[188:189], v[186:187]
	v_fma_f64 v[180:181], -v[180:181], v[190:191], v[188:189]
	s_nop 1
	v_div_fmas_f64 v[180:181], v[180:181], v[186:187], v[190:191]
	v_div_fixup_f64 v[186:187], v[180:181], v[182:183], 1.0
	v_mul_f64 v[184:185], v[184:185], v[186:187]
	v_xor_b32_e32 v187, 0x80000000, v187
                                        ; implicit-def: $vgpr180_vgpr181
.LBB89_50:
	s_andn2_saveexec_b64 s[2:3], s[2:3]
	s_cbranch_execz .LBB89_52
; %bb.51:
	v_div_scale_f64 v[184:185], s[10:11], v[180:181], v[180:181], v[182:183]
	v_rcp_f64_e32 v[186:187], v[184:185]
	v_div_scale_f64 v[188:189], vcc, v[182:183], v[180:181], v[182:183]
	v_fma_f64 v[190:191], -v[184:185], v[186:187], 1.0
	v_fmac_f64_e32 v[186:187], v[186:187], v[190:191]
	v_fma_f64 v[190:191], -v[184:185], v[186:187], 1.0
	v_fmac_f64_e32 v[186:187], v[186:187], v[190:191]
	v_mul_f64 v[190:191], v[188:189], v[186:187]
	v_fma_f64 v[184:185], -v[184:185], v[190:191], v[188:189]
	v_div_fmas_f64 v[184:185], v[184:185], v[186:187], v[190:191]
	v_div_fixup_f64 v[186:187], v[184:185], v[180:181], v[182:183]
	v_fmac_f64_e32 v[180:181], v[182:183], v[186:187]
	v_div_scale_f64 v[182:183], s[10:11], v[180:181], v[180:181], 1.0
	v_rcp_f64_e32 v[184:185], v[182:183]
	s_nop 0
	v_fma_f64 v[188:189], -v[182:183], v[184:185], 1.0
	v_fmac_f64_e32 v[184:185], v[184:185], v[188:189]
	v_fma_f64 v[188:189], -v[182:183], v[184:185], 1.0
	v_fmac_f64_e32 v[184:185], v[184:185], v[188:189]
	v_div_scale_f64 v[188:189], vcc, 1.0, v[180:181], 1.0
	v_mul_f64 v[190:191], v[188:189], v[184:185]
	v_fma_f64 v[182:183], -v[182:183], v[190:191], v[188:189]
	s_nop 1
	v_div_fmas_f64 v[182:183], v[182:183], v[184:185], v[190:191]
	v_div_fixup_f64 v[184:185], v[182:183], v[180:181], 1.0
	v_mul_f64 v[186:187], v[186:187], -v[184:185]
.LBB89_52:
	s_or_b64 exec, exec, s[2:3]
	ds_write2_b64 v208, v[184:185], v[186:187] offset1:1
.LBB89_53:
	s_or_b64 exec, exec, s[4:5]
	s_waitcnt lgkmcnt(0)
	s_barrier
	ds_read2_b64 v[180:183], v208 offset1:1
	v_cmp_lt_u32_e32 vcc, 5, v210
	s_waitcnt lgkmcnt(0)
	scratch_store_dwordx4 off, v[180:183], off offset:288 ; 16-byte Folded Spill
	s_and_saveexec_b64 s[2:3], vcc
	s_cbranch_execz .LBB89_55
; %bb.54:
	scratch_load_dwordx4 v[186:189], off, off offset:112 ; 16-byte Folded Reload
	scratch_load_dwordx4 v[182:185], off, off offset:288 ; 16-byte Folded Reload
	v_mov_b64_e32 v[168:169], v[152:153]
	s_waitcnt vmcnt(0)
	v_mul_f64 v[180:181], v[184:185], v[188:189]
	v_mul_f64 v[188:189], v[182:183], v[188:189]
	v_fma_f64 v[180:181], v[182:183], v[186:187], -v[180:181]
	v_fmac_f64_e32 v[188:189], v[184:185], v[186:187]
	ds_read2_b64 v[182:185], v209 offset0:12 offset1:13
	s_waitcnt lgkmcnt(0)
	v_mul_f64 v[152:153], v[184:185], v[188:189]
	v_fma_f64 v[152:153], v[182:183], v[180:181], -v[152:153]
	v_mul_f64 v[182:183], v[182:183], v[188:189]
	v_fmac_f64_e32 v[182:183], v[184:185], v[180:181]
	scratch_load_dwordx4 v[184:187], off, off offset:96 ; 16-byte Folded Reload
	s_waitcnt vmcnt(0)
	v_add_f64 v[184:185], v[184:185], -v[152:153]
	v_add_f64 v[186:187], v[186:187], -v[182:183]
	scratch_store_dwordx4 off, v[184:187], off offset:96 ; 16-byte Folded Spill
	ds_read2_b64 v[182:185], v209 offset0:14 offset1:15
	s_waitcnt lgkmcnt(0)
	v_mul_f64 v[152:153], v[184:185], v[188:189]
	v_fma_f64 v[152:153], v[182:183], v[180:181], -v[152:153]
	v_mul_f64 v[182:183], v[182:183], v[188:189]
	v_fmac_f64_e32 v[182:183], v[184:185], v[180:181]
	scratch_load_dwordx4 v[184:187], off, off offset:80 ; 16-byte Folded Reload
	s_waitcnt vmcnt(0)
	v_add_f64 v[184:185], v[184:185], -v[152:153]
	v_add_f64 v[186:187], v[186:187], -v[182:183]
	scratch_store_dwordx4 off, v[184:187], off offset:80 ; 16-byte Folded Spill
	;; [unrolled: 11-line block ×6, first 2 shown]
	ds_read2_b64 v[182:185], v209 offset0:24 offset1:25
	s_waitcnt lgkmcnt(0)
	v_mul_f64 v[152:153], v[184:185], v[188:189]
	v_fma_f64 v[152:153], v[182:183], v[180:181], -v[152:153]
	v_mul_f64 v[182:183], v[182:183], v[188:189]
	v_fmac_f64_e32 v[182:183], v[184:185], v[180:181]
	scratch_load_dwordx4 v[184:187], off, off ; 16-byte Folded Reload
	s_waitcnt vmcnt(0)
	v_add_f64 v[184:185], v[184:185], -v[152:153]
	v_add_f64 v[186:187], v[186:187], -v[182:183]
	scratch_store_dwordx4 off, v[184:187], off ; 16-byte Folded Spill
	ds_read2_b64 v[182:185], v209 offset0:26 offset1:27
	s_waitcnt lgkmcnt(0)
	v_mul_f64 v[152:153], v[184:185], v[188:189]
	v_fma_f64 v[152:153], v[182:183], v[180:181], -v[152:153]
	v_mul_f64 v[182:183], v[182:183], v[188:189]
	v_fmac_f64_e32 v[182:183], v[184:185], v[180:181]
	v_add_f64 v[254:255], v[254:255], -v[182:183]
	ds_read2_b64 v[182:185], v209 offset0:28 offset1:29
	v_add_f64 v[252:253], v[252:253], -v[152:153]
	v_mov_b64_e32 v[186:187], v[180:181]
	scratch_store_dwordx4 off, v[186:189], off offset:112 ; 16-byte Folded Spill
	s_waitcnt lgkmcnt(0)
	v_mul_f64 v[152:153], v[184:185], v[188:189]
	v_fma_f64 v[152:153], v[182:183], v[180:181], -v[152:153]
	v_mul_f64 v[182:183], v[182:183], v[188:189]
	v_fmac_f64_e32 v[182:183], v[184:185], v[180:181]
	v_add_f64 v[118:119], v[118:119], -v[182:183]
	ds_read2_b64 v[182:185], v209 offset0:30 offset1:31
	v_add_f64 v[116:117], v[116:117], -v[152:153]
	s_waitcnt lgkmcnt(0)
	v_mul_f64 v[152:153], v[184:185], v[188:189]
	v_fma_f64 v[152:153], v[182:183], v[180:181], -v[152:153]
	v_mul_f64 v[182:183], v[182:183], v[188:189]
	v_fmac_f64_e32 v[182:183], v[184:185], v[180:181]
	v_add_f64 v[114:115], v[114:115], -v[182:183]
	ds_read2_b64 v[182:185], v209 offset0:32 offset1:33
	v_add_f64 v[112:113], v[112:113], -v[152:153]
	;; [unrolled: 8-line block ×30, first 2 shown]
	s_waitcnt lgkmcnt(0)
	v_mul_f64 v[152:153], v[184:185], v[188:189]
	v_fma_f64 v[152:153], v[182:183], v[180:181], -v[152:153]
	v_mul_f64 v[182:183], v[182:183], v[188:189]
	v_fmac_f64_e32 v[182:183], v[184:185], v[180:181]
	v_add_f64 v[176:177], v[176:177], -v[152:153]
	v_mov_b64_e32 v[152:153], v[168:169]
	v_add_f64 v[178:179], v[178:179], -v[182:183]
.LBB89_55:
	s_or_b64 exec, exec, s[2:3]
	v_cmp_eq_u32_e32 vcc, 6, v210
	s_barrier
	s_and_saveexec_b64 s[4:5], vcc
	s_cbranch_execz .LBB89_62
; %bb.56:
	scratch_load_dwordx4 v[180:183], off, off offset:96 ; 16-byte Folded Reload
	s_waitcnt vmcnt(0)
	ds_write2_b64 v208, v[180:181], v[182:183] offset1:1
	scratch_load_dwordx4 v[180:183], off, off offset:80 ; 16-byte Folded Reload
	s_waitcnt vmcnt(0)
	ds_write2_b64 v209, v[180:181], v[182:183] offset0:14 offset1:15
	scratch_load_dwordx4 v[180:183], off, off offset:64 ; 16-byte Folded Reload
	s_waitcnt vmcnt(0)
	ds_write2_b64 v209, v[180:181], v[182:183] offset0:16 offset1:17
	scratch_load_dwordx4 v[180:183], off, off offset:48 ; 16-byte Folded Reload
	s_waitcnt vmcnt(0)
	ds_write2_b64 v209, v[180:181], v[182:183] offset0:18 offset1:19
	scratch_load_dwordx4 v[180:183], off, off offset:32 ; 16-byte Folded Reload
	s_waitcnt vmcnt(0)
	ds_write2_b64 v209, v[180:181], v[182:183] offset0:20 offset1:21
	scratch_load_dwordx4 v[180:183], off, off offset:16 ; 16-byte Folded Reload
	s_waitcnt vmcnt(0)
	ds_write2_b64 v209, v[180:181], v[182:183] offset0:22 offset1:23
	scratch_load_dwordx4 v[180:183], off, off ; 16-byte Folded Reload
	s_waitcnt vmcnt(0)
	ds_write2_b64 v209, v[180:181], v[182:183] offset0:24 offset1:25
	ds_write2_b64 v209, v[252:253], v[254:255] offset0:26 offset1:27
	ds_write2_b64 v209, v[116:117], v[118:119] offset0:28 offset1:29
	ds_write2_b64 v209, v[112:113], v[114:115] offset0:30 offset1:31
	ds_write2_b64 v209, v[108:109], v[110:111] offset0:32 offset1:33
	ds_write2_b64 v209, v[104:105], v[106:107] offset0:34 offset1:35
	ds_write2_b64 v209, v[100:101], v[102:103] offset0:36 offset1:37
	ds_write2_b64 v209, v[96:97], v[98:99] offset0:38 offset1:39
	ds_write2_b64 v209, v[92:93], v[94:95] offset0:40 offset1:41
	ds_write2_b64 v209, v[88:89], v[90:91] offset0:42 offset1:43
	ds_write2_b64 v209, v[84:85], v[86:87] offset0:44 offset1:45
	ds_write2_b64 v209, v[80:81], v[82:83] offset0:46 offset1:47
	ds_write2_b64 v209, v[76:77], v[78:79] offset0:48 offset1:49
	ds_write2_b64 v209, v[72:73], v[74:75] offset0:50 offset1:51
	ds_write2_b64 v209, v[68:69], v[70:71] offset0:52 offset1:53
	ds_write2_b64 v209, v[64:65], v[66:67] offset0:54 offset1:55
	ds_write2_b64 v209, v[60:61], v[62:63] offset0:56 offset1:57
	ds_write2_b64 v209, v[56:57], v[58:59] offset0:58 offset1:59
	ds_write2_b64 v209, v[52:53], v[54:55] offset0:60 offset1:61
	ds_write2_b64 v209, v[218:219], v[220:221] offset0:62 offset1:63
	ds_write2_b64 v209, v[44:45], v[46:47] offset0:64 offset1:65
	ds_write2_b64 v209, v[40:41], v[42:43] offset0:66 offset1:67
	ds_write2_b64 v209, v[36:37], v[38:39] offset0:68 offset1:69
	ds_write2_b64 v209, v[32:33], v[34:35] offset0:70 offset1:71
	ds_write2_b64 v209, v[28:29], v[30:31] offset0:72 offset1:73
	ds_write2_b64 v209, v[24:25], v[26:27] offset0:74 offset1:75
	ds_write2_b64 v209, v[20:21], v[22:23] offset0:76 offset1:77
	ds_write2_b64 v209, v[16:17], v[18:19] offset0:78 offset1:79
	ds_write2_b64 v209, v[12:13], v[14:15] offset0:80 offset1:81
	ds_write2_b64 v209, v[8:9], v[10:11] offset0:82 offset1:83
	ds_write2_b64 v209, v[4:5], v[6:7] offset0:84 offset1:85
	ds_write2_b64 v209, v[0:1], v[2:3] offset0:86 offset1:87
	ds_write2_b64 v209, v[176:177], v[178:179] offset0:88 offset1:89
	ds_read2_b64 v[180:183], v208 offset1:1
	s_waitcnt lgkmcnt(0)
	v_cmp_neq_f64_e32 vcc, 0, v[180:181]
	v_cmp_neq_f64_e64 s[2:3], 0, v[182:183]
	s_or_b64 s[2:3], vcc, s[2:3]
	s_and_b64 exec, exec, s[2:3]
	s_cbranch_execz .LBB89_62
; %bb.57:
	v_cmp_ngt_f64_e64 s[2:3], |v[180:181]|, |v[182:183]|
                                        ; implicit-def: $vgpr184_vgpr185
	s_and_saveexec_b64 s[10:11], s[2:3]
	s_xor_b64 s[2:3], exec, s[10:11]
                                        ; implicit-def: $vgpr186_vgpr187
	s_cbranch_execz .LBB89_59
; %bb.58:
	v_div_scale_f64 v[184:185], s[10:11], v[182:183], v[182:183], v[180:181]
	v_rcp_f64_e32 v[186:187], v[184:185]
	v_div_scale_f64 v[188:189], vcc, v[180:181], v[182:183], v[180:181]
	v_fma_f64 v[190:191], -v[184:185], v[186:187], 1.0
	v_fmac_f64_e32 v[186:187], v[186:187], v[190:191]
	v_fma_f64 v[190:191], -v[184:185], v[186:187], 1.0
	v_fmac_f64_e32 v[186:187], v[186:187], v[190:191]
	v_mul_f64 v[190:191], v[188:189], v[186:187]
	v_fma_f64 v[184:185], -v[184:185], v[190:191], v[188:189]
	v_div_fmas_f64 v[184:185], v[184:185], v[186:187], v[190:191]
	v_div_fixup_f64 v[184:185], v[184:185], v[182:183], v[180:181]
	v_fmac_f64_e32 v[182:183], v[180:181], v[184:185]
	v_div_scale_f64 v[180:181], s[10:11], v[182:183], v[182:183], 1.0
	v_rcp_f64_e32 v[186:187], v[180:181]
	s_nop 0
	v_fma_f64 v[188:189], -v[180:181], v[186:187], 1.0
	v_fmac_f64_e32 v[186:187], v[186:187], v[188:189]
	v_fma_f64 v[188:189], -v[180:181], v[186:187], 1.0
	v_fmac_f64_e32 v[186:187], v[186:187], v[188:189]
	v_div_scale_f64 v[188:189], vcc, 1.0, v[182:183], 1.0
	v_mul_f64 v[190:191], v[188:189], v[186:187]
	v_fma_f64 v[180:181], -v[180:181], v[190:191], v[188:189]
	s_nop 1
	v_div_fmas_f64 v[180:181], v[180:181], v[186:187], v[190:191]
	v_div_fixup_f64 v[186:187], v[180:181], v[182:183], 1.0
	v_mul_f64 v[184:185], v[184:185], v[186:187]
	v_xor_b32_e32 v187, 0x80000000, v187
                                        ; implicit-def: $vgpr180_vgpr181
.LBB89_59:
	s_andn2_saveexec_b64 s[2:3], s[2:3]
	s_cbranch_execz .LBB89_61
; %bb.60:
	v_div_scale_f64 v[184:185], s[10:11], v[180:181], v[180:181], v[182:183]
	v_rcp_f64_e32 v[186:187], v[184:185]
	v_div_scale_f64 v[188:189], vcc, v[182:183], v[180:181], v[182:183]
	v_fma_f64 v[190:191], -v[184:185], v[186:187], 1.0
	v_fmac_f64_e32 v[186:187], v[186:187], v[190:191]
	v_fma_f64 v[190:191], -v[184:185], v[186:187], 1.0
	v_fmac_f64_e32 v[186:187], v[186:187], v[190:191]
	v_mul_f64 v[190:191], v[188:189], v[186:187]
	v_fma_f64 v[184:185], -v[184:185], v[190:191], v[188:189]
	v_div_fmas_f64 v[184:185], v[184:185], v[186:187], v[190:191]
	v_div_fixup_f64 v[186:187], v[184:185], v[180:181], v[182:183]
	v_fmac_f64_e32 v[180:181], v[182:183], v[186:187]
	v_div_scale_f64 v[182:183], s[10:11], v[180:181], v[180:181], 1.0
	v_rcp_f64_e32 v[184:185], v[182:183]
	s_nop 0
	v_fma_f64 v[188:189], -v[182:183], v[184:185], 1.0
	v_fmac_f64_e32 v[184:185], v[184:185], v[188:189]
	v_fma_f64 v[188:189], -v[182:183], v[184:185], 1.0
	v_fmac_f64_e32 v[184:185], v[184:185], v[188:189]
	v_div_scale_f64 v[188:189], vcc, 1.0, v[180:181], 1.0
	v_mul_f64 v[190:191], v[188:189], v[184:185]
	v_fma_f64 v[182:183], -v[182:183], v[190:191], v[188:189]
	s_nop 1
	v_div_fmas_f64 v[182:183], v[182:183], v[184:185], v[190:191]
	v_div_fixup_f64 v[184:185], v[182:183], v[180:181], 1.0
	v_mul_f64 v[186:187], v[186:187], -v[184:185]
.LBB89_61:
	s_or_b64 exec, exec, s[2:3]
	ds_write2_b64 v208, v[184:185], v[186:187] offset1:1
.LBB89_62:
	s_or_b64 exec, exec, s[4:5]
	s_waitcnt lgkmcnt(0)
	s_barrier
	ds_read2_b64 v[180:183], v208 offset1:1
	v_cmp_lt_u32_e32 vcc, 6, v210
	s_waitcnt lgkmcnt(0)
	scratch_store_dwordx4 off, v[180:183], off offset:304 ; 16-byte Folded Spill
	s_and_saveexec_b64 s[2:3], vcc
	s_cbranch_execz .LBB89_64
; %bb.63:
	scratch_load_dwordx4 v[186:189], off, off offset:96 ; 16-byte Folded Reload
	scratch_load_dwordx4 v[182:185], off, off offset:304 ; 16-byte Folded Reload
	v_mov_b64_e32 v[168:169], v[148:149]
	s_waitcnt vmcnt(0)
	v_mul_f64 v[180:181], v[184:185], v[188:189]
	v_mul_f64 v[188:189], v[182:183], v[188:189]
	v_fma_f64 v[180:181], v[182:183], v[186:187], -v[180:181]
	v_fmac_f64_e32 v[188:189], v[184:185], v[186:187]
	ds_read2_b64 v[182:185], v209 offset0:14 offset1:15
	s_waitcnt lgkmcnt(0)
	v_mul_f64 v[148:149], v[184:185], v[188:189]
	v_fma_f64 v[148:149], v[182:183], v[180:181], -v[148:149]
	v_mul_f64 v[182:183], v[182:183], v[188:189]
	v_fmac_f64_e32 v[182:183], v[184:185], v[180:181]
	scratch_load_dwordx4 v[184:187], off, off offset:80 ; 16-byte Folded Reload
	s_waitcnt vmcnt(0)
	v_add_f64 v[184:185], v[184:185], -v[148:149]
	v_add_f64 v[186:187], v[186:187], -v[182:183]
	scratch_store_dwordx4 off, v[184:187], off offset:80 ; 16-byte Folded Spill
	ds_read2_b64 v[182:185], v209 offset0:16 offset1:17
	s_waitcnt lgkmcnt(0)
	v_mul_f64 v[148:149], v[184:185], v[188:189]
	v_fma_f64 v[148:149], v[182:183], v[180:181], -v[148:149]
	v_mul_f64 v[182:183], v[182:183], v[188:189]
	v_fmac_f64_e32 v[182:183], v[184:185], v[180:181]
	scratch_load_dwordx4 v[184:187], off, off offset:64 ; 16-byte Folded Reload
	s_waitcnt vmcnt(0)
	v_add_f64 v[184:185], v[184:185], -v[148:149]
	v_add_f64 v[186:187], v[186:187], -v[182:183]
	scratch_store_dwordx4 off, v[184:187], off offset:64 ; 16-byte Folded Spill
	;; [unrolled: 11-line block ×5, first 2 shown]
	ds_read2_b64 v[182:185], v209 offset0:24 offset1:25
	s_waitcnt lgkmcnt(0)
	v_mul_f64 v[148:149], v[184:185], v[188:189]
	v_fma_f64 v[148:149], v[182:183], v[180:181], -v[148:149]
	v_mul_f64 v[182:183], v[182:183], v[188:189]
	v_fmac_f64_e32 v[182:183], v[184:185], v[180:181]
	scratch_load_dwordx4 v[184:187], off, off ; 16-byte Folded Reload
	s_waitcnt vmcnt(0)
	v_add_f64 v[184:185], v[184:185], -v[148:149]
	v_add_f64 v[186:187], v[186:187], -v[182:183]
	scratch_store_dwordx4 off, v[184:187], off ; 16-byte Folded Spill
	ds_read2_b64 v[182:185], v209 offset0:26 offset1:27
	s_waitcnt lgkmcnt(0)
	v_mul_f64 v[148:149], v[184:185], v[188:189]
	v_fma_f64 v[148:149], v[182:183], v[180:181], -v[148:149]
	v_mul_f64 v[182:183], v[182:183], v[188:189]
	v_fmac_f64_e32 v[182:183], v[184:185], v[180:181]
	v_add_f64 v[254:255], v[254:255], -v[182:183]
	ds_read2_b64 v[182:185], v209 offset0:28 offset1:29
	v_add_f64 v[252:253], v[252:253], -v[148:149]
	v_mov_b64_e32 v[186:187], v[180:181]
	scratch_store_dwordx4 off, v[186:189], off offset:96 ; 16-byte Folded Spill
	s_waitcnt lgkmcnt(0)
	v_mul_f64 v[148:149], v[184:185], v[188:189]
	v_fma_f64 v[148:149], v[182:183], v[180:181], -v[148:149]
	v_mul_f64 v[182:183], v[182:183], v[188:189]
	v_fmac_f64_e32 v[182:183], v[184:185], v[180:181]
	v_add_f64 v[118:119], v[118:119], -v[182:183]
	ds_read2_b64 v[182:185], v209 offset0:30 offset1:31
	v_add_f64 v[116:117], v[116:117], -v[148:149]
	s_waitcnt lgkmcnt(0)
	v_mul_f64 v[148:149], v[184:185], v[188:189]
	v_fma_f64 v[148:149], v[182:183], v[180:181], -v[148:149]
	v_mul_f64 v[182:183], v[182:183], v[188:189]
	v_fmac_f64_e32 v[182:183], v[184:185], v[180:181]
	v_add_f64 v[114:115], v[114:115], -v[182:183]
	ds_read2_b64 v[182:185], v209 offset0:32 offset1:33
	v_add_f64 v[112:113], v[112:113], -v[148:149]
	;; [unrolled: 8-line block ×30, first 2 shown]
	s_waitcnt lgkmcnt(0)
	v_mul_f64 v[148:149], v[184:185], v[188:189]
	v_fma_f64 v[148:149], v[182:183], v[180:181], -v[148:149]
	v_mul_f64 v[182:183], v[182:183], v[188:189]
	v_fmac_f64_e32 v[182:183], v[184:185], v[180:181]
	v_add_f64 v[176:177], v[176:177], -v[148:149]
	v_mov_b64_e32 v[148:149], v[168:169]
	v_add_f64 v[178:179], v[178:179], -v[182:183]
.LBB89_64:
	s_or_b64 exec, exec, s[2:3]
	v_cmp_eq_u32_e32 vcc, 7, v210
	s_barrier
	s_and_saveexec_b64 s[4:5], vcc
	s_cbranch_execz .LBB89_71
; %bb.65:
	scratch_load_dwordx4 v[180:183], off, off offset:80 ; 16-byte Folded Reload
	s_waitcnt vmcnt(0)
	ds_write2_b64 v208, v[180:181], v[182:183] offset1:1
	scratch_load_dwordx4 v[180:183], off, off offset:64 ; 16-byte Folded Reload
	s_waitcnt vmcnt(0)
	ds_write2_b64 v209, v[180:181], v[182:183] offset0:16 offset1:17
	scratch_load_dwordx4 v[180:183], off, off offset:48 ; 16-byte Folded Reload
	s_waitcnt vmcnt(0)
	ds_write2_b64 v209, v[180:181], v[182:183] offset0:18 offset1:19
	;; [unrolled: 3-line block ×4, first 2 shown]
	scratch_load_dwordx4 v[180:183], off, off ; 16-byte Folded Reload
	s_waitcnt vmcnt(0)
	ds_write2_b64 v209, v[180:181], v[182:183] offset0:24 offset1:25
	ds_write2_b64 v209, v[252:253], v[254:255] offset0:26 offset1:27
	;; [unrolled: 1-line block ×33, first 2 shown]
	ds_read2_b64 v[180:183], v208 offset1:1
	s_waitcnt lgkmcnt(0)
	v_cmp_neq_f64_e32 vcc, 0, v[180:181]
	v_cmp_neq_f64_e64 s[2:3], 0, v[182:183]
	s_or_b64 s[2:3], vcc, s[2:3]
	s_and_b64 exec, exec, s[2:3]
	s_cbranch_execz .LBB89_71
; %bb.66:
	v_cmp_ngt_f64_e64 s[2:3], |v[180:181]|, |v[182:183]|
                                        ; implicit-def: $vgpr184_vgpr185
	s_and_saveexec_b64 s[10:11], s[2:3]
	s_xor_b64 s[2:3], exec, s[10:11]
                                        ; implicit-def: $vgpr186_vgpr187
	s_cbranch_execz .LBB89_68
; %bb.67:
	v_div_scale_f64 v[184:185], s[10:11], v[182:183], v[182:183], v[180:181]
	v_rcp_f64_e32 v[186:187], v[184:185]
	v_div_scale_f64 v[188:189], vcc, v[180:181], v[182:183], v[180:181]
	v_fma_f64 v[190:191], -v[184:185], v[186:187], 1.0
	v_fmac_f64_e32 v[186:187], v[186:187], v[190:191]
	v_fma_f64 v[190:191], -v[184:185], v[186:187], 1.0
	v_fmac_f64_e32 v[186:187], v[186:187], v[190:191]
	v_mul_f64 v[190:191], v[188:189], v[186:187]
	v_fma_f64 v[184:185], -v[184:185], v[190:191], v[188:189]
	v_div_fmas_f64 v[184:185], v[184:185], v[186:187], v[190:191]
	v_div_fixup_f64 v[184:185], v[184:185], v[182:183], v[180:181]
	v_fmac_f64_e32 v[182:183], v[180:181], v[184:185]
	v_div_scale_f64 v[180:181], s[10:11], v[182:183], v[182:183], 1.0
	v_rcp_f64_e32 v[186:187], v[180:181]
	s_nop 0
	v_fma_f64 v[188:189], -v[180:181], v[186:187], 1.0
	v_fmac_f64_e32 v[186:187], v[186:187], v[188:189]
	v_fma_f64 v[188:189], -v[180:181], v[186:187], 1.0
	v_fmac_f64_e32 v[186:187], v[186:187], v[188:189]
	v_div_scale_f64 v[188:189], vcc, 1.0, v[182:183], 1.0
	v_mul_f64 v[190:191], v[188:189], v[186:187]
	v_fma_f64 v[180:181], -v[180:181], v[190:191], v[188:189]
	s_nop 1
	v_div_fmas_f64 v[180:181], v[180:181], v[186:187], v[190:191]
	v_div_fixup_f64 v[186:187], v[180:181], v[182:183], 1.0
	v_mul_f64 v[184:185], v[184:185], v[186:187]
	v_xor_b32_e32 v187, 0x80000000, v187
                                        ; implicit-def: $vgpr180_vgpr181
.LBB89_68:
	s_andn2_saveexec_b64 s[2:3], s[2:3]
	s_cbranch_execz .LBB89_70
; %bb.69:
	v_div_scale_f64 v[184:185], s[10:11], v[180:181], v[180:181], v[182:183]
	v_rcp_f64_e32 v[186:187], v[184:185]
	v_div_scale_f64 v[188:189], vcc, v[182:183], v[180:181], v[182:183]
	v_fma_f64 v[190:191], -v[184:185], v[186:187], 1.0
	v_fmac_f64_e32 v[186:187], v[186:187], v[190:191]
	v_fma_f64 v[190:191], -v[184:185], v[186:187], 1.0
	v_fmac_f64_e32 v[186:187], v[186:187], v[190:191]
	v_mul_f64 v[190:191], v[188:189], v[186:187]
	v_fma_f64 v[184:185], -v[184:185], v[190:191], v[188:189]
	v_div_fmas_f64 v[184:185], v[184:185], v[186:187], v[190:191]
	v_div_fixup_f64 v[186:187], v[184:185], v[180:181], v[182:183]
	v_fmac_f64_e32 v[180:181], v[182:183], v[186:187]
	v_div_scale_f64 v[182:183], s[10:11], v[180:181], v[180:181], 1.0
	v_rcp_f64_e32 v[184:185], v[182:183]
	s_nop 0
	v_fma_f64 v[188:189], -v[182:183], v[184:185], 1.0
	v_fmac_f64_e32 v[184:185], v[184:185], v[188:189]
	v_fma_f64 v[188:189], -v[182:183], v[184:185], 1.0
	v_fmac_f64_e32 v[184:185], v[184:185], v[188:189]
	v_div_scale_f64 v[188:189], vcc, 1.0, v[180:181], 1.0
	v_mul_f64 v[190:191], v[188:189], v[184:185]
	v_fma_f64 v[182:183], -v[182:183], v[190:191], v[188:189]
	s_nop 1
	v_div_fmas_f64 v[182:183], v[182:183], v[184:185], v[190:191]
	v_div_fixup_f64 v[184:185], v[182:183], v[180:181], 1.0
	v_mul_f64 v[186:187], v[186:187], -v[184:185]
.LBB89_70:
	s_or_b64 exec, exec, s[2:3]
	ds_write2_b64 v208, v[184:185], v[186:187] offset1:1
.LBB89_71:
	s_or_b64 exec, exec, s[4:5]
	s_waitcnt lgkmcnt(0)
	s_barrier
	ds_read2_b64 v[180:183], v208 offset1:1
	v_cmp_lt_u32_e32 vcc, 7, v210
	s_waitcnt lgkmcnt(0)
	scratch_store_dwordx4 off, v[180:183], off offset:320 ; 16-byte Folded Spill
	s_and_saveexec_b64 s[2:3], vcc
	s_cbranch_execz .LBB89_73
; %bb.72:
	scratch_load_dwordx4 v[186:189], off, off offset:80 ; 16-byte Folded Reload
	scratch_load_dwordx4 v[182:185], off, off offset:320 ; 16-byte Folded Reload
	v_mov_b64_e32 v[168:169], v[144:145]
	s_waitcnt vmcnt(0)
	v_mul_f64 v[180:181], v[184:185], v[188:189]
	v_mul_f64 v[188:189], v[182:183], v[188:189]
	v_fma_f64 v[180:181], v[182:183], v[186:187], -v[180:181]
	v_fmac_f64_e32 v[188:189], v[184:185], v[186:187]
	ds_read2_b64 v[182:185], v209 offset0:16 offset1:17
	s_waitcnt lgkmcnt(0)
	v_mul_f64 v[144:145], v[184:185], v[188:189]
	v_fma_f64 v[144:145], v[182:183], v[180:181], -v[144:145]
	v_mul_f64 v[182:183], v[182:183], v[188:189]
	v_fmac_f64_e32 v[182:183], v[184:185], v[180:181]
	scratch_load_dwordx4 v[184:187], off, off offset:64 ; 16-byte Folded Reload
	s_waitcnt vmcnt(0)
	v_add_f64 v[184:185], v[184:185], -v[144:145]
	v_add_f64 v[186:187], v[186:187], -v[182:183]
	scratch_store_dwordx4 off, v[184:187], off offset:64 ; 16-byte Folded Spill
	ds_read2_b64 v[182:185], v209 offset0:18 offset1:19
	s_waitcnt lgkmcnt(0)
	v_mul_f64 v[144:145], v[184:185], v[188:189]
	v_fma_f64 v[144:145], v[182:183], v[180:181], -v[144:145]
	v_mul_f64 v[182:183], v[182:183], v[188:189]
	v_fmac_f64_e32 v[182:183], v[184:185], v[180:181]
	scratch_load_dwordx4 v[184:187], off, off offset:48 ; 16-byte Folded Reload
	s_waitcnt vmcnt(0)
	v_add_f64 v[184:185], v[184:185], -v[144:145]
	v_add_f64 v[186:187], v[186:187], -v[182:183]
	scratch_store_dwordx4 off, v[184:187], off offset:48 ; 16-byte Folded Spill
	ds_read2_b64 v[182:185], v209 offset0:20 offset1:21
	s_waitcnt lgkmcnt(0)
	v_mul_f64 v[144:145], v[184:185], v[188:189]
	v_fma_f64 v[144:145], v[182:183], v[180:181], -v[144:145]
	v_mul_f64 v[182:183], v[182:183], v[188:189]
	v_fmac_f64_e32 v[182:183], v[184:185], v[180:181]
	scratch_load_dwordx4 v[184:187], off, off offset:32 ; 16-byte Folded Reload
	s_waitcnt vmcnt(0)
	v_add_f64 v[184:185], v[184:185], -v[144:145]
	v_add_f64 v[186:187], v[186:187], -v[182:183]
	scratch_store_dwordx4 off, v[184:187], off offset:32 ; 16-byte Folded Spill
	ds_read2_b64 v[182:185], v209 offset0:22 offset1:23
	s_waitcnt lgkmcnt(0)
	v_mul_f64 v[144:145], v[184:185], v[188:189]
	v_fma_f64 v[144:145], v[182:183], v[180:181], -v[144:145]
	v_mul_f64 v[182:183], v[182:183], v[188:189]
	v_fmac_f64_e32 v[182:183], v[184:185], v[180:181]
	scratch_load_dwordx4 v[184:187], off, off offset:16 ; 16-byte Folded Reload
	s_waitcnt vmcnt(0)
	v_add_f64 v[184:185], v[184:185], -v[144:145]
	v_add_f64 v[186:187], v[186:187], -v[182:183]
	scratch_store_dwordx4 off, v[184:187], off offset:16 ; 16-byte Folded Spill
	ds_read2_b64 v[182:185], v209 offset0:24 offset1:25
	s_waitcnt lgkmcnt(0)
	v_mul_f64 v[144:145], v[184:185], v[188:189]
	v_fma_f64 v[144:145], v[182:183], v[180:181], -v[144:145]
	v_mul_f64 v[182:183], v[182:183], v[188:189]
	v_fmac_f64_e32 v[182:183], v[184:185], v[180:181]
	scratch_load_dwordx4 v[184:187], off, off ; 16-byte Folded Reload
	s_waitcnt vmcnt(0)
	v_add_f64 v[184:185], v[184:185], -v[144:145]
	v_add_f64 v[186:187], v[186:187], -v[182:183]
	scratch_store_dwordx4 off, v[184:187], off ; 16-byte Folded Spill
	ds_read2_b64 v[182:185], v209 offset0:26 offset1:27
	s_waitcnt lgkmcnt(0)
	v_mul_f64 v[144:145], v[184:185], v[188:189]
	v_fma_f64 v[144:145], v[182:183], v[180:181], -v[144:145]
	v_mul_f64 v[182:183], v[182:183], v[188:189]
	v_fmac_f64_e32 v[182:183], v[184:185], v[180:181]
	v_add_f64 v[254:255], v[254:255], -v[182:183]
	ds_read2_b64 v[182:185], v209 offset0:28 offset1:29
	v_add_f64 v[252:253], v[252:253], -v[144:145]
	v_mov_b64_e32 v[186:187], v[180:181]
	scratch_store_dwordx4 off, v[186:189], off offset:80 ; 16-byte Folded Spill
	s_waitcnt lgkmcnt(0)
	v_mul_f64 v[144:145], v[184:185], v[188:189]
	v_fma_f64 v[144:145], v[182:183], v[180:181], -v[144:145]
	v_mul_f64 v[182:183], v[182:183], v[188:189]
	v_fmac_f64_e32 v[182:183], v[184:185], v[180:181]
	v_add_f64 v[118:119], v[118:119], -v[182:183]
	ds_read2_b64 v[182:185], v209 offset0:30 offset1:31
	v_add_f64 v[116:117], v[116:117], -v[144:145]
	s_waitcnt lgkmcnt(0)
	v_mul_f64 v[144:145], v[184:185], v[188:189]
	v_fma_f64 v[144:145], v[182:183], v[180:181], -v[144:145]
	v_mul_f64 v[182:183], v[182:183], v[188:189]
	v_fmac_f64_e32 v[182:183], v[184:185], v[180:181]
	v_add_f64 v[114:115], v[114:115], -v[182:183]
	ds_read2_b64 v[182:185], v209 offset0:32 offset1:33
	v_add_f64 v[112:113], v[112:113], -v[144:145]
	;; [unrolled: 8-line block ×30, first 2 shown]
	s_waitcnt lgkmcnt(0)
	v_mul_f64 v[144:145], v[184:185], v[188:189]
	v_fma_f64 v[144:145], v[182:183], v[180:181], -v[144:145]
	v_mul_f64 v[182:183], v[182:183], v[188:189]
	v_fmac_f64_e32 v[182:183], v[184:185], v[180:181]
	v_add_f64 v[176:177], v[176:177], -v[144:145]
	v_mov_b64_e32 v[144:145], v[168:169]
	v_add_f64 v[178:179], v[178:179], -v[182:183]
.LBB89_73:
	s_or_b64 exec, exec, s[2:3]
	v_cmp_eq_u32_e32 vcc, 8, v210
	s_barrier
	s_and_saveexec_b64 s[4:5], vcc
	s_cbranch_execz .LBB89_80
; %bb.74:
	scratch_load_dwordx4 v[180:183], off, off offset:64 ; 16-byte Folded Reload
	s_waitcnt vmcnt(0)
	ds_write2_b64 v208, v[180:181], v[182:183] offset1:1
	scratch_load_dwordx4 v[180:183], off, off offset:48 ; 16-byte Folded Reload
	s_waitcnt vmcnt(0)
	ds_write2_b64 v209, v[180:181], v[182:183] offset0:18 offset1:19
	scratch_load_dwordx4 v[180:183], off, off offset:32 ; 16-byte Folded Reload
	s_waitcnt vmcnt(0)
	ds_write2_b64 v209, v[180:181], v[182:183] offset0:20 offset1:21
	;; [unrolled: 3-line block ×3, first 2 shown]
	scratch_load_dwordx4 v[180:183], off, off ; 16-byte Folded Reload
	s_waitcnt vmcnt(0)
	ds_write2_b64 v209, v[180:181], v[182:183] offset0:24 offset1:25
	ds_write2_b64 v209, v[252:253], v[254:255] offset0:26 offset1:27
	;; [unrolled: 1-line block ×33, first 2 shown]
	ds_read2_b64 v[180:183], v208 offset1:1
	s_waitcnt lgkmcnt(0)
	v_cmp_neq_f64_e32 vcc, 0, v[180:181]
	v_cmp_neq_f64_e64 s[2:3], 0, v[182:183]
	s_or_b64 s[2:3], vcc, s[2:3]
	s_and_b64 exec, exec, s[2:3]
	s_cbranch_execz .LBB89_80
; %bb.75:
	v_cmp_ngt_f64_e64 s[2:3], |v[180:181]|, |v[182:183]|
                                        ; implicit-def: $vgpr184_vgpr185
	s_and_saveexec_b64 s[10:11], s[2:3]
	s_xor_b64 s[2:3], exec, s[10:11]
                                        ; implicit-def: $vgpr186_vgpr187
	s_cbranch_execz .LBB89_77
; %bb.76:
	v_div_scale_f64 v[184:185], s[10:11], v[182:183], v[182:183], v[180:181]
	v_rcp_f64_e32 v[186:187], v[184:185]
	v_div_scale_f64 v[188:189], vcc, v[180:181], v[182:183], v[180:181]
	v_fma_f64 v[190:191], -v[184:185], v[186:187], 1.0
	v_fmac_f64_e32 v[186:187], v[186:187], v[190:191]
	v_fma_f64 v[190:191], -v[184:185], v[186:187], 1.0
	v_fmac_f64_e32 v[186:187], v[186:187], v[190:191]
	v_mul_f64 v[190:191], v[188:189], v[186:187]
	v_fma_f64 v[184:185], -v[184:185], v[190:191], v[188:189]
	v_div_fmas_f64 v[184:185], v[184:185], v[186:187], v[190:191]
	v_div_fixup_f64 v[184:185], v[184:185], v[182:183], v[180:181]
	v_fmac_f64_e32 v[182:183], v[180:181], v[184:185]
	v_div_scale_f64 v[180:181], s[10:11], v[182:183], v[182:183], 1.0
	v_rcp_f64_e32 v[186:187], v[180:181]
	s_nop 0
	v_fma_f64 v[188:189], -v[180:181], v[186:187], 1.0
	v_fmac_f64_e32 v[186:187], v[186:187], v[188:189]
	v_fma_f64 v[188:189], -v[180:181], v[186:187], 1.0
	v_fmac_f64_e32 v[186:187], v[186:187], v[188:189]
	v_div_scale_f64 v[188:189], vcc, 1.0, v[182:183], 1.0
	v_mul_f64 v[190:191], v[188:189], v[186:187]
	v_fma_f64 v[180:181], -v[180:181], v[190:191], v[188:189]
	s_nop 1
	v_div_fmas_f64 v[180:181], v[180:181], v[186:187], v[190:191]
	v_div_fixup_f64 v[186:187], v[180:181], v[182:183], 1.0
	v_mul_f64 v[184:185], v[184:185], v[186:187]
	v_xor_b32_e32 v187, 0x80000000, v187
                                        ; implicit-def: $vgpr180_vgpr181
.LBB89_77:
	s_andn2_saveexec_b64 s[2:3], s[2:3]
	s_cbranch_execz .LBB89_79
; %bb.78:
	v_div_scale_f64 v[184:185], s[10:11], v[180:181], v[180:181], v[182:183]
	v_rcp_f64_e32 v[186:187], v[184:185]
	v_div_scale_f64 v[188:189], vcc, v[182:183], v[180:181], v[182:183]
	v_fma_f64 v[190:191], -v[184:185], v[186:187], 1.0
	v_fmac_f64_e32 v[186:187], v[186:187], v[190:191]
	v_fma_f64 v[190:191], -v[184:185], v[186:187], 1.0
	v_fmac_f64_e32 v[186:187], v[186:187], v[190:191]
	v_mul_f64 v[190:191], v[188:189], v[186:187]
	v_fma_f64 v[184:185], -v[184:185], v[190:191], v[188:189]
	v_div_fmas_f64 v[184:185], v[184:185], v[186:187], v[190:191]
	v_div_fixup_f64 v[186:187], v[184:185], v[180:181], v[182:183]
	v_fmac_f64_e32 v[180:181], v[182:183], v[186:187]
	v_div_scale_f64 v[182:183], s[10:11], v[180:181], v[180:181], 1.0
	v_rcp_f64_e32 v[184:185], v[182:183]
	s_nop 0
	v_fma_f64 v[188:189], -v[182:183], v[184:185], 1.0
	v_fmac_f64_e32 v[184:185], v[184:185], v[188:189]
	v_fma_f64 v[188:189], -v[182:183], v[184:185], 1.0
	v_fmac_f64_e32 v[184:185], v[184:185], v[188:189]
	v_div_scale_f64 v[188:189], vcc, 1.0, v[180:181], 1.0
	v_mul_f64 v[190:191], v[188:189], v[184:185]
	v_fma_f64 v[182:183], -v[182:183], v[190:191], v[188:189]
	s_nop 1
	v_div_fmas_f64 v[182:183], v[182:183], v[184:185], v[190:191]
	v_div_fixup_f64 v[184:185], v[182:183], v[180:181], 1.0
	v_mul_f64 v[186:187], v[186:187], -v[184:185]
.LBB89_79:
	s_or_b64 exec, exec, s[2:3]
	ds_write2_b64 v208, v[184:185], v[186:187] offset1:1
.LBB89_80:
	s_or_b64 exec, exec, s[4:5]
	s_waitcnt lgkmcnt(0)
	s_barrier
	ds_read2_b64 v[180:183], v208 offset1:1
	v_cmp_lt_u32_e32 vcc, 8, v210
	s_waitcnt lgkmcnt(0)
	scratch_store_dwordx4 off, v[180:183], off offset:336 ; 16-byte Folded Spill
	s_and_saveexec_b64 s[2:3], vcc
	s_cbranch_execz .LBB89_82
; %bb.81:
	scratch_load_dwordx4 v[186:189], off, off offset:64 ; 16-byte Folded Reload
	scratch_load_dwordx4 v[182:185], off, off offset:336 ; 16-byte Folded Reload
	v_mov_b64_e32 v[168:169], v[140:141]
	s_waitcnt vmcnt(0)
	v_mul_f64 v[180:181], v[184:185], v[188:189]
	v_mul_f64 v[188:189], v[182:183], v[188:189]
	v_fma_f64 v[180:181], v[182:183], v[186:187], -v[180:181]
	v_fmac_f64_e32 v[188:189], v[184:185], v[186:187]
	ds_read2_b64 v[182:185], v209 offset0:18 offset1:19
	s_waitcnt lgkmcnt(0)
	v_mul_f64 v[140:141], v[184:185], v[188:189]
	v_fma_f64 v[140:141], v[182:183], v[180:181], -v[140:141]
	v_mul_f64 v[182:183], v[182:183], v[188:189]
	v_fmac_f64_e32 v[182:183], v[184:185], v[180:181]
	scratch_load_dwordx4 v[184:187], off, off offset:48 ; 16-byte Folded Reload
	s_waitcnt vmcnt(0)
	v_add_f64 v[184:185], v[184:185], -v[140:141]
	v_add_f64 v[186:187], v[186:187], -v[182:183]
	scratch_store_dwordx4 off, v[184:187], off offset:48 ; 16-byte Folded Spill
	ds_read2_b64 v[182:185], v209 offset0:20 offset1:21
	s_waitcnt lgkmcnt(0)
	v_mul_f64 v[140:141], v[184:185], v[188:189]
	v_fma_f64 v[140:141], v[182:183], v[180:181], -v[140:141]
	v_mul_f64 v[182:183], v[182:183], v[188:189]
	v_fmac_f64_e32 v[182:183], v[184:185], v[180:181]
	scratch_load_dwordx4 v[184:187], off, off offset:32 ; 16-byte Folded Reload
	s_waitcnt vmcnt(0)
	v_add_f64 v[184:185], v[184:185], -v[140:141]
	v_add_f64 v[186:187], v[186:187], -v[182:183]
	scratch_store_dwordx4 off, v[184:187], off offset:32 ; 16-byte Folded Spill
	;; [unrolled: 11-line block ×3, first 2 shown]
	ds_read2_b64 v[182:185], v209 offset0:24 offset1:25
	s_waitcnt lgkmcnt(0)
	v_mul_f64 v[140:141], v[184:185], v[188:189]
	v_fma_f64 v[140:141], v[182:183], v[180:181], -v[140:141]
	v_mul_f64 v[182:183], v[182:183], v[188:189]
	v_fmac_f64_e32 v[182:183], v[184:185], v[180:181]
	scratch_load_dwordx4 v[184:187], off, off ; 16-byte Folded Reload
	s_waitcnt vmcnt(0)
	v_add_f64 v[184:185], v[184:185], -v[140:141]
	v_add_f64 v[186:187], v[186:187], -v[182:183]
	scratch_store_dwordx4 off, v[184:187], off ; 16-byte Folded Spill
	ds_read2_b64 v[182:185], v209 offset0:26 offset1:27
	s_waitcnt lgkmcnt(0)
	v_mul_f64 v[140:141], v[184:185], v[188:189]
	v_fma_f64 v[140:141], v[182:183], v[180:181], -v[140:141]
	v_mul_f64 v[182:183], v[182:183], v[188:189]
	v_fmac_f64_e32 v[182:183], v[184:185], v[180:181]
	v_add_f64 v[254:255], v[254:255], -v[182:183]
	ds_read2_b64 v[182:185], v209 offset0:28 offset1:29
	v_add_f64 v[252:253], v[252:253], -v[140:141]
	v_mov_b64_e32 v[186:187], v[180:181]
	scratch_store_dwordx4 off, v[186:189], off offset:64 ; 16-byte Folded Spill
	s_waitcnt lgkmcnt(0)
	v_mul_f64 v[140:141], v[184:185], v[188:189]
	v_fma_f64 v[140:141], v[182:183], v[180:181], -v[140:141]
	v_mul_f64 v[182:183], v[182:183], v[188:189]
	v_fmac_f64_e32 v[182:183], v[184:185], v[180:181]
	v_add_f64 v[118:119], v[118:119], -v[182:183]
	ds_read2_b64 v[182:185], v209 offset0:30 offset1:31
	v_add_f64 v[116:117], v[116:117], -v[140:141]
	s_waitcnt lgkmcnt(0)
	v_mul_f64 v[140:141], v[184:185], v[188:189]
	v_fma_f64 v[140:141], v[182:183], v[180:181], -v[140:141]
	v_mul_f64 v[182:183], v[182:183], v[188:189]
	v_fmac_f64_e32 v[182:183], v[184:185], v[180:181]
	v_add_f64 v[114:115], v[114:115], -v[182:183]
	ds_read2_b64 v[182:185], v209 offset0:32 offset1:33
	v_add_f64 v[112:113], v[112:113], -v[140:141]
	;; [unrolled: 8-line block ×30, first 2 shown]
	s_waitcnt lgkmcnt(0)
	v_mul_f64 v[140:141], v[184:185], v[188:189]
	v_fma_f64 v[140:141], v[182:183], v[180:181], -v[140:141]
	v_mul_f64 v[182:183], v[182:183], v[188:189]
	v_fmac_f64_e32 v[182:183], v[184:185], v[180:181]
	v_add_f64 v[176:177], v[176:177], -v[140:141]
	v_mov_b64_e32 v[140:141], v[168:169]
	v_add_f64 v[178:179], v[178:179], -v[182:183]
.LBB89_82:
	s_or_b64 exec, exec, s[2:3]
	v_cmp_eq_u32_e32 vcc, 9, v210
	s_barrier
	s_and_saveexec_b64 s[4:5], vcc
	s_cbranch_execz .LBB89_89
; %bb.83:
	scratch_load_dwordx4 v[180:183], off, off offset:48 ; 16-byte Folded Reload
	s_waitcnt vmcnt(0)
	ds_write2_b64 v208, v[180:181], v[182:183] offset1:1
	scratch_load_dwordx4 v[180:183], off, off offset:32 ; 16-byte Folded Reload
	s_waitcnt vmcnt(0)
	ds_write2_b64 v209, v[180:181], v[182:183] offset0:20 offset1:21
	scratch_load_dwordx4 v[180:183], off, off offset:16 ; 16-byte Folded Reload
	s_waitcnt vmcnt(0)
	ds_write2_b64 v209, v[180:181], v[182:183] offset0:22 offset1:23
	scratch_load_dwordx4 v[180:183], off, off ; 16-byte Folded Reload
	s_waitcnt vmcnt(0)
	ds_write2_b64 v209, v[180:181], v[182:183] offset0:24 offset1:25
	ds_write2_b64 v209, v[252:253], v[254:255] offset0:26 offset1:27
	;; [unrolled: 1-line block ×33, first 2 shown]
	ds_read2_b64 v[180:183], v208 offset1:1
	s_waitcnt lgkmcnt(0)
	v_cmp_neq_f64_e32 vcc, 0, v[180:181]
	v_cmp_neq_f64_e64 s[2:3], 0, v[182:183]
	s_or_b64 s[2:3], vcc, s[2:3]
	s_and_b64 exec, exec, s[2:3]
	s_cbranch_execz .LBB89_89
; %bb.84:
	v_cmp_ngt_f64_e64 s[2:3], |v[180:181]|, |v[182:183]|
                                        ; implicit-def: $vgpr184_vgpr185
	s_and_saveexec_b64 s[10:11], s[2:3]
	s_xor_b64 s[2:3], exec, s[10:11]
                                        ; implicit-def: $vgpr186_vgpr187
	s_cbranch_execz .LBB89_86
; %bb.85:
	v_div_scale_f64 v[184:185], s[10:11], v[182:183], v[182:183], v[180:181]
	v_rcp_f64_e32 v[186:187], v[184:185]
	v_div_scale_f64 v[188:189], vcc, v[180:181], v[182:183], v[180:181]
	v_fma_f64 v[190:191], -v[184:185], v[186:187], 1.0
	v_fmac_f64_e32 v[186:187], v[186:187], v[190:191]
	v_fma_f64 v[190:191], -v[184:185], v[186:187], 1.0
	v_fmac_f64_e32 v[186:187], v[186:187], v[190:191]
	v_mul_f64 v[190:191], v[188:189], v[186:187]
	v_fma_f64 v[184:185], -v[184:185], v[190:191], v[188:189]
	v_div_fmas_f64 v[184:185], v[184:185], v[186:187], v[190:191]
	v_div_fixup_f64 v[184:185], v[184:185], v[182:183], v[180:181]
	v_fmac_f64_e32 v[182:183], v[180:181], v[184:185]
	v_div_scale_f64 v[180:181], s[10:11], v[182:183], v[182:183], 1.0
	v_rcp_f64_e32 v[186:187], v[180:181]
	s_nop 0
	v_fma_f64 v[188:189], -v[180:181], v[186:187], 1.0
	v_fmac_f64_e32 v[186:187], v[186:187], v[188:189]
	v_fma_f64 v[188:189], -v[180:181], v[186:187], 1.0
	v_fmac_f64_e32 v[186:187], v[186:187], v[188:189]
	v_div_scale_f64 v[188:189], vcc, 1.0, v[182:183], 1.0
	v_mul_f64 v[190:191], v[188:189], v[186:187]
	v_fma_f64 v[180:181], -v[180:181], v[190:191], v[188:189]
	s_nop 1
	v_div_fmas_f64 v[180:181], v[180:181], v[186:187], v[190:191]
	v_div_fixup_f64 v[186:187], v[180:181], v[182:183], 1.0
	v_mul_f64 v[184:185], v[184:185], v[186:187]
	v_xor_b32_e32 v187, 0x80000000, v187
                                        ; implicit-def: $vgpr180_vgpr181
.LBB89_86:
	s_andn2_saveexec_b64 s[2:3], s[2:3]
	s_cbranch_execz .LBB89_88
; %bb.87:
	v_div_scale_f64 v[184:185], s[10:11], v[180:181], v[180:181], v[182:183]
	v_rcp_f64_e32 v[186:187], v[184:185]
	v_div_scale_f64 v[188:189], vcc, v[182:183], v[180:181], v[182:183]
	v_fma_f64 v[190:191], -v[184:185], v[186:187], 1.0
	v_fmac_f64_e32 v[186:187], v[186:187], v[190:191]
	v_fma_f64 v[190:191], -v[184:185], v[186:187], 1.0
	v_fmac_f64_e32 v[186:187], v[186:187], v[190:191]
	v_mul_f64 v[190:191], v[188:189], v[186:187]
	v_fma_f64 v[184:185], -v[184:185], v[190:191], v[188:189]
	v_div_fmas_f64 v[184:185], v[184:185], v[186:187], v[190:191]
	v_div_fixup_f64 v[186:187], v[184:185], v[180:181], v[182:183]
	v_fmac_f64_e32 v[180:181], v[182:183], v[186:187]
	v_div_scale_f64 v[182:183], s[10:11], v[180:181], v[180:181], 1.0
	v_rcp_f64_e32 v[184:185], v[182:183]
	s_nop 0
	v_fma_f64 v[188:189], -v[182:183], v[184:185], 1.0
	v_fmac_f64_e32 v[184:185], v[184:185], v[188:189]
	v_fma_f64 v[188:189], -v[182:183], v[184:185], 1.0
	v_fmac_f64_e32 v[184:185], v[184:185], v[188:189]
	v_div_scale_f64 v[188:189], vcc, 1.0, v[180:181], 1.0
	v_mul_f64 v[190:191], v[188:189], v[184:185]
	v_fma_f64 v[182:183], -v[182:183], v[190:191], v[188:189]
	s_nop 1
	v_div_fmas_f64 v[182:183], v[182:183], v[184:185], v[190:191]
	v_div_fixup_f64 v[184:185], v[182:183], v[180:181], 1.0
	v_mul_f64 v[186:187], v[186:187], -v[184:185]
.LBB89_88:
	s_or_b64 exec, exec, s[2:3]
	ds_write2_b64 v208, v[184:185], v[186:187] offset1:1
.LBB89_89:
	s_or_b64 exec, exec, s[4:5]
	s_waitcnt lgkmcnt(0)
	s_barrier
	ds_read2_b64 v[180:183], v208 offset1:1
	v_cmp_lt_u32_e32 vcc, 9, v210
	s_waitcnt lgkmcnt(0)
	scratch_store_dwordx4 off, v[180:183], off offset:352 ; 16-byte Folded Spill
	s_and_saveexec_b64 s[2:3], vcc
	s_cbranch_execz .LBB89_91
; %bb.90:
	scratch_load_dwordx4 v[186:189], off, off offset:48 ; 16-byte Folded Reload
	scratch_load_dwordx4 v[182:185], off, off offset:352 ; 16-byte Folded Reload
	v_mov_b64_e32 v[168:169], v[136:137]
	s_waitcnt vmcnt(0)
	v_mul_f64 v[180:181], v[184:185], v[188:189]
	v_mul_f64 v[188:189], v[182:183], v[188:189]
	v_fma_f64 v[180:181], v[182:183], v[186:187], -v[180:181]
	v_fmac_f64_e32 v[188:189], v[184:185], v[186:187]
	ds_read2_b64 v[182:185], v209 offset0:20 offset1:21
	s_waitcnt lgkmcnt(0)
	v_mul_f64 v[136:137], v[184:185], v[188:189]
	v_fma_f64 v[136:137], v[182:183], v[180:181], -v[136:137]
	v_mul_f64 v[182:183], v[182:183], v[188:189]
	v_fmac_f64_e32 v[182:183], v[184:185], v[180:181]
	scratch_load_dwordx4 v[184:187], off, off offset:32 ; 16-byte Folded Reload
	s_waitcnt vmcnt(0)
	v_add_f64 v[184:185], v[184:185], -v[136:137]
	v_add_f64 v[186:187], v[186:187], -v[182:183]
	scratch_store_dwordx4 off, v[184:187], off offset:32 ; 16-byte Folded Spill
	ds_read2_b64 v[182:185], v209 offset0:22 offset1:23
	s_waitcnt lgkmcnt(0)
	v_mul_f64 v[136:137], v[184:185], v[188:189]
	v_fma_f64 v[136:137], v[182:183], v[180:181], -v[136:137]
	v_mul_f64 v[182:183], v[182:183], v[188:189]
	v_fmac_f64_e32 v[182:183], v[184:185], v[180:181]
	scratch_load_dwordx4 v[184:187], off, off offset:16 ; 16-byte Folded Reload
	s_waitcnt vmcnt(0)
	v_add_f64 v[184:185], v[184:185], -v[136:137]
	v_add_f64 v[186:187], v[186:187], -v[182:183]
	scratch_store_dwordx4 off, v[184:187], off offset:16 ; 16-byte Folded Spill
	ds_read2_b64 v[182:185], v209 offset0:24 offset1:25
	s_waitcnt lgkmcnt(0)
	v_mul_f64 v[136:137], v[184:185], v[188:189]
	v_fma_f64 v[136:137], v[182:183], v[180:181], -v[136:137]
	v_mul_f64 v[182:183], v[182:183], v[188:189]
	v_fmac_f64_e32 v[182:183], v[184:185], v[180:181]
	scratch_load_dwordx4 v[184:187], off, off ; 16-byte Folded Reload
	s_waitcnt vmcnt(0)
	v_add_f64 v[184:185], v[184:185], -v[136:137]
	v_add_f64 v[186:187], v[186:187], -v[182:183]
	scratch_store_dwordx4 off, v[184:187], off ; 16-byte Folded Spill
	ds_read2_b64 v[182:185], v209 offset0:26 offset1:27
	s_waitcnt lgkmcnt(0)
	v_mul_f64 v[136:137], v[184:185], v[188:189]
	v_fma_f64 v[136:137], v[182:183], v[180:181], -v[136:137]
	v_mul_f64 v[182:183], v[182:183], v[188:189]
	v_fmac_f64_e32 v[182:183], v[184:185], v[180:181]
	v_add_f64 v[254:255], v[254:255], -v[182:183]
	ds_read2_b64 v[182:185], v209 offset0:28 offset1:29
	v_add_f64 v[252:253], v[252:253], -v[136:137]
	v_mov_b64_e32 v[186:187], v[180:181]
	scratch_store_dwordx4 off, v[186:189], off offset:48 ; 16-byte Folded Spill
	s_waitcnt lgkmcnt(0)
	v_mul_f64 v[136:137], v[184:185], v[188:189]
	v_fma_f64 v[136:137], v[182:183], v[180:181], -v[136:137]
	v_mul_f64 v[182:183], v[182:183], v[188:189]
	v_fmac_f64_e32 v[182:183], v[184:185], v[180:181]
	v_add_f64 v[118:119], v[118:119], -v[182:183]
	ds_read2_b64 v[182:185], v209 offset0:30 offset1:31
	v_add_f64 v[116:117], v[116:117], -v[136:137]
	s_waitcnt lgkmcnt(0)
	v_mul_f64 v[136:137], v[184:185], v[188:189]
	v_fma_f64 v[136:137], v[182:183], v[180:181], -v[136:137]
	v_mul_f64 v[182:183], v[182:183], v[188:189]
	v_fmac_f64_e32 v[182:183], v[184:185], v[180:181]
	v_add_f64 v[114:115], v[114:115], -v[182:183]
	ds_read2_b64 v[182:185], v209 offset0:32 offset1:33
	v_add_f64 v[112:113], v[112:113], -v[136:137]
	s_waitcnt lgkmcnt(0)
	v_mul_f64 v[136:137], v[184:185], v[188:189]
	v_fma_f64 v[136:137], v[182:183], v[180:181], -v[136:137]
	v_mul_f64 v[182:183], v[182:183], v[188:189]
	v_fmac_f64_e32 v[182:183], v[184:185], v[180:181]
	v_add_f64 v[110:111], v[110:111], -v[182:183]
	ds_read2_b64 v[182:185], v209 offset0:34 offset1:35
	v_add_f64 v[108:109], v[108:109], -v[136:137]
	s_waitcnt lgkmcnt(0)
	v_mul_f64 v[136:137], v[184:185], v[188:189]
	v_fma_f64 v[136:137], v[182:183], v[180:181], -v[136:137]
	v_mul_f64 v[182:183], v[182:183], v[188:189]
	v_fmac_f64_e32 v[182:183], v[184:185], v[180:181]
	v_add_f64 v[106:107], v[106:107], -v[182:183]
	ds_read2_b64 v[182:185], v209 offset0:36 offset1:37
	v_add_f64 v[104:105], v[104:105], -v[136:137]
	s_waitcnt lgkmcnt(0)
	v_mul_f64 v[136:137], v[184:185], v[188:189]
	v_fma_f64 v[136:137], v[182:183], v[180:181], -v[136:137]
	v_mul_f64 v[182:183], v[182:183], v[188:189]
	v_fmac_f64_e32 v[182:183], v[184:185], v[180:181]
	v_add_f64 v[102:103], v[102:103], -v[182:183]
	ds_read2_b64 v[182:185], v209 offset0:38 offset1:39
	v_add_f64 v[100:101], v[100:101], -v[136:137]
	s_waitcnt lgkmcnt(0)
	v_mul_f64 v[136:137], v[184:185], v[188:189]
	v_fma_f64 v[136:137], v[182:183], v[180:181], -v[136:137]
	v_mul_f64 v[182:183], v[182:183], v[188:189]
	v_fmac_f64_e32 v[182:183], v[184:185], v[180:181]
	v_add_f64 v[98:99], v[98:99], -v[182:183]
	ds_read2_b64 v[182:185], v209 offset0:40 offset1:41
	v_add_f64 v[96:97], v[96:97], -v[136:137]
	s_waitcnt lgkmcnt(0)
	v_mul_f64 v[136:137], v[184:185], v[188:189]
	v_fma_f64 v[136:137], v[182:183], v[180:181], -v[136:137]
	v_mul_f64 v[182:183], v[182:183], v[188:189]
	v_fmac_f64_e32 v[182:183], v[184:185], v[180:181]
	v_add_f64 v[94:95], v[94:95], -v[182:183]
	ds_read2_b64 v[182:185], v209 offset0:42 offset1:43
	v_add_f64 v[92:93], v[92:93], -v[136:137]
	s_waitcnt lgkmcnt(0)
	v_mul_f64 v[136:137], v[184:185], v[188:189]
	v_fma_f64 v[136:137], v[182:183], v[180:181], -v[136:137]
	v_mul_f64 v[182:183], v[182:183], v[188:189]
	v_fmac_f64_e32 v[182:183], v[184:185], v[180:181]
	v_add_f64 v[90:91], v[90:91], -v[182:183]
	ds_read2_b64 v[182:185], v209 offset0:44 offset1:45
	v_add_f64 v[88:89], v[88:89], -v[136:137]
	s_waitcnt lgkmcnt(0)
	v_mul_f64 v[136:137], v[184:185], v[188:189]
	v_fma_f64 v[136:137], v[182:183], v[180:181], -v[136:137]
	v_mul_f64 v[182:183], v[182:183], v[188:189]
	v_fmac_f64_e32 v[182:183], v[184:185], v[180:181]
	v_add_f64 v[86:87], v[86:87], -v[182:183]
	ds_read2_b64 v[182:185], v209 offset0:46 offset1:47
	v_add_f64 v[84:85], v[84:85], -v[136:137]
	s_waitcnt lgkmcnt(0)
	v_mul_f64 v[136:137], v[184:185], v[188:189]
	v_fma_f64 v[136:137], v[182:183], v[180:181], -v[136:137]
	v_mul_f64 v[182:183], v[182:183], v[188:189]
	v_fmac_f64_e32 v[182:183], v[184:185], v[180:181]
	v_add_f64 v[82:83], v[82:83], -v[182:183]
	ds_read2_b64 v[182:185], v209 offset0:48 offset1:49
	v_add_f64 v[80:81], v[80:81], -v[136:137]
	s_waitcnt lgkmcnt(0)
	v_mul_f64 v[136:137], v[184:185], v[188:189]
	v_fma_f64 v[136:137], v[182:183], v[180:181], -v[136:137]
	v_mul_f64 v[182:183], v[182:183], v[188:189]
	v_fmac_f64_e32 v[182:183], v[184:185], v[180:181]
	v_add_f64 v[78:79], v[78:79], -v[182:183]
	ds_read2_b64 v[182:185], v209 offset0:50 offset1:51
	v_add_f64 v[76:77], v[76:77], -v[136:137]
	s_waitcnt lgkmcnt(0)
	v_mul_f64 v[136:137], v[184:185], v[188:189]
	v_fma_f64 v[136:137], v[182:183], v[180:181], -v[136:137]
	v_mul_f64 v[182:183], v[182:183], v[188:189]
	v_fmac_f64_e32 v[182:183], v[184:185], v[180:181]
	v_add_f64 v[74:75], v[74:75], -v[182:183]
	ds_read2_b64 v[182:185], v209 offset0:52 offset1:53
	v_add_f64 v[72:73], v[72:73], -v[136:137]
	s_waitcnt lgkmcnt(0)
	v_mul_f64 v[136:137], v[184:185], v[188:189]
	v_fma_f64 v[136:137], v[182:183], v[180:181], -v[136:137]
	v_mul_f64 v[182:183], v[182:183], v[188:189]
	v_fmac_f64_e32 v[182:183], v[184:185], v[180:181]
	v_add_f64 v[70:71], v[70:71], -v[182:183]
	ds_read2_b64 v[182:185], v209 offset0:54 offset1:55
	v_add_f64 v[68:69], v[68:69], -v[136:137]
	s_waitcnt lgkmcnt(0)
	v_mul_f64 v[136:137], v[184:185], v[188:189]
	v_fma_f64 v[136:137], v[182:183], v[180:181], -v[136:137]
	v_mul_f64 v[182:183], v[182:183], v[188:189]
	v_fmac_f64_e32 v[182:183], v[184:185], v[180:181]
	v_add_f64 v[66:67], v[66:67], -v[182:183]
	ds_read2_b64 v[182:185], v209 offset0:56 offset1:57
	v_add_f64 v[64:65], v[64:65], -v[136:137]
	s_waitcnt lgkmcnt(0)
	v_mul_f64 v[136:137], v[184:185], v[188:189]
	v_fma_f64 v[136:137], v[182:183], v[180:181], -v[136:137]
	v_mul_f64 v[182:183], v[182:183], v[188:189]
	v_fmac_f64_e32 v[182:183], v[184:185], v[180:181]
	v_add_f64 v[62:63], v[62:63], -v[182:183]
	ds_read2_b64 v[182:185], v209 offset0:58 offset1:59
	v_add_f64 v[60:61], v[60:61], -v[136:137]
	s_waitcnt lgkmcnt(0)
	v_mul_f64 v[136:137], v[184:185], v[188:189]
	v_fma_f64 v[136:137], v[182:183], v[180:181], -v[136:137]
	v_mul_f64 v[182:183], v[182:183], v[188:189]
	v_fmac_f64_e32 v[182:183], v[184:185], v[180:181]
	v_add_f64 v[58:59], v[58:59], -v[182:183]
	ds_read2_b64 v[182:185], v209 offset0:60 offset1:61
	v_add_f64 v[56:57], v[56:57], -v[136:137]
	s_waitcnt lgkmcnt(0)
	v_mul_f64 v[136:137], v[184:185], v[188:189]
	v_fma_f64 v[136:137], v[182:183], v[180:181], -v[136:137]
	v_mul_f64 v[182:183], v[182:183], v[188:189]
	v_fmac_f64_e32 v[182:183], v[184:185], v[180:181]
	v_add_f64 v[54:55], v[54:55], -v[182:183]
	ds_read2_b64 v[182:185], v209 offset0:62 offset1:63
	v_add_f64 v[52:53], v[52:53], -v[136:137]
	s_waitcnt lgkmcnt(0)
	v_mul_f64 v[136:137], v[184:185], v[188:189]
	v_fma_f64 v[136:137], v[182:183], v[180:181], -v[136:137]
	v_mul_f64 v[182:183], v[182:183], v[188:189]
	v_fmac_f64_e32 v[182:183], v[184:185], v[180:181]
	v_add_f64 v[220:221], v[220:221], -v[182:183]
	ds_read2_b64 v[182:185], v209 offset0:64 offset1:65
	v_add_f64 v[218:219], v[218:219], -v[136:137]
	s_waitcnt lgkmcnt(0)
	v_mul_f64 v[136:137], v[184:185], v[188:189]
	v_fma_f64 v[136:137], v[182:183], v[180:181], -v[136:137]
	v_mul_f64 v[182:183], v[182:183], v[188:189]
	v_fmac_f64_e32 v[182:183], v[184:185], v[180:181]
	v_add_f64 v[46:47], v[46:47], -v[182:183]
	ds_read2_b64 v[182:185], v209 offset0:66 offset1:67
	v_add_f64 v[44:45], v[44:45], -v[136:137]
	s_waitcnt lgkmcnt(0)
	v_mul_f64 v[136:137], v[184:185], v[188:189]
	v_fma_f64 v[136:137], v[182:183], v[180:181], -v[136:137]
	v_mul_f64 v[182:183], v[182:183], v[188:189]
	v_fmac_f64_e32 v[182:183], v[184:185], v[180:181]
	v_add_f64 v[42:43], v[42:43], -v[182:183]
	ds_read2_b64 v[182:185], v209 offset0:68 offset1:69
	v_add_f64 v[40:41], v[40:41], -v[136:137]
	s_waitcnt lgkmcnt(0)
	v_mul_f64 v[136:137], v[184:185], v[188:189]
	v_fma_f64 v[136:137], v[182:183], v[180:181], -v[136:137]
	v_mul_f64 v[182:183], v[182:183], v[188:189]
	v_fmac_f64_e32 v[182:183], v[184:185], v[180:181]
	v_add_f64 v[38:39], v[38:39], -v[182:183]
	ds_read2_b64 v[182:185], v209 offset0:70 offset1:71
	v_add_f64 v[36:37], v[36:37], -v[136:137]
	s_waitcnt lgkmcnt(0)
	v_mul_f64 v[136:137], v[184:185], v[188:189]
	v_fma_f64 v[136:137], v[182:183], v[180:181], -v[136:137]
	v_mul_f64 v[182:183], v[182:183], v[188:189]
	v_fmac_f64_e32 v[182:183], v[184:185], v[180:181]
	v_add_f64 v[34:35], v[34:35], -v[182:183]
	ds_read2_b64 v[182:185], v209 offset0:72 offset1:73
	v_add_f64 v[32:33], v[32:33], -v[136:137]
	s_waitcnt lgkmcnt(0)
	v_mul_f64 v[136:137], v[184:185], v[188:189]
	v_fma_f64 v[136:137], v[182:183], v[180:181], -v[136:137]
	v_mul_f64 v[182:183], v[182:183], v[188:189]
	v_fmac_f64_e32 v[182:183], v[184:185], v[180:181]
	v_add_f64 v[30:31], v[30:31], -v[182:183]
	ds_read2_b64 v[182:185], v209 offset0:74 offset1:75
	v_add_f64 v[28:29], v[28:29], -v[136:137]
	s_waitcnt lgkmcnt(0)
	v_mul_f64 v[136:137], v[184:185], v[188:189]
	v_fma_f64 v[136:137], v[182:183], v[180:181], -v[136:137]
	v_mul_f64 v[182:183], v[182:183], v[188:189]
	v_fmac_f64_e32 v[182:183], v[184:185], v[180:181]
	v_add_f64 v[26:27], v[26:27], -v[182:183]
	ds_read2_b64 v[182:185], v209 offset0:76 offset1:77
	v_add_f64 v[24:25], v[24:25], -v[136:137]
	s_waitcnt lgkmcnt(0)
	v_mul_f64 v[136:137], v[184:185], v[188:189]
	v_fma_f64 v[136:137], v[182:183], v[180:181], -v[136:137]
	v_mul_f64 v[182:183], v[182:183], v[188:189]
	v_fmac_f64_e32 v[182:183], v[184:185], v[180:181]
	v_add_f64 v[22:23], v[22:23], -v[182:183]
	ds_read2_b64 v[182:185], v209 offset0:78 offset1:79
	v_add_f64 v[20:21], v[20:21], -v[136:137]
	s_waitcnt lgkmcnt(0)
	v_mul_f64 v[136:137], v[184:185], v[188:189]
	v_fma_f64 v[136:137], v[182:183], v[180:181], -v[136:137]
	v_mul_f64 v[182:183], v[182:183], v[188:189]
	v_fmac_f64_e32 v[182:183], v[184:185], v[180:181]
	v_add_f64 v[18:19], v[18:19], -v[182:183]
	ds_read2_b64 v[182:185], v209 offset0:80 offset1:81
	v_add_f64 v[16:17], v[16:17], -v[136:137]
	s_waitcnt lgkmcnt(0)
	v_mul_f64 v[136:137], v[184:185], v[188:189]
	v_fma_f64 v[136:137], v[182:183], v[180:181], -v[136:137]
	v_mul_f64 v[182:183], v[182:183], v[188:189]
	v_fmac_f64_e32 v[182:183], v[184:185], v[180:181]
	v_add_f64 v[14:15], v[14:15], -v[182:183]
	ds_read2_b64 v[182:185], v209 offset0:82 offset1:83
	v_add_f64 v[12:13], v[12:13], -v[136:137]
	s_waitcnt lgkmcnt(0)
	v_mul_f64 v[136:137], v[184:185], v[188:189]
	v_fma_f64 v[136:137], v[182:183], v[180:181], -v[136:137]
	v_mul_f64 v[182:183], v[182:183], v[188:189]
	v_fmac_f64_e32 v[182:183], v[184:185], v[180:181]
	v_add_f64 v[10:11], v[10:11], -v[182:183]
	ds_read2_b64 v[182:185], v209 offset0:84 offset1:85
	v_add_f64 v[8:9], v[8:9], -v[136:137]
	s_waitcnt lgkmcnt(0)
	v_mul_f64 v[136:137], v[184:185], v[188:189]
	v_fma_f64 v[136:137], v[182:183], v[180:181], -v[136:137]
	v_mul_f64 v[182:183], v[182:183], v[188:189]
	v_fmac_f64_e32 v[182:183], v[184:185], v[180:181]
	v_add_f64 v[6:7], v[6:7], -v[182:183]
	ds_read2_b64 v[182:185], v209 offset0:86 offset1:87
	v_add_f64 v[4:5], v[4:5], -v[136:137]
	s_waitcnt lgkmcnt(0)
	v_mul_f64 v[136:137], v[184:185], v[188:189]
	v_fma_f64 v[136:137], v[182:183], v[180:181], -v[136:137]
	v_mul_f64 v[182:183], v[182:183], v[188:189]
	v_fmac_f64_e32 v[182:183], v[184:185], v[180:181]
	v_add_f64 v[2:3], v[2:3], -v[182:183]
	ds_read2_b64 v[182:185], v209 offset0:88 offset1:89
	v_add_f64 v[0:1], v[0:1], -v[136:137]
	s_waitcnt lgkmcnt(0)
	v_mul_f64 v[136:137], v[184:185], v[188:189]
	v_fma_f64 v[136:137], v[182:183], v[180:181], -v[136:137]
	v_mul_f64 v[182:183], v[182:183], v[188:189]
	v_fmac_f64_e32 v[182:183], v[184:185], v[180:181]
	v_add_f64 v[176:177], v[176:177], -v[136:137]
	v_mov_b64_e32 v[136:137], v[168:169]
	v_add_f64 v[178:179], v[178:179], -v[182:183]
.LBB89_91:
	s_or_b64 exec, exec, s[2:3]
	v_cmp_eq_u32_e32 vcc, 10, v210
	s_barrier
	s_and_saveexec_b64 s[4:5], vcc
	s_cbranch_execz .LBB89_98
; %bb.92:
	scratch_load_dwordx4 v[180:183], off, off offset:32 ; 16-byte Folded Reload
	s_waitcnt vmcnt(0)
	ds_write2_b64 v208, v[180:181], v[182:183] offset1:1
	scratch_load_dwordx4 v[180:183], off, off offset:16 ; 16-byte Folded Reload
	s_waitcnt vmcnt(0)
	ds_write2_b64 v209, v[180:181], v[182:183] offset0:22 offset1:23
	scratch_load_dwordx4 v[180:183], off, off ; 16-byte Folded Reload
	s_waitcnt vmcnt(0)
	ds_write2_b64 v209, v[180:181], v[182:183] offset0:24 offset1:25
	ds_write2_b64 v209, v[252:253], v[254:255] offset0:26 offset1:27
	;; [unrolled: 1-line block ×33, first 2 shown]
	ds_read2_b64 v[180:183], v208 offset1:1
	s_waitcnt lgkmcnt(0)
	v_cmp_neq_f64_e32 vcc, 0, v[180:181]
	v_cmp_neq_f64_e64 s[2:3], 0, v[182:183]
	s_or_b64 s[2:3], vcc, s[2:3]
	s_and_b64 exec, exec, s[2:3]
	s_cbranch_execz .LBB89_98
; %bb.93:
	v_cmp_ngt_f64_e64 s[2:3], |v[180:181]|, |v[182:183]|
                                        ; implicit-def: $vgpr184_vgpr185
	s_and_saveexec_b64 s[10:11], s[2:3]
	s_xor_b64 s[2:3], exec, s[10:11]
                                        ; implicit-def: $vgpr186_vgpr187
	s_cbranch_execz .LBB89_95
; %bb.94:
	v_div_scale_f64 v[184:185], s[10:11], v[182:183], v[182:183], v[180:181]
	v_rcp_f64_e32 v[186:187], v[184:185]
	v_div_scale_f64 v[188:189], vcc, v[180:181], v[182:183], v[180:181]
	v_fma_f64 v[190:191], -v[184:185], v[186:187], 1.0
	v_fmac_f64_e32 v[186:187], v[186:187], v[190:191]
	v_fma_f64 v[190:191], -v[184:185], v[186:187], 1.0
	v_fmac_f64_e32 v[186:187], v[186:187], v[190:191]
	v_mul_f64 v[190:191], v[188:189], v[186:187]
	v_fma_f64 v[184:185], -v[184:185], v[190:191], v[188:189]
	v_div_fmas_f64 v[184:185], v[184:185], v[186:187], v[190:191]
	v_div_fixup_f64 v[184:185], v[184:185], v[182:183], v[180:181]
	v_fmac_f64_e32 v[182:183], v[180:181], v[184:185]
	v_div_scale_f64 v[180:181], s[10:11], v[182:183], v[182:183], 1.0
	v_rcp_f64_e32 v[186:187], v[180:181]
	s_nop 0
	v_fma_f64 v[188:189], -v[180:181], v[186:187], 1.0
	v_fmac_f64_e32 v[186:187], v[186:187], v[188:189]
	v_fma_f64 v[188:189], -v[180:181], v[186:187], 1.0
	v_fmac_f64_e32 v[186:187], v[186:187], v[188:189]
	v_div_scale_f64 v[188:189], vcc, 1.0, v[182:183], 1.0
	v_mul_f64 v[190:191], v[188:189], v[186:187]
	v_fma_f64 v[180:181], -v[180:181], v[190:191], v[188:189]
	s_nop 1
	v_div_fmas_f64 v[180:181], v[180:181], v[186:187], v[190:191]
	v_div_fixup_f64 v[186:187], v[180:181], v[182:183], 1.0
	v_mul_f64 v[184:185], v[184:185], v[186:187]
	v_xor_b32_e32 v187, 0x80000000, v187
                                        ; implicit-def: $vgpr180_vgpr181
.LBB89_95:
	s_andn2_saveexec_b64 s[2:3], s[2:3]
	s_cbranch_execz .LBB89_97
; %bb.96:
	v_div_scale_f64 v[184:185], s[10:11], v[180:181], v[180:181], v[182:183]
	v_rcp_f64_e32 v[186:187], v[184:185]
	v_div_scale_f64 v[188:189], vcc, v[182:183], v[180:181], v[182:183]
	v_fma_f64 v[190:191], -v[184:185], v[186:187], 1.0
	v_fmac_f64_e32 v[186:187], v[186:187], v[190:191]
	v_fma_f64 v[190:191], -v[184:185], v[186:187], 1.0
	v_fmac_f64_e32 v[186:187], v[186:187], v[190:191]
	v_mul_f64 v[190:191], v[188:189], v[186:187]
	v_fma_f64 v[184:185], -v[184:185], v[190:191], v[188:189]
	v_div_fmas_f64 v[184:185], v[184:185], v[186:187], v[190:191]
	v_div_fixup_f64 v[186:187], v[184:185], v[180:181], v[182:183]
	v_fmac_f64_e32 v[180:181], v[182:183], v[186:187]
	v_div_scale_f64 v[182:183], s[10:11], v[180:181], v[180:181], 1.0
	v_rcp_f64_e32 v[184:185], v[182:183]
	s_nop 0
	v_fma_f64 v[188:189], -v[182:183], v[184:185], 1.0
	v_fmac_f64_e32 v[184:185], v[184:185], v[188:189]
	v_fma_f64 v[188:189], -v[182:183], v[184:185], 1.0
	v_fmac_f64_e32 v[184:185], v[184:185], v[188:189]
	v_div_scale_f64 v[188:189], vcc, 1.0, v[180:181], 1.0
	v_mul_f64 v[190:191], v[188:189], v[184:185]
	v_fma_f64 v[182:183], -v[182:183], v[190:191], v[188:189]
	s_nop 1
	v_div_fmas_f64 v[182:183], v[182:183], v[184:185], v[190:191]
	v_div_fixup_f64 v[184:185], v[182:183], v[180:181], 1.0
	v_mul_f64 v[186:187], v[186:187], -v[184:185]
.LBB89_97:
	s_or_b64 exec, exec, s[2:3]
	ds_write2_b64 v208, v[184:185], v[186:187] offset1:1
.LBB89_98:
	s_or_b64 exec, exec, s[4:5]
	s_waitcnt lgkmcnt(0)
	s_barrier
	ds_read2_b64 v[180:183], v208 offset1:1
	v_cmp_lt_u32_e32 vcc, 10, v210
	s_waitcnt lgkmcnt(0)
	scratch_store_dwordx4 off, v[180:183], off offset:368 ; 16-byte Folded Spill
	s_and_saveexec_b64 s[2:3], vcc
	s_cbranch_execz .LBB89_100
; %bb.99:
	scratch_load_dwordx4 v[186:189], off, off offset:32 ; 16-byte Folded Reload
	scratch_load_dwordx4 v[182:185], off, off offset:368 ; 16-byte Folded Reload
	v_mov_b64_e32 v[168:169], v[132:133]
	s_waitcnt vmcnt(0)
	v_mul_f64 v[180:181], v[184:185], v[188:189]
	v_mul_f64 v[188:189], v[182:183], v[188:189]
	v_fma_f64 v[180:181], v[182:183], v[186:187], -v[180:181]
	v_fmac_f64_e32 v[188:189], v[184:185], v[186:187]
	ds_read2_b64 v[182:185], v209 offset0:22 offset1:23
	s_waitcnt lgkmcnt(0)
	v_mul_f64 v[132:133], v[184:185], v[188:189]
	v_fma_f64 v[132:133], v[182:183], v[180:181], -v[132:133]
	v_mul_f64 v[182:183], v[182:183], v[188:189]
	v_fmac_f64_e32 v[182:183], v[184:185], v[180:181]
	scratch_load_dwordx4 v[184:187], off, off offset:16 ; 16-byte Folded Reload
	s_waitcnt vmcnt(0)
	v_add_f64 v[184:185], v[184:185], -v[132:133]
	v_add_f64 v[186:187], v[186:187], -v[182:183]
	scratch_store_dwordx4 off, v[184:187], off offset:16 ; 16-byte Folded Spill
	ds_read2_b64 v[182:185], v209 offset0:24 offset1:25
	s_waitcnt lgkmcnt(0)
	v_mul_f64 v[132:133], v[184:185], v[188:189]
	v_fma_f64 v[132:133], v[182:183], v[180:181], -v[132:133]
	v_mul_f64 v[182:183], v[182:183], v[188:189]
	v_fmac_f64_e32 v[182:183], v[184:185], v[180:181]
	scratch_load_dwordx4 v[184:187], off, off ; 16-byte Folded Reload
	s_waitcnt vmcnt(0)
	v_add_f64 v[184:185], v[184:185], -v[132:133]
	v_add_f64 v[186:187], v[186:187], -v[182:183]
	scratch_store_dwordx4 off, v[184:187], off ; 16-byte Folded Spill
	ds_read2_b64 v[182:185], v209 offset0:26 offset1:27
	s_waitcnt lgkmcnt(0)
	v_mul_f64 v[132:133], v[184:185], v[188:189]
	v_fma_f64 v[132:133], v[182:183], v[180:181], -v[132:133]
	v_mul_f64 v[182:183], v[182:183], v[188:189]
	v_fmac_f64_e32 v[182:183], v[184:185], v[180:181]
	v_add_f64 v[254:255], v[254:255], -v[182:183]
	ds_read2_b64 v[182:185], v209 offset0:28 offset1:29
	v_add_f64 v[252:253], v[252:253], -v[132:133]
	v_mov_b64_e32 v[186:187], v[180:181]
	scratch_store_dwordx4 off, v[186:189], off offset:32 ; 16-byte Folded Spill
	s_waitcnt lgkmcnt(0)
	v_mul_f64 v[132:133], v[184:185], v[188:189]
	v_fma_f64 v[132:133], v[182:183], v[180:181], -v[132:133]
	v_mul_f64 v[182:183], v[182:183], v[188:189]
	v_fmac_f64_e32 v[182:183], v[184:185], v[180:181]
	v_add_f64 v[118:119], v[118:119], -v[182:183]
	ds_read2_b64 v[182:185], v209 offset0:30 offset1:31
	v_add_f64 v[116:117], v[116:117], -v[132:133]
	s_waitcnt lgkmcnt(0)
	v_mul_f64 v[132:133], v[184:185], v[188:189]
	v_fma_f64 v[132:133], v[182:183], v[180:181], -v[132:133]
	v_mul_f64 v[182:183], v[182:183], v[188:189]
	v_fmac_f64_e32 v[182:183], v[184:185], v[180:181]
	v_add_f64 v[114:115], v[114:115], -v[182:183]
	ds_read2_b64 v[182:185], v209 offset0:32 offset1:33
	v_add_f64 v[112:113], v[112:113], -v[132:133]
	;; [unrolled: 8-line block ×30, first 2 shown]
	s_waitcnt lgkmcnt(0)
	v_mul_f64 v[132:133], v[184:185], v[188:189]
	v_fma_f64 v[132:133], v[182:183], v[180:181], -v[132:133]
	v_mul_f64 v[182:183], v[182:183], v[188:189]
	v_fmac_f64_e32 v[182:183], v[184:185], v[180:181]
	v_add_f64 v[176:177], v[176:177], -v[132:133]
	v_mov_b64_e32 v[132:133], v[168:169]
	v_add_f64 v[178:179], v[178:179], -v[182:183]
.LBB89_100:
	s_or_b64 exec, exec, s[2:3]
	v_cmp_eq_u32_e32 vcc, 11, v210
	s_barrier
	s_and_saveexec_b64 s[4:5], vcc
	s_cbranch_execz .LBB89_107
; %bb.101:
	scratch_load_dwordx4 v[180:183], off, off offset:16 ; 16-byte Folded Reload
	s_waitcnt vmcnt(0)
	ds_write2_b64 v208, v[180:181], v[182:183] offset1:1
	scratch_load_dwordx4 v[180:183], off, off ; 16-byte Folded Reload
	s_waitcnt vmcnt(0)
	ds_write2_b64 v209, v[180:181], v[182:183] offset0:24 offset1:25
	ds_write2_b64 v209, v[252:253], v[254:255] offset0:26 offset1:27
	;; [unrolled: 1-line block ×33, first 2 shown]
	ds_read2_b64 v[180:183], v208 offset1:1
	s_waitcnt lgkmcnt(0)
	v_cmp_neq_f64_e32 vcc, 0, v[180:181]
	v_cmp_neq_f64_e64 s[2:3], 0, v[182:183]
	s_or_b64 s[2:3], vcc, s[2:3]
	s_and_b64 exec, exec, s[2:3]
	s_cbranch_execz .LBB89_107
; %bb.102:
	v_cmp_ngt_f64_e64 s[2:3], |v[180:181]|, |v[182:183]|
                                        ; implicit-def: $vgpr184_vgpr185
	s_and_saveexec_b64 s[10:11], s[2:3]
	s_xor_b64 s[2:3], exec, s[10:11]
                                        ; implicit-def: $vgpr186_vgpr187
	s_cbranch_execz .LBB89_104
; %bb.103:
	v_div_scale_f64 v[184:185], s[10:11], v[182:183], v[182:183], v[180:181]
	v_rcp_f64_e32 v[186:187], v[184:185]
	v_div_scale_f64 v[188:189], vcc, v[180:181], v[182:183], v[180:181]
	v_fma_f64 v[190:191], -v[184:185], v[186:187], 1.0
	v_fmac_f64_e32 v[186:187], v[186:187], v[190:191]
	v_fma_f64 v[190:191], -v[184:185], v[186:187], 1.0
	v_fmac_f64_e32 v[186:187], v[186:187], v[190:191]
	v_mul_f64 v[190:191], v[188:189], v[186:187]
	v_fma_f64 v[184:185], -v[184:185], v[190:191], v[188:189]
	v_div_fmas_f64 v[184:185], v[184:185], v[186:187], v[190:191]
	v_div_fixup_f64 v[184:185], v[184:185], v[182:183], v[180:181]
	v_fmac_f64_e32 v[182:183], v[180:181], v[184:185]
	v_div_scale_f64 v[180:181], s[10:11], v[182:183], v[182:183], 1.0
	v_rcp_f64_e32 v[186:187], v[180:181]
	s_nop 0
	v_fma_f64 v[188:189], -v[180:181], v[186:187], 1.0
	v_fmac_f64_e32 v[186:187], v[186:187], v[188:189]
	v_fma_f64 v[188:189], -v[180:181], v[186:187], 1.0
	v_fmac_f64_e32 v[186:187], v[186:187], v[188:189]
	v_div_scale_f64 v[188:189], vcc, 1.0, v[182:183], 1.0
	v_mul_f64 v[190:191], v[188:189], v[186:187]
	v_fma_f64 v[180:181], -v[180:181], v[190:191], v[188:189]
	s_nop 1
	v_div_fmas_f64 v[180:181], v[180:181], v[186:187], v[190:191]
	v_div_fixup_f64 v[186:187], v[180:181], v[182:183], 1.0
	v_mul_f64 v[184:185], v[184:185], v[186:187]
	v_xor_b32_e32 v187, 0x80000000, v187
                                        ; implicit-def: $vgpr180_vgpr181
.LBB89_104:
	s_andn2_saveexec_b64 s[2:3], s[2:3]
	s_cbranch_execz .LBB89_106
; %bb.105:
	v_div_scale_f64 v[184:185], s[10:11], v[180:181], v[180:181], v[182:183]
	v_rcp_f64_e32 v[186:187], v[184:185]
	v_div_scale_f64 v[188:189], vcc, v[182:183], v[180:181], v[182:183]
	v_fma_f64 v[190:191], -v[184:185], v[186:187], 1.0
	v_fmac_f64_e32 v[186:187], v[186:187], v[190:191]
	v_fma_f64 v[190:191], -v[184:185], v[186:187], 1.0
	v_fmac_f64_e32 v[186:187], v[186:187], v[190:191]
	v_mul_f64 v[190:191], v[188:189], v[186:187]
	v_fma_f64 v[184:185], -v[184:185], v[190:191], v[188:189]
	v_div_fmas_f64 v[184:185], v[184:185], v[186:187], v[190:191]
	v_div_fixup_f64 v[186:187], v[184:185], v[180:181], v[182:183]
	v_fmac_f64_e32 v[180:181], v[182:183], v[186:187]
	v_div_scale_f64 v[182:183], s[10:11], v[180:181], v[180:181], 1.0
	v_rcp_f64_e32 v[184:185], v[182:183]
	s_nop 0
	v_fma_f64 v[188:189], -v[182:183], v[184:185], 1.0
	v_fmac_f64_e32 v[184:185], v[184:185], v[188:189]
	v_fma_f64 v[188:189], -v[182:183], v[184:185], 1.0
	v_fmac_f64_e32 v[184:185], v[184:185], v[188:189]
	v_div_scale_f64 v[188:189], vcc, 1.0, v[180:181], 1.0
	v_mul_f64 v[190:191], v[188:189], v[184:185]
	v_fma_f64 v[182:183], -v[182:183], v[190:191], v[188:189]
	s_nop 1
	v_div_fmas_f64 v[182:183], v[182:183], v[184:185], v[190:191]
	v_div_fixup_f64 v[184:185], v[182:183], v[180:181], 1.0
	v_mul_f64 v[186:187], v[186:187], -v[184:185]
.LBB89_106:
	s_or_b64 exec, exec, s[2:3]
	ds_write2_b64 v208, v[184:185], v[186:187] offset1:1
.LBB89_107:
	s_or_b64 exec, exec, s[4:5]
	s_waitcnt lgkmcnt(0)
	s_barrier
	ds_read2_b64 v[180:183], v208 offset1:1
	v_cmp_lt_u32_e32 vcc, 11, v210
	s_waitcnt lgkmcnt(0)
	scratch_store_dwordx4 off, v[180:183], off offset:384 ; 16-byte Folded Spill
	s_and_saveexec_b64 s[2:3], vcc
	s_cbranch_execz .LBB89_109
; %bb.108:
	scratch_load_dwordx4 v[186:189], off, off offset:16 ; 16-byte Folded Reload
	scratch_load_dwordx4 v[182:185], off, off offset:384 ; 16-byte Folded Reload
	v_mov_b64_e32 v[168:169], v[128:129]
	s_waitcnt vmcnt(0)
	v_mul_f64 v[180:181], v[184:185], v[188:189]
	v_mul_f64 v[188:189], v[182:183], v[188:189]
	v_fma_f64 v[180:181], v[182:183], v[186:187], -v[180:181]
	v_fmac_f64_e32 v[188:189], v[184:185], v[186:187]
	ds_read2_b64 v[182:185], v209 offset0:24 offset1:25
	s_waitcnt lgkmcnt(0)
	v_mul_f64 v[128:129], v[184:185], v[188:189]
	v_fma_f64 v[128:129], v[182:183], v[180:181], -v[128:129]
	v_mul_f64 v[182:183], v[182:183], v[188:189]
	v_fmac_f64_e32 v[182:183], v[184:185], v[180:181]
	scratch_load_dwordx4 v[184:187], off, off ; 16-byte Folded Reload
	s_waitcnt vmcnt(0)
	v_add_f64 v[184:185], v[184:185], -v[128:129]
	v_add_f64 v[186:187], v[186:187], -v[182:183]
	scratch_store_dwordx4 off, v[184:187], off ; 16-byte Folded Spill
	ds_read2_b64 v[182:185], v209 offset0:26 offset1:27
	s_waitcnt lgkmcnt(0)
	v_mul_f64 v[128:129], v[184:185], v[188:189]
	v_fma_f64 v[128:129], v[182:183], v[180:181], -v[128:129]
	v_mul_f64 v[182:183], v[182:183], v[188:189]
	v_fmac_f64_e32 v[182:183], v[184:185], v[180:181]
	v_add_f64 v[254:255], v[254:255], -v[182:183]
	ds_read2_b64 v[182:185], v209 offset0:28 offset1:29
	v_add_f64 v[252:253], v[252:253], -v[128:129]
	v_mov_b64_e32 v[186:187], v[180:181]
	scratch_store_dwordx4 off, v[186:189], off offset:16 ; 16-byte Folded Spill
	s_waitcnt lgkmcnt(0)
	v_mul_f64 v[128:129], v[184:185], v[188:189]
	v_fma_f64 v[128:129], v[182:183], v[180:181], -v[128:129]
	v_mul_f64 v[182:183], v[182:183], v[188:189]
	v_fmac_f64_e32 v[182:183], v[184:185], v[180:181]
	v_add_f64 v[118:119], v[118:119], -v[182:183]
	ds_read2_b64 v[182:185], v209 offset0:30 offset1:31
	v_add_f64 v[116:117], v[116:117], -v[128:129]
	s_waitcnt lgkmcnt(0)
	v_mul_f64 v[128:129], v[184:185], v[188:189]
	v_fma_f64 v[128:129], v[182:183], v[180:181], -v[128:129]
	v_mul_f64 v[182:183], v[182:183], v[188:189]
	v_fmac_f64_e32 v[182:183], v[184:185], v[180:181]
	v_add_f64 v[114:115], v[114:115], -v[182:183]
	ds_read2_b64 v[182:185], v209 offset0:32 offset1:33
	v_add_f64 v[112:113], v[112:113], -v[128:129]
	;; [unrolled: 8-line block ×30, first 2 shown]
	s_waitcnt lgkmcnt(0)
	v_mul_f64 v[128:129], v[184:185], v[188:189]
	v_fma_f64 v[128:129], v[182:183], v[180:181], -v[128:129]
	v_mul_f64 v[182:183], v[182:183], v[188:189]
	v_fmac_f64_e32 v[182:183], v[184:185], v[180:181]
	v_add_f64 v[176:177], v[176:177], -v[128:129]
	v_mov_b64_e32 v[128:129], v[168:169]
	v_add_f64 v[178:179], v[178:179], -v[182:183]
.LBB89_109:
	s_or_b64 exec, exec, s[2:3]
	v_cmp_eq_u32_e32 vcc, 12, v210
	s_barrier
	s_and_saveexec_b64 s[4:5], vcc
	s_cbranch_execz .LBB89_116
; %bb.110:
	scratch_load_dwordx4 v[180:183], off, off ; 16-byte Folded Reload
	s_waitcnt vmcnt(0)
	ds_write2_b64 v208, v[180:181], v[182:183] offset1:1
	ds_write2_b64 v209, v[252:253], v[254:255] offset0:26 offset1:27
	ds_write2_b64 v209, v[116:117], v[118:119] offset0:28 offset1:29
	;; [unrolled: 1-line block ×32, first 2 shown]
	ds_read2_b64 v[180:183], v208 offset1:1
	s_waitcnt lgkmcnt(0)
	v_cmp_neq_f64_e32 vcc, 0, v[180:181]
	v_cmp_neq_f64_e64 s[2:3], 0, v[182:183]
	s_or_b64 s[2:3], vcc, s[2:3]
	s_and_b64 exec, exec, s[2:3]
	s_cbranch_execz .LBB89_116
; %bb.111:
	v_cmp_ngt_f64_e64 s[2:3], |v[180:181]|, |v[182:183]|
                                        ; implicit-def: $vgpr184_vgpr185
	s_and_saveexec_b64 s[10:11], s[2:3]
	s_xor_b64 s[2:3], exec, s[10:11]
                                        ; implicit-def: $vgpr186_vgpr187
	s_cbranch_execz .LBB89_113
; %bb.112:
	v_div_scale_f64 v[184:185], s[10:11], v[182:183], v[182:183], v[180:181]
	v_rcp_f64_e32 v[186:187], v[184:185]
	v_div_scale_f64 v[188:189], vcc, v[180:181], v[182:183], v[180:181]
	v_fma_f64 v[190:191], -v[184:185], v[186:187], 1.0
	v_fmac_f64_e32 v[186:187], v[186:187], v[190:191]
	v_fma_f64 v[190:191], -v[184:185], v[186:187], 1.0
	v_fmac_f64_e32 v[186:187], v[186:187], v[190:191]
	v_mul_f64 v[190:191], v[188:189], v[186:187]
	v_fma_f64 v[184:185], -v[184:185], v[190:191], v[188:189]
	v_div_fmas_f64 v[184:185], v[184:185], v[186:187], v[190:191]
	v_div_fixup_f64 v[184:185], v[184:185], v[182:183], v[180:181]
	v_fmac_f64_e32 v[182:183], v[180:181], v[184:185]
	v_div_scale_f64 v[180:181], s[10:11], v[182:183], v[182:183], 1.0
	v_rcp_f64_e32 v[186:187], v[180:181]
	s_nop 0
	v_fma_f64 v[188:189], -v[180:181], v[186:187], 1.0
	v_fmac_f64_e32 v[186:187], v[186:187], v[188:189]
	v_fma_f64 v[188:189], -v[180:181], v[186:187], 1.0
	v_fmac_f64_e32 v[186:187], v[186:187], v[188:189]
	v_div_scale_f64 v[188:189], vcc, 1.0, v[182:183], 1.0
	v_mul_f64 v[190:191], v[188:189], v[186:187]
	v_fma_f64 v[180:181], -v[180:181], v[190:191], v[188:189]
	s_nop 1
	v_div_fmas_f64 v[180:181], v[180:181], v[186:187], v[190:191]
	v_div_fixup_f64 v[186:187], v[180:181], v[182:183], 1.0
	v_mul_f64 v[184:185], v[184:185], v[186:187]
	v_xor_b32_e32 v187, 0x80000000, v187
                                        ; implicit-def: $vgpr180_vgpr181
.LBB89_113:
	s_andn2_saveexec_b64 s[2:3], s[2:3]
	s_cbranch_execz .LBB89_115
; %bb.114:
	v_div_scale_f64 v[184:185], s[10:11], v[180:181], v[180:181], v[182:183]
	v_rcp_f64_e32 v[186:187], v[184:185]
	v_div_scale_f64 v[188:189], vcc, v[182:183], v[180:181], v[182:183]
	v_fma_f64 v[190:191], -v[184:185], v[186:187], 1.0
	v_fmac_f64_e32 v[186:187], v[186:187], v[190:191]
	v_fma_f64 v[190:191], -v[184:185], v[186:187], 1.0
	v_fmac_f64_e32 v[186:187], v[186:187], v[190:191]
	v_mul_f64 v[190:191], v[188:189], v[186:187]
	v_fma_f64 v[184:185], -v[184:185], v[190:191], v[188:189]
	v_div_fmas_f64 v[184:185], v[184:185], v[186:187], v[190:191]
	v_div_fixup_f64 v[186:187], v[184:185], v[180:181], v[182:183]
	v_fmac_f64_e32 v[180:181], v[182:183], v[186:187]
	v_div_scale_f64 v[182:183], s[10:11], v[180:181], v[180:181], 1.0
	v_rcp_f64_e32 v[184:185], v[182:183]
	s_nop 0
	v_fma_f64 v[188:189], -v[182:183], v[184:185], 1.0
	v_fmac_f64_e32 v[184:185], v[184:185], v[188:189]
	v_fma_f64 v[188:189], -v[182:183], v[184:185], 1.0
	v_fmac_f64_e32 v[184:185], v[184:185], v[188:189]
	v_div_scale_f64 v[188:189], vcc, 1.0, v[180:181], 1.0
	v_mul_f64 v[190:191], v[188:189], v[184:185]
	v_fma_f64 v[182:183], -v[182:183], v[190:191], v[188:189]
	s_nop 1
	v_div_fmas_f64 v[182:183], v[182:183], v[184:185], v[190:191]
	v_div_fixup_f64 v[184:185], v[182:183], v[180:181], 1.0
	v_mul_f64 v[186:187], v[186:187], -v[184:185]
.LBB89_115:
	s_or_b64 exec, exec, s[2:3]
	ds_write2_b64 v208, v[184:185], v[186:187] offset1:1
.LBB89_116:
	s_or_b64 exec, exec, s[4:5]
	s_waitcnt lgkmcnt(0)
	s_barrier
	ds_read2_b64 v[180:183], v208 offset1:1
	v_cmp_lt_u32_e32 vcc, 12, v210
	s_waitcnt lgkmcnt(0)
	scratch_store_dwordx4 off, v[180:183], off offset:400 ; 16-byte Folded Spill
	s_and_saveexec_b64 s[2:3], vcc
	s_cbranch_execz .LBB89_118
; %bb.117:
	scratch_load_dwordx4 v[184:187], off, off ; 16-byte Folded Reload
	scratch_load_dwordx4 v[188:191], off, off offset:400 ; 16-byte Folded Reload
	v_mov_b64_e32 v[168:169], v[124:125]
	s_waitcnt vmcnt(0)
	v_mul_f64 v[180:181], v[190:191], v[186:187]
	v_mul_f64 v[186:187], v[188:189], v[186:187]
	v_fma_f64 v[180:181], v[188:189], v[184:185], -v[180:181]
	v_fmac_f64_e32 v[186:187], v[190:191], v[184:185]
	ds_read2_b64 v[182:185], v209 offset0:26 offset1:27
	s_waitcnt lgkmcnt(0)
	v_mul_f64 v[124:125], v[184:185], v[186:187]
	v_fma_f64 v[124:125], v[182:183], v[180:181], -v[124:125]
	v_mul_f64 v[182:183], v[182:183], v[186:187]
	v_fmac_f64_e32 v[182:183], v[184:185], v[180:181]
	v_add_f64 v[254:255], v[254:255], -v[182:183]
	ds_read2_b64 v[182:185], v209 offset0:28 offset1:29
	v_add_f64 v[252:253], v[252:253], -v[124:125]
	s_waitcnt lgkmcnt(0)
	v_mul_f64 v[124:125], v[184:185], v[186:187]
	v_fma_f64 v[124:125], v[182:183], v[180:181], -v[124:125]
	v_mul_f64 v[182:183], v[182:183], v[186:187]
	v_fmac_f64_e32 v[182:183], v[184:185], v[180:181]
	v_add_f64 v[118:119], v[118:119], -v[182:183]
	ds_read2_b64 v[182:185], v209 offset0:30 offset1:31
	v_add_f64 v[116:117], v[116:117], -v[124:125]
	;; [unrolled: 8-line block ×31, first 2 shown]
	s_waitcnt lgkmcnt(0)
	v_mul_f64 v[124:125], v[184:185], v[186:187]
	v_fma_f64 v[124:125], v[182:183], v[180:181], -v[124:125]
	v_mul_f64 v[182:183], v[182:183], v[186:187]
	v_fmac_f64_e32 v[182:183], v[184:185], v[180:181]
	v_add_f64 v[176:177], v[176:177], -v[124:125]
	v_mov_b64_e32 v[124:125], v[168:169]
	v_add_f64 v[178:179], v[178:179], -v[182:183]
	v_mov_b64_e32 v[184:185], v[180:181]
	scratch_store_dwordx4 off, v[184:187], off ; 16-byte Folded Spill
.LBB89_118:
	s_or_b64 exec, exec, s[2:3]
	v_cmp_eq_u32_e32 vcc, 13, v210
	s_barrier
	s_and_saveexec_b64 s[4:5], vcc
	s_cbranch_execz .LBB89_125
; %bb.119:
	s_waitcnt vmcnt(44)
	ds_write2_b64 v208, v[252:253], v[254:255] offset1:1
	s_waitcnt vmcnt(43)
	ds_write2_b64 v209, v[116:117], v[118:119] offset0:28 offset1:29
	s_waitcnt vmcnt(42)
	ds_write2_b64 v209, v[112:113], v[114:115] offset0:30 offset1:31
	;; [unrolled: 2-line block ×31, first 2 shown]
	ds_read2_b64 v[180:183], v208 offset1:1
	s_waitcnt lgkmcnt(0)
	v_cmp_neq_f64_e32 vcc, 0, v[180:181]
	v_cmp_neq_f64_e64 s[2:3], 0, v[182:183]
	s_or_b64 s[2:3], vcc, s[2:3]
	s_and_b64 exec, exec, s[2:3]
	s_cbranch_execz .LBB89_125
; %bb.120:
	v_cmp_ngt_f64_e64 s[2:3], |v[180:181]|, |v[182:183]|
                                        ; implicit-def: $vgpr184_vgpr185
	s_and_saveexec_b64 s[10:11], s[2:3]
	s_xor_b64 s[2:3], exec, s[10:11]
                                        ; implicit-def: $vgpr186_vgpr187
	s_cbranch_execz .LBB89_122
; %bb.121:
	v_div_scale_f64 v[184:185], s[10:11], v[182:183], v[182:183], v[180:181]
	v_rcp_f64_e32 v[186:187], v[184:185]
	v_div_scale_f64 v[188:189], vcc, v[180:181], v[182:183], v[180:181]
	v_fma_f64 v[190:191], -v[184:185], v[186:187], 1.0
	v_fmac_f64_e32 v[186:187], v[186:187], v[190:191]
	v_fma_f64 v[190:191], -v[184:185], v[186:187], 1.0
	v_fmac_f64_e32 v[186:187], v[186:187], v[190:191]
	v_mul_f64 v[190:191], v[188:189], v[186:187]
	v_fma_f64 v[184:185], -v[184:185], v[190:191], v[188:189]
	v_div_fmas_f64 v[184:185], v[184:185], v[186:187], v[190:191]
	v_div_fixup_f64 v[184:185], v[184:185], v[182:183], v[180:181]
	v_fmac_f64_e32 v[182:183], v[180:181], v[184:185]
	v_div_scale_f64 v[180:181], s[10:11], v[182:183], v[182:183], 1.0
	v_rcp_f64_e32 v[186:187], v[180:181]
	s_nop 0
	v_fma_f64 v[188:189], -v[180:181], v[186:187], 1.0
	v_fmac_f64_e32 v[186:187], v[186:187], v[188:189]
	v_fma_f64 v[188:189], -v[180:181], v[186:187], 1.0
	v_fmac_f64_e32 v[186:187], v[186:187], v[188:189]
	v_div_scale_f64 v[188:189], vcc, 1.0, v[182:183], 1.0
	v_mul_f64 v[190:191], v[188:189], v[186:187]
	v_fma_f64 v[180:181], -v[180:181], v[190:191], v[188:189]
	s_nop 1
	v_div_fmas_f64 v[180:181], v[180:181], v[186:187], v[190:191]
	v_div_fixup_f64 v[186:187], v[180:181], v[182:183], 1.0
	v_mul_f64 v[184:185], v[184:185], v[186:187]
	v_xor_b32_e32 v187, 0x80000000, v187
                                        ; implicit-def: $vgpr180_vgpr181
.LBB89_122:
	s_andn2_saveexec_b64 s[2:3], s[2:3]
	s_cbranch_execz .LBB89_124
; %bb.123:
	v_div_scale_f64 v[184:185], s[10:11], v[180:181], v[180:181], v[182:183]
	v_rcp_f64_e32 v[186:187], v[184:185]
	v_div_scale_f64 v[188:189], vcc, v[182:183], v[180:181], v[182:183]
	v_fma_f64 v[190:191], -v[184:185], v[186:187], 1.0
	v_fmac_f64_e32 v[186:187], v[186:187], v[190:191]
	v_fma_f64 v[190:191], -v[184:185], v[186:187], 1.0
	v_fmac_f64_e32 v[186:187], v[186:187], v[190:191]
	v_mul_f64 v[190:191], v[188:189], v[186:187]
	v_fma_f64 v[184:185], -v[184:185], v[190:191], v[188:189]
	v_div_fmas_f64 v[184:185], v[184:185], v[186:187], v[190:191]
	v_div_fixup_f64 v[186:187], v[184:185], v[180:181], v[182:183]
	v_fmac_f64_e32 v[180:181], v[182:183], v[186:187]
	v_div_scale_f64 v[182:183], s[10:11], v[180:181], v[180:181], 1.0
	v_rcp_f64_e32 v[184:185], v[182:183]
	s_nop 0
	v_fma_f64 v[188:189], -v[182:183], v[184:185], 1.0
	v_fmac_f64_e32 v[184:185], v[184:185], v[188:189]
	v_fma_f64 v[188:189], -v[182:183], v[184:185], 1.0
	v_fmac_f64_e32 v[184:185], v[184:185], v[188:189]
	v_div_scale_f64 v[188:189], vcc, 1.0, v[180:181], 1.0
	v_mul_f64 v[190:191], v[188:189], v[184:185]
	v_fma_f64 v[182:183], -v[182:183], v[190:191], v[188:189]
	s_nop 1
	v_div_fmas_f64 v[182:183], v[182:183], v[184:185], v[190:191]
	v_div_fixup_f64 v[184:185], v[182:183], v[180:181], 1.0
	v_mul_f64 v[186:187], v[186:187], -v[184:185]
.LBB89_124:
	s_or_b64 exec, exec, s[2:3]
	ds_write2_b64 v208, v[184:185], v[186:187] offset1:1
.LBB89_125:
	s_or_b64 exec, exec, s[4:5]
	s_waitcnt lgkmcnt(0)
	s_barrier
	ds_read2_b64 v[180:183], v208 offset1:1
	v_cmp_lt_u32_e32 vcc, 13, v210
	s_waitcnt lgkmcnt(0)
	scratch_store_dwordx4 off, v[180:183], off offset:416 ; 16-byte Folded Spill
	s_and_saveexec_b64 s[2:3], vcc
	s_cbranch_execz .LBB89_127
; %bb.126:
	scratch_load_dwordx4 v[182:185], off, off offset:416 ; 16-byte Folded Reload
	v_mov_b64_e32 v[168:169], v[120:121]
	s_waitcnt vmcnt(0)
	v_mul_f64 v[180:181], v[184:185], v[254:255]
	v_mul_f64 v[254:255], v[182:183], v[254:255]
	v_fma_f64 v[180:181], v[182:183], v[252:253], -v[180:181]
	v_fmac_f64_e32 v[254:255], v[184:185], v[252:253]
	ds_read2_b64 v[182:185], v209 offset0:28 offset1:29
	v_mov_b64_e32 v[252:253], v[180:181]
	s_waitcnt lgkmcnt(0)
	v_mul_f64 v[120:121], v[184:185], v[254:255]
	v_fma_f64 v[120:121], v[182:183], v[180:181], -v[120:121]
	v_mul_f64 v[182:183], v[182:183], v[254:255]
	v_fmac_f64_e32 v[182:183], v[184:185], v[180:181]
	v_add_f64 v[118:119], v[118:119], -v[182:183]
	ds_read2_b64 v[182:185], v209 offset0:30 offset1:31
	v_add_f64 v[116:117], v[116:117], -v[120:121]
	s_waitcnt lgkmcnt(0)
	v_mul_f64 v[120:121], v[184:185], v[254:255]
	v_fma_f64 v[120:121], v[182:183], v[180:181], -v[120:121]
	v_mul_f64 v[182:183], v[182:183], v[254:255]
	v_fmac_f64_e32 v[182:183], v[184:185], v[180:181]
	v_add_f64 v[114:115], v[114:115], -v[182:183]
	ds_read2_b64 v[182:185], v209 offset0:32 offset1:33
	v_add_f64 v[112:113], v[112:113], -v[120:121]
	;; [unrolled: 8-line block ×30, first 2 shown]
	s_waitcnt lgkmcnt(0)
	v_mul_f64 v[120:121], v[184:185], v[254:255]
	v_fma_f64 v[120:121], v[182:183], v[180:181], -v[120:121]
	v_mul_f64 v[182:183], v[182:183], v[254:255]
	v_fmac_f64_e32 v[182:183], v[184:185], v[180:181]
	v_add_f64 v[176:177], v[176:177], -v[120:121]
	v_mov_b64_e32 v[120:121], v[168:169]
	v_add_f64 v[178:179], v[178:179], -v[182:183]
.LBB89_127:
	s_or_b64 exec, exec, s[2:3]
	v_cmp_eq_u32_e32 vcc, 14, v210
	s_barrier
	s_and_saveexec_b64 s[4:5], vcc
	s_cbranch_execz .LBB89_134
; %bb.128:
	s_waitcnt vmcnt(44)
	ds_write2_b64 v208, v[116:117], v[118:119] offset1:1
	s_waitcnt vmcnt(43)
	ds_write2_b64 v209, v[112:113], v[114:115] offset0:30 offset1:31
	s_waitcnt vmcnt(42)
	ds_write2_b64 v209, v[108:109], v[110:111] offset0:32 offset1:33
	;; [unrolled: 2-line block ×30, first 2 shown]
	ds_read2_b64 v[180:183], v208 offset1:1
	s_waitcnt lgkmcnt(0)
	v_cmp_neq_f64_e32 vcc, 0, v[180:181]
	v_cmp_neq_f64_e64 s[2:3], 0, v[182:183]
	s_or_b64 s[2:3], vcc, s[2:3]
	s_and_b64 exec, exec, s[2:3]
	s_cbranch_execz .LBB89_134
; %bb.129:
	v_cmp_ngt_f64_e64 s[2:3], |v[180:181]|, |v[182:183]|
                                        ; implicit-def: $vgpr184_vgpr185
	s_and_saveexec_b64 s[10:11], s[2:3]
	s_xor_b64 s[2:3], exec, s[10:11]
                                        ; implicit-def: $vgpr186_vgpr187
	s_cbranch_execz .LBB89_131
; %bb.130:
	v_div_scale_f64 v[184:185], s[10:11], v[182:183], v[182:183], v[180:181]
	v_rcp_f64_e32 v[186:187], v[184:185]
	v_div_scale_f64 v[188:189], vcc, v[180:181], v[182:183], v[180:181]
	v_fma_f64 v[190:191], -v[184:185], v[186:187], 1.0
	v_fmac_f64_e32 v[186:187], v[186:187], v[190:191]
	v_fma_f64 v[190:191], -v[184:185], v[186:187], 1.0
	v_fmac_f64_e32 v[186:187], v[186:187], v[190:191]
	v_mul_f64 v[190:191], v[188:189], v[186:187]
	v_fma_f64 v[184:185], -v[184:185], v[190:191], v[188:189]
	v_div_fmas_f64 v[184:185], v[184:185], v[186:187], v[190:191]
	v_div_fixup_f64 v[184:185], v[184:185], v[182:183], v[180:181]
	v_fmac_f64_e32 v[182:183], v[180:181], v[184:185]
	v_div_scale_f64 v[180:181], s[10:11], v[182:183], v[182:183], 1.0
	v_rcp_f64_e32 v[186:187], v[180:181]
	s_nop 0
	v_fma_f64 v[188:189], -v[180:181], v[186:187], 1.0
	v_fmac_f64_e32 v[186:187], v[186:187], v[188:189]
	v_fma_f64 v[188:189], -v[180:181], v[186:187], 1.0
	v_fmac_f64_e32 v[186:187], v[186:187], v[188:189]
	v_div_scale_f64 v[188:189], vcc, 1.0, v[182:183], 1.0
	v_mul_f64 v[190:191], v[188:189], v[186:187]
	v_fma_f64 v[180:181], -v[180:181], v[190:191], v[188:189]
	s_nop 1
	v_div_fmas_f64 v[180:181], v[180:181], v[186:187], v[190:191]
	v_div_fixup_f64 v[186:187], v[180:181], v[182:183], 1.0
	v_mul_f64 v[184:185], v[184:185], v[186:187]
	v_xor_b32_e32 v187, 0x80000000, v187
                                        ; implicit-def: $vgpr180_vgpr181
.LBB89_131:
	s_andn2_saveexec_b64 s[2:3], s[2:3]
	s_cbranch_execz .LBB89_133
; %bb.132:
	v_div_scale_f64 v[184:185], s[10:11], v[180:181], v[180:181], v[182:183]
	v_rcp_f64_e32 v[186:187], v[184:185]
	v_div_scale_f64 v[188:189], vcc, v[182:183], v[180:181], v[182:183]
	v_fma_f64 v[190:191], -v[184:185], v[186:187], 1.0
	v_fmac_f64_e32 v[186:187], v[186:187], v[190:191]
	v_fma_f64 v[190:191], -v[184:185], v[186:187], 1.0
	v_fmac_f64_e32 v[186:187], v[186:187], v[190:191]
	v_mul_f64 v[190:191], v[188:189], v[186:187]
	v_fma_f64 v[184:185], -v[184:185], v[190:191], v[188:189]
	v_div_fmas_f64 v[184:185], v[184:185], v[186:187], v[190:191]
	v_div_fixup_f64 v[186:187], v[184:185], v[180:181], v[182:183]
	v_fmac_f64_e32 v[180:181], v[182:183], v[186:187]
	v_div_scale_f64 v[182:183], s[10:11], v[180:181], v[180:181], 1.0
	v_rcp_f64_e32 v[184:185], v[182:183]
	s_nop 0
	v_fma_f64 v[188:189], -v[182:183], v[184:185], 1.0
	v_fmac_f64_e32 v[184:185], v[184:185], v[188:189]
	v_fma_f64 v[188:189], -v[182:183], v[184:185], 1.0
	v_fmac_f64_e32 v[184:185], v[184:185], v[188:189]
	v_div_scale_f64 v[188:189], vcc, 1.0, v[180:181], 1.0
	v_mul_f64 v[190:191], v[188:189], v[184:185]
	v_fma_f64 v[182:183], -v[182:183], v[190:191], v[188:189]
	s_nop 1
	v_div_fmas_f64 v[182:183], v[182:183], v[184:185], v[190:191]
	v_div_fixup_f64 v[184:185], v[182:183], v[180:181], 1.0
	v_mul_f64 v[186:187], v[186:187], -v[184:185]
.LBB89_133:
	s_or_b64 exec, exec, s[2:3]
	ds_write2_b64 v208, v[184:185], v[186:187] offset1:1
.LBB89_134:
	s_or_b64 exec, exec, s[4:5]
	s_waitcnt lgkmcnt(0)
	s_barrier
	ds_read2_b64 v[180:183], v208 offset1:1
	v_cmp_lt_u32_e32 vcc, 14, v210
	s_waitcnt lgkmcnt(0)
	scratch_store_dwordx4 off, v[180:183], off offset:432 ; 16-byte Folded Spill
	s_and_saveexec_b64 s[2:3], vcc
	s_cbranch_execz .LBB89_136
; %bb.135:
	scratch_load_dwordx4 v[182:185], off, off offset:432 ; 16-byte Folded Reload
	s_waitcnt vmcnt(0)
	v_mul_f64 v[180:181], v[184:185], v[118:119]
	v_mul_f64 v[118:119], v[182:183], v[118:119]
	v_fma_f64 v[180:181], v[182:183], v[116:117], -v[180:181]
	v_fmac_f64_e32 v[118:119], v[184:185], v[116:117]
	ds_read2_b64 v[182:185], v209 offset0:30 offset1:31
	s_waitcnt lgkmcnt(0)
	v_mul_f64 v[116:117], v[184:185], v[118:119]
	v_fma_f64 v[116:117], v[182:183], v[180:181], -v[116:117]
	v_mul_f64 v[182:183], v[182:183], v[118:119]
	v_fmac_f64_e32 v[182:183], v[184:185], v[180:181]
	v_add_f64 v[114:115], v[114:115], -v[182:183]
	ds_read2_b64 v[182:185], v209 offset0:32 offset1:33
	v_add_f64 v[112:113], v[112:113], -v[116:117]
	s_waitcnt lgkmcnt(0)
	v_mul_f64 v[116:117], v[184:185], v[118:119]
	v_fma_f64 v[116:117], v[182:183], v[180:181], -v[116:117]
	v_mul_f64 v[182:183], v[182:183], v[118:119]
	v_fmac_f64_e32 v[182:183], v[184:185], v[180:181]
	v_add_f64 v[110:111], v[110:111], -v[182:183]
	ds_read2_b64 v[182:185], v209 offset0:34 offset1:35
	v_add_f64 v[108:109], v[108:109], -v[116:117]
	;; [unrolled: 8-line block ×29, first 2 shown]
	s_waitcnt lgkmcnt(0)
	v_mul_f64 v[116:117], v[184:185], v[118:119]
	v_fma_f64 v[116:117], v[182:183], v[180:181], -v[116:117]
	v_mul_f64 v[182:183], v[182:183], v[118:119]
	v_fmac_f64_e32 v[182:183], v[184:185], v[180:181]
	v_add_f64 v[176:177], v[176:177], -v[116:117]
	v_add_f64 v[178:179], v[178:179], -v[182:183]
	v_mov_b64_e32 v[116:117], v[180:181]
.LBB89_136:
	s_or_b64 exec, exec, s[2:3]
	v_cmp_eq_u32_e32 vcc, 15, v210
	s_barrier
	s_and_saveexec_b64 s[4:5], vcc
	s_cbranch_execz .LBB89_143
; %bb.137:
	s_waitcnt vmcnt(44)
	ds_write2_b64 v208, v[112:113], v[114:115] offset1:1
	s_waitcnt vmcnt(43)
	ds_write2_b64 v209, v[108:109], v[110:111] offset0:32 offset1:33
	s_waitcnt vmcnt(42)
	ds_write2_b64 v209, v[104:105], v[106:107] offset0:34 offset1:35
	;; [unrolled: 2-line block ×29, first 2 shown]
	ds_read2_b64 v[180:183], v208 offset1:1
	s_waitcnt lgkmcnt(0)
	v_cmp_neq_f64_e32 vcc, 0, v[180:181]
	v_cmp_neq_f64_e64 s[2:3], 0, v[182:183]
	s_or_b64 s[2:3], vcc, s[2:3]
	s_and_b64 exec, exec, s[2:3]
	s_cbranch_execz .LBB89_143
; %bb.138:
	v_cmp_ngt_f64_e64 s[2:3], |v[180:181]|, |v[182:183]|
                                        ; implicit-def: $vgpr184_vgpr185
	s_and_saveexec_b64 s[10:11], s[2:3]
	s_xor_b64 s[2:3], exec, s[10:11]
                                        ; implicit-def: $vgpr186_vgpr187
	s_cbranch_execz .LBB89_140
; %bb.139:
	v_div_scale_f64 v[184:185], s[10:11], v[182:183], v[182:183], v[180:181]
	v_rcp_f64_e32 v[186:187], v[184:185]
	v_div_scale_f64 v[188:189], vcc, v[180:181], v[182:183], v[180:181]
	v_fma_f64 v[190:191], -v[184:185], v[186:187], 1.0
	v_fmac_f64_e32 v[186:187], v[186:187], v[190:191]
	v_fma_f64 v[190:191], -v[184:185], v[186:187], 1.0
	v_fmac_f64_e32 v[186:187], v[186:187], v[190:191]
	v_mul_f64 v[190:191], v[188:189], v[186:187]
	v_fma_f64 v[184:185], -v[184:185], v[190:191], v[188:189]
	v_div_fmas_f64 v[184:185], v[184:185], v[186:187], v[190:191]
	v_div_fixup_f64 v[184:185], v[184:185], v[182:183], v[180:181]
	v_fmac_f64_e32 v[182:183], v[180:181], v[184:185]
	v_div_scale_f64 v[180:181], s[10:11], v[182:183], v[182:183], 1.0
	v_rcp_f64_e32 v[186:187], v[180:181]
	s_nop 0
	v_fma_f64 v[188:189], -v[180:181], v[186:187], 1.0
	v_fmac_f64_e32 v[186:187], v[186:187], v[188:189]
	v_fma_f64 v[188:189], -v[180:181], v[186:187], 1.0
	v_fmac_f64_e32 v[186:187], v[186:187], v[188:189]
	v_div_scale_f64 v[188:189], vcc, 1.0, v[182:183], 1.0
	v_mul_f64 v[190:191], v[188:189], v[186:187]
	v_fma_f64 v[180:181], -v[180:181], v[190:191], v[188:189]
	s_nop 1
	v_div_fmas_f64 v[180:181], v[180:181], v[186:187], v[190:191]
	v_div_fixup_f64 v[186:187], v[180:181], v[182:183], 1.0
	v_mul_f64 v[184:185], v[184:185], v[186:187]
	v_xor_b32_e32 v187, 0x80000000, v187
                                        ; implicit-def: $vgpr180_vgpr181
.LBB89_140:
	s_andn2_saveexec_b64 s[2:3], s[2:3]
	s_cbranch_execz .LBB89_142
; %bb.141:
	v_div_scale_f64 v[184:185], s[10:11], v[180:181], v[180:181], v[182:183]
	v_rcp_f64_e32 v[186:187], v[184:185]
	v_div_scale_f64 v[188:189], vcc, v[182:183], v[180:181], v[182:183]
	v_fma_f64 v[190:191], -v[184:185], v[186:187], 1.0
	v_fmac_f64_e32 v[186:187], v[186:187], v[190:191]
	v_fma_f64 v[190:191], -v[184:185], v[186:187], 1.0
	v_fmac_f64_e32 v[186:187], v[186:187], v[190:191]
	v_mul_f64 v[190:191], v[188:189], v[186:187]
	v_fma_f64 v[184:185], -v[184:185], v[190:191], v[188:189]
	v_div_fmas_f64 v[184:185], v[184:185], v[186:187], v[190:191]
	v_div_fixup_f64 v[186:187], v[184:185], v[180:181], v[182:183]
	v_fmac_f64_e32 v[180:181], v[182:183], v[186:187]
	v_div_scale_f64 v[182:183], s[10:11], v[180:181], v[180:181], 1.0
	v_rcp_f64_e32 v[184:185], v[182:183]
	s_nop 0
	v_fma_f64 v[188:189], -v[182:183], v[184:185], 1.0
	v_fmac_f64_e32 v[184:185], v[184:185], v[188:189]
	v_fma_f64 v[188:189], -v[182:183], v[184:185], 1.0
	v_fmac_f64_e32 v[184:185], v[184:185], v[188:189]
	v_div_scale_f64 v[188:189], vcc, 1.0, v[180:181], 1.0
	v_mul_f64 v[190:191], v[188:189], v[184:185]
	v_fma_f64 v[182:183], -v[182:183], v[190:191], v[188:189]
	s_nop 1
	v_div_fmas_f64 v[182:183], v[182:183], v[184:185], v[190:191]
	v_div_fixup_f64 v[184:185], v[182:183], v[180:181], 1.0
	v_mul_f64 v[186:187], v[186:187], -v[184:185]
.LBB89_142:
	s_or_b64 exec, exec, s[2:3]
	ds_write2_b64 v208, v[184:185], v[186:187] offset1:1
.LBB89_143:
	s_or_b64 exec, exec, s[4:5]
	s_waitcnt lgkmcnt(0)
	s_barrier
	ds_read2_b64 v[180:183], v208 offset1:1
	v_cmp_lt_u32_e32 vcc, 15, v210
	s_waitcnt lgkmcnt(0)
	scratch_store_dwordx4 off, v[180:183], off offset:448 ; 16-byte Folded Spill
	s_and_saveexec_b64 s[2:3], vcc
	s_cbranch_execz .LBB89_145
; %bb.144:
	scratch_load_dwordx4 v[182:185], off, off offset:448 ; 16-byte Folded Reload
	s_waitcnt vmcnt(0)
	v_mul_f64 v[180:181], v[184:185], v[114:115]
	v_mul_f64 v[114:115], v[182:183], v[114:115]
	v_fma_f64 v[180:181], v[182:183], v[112:113], -v[180:181]
	v_fmac_f64_e32 v[114:115], v[184:185], v[112:113]
	ds_read2_b64 v[182:185], v209 offset0:32 offset1:33
	s_waitcnt lgkmcnt(0)
	v_mul_f64 v[112:113], v[184:185], v[114:115]
	v_fma_f64 v[112:113], v[182:183], v[180:181], -v[112:113]
	v_mul_f64 v[182:183], v[182:183], v[114:115]
	v_fmac_f64_e32 v[182:183], v[184:185], v[180:181]
	v_add_f64 v[110:111], v[110:111], -v[182:183]
	ds_read2_b64 v[182:185], v209 offset0:34 offset1:35
	v_add_f64 v[108:109], v[108:109], -v[112:113]
	s_waitcnt lgkmcnt(0)
	v_mul_f64 v[112:113], v[184:185], v[114:115]
	v_fma_f64 v[112:113], v[182:183], v[180:181], -v[112:113]
	v_mul_f64 v[182:183], v[182:183], v[114:115]
	v_fmac_f64_e32 v[182:183], v[184:185], v[180:181]
	v_add_f64 v[106:107], v[106:107], -v[182:183]
	ds_read2_b64 v[182:185], v209 offset0:36 offset1:37
	v_add_f64 v[104:105], v[104:105], -v[112:113]
	;; [unrolled: 8-line block ×28, first 2 shown]
	s_waitcnt lgkmcnt(0)
	v_mul_f64 v[112:113], v[184:185], v[114:115]
	v_fma_f64 v[112:113], v[182:183], v[180:181], -v[112:113]
	v_mul_f64 v[182:183], v[182:183], v[114:115]
	v_fmac_f64_e32 v[182:183], v[184:185], v[180:181]
	v_add_f64 v[176:177], v[176:177], -v[112:113]
	v_add_f64 v[178:179], v[178:179], -v[182:183]
	v_mov_b64_e32 v[112:113], v[180:181]
.LBB89_145:
	s_or_b64 exec, exec, s[2:3]
	v_cmp_eq_u32_e32 vcc, 16, v210
	s_barrier
	s_and_saveexec_b64 s[4:5], vcc
	s_cbranch_execz .LBB89_152
; %bb.146:
	s_waitcnt vmcnt(44)
	ds_write2_b64 v208, v[108:109], v[110:111] offset1:1
	s_waitcnt vmcnt(43)
	ds_write2_b64 v209, v[104:105], v[106:107] offset0:34 offset1:35
	s_waitcnt vmcnt(42)
	ds_write2_b64 v209, v[100:101], v[102:103] offset0:36 offset1:37
	;; [unrolled: 2-line block ×28, first 2 shown]
	ds_read2_b64 v[180:183], v208 offset1:1
	s_waitcnt lgkmcnt(0)
	v_cmp_neq_f64_e32 vcc, 0, v[180:181]
	v_cmp_neq_f64_e64 s[2:3], 0, v[182:183]
	s_or_b64 s[2:3], vcc, s[2:3]
	s_and_b64 exec, exec, s[2:3]
	s_cbranch_execz .LBB89_152
; %bb.147:
	v_cmp_ngt_f64_e64 s[2:3], |v[180:181]|, |v[182:183]|
                                        ; implicit-def: $vgpr184_vgpr185
	s_and_saveexec_b64 s[10:11], s[2:3]
	s_xor_b64 s[2:3], exec, s[10:11]
                                        ; implicit-def: $vgpr186_vgpr187
	s_cbranch_execz .LBB89_149
; %bb.148:
	v_div_scale_f64 v[184:185], s[10:11], v[182:183], v[182:183], v[180:181]
	v_rcp_f64_e32 v[186:187], v[184:185]
	v_div_scale_f64 v[188:189], vcc, v[180:181], v[182:183], v[180:181]
	v_fma_f64 v[190:191], -v[184:185], v[186:187], 1.0
	v_fmac_f64_e32 v[186:187], v[186:187], v[190:191]
	v_fma_f64 v[190:191], -v[184:185], v[186:187], 1.0
	v_fmac_f64_e32 v[186:187], v[186:187], v[190:191]
	v_mul_f64 v[190:191], v[188:189], v[186:187]
	v_fma_f64 v[184:185], -v[184:185], v[190:191], v[188:189]
	v_div_fmas_f64 v[184:185], v[184:185], v[186:187], v[190:191]
	v_div_fixup_f64 v[184:185], v[184:185], v[182:183], v[180:181]
	v_fmac_f64_e32 v[182:183], v[180:181], v[184:185]
	v_div_scale_f64 v[180:181], s[10:11], v[182:183], v[182:183], 1.0
	v_rcp_f64_e32 v[186:187], v[180:181]
	s_nop 0
	v_fma_f64 v[188:189], -v[180:181], v[186:187], 1.0
	v_fmac_f64_e32 v[186:187], v[186:187], v[188:189]
	v_fma_f64 v[188:189], -v[180:181], v[186:187], 1.0
	v_fmac_f64_e32 v[186:187], v[186:187], v[188:189]
	v_div_scale_f64 v[188:189], vcc, 1.0, v[182:183], 1.0
	v_mul_f64 v[190:191], v[188:189], v[186:187]
	v_fma_f64 v[180:181], -v[180:181], v[190:191], v[188:189]
	s_nop 1
	v_div_fmas_f64 v[180:181], v[180:181], v[186:187], v[190:191]
	v_div_fixup_f64 v[186:187], v[180:181], v[182:183], 1.0
	v_mul_f64 v[184:185], v[184:185], v[186:187]
	v_xor_b32_e32 v187, 0x80000000, v187
                                        ; implicit-def: $vgpr180_vgpr181
.LBB89_149:
	s_andn2_saveexec_b64 s[2:3], s[2:3]
	s_cbranch_execz .LBB89_151
; %bb.150:
	v_div_scale_f64 v[184:185], s[10:11], v[180:181], v[180:181], v[182:183]
	v_rcp_f64_e32 v[186:187], v[184:185]
	v_div_scale_f64 v[188:189], vcc, v[182:183], v[180:181], v[182:183]
	v_fma_f64 v[190:191], -v[184:185], v[186:187], 1.0
	v_fmac_f64_e32 v[186:187], v[186:187], v[190:191]
	v_fma_f64 v[190:191], -v[184:185], v[186:187], 1.0
	v_fmac_f64_e32 v[186:187], v[186:187], v[190:191]
	v_mul_f64 v[190:191], v[188:189], v[186:187]
	v_fma_f64 v[184:185], -v[184:185], v[190:191], v[188:189]
	v_div_fmas_f64 v[184:185], v[184:185], v[186:187], v[190:191]
	v_div_fixup_f64 v[186:187], v[184:185], v[180:181], v[182:183]
	v_fmac_f64_e32 v[180:181], v[182:183], v[186:187]
	v_div_scale_f64 v[182:183], s[10:11], v[180:181], v[180:181], 1.0
	v_rcp_f64_e32 v[184:185], v[182:183]
	s_nop 0
	v_fma_f64 v[188:189], -v[182:183], v[184:185], 1.0
	v_fmac_f64_e32 v[184:185], v[184:185], v[188:189]
	v_fma_f64 v[188:189], -v[182:183], v[184:185], 1.0
	v_fmac_f64_e32 v[184:185], v[184:185], v[188:189]
	v_div_scale_f64 v[188:189], vcc, 1.0, v[180:181], 1.0
	v_mul_f64 v[190:191], v[188:189], v[184:185]
	v_fma_f64 v[182:183], -v[182:183], v[190:191], v[188:189]
	s_nop 1
	v_div_fmas_f64 v[182:183], v[182:183], v[184:185], v[190:191]
	v_div_fixup_f64 v[184:185], v[182:183], v[180:181], 1.0
	v_mul_f64 v[186:187], v[186:187], -v[184:185]
.LBB89_151:
	s_or_b64 exec, exec, s[2:3]
	ds_write2_b64 v208, v[184:185], v[186:187] offset1:1
.LBB89_152:
	s_or_b64 exec, exec, s[4:5]
	s_waitcnt lgkmcnt(0)
	s_barrier
	ds_read2_b64 v[180:183], v208 offset1:1
	v_cmp_lt_u32_e32 vcc, 16, v210
	s_waitcnt lgkmcnt(0)
	scratch_store_dwordx4 off, v[180:183], off offset:464 ; 16-byte Folded Spill
	s_and_saveexec_b64 s[2:3], vcc
	s_cbranch_execz .LBB89_154
; %bb.153:
	scratch_load_dwordx4 v[182:185], off, off offset:464 ; 16-byte Folded Reload
	s_waitcnt vmcnt(0)
	v_mul_f64 v[180:181], v[184:185], v[110:111]
	v_mul_f64 v[110:111], v[182:183], v[110:111]
	v_fma_f64 v[180:181], v[182:183], v[108:109], -v[180:181]
	v_fmac_f64_e32 v[110:111], v[184:185], v[108:109]
	ds_read2_b64 v[182:185], v209 offset0:34 offset1:35
	s_waitcnt lgkmcnt(0)
	v_mul_f64 v[108:109], v[184:185], v[110:111]
	v_fma_f64 v[108:109], v[182:183], v[180:181], -v[108:109]
	v_mul_f64 v[182:183], v[182:183], v[110:111]
	v_fmac_f64_e32 v[182:183], v[184:185], v[180:181]
	v_add_f64 v[106:107], v[106:107], -v[182:183]
	ds_read2_b64 v[182:185], v209 offset0:36 offset1:37
	v_add_f64 v[104:105], v[104:105], -v[108:109]
	s_waitcnt lgkmcnt(0)
	v_mul_f64 v[108:109], v[184:185], v[110:111]
	v_fma_f64 v[108:109], v[182:183], v[180:181], -v[108:109]
	v_mul_f64 v[182:183], v[182:183], v[110:111]
	v_fmac_f64_e32 v[182:183], v[184:185], v[180:181]
	v_add_f64 v[102:103], v[102:103], -v[182:183]
	ds_read2_b64 v[182:185], v209 offset0:38 offset1:39
	v_add_f64 v[100:101], v[100:101], -v[108:109]
	;; [unrolled: 8-line block ×27, first 2 shown]
	s_waitcnt lgkmcnt(0)
	v_mul_f64 v[108:109], v[184:185], v[110:111]
	v_fma_f64 v[108:109], v[182:183], v[180:181], -v[108:109]
	v_mul_f64 v[182:183], v[182:183], v[110:111]
	v_fmac_f64_e32 v[182:183], v[184:185], v[180:181]
	v_add_f64 v[176:177], v[176:177], -v[108:109]
	v_add_f64 v[178:179], v[178:179], -v[182:183]
	v_mov_b64_e32 v[108:109], v[180:181]
.LBB89_154:
	s_or_b64 exec, exec, s[2:3]
	v_cmp_eq_u32_e32 vcc, 17, v210
	s_barrier
	s_and_saveexec_b64 s[4:5], vcc
	s_cbranch_execz .LBB89_161
; %bb.155:
	s_waitcnt vmcnt(44)
	ds_write2_b64 v208, v[104:105], v[106:107] offset1:1
	s_waitcnt vmcnt(43)
	ds_write2_b64 v209, v[100:101], v[102:103] offset0:36 offset1:37
	s_waitcnt vmcnt(42)
	ds_write2_b64 v209, v[96:97], v[98:99] offset0:38 offset1:39
	;; [unrolled: 2-line block ×27, first 2 shown]
	ds_read2_b64 v[180:183], v208 offset1:1
	s_waitcnt lgkmcnt(0)
	v_cmp_neq_f64_e32 vcc, 0, v[180:181]
	v_cmp_neq_f64_e64 s[2:3], 0, v[182:183]
	s_or_b64 s[2:3], vcc, s[2:3]
	s_and_b64 exec, exec, s[2:3]
	s_cbranch_execz .LBB89_161
; %bb.156:
	v_cmp_ngt_f64_e64 s[2:3], |v[180:181]|, |v[182:183]|
                                        ; implicit-def: $vgpr184_vgpr185
	s_and_saveexec_b64 s[10:11], s[2:3]
	s_xor_b64 s[2:3], exec, s[10:11]
                                        ; implicit-def: $vgpr186_vgpr187
	s_cbranch_execz .LBB89_158
; %bb.157:
	v_div_scale_f64 v[184:185], s[10:11], v[182:183], v[182:183], v[180:181]
	v_rcp_f64_e32 v[186:187], v[184:185]
	v_div_scale_f64 v[188:189], vcc, v[180:181], v[182:183], v[180:181]
	v_fma_f64 v[190:191], -v[184:185], v[186:187], 1.0
	v_fmac_f64_e32 v[186:187], v[186:187], v[190:191]
	v_fma_f64 v[190:191], -v[184:185], v[186:187], 1.0
	v_fmac_f64_e32 v[186:187], v[186:187], v[190:191]
	v_mul_f64 v[190:191], v[188:189], v[186:187]
	v_fma_f64 v[184:185], -v[184:185], v[190:191], v[188:189]
	v_div_fmas_f64 v[184:185], v[184:185], v[186:187], v[190:191]
	v_div_fixup_f64 v[184:185], v[184:185], v[182:183], v[180:181]
	v_fmac_f64_e32 v[182:183], v[180:181], v[184:185]
	v_div_scale_f64 v[180:181], s[10:11], v[182:183], v[182:183], 1.0
	v_rcp_f64_e32 v[186:187], v[180:181]
	s_nop 0
	v_fma_f64 v[188:189], -v[180:181], v[186:187], 1.0
	v_fmac_f64_e32 v[186:187], v[186:187], v[188:189]
	v_fma_f64 v[188:189], -v[180:181], v[186:187], 1.0
	v_fmac_f64_e32 v[186:187], v[186:187], v[188:189]
	v_div_scale_f64 v[188:189], vcc, 1.0, v[182:183], 1.0
	v_mul_f64 v[190:191], v[188:189], v[186:187]
	v_fma_f64 v[180:181], -v[180:181], v[190:191], v[188:189]
	s_nop 1
	v_div_fmas_f64 v[180:181], v[180:181], v[186:187], v[190:191]
	v_div_fixup_f64 v[186:187], v[180:181], v[182:183], 1.0
	v_mul_f64 v[184:185], v[184:185], v[186:187]
	v_xor_b32_e32 v187, 0x80000000, v187
                                        ; implicit-def: $vgpr180_vgpr181
.LBB89_158:
	s_andn2_saveexec_b64 s[2:3], s[2:3]
	s_cbranch_execz .LBB89_160
; %bb.159:
	v_div_scale_f64 v[184:185], s[10:11], v[180:181], v[180:181], v[182:183]
	v_rcp_f64_e32 v[186:187], v[184:185]
	v_div_scale_f64 v[188:189], vcc, v[182:183], v[180:181], v[182:183]
	v_fma_f64 v[190:191], -v[184:185], v[186:187], 1.0
	v_fmac_f64_e32 v[186:187], v[186:187], v[190:191]
	v_fma_f64 v[190:191], -v[184:185], v[186:187], 1.0
	v_fmac_f64_e32 v[186:187], v[186:187], v[190:191]
	v_mul_f64 v[190:191], v[188:189], v[186:187]
	v_fma_f64 v[184:185], -v[184:185], v[190:191], v[188:189]
	v_div_fmas_f64 v[184:185], v[184:185], v[186:187], v[190:191]
	v_div_fixup_f64 v[186:187], v[184:185], v[180:181], v[182:183]
	v_fmac_f64_e32 v[180:181], v[182:183], v[186:187]
	v_div_scale_f64 v[182:183], s[10:11], v[180:181], v[180:181], 1.0
	v_rcp_f64_e32 v[184:185], v[182:183]
	s_nop 0
	v_fma_f64 v[188:189], -v[182:183], v[184:185], 1.0
	v_fmac_f64_e32 v[184:185], v[184:185], v[188:189]
	v_fma_f64 v[188:189], -v[182:183], v[184:185], 1.0
	v_fmac_f64_e32 v[184:185], v[184:185], v[188:189]
	v_div_scale_f64 v[188:189], vcc, 1.0, v[180:181], 1.0
	v_mul_f64 v[190:191], v[188:189], v[184:185]
	v_fma_f64 v[182:183], -v[182:183], v[190:191], v[188:189]
	s_nop 1
	v_div_fmas_f64 v[182:183], v[182:183], v[184:185], v[190:191]
	v_div_fixup_f64 v[184:185], v[182:183], v[180:181], 1.0
	v_mul_f64 v[186:187], v[186:187], -v[184:185]
.LBB89_160:
	s_or_b64 exec, exec, s[2:3]
	ds_write2_b64 v208, v[184:185], v[186:187] offset1:1
.LBB89_161:
	s_or_b64 exec, exec, s[4:5]
	s_waitcnt lgkmcnt(0)
	s_barrier
	ds_read2_b64 v[180:183], v208 offset1:1
	v_cmp_lt_u32_e32 vcc, 17, v210
	s_waitcnt lgkmcnt(0)
	scratch_store_dwordx4 off, v[180:183], off offset:480 ; 16-byte Folded Spill
	s_and_saveexec_b64 s[2:3], vcc
	s_cbranch_execz .LBB89_163
; %bb.162:
	scratch_load_dwordx4 v[182:185], off, off offset:480 ; 16-byte Folded Reload
	s_waitcnt vmcnt(0)
	v_mul_f64 v[180:181], v[184:185], v[106:107]
	v_mul_f64 v[106:107], v[182:183], v[106:107]
	v_fma_f64 v[180:181], v[182:183], v[104:105], -v[180:181]
	v_fmac_f64_e32 v[106:107], v[184:185], v[104:105]
	ds_read2_b64 v[182:185], v209 offset0:36 offset1:37
	s_waitcnt lgkmcnt(0)
	v_mul_f64 v[104:105], v[184:185], v[106:107]
	v_fma_f64 v[104:105], v[182:183], v[180:181], -v[104:105]
	v_mul_f64 v[182:183], v[182:183], v[106:107]
	v_fmac_f64_e32 v[182:183], v[184:185], v[180:181]
	v_add_f64 v[102:103], v[102:103], -v[182:183]
	ds_read2_b64 v[182:185], v209 offset0:38 offset1:39
	v_add_f64 v[100:101], v[100:101], -v[104:105]
	s_waitcnt lgkmcnt(0)
	v_mul_f64 v[104:105], v[184:185], v[106:107]
	v_fma_f64 v[104:105], v[182:183], v[180:181], -v[104:105]
	v_mul_f64 v[182:183], v[182:183], v[106:107]
	v_fmac_f64_e32 v[182:183], v[184:185], v[180:181]
	v_add_f64 v[98:99], v[98:99], -v[182:183]
	ds_read2_b64 v[182:185], v209 offset0:40 offset1:41
	v_add_f64 v[96:97], v[96:97], -v[104:105]
	;; [unrolled: 8-line block ×26, first 2 shown]
	s_waitcnt lgkmcnt(0)
	v_mul_f64 v[104:105], v[184:185], v[106:107]
	v_fma_f64 v[104:105], v[182:183], v[180:181], -v[104:105]
	v_mul_f64 v[182:183], v[182:183], v[106:107]
	v_fmac_f64_e32 v[182:183], v[184:185], v[180:181]
	v_add_f64 v[176:177], v[176:177], -v[104:105]
	v_add_f64 v[178:179], v[178:179], -v[182:183]
	v_mov_b64_e32 v[104:105], v[180:181]
.LBB89_163:
	s_or_b64 exec, exec, s[2:3]
	v_cmp_eq_u32_e32 vcc, 18, v210
	s_barrier
	s_and_saveexec_b64 s[4:5], vcc
	s_cbranch_execz .LBB89_170
; %bb.164:
	s_waitcnt vmcnt(44)
	ds_write2_b64 v208, v[100:101], v[102:103] offset1:1
	s_waitcnt vmcnt(43)
	ds_write2_b64 v209, v[96:97], v[98:99] offset0:38 offset1:39
	s_waitcnt vmcnt(42)
	ds_write2_b64 v209, v[92:93], v[94:95] offset0:40 offset1:41
	;; [unrolled: 2-line block ×26, first 2 shown]
	ds_read2_b64 v[180:183], v208 offset1:1
	s_waitcnt lgkmcnt(0)
	v_cmp_neq_f64_e32 vcc, 0, v[180:181]
	v_cmp_neq_f64_e64 s[2:3], 0, v[182:183]
	s_or_b64 s[2:3], vcc, s[2:3]
	s_and_b64 exec, exec, s[2:3]
	s_cbranch_execz .LBB89_170
; %bb.165:
	v_cmp_ngt_f64_e64 s[2:3], |v[180:181]|, |v[182:183]|
                                        ; implicit-def: $vgpr184_vgpr185
	s_and_saveexec_b64 s[10:11], s[2:3]
	s_xor_b64 s[2:3], exec, s[10:11]
                                        ; implicit-def: $vgpr186_vgpr187
	s_cbranch_execz .LBB89_167
; %bb.166:
	v_div_scale_f64 v[184:185], s[10:11], v[182:183], v[182:183], v[180:181]
	v_rcp_f64_e32 v[186:187], v[184:185]
	v_div_scale_f64 v[188:189], vcc, v[180:181], v[182:183], v[180:181]
	v_fma_f64 v[190:191], -v[184:185], v[186:187], 1.0
	v_fmac_f64_e32 v[186:187], v[186:187], v[190:191]
	v_fma_f64 v[190:191], -v[184:185], v[186:187], 1.0
	v_fmac_f64_e32 v[186:187], v[186:187], v[190:191]
	v_mul_f64 v[190:191], v[188:189], v[186:187]
	v_fma_f64 v[184:185], -v[184:185], v[190:191], v[188:189]
	v_div_fmas_f64 v[184:185], v[184:185], v[186:187], v[190:191]
	v_div_fixup_f64 v[184:185], v[184:185], v[182:183], v[180:181]
	v_fmac_f64_e32 v[182:183], v[180:181], v[184:185]
	v_div_scale_f64 v[180:181], s[10:11], v[182:183], v[182:183], 1.0
	v_rcp_f64_e32 v[186:187], v[180:181]
	s_nop 0
	v_fma_f64 v[188:189], -v[180:181], v[186:187], 1.0
	v_fmac_f64_e32 v[186:187], v[186:187], v[188:189]
	v_fma_f64 v[188:189], -v[180:181], v[186:187], 1.0
	v_fmac_f64_e32 v[186:187], v[186:187], v[188:189]
	v_div_scale_f64 v[188:189], vcc, 1.0, v[182:183], 1.0
	v_mul_f64 v[190:191], v[188:189], v[186:187]
	v_fma_f64 v[180:181], -v[180:181], v[190:191], v[188:189]
	s_nop 1
	v_div_fmas_f64 v[180:181], v[180:181], v[186:187], v[190:191]
	v_div_fixup_f64 v[186:187], v[180:181], v[182:183], 1.0
	v_mul_f64 v[184:185], v[184:185], v[186:187]
	v_xor_b32_e32 v187, 0x80000000, v187
                                        ; implicit-def: $vgpr180_vgpr181
.LBB89_167:
	s_andn2_saveexec_b64 s[2:3], s[2:3]
	s_cbranch_execz .LBB89_169
; %bb.168:
	v_div_scale_f64 v[184:185], s[10:11], v[180:181], v[180:181], v[182:183]
	v_rcp_f64_e32 v[186:187], v[184:185]
	v_div_scale_f64 v[188:189], vcc, v[182:183], v[180:181], v[182:183]
	v_fma_f64 v[190:191], -v[184:185], v[186:187], 1.0
	v_fmac_f64_e32 v[186:187], v[186:187], v[190:191]
	v_fma_f64 v[190:191], -v[184:185], v[186:187], 1.0
	v_fmac_f64_e32 v[186:187], v[186:187], v[190:191]
	v_mul_f64 v[190:191], v[188:189], v[186:187]
	v_fma_f64 v[184:185], -v[184:185], v[190:191], v[188:189]
	v_div_fmas_f64 v[184:185], v[184:185], v[186:187], v[190:191]
	v_div_fixup_f64 v[186:187], v[184:185], v[180:181], v[182:183]
	v_fmac_f64_e32 v[180:181], v[182:183], v[186:187]
	v_div_scale_f64 v[182:183], s[10:11], v[180:181], v[180:181], 1.0
	v_rcp_f64_e32 v[184:185], v[182:183]
	s_nop 0
	v_fma_f64 v[188:189], -v[182:183], v[184:185], 1.0
	v_fmac_f64_e32 v[184:185], v[184:185], v[188:189]
	v_fma_f64 v[188:189], -v[182:183], v[184:185], 1.0
	v_fmac_f64_e32 v[184:185], v[184:185], v[188:189]
	v_div_scale_f64 v[188:189], vcc, 1.0, v[180:181], 1.0
	v_mul_f64 v[190:191], v[188:189], v[184:185]
	v_fma_f64 v[182:183], -v[182:183], v[190:191], v[188:189]
	s_nop 1
	v_div_fmas_f64 v[182:183], v[182:183], v[184:185], v[190:191]
	v_div_fixup_f64 v[184:185], v[182:183], v[180:181], 1.0
	v_mul_f64 v[186:187], v[186:187], -v[184:185]
.LBB89_169:
	s_or_b64 exec, exec, s[2:3]
	ds_write2_b64 v208, v[184:185], v[186:187] offset1:1
.LBB89_170:
	s_or_b64 exec, exec, s[4:5]
	s_waitcnt lgkmcnt(0)
	s_barrier
	ds_read2_b64 v[180:183], v208 offset1:1
	v_cmp_lt_u32_e32 vcc, 18, v210
	s_waitcnt lgkmcnt(0)
	scratch_store_dwordx4 off, v[180:183], off offset:496 ; 16-byte Folded Spill
	s_and_saveexec_b64 s[2:3], vcc
	s_cbranch_execz .LBB89_172
; %bb.171:
	scratch_load_dwordx4 v[182:185], off, off offset:496 ; 16-byte Folded Reload
	s_waitcnt vmcnt(0)
	v_mul_f64 v[180:181], v[184:185], v[102:103]
	v_mul_f64 v[102:103], v[182:183], v[102:103]
	v_fma_f64 v[180:181], v[182:183], v[100:101], -v[180:181]
	v_fmac_f64_e32 v[102:103], v[184:185], v[100:101]
	ds_read2_b64 v[182:185], v209 offset0:38 offset1:39
	s_waitcnt lgkmcnt(0)
	v_mul_f64 v[100:101], v[184:185], v[102:103]
	v_fma_f64 v[100:101], v[182:183], v[180:181], -v[100:101]
	v_mul_f64 v[182:183], v[182:183], v[102:103]
	v_fmac_f64_e32 v[182:183], v[184:185], v[180:181]
	v_add_f64 v[98:99], v[98:99], -v[182:183]
	ds_read2_b64 v[182:185], v209 offset0:40 offset1:41
	v_add_f64 v[96:97], v[96:97], -v[100:101]
	s_waitcnt lgkmcnt(0)
	v_mul_f64 v[100:101], v[184:185], v[102:103]
	v_fma_f64 v[100:101], v[182:183], v[180:181], -v[100:101]
	v_mul_f64 v[182:183], v[182:183], v[102:103]
	v_fmac_f64_e32 v[182:183], v[184:185], v[180:181]
	v_add_f64 v[94:95], v[94:95], -v[182:183]
	ds_read2_b64 v[182:185], v209 offset0:42 offset1:43
	v_add_f64 v[92:93], v[92:93], -v[100:101]
	s_waitcnt lgkmcnt(0)
	v_mul_f64 v[100:101], v[184:185], v[102:103]
	v_fma_f64 v[100:101], v[182:183], v[180:181], -v[100:101]
	v_mul_f64 v[182:183], v[182:183], v[102:103]
	v_fmac_f64_e32 v[182:183], v[184:185], v[180:181]
	v_add_f64 v[90:91], v[90:91], -v[182:183]
	ds_read2_b64 v[182:185], v209 offset0:44 offset1:45
	v_add_f64 v[88:89], v[88:89], -v[100:101]
	s_waitcnt lgkmcnt(0)
	v_mul_f64 v[100:101], v[184:185], v[102:103]
	v_fma_f64 v[100:101], v[182:183], v[180:181], -v[100:101]
	v_mul_f64 v[182:183], v[182:183], v[102:103]
	v_fmac_f64_e32 v[182:183], v[184:185], v[180:181]
	v_add_f64 v[86:87], v[86:87], -v[182:183]
	ds_read2_b64 v[182:185], v209 offset0:46 offset1:47
	v_add_f64 v[84:85], v[84:85], -v[100:101]
	s_waitcnt lgkmcnt(0)
	v_mul_f64 v[100:101], v[184:185], v[102:103]
	v_fma_f64 v[100:101], v[182:183], v[180:181], -v[100:101]
	v_mul_f64 v[182:183], v[182:183], v[102:103]
	v_fmac_f64_e32 v[182:183], v[184:185], v[180:181]
	v_add_f64 v[82:83], v[82:83], -v[182:183]
	ds_read2_b64 v[182:185], v209 offset0:48 offset1:49
	v_add_f64 v[80:81], v[80:81], -v[100:101]
	s_waitcnt lgkmcnt(0)
	v_mul_f64 v[100:101], v[184:185], v[102:103]
	v_fma_f64 v[100:101], v[182:183], v[180:181], -v[100:101]
	v_mul_f64 v[182:183], v[182:183], v[102:103]
	v_fmac_f64_e32 v[182:183], v[184:185], v[180:181]
	v_add_f64 v[78:79], v[78:79], -v[182:183]
	ds_read2_b64 v[182:185], v209 offset0:50 offset1:51
	v_add_f64 v[76:77], v[76:77], -v[100:101]
	s_waitcnt lgkmcnt(0)
	v_mul_f64 v[100:101], v[184:185], v[102:103]
	v_fma_f64 v[100:101], v[182:183], v[180:181], -v[100:101]
	v_mul_f64 v[182:183], v[182:183], v[102:103]
	v_fmac_f64_e32 v[182:183], v[184:185], v[180:181]
	v_add_f64 v[74:75], v[74:75], -v[182:183]
	ds_read2_b64 v[182:185], v209 offset0:52 offset1:53
	v_add_f64 v[72:73], v[72:73], -v[100:101]
	s_waitcnt lgkmcnt(0)
	v_mul_f64 v[100:101], v[184:185], v[102:103]
	v_fma_f64 v[100:101], v[182:183], v[180:181], -v[100:101]
	v_mul_f64 v[182:183], v[182:183], v[102:103]
	v_fmac_f64_e32 v[182:183], v[184:185], v[180:181]
	v_add_f64 v[70:71], v[70:71], -v[182:183]
	ds_read2_b64 v[182:185], v209 offset0:54 offset1:55
	v_add_f64 v[68:69], v[68:69], -v[100:101]
	s_waitcnt lgkmcnt(0)
	v_mul_f64 v[100:101], v[184:185], v[102:103]
	v_fma_f64 v[100:101], v[182:183], v[180:181], -v[100:101]
	v_mul_f64 v[182:183], v[182:183], v[102:103]
	v_fmac_f64_e32 v[182:183], v[184:185], v[180:181]
	v_add_f64 v[66:67], v[66:67], -v[182:183]
	ds_read2_b64 v[182:185], v209 offset0:56 offset1:57
	v_add_f64 v[64:65], v[64:65], -v[100:101]
	s_waitcnt lgkmcnt(0)
	v_mul_f64 v[100:101], v[184:185], v[102:103]
	v_fma_f64 v[100:101], v[182:183], v[180:181], -v[100:101]
	v_mul_f64 v[182:183], v[182:183], v[102:103]
	v_fmac_f64_e32 v[182:183], v[184:185], v[180:181]
	v_add_f64 v[62:63], v[62:63], -v[182:183]
	ds_read2_b64 v[182:185], v209 offset0:58 offset1:59
	v_add_f64 v[60:61], v[60:61], -v[100:101]
	s_waitcnt lgkmcnt(0)
	v_mul_f64 v[100:101], v[184:185], v[102:103]
	v_fma_f64 v[100:101], v[182:183], v[180:181], -v[100:101]
	v_mul_f64 v[182:183], v[182:183], v[102:103]
	v_fmac_f64_e32 v[182:183], v[184:185], v[180:181]
	v_add_f64 v[58:59], v[58:59], -v[182:183]
	ds_read2_b64 v[182:185], v209 offset0:60 offset1:61
	v_add_f64 v[56:57], v[56:57], -v[100:101]
	s_waitcnt lgkmcnt(0)
	v_mul_f64 v[100:101], v[184:185], v[102:103]
	v_fma_f64 v[100:101], v[182:183], v[180:181], -v[100:101]
	v_mul_f64 v[182:183], v[182:183], v[102:103]
	v_fmac_f64_e32 v[182:183], v[184:185], v[180:181]
	v_add_f64 v[54:55], v[54:55], -v[182:183]
	ds_read2_b64 v[182:185], v209 offset0:62 offset1:63
	v_add_f64 v[52:53], v[52:53], -v[100:101]
	s_waitcnt lgkmcnt(0)
	v_mul_f64 v[100:101], v[184:185], v[102:103]
	v_fma_f64 v[100:101], v[182:183], v[180:181], -v[100:101]
	v_mul_f64 v[182:183], v[182:183], v[102:103]
	v_fmac_f64_e32 v[182:183], v[184:185], v[180:181]
	v_add_f64 v[220:221], v[220:221], -v[182:183]
	ds_read2_b64 v[182:185], v209 offset0:64 offset1:65
	v_add_f64 v[218:219], v[218:219], -v[100:101]
	s_waitcnt lgkmcnt(0)
	v_mul_f64 v[100:101], v[184:185], v[102:103]
	v_fma_f64 v[100:101], v[182:183], v[180:181], -v[100:101]
	v_mul_f64 v[182:183], v[182:183], v[102:103]
	v_fmac_f64_e32 v[182:183], v[184:185], v[180:181]
	v_add_f64 v[46:47], v[46:47], -v[182:183]
	ds_read2_b64 v[182:185], v209 offset0:66 offset1:67
	v_add_f64 v[44:45], v[44:45], -v[100:101]
	s_waitcnt lgkmcnt(0)
	v_mul_f64 v[100:101], v[184:185], v[102:103]
	v_fma_f64 v[100:101], v[182:183], v[180:181], -v[100:101]
	v_mul_f64 v[182:183], v[182:183], v[102:103]
	v_fmac_f64_e32 v[182:183], v[184:185], v[180:181]
	v_add_f64 v[42:43], v[42:43], -v[182:183]
	ds_read2_b64 v[182:185], v209 offset0:68 offset1:69
	v_add_f64 v[40:41], v[40:41], -v[100:101]
	s_waitcnt lgkmcnt(0)
	v_mul_f64 v[100:101], v[184:185], v[102:103]
	v_fma_f64 v[100:101], v[182:183], v[180:181], -v[100:101]
	v_mul_f64 v[182:183], v[182:183], v[102:103]
	v_fmac_f64_e32 v[182:183], v[184:185], v[180:181]
	v_add_f64 v[38:39], v[38:39], -v[182:183]
	ds_read2_b64 v[182:185], v209 offset0:70 offset1:71
	v_add_f64 v[36:37], v[36:37], -v[100:101]
	s_waitcnt lgkmcnt(0)
	v_mul_f64 v[100:101], v[184:185], v[102:103]
	v_fma_f64 v[100:101], v[182:183], v[180:181], -v[100:101]
	v_mul_f64 v[182:183], v[182:183], v[102:103]
	v_fmac_f64_e32 v[182:183], v[184:185], v[180:181]
	v_add_f64 v[34:35], v[34:35], -v[182:183]
	ds_read2_b64 v[182:185], v209 offset0:72 offset1:73
	v_add_f64 v[32:33], v[32:33], -v[100:101]
	s_waitcnt lgkmcnt(0)
	v_mul_f64 v[100:101], v[184:185], v[102:103]
	v_fma_f64 v[100:101], v[182:183], v[180:181], -v[100:101]
	v_mul_f64 v[182:183], v[182:183], v[102:103]
	v_fmac_f64_e32 v[182:183], v[184:185], v[180:181]
	v_add_f64 v[30:31], v[30:31], -v[182:183]
	ds_read2_b64 v[182:185], v209 offset0:74 offset1:75
	v_add_f64 v[28:29], v[28:29], -v[100:101]
	s_waitcnt lgkmcnt(0)
	v_mul_f64 v[100:101], v[184:185], v[102:103]
	v_fma_f64 v[100:101], v[182:183], v[180:181], -v[100:101]
	v_mul_f64 v[182:183], v[182:183], v[102:103]
	v_fmac_f64_e32 v[182:183], v[184:185], v[180:181]
	v_add_f64 v[26:27], v[26:27], -v[182:183]
	ds_read2_b64 v[182:185], v209 offset0:76 offset1:77
	v_add_f64 v[24:25], v[24:25], -v[100:101]
	s_waitcnt lgkmcnt(0)
	v_mul_f64 v[100:101], v[184:185], v[102:103]
	v_fma_f64 v[100:101], v[182:183], v[180:181], -v[100:101]
	v_mul_f64 v[182:183], v[182:183], v[102:103]
	v_fmac_f64_e32 v[182:183], v[184:185], v[180:181]
	v_add_f64 v[22:23], v[22:23], -v[182:183]
	ds_read2_b64 v[182:185], v209 offset0:78 offset1:79
	v_add_f64 v[20:21], v[20:21], -v[100:101]
	s_waitcnt lgkmcnt(0)
	v_mul_f64 v[100:101], v[184:185], v[102:103]
	v_fma_f64 v[100:101], v[182:183], v[180:181], -v[100:101]
	v_mul_f64 v[182:183], v[182:183], v[102:103]
	v_fmac_f64_e32 v[182:183], v[184:185], v[180:181]
	v_add_f64 v[18:19], v[18:19], -v[182:183]
	ds_read2_b64 v[182:185], v209 offset0:80 offset1:81
	v_add_f64 v[16:17], v[16:17], -v[100:101]
	s_waitcnt lgkmcnt(0)
	v_mul_f64 v[100:101], v[184:185], v[102:103]
	v_fma_f64 v[100:101], v[182:183], v[180:181], -v[100:101]
	v_mul_f64 v[182:183], v[182:183], v[102:103]
	v_fmac_f64_e32 v[182:183], v[184:185], v[180:181]
	v_add_f64 v[14:15], v[14:15], -v[182:183]
	ds_read2_b64 v[182:185], v209 offset0:82 offset1:83
	v_add_f64 v[12:13], v[12:13], -v[100:101]
	s_waitcnt lgkmcnt(0)
	v_mul_f64 v[100:101], v[184:185], v[102:103]
	v_fma_f64 v[100:101], v[182:183], v[180:181], -v[100:101]
	v_mul_f64 v[182:183], v[182:183], v[102:103]
	v_fmac_f64_e32 v[182:183], v[184:185], v[180:181]
	v_add_f64 v[10:11], v[10:11], -v[182:183]
	ds_read2_b64 v[182:185], v209 offset0:84 offset1:85
	v_add_f64 v[8:9], v[8:9], -v[100:101]
	s_waitcnt lgkmcnt(0)
	v_mul_f64 v[100:101], v[184:185], v[102:103]
	v_fma_f64 v[100:101], v[182:183], v[180:181], -v[100:101]
	v_mul_f64 v[182:183], v[182:183], v[102:103]
	v_fmac_f64_e32 v[182:183], v[184:185], v[180:181]
	v_add_f64 v[6:7], v[6:7], -v[182:183]
	ds_read2_b64 v[182:185], v209 offset0:86 offset1:87
	v_add_f64 v[4:5], v[4:5], -v[100:101]
	s_waitcnt lgkmcnt(0)
	v_mul_f64 v[100:101], v[184:185], v[102:103]
	v_fma_f64 v[100:101], v[182:183], v[180:181], -v[100:101]
	v_mul_f64 v[182:183], v[182:183], v[102:103]
	v_fmac_f64_e32 v[182:183], v[184:185], v[180:181]
	v_add_f64 v[2:3], v[2:3], -v[182:183]
	ds_read2_b64 v[182:185], v209 offset0:88 offset1:89
	v_add_f64 v[0:1], v[0:1], -v[100:101]
	s_waitcnt lgkmcnt(0)
	v_mul_f64 v[100:101], v[184:185], v[102:103]
	v_fma_f64 v[100:101], v[182:183], v[180:181], -v[100:101]
	v_mul_f64 v[182:183], v[182:183], v[102:103]
	v_fmac_f64_e32 v[182:183], v[184:185], v[180:181]
	v_add_f64 v[176:177], v[176:177], -v[100:101]
	v_add_f64 v[178:179], v[178:179], -v[182:183]
	v_mov_b64_e32 v[100:101], v[180:181]
.LBB89_172:
	s_or_b64 exec, exec, s[2:3]
	v_cmp_eq_u32_e32 vcc, 19, v210
	s_barrier
	s_and_saveexec_b64 s[4:5], vcc
	s_cbranch_execz .LBB89_179
; %bb.173:
	s_waitcnt vmcnt(44)
	ds_write2_b64 v208, v[96:97], v[98:99] offset1:1
	s_waitcnt vmcnt(43)
	ds_write2_b64 v209, v[92:93], v[94:95] offset0:40 offset1:41
	s_waitcnt vmcnt(42)
	ds_write2_b64 v209, v[88:89], v[90:91] offset0:42 offset1:43
	;; [unrolled: 2-line block ×25, first 2 shown]
	ds_read2_b64 v[180:183], v208 offset1:1
	s_waitcnt lgkmcnt(0)
	v_cmp_neq_f64_e32 vcc, 0, v[180:181]
	v_cmp_neq_f64_e64 s[2:3], 0, v[182:183]
	s_or_b64 s[2:3], vcc, s[2:3]
	s_and_b64 exec, exec, s[2:3]
	s_cbranch_execz .LBB89_179
; %bb.174:
	v_cmp_ngt_f64_e64 s[2:3], |v[180:181]|, |v[182:183]|
                                        ; implicit-def: $vgpr184_vgpr185
	s_and_saveexec_b64 s[10:11], s[2:3]
	s_xor_b64 s[2:3], exec, s[10:11]
                                        ; implicit-def: $vgpr186_vgpr187
	s_cbranch_execz .LBB89_176
; %bb.175:
	v_div_scale_f64 v[184:185], s[10:11], v[182:183], v[182:183], v[180:181]
	v_rcp_f64_e32 v[186:187], v[184:185]
	v_div_scale_f64 v[188:189], vcc, v[180:181], v[182:183], v[180:181]
	v_fma_f64 v[190:191], -v[184:185], v[186:187], 1.0
	v_fmac_f64_e32 v[186:187], v[186:187], v[190:191]
	v_fma_f64 v[190:191], -v[184:185], v[186:187], 1.0
	v_fmac_f64_e32 v[186:187], v[186:187], v[190:191]
	v_mul_f64 v[190:191], v[188:189], v[186:187]
	v_fma_f64 v[184:185], -v[184:185], v[190:191], v[188:189]
	v_div_fmas_f64 v[184:185], v[184:185], v[186:187], v[190:191]
	v_div_fixup_f64 v[184:185], v[184:185], v[182:183], v[180:181]
	v_fmac_f64_e32 v[182:183], v[180:181], v[184:185]
	v_div_scale_f64 v[180:181], s[10:11], v[182:183], v[182:183], 1.0
	v_rcp_f64_e32 v[186:187], v[180:181]
	s_nop 0
	v_fma_f64 v[188:189], -v[180:181], v[186:187], 1.0
	v_fmac_f64_e32 v[186:187], v[186:187], v[188:189]
	v_fma_f64 v[188:189], -v[180:181], v[186:187], 1.0
	v_fmac_f64_e32 v[186:187], v[186:187], v[188:189]
	v_div_scale_f64 v[188:189], vcc, 1.0, v[182:183], 1.0
	v_mul_f64 v[190:191], v[188:189], v[186:187]
	v_fma_f64 v[180:181], -v[180:181], v[190:191], v[188:189]
	s_nop 1
	v_div_fmas_f64 v[180:181], v[180:181], v[186:187], v[190:191]
	v_div_fixup_f64 v[186:187], v[180:181], v[182:183], 1.0
	v_mul_f64 v[184:185], v[184:185], v[186:187]
	v_xor_b32_e32 v187, 0x80000000, v187
                                        ; implicit-def: $vgpr180_vgpr181
.LBB89_176:
	s_andn2_saveexec_b64 s[2:3], s[2:3]
	s_cbranch_execz .LBB89_178
; %bb.177:
	v_div_scale_f64 v[184:185], s[10:11], v[180:181], v[180:181], v[182:183]
	v_rcp_f64_e32 v[186:187], v[184:185]
	v_div_scale_f64 v[188:189], vcc, v[182:183], v[180:181], v[182:183]
	v_fma_f64 v[190:191], -v[184:185], v[186:187], 1.0
	v_fmac_f64_e32 v[186:187], v[186:187], v[190:191]
	v_fma_f64 v[190:191], -v[184:185], v[186:187], 1.0
	v_fmac_f64_e32 v[186:187], v[186:187], v[190:191]
	v_mul_f64 v[190:191], v[188:189], v[186:187]
	v_fma_f64 v[184:185], -v[184:185], v[190:191], v[188:189]
	v_div_fmas_f64 v[184:185], v[184:185], v[186:187], v[190:191]
	v_div_fixup_f64 v[186:187], v[184:185], v[180:181], v[182:183]
	v_fmac_f64_e32 v[180:181], v[182:183], v[186:187]
	v_div_scale_f64 v[182:183], s[10:11], v[180:181], v[180:181], 1.0
	v_rcp_f64_e32 v[184:185], v[182:183]
	s_nop 0
	v_fma_f64 v[188:189], -v[182:183], v[184:185], 1.0
	v_fmac_f64_e32 v[184:185], v[184:185], v[188:189]
	v_fma_f64 v[188:189], -v[182:183], v[184:185], 1.0
	v_fmac_f64_e32 v[184:185], v[184:185], v[188:189]
	v_div_scale_f64 v[188:189], vcc, 1.0, v[180:181], 1.0
	v_mul_f64 v[190:191], v[188:189], v[184:185]
	v_fma_f64 v[182:183], -v[182:183], v[190:191], v[188:189]
	s_nop 1
	v_div_fmas_f64 v[182:183], v[182:183], v[184:185], v[190:191]
	v_div_fixup_f64 v[184:185], v[182:183], v[180:181], 1.0
	v_mul_f64 v[186:187], v[186:187], -v[184:185]
.LBB89_178:
	s_or_b64 exec, exec, s[2:3]
	ds_write2_b64 v208, v[184:185], v[186:187] offset1:1
.LBB89_179:
	s_or_b64 exec, exec, s[4:5]
	s_waitcnt lgkmcnt(0)
	s_barrier
	ds_read2_b64 v[180:183], v208 offset1:1
	v_cmp_lt_u32_e32 vcc, 19, v210
	s_waitcnt lgkmcnt(0)
	scratch_store_dwordx4 off, v[180:183], off offset:512 ; 16-byte Folded Spill
	s_and_saveexec_b64 s[2:3], vcc
	s_cbranch_execz .LBB89_181
; %bb.180:
	scratch_load_dwordx4 v[182:185], off, off offset:512 ; 16-byte Folded Reload
	s_waitcnt vmcnt(0)
	v_mul_f64 v[180:181], v[184:185], v[98:99]
	v_mul_f64 v[98:99], v[182:183], v[98:99]
	v_fma_f64 v[180:181], v[182:183], v[96:97], -v[180:181]
	v_fmac_f64_e32 v[98:99], v[184:185], v[96:97]
	ds_read2_b64 v[182:185], v209 offset0:40 offset1:41
	s_waitcnt lgkmcnt(0)
	v_mul_f64 v[96:97], v[184:185], v[98:99]
	v_fma_f64 v[96:97], v[182:183], v[180:181], -v[96:97]
	v_mul_f64 v[182:183], v[182:183], v[98:99]
	v_fmac_f64_e32 v[182:183], v[184:185], v[180:181]
	v_add_f64 v[94:95], v[94:95], -v[182:183]
	ds_read2_b64 v[182:185], v209 offset0:42 offset1:43
	v_add_f64 v[92:93], v[92:93], -v[96:97]
	s_waitcnt lgkmcnt(0)
	v_mul_f64 v[96:97], v[184:185], v[98:99]
	v_fma_f64 v[96:97], v[182:183], v[180:181], -v[96:97]
	v_mul_f64 v[182:183], v[182:183], v[98:99]
	v_fmac_f64_e32 v[182:183], v[184:185], v[180:181]
	v_add_f64 v[90:91], v[90:91], -v[182:183]
	ds_read2_b64 v[182:185], v209 offset0:44 offset1:45
	v_add_f64 v[88:89], v[88:89], -v[96:97]
	;; [unrolled: 8-line block ×24, first 2 shown]
	s_waitcnt lgkmcnt(0)
	v_mul_f64 v[96:97], v[184:185], v[98:99]
	v_fma_f64 v[96:97], v[182:183], v[180:181], -v[96:97]
	v_mul_f64 v[182:183], v[182:183], v[98:99]
	v_fmac_f64_e32 v[182:183], v[184:185], v[180:181]
	v_add_f64 v[176:177], v[176:177], -v[96:97]
	v_add_f64 v[178:179], v[178:179], -v[182:183]
	v_mov_b64_e32 v[96:97], v[180:181]
.LBB89_181:
	s_or_b64 exec, exec, s[2:3]
	v_cmp_eq_u32_e32 vcc, 20, v210
	s_barrier
	s_and_saveexec_b64 s[4:5], vcc
	s_cbranch_execz .LBB89_188
; %bb.182:
	s_waitcnt vmcnt(44)
	ds_write2_b64 v208, v[92:93], v[94:95] offset1:1
	s_waitcnt vmcnt(43)
	ds_write2_b64 v209, v[88:89], v[90:91] offset0:42 offset1:43
	s_waitcnt vmcnt(42)
	ds_write2_b64 v209, v[84:85], v[86:87] offset0:44 offset1:45
	;; [unrolled: 2-line block ×24, first 2 shown]
	ds_read2_b64 v[180:183], v208 offset1:1
	s_waitcnt lgkmcnt(0)
	v_cmp_neq_f64_e32 vcc, 0, v[180:181]
	v_cmp_neq_f64_e64 s[2:3], 0, v[182:183]
	s_or_b64 s[2:3], vcc, s[2:3]
	s_and_b64 exec, exec, s[2:3]
	s_cbranch_execz .LBB89_188
; %bb.183:
	v_cmp_ngt_f64_e64 s[2:3], |v[180:181]|, |v[182:183]|
                                        ; implicit-def: $vgpr184_vgpr185
	s_and_saveexec_b64 s[10:11], s[2:3]
	s_xor_b64 s[2:3], exec, s[10:11]
                                        ; implicit-def: $vgpr186_vgpr187
	s_cbranch_execz .LBB89_185
; %bb.184:
	v_div_scale_f64 v[184:185], s[10:11], v[182:183], v[182:183], v[180:181]
	v_rcp_f64_e32 v[186:187], v[184:185]
	v_div_scale_f64 v[188:189], vcc, v[180:181], v[182:183], v[180:181]
	v_fma_f64 v[190:191], -v[184:185], v[186:187], 1.0
	v_fmac_f64_e32 v[186:187], v[186:187], v[190:191]
	v_fma_f64 v[190:191], -v[184:185], v[186:187], 1.0
	v_fmac_f64_e32 v[186:187], v[186:187], v[190:191]
	v_mul_f64 v[190:191], v[188:189], v[186:187]
	v_fma_f64 v[184:185], -v[184:185], v[190:191], v[188:189]
	v_div_fmas_f64 v[184:185], v[184:185], v[186:187], v[190:191]
	v_div_fixup_f64 v[184:185], v[184:185], v[182:183], v[180:181]
	v_fmac_f64_e32 v[182:183], v[180:181], v[184:185]
	v_div_scale_f64 v[180:181], s[10:11], v[182:183], v[182:183], 1.0
	v_rcp_f64_e32 v[186:187], v[180:181]
	s_nop 0
	v_fma_f64 v[188:189], -v[180:181], v[186:187], 1.0
	v_fmac_f64_e32 v[186:187], v[186:187], v[188:189]
	v_fma_f64 v[188:189], -v[180:181], v[186:187], 1.0
	v_fmac_f64_e32 v[186:187], v[186:187], v[188:189]
	v_div_scale_f64 v[188:189], vcc, 1.0, v[182:183], 1.0
	v_mul_f64 v[190:191], v[188:189], v[186:187]
	v_fma_f64 v[180:181], -v[180:181], v[190:191], v[188:189]
	s_nop 1
	v_div_fmas_f64 v[180:181], v[180:181], v[186:187], v[190:191]
	v_div_fixup_f64 v[186:187], v[180:181], v[182:183], 1.0
	v_mul_f64 v[184:185], v[184:185], v[186:187]
	v_xor_b32_e32 v187, 0x80000000, v187
                                        ; implicit-def: $vgpr180_vgpr181
.LBB89_185:
	s_andn2_saveexec_b64 s[2:3], s[2:3]
	s_cbranch_execz .LBB89_187
; %bb.186:
	v_div_scale_f64 v[184:185], s[10:11], v[180:181], v[180:181], v[182:183]
	v_rcp_f64_e32 v[186:187], v[184:185]
	v_div_scale_f64 v[188:189], vcc, v[182:183], v[180:181], v[182:183]
	v_fma_f64 v[190:191], -v[184:185], v[186:187], 1.0
	v_fmac_f64_e32 v[186:187], v[186:187], v[190:191]
	v_fma_f64 v[190:191], -v[184:185], v[186:187], 1.0
	v_fmac_f64_e32 v[186:187], v[186:187], v[190:191]
	v_mul_f64 v[190:191], v[188:189], v[186:187]
	v_fma_f64 v[184:185], -v[184:185], v[190:191], v[188:189]
	v_div_fmas_f64 v[184:185], v[184:185], v[186:187], v[190:191]
	v_div_fixup_f64 v[186:187], v[184:185], v[180:181], v[182:183]
	v_fmac_f64_e32 v[180:181], v[182:183], v[186:187]
	v_div_scale_f64 v[182:183], s[10:11], v[180:181], v[180:181], 1.0
	v_rcp_f64_e32 v[184:185], v[182:183]
	s_nop 0
	v_fma_f64 v[188:189], -v[182:183], v[184:185], 1.0
	v_fmac_f64_e32 v[184:185], v[184:185], v[188:189]
	v_fma_f64 v[188:189], -v[182:183], v[184:185], 1.0
	v_fmac_f64_e32 v[184:185], v[184:185], v[188:189]
	v_div_scale_f64 v[188:189], vcc, 1.0, v[180:181], 1.0
	v_mul_f64 v[190:191], v[188:189], v[184:185]
	v_fma_f64 v[182:183], -v[182:183], v[190:191], v[188:189]
	s_nop 1
	v_div_fmas_f64 v[182:183], v[182:183], v[184:185], v[190:191]
	v_div_fixup_f64 v[184:185], v[182:183], v[180:181], 1.0
	v_mul_f64 v[186:187], v[186:187], -v[184:185]
.LBB89_187:
	s_or_b64 exec, exec, s[2:3]
	ds_write2_b64 v208, v[184:185], v[186:187] offset1:1
.LBB89_188:
	s_or_b64 exec, exec, s[4:5]
	s_waitcnt lgkmcnt(0)
	s_barrier
	ds_read2_b64 v[180:183], v208 offset1:1
	v_cmp_lt_u32_e32 vcc, 20, v210
	s_waitcnt lgkmcnt(0)
	scratch_store_dwordx4 off, v[180:183], off offset:528 ; 16-byte Folded Spill
	s_and_saveexec_b64 s[2:3], vcc
	s_cbranch_execz .LBB89_190
; %bb.189:
	scratch_load_dwordx4 v[182:185], off, off offset:528 ; 16-byte Folded Reload
	s_waitcnt vmcnt(0)
	v_mul_f64 v[180:181], v[184:185], v[94:95]
	v_mul_f64 v[94:95], v[182:183], v[94:95]
	v_fma_f64 v[180:181], v[182:183], v[92:93], -v[180:181]
	v_fmac_f64_e32 v[94:95], v[184:185], v[92:93]
	ds_read2_b64 v[182:185], v209 offset0:42 offset1:43
	s_waitcnt lgkmcnt(0)
	v_mul_f64 v[92:93], v[184:185], v[94:95]
	v_fma_f64 v[92:93], v[182:183], v[180:181], -v[92:93]
	v_mul_f64 v[182:183], v[182:183], v[94:95]
	v_fmac_f64_e32 v[182:183], v[184:185], v[180:181]
	v_add_f64 v[90:91], v[90:91], -v[182:183]
	ds_read2_b64 v[182:185], v209 offset0:44 offset1:45
	v_add_f64 v[88:89], v[88:89], -v[92:93]
	s_waitcnt lgkmcnt(0)
	v_mul_f64 v[92:93], v[184:185], v[94:95]
	v_fma_f64 v[92:93], v[182:183], v[180:181], -v[92:93]
	v_mul_f64 v[182:183], v[182:183], v[94:95]
	v_fmac_f64_e32 v[182:183], v[184:185], v[180:181]
	v_add_f64 v[86:87], v[86:87], -v[182:183]
	ds_read2_b64 v[182:185], v209 offset0:46 offset1:47
	v_add_f64 v[84:85], v[84:85], -v[92:93]
	;; [unrolled: 8-line block ×23, first 2 shown]
	s_waitcnt lgkmcnt(0)
	v_mul_f64 v[92:93], v[184:185], v[94:95]
	v_fma_f64 v[92:93], v[182:183], v[180:181], -v[92:93]
	v_mul_f64 v[182:183], v[182:183], v[94:95]
	v_fmac_f64_e32 v[182:183], v[184:185], v[180:181]
	v_add_f64 v[176:177], v[176:177], -v[92:93]
	v_add_f64 v[178:179], v[178:179], -v[182:183]
	v_mov_b64_e32 v[92:93], v[180:181]
.LBB89_190:
	s_or_b64 exec, exec, s[2:3]
	v_cmp_eq_u32_e32 vcc, 21, v210
	s_barrier
	s_and_saveexec_b64 s[4:5], vcc
	s_cbranch_execz .LBB89_197
; %bb.191:
	s_waitcnt vmcnt(44)
	ds_write2_b64 v208, v[88:89], v[90:91] offset1:1
	s_waitcnt vmcnt(43)
	ds_write2_b64 v209, v[84:85], v[86:87] offset0:44 offset1:45
	s_waitcnt vmcnt(42)
	ds_write2_b64 v209, v[80:81], v[82:83] offset0:46 offset1:47
	;; [unrolled: 2-line block ×23, first 2 shown]
	ds_read2_b64 v[180:183], v208 offset1:1
	s_waitcnt lgkmcnt(0)
	v_cmp_neq_f64_e32 vcc, 0, v[180:181]
	v_cmp_neq_f64_e64 s[2:3], 0, v[182:183]
	s_or_b64 s[2:3], vcc, s[2:3]
	s_and_b64 exec, exec, s[2:3]
	s_cbranch_execz .LBB89_197
; %bb.192:
	v_cmp_ngt_f64_e64 s[2:3], |v[180:181]|, |v[182:183]|
                                        ; implicit-def: $vgpr184_vgpr185
	s_and_saveexec_b64 s[10:11], s[2:3]
	s_xor_b64 s[2:3], exec, s[10:11]
                                        ; implicit-def: $vgpr186_vgpr187
	s_cbranch_execz .LBB89_194
; %bb.193:
	v_div_scale_f64 v[184:185], s[10:11], v[182:183], v[182:183], v[180:181]
	v_rcp_f64_e32 v[186:187], v[184:185]
	v_div_scale_f64 v[188:189], vcc, v[180:181], v[182:183], v[180:181]
	v_fma_f64 v[190:191], -v[184:185], v[186:187], 1.0
	v_fmac_f64_e32 v[186:187], v[186:187], v[190:191]
	v_fma_f64 v[190:191], -v[184:185], v[186:187], 1.0
	v_fmac_f64_e32 v[186:187], v[186:187], v[190:191]
	v_mul_f64 v[190:191], v[188:189], v[186:187]
	v_fma_f64 v[184:185], -v[184:185], v[190:191], v[188:189]
	v_div_fmas_f64 v[184:185], v[184:185], v[186:187], v[190:191]
	v_div_fixup_f64 v[184:185], v[184:185], v[182:183], v[180:181]
	v_fmac_f64_e32 v[182:183], v[180:181], v[184:185]
	v_div_scale_f64 v[180:181], s[10:11], v[182:183], v[182:183], 1.0
	v_rcp_f64_e32 v[186:187], v[180:181]
	s_nop 0
	v_fma_f64 v[188:189], -v[180:181], v[186:187], 1.0
	v_fmac_f64_e32 v[186:187], v[186:187], v[188:189]
	v_fma_f64 v[188:189], -v[180:181], v[186:187], 1.0
	v_fmac_f64_e32 v[186:187], v[186:187], v[188:189]
	v_div_scale_f64 v[188:189], vcc, 1.0, v[182:183], 1.0
	v_mul_f64 v[190:191], v[188:189], v[186:187]
	v_fma_f64 v[180:181], -v[180:181], v[190:191], v[188:189]
	s_nop 1
	v_div_fmas_f64 v[180:181], v[180:181], v[186:187], v[190:191]
	v_div_fixup_f64 v[186:187], v[180:181], v[182:183], 1.0
	v_mul_f64 v[184:185], v[184:185], v[186:187]
	v_xor_b32_e32 v187, 0x80000000, v187
                                        ; implicit-def: $vgpr180_vgpr181
.LBB89_194:
	s_andn2_saveexec_b64 s[2:3], s[2:3]
	s_cbranch_execz .LBB89_196
; %bb.195:
	v_div_scale_f64 v[184:185], s[10:11], v[180:181], v[180:181], v[182:183]
	v_rcp_f64_e32 v[186:187], v[184:185]
	v_div_scale_f64 v[188:189], vcc, v[182:183], v[180:181], v[182:183]
	v_fma_f64 v[190:191], -v[184:185], v[186:187], 1.0
	v_fmac_f64_e32 v[186:187], v[186:187], v[190:191]
	v_fma_f64 v[190:191], -v[184:185], v[186:187], 1.0
	v_fmac_f64_e32 v[186:187], v[186:187], v[190:191]
	v_mul_f64 v[190:191], v[188:189], v[186:187]
	v_fma_f64 v[184:185], -v[184:185], v[190:191], v[188:189]
	v_div_fmas_f64 v[184:185], v[184:185], v[186:187], v[190:191]
	v_div_fixup_f64 v[186:187], v[184:185], v[180:181], v[182:183]
	v_fmac_f64_e32 v[180:181], v[182:183], v[186:187]
	v_div_scale_f64 v[182:183], s[10:11], v[180:181], v[180:181], 1.0
	v_rcp_f64_e32 v[184:185], v[182:183]
	s_nop 0
	v_fma_f64 v[188:189], -v[182:183], v[184:185], 1.0
	v_fmac_f64_e32 v[184:185], v[184:185], v[188:189]
	v_fma_f64 v[188:189], -v[182:183], v[184:185], 1.0
	v_fmac_f64_e32 v[184:185], v[184:185], v[188:189]
	v_div_scale_f64 v[188:189], vcc, 1.0, v[180:181], 1.0
	v_mul_f64 v[190:191], v[188:189], v[184:185]
	v_fma_f64 v[182:183], -v[182:183], v[190:191], v[188:189]
	s_nop 1
	v_div_fmas_f64 v[182:183], v[182:183], v[184:185], v[190:191]
	v_div_fixup_f64 v[184:185], v[182:183], v[180:181], 1.0
	v_mul_f64 v[186:187], v[186:187], -v[184:185]
.LBB89_196:
	s_or_b64 exec, exec, s[2:3]
	ds_write2_b64 v208, v[184:185], v[186:187] offset1:1
.LBB89_197:
	s_or_b64 exec, exec, s[4:5]
	s_waitcnt lgkmcnt(0)
	s_barrier
	ds_read2_b64 v[180:183], v208 offset1:1
	v_cmp_lt_u32_e32 vcc, 21, v210
	s_waitcnt lgkmcnt(0)
	scratch_store_dwordx4 off, v[180:183], off offset:544 ; 16-byte Folded Spill
	s_and_saveexec_b64 s[2:3], vcc
	s_cbranch_execz .LBB89_199
; %bb.198:
	scratch_load_dwordx4 v[182:185], off, off offset:544 ; 16-byte Folded Reload
	s_waitcnt vmcnt(0)
	v_mul_f64 v[180:181], v[184:185], v[90:91]
	v_mul_f64 v[90:91], v[182:183], v[90:91]
	v_fma_f64 v[180:181], v[182:183], v[88:89], -v[180:181]
	v_fmac_f64_e32 v[90:91], v[184:185], v[88:89]
	ds_read2_b64 v[182:185], v209 offset0:44 offset1:45
	s_waitcnt lgkmcnt(0)
	v_mul_f64 v[88:89], v[184:185], v[90:91]
	v_fma_f64 v[88:89], v[182:183], v[180:181], -v[88:89]
	v_mul_f64 v[182:183], v[182:183], v[90:91]
	v_fmac_f64_e32 v[182:183], v[184:185], v[180:181]
	v_add_f64 v[86:87], v[86:87], -v[182:183]
	ds_read2_b64 v[182:185], v209 offset0:46 offset1:47
	v_add_f64 v[84:85], v[84:85], -v[88:89]
	s_waitcnt lgkmcnt(0)
	v_mul_f64 v[88:89], v[184:185], v[90:91]
	v_fma_f64 v[88:89], v[182:183], v[180:181], -v[88:89]
	v_mul_f64 v[182:183], v[182:183], v[90:91]
	v_fmac_f64_e32 v[182:183], v[184:185], v[180:181]
	v_add_f64 v[82:83], v[82:83], -v[182:183]
	ds_read2_b64 v[182:185], v209 offset0:48 offset1:49
	v_add_f64 v[80:81], v[80:81], -v[88:89]
	;; [unrolled: 8-line block ×22, first 2 shown]
	s_waitcnt lgkmcnt(0)
	v_mul_f64 v[88:89], v[184:185], v[90:91]
	v_fma_f64 v[88:89], v[182:183], v[180:181], -v[88:89]
	v_mul_f64 v[182:183], v[182:183], v[90:91]
	v_fmac_f64_e32 v[182:183], v[184:185], v[180:181]
	v_add_f64 v[176:177], v[176:177], -v[88:89]
	v_add_f64 v[178:179], v[178:179], -v[182:183]
	v_mov_b64_e32 v[88:89], v[180:181]
.LBB89_199:
	s_or_b64 exec, exec, s[2:3]
	v_cmp_eq_u32_e32 vcc, 22, v210
	s_barrier
	s_and_saveexec_b64 s[4:5], vcc
	s_cbranch_execz .LBB89_206
; %bb.200:
	s_waitcnt vmcnt(44)
	ds_write2_b64 v208, v[84:85], v[86:87] offset1:1
	s_waitcnt vmcnt(43)
	ds_write2_b64 v209, v[80:81], v[82:83] offset0:46 offset1:47
	s_waitcnt vmcnt(42)
	ds_write2_b64 v209, v[76:77], v[78:79] offset0:48 offset1:49
	s_waitcnt vmcnt(41)
	ds_write2_b64 v209, v[72:73], v[74:75] offset0:50 offset1:51
	s_waitcnt vmcnt(40)
	ds_write2_b64 v209, v[68:69], v[70:71] offset0:52 offset1:53
	s_waitcnt vmcnt(39)
	ds_write2_b64 v209, v[64:65], v[66:67] offset0:54 offset1:55
	s_waitcnt vmcnt(38)
	ds_write2_b64 v209, v[60:61], v[62:63] offset0:56 offset1:57
	s_waitcnt vmcnt(37)
	ds_write2_b64 v209, v[56:57], v[58:59] offset0:58 offset1:59
	s_waitcnt vmcnt(36)
	ds_write2_b64 v209, v[52:53], v[54:55] offset0:60 offset1:61
	s_waitcnt vmcnt(35)
	ds_write2_b64 v209, v[218:219], v[220:221] offset0:62 offset1:63
	s_waitcnt vmcnt(34)
	ds_write2_b64 v209, v[44:45], v[46:47] offset0:64 offset1:65
	s_waitcnt vmcnt(33)
	ds_write2_b64 v209, v[40:41], v[42:43] offset0:66 offset1:67
	s_waitcnt vmcnt(32)
	ds_write2_b64 v209, v[36:37], v[38:39] offset0:68 offset1:69
	s_waitcnt vmcnt(31)
	ds_write2_b64 v209, v[32:33], v[34:35] offset0:70 offset1:71
	s_waitcnt vmcnt(30)
	ds_write2_b64 v209, v[28:29], v[30:31] offset0:72 offset1:73
	s_waitcnt vmcnt(29)
	ds_write2_b64 v209, v[24:25], v[26:27] offset0:74 offset1:75
	s_waitcnt vmcnt(28)
	ds_write2_b64 v209, v[20:21], v[22:23] offset0:76 offset1:77
	s_waitcnt vmcnt(27)
	ds_write2_b64 v209, v[16:17], v[18:19] offset0:78 offset1:79
	s_waitcnt vmcnt(26)
	ds_write2_b64 v209, v[12:13], v[14:15] offset0:80 offset1:81
	s_waitcnt vmcnt(25)
	ds_write2_b64 v209, v[8:9], v[10:11] offset0:82 offset1:83
	s_waitcnt vmcnt(24)
	ds_write2_b64 v209, v[4:5], v[6:7] offset0:84 offset1:85
	s_waitcnt vmcnt(23)
	ds_write2_b64 v209, v[0:1], v[2:3] offset0:86 offset1:87
	s_waitcnt vmcnt(22)
	ds_write2_b64 v209, v[176:177], v[178:179] offset0:88 offset1:89
	ds_read2_b64 v[180:183], v208 offset1:1
	s_waitcnt lgkmcnt(0)
	v_cmp_neq_f64_e32 vcc, 0, v[180:181]
	v_cmp_neq_f64_e64 s[2:3], 0, v[182:183]
	s_or_b64 s[2:3], vcc, s[2:3]
	s_and_b64 exec, exec, s[2:3]
	s_cbranch_execz .LBB89_206
; %bb.201:
	v_cmp_ngt_f64_e64 s[2:3], |v[180:181]|, |v[182:183]|
                                        ; implicit-def: $vgpr184_vgpr185
	s_and_saveexec_b64 s[10:11], s[2:3]
	s_xor_b64 s[2:3], exec, s[10:11]
                                        ; implicit-def: $vgpr186_vgpr187
	s_cbranch_execz .LBB89_203
; %bb.202:
	v_div_scale_f64 v[184:185], s[10:11], v[182:183], v[182:183], v[180:181]
	v_rcp_f64_e32 v[186:187], v[184:185]
	v_div_scale_f64 v[188:189], vcc, v[180:181], v[182:183], v[180:181]
	v_fma_f64 v[190:191], -v[184:185], v[186:187], 1.0
	v_fmac_f64_e32 v[186:187], v[186:187], v[190:191]
	v_fma_f64 v[190:191], -v[184:185], v[186:187], 1.0
	v_fmac_f64_e32 v[186:187], v[186:187], v[190:191]
	v_mul_f64 v[190:191], v[188:189], v[186:187]
	v_fma_f64 v[184:185], -v[184:185], v[190:191], v[188:189]
	v_div_fmas_f64 v[184:185], v[184:185], v[186:187], v[190:191]
	v_div_fixup_f64 v[184:185], v[184:185], v[182:183], v[180:181]
	v_fmac_f64_e32 v[182:183], v[180:181], v[184:185]
	v_div_scale_f64 v[180:181], s[10:11], v[182:183], v[182:183], 1.0
	v_rcp_f64_e32 v[186:187], v[180:181]
	s_nop 0
	v_fma_f64 v[188:189], -v[180:181], v[186:187], 1.0
	v_fmac_f64_e32 v[186:187], v[186:187], v[188:189]
	v_fma_f64 v[188:189], -v[180:181], v[186:187], 1.0
	v_fmac_f64_e32 v[186:187], v[186:187], v[188:189]
	v_div_scale_f64 v[188:189], vcc, 1.0, v[182:183], 1.0
	v_mul_f64 v[190:191], v[188:189], v[186:187]
	v_fma_f64 v[180:181], -v[180:181], v[190:191], v[188:189]
	s_nop 1
	v_div_fmas_f64 v[180:181], v[180:181], v[186:187], v[190:191]
	v_div_fixup_f64 v[186:187], v[180:181], v[182:183], 1.0
	v_mul_f64 v[184:185], v[184:185], v[186:187]
	v_xor_b32_e32 v187, 0x80000000, v187
                                        ; implicit-def: $vgpr180_vgpr181
.LBB89_203:
	s_andn2_saveexec_b64 s[2:3], s[2:3]
	s_cbranch_execz .LBB89_205
; %bb.204:
	v_div_scale_f64 v[184:185], s[10:11], v[180:181], v[180:181], v[182:183]
	v_rcp_f64_e32 v[186:187], v[184:185]
	v_div_scale_f64 v[188:189], vcc, v[182:183], v[180:181], v[182:183]
	v_fma_f64 v[190:191], -v[184:185], v[186:187], 1.0
	v_fmac_f64_e32 v[186:187], v[186:187], v[190:191]
	v_fma_f64 v[190:191], -v[184:185], v[186:187], 1.0
	v_fmac_f64_e32 v[186:187], v[186:187], v[190:191]
	v_mul_f64 v[190:191], v[188:189], v[186:187]
	v_fma_f64 v[184:185], -v[184:185], v[190:191], v[188:189]
	v_div_fmas_f64 v[184:185], v[184:185], v[186:187], v[190:191]
	v_div_fixup_f64 v[186:187], v[184:185], v[180:181], v[182:183]
	v_fmac_f64_e32 v[180:181], v[182:183], v[186:187]
	v_div_scale_f64 v[182:183], s[10:11], v[180:181], v[180:181], 1.0
	v_rcp_f64_e32 v[184:185], v[182:183]
	s_nop 0
	v_fma_f64 v[188:189], -v[182:183], v[184:185], 1.0
	v_fmac_f64_e32 v[184:185], v[184:185], v[188:189]
	v_fma_f64 v[188:189], -v[182:183], v[184:185], 1.0
	v_fmac_f64_e32 v[184:185], v[184:185], v[188:189]
	v_div_scale_f64 v[188:189], vcc, 1.0, v[180:181], 1.0
	v_mul_f64 v[190:191], v[188:189], v[184:185]
	v_fma_f64 v[182:183], -v[182:183], v[190:191], v[188:189]
	s_nop 1
	v_div_fmas_f64 v[182:183], v[182:183], v[184:185], v[190:191]
	v_div_fixup_f64 v[184:185], v[182:183], v[180:181], 1.0
	v_mul_f64 v[186:187], v[186:187], -v[184:185]
.LBB89_205:
	s_or_b64 exec, exec, s[2:3]
	ds_write2_b64 v208, v[184:185], v[186:187] offset1:1
.LBB89_206:
	s_or_b64 exec, exec, s[4:5]
	s_waitcnt lgkmcnt(0)
	s_barrier
	ds_read2_b64 v[180:183], v208 offset1:1
	v_cmp_lt_u32_e32 vcc, 22, v210
	s_waitcnt lgkmcnt(0)
	scratch_store_dwordx4 off, v[180:183], off offset:560 ; 16-byte Folded Spill
	s_and_saveexec_b64 s[2:3], vcc
	s_cbranch_execz .LBB89_208
; %bb.207:
	scratch_load_dwordx4 v[182:185], off, off offset:560 ; 16-byte Folded Reload
	s_waitcnt vmcnt(0)
	v_mul_f64 v[180:181], v[184:185], v[86:87]
	v_mul_f64 v[86:87], v[182:183], v[86:87]
	v_fma_f64 v[180:181], v[182:183], v[84:85], -v[180:181]
	v_fmac_f64_e32 v[86:87], v[184:185], v[84:85]
	ds_read2_b64 v[182:185], v209 offset0:46 offset1:47
	s_waitcnt lgkmcnt(0)
	v_mul_f64 v[84:85], v[184:185], v[86:87]
	v_fma_f64 v[84:85], v[182:183], v[180:181], -v[84:85]
	v_mul_f64 v[182:183], v[182:183], v[86:87]
	v_fmac_f64_e32 v[182:183], v[184:185], v[180:181]
	v_add_f64 v[82:83], v[82:83], -v[182:183]
	ds_read2_b64 v[182:185], v209 offset0:48 offset1:49
	v_add_f64 v[80:81], v[80:81], -v[84:85]
	s_waitcnt lgkmcnt(0)
	v_mul_f64 v[84:85], v[184:185], v[86:87]
	v_fma_f64 v[84:85], v[182:183], v[180:181], -v[84:85]
	v_mul_f64 v[182:183], v[182:183], v[86:87]
	v_fmac_f64_e32 v[182:183], v[184:185], v[180:181]
	v_add_f64 v[78:79], v[78:79], -v[182:183]
	ds_read2_b64 v[182:185], v209 offset0:50 offset1:51
	v_add_f64 v[76:77], v[76:77], -v[84:85]
	;; [unrolled: 8-line block ×21, first 2 shown]
	s_waitcnt lgkmcnt(0)
	v_mul_f64 v[84:85], v[184:185], v[86:87]
	v_fma_f64 v[84:85], v[182:183], v[180:181], -v[84:85]
	v_mul_f64 v[182:183], v[182:183], v[86:87]
	v_fmac_f64_e32 v[182:183], v[184:185], v[180:181]
	v_add_f64 v[176:177], v[176:177], -v[84:85]
	v_add_f64 v[178:179], v[178:179], -v[182:183]
	v_mov_b64_e32 v[84:85], v[180:181]
.LBB89_208:
	s_or_b64 exec, exec, s[2:3]
	v_cmp_eq_u32_e32 vcc, 23, v210
	s_barrier
	s_and_saveexec_b64 s[4:5], vcc
	s_cbranch_execz .LBB89_215
; %bb.209:
	s_waitcnt vmcnt(44)
	ds_write2_b64 v208, v[80:81], v[82:83] offset1:1
	s_waitcnt vmcnt(43)
	ds_write2_b64 v209, v[76:77], v[78:79] offset0:48 offset1:49
	s_waitcnt vmcnt(42)
	ds_write2_b64 v209, v[72:73], v[74:75] offset0:50 offset1:51
	;; [unrolled: 2-line block ×21, first 2 shown]
	ds_read2_b64 v[180:183], v208 offset1:1
	s_waitcnt lgkmcnt(0)
	v_cmp_neq_f64_e32 vcc, 0, v[180:181]
	v_cmp_neq_f64_e64 s[2:3], 0, v[182:183]
	s_or_b64 s[2:3], vcc, s[2:3]
	s_and_b64 exec, exec, s[2:3]
	s_cbranch_execz .LBB89_215
; %bb.210:
	v_cmp_ngt_f64_e64 s[2:3], |v[180:181]|, |v[182:183]|
                                        ; implicit-def: $vgpr184_vgpr185
	s_and_saveexec_b64 s[10:11], s[2:3]
	s_xor_b64 s[2:3], exec, s[10:11]
                                        ; implicit-def: $vgpr186_vgpr187
	s_cbranch_execz .LBB89_212
; %bb.211:
	v_div_scale_f64 v[184:185], s[10:11], v[182:183], v[182:183], v[180:181]
	v_rcp_f64_e32 v[186:187], v[184:185]
	v_div_scale_f64 v[188:189], vcc, v[180:181], v[182:183], v[180:181]
	v_fma_f64 v[190:191], -v[184:185], v[186:187], 1.0
	v_fmac_f64_e32 v[186:187], v[186:187], v[190:191]
	v_fma_f64 v[190:191], -v[184:185], v[186:187], 1.0
	v_fmac_f64_e32 v[186:187], v[186:187], v[190:191]
	v_mul_f64 v[190:191], v[188:189], v[186:187]
	v_fma_f64 v[184:185], -v[184:185], v[190:191], v[188:189]
	v_div_fmas_f64 v[184:185], v[184:185], v[186:187], v[190:191]
	v_div_fixup_f64 v[184:185], v[184:185], v[182:183], v[180:181]
	v_fmac_f64_e32 v[182:183], v[180:181], v[184:185]
	v_div_scale_f64 v[180:181], s[10:11], v[182:183], v[182:183], 1.0
	v_rcp_f64_e32 v[186:187], v[180:181]
	s_nop 0
	v_fma_f64 v[188:189], -v[180:181], v[186:187], 1.0
	v_fmac_f64_e32 v[186:187], v[186:187], v[188:189]
	v_fma_f64 v[188:189], -v[180:181], v[186:187], 1.0
	v_fmac_f64_e32 v[186:187], v[186:187], v[188:189]
	v_div_scale_f64 v[188:189], vcc, 1.0, v[182:183], 1.0
	v_mul_f64 v[190:191], v[188:189], v[186:187]
	v_fma_f64 v[180:181], -v[180:181], v[190:191], v[188:189]
	s_nop 1
	v_div_fmas_f64 v[180:181], v[180:181], v[186:187], v[190:191]
	v_div_fixup_f64 v[186:187], v[180:181], v[182:183], 1.0
	v_mul_f64 v[184:185], v[184:185], v[186:187]
	v_xor_b32_e32 v187, 0x80000000, v187
                                        ; implicit-def: $vgpr180_vgpr181
.LBB89_212:
	s_andn2_saveexec_b64 s[2:3], s[2:3]
	s_cbranch_execz .LBB89_214
; %bb.213:
	v_div_scale_f64 v[184:185], s[10:11], v[180:181], v[180:181], v[182:183]
	v_rcp_f64_e32 v[186:187], v[184:185]
	v_div_scale_f64 v[188:189], vcc, v[182:183], v[180:181], v[182:183]
	v_fma_f64 v[190:191], -v[184:185], v[186:187], 1.0
	v_fmac_f64_e32 v[186:187], v[186:187], v[190:191]
	v_fma_f64 v[190:191], -v[184:185], v[186:187], 1.0
	v_fmac_f64_e32 v[186:187], v[186:187], v[190:191]
	v_mul_f64 v[190:191], v[188:189], v[186:187]
	v_fma_f64 v[184:185], -v[184:185], v[190:191], v[188:189]
	v_div_fmas_f64 v[184:185], v[184:185], v[186:187], v[190:191]
	v_div_fixup_f64 v[186:187], v[184:185], v[180:181], v[182:183]
	v_fmac_f64_e32 v[180:181], v[182:183], v[186:187]
	v_div_scale_f64 v[182:183], s[10:11], v[180:181], v[180:181], 1.0
	v_rcp_f64_e32 v[184:185], v[182:183]
	s_nop 0
	v_fma_f64 v[188:189], -v[182:183], v[184:185], 1.0
	v_fmac_f64_e32 v[184:185], v[184:185], v[188:189]
	v_fma_f64 v[188:189], -v[182:183], v[184:185], 1.0
	v_fmac_f64_e32 v[184:185], v[184:185], v[188:189]
	v_div_scale_f64 v[188:189], vcc, 1.0, v[180:181], 1.0
	v_mul_f64 v[190:191], v[188:189], v[184:185]
	v_fma_f64 v[182:183], -v[182:183], v[190:191], v[188:189]
	s_nop 1
	v_div_fmas_f64 v[182:183], v[182:183], v[184:185], v[190:191]
	v_div_fixup_f64 v[184:185], v[182:183], v[180:181], 1.0
	v_mul_f64 v[186:187], v[186:187], -v[184:185]
.LBB89_214:
	s_or_b64 exec, exec, s[2:3]
	ds_write2_b64 v208, v[184:185], v[186:187] offset1:1
.LBB89_215:
	s_or_b64 exec, exec, s[4:5]
	s_waitcnt lgkmcnt(0)
	s_barrier
	ds_read2_b64 v[180:183], v208 offset1:1
	v_cmp_lt_u32_e32 vcc, 23, v210
	s_waitcnt lgkmcnt(0)
	scratch_store_dwordx4 off, v[180:183], off offset:576 ; 16-byte Folded Spill
	s_and_saveexec_b64 s[2:3], vcc
	s_cbranch_execz .LBB89_217
; %bb.216:
	scratch_load_dwordx4 v[182:185], off, off offset:576 ; 16-byte Folded Reload
	s_waitcnt vmcnt(0)
	v_mul_f64 v[180:181], v[184:185], v[82:83]
	v_mul_f64 v[82:83], v[182:183], v[82:83]
	v_fma_f64 v[180:181], v[182:183], v[80:81], -v[180:181]
	v_fmac_f64_e32 v[82:83], v[184:185], v[80:81]
	ds_read2_b64 v[182:185], v209 offset0:48 offset1:49
	s_waitcnt lgkmcnt(0)
	v_mul_f64 v[80:81], v[184:185], v[82:83]
	v_fma_f64 v[80:81], v[182:183], v[180:181], -v[80:81]
	v_mul_f64 v[182:183], v[182:183], v[82:83]
	v_fmac_f64_e32 v[182:183], v[184:185], v[180:181]
	v_add_f64 v[78:79], v[78:79], -v[182:183]
	ds_read2_b64 v[182:185], v209 offset0:50 offset1:51
	v_add_f64 v[76:77], v[76:77], -v[80:81]
	s_waitcnt lgkmcnt(0)
	v_mul_f64 v[80:81], v[184:185], v[82:83]
	v_fma_f64 v[80:81], v[182:183], v[180:181], -v[80:81]
	v_mul_f64 v[182:183], v[182:183], v[82:83]
	v_fmac_f64_e32 v[182:183], v[184:185], v[180:181]
	v_add_f64 v[74:75], v[74:75], -v[182:183]
	ds_read2_b64 v[182:185], v209 offset0:52 offset1:53
	v_add_f64 v[72:73], v[72:73], -v[80:81]
	;; [unrolled: 8-line block ×20, first 2 shown]
	s_waitcnt lgkmcnt(0)
	v_mul_f64 v[80:81], v[184:185], v[82:83]
	v_fma_f64 v[80:81], v[182:183], v[180:181], -v[80:81]
	v_mul_f64 v[182:183], v[182:183], v[82:83]
	v_fmac_f64_e32 v[182:183], v[184:185], v[180:181]
	v_add_f64 v[176:177], v[176:177], -v[80:81]
	v_add_f64 v[178:179], v[178:179], -v[182:183]
	v_mov_b64_e32 v[80:81], v[180:181]
.LBB89_217:
	s_or_b64 exec, exec, s[2:3]
	v_cmp_eq_u32_e32 vcc, 24, v210
	s_barrier
	s_and_saveexec_b64 s[4:5], vcc
	s_cbranch_execz .LBB89_224
; %bb.218:
	s_waitcnt vmcnt(44)
	ds_write2_b64 v208, v[76:77], v[78:79] offset1:1
	s_waitcnt vmcnt(43)
	ds_write2_b64 v209, v[72:73], v[74:75] offset0:50 offset1:51
	s_waitcnt vmcnt(42)
	ds_write2_b64 v209, v[68:69], v[70:71] offset0:52 offset1:53
	;; [unrolled: 2-line block ×20, first 2 shown]
	ds_read2_b64 v[180:183], v208 offset1:1
	s_waitcnt lgkmcnt(0)
	v_cmp_neq_f64_e32 vcc, 0, v[180:181]
	v_cmp_neq_f64_e64 s[2:3], 0, v[182:183]
	s_or_b64 s[2:3], vcc, s[2:3]
	s_and_b64 exec, exec, s[2:3]
	s_cbranch_execz .LBB89_224
; %bb.219:
	v_cmp_ngt_f64_e64 s[2:3], |v[180:181]|, |v[182:183]|
                                        ; implicit-def: $vgpr184_vgpr185
	s_and_saveexec_b64 s[10:11], s[2:3]
	s_xor_b64 s[2:3], exec, s[10:11]
                                        ; implicit-def: $vgpr186_vgpr187
	s_cbranch_execz .LBB89_221
; %bb.220:
	v_div_scale_f64 v[184:185], s[10:11], v[182:183], v[182:183], v[180:181]
	v_rcp_f64_e32 v[186:187], v[184:185]
	v_div_scale_f64 v[188:189], vcc, v[180:181], v[182:183], v[180:181]
	v_fma_f64 v[190:191], -v[184:185], v[186:187], 1.0
	v_fmac_f64_e32 v[186:187], v[186:187], v[190:191]
	v_fma_f64 v[190:191], -v[184:185], v[186:187], 1.0
	v_fmac_f64_e32 v[186:187], v[186:187], v[190:191]
	v_mul_f64 v[190:191], v[188:189], v[186:187]
	v_fma_f64 v[184:185], -v[184:185], v[190:191], v[188:189]
	v_div_fmas_f64 v[184:185], v[184:185], v[186:187], v[190:191]
	v_div_fixup_f64 v[184:185], v[184:185], v[182:183], v[180:181]
	v_fmac_f64_e32 v[182:183], v[180:181], v[184:185]
	v_div_scale_f64 v[180:181], s[10:11], v[182:183], v[182:183], 1.0
	v_rcp_f64_e32 v[186:187], v[180:181]
	s_nop 0
	v_fma_f64 v[188:189], -v[180:181], v[186:187], 1.0
	v_fmac_f64_e32 v[186:187], v[186:187], v[188:189]
	v_fma_f64 v[188:189], -v[180:181], v[186:187], 1.0
	v_fmac_f64_e32 v[186:187], v[186:187], v[188:189]
	v_div_scale_f64 v[188:189], vcc, 1.0, v[182:183], 1.0
	v_mul_f64 v[190:191], v[188:189], v[186:187]
	v_fma_f64 v[180:181], -v[180:181], v[190:191], v[188:189]
	s_nop 1
	v_div_fmas_f64 v[180:181], v[180:181], v[186:187], v[190:191]
	v_div_fixup_f64 v[186:187], v[180:181], v[182:183], 1.0
	v_mul_f64 v[184:185], v[184:185], v[186:187]
	v_xor_b32_e32 v187, 0x80000000, v187
                                        ; implicit-def: $vgpr180_vgpr181
.LBB89_221:
	s_andn2_saveexec_b64 s[2:3], s[2:3]
	s_cbranch_execz .LBB89_223
; %bb.222:
	v_div_scale_f64 v[184:185], s[10:11], v[180:181], v[180:181], v[182:183]
	v_rcp_f64_e32 v[186:187], v[184:185]
	v_div_scale_f64 v[188:189], vcc, v[182:183], v[180:181], v[182:183]
	v_fma_f64 v[190:191], -v[184:185], v[186:187], 1.0
	v_fmac_f64_e32 v[186:187], v[186:187], v[190:191]
	v_fma_f64 v[190:191], -v[184:185], v[186:187], 1.0
	v_fmac_f64_e32 v[186:187], v[186:187], v[190:191]
	v_mul_f64 v[190:191], v[188:189], v[186:187]
	v_fma_f64 v[184:185], -v[184:185], v[190:191], v[188:189]
	v_div_fmas_f64 v[184:185], v[184:185], v[186:187], v[190:191]
	v_div_fixup_f64 v[186:187], v[184:185], v[180:181], v[182:183]
	v_fmac_f64_e32 v[180:181], v[182:183], v[186:187]
	v_div_scale_f64 v[182:183], s[10:11], v[180:181], v[180:181], 1.0
	v_rcp_f64_e32 v[184:185], v[182:183]
	s_nop 0
	v_fma_f64 v[188:189], -v[182:183], v[184:185], 1.0
	v_fmac_f64_e32 v[184:185], v[184:185], v[188:189]
	v_fma_f64 v[188:189], -v[182:183], v[184:185], 1.0
	v_fmac_f64_e32 v[184:185], v[184:185], v[188:189]
	v_div_scale_f64 v[188:189], vcc, 1.0, v[180:181], 1.0
	v_mul_f64 v[190:191], v[188:189], v[184:185]
	v_fma_f64 v[182:183], -v[182:183], v[190:191], v[188:189]
	s_nop 1
	v_div_fmas_f64 v[182:183], v[182:183], v[184:185], v[190:191]
	v_div_fixup_f64 v[184:185], v[182:183], v[180:181], 1.0
	v_mul_f64 v[186:187], v[186:187], -v[184:185]
.LBB89_223:
	s_or_b64 exec, exec, s[2:3]
	ds_write2_b64 v208, v[184:185], v[186:187] offset1:1
.LBB89_224:
	s_or_b64 exec, exec, s[4:5]
	s_waitcnt lgkmcnt(0)
	s_barrier
	ds_read2_b64 v[180:183], v208 offset1:1
	v_cmp_lt_u32_e32 vcc, 24, v210
	s_waitcnt lgkmcnt(0)
	scratch_store_dwordx4 off, v[180:183], off offset:592 ; 16-byte Folded Spill
	s_and_saveexec_b64 s[2:3], vcc
	s_cbranch_execz .LBB89_226
; %bb.225:
	scratch_load_dwordx4 v[182:185], off, off offset:592 ; 16-byte Folded Reload
	s_waitcnt vmcnt(0)
	v_mul_f64 v[180:181], v[184:185], v[78:79]
	v_mul_f64 v[78:79], v[182:183], v[78:79]
	v_fma_f64 v[180:181], v[182:183], v[76:77], -v[180:181]
	v_fmac_f64_e32 v[78:79], v[184:185], v[76:77]
	ds_read2_b64 v[182:185], v209 offset0:50 offset1:51
	s_waitcnt lgkmcnt(0)
	v_mul_f64 v[76:77], v[184:185], v[78:79]
	v_fma_f64 v[76:77], v[182:183], v[180:181], -v[76:77]
	v_mul_f64 v[182:183], v[182:183], v[78:79]
	v_fmac_f64_e32 v[182:183], v[184:185], v[180:181]
	v_add_f64 v[74:75], v[74:75], -v[182:183]
	ds_read2_b64 v[182:185], v209 offset0:52 offset1:53
	v_add_f64 v[72:73], v[72:73], -v[76:77]
	s_waitcnt lgkmcnt(0)
	v_mul_f64 v[76:77], v[184:185], v[78:79]
	v_fma_f64 v[76:77], v[182:183], v[180:181], -v[76:77]
	v_mul_f64 v[182:183], v[182:183], v[78:79]
	v_fmac_f64_e32 v[182:183], v[184:185], v[180:181]
	v_add_f64 v[70:71], v[70:71], -v[182:183]
	ds_read2_b64 v[182:185], v209 offset0:54 offset1:55
	v_add_f64 v[68:69], v[68:69], -v[76:77]
	;; [unrolled: 8-line block ×19, first 2 shown]
	s_waitcnt lgkmcnt(0)
	v_mul_f64 v[76:77], v[184:185], v[78:79]
	v_fma_f64 v[76:77], v[182:183], v[180:181], -v[76:77]
	v_mul_f64 v[182:183], v[182:183], v[78:79]
	v_fmac_f64_e32 v[182:183], v[184:185], v[180:181]
	v_add_f64 v[176:177], v[176:177], -v[76:77]
	v_add_f64 v[178:179], v[178:179], -v[182:183]
	v_mov_b64_e32 v[76:77], v[180:181]
.LBB89_226:
	s_or_b64 exec, exec, s[2:3]
	v_cmp_eq_u32_e32 vcc, 25, v210
	s_barrier
	s_and_saveexec_b64 s[4:5], vcc
	s_cbranch_execz .LBB89_233
; %bb.227:
	s_waitcnt vmcnt(44)
	ds_write2_b64 v208, v[72:73], v[74:75] offset1:1
	s_waitcnt vmcnt(43)
	ds_write2_b64 v209, v[68:69], v[70:71] offset0:52 offset1:53
	s_waitcnt vmcnt(42)
	ds_write2_b64 v209, v[64:65], v[66:67] offset0:54 offset1:55
	;; [unrolled: 2-line block ×19, first 2 shown]
	ds_read2_b64 v[180:183], v208 offset1:1
	s_waitcnt lgkmcnt(0)
	v_cmp_neq_f64_e32 vcc, 0, v[180:181]
	v_cmp_neq_f64_e64 s[2:3], 0, v[182:183]
	s_or_b64 s[2:3], vcc, s[2:3]
	s_and_b64 exec, exec, s[2:3]
	s_cbranch_execz .LBB89_233
; %bb.228:
	v_cmp_ngt_f64_e64 s[2:3], |v[180:181]|, |v[182:183]|
                                        ; implicit-def: $vgpr184_vgpr185
	s_and_saveexec_b64 s[10:11], s[2:3]
	s_xor_b64 s[2:3], exec, s[10:11]
                                        ; implicit-def: $vgpr186_vgpr187
	s_cbranch_execz .LBB89_230
; %bb.229:
	v_div_scale_f64 v[184:185], s[10:11], v[182:183], v[182:183], v[180:181]
	v_rcp_f64_e32 v[186:187], v[184:185]
	v_div_scale_f64 v[188:189], vcc, v[180:181], v[182:183], v[180:181]
	v_fma_f64 v[190:191], -v[184:185], v[186:187], 1.0
	v_fmac_f64_e32 v[186:187], v[186:187], v[190:191]
	v_fma_f64 v[190:191], -v[184:185], v[186:187], 1.0
	v_fmac_f64_e32 v[186:187], v[186:187], v[190:191]
	v_mul_f64 v[190:191], v[188:189], v[186:187]
	v_fma_f64 v[184:185], -v[184:185], v[190:191], v[188:189]
	v_div_fmas_f64 v[184:185], v[184:185], v[186:187], v[190:191]
	v_div_fixup_f64 v[184:185], v[184:185], v[182:183], v[180:181]
	v_fmac_f64_e32 v[182:183], v[180:181], v[184:185]
	v_div_scale_f64 v[180:181], s[10:11], v[182:183], v[182:183], 1.0
	v_rcp_f64_e32 v[186:187], v[180:181]
	s_nop 0
	v_fma_f64 v[188:189], -v[180:181], v[186:187], 1.0
	v_fmac_f64_e32 v[186:187], v[186:187], v[188:189]
	v_fma_f64 v[188:189], -v[180:181], v[186:187], 1.0
	v_fmac_f64_e32 v[186:187], v[186:187], v[188:189]
	v_div_scale_f64 v[188:189], vcc, 1.0, v[182:183], 1.0
	v_mul_f64 v[190:191], v[188:189], v[186:187]
	v_fma_f64 v[180:181], -v[180:181], v[190:191], v[188:189]
	s_nop 1
	v_div_fmas_f64 v[180:181], v[180:181], v[186:187], v[190:191]
	v_div_fixup_f64 v[186:187], v[180:181], v[182:183], 1.0
	v_mul_f64 v[184:185], v[184:185], v[186:187]
	v_xor_b32_e32 v187, 0x80000000, v187
                                        ; implicit-def: $vgpr180_vgpr181
.LBB89_230:
	s_andn2_saveexec_b64 s[2:3], s[2:3]
	s_cbranch_execz .LBB89_232
; %bb.231:
	v_div_scale_f64 v[184:185], s[10:11], v[180:181], v[180:181], v[182:183]
	v_rcp_f64_e32 v[186:187], v[184:185]
	v_div_scale_f64 v[188:189], vcc, v[182:183], v[180:181], v[182:183]
	v_fma_f64 v[190:191], -v[184:185], v[186:187], 1.0
	v_fmac_f64_e32 v[186:187], v[186:187], v[190:191]
	v_fma_f64 v[190:191], -v[184:185], v[186:187], 1.0
	v_fmac_f64_e32 v[186:187], v[186:187], v[190:191]
	v_mul_f64 v[190:191], v[188:189], v[186:187]
	v_fma_f64 v[184:185], -v[184:185], v[190:191], v[188:189]
	v_div_fmas_f64 v[184:185], v[184:185], v[186:187], v[190:191]
	v_div_fixup_f64 v[186:187], v[184:185], v[180:181], v[182:183]
	v_fmac_f64_e32 v[180:181], v[182:183], v[186:187]
	v_div_scale_f64 v[182:183], s[10:11], v[180:181], v[180:181], 1.0
	v_rcp_f64_e32 v[184:185], v[182:183]
	s_nop 0
	v_fma_f64 v[188:189], -v[182:183], v[184:185], 1.0
	v_fmac_f64_e32 v[184:185], v[184:185], v[188:189]
	v_fma_f64 v[188:189], -v[182:183], v[184:185], 1.0
	v_fmac_f64_e32 v[184:185], v[184:185], v[188:189]
	v_div_scale_f64 v[188:189], vcc, 1.0, v[180:181], 1.0
	v_mul_f64 v[190:191], v[188:189], v[184:185]
	v_fma_f64 v[182:183], -v[182:183], v[190:191], v[188:189]
	s_nop 1
	v_div_fmas_f64 v[182:183], v[182:183], v[184:185], v[190:191]
	v_div_fixup_f64 v[184:185], v[182:183], v[180:181], 1.0
	v_mul_f64 v[186:187], v[186:187], -v[184:185]
.LBB89_232:
	s_or_b64 exec, exec, s[2:3]
	ds_write2_b64 v208, v[184:185], v[186:187] offset1:1
.LBB89_233:
	s_or_b64 exec, exec, s[4:5]
	s_waitcnt lgkmcnt(0)
	s_barrier
	ds_read2_b64 v[180:183], v208 offset1:1
	v_cmp_lt_u32_e32 vcc, 25, v210
	s_waitcnt lgkmcnt(0)
	scratch_store_dwordx4 off, v[180:183], off offset:608 ; 16-byte Folded Spill
	s_and_saveexec_b64 s[2:3], vcc
	s_cbranch_execz .LBB89_235
; %bb.234:
	scratch_load_dwordx4 v[182:185], off, off offset:608 ; 16-byte Folded Reload
	s_waitcnt vmcnt(0)
	v_mul_f64 v[180:181], v[184:185], v[74:75]
	v_mul_f64 v[74:75], v[182:183], v[74:75]
	v_fma_f64 v[180:181], v[182:183], v[72:73], -v[180:181]
	v_fmac_f64_e32 v[74:75], v[184:185], v[72:73]
	ds_read2_b64 v[182:185], v209 offset0:52 offset1:53
	s_waitcnt lgkmcnt(0)
	v_mul_f64 v[72:73], v[184:185], v[74:75]
	v_fma_f64 v[72:73], v[182:183], v[180:181], -v[72:73]
	v_mul_f64 v[182:183], v[182:183], v[74:75]
	v_fmac_f64_e32 v[182:183], v[184:185], v[180:181]
	v_add_f64 v[70:71], v[70:71], -v[182:183]
	ds_read2_b64 v[182:185], v209 offset0:54 offset1:55
	v_add_f64 v[68:69], v[68:69], -v[72:73]
	s_waitcnt lgkmcnt(0)
	v_mul_f64 v[72:73], v[184:185], v[74:75]
	v_fma_f64 v[72:73], v[182:183], v[180:181], -v[72:73]
	v_mul_f64 v[182:183], v[182:183], v[74:75]
	v_fmac_f64_e32 v[182:183], v[184:185], v[180:181]
	v_add_f64 v[66:67], v[66:67], -v[182:183]
	ds_read2_b64 v[182:185], v209 offset0:56 offset1:57
	v_add_f64 v[64:65], v[64:65], -v[72:73]
	;; [unrolled: 8-line block ×18, first 2 shown]
	s_waitcnt lgkmcnt(0)
	v_mul_f64 v[72:73], v[184:185], v[74:75]
	v_fma_f64 v[72:73], v[182:183], v[180:181], -v[72:73]
	v_mul_f64 v[182:183], v[182:183], v[74:75]
	v_fmac_f64_e32 v[182:183], v[184:185], v[180:181]
	v_add_f64 v[176:177], v[176:177], -v[72:73]
	v_add_f64 v[178:179], v[178:179], -v[182:183]
	v_mov_b64_e32 v[72:73], v[180:181]
.LBB89_235:
	s_or_b64 exec, exec, s[2:3]
	v_cmp_eq_u32_e32 vcc, 26, v210
	s_barrier
	s_and_saveexec_b64 s[4:5], vcc
	s_cbranch_execz .LBB89_242
; %bb.236:
	s_waitcnt vmcnt(44)
	ds_write2_b64 v208, v[68:69], v[70:71] offset1:1
	s_waitcnt vmcnt(43)
	ds_write2_b64 v209, v[64:65], v[66:67] offset0:54 offset1:55
	s_waitcnt vmcnt(42)
	ds_write2_b64 v209, v[60:61], v[62:63] offset0:56 offset1:57
	;; [unrolled: 2-line block ×18, first 2 shown]
	ds_read2_b64 v[180:183], v208 offset1:1
	s_waitcnt lgkmcnt(0)
	v_cmp_neq_f64_e32 vcc, 0, v[180:181]
	v_cmp_neq_f64_e64 s[2:3], 0, v[182:183]
	s_or_b64 s[2:3], vcc, s[2:3]
	s_and_b64 exec, exec, s[2:3]
	s_cbranch_execz .LBB89_242
; %bb.237:
	v_cmp_ngt_f64_e64 s[2:3], |v[180:181]|, |v[182:183]|
                                        ; implicit-def: $vgpr184_vgpr185
	s_and_saveexec_b64 s[10:11], s[2:3]
	s_xor_b64 s[2:3], exec, s[10:11]
                                        ; implicit-def: $vgpr186_vgpr187
	s_cbranch_execz .LBB89_239
; %bb.238:
	v_div_scale_f64 v[184:185], s[10:11], v[182:183], v[182:183], v[180:181]
	v_rcp_f64_e32 v[186:187], v[184:185]
	v_div_scale_f64 v[188:189], vcc, v[180:181], v[182:183], v[180:181]
	v_fma_f64 v[190:191], -v[184:185], v[186:187], 1.0
	v_fmac_f64_e32 v[186:187], v[186:187], v[190:191]
	v_fma_f64 v[190:191], -v[184:185], v[186:187], 1.0
	v_fmac_f64_e32 v[186:187], v[186:187], v[190:191]
	v_mul_f64 v[190:191], v[188:189], v[186:187]
	v_fma_f64 v[184:185], -v[184:185], v[190:191], v[188:189]
	v_div_fmas_f64 v[184:185], v[184:185], v[186:187], v[190:191]
	v_div_fixup_f64 v[184:185], v[184:185], v[182:183], v[180:181]
	v_fmac_f64_e32 v[182:183], v[180:181], v[184:185]
	v_div_scale_f64 v[180:181], s[10:11], v[182:183], v[182:183], 1.0
	v_rcp_f64_e32 v[186:187], v[180:181]
	s_nop 0
	v_fma_f64 v[188:189], -v[180:181], v[186:187], 1.0
	v_fmac_f64_e32 v[186:187], v[186:187], v[188:189]
	v_fma_f64 v[188:189], -v[180:181], v[186:187], 1.0
	v_fmac_f64_e32 v[186:187], v[186:187], v[188:189]
	v_div_scale_f64 v[188:189], vcc, 1.0, v[182:183], 1.0
	v_mul_f64 v[190:191], v[188:189], v[186:187]
	v_fma_f64 v[180:181], -v[180:181], v[190:191], v[188:189]
	s_nop 1
	v_div_fmas_f64 v[180:181], v[180:181], v[186:187], v[190:191]
	v_div_fixup_f64 v[186:187], v[180:181], v[182:183], 1.0
	v_mul_f64 v[184:185], v[184:185], v[186:187]
	v_xor_b32_e32 v187, 0x80000000, v187
                                        ; implicit-def: $vgpr180_vgpr181
.LBB89_239:
	s_andn2_saveexec_b64 s[2:3], s[2:3]
	s_cbranch_execz .LBB89_241
; %bb.240:
	v_div_scale_f64 v[184:185], s[10:11], v[180:181], v[180:181], v[182:183]
	v_rcp_f64_e32 v[186:187], v[184:185]
	v_div_scale_f64 v[188:189], vcc, v[182:183], v[180:181], v[182:183]
	v_fma_f64 v[190:191], -v[184:185], v[186:187], 1.0
	v_fmac_f64_e32 v[186:187], v[186:187], v[190:191]
	v_fma_f64 v[190:191], -v[184:185], v[186:187], 1.0
	v_fmac_f64_e32 v[186:187], v[186:187], v[190:191]
	v_mul_f64 v[190:191], v[188:189], v[186:187]
	v_fma_f64 v[184:185], -v[184:185], v[190:191], v[188:189]
	v_div_fmas_f64 v[184:185], v[184:185], v[186:187], v[190:191]
	v_div_fixup_f64 v[186:187], v[184:185], v[180:181], v[182:183]
	v_fmac_f64_e32 v[180:181], v[182:183], v[186:187]
	v_div_scale_f64 v[182:183], s[10:11], v[180:181], v[180:181], 1.0
	v_rcp_f64_e32 v[184:185], v[182:183]
	s_nop 0
	v_fma_f64 v[188:189], -v[182:183], v[184:185], 1.0
	v_fmac_f64_e32 v[184:185], v[184:185], v[188:189]
	v_fma_f64 v[188:189], -v[182:183], v[184:185], 1.0
	v_fmac_f64_e32 v[184:185], v[184:185], v[188:189]
	v_div_scale_f64 v[188:189], vcc, 1.0, v[180:181], 1.0
	v_mul_f64 v[190:191], v[188:189], v[184:185]
	v_fma_f64 v[182:183], -v[182:183], v[190:191], v[188:189]
	s_nop 1
	v_div_fmas_f64 v[182:183], v[182:183], v[184:185], v[190:191]
	v_div_fixup_f64 v[184:185], v[182:183], v[180:181], 1.0
	v_mul_f64 v[186:187], v[186:187], -v[184:185]
.LBB89_241:
	s_or_b64 exec, exec, s[2:3]
	ds_write2_b64 v208, v[184:185], v[186:187] offset1:1
.LBB89_242:
	s_or_b64 exec, exec, s[4:5]
	s_waitcnt lgkmcnt(0)
	s_barrier
	ds_read2_b64 v[180:183], v208 offset1:1
	v_cmp_lt_u32_e32 vcc, 26, v210
	s_waitcnt lgkmcnt(0)
	scratch_store_dwordx4 off, v[180:183], off offset:624 ; 16-byte Folded Spill
	s_and_saveexec_b64 s[2:3], vcc
	s_cbranch_execz .LBB89_244
; %bb.243:
	scratch_load_dwordx4 v[182:185], off, off offset:624 ; 16-byte Folded Reload
	s_waitcnt vmcnt(0)
	v_mul_f64 v[180:181], v[184:185], v[70:71]
	v_mul_f64 v[70:71], v[182:183], v[70:71]
	v_fma_f64 v[180:181], v[182:183], v[68:69], -v[180:181]
	v_fmac_f64_e32 v[70:71], v[184:185], v[68:69]
	ds_read2_b64 v[182:185], v209 offset0:54 offset1:55
	s_waitcnt lgkmcnt(0)
	v_mul_f64 v[68:69], v[184:185], v[70:71]
	v_fma_f64 v[68:69], v[182:183], v[180:181], -v[68:69]
	v_mul_f64 v[182:183], v[182:183], v[70:71]
	v_fmac_f64_e32 v[182:183], v[184:185], v[180:181]
	v_add_f64 v[66:67], v[66:67], -v[182:183]
	ds_read2_b64 v[182:185], v209 offset0:56 offset1:57
	v_add_f64 v[64:65], v[64:65], -v[68:69]
	s_waitcnt lgkmcnt(0)
	v_mul_f64 v[68:69], v[184:185], v[70:71]
	v_fma_f64 v[68:69], v[182:183], v[180:181], -v[68:69]
	v_mul_f64 v[182:183], v[182:183], v[70:71]
	v_fmac_f64_e32 v[182:183], v[184:185], v[180:181]
	v_add_f64 v[62:63], v[62:63], -v[182:183]
	ds_read2_b64 v[182:185], v209 offset0:58 offset1:59
	v_add_f64 v[60:61], v[60:61], -v[68:69]
	;; [unrolled: 8-line block ×17, first 2 shown]
	s_waitcnt lgkmcnt(0)
	v_mul_f64 v[68:69], v[184:185], v[70:71]
	v_fma_f64 v[68:69], v[182:183], v[180:181], -v[68:69]
	v_mul_f64 v[182:183], v[182:183], v[70:71]
	v_fmac_f64_e32 v[182:183], v[184:185], v[180:181]
	v_add_f64 v[176:177], v[176:177], -v[68:69]
	v_add_f64 v[178:179], v[178:179], -v[182:183]
	v_mov_b64_e32 v[68:69], v[180:181]
.LBB89_244:
	s_or_b64 exec, exec, s[2:3]
	v_cmp_eq_u32_e32 vcc, 27, v210
	s_barrier
	s_and_saveexec_b64 s[4:5], vcc
	s_cbranch_execz .LBB89_251
; %bb.245:
	s_waitcnt vmcnt(44)
	ds_write2_b64 v208, v[64:65], v[66:67] offset1:1
	s_waitcnt vmcnt(43)
	ds_write2_b64 v209, v[60:61], v[62:63] offset0:56 offset1:57
	s_waitcnt vmcnt(42)
	ds_write2_b64 v209, v[56:57], v[58:59] offset0:58 offset1:59
	;; [unrolled: 2-line block ×17, first 2 shown]
	ds_read2_b64 v[180:183], v208 offset1:1
	s_waitcnt lgkmcnt(0)
	v_cmp_neq_f64_e32 vcc, 0, v[180:181]
	v_cmp_neq_f64_e64 s[2:3], 0, v[182:183]
	s_or_b64 s[2:3], vcc, s[2:3]
	s_and_b64 exec, exec, s[2:3]
	s_cbranch_execz .LBB89_251
; %bb.246:
	v_cmp_ngt_f64_e64 s[2:3], |v[180:181]|, |v[182:183]|
                                        ; implicit-def: $vgpr184_vgpr185
	s_and_saveexec_b64 s[10:11], s[2:3]
	s_xor_b64 s[2:3], exec, s[10:11]
                                        ; implicit-def: $vgpr186_vgpr187
	s_cbranch_execz .LBB89_248
; %bb.247:
	v_div_scale_f64 v[184:185], s[10:11], v[182:183], v[182:183], v[180:181]
	v_rcp_f64_e32 v[186:187], v[184:185]
	v_div_scale_f64 v[188:189], vcc, v[180:181], v[182:183], v[180:181]
	v_fma_f64 v[190:191], -v[184:185], v[186:187], 1.0
	v_fmac_f64_e32 v[186:187], v[186:187], v[190:191]
	v_fma_f64 v[190:191], -v[184:185], v[186:187], 1.0
	v_fmac_f64_e32 v[186:187], v[186:187], v[190:191]
	v_mul_f64 v[190:191], v[188:189], v[186:187]
	v_fma_f64 v[184:185], -v[184:185], v[190:191], v[188:189]
	v_div_fmas_f64 v[184:185], v[184:185], v[186:187], v[190:191]
	v_div_fixup_f64 v[184:185], v[184:185], v[182:183], v[180:181]
	v_fmac_f64_e32 v[182:183], v[180:181], v[184:185]
	v_div_scale_f64 v[180:181], s[10:11], v[182:183], v[182:183], 1.0
	v_rcp_f64_e32 v[186:187], v[180:181]
	s_nop 0
	v_fma_f64 v[188:189], -v[180:181], v[186:187], 1.0
	v_fmac_f64_e32 v[186:187], v[186:187], v[188:189]
	v_fma_f64 v[188:189], -v[180:181], v[186:187], 1.0
	v_fmac_f64_e32 v[186:187], v[186:187], v[188:189]
	v_div_scale_f64 v[188:189], vcc, 1.0, v[182:183], 1.0
	v_mul_f64 v[190:191], v[188:189], v[186:187]
	v_fma_f64 v[180:181], -v[180:181], v[190:191], v[188:189]
	s_nop 1
	v_div_fmas_f64 v[180:181], v[180:181], v[186:187], v[190:191]
	v_div_fixup_f64 v[186:187], v[180:181], v[182:183], 1.0
	v_mul_f64 v[184:185], v[184:185], v[186:187]
	v_xor_b32_e32 v187, 0x80000000, v187
                                        ; implicit-def: $vgpr180_vgpr181
.LBB89_248:
	s_andn2_saveexec_b64 s[2:3], s[2:3]
	s_cbranch_execz .LBB89_250
; %bb.249:
	v_div_scale_f64 v[184:185], s[10:11], v[180:181], v[180:181], v[182:183]
	v_rcp_f64_e32 v[186:187], v[184:185]
	v_div_scale_f64 v[188:189], vcc, v[182:183], v[180:181], v[182:183]
	v_fma_f64 v[190:191], -v[184:185], v[186:187], 1.0
	v_fmac_f64_e32 v[186:187], v[186:187], v[190:191]
	v_fma_f64 v[190:191], -v[184:185], v[186:187], 1.0
	v_fmac_f64_e32 v[186:187], v[186:187], v[190:191]
	v_mul_f64 v[190:191], v[188:189], v[186:187]
	v_fma_f64 v[184:185], -v[184:185], v[190:191], v[188:189]
	v_div_fmas_f64 v[184:185], v[184:185], v[186:187], v[190:191]
	v_div_fixup_f64 v[186:187], v[184:185], v[180:181], v[182:183]
	v_fmac_f64_e32 v[180:181], v[182:183], v[186:187]
	v_div_scale_f64 v[182:183], s[10:11], v[180:181], v[180:181], 1.0
	v_rcp_f64_e32 v[184:185], v[182:183]
	s_nop 0
	v_fma_f64 v[188:189], -v[182:183], v[184:185], 1.0
	v_fmac_f64_e32 v[184:185], v[184:185], v[188:189]
	v_fma_f64 v[188:189], -v[182:183], v[184:185], 1.0
	v_fmac_f64_e32 v[184:185], v[184:185], v[188:189]
	v_div_scale_f64 v[188:189], vcc, 1.0, v[180:181], 1.0
	v_mul_f64 v[190:191], v[188:189], v[184:185]
	v_fma_f64 v[182:183], -v[182:183], v[190:191], v[188:189]
	s_nop 1
	v_div_fmas_f64 v[182:183], v[182:183], v[184:185], v[190:191]
	v_div_fixup_f64 v[184:185], v[182:183], v[180:181], 1.0
	v_mul_f64 v[186:187], v[186:187], -v[184:185]
.LBB89_250:
	s_or_b64 exec, exec, s[2:3]
	ds_write2_b64 v208, v[184:185], v[186:187] offset1:1
.LBB89_251:
	s_or_b64 exec, exec, s[4:5]
	s_waitcnt lgkmcnt(0)
	s_barrier
	ds_read2_b64 v[180:183], v208 offset1:1
	v_cmp_lt_u32_e32 vcc, 27, v210
	s_waitcnt lgkmcnt(0)
	scratch_store_dwordx4 off, v[180:183], off offset:640 ; 16-byte Folded Spill
	s_and_saveexec_b64 s[2:3], vcc
	s_cbranch_execz .LBB89_253
; %bb.252:
	scratch_load_dwordx4 v[182:185], off, off offset:640 ; 16-byte Folded Reload
	s_waitcnt vmcnt(0)
	v_mul_f64 v[180:181], v[184:185], v[66:67]
	v_mul_f64 v[66:67], v[182:183], v[66:67]
	v_fma_f64 v[180:181], v[182:183], v[64:65], -v[180:181]
	v_fmac_f64_e32 v[66:67], v[184:185], v[64:65]
	ds_read2_b64 v[182:185], v209 offset0:56 offset1:57
	s_waitcnt lgkmcnt(0)
	v_mul_f64 v[64:65], v[184:185], v[66:67]
	v_fma_f64 v[64:65], v[182:183], v[180:181], -v[64:65]
	v_mul_f64 v[182:183], v[182:183], v[66:67]
	v_fmac_f64_e32 v[182:183], v[184:185], v[180:181]
	v_add_f64 v[62:63], v[62:63], -v[182:183]
	ds_read2_b64 v[182:185], v209 offset0:58 offset1:59
	v_add_f64 v[60:61], v[60:61], -v[64:65]
	s_waitcnt lgkmcnt(0)
	v_mul_f64 v[64:65], v[184:185], v[66:67]
	v_fma_f64 v[64:65], v[182:183], v[180:181], -v[64:65]
	v_mul_f64 v[182:183], v[182:183], v[66:67]
	v_fmac_f64_e32 v[182:183], v[184:185], v[180:181]
	v_add_f64 v[58:59], v[58:59], -v[182:183]
	ds_read2_b64 v[182:185], v209 offset0:60 offset1:61
	v_add_f64 v[56:57], v[56:57], -v[64:65]
	;; [unrolled: 8-line block ×16, first 2 shown]
	s_waitcnt lgkmcnt(0)
	v_mul_f64 v[64:65], v[184:185], v[66:67]
	v_fma_f64 v[64:65], v[182:183], v[180:181], -v[64:65]
	v_mul_f64 v[182:183], v[182:183], v[66:67]
	v_fmac_f64_e32 v[182:183], v[184:185], v[180:181]
	v_add_f64 v[176:177], v[176:177], -v[64:65]
	v_add_f64 v[178:179], v[178:179], -v[182:183]
	v_mov_b64_e32 v[64:65], v[180:181]
.LBB89_253:
	s_or_b64 exec, exec, s[2:3]
	v_cmp_eq_u32_e32 vcc, 28, v210
	s_barrier
	s_and_saveexec_b64 s[4:5], vcc
	s_cbranch_execz .LBB89_260
; %bb.254:
	s_waitcnt vmcnt(44)
	ds_write2_b64 v208, v[60:61], v[62:63] offset1:1
	s_waitcnt vmcnt(43)
	ds_write2_b64 v209, v[56:57], v[58:59] offset0:58 offset1:59
	s_waitcnt vmcnt(42)
	ds_write2_b64 v209, v[52:53], v[54:55] offset0:60 offset1:61
	;; [unrolled: 2-line block ×16, first 2 shown]
	ds_read2_b64 v[180:183], v208 offset1:1
	s_waitcnt lgkmcnt(0)
	v_cmp_neq_f64_e32 vcc, 0, v[180:181]
	v_cmp_neq_f64_e64 s[2:3], 0, v[182:183]
	s_or_b64 s[2:3], vcc, s[2:3]
	s_and_b64 exec, exec, s[2:3]
	s_cbranch_execz .LBB89_260
; %bb.255:
	v_cmp_ngt_f64_e64 s[2:3], |v[180:181]|, |v[182:183]|
                                        ; implicit-def: $vgpr184_vgpr185
	s_and_saveexec_b64 s[10:11], s[2:3]
	s_xor_b64 s[2:3], exec, s[10:11]
                                        ; implicit-def: $vgpr186_vgpr187
	s_cbranch_execz .LBB89_257
; %bb.256:
	v_div_scale_f64 v[184:185], s[10:11], v[182:183], v[182:183], v[180:181]
	v_rcp_f64_e32 v[186:187], v[184:185]
	v_div_scale_f64 v[188:189], vcc, v[180:181], v[182:183], v[180:181]
	v_fma_f64 v[190:191], -v[184:185], v[186:187], 1.0
	v_fmac_f64_e32 v[186:187], v[186:187], v[190:191]
	v_fma_f64 v[190:191], -v[184:185], v[186:187], 1.0
	v_fmac_f64_e32 v[186:187], v[186:187], v[190:191]
	v_mul_f64 v[190:191], v[188:189], v[186:187]
	v_fma_f64 v[184:185], -v[184:185], v[190:191], v[188:189]
	v_div_fmas_f64 v[184:185], v[184:185], v[186:187], v[190:191]
	v_div_fixup_f64 v[184:185], v[184:185], v[182:183], v[180:181]
	v_fmac_f64_e32 v[182:183], v[180:181], v[184:185]
	v_div_scale_f64 v[180:181], s[10:11], v[182:183], v[182:183], 1.0
	v_rcp_f64_e32 v[186:187], v[180:181]
	s_nop 0
	v_fma_f64 v[188:189], -v[180:181], v[186:187], 1.0
	v_fmac_f64_e32 v[186:187], v[186:187], v[188:189]
	v_fma_f64 v[188:189], -v[180:181], v[186:187], 1.0
	v_fmac_f64_e32 v[186:187], v[186:187], v[188:189]
	v_div_scale_f64 v[188:189], vcc, 1.0, v[182:183], 1.0
	v_mul_f64 v[190:191], v[188:189], v[186:187]
	v_fma_f64 v[180:181], -v[180:181], v[190:191], v[188:189]
	s_nop 1
	v_div_fmas_f64 v[180:181], v[180:181], v[186:187], v[190:191]
	v_div_fixup_f64 v[186:187], v[180:181], v[182:183], 1.0
	v_mul_f64 v[184:185], v[184:185], v[186:187]
	v_xor_b32_e32 v187, 0x80000000, v187
                                        ; implicit-def: $vgpr180_vgpr181
.LBB89_257:
	s_andn2_saveexec_b64 s[2:3], s[2:3]
	s_cbranch_execz .LBB89_259
; %bb.258:
	v_div_scale_f64 v[184:185], s[10:11], v[180:181], v[180:181], v[182:183]
	v_rcp_f64_e32 v[186:187], v[184:185]
	v_div_scale_f64 v[188:189], vcc, v[182:183], v[180:181], v[182:183]
	v_fma_f64 v[190:191], -v[184:185], v[186:187], 1.0
	v_fmac_f64_e32 v[186:187], v[186:187], v[190:191]
	v_fma_f64 v[190:191], -v[184:185], v[186:187], 1.0
	v_fmac_f64_e32 v[186:187], v[186:187], v[190:191]
	v_mul_f64 v[190:191], v[188:189], v[186:187]
	v_fma_f64 v[184:185], -v[184:185], v[190:191], v[188:189]
	v_div_fmas_f64 v[184:185], v[184:185], v[186:187], v[190:191]
	v_div_fixup_f64 v[186:187], v[184:185], v[180:181], v[182:183]
	v_fmac_f64_e32 v[180:181], v[182:183], v[186:187]
	v_div_scale_f64 v[182:183], s[10:11], v[180:181], v[180:181], 1.0
	v_rcp_f64_e32 v[184:185], v[182:183]
	s_nop 0
	v_fma_f64 v[188:189], -v[182:183], v[184:185], 1.0
	v_fmac_f64_e32 v[184:185], v[184:185], v[188:189]
	v_fma_f64 v[188:189], -v[182:183], v[184:185], 1.0
	v_fmac_f64_e32 v[184:185], v[184:185], v[188:189]
	v_div_scale_f64 v[188:189], vcc, 1.0, v[180:181], 1.0
	v_mul_f64 v[190:191], v[188:189], v[184:185]
	v_fma_f64 v[182:183], -v[182:183], v[190:191], v[188:189]
	s_nop 1
	v_div_fmas_f64 v[182:183], v[182:183], v[184:185], v[190:191]
	v_div_fixup_f64 v[184:185], v[182:183], v[180:181], 1.0
	v_mul_f64 v[186:187], v[186:187], -v[184:185]
.LBB89_259:
	s_or_b64 exec, exec, s[2:3]
	ds_write2_b64 v208, v[184:185], v[186:187] offset1:1
.LBB89_260:
	s_or_b64 exec, exec, s[4:5]
	s_waitcnt lgkmcnt(0)
	s_barrier
	ds_read2_b64 v[180:183], v208 offset1:1
	v_cmp_lt_u32_e32 vcc, 28, v210
	s_waitcnt lgkmcnt(0)
	scratch_store_dwordx4 off, v[180:183], off offset:656 ; 16-byte Folded Spill
	s_and_saveexec_b64 s[2:3], vcc
	s_cbranch_execz .LBB89_262
; %bb.261:
	scratch_load_dwordx4 v[182:185], off, off offset:656 ; 16-byte Folded Reload
	s_waitcnt vmcnt(0)
	v_mul_f64 v[180:181], v[182:183], v[62:63]
	v_mul_f64 v[62:63], v[184:185], v[62:63]
	v_fmac_f64_e32 v[180:181], v[184:185], v[60:61]
	v_fma_f64 v[60:61], v[182:183], v[60:61], -v[62:63]
	ds_read2_b64 v[182:185], v209 offset0:58 offset1:59
	s_waitcnt lgkmcnt(0)
	v_mul_f64 v[62:63], v[184:185], v[180:181]
	v_fma_f64 v[62:63], v[182:183], v[60:61], -v[62:63]
	v_mul_f64 v[182:183], v[182:183], v[180:181]
	v_fmac_f64_e32 v[182:183], v[184:185], v[60:61]
	v_add_f64 v[58:59], v[58:59], -v[182:183]
	ds_read2_b64 v[182:185], v209 offset0:60 offset1:61
	v_add_f64 v[56:57], v[56:57], -v[62:63]
	s_waitcnt lgkmcnt(0)
	v_mul_f64 v[62:63], v[184:185], v[180:181]
	v_fma_f64 v[62:63], v[182:183], v[60:61], -v[62:63]
	v_mul_f64 v[182:183], v[182:183], v[180:181]
	v_fmac_f64_e32 v[182:183], v[184:185], v[60:61]
	v_add_f64 v[54:55], v[54:55], -v[182:183]
	ds_read2_b64 v[182:185], v209 offset0:62 offset1:63
	v_add_f64 v[52:53], v[52:53], -v[62:63]
	;; [unrolled: 8-line block ×15, first 2 shown]
	s_waitcnt lgkmcnt(0)
	v_mul_f64 v[62:63], v[184:185], v[180:181]
	v_fma_f64 v[62:63], v[182:183], v[60:61], -v[62:63]
	v_mul_f64 v[182:183], v[182:183], v[180:181]
	v_fmac_f64_e32 v[182:183], v[184:185], v[60:61]
	v_add_f64 v[176:177], v[176:177], -v[62:63]
	v_add_f64 v[178:179], v[178:179], -v[182:183]
	v_mov_b64_e32 v[62:63], v[180:181]
.LBB89_262:
	s_or_b64 exec, exec, s[2:3]
	v_cmp_eq_u32_e32 vcc, 29, v210
	s_barrier
	s_and_saveexec_b64 s[4:5], vcc
	s_cbranch_execz .LBB89_269
; %bb.263:
	s_waitcnt vmcnt(44)
	ds_write2_b64 v208, v[56:57], v[58:59] offset1:1
	s_waitcnt vmcnt(43)
	ds_write2_b64 v209, v[52:53], v[54:55] offset0:60 offset1:61
	s_waitcnt vmcnt(42)
	ds_write2_b64 v209, v[218:219], v[220:221] offset0:62 offset1:63
	s_waitcnt vmcnt(41)
	ds_write2_b64 v209, v[44:45], v[46:47] offset0:64 offset1:65
	s_waitcnt vmcnt(40)
	ds_write2_b64 v209, v[40:41], v[42:43] offset0:66 offset1:67
	s_waitcnt vmcnt(39)
	ds_write2_b64 v209, v[36:37], v[38:39] offset0:68 offset1:69
	s_waitcnt vmcnt(38)
	ds_write2_b64 v209, v[32:33], v[34:35] offset0:70 offset1:71
	s_waitcnt vmcnt(37)
	ds_write2_b64 v209, v[28:29], v[30:31] offset0:72 offset1:73
	s_waitcnt vmcnt(36)
	ds_write2_b64 v209, v[24:25], v[26:27] offset0:74 offset1:75
	s_waitcnt vmcnt(35)
	ds_write2_b64 v209, v[20:21], v[22:23] offset0:76 offset1:77
	s_waitcnt vmcnt(34)
	ds_write2_b64 v209, v[16:17], v[18:19] offset0:78 offset1:79
	s_waitcnt vmcnt(33)
	ds_write2_b64 v209, v[12:13], v[14:15] offset0:80 offset1:81
	s_waitcnt vmcnt(32)
	ds_write2_b64 v209, v[8:9], v[10:11] offset0:82 offset1:83
	s_waitcnt vmcnt(31)
	ds_write2_b64 v209, v[4:5], v[6:7] offset0:84 offset1:85
	s_waitcnt vmcnt(30)
	ds_write2_b64 v209, v[0:1], v[2:3] offset0:86 offset1:87
	s_waitcnt vmcnt(29)
	ds_write2_b64 v209, v[176:177], v[178:179] offset0:88 offset1:89
	ds_read2_b64 v[180:183], v208 offset1:1
	s_waitcnt lgkmcnt(0)
	v_cmp_neq_f64_e32 vcc, 0, v[180:181]
	v_cmp_neq_f64_e64 s[2:3], 0, v[182:183]
	s_or_b64 s[2:3], vcc, s[2:3]
	s_and_b64 exec, exec, s[2:3]
	s_cbranch_execz .LBB89_269
; %bb.264:
	v_cmp_ngt_f64_e64 s[2:3], |v[180:181]|, |v[182:183]|
                                        ; implicit-def: $vgpr184_vgpr185
	s_and_saveexec_b64 s[10:11], s[2:3]
	s_xor_b64 s[2:3], exec, s[10:11]
                                        ; implicit-def: $vgpr186_vgpr187
	s_cbranch_execz .LBB89_266
; %bb.265:
	v_div_scale_f64 v[184:185], s[10:11], v[182:183], v[182:183], v[180:181]
	v_rcp_f64_e32 v[186:187], v[184:185]
	v_div_scale_f64 v[188:189], vcc, v[180:181], v[182:183], v[180:181]
	v_fma_f64 v[190:191], -v[184:185], v[186:187], 1.0
	v_fmac_f64_e32 v[186:187], v[186:187], v[190:191]
	v_fma_f64 v[190:191], -v[184:185], v[186:187], 1.0
	v_fmac_f64_e32 v[186:187], v[186:187], v[190:191]
	v_mul_f64 v[190:191], v[188:189], v[186:187]
	v_fma_f64 v[184:185], -v[184:185], v[190:191], v[188:189]
	v_div_fmas_f64 v[184:185], v[184:185], v[186:187], v[190:191]
	v_div_fixup_f64 v[184:185], v[184:185], v[182:183], v[180:181]
	v_fmac_f64_e32 v[182:183], v[180:181], v[184:185]
	v_div_scale_f64 v[180:181], s[10:11], v[182:183], v[182:183], 1.0
	v_rcp_f64_e32 v[186:187], v[180:181]
	s_nop 0
	v_fma_f64 v[188:189], -v[180:181], v[186:187], 1.0
	v_fmac_f64_e32 v[186:187], v[186:187], v[188:189]
	v_fma_f64 v[188:189], -v[180:181], v[186:187], 1.0
	v_fmac_f64_e32 v[186:187], v[186:187], v[188:189]
	v_div_scale_f64 v[188:189], vcc, 1.0, v[182:183], 1.0
	v_mul_f64 v[190:191], v[188:189], v[186:187]
	v_fma_f64 v[180:181], -v[180:181], v[190:191], v[188:189]
	s_nop 1
	v_div_fmas_f64 v[180:181], v[180:181], v[186:187], v[190:191]
	v_div_fixup_f64 v[186:187], v[180:181], v[182:183], 1.0
	v_mul_f64 v[184:185], v[184:185], v[186:187]
	v_xor_b32_e32 v187, 0x80000000, v187
                                        ; implicit-def: $vgpr180_vgpr181
.LBB89_266:
	s_andn2_saveexec_b64 s[2:3], s[2:3]
	s_cbranch_execz .LBB89_268
; %bb.267:
	v_div_scale_f64 v[184:185], s[10:11], v[180:181], v[180:181], v[182:183]
	v_rcp_f64_e32 v[186:187], v[184:185]
	v_div_scale_f64 v[188:189], vcc, v[182:183], v[180:181], v[182:183]
	v_fma_f64 v[190:191], -v[184:185], v[186:187], 1.0
	v_fmac_f64_e32 v[186:187], v[186:187], v[190:191]
	v_fma_f64 v[190:191], -v[184:185], v[186:187], 1.0
	v_fmac_f64_e32 v[186:187], v[186:187], v[190:191]
	v_mul_f64 v[190:191], v[188:189], v[186:187]
	v_fma_f64 v[184:185], -v[184:185], v[190:191], v[188:189]
	v_div_fmas_f64 v[184:185], v[184:185], v[186:187], v[190:191]
	v_div_fixup_f64 v[186:187], v[184:185], v[180:181], v[182:183]
	v_fmac_f64_e32 v[180:181], v[182:183], v[186:187]
	v_div_scale_f64 v[182:183], s[10:11], v[180:181], v[180:181], 1.0
	v_rcp_f64_e32 v[184:185], v[182:183]
	s_nop 0
	v_fma_f64 v[188:189], -v[182:183], v[184:185], 1.0
	v_fmac_f64_e32 v[184:185], v[184:185], v[188:189]
	v_fma_f64 v[188:189], -v[182:183], v[184:185], 1.0
	v_fmac_f64_e32 v[184:185], v[184:185], v[188:189]
	v_div_scale_f64 v[188:189], vcc, 1.0, v[180:181], 1.0
	v_mul_f64 v[190:191], v[188:189], v[184:185]
	v_fma_f64 v[182:183], -v[182:183], v[190:191], v[188:189]
	s_nop 1
	v_div_fmas_f64 v[182:183], v[182:183], v[184:185], v[190:191]
	v_div_fixup_f64 v[184:185], v[182:183], v[180:181], 1.0
	v_mul_f64 v[186:187], v[186:187], -v[184:185]
.LBB89_268:
	s_or_b64 exec, exec, s[2:3]
	ds_write2_b64 v208, v[184:185], v[186:187] offset1:1
.LBB89_269:
	s_or_b64 exec, exec, s[4:5]
	s_waitcnt lgkmcnt(0)
	s_barrier
	ds_read2_b64 v[180:183], v208 offset1:1
	v_cmp_lt_u32_e32 vcc, 29, v210
	s_waitcnt lgkmcnt(0)
	scratch_store_dwordx4 off, v[180:183], off offset:672 ; 16-byte Folded Spill
	s_and_saveexec_b64 s[2:3], vcc
	s_cbranch_execz .LBB89_271
; %bb.270:
	scratch_load_dwordx4 v[182:185], off, off offset:672 ; 16-byte Folded Reload
	s_waitcnt vmcnt(0)
	v_mul_f64 v[180:181], v[182:183], v[58:59]
	v_mul_f64 v[58:59], v[184:185], v[58:59]
	v_fmac_f64_e32 v[180:181], v[184:185], v[56:57]
	v_fma_f64 v[56:57], v[182:183], v[56:57], -v[58:59]
	ds_read2_b64 v[182:185], v209 offset0:60 offset1:61
	s_waitcnt lgkmcnt(0)
	v_mul_f64 v[58:59], v[184:185], v[180:181]
	v_fma_f64 v[58:59], v[182:183], v[56:57], -v[58:59]
	v_mul_f64 v[182:183], v[182:183], v[180:181]
	v_fmac_f64_e32 v[182:183], v[184:185], v[56:57]
	v_add_f64 v[54:55], v[54:55], -v[182:183]
	ds_read2_b64 v[182:185], v209 offset0:62 offset1:63
	v_add_f64 v[52:53], v[52:53], -v[58:59]
	s_waitcnt lgkmcnt(0)
	v_mul_f64 v[58:59], v[184:185], v[180:181]
	v_fma_f64 v[58:59], v[182:183], v[56:57], -v[58:59]
	v_mul_f64 v[182:183], v[182:183], v[180:181]
	v_fmac_f64_e32 v[182:183], v[184:185], v[56:57]
	v_add_f64 v[220:221], v[220:221], -v[182:183]
	ds_read2_b64 v[182:185], v209 offset0:64 offset1:65
	v_add_f64 v[218:219], v[218:219], -v[58:59]
	;; [unrolled: 8-line block ×14, first 2 shown]
	s_waitcnt lgkmcnt(0)
	v_mul_f64 v[58:59], v[184:185], v[180:181]
	v_fma_f64 v[58:59], v[182:183], v[56:57], -v[58:59]
	v_mul_f64 v[182:183], v[182:183], v[180:181]
	v_fmac_f64_e32 v[182:183], v[184:185], v[56:57]
	v_add_f64 v[176:177], v[176:177], -v[58:59]
	v_add_f64 v[178:179], v[178:179], -v[182:183]
	v_mov_b64_e32 v[58:59], v[180:181]
.LBB89_271:
	s_or_b64 exec, exec, s[2:3]
	v_cmp_eq_u32_e32 vcc, 30, v210
	s_barrier
	s_and_saveexec_b64 s[4:5], vcc
	s_cbranch_execz .LBB89_278
; %bb.272:
	s_waitcnt vmcnt(44)
	ds_write2_b64 v208, v[52:53], v[54:55] offset1:1
	s_waitcnt vmcnt(43)
	ds_write2_b64 v209, v[218:219], v[220:221] offset0:62 offset1:63
	s_waitcnt vmcnt(42)
	ds_write2_b64 v209, v[44:45], v[46:47] offset0:64 offset1:65
	;; [unrolled: 2-line block ×14, first 2 shown]
	ds_read2_b64 v[180:183], v208 offset1:1
	s_waitcnt lgkmcnt(0)
	v_cmp_neq_f64_e32 vcc, 0, v[180:181]
	v_cmp_neq_f64_e64 s[2:3], 0, v[182:183]
	s_or_b64 s[2:3], vcc, s[2:3]
	s_and_b64 exec, exec, s[2:3]
	s_cbranch_execz .LBB89_278
; %bb.273:
	v_cmp_ngt_f64_e64 s[2:3], |v[180:181]|, |v[182:183]|
                                        ; implicit-def: $vgpr184_vgpr185
	s_and_saveexec_b64 s[10:11], s[2:3]
	s_xor_b64 s[2:3], exec, s[10:11]
                                        ; implicit-def: $vgpr186_vgpr187
	s_cbranch_execz .LBB89_275
; %bb.274:
	v_div_scale_f64 v[184:185], s[10:11], v[182:183], v[182:183], v[180:181]
	v_rcp_f64_e32 v[186:187], v[184:185]
	v_div_scale_f64 v[188:189], vcc, v[180:181], v[182:183], v[180:181]
	v_fma_f64 v[190:191], -v[184:185], v[186:187], 1.0
	v_fmac_f64_e32 v[186:187], v[186:187], v[190:191]
	v_fma_f64 v[190:191], -v[184:185], v[186:187], 1.0
	v_fmac_f64_e32 v[186:187], v[186:187], v[190:191]
	v_mul_f64 v[190:191], v[188:189], v[186:187]
	v_fma_f64 v[184:185], -v[184:185], v[190:191], v[188:189]
	v_div_fmas_f64 v[184:185], v[184:185], v[186:187], v[190:191]
	v_div_fixup_f64 v[184:185], v[184:185], v[182:183], v[180:181]
	v_fmac_f64_e32 v[182:183], v[180:181], v[184:185]
	v_div_scale_f64 v[180:181], s[10:11], v[182:183], v[182:183], 1.0
	v_rcp_f64_e32 v[186:187], v[180:181]
	s_nop 0
	v_fma_f64 v[188:189], -v[180:181], v[186:187], 1.0
	v_fmac_f64_e32 v[186:187], v[186:187], v[188:189]
	v_fma_f64 v[188:189], -v[180:181], v[186:187], 1.0
	v_fmac_f64_e32 v[186:187], v[186:187], v[188:189]
	v_div_scale_f64 v[188:189], vcc, 1.0, v[182:183], 1.0
	v_mul_f64 v[190:191], v[188:189], v[186:187]
	v_fma_f64 v[180:181], -v[180:181], v[190:191], v[188:189]
	s_nop 1
	v_div_fmas_f64 v[180:181], v[180:181], v[186:187], v[190:191]
	v_div_fixup_f64 v[186:187], v[180:181], v[182:183], 1.0
	v_mul_f64 v[184:185], v[184:185], v[186:187]
	v_xor_b32_e32 v187, 0x80000000, v187
                                        ; implicit-def: $vgpr180_vgpr181
.LBB89_275:
	s_andn2_saveexec_b64 s[2:3], s[2:3]
	s_cbranch_execz .LBB89_277
; %bb.276:
	v_div_scale_f64 v[184:185], s[10:11], v[180:181], v[180:181], v[182:183]
	v_rcp_f64_e32 v[186:187], v[184:185]
	v_div_scale_f64 v[188:189], vcc, v[182:183], v[180:181], v[182:183]
	v_fma_f64 v[190:191], -v[184:185], v[186:187], 1.0
	v_fmac_f64_e32 v[186:187], v[186:187], v[190:191]
	v_fma_f64 v[190:191], -v[184:185], v[186:187], 1.0
	v_fmac_f64_e32 v[186:187], v[186:187], v[190:191]
	v_mul_f64 v[190:191], v[188:189], v[186:187]
	v_fma_f64 v[184:185], -v[184:185], v[190:191], v[188:189]
	v_div_fmas_f64 v[184:185], v[184:185], v[186:187], v[190:191]
	v_div_fixup_f64 v[186:187], v[184:185], v[180:181], v[182:183]
	v_fmac_f64_e32 v[180:181], v[182:183], v[186:187]
	v_div_scale_f64 v[182:183], s[10:11], v[180:181], v[180:181], 1.0
	v_rcp_f64_e32 v[184:185], v[182:183]
	s_nop 0
	v_fma_f64 v[188:189], -v[182:183], v[184:185], 1.0
	v_fmac_f64_e32 v[184:185], v[184:185], v[188:189]
	v_fma_f64 v[188:189], -v[182:183], v[184:185], 1.0
	v_fmac_f64_e32 v[184:185], v[184:185], v[188:189]
	v_div_scale_f64 v[188:189], vcc, 1.0, v[180:181], 1.0
	v_mul_f64 v[190:191], v[188:189], v[184:185]
	v_fma_f64 v[182:183], -v[182:183], v[190:191], v[188:189]
	s_nop 1
	v_div_fmas_f64 v[182:183], v[182:183], v[184:185], v[190:191]
	v_div_fixup_f64 v[184:185], v[182:183], v[180:181], 1.0
	v_mul_f64 v[186:187], v[186:187], -v[184:185]
.LBB89_277:
	s_or_b64 exec, exec, s[2:3]
	ds_write2_b64 v208, v[184:185], v[186:187] offset1:1
.LBB89_278:
	s_or_b64 exec, exec, s[4:5]
	s_waitcnt lgkmcnt(0)
	s_barrier
	ds_read2_b64 v[180:183], v208 offset1:1
	v_cmp_lt_u32_e32 vcc, 30, v210
	s_waitcnt lgkmcnt(0)
	scratch_store_dwordx4 off, v[180:183], off offset:688 ; 16-byte Folded Spill
	s_and_saveexec_b64 s[2:3], vcc
	s_cbranch_execz .LBB89_280
; %bb.279:
	scratch_load_dwordx4 v[182:185], off, off offset:688 ; 16-byte Folded Reload
	s_waitcnt vmcnt(0)
	v_mul_f64 v[180:181], v[182:183], v[54:55]
	v_mul_f64 v[54:55], v[184:185], v[54:55]
	v_fmac_f64_e32 v[180:181], v[184:185], v[52:53]
	v_fma_f64 v[52:53], v[182:183], v[52:53], -v[54:55]
	ds_read2_b64 v[182:185], v209 offset0:62 offset1:63
	s_waitcnt lgkmcnt(0)
	v_mul_f64 v[54:55], v[184:185], v[180:181]
	v_fma_f64 v[54:55], v[182:183], v[52:53], -v[54:55]
	v_mul_f64 v[182:183], v[182:183], v[180:181]
	v_fmac_f64_e32 v[182:183], v[184:185], v[52:53]
	v_add_f64 v[220:221], v[220:221], -v[182:183]
	ds_read2_b64 v[182:185], v209 offset0:64 offset1:65
	v_add_f64 v[218:219], v[218:219], -v[54:55]
	s_waitcnt lgkmcnt(0)
	v_mul_f64 v[54:55], v[184:185], v[180:181]
	v_fma_f64 v[54:55], v[182:183], v[52:53], -v[54:55]
	v_mul_f64 v[182:183], v[182:183], v[180:181]
	v_fmac_f64_e32 v[182:183], v[184:185], v[52:53]
	v_add_f64 v[46:47], v[46:47], -v[182:183]
	ds_read2_b64 v[182:185], v209 offset0:66 offset1:67
	v_add_f64 v[44:45], v[44:45], -v[54:55]
	;; [unrolled: 8-line block ×13, first 2 shown]
	s_waitcnt lgkmcnt(0)
	v_mul_f64 v[54:55], v[184:185], v[180:181]
	v_fma_f64 v[54:55], v[182:183], v[52:53], -v[54:55]
	v_mul_f64 v[182:183], v[182:183], v[180:181]
	v_fmac_f64_e32 v[182:183], v[184:185], v[52:53]
	v_add_f64 v[176:177], v[176:177], -v[54:55]
	v_add_f64 v[178:179], v[178:179], -v[182:183]
	v_mov_b64_e32 v[54:55], v[180:181]
.LBB89_280:
	s_or_b64 exec, exec, s[2:3]
	v_cmp_eq_u32_e32 vcc, 31, v210
	s_waitcnt vmcnt(63) expcnt(7) lgkmcnt(15)
	s_barrier
	s_and_saveexec_b64 s[4:5], vcc
	s_cbranch_execz .LBB89_287
; %bb.281:
	s_waitcnt vmcnt(44)
	ds_write2_b64 v208, v[218:219], v[220:221] offset1:1
	s_waitcnt vmcnt(43)
	ds_write2_b64 v209, v[44:45], v[46:47] offset0:64 offset1:65
	s_waitcnt vmcnt(42)
	ds_write2_b64 v209, v[40:41], v[42:43] offset0:66 offset1:67
	;; [unrolled: 2-line block ×13, first 2 shown]
	ds_read2_b64 v[180:183], v208 offset1:1
	s_waitcnt lgkmcnt(0)
	v_cmp_neq_f64_e32 vcc, 0, v[180:181]
	v_cmp_neq_f64_e64 s[2:3], 0, v[182:183]
	s_or_b64 s[2:3], vcc, s[2:3]
	s_and_b64 exec, exec, s[2:3]
	s_cbranch_execz .LBB89_287
; %bb.282:
	v_cmp_ngt_f64_e64 s[2:3], |v[180:181]|, |v[182:183]|
                                        ; implicit-def: $vgpr184_vgpr185
	s_and_saveexec_b64 s[10:11], s[2:3]
	s_xor_b64 s[2:3], exec, s[10:11]
                                        ; implicit-def: $vgpr186_vgpr187
	s_cbranch_execz .LBB89_284
; %bb.283:
	v_div_scale_f64 v[184:185], s[10:11], v[182:183], v[182:183], v[180:181]
	v_rcp_f64_e32 v[186:187], v[184:185]
	v_div_scale_f64 v[188:189], vcc, v[180:181], v[182:183], v[180:181]
	v_fma_f64 v[190:191], -v[184:185], v[186:187], 1.0
	v_fmac_f64_e32 v[186:187], v[186:187], v[190:191]
	v_fma_f64 v[190:191], -v[184:185], v[186:187], 1.0
	v_fmac_f64_e32 v[186:187], v[186:187], v[190:191]
	v_mul_f64 v[190:191], v[188:189], v[186:187]
	v_fma_f64 v[184:185], -v[184:185], v[190:191], v[188:189]
	v_div_fmas_f64 v[184:185], v[184:185], v[186:187], v[190:191]
	v_div_fixup_f64 v[184:185], v[184:185], v[182:183], v[180:181]
	v_fmac_f64_e32 v[182:183], v[180:181], v[184:185]
	v_div_scale_f64 v[180:181], s[10:11], v[182:183], v[182:183], 1.0
	v_rcp_f64_e32 v[186:187], v[180:181]
	s_nop 0
	v_fma_f64 v[188:189], -v[180:181], v[186:187], 1.0
	v_fmac_f64_e32 v[186:187], v[186:187], v[188:189]
	v_fma_f64 v[188:189], -v[180:181], v[186:187], 1.0
	v_fmac_f64_e32 v[186:187], v[186:187], v[188:189]
	v_div_scale_f64 v[188:189], vcc, 1.0, v[182:183], 1.0
	v_mul_f64 v[190:191], v[188:189], v[186:187]
	v_fma_f64 v[180:181], -v[180:181], v[190:191], v[188:189]
	s_nop 1
	v_div_fmas_f64 v[180:181], v[180:181], v[186:187], v[190:191]
	v_div_fixup_f64 v[186:187], v[180:181], v[182:183], 1.0
	v_mul_f64 v[184:185], v[184:185], v[186:187]
	v_xor_b32_e32 v187, 0x80000000, v187
                                        ; implicit-def: $vgpr180_vgpr181
.LBB89_284:
	s_andn2_saveexec_b64 s[2:3], s[2:3]
	s_cbranch_execz .LBB89_286
; %bb.285:
	v_div_scale_f64 v[184:185], s[10:11], v[180:181], v[180:181], v[182:183]
	v_rcp_f64_e32 v[186:187], v[184:185]
	v_div_scale_f64 v[188:189], vcc, v[182:183], v[180:181], v[182:183]
	v_fma_f64 v[190:191], -v[184:185], v[186:187], 1.0
	v_fmac_f64_e32 v[186:187], v[186:187], v[190:191]
	v_fma_f64 v[190:191], -v[184:185], v[186:187], 1.0
	v_fmac_f64_e32 v[186:187], v[186:187], v[190:191]
	v_mul_f64 v[190:191], v[188:189], v[186:187]
	v_fma_f64 v[184:185], -v[184:185], v[190:191], v[188:189]
	v_div_fmas_f64 v[184:185], v[184:185], v[186:187], v[190:191]
	v_div_fixup_f64 v[186:187], v[184:185], v[180:181], v[182:183]
	v_fmac_f64_e32 v[180:181], v[182:183], v[186:187]
	v_div_scale_f64 v[182:183], s[10:11], v[180:181], v[180:181], 1.0
	v_rcp_f64_e32 v[184:185], v[182:183]
	s_nop 0
	v_fma_f64 v[188:189], -v[182:183], v[184:185], 1.0
	v_fmac_f64_e32 v[184:185], v[184:185], v[188:189]
	v_fma_f64 v[188:189], -v[182:183], v[184:185], 1.0
	v_fmac_f64_e32 v[184:185], v[184:185], v[188:189]
	v_div_scale_f64 v[188:189], vcc, 1.0, v[180:181], 1.0
	v_mul_f64 v[190:191], v[188:189], v[184:185]
	v_fma_f64 v[182:183], -v[182:183], v[190:191], v[188:189]
	s_nop 1
	v_div_fmas_f64 v[182:183], v[182:183], v[184:185], v[190:191]
	v_div_fixup_f64 v[184:185], v[182:183], v[180:181], 1.0
	v_mul_f64 v[186:187], v[186:187], -v[184:185]
.LBB89_286:
	s_or_b64 exec, exec, s[2:3]
	ds_write2_b64 v208, v[184:185], v[186:187] offset1:1
.LBB89_287:
	s_or_b64 exec, exec, s[4:5]
	s_waitcnt lgkmcnt(0)
	s_barrier
	ds_read2_b64 v[180:183], v208 offset1:1
	v_cmp_lt_u32_e32 vcc, 31, v210
	s_waitcnt lgkmcnt(0)
	scratch_store_dwordx4 off, v[180:183], off offset:704 ; 16-byte Folded Spill
	s_and_saveexec_b64 s[2:3], vcc
	s_cbranch_execz .LBB89_289
; %bb.288:
	scratch_load_dwordx4 v[182:185], off, off offset:704 ; 16-byte Folded Reload
	s_waitcnt vmcnt(0)
	v_mul_f64 v[180:181], v[182:183], v[220:221]
	v_mul_f64 v[50:51], v[184:185], v[220:221]
	v_fmac_f64_e32 v[180:181], v[184:185], v[218:219]
	v_fma_f64 v[218:219], v[182:183], v[218:219], -v[50:51]
	ds_read2_b64 v[182:185], v209 offset0:64 offset1:65
	v_mov_b64_e32 v[220:221], v[180:181]
	s_waitcnt lgkmcnt(0)
	v_mul_f64 v[50:51], v[184:185], v[180:181]
	v_fma_f64 v[50:51], v[182:183], v[218:219], -v[50:51]
	v_mul_f64 v[182:183], v[182:183], v[180:181]
	v_fmac_f64_e32 v[182:183], v[184:185], v[218:219]
	v_add_f64 v[46:47], v[46:47], -v[182:183]
	ds_read2_b64 v[182:185], v209 offset0:66 offset1:67
	v_add_f64 v[44:45], v[44:45], -v[50:51]
	s_waitcnt lgkmcnt(0)
	v_mul_f64 v[50:51], v[184:185], v[180:181]
	v_fma_f64 v[50:51], v[182:183], v[218:219], -v[50:51]
	v_mul_f64 v[182:183], v[182:183], v[180:181]
	v_fmac_f64_e32 v[182:183], v[184:185], v[218:219]
	v_add_f64 v[42:43], v[42:43], -v[182:183]
	ds_read2_b64 v[182:185], v209 offset0:68 offset1:69
	v_add_f64 v[40:41], v[40:41], -v[50:51]
	;; [unrolled: 8-line block ×12, first 2 shown]
	s_waitcnt lgkmcnt(0)
	v_mul_f64 v[50:51], v[184:185], v[180:181]
	v_fma_f64 v[50:51], v[182:183], v[218:219], -v[50:51]
	v_mul_f64 v[182:183], v[182:183], v[180:181]
	v_fmac_f64_e32 v[182:183], v[184:185], v[218:219]
	v_add_f64 v[176:177], v[176:177], -v[50:51]
	v_add_f64 v[178:179], v[178:179], -v[182:183]
.LBB89_289:
	s_or_b64 exec, exec, s[2:3]
	v_cmp_eq_u32_e32 vcc, 32, v210
	s_waitcnt vmcnt(63) expcnt(7) lgkmcnt(15)
	s_barrier
	s_and_saveexec_b64 s[4:5], vcc
	s_cbranch_execz .LBB89_296
; %bb.290:
	s_waitcnt vmcnt(44)
	ds_write2_b64 v208, v[44:45], v[46:47] offset1:1
	s_waitcnt vmcnt(43)
	ds_write2_b64 v209, v[40:41], v[42:43] offset0:66 offset1:67
	s_waitcnt vmcnt(42)
	ds_write2_b64 v209, v[36:37], v[38:39] offset0:68 offset1:69
	;; [unrolled: 2-line block ×12, first 2 shown]
	ds_read2_b64 v[180:183], v208 offset1:1
	s_waitcnt lgkmcnt(0)
	v_cmp_neq_f64_e32 vcc, 0, v[180:181]
	v_cmp_neq_f64_e64 s[2:3], 0, v[182:183]
	s_or_b64 s[2:3], vcc, s[2:3]
	s_and_b64 exec, exec, s[2:3]
	s_cbranch_execz .LBB89_296
; %bb.291:
	v_cmp_ngt_f64_e64 s[2:3], |v[180:181]|, |v[182:183]|
                                        ; implicit-def: $vgpr184_vgpr185
	s_and_saveexec_b64 s[10:11], s[2:3]
	s_xor_b64 s[2:3], exec, s[10:11]
                                        ; implicit-def: $vgpr186_vgpr187
	s_cbranch_execz .LBB89_293
; %bb.292:
	v_div_scale_f64 v[184:185], s[10:11], v[182:183], v[182:183], v[180:181]
	v_rcp_f64_e32 v[186:187], v[184:185]
	v_div_scale_f64 v[188:189], vcc, v[180:181], v[182:183], v[180:181]
	v_fma_f64 v[190:191], -v[184:185], v[186:187], 1.0
	v_fmac_f64_e32 v[186:187], v[186:187], v[190:191]
	v_fma_f64 v[190:191], -v[184:185], v[186:187], 1.0
	v_fmac_f64_e32 v[186:187], v[186:187], v[190:191]
	v_mul_f64 v[190:191], v[188:189], v[186:187]
	v_fma_f64 v[184:185], -v[184:185], v[190:191], v[188:189]
	v_div_fmas_f64 v[184:185], v[184:185], v[186:187], v[190:191]
	v_div_fixup_f64 v[184:185], v[184:185], v[182:183], v[180:181]
	v_fmac_f64_e32 v[182:183], v[180:181], v[184:185]
	v_div_scale_f64 v[180:181], s[10:11], v[182:183], v[182:183], 1.0
	v_rcp_f64_e32 v[186:187], v[180:181]
	s_nop 0
	v_fma_f64 v[188:189], -v[180:181], v[186:187], 1.0
	v_fmac_f64_e32 v[186:187], v[186:187], v[188:189]
	v_fma_f64 v[188:189], -v[180:181], v[186:187], 1.0
	v_fmac_f64_e32 v[186:187], v[186:187], v[188:189]
	v_div_scale_f64 v[188:189], vcc, 1.0, v[182:183], 1.0
	v_mul_f64 v[190:191], v[188:189], v[186:187]
	v_fma_f64 v[180:181], -v[180:181], v[190:191], v[188:189]
	s_nop 1
	v_div_fmas_f64 v[180:181], v[180:181], v[186:187], v[190:191]
	v_div_fixup_f64 v[186:187], v[180:181], v[182:183], 1.0
	v_mul_f64 v[184:185], v[184:185], v[186:187]
	v_xor_b32_e32 v187, 0x80000000, v187
                                        ; implicit-def: $vgpr180_vgpr181
.LBB89_293:
	s_andn2_saveexec_b64 s[2:3], s[2:3]
	s_cbranch_execz .LBB89_295
; %bb.294:
	v_div_scale_f64 v[184:185], s[10:11], v[180:181], v[180:181], v[182:183]
	v_rcp_f64_e32 v[186:187], v[184:185]
	v_div_scale_f64 v[188:189], vcc, v[182:183], v[180:181], v[182:183]
	v_fma_f64 v[190:191], -v[184:185], v[186:187], 1.0
	v_fmac_f64_e32 v[186:187], v[186:187], v[190:191]
	v_fma_f64 v[190:191], -v[184:185], v[186:187], 1.0
	v_fmac_f64_e32 v[186:187], v[186:187], v[190:191]
	v_mul_f64 v[190:191], v[188:189], v[186:187]
	v_fma_f64 v[184:185], -v[184:185], v[190:191], v[188:189]
	v_div_fmas_f64 v[184:185], v[184:185], v[186:187], v[190:191]
	v_div_fixup_f64 v[186:187], v[184:185], v[180:181], v[182:183]
	v_fmac_f64_e32 v[180:181], v[182:183], v[186:187]
	v_div_scale_f64 v[182:183], s[10:11], v[180:181], v[180:181], 1.0
	v_rcp_f64_e32 v[184:185], v[182:183]
	s_nop 0
	v_fma_f64 v[188:189], -v[182:183], v[184:185], 1.0
	v_fmac_f64_e32 v[184:185], v[184:185], v[188:189]
	v_fma_f64 v[188:189], -v[182:183], v[184:185], 1.0
	v_fmac_f64_e32 v[184:185], v[184:185], v[188:189]
	v_div_scale_f64 v[188:189], vcc, 1.0, v[180:181], 1.0
	v_mul_f64 v[190:191], v[188:189], v[184:185]
	v_fma_f64 v[182:183], -v[182:183], v[190:191], v[188:189]
	s_nop 1
	v_div_fmas_f64 v[182:183], v[182:183], v[184:185], v[190:191]
	v_div_fixup_f64 v[184:185], v[182:183], v[180:181], 1.0
	v_mul_f64 v[186:187], v[186:187], -v[184:185]
.LBB89_295:
	s_or_b64 exec, exec, s[2:3]
	ds_write2_b64 v208, v[184:185], v[186:187] offset1:1
.LBB89_296:
	s_or_b64 exec, exec, s[4:5]
	s_waitcnt lgkmcnt(0)
	s_barrier
	ds_read2_b64 v[180:183], v208 offset1:1
	v_cmp_lt_u32_e32 vcc, 32, v210
	s_waitcnt lgkmcnt(0)
	scratch_store_dwordx4 off, v[180:183], off offset:720 ; 16-byte Folded Spill
	s_and_saveexec_b64 s[2:3], vcc
	s_cbranch_execz .LBB89_298
; %bb.297:
	scratch_load_dwordx4 v[182:185], off, off offset:720 ; 16-byte Folded Reload
	s_waitcnt vmcnt(0)
	v_mul_f64 v[180:181], v[182:183], v[46:47]
	v_mul_f64 v[46:47], v[184:185], v[46:47]
	v_fmac_f64_e32 v[180:181], v[184:185], v[44:45]
	v_fma_f64 v[44:45], v[182:183], v[44:45], -v[46:47]
	ds_read2_b64 v[182:185], v209 offset0:66 offset1:67
	s_waitcnt lgkmcnt(0)
	v_mul_f64 v[46:47], v[184:185], v[180:181]
	v_fma_f64 v[46:47], v[182:183], v[44:45], -v[46:47]
	v_mul_f64 v[182:183], v[182:183], v[180:181]
	v_fmac_f64_e32 v[182:183], v[184:185], v[44:45]
	v_add_f64 v[42:43], v[42:43], -v[182:183]
	ds_read2_b64 v[182:185], v209 offset0:68 offset1:69
	v_add_f64 v[40:41], v[40:41], -v[46:47]
	s_waitcnt lgkmcnt(0)
	v_mul_f64 v[46:47], v[184:185], v[180:181]
	v_fma_f64 v[46:47], v[182:183], v[44:45], -v[46:47]
	v_mul_f64 v[182:183], v[182:183], v[180:181]
	v_fmac_f64_e32 v[182:183], v[184:185], v[44:45]
	v_add_f64 v[38:39], v[38:39], -v[182:183]
	ds_read2_b64 v[182:185], v209 offset0:70 offset1:71
	v_add_f64 v[36:37], v[36:37], -v[46:47]
	;; [unrolled: 8-line block ×11, first 2 shown]
	s_waitcnt lgkmcnt(0)
	v_mul_f64 v[46:47], v[184:185], v[180:181]
	v_fma_f64 v[46:47], v[182:183], v[44:45], -v[46:47]
	v_mul_f64 v[182:183], v[182:183], v[180:181]
	v_fmac_f64_e32 v[182:183], v[184:185], v[44:45]
	v_add_f64 v[176:177], v[176:177], -v[46:47]
	v_add_f64 v[178:179], v[178:179], -v[182:183]
	v_mov_b64_e32 v[46:47], v[180:181]
.LBB89_298:
	s_or_b64 exec, exec, s[2:3]
	v_cmp_eq_u32_e32 vcc, 33, v210
	s_waitcnt vmcnt(63) expcnt(7) lgkmcnt(15)
	s_barrier
	s_and_saveexec_b64 s[4:5], vcc
	s_cbranch_execz .LBB89_305
; %bb.299:
	s_waitcnt vmcnt(44)
	ds_write2_b64 v208, v[40:41], v[42:43] offset1:1
	s_waitcnt vmcnt(43)
	ds_write2_b64 v209, v[36:37], v[38:39] offset0:68 offset1:69
	s_waitcnt vmcnt(42)
	ds_write2_b64 v209, v[32:33], v[34:35] offset0:70 offset1:71
	;; [unrolled: 2-line block ×11, first 2 shown]
	ds_read2_b64 v[180:183], v208 offset1:1
	s_waitcnt lgkmcnt(0)
	v_cmp_neq_f64_e32 vcc, 0, v[180:181]
	v_cmp_neq_f64_e64 s[2:3], 0, v[182:183]
	s_or_b64 s[2:3], vcc, s[2:3]
	s_and_b64 exec, exec, s[2:3]
	s_cbranch_execz .LBB89_305
; %bb.300:
	v_cmp_ngt_f64_e64 s[2:3], |v[180:181]|, |v[182:183]|
                                        ; implicit-def: $vgpr184_vgpr185
	s_and_saveexec_b64 s[10:11], s[2:3]
	s_xor_b64 s[2:3], exec, s[10:11]
                                        ; implicit-def: $vgpr186_vgpr187
	s_cbranch_execz .LBB89_302
; %bb.301:
	v_div_scale_f64 v[184:185], s[10:11], v[182:183], v[182:183], v[180:181]
	v_rcp_f64_e32 v[186:187], v[184:185]
	v_div_scale_f64 v[188:189], vcc, v[180:181], v[182:183], v[180:181]
	v_fma_f64 v[190:191], -v[184:185], v[186:187], 1.0
	v_fmac_f64_e32 v[186:187], v[186:187], v[190:191]
	v_fma_f64 v[190:191], -v[184:185], v[186:187], 1.0
	v_fmac_f64_e32 v[186:187], v[186:187], v[190:191]
	v_mul_f64 v[190:191], v[188:189], v[186:187]
	v_fma_f64 v[184:185], -v[184:185], v[190:191], v[188:189]
	v_div_fmas_f64 v[184:185], v[184:185], v[186:187], v[190:191]
	v_div_fixup_f64 v[184:185], v[184:185], v[182:183], v[180:181]
	v_fmac_f64_e32 v[182:183], v[180:181], v[184:185]
	v_div_scale_f64 v[180:181], s[10:11], v[182:183], v[182:183], 1.0
	v_rcp_f64_e32 v[186:187], v[180:181]
	s_nop 0
	v_fma_f64 v[188:189], -v[180:181], v[186:187], 1.0
	v_fmac_f64_e32 v[186:187], v[186:187], v[188:189]
	v_fma_f64 v[188:189], -v[180:181], v[186:187], 1.0
	v_fmac_f64_e32 v[186:187], v[186:187], v[188:189]
	v_div_scale_f64 v[188:189], vcc, 1.0, v[182:183], 1.0
	v_mul_f64 v[190:191], v[188:189], v[186:187]
	v_fma_f64 v[180:181], -v[180:181], v[190:191], v[188:189]
	s_nop 1
	v_div_fmas_f64 v[180:181], v[180:181], v[186:187], v[190:191]
	v_div_fixup_f64 v[186:187], v[180:181], v[182:183], 1.0
	v_mul_f64 v[184:185], v[184:185], v[186:187]
	v_xor_b32_e32 v187, 0x80000000, v187
                                        ; implicit-def: $vgpr180_vgpr181
.LBB89_302:
	s_andn2_saveexec_b64 s[2:3], s[2:3]
	s_cbranch_execz .LBB89_304
; %bb.303:
	v_div_scale_f64 v[184:185], s[10:11], v[180:181], v[180:181], v[182:183]
	v_rcp_f64_e32 v[186:187], v[184:185]
	v_div_scale_f64 v[188:189], vcc, v[182:183], v[180:181], v[182:183]
	v_fma_f64 v[190:191], -v[184:185], v[186:187], 1.0
	v_fmac_f64_e32 v[186:187], v[186:187], v[190:191]
	v_fma_f64 v[190:191], -v[184:185], v[186:187], 1.0
	v_fmac_f64_e32 v[186:187], v[186:187], v[190:191]
	v_mul_f64 v[190:191], v[188:189], v[186:187]
	v_fma_f64 v[184:185], -v[184:185], v[190:191], v[188:189]
	v_div_fmas_f64 v[184:185], v[184:185], v[186:187], v[190:191]
	v_div_fixup_f64 v[186:187], v[184:185], v[180:181], v[182:183]
	v_fmac_f64_e32 v[180:181], v[182:183], v[186:187]
	v_div_scale_f64 v[182:183], s[10:11], v[180:181], v[180:181], 1.0
	v_rcp_f64_e32 v[184:185], v[182:183]
	s_nop 0
	v_fma_f64 v[188:189], -v[182:183], v[184:185], 1.0
	v_fmac_f64_e32 v[184:185], v[184:185], v[188:189]
	v_fma_f64 v[188:189], -v[182:183], v[184:185], 1.0
	v_fmac_f64_e32 v[184:185], v[184:185], v[188:189]
	v_div_scale_f64 v[188:189], vcc, 1.0, v[180:181], 1.0
	v_mul_f64 v[190:191], v[188:189], v[184:185]
	v_fma_f64 v[182:183], -v[182:183], v[190:191], v[188:189]
	s_nop 1
	v_div_fmas_f64 v[182:183], v[182:183], v[184:185], v[190:191]
	v_div_fixup_f64 v[184:185], v[182:183], v[180:181], 1.0
	v_mul_f64 v[186:187], v[186:187], -v[184:185]
.LBB89_304:
	s_or_b64 exec, exec, s[2:3]
	ds_write2_b64 v208, v[184:185], v[186:187] offset1:1
.LBB89_305:
	s_or_b64 exec, exec, s[4:5]
	s_waitcnt lgkmcnt(0)
	s_barrier
	ds_read2_b64 v[180:183], v208 offset1:1
	v_cmp_lt_u32_e32 vcc, 33, v210
	s_waitcnt lgkmcnt(0)
	scratch_store_dwordx4 off, v[180:183], off offset:736 ; 16-byte Folded Spill
	s_and_saveexec_b64 s[2:3], vcc
	s_cbranch_execz .LBB89_307
; %bb.306:
	scratch_load_dwordx4 v[182:185], off, off offset:736 ; 16-byte Folded Reload
	s_waitcnt vmcnt(0)
	v_mul_f64 v[180:181], v[182:183], v[42:43]
	v_mul_f64 v[42:43], v[184:185], v[42:43]
	v_fmac_f64_e32 v[180:181], v[184:185], v[40:41]
	v_fma_f64 v[40:41], v[182:183], v[40:41], -v[42:43]
	ds_read2_b64 v[182:185], v209 offset0:68 offset1:69
	s_waitcnt lgkmcnt(0)
	v_mul_f64 v[42:43], v[184:185], v[180:181]
	v_fma_f64 v[42:43], v[182:183], v[40:41], -v[42:43]
	v_mul_f64 v[182:183], v[182:183], v[180:181]
	v_fmac_f64_e32 v[182:183], v[184:185], v[40:41]
	v_add_f64 v[38:39], v[38:39], -v[182:183]
	ds_read2_b64 v[182:185], v209 offset0:70 offset1:71
	v_add_f64 v[36:37], v[36:37], -v[42:43]
	s_waitcnt lgkmcnt(0)
	v_mul_f64 v[42:43], v[184:185], v[180:181]
	v_fma_f64 v[42:43], v[182:183], v[40:41], -v[42:43]
	v_mul_f64 v[182:183], v[182:183], v[180:181]
	v_fmac_f64_e32 v[182:183], v[184:185], v[40:41]
	v_add_f64 v[34:35], v[34:35], -v[182:183]
	ds_read2_b64 v[182:185], v209 offset0:72 offset1:73
	v_add_f64 v[32:33], v[32:33], -v[42:43]
	s_waitcnt lgkmcnt(0)
	v_mul_f64 v[42:43], v[184:185], v[180:181]
	v_fma_f64 v[42:43], v[182:183], v[40:41], -v[42:43]
	v_mul_f64 v[182:183], v[182:183], v[180:181]
	v_fmac_f64_e32 v[182:183], v[184:185], v[40:41]
	v_add_f64 v[30:31], v[30:31], -v[182:183]
	ds_read2_b64 v[182:185], v209 offset0:74 offset1:75
	v_add_f64 v[28:29], v[28:29], -v[42:43]
	s_waitcnt lgkmcnt(0)
	v_mul_f64 v[42:43], v[184:185], v[180:181]
	v_fma_f64 v[42:43], v[182:183], v[40:41], -v[42:43]
	v_mul_f64 v[182:183], v[182:183], v[180:181]
	v_fmac_f64_e32 v[182:183], v[184:185], v[40:41]
	v_add_f64 v[26:27], v[26:27], -v[182:183]
	ds_read2_b64 v[182:185], v209 offset0:76 offset1:77
	v_add_f64 v[24:25], v[24:25], -v[42:43]
	s_waitcnt lgkmcnt(0)
	v_mul_f64 v[42:43], v[184:185], v[180:181]
	v_fma_f64 v[42:43], v[182:183], v[40:41], -v[42:43]
	v_mul_f64 v[182:183], v[182:183], v[180:181]
	v_fmac_f64_e32 v[182:183], v[184:185], v[40:41]
	v_add_f64 v[22:23], v[22:23], -v[182:183]
	ds_read2_b64 v[182:185], v209 offset0:78 offset1:79
	v_add_f64 v[20:21], v[20:21], -v[42:43]
	s_waitcnt lgkmcnt(0)
	v_mul_f64 v[42:43], v[184:185], v[180:181]
	v_fma_f64 v[42:43], v[182:183], v[40:41], -v[42:43]
	v_mul_f64 v[182:183], v[182:183], v[180:181]
	v_fmac_f64_e32 v[182:183], v[184:185], v[40:41]
	v_add_f64 v[18:19], v[18:19], -v[182:183]
	ds_read2_b64 v[182:185], v209 offset0:80 offset1:81
	v_add_f64 v[16:17], v[16:17], -v[42:43]
	s_waitcnt lgkmcnt(0)
	v_mul_f64 v[42:43], v[184:185], v[180:181]
	v_fma_f64 v[42:43], v[182:183], v[40:41], -v[42:43]
	v_mul_f64 v[182:183], v[182:183], v[180:181]
	v_fmac_f64_e32 v[182:183], v[184:185], v[40:41]
	v_add_f64 v[14:15], v[14:15], -v[182:183]
	ds_read2_b64 v[182:185], v209 offset0:82 offset1:83
	v_add_f64 v[12:13], v[12:13], -v[42:43]
	s_waitcnt lgkmcnt(0)
	v_mul_f64 v[42:43], v[184:185], v[180:181]
	v_fma_f64 v[42:43], v[182:183], v[40:41], -v[42:43]
	v_mul_f64 v[182:183], v[182:183], v[180:181]
	v_fmac_f64_e32 v[182:183], v[184:185], v[40:41]
	v_add_f64 v[10:11], v[10:11], -v[182:183]
	ds_read2_b64 v[182:185], v209 offset0:84 offset1:85
	v_add_f64 v[8:9], v[8:9], -v[42:43]
	s_waitcnt lgkmcnt(0)
	v_mul_f64 v[42:43], v[184:185], v[180:181]
	v_fma_f64 v[42:43], v[182:183], v[40:41], -v[42:43]
	v_mul_f64 v[182:183], v[182:183], v[180:181]
	v_fmac_f64_e32 v[182:183], v[184:185], v[40:41]
	v_add_f64 v[6:7], v[6:7], -v[182:183]
	ds_read2_b64 v[182:185], v209 offset0:86 offset1:87
	v_add_f64 v[4:5], v[4:5], -v[42:43]
	s_waitcnt lgkmcnt(0)
	v_mul_f64 v[42:43], v[184:185], v[180:181]
	v_fma_f64 v[42:43], v[182:183], v[40:41], -v[42:43]
	v_mul_f64 v[182:183], v[182:183], v[180:181]
	v_fmac_f64_e32 v[182:183], v[184:185], v[40:41]
	v_add_f64 v[2:3], v[2:3], -v[182:183]
	ds_read2_b64 v[182:185], v209 offset0:88 offset1:89
	v_add_f64 v[0:1], v[0:1], -v[42:43]
	s_waitcnt lgkmcnt(0)
	v_mul_f64 v[42:43], v[184:185], v[180:181]
	v_fma_f64 v[42:43], v[182:183], v[40:41], -v[42:43]
	v_mul_f64 v[182:183], v[182:183], v[180:181]
	v_fmac_f64_e32 v[182:183], v[184:185], v[40:41]
	v_add_f64 v[176:177], v[176:177], -v[42:43]
	v_add_f64 v[178:179], v[178:179], -v[182:183]
	v_mov_b64_e32 v[42:43], v[180:181]
.LBB89_307:
	s_or_b64 exec, exec, s[2:3]
	v_cmp_eq_u32_e32 vcc, 34, v210
	s_waitcnt vmcnt(63) expcnt(7) lgkmcnt(15)
	s_barrier
	s_and_saveexec_b64 s[4:5], vcc
	s_cbranch_execz .LBB89_314
; %bb.308:
	s_waitcnt vmcnt(44)
	ds_write2_b64 v208, v[36:37], v[38:39] offset1:1
	s_waitcnt vmcnt(43)
	ds_write2_b64 v209, v[32:33], v[34:35] offset0:70 offset1:71
	s_waitcnt vmcnt(42)
	ds_write2_b64 v209, v[28:29], v[30:31] offset0:72 offset1:73
	;; [unrolled: 2-line block ×10, first 2 shown]
	ds_read2_b64 v[180:183], v208 offset1:1
	s_waitcnt lgkmcnt(0)
	v_cmp_neq_f64_e32 vcc, 0, v[180:181]
	v_cmp_neq_f64_e64 s[2:3], 0, v[182:183]
	s_or_b64 s[2:3], vcc, s[2:3]
	s_and_b64 exec, exec, s[2:3]
	s_cbranch_execz .LBB89_314
; %bb.309:
	v_cmp_ngt_f64_e64 s[2:3], |v[180:181]|, |v[182:183]|
                                        ; implicit-def: $vgpr184_vgpr185
	s_and_saveexec_b64 s[10:11], s[2:3]
	s_xor_b64 s[2:3], exec, s[10:11]
                                        ; implicit-def: $vgpr186_vgpr187
	s_cbranch_execz .LBB89_311
; %bb.310:
	v_div_scale_f64 v[184:185], s[10:11], v[182:183], v[182:183], v[180:181]
	v_rcp_f64_e32 v[186:187], v[184:185]
	v_div_scale_f64 v[188:189], vcc, v[180:181], v[182:183], v[180:181]
	v_fma_f64 v[190:191], -v[184:185], v[186:187], 1.0
	v_fmac_f64_e32 v[186:187], v[186:187], v[190:191]
	v_fma_f64 v[190:191], -v[184:185], v[186:187], 1.0
	v_fmac_f64_e32 v[186:187], v[186:187], v[190:191]
	v_mul_f64 v[190:191], v[188:189], v[186:187]
	v_fma_f64 v[184:185], -v[184:185], v[190:191], v[188:189]
	v_div_fmas_f64 v[184:185], v[184:185], v[186:187], v[190:191]
	v_div_fixup_f64 v[184:185], v[184:185], v[182:183], v[180:181]
	v_fmac_f64_e32 v[182:183], v[180:181], v[184:185]
	v_div_scale_f64 v[180:181], s[10:11], v[182:183], v[182:183], 1.0
	v_rcp_f64_e32 v[186:187], v[180:181]
	s_nop 0
	v_fma_f64 v[188:189], -v[180:181], v[186:187], 1.0
	v_fmac_f64_e32 v[186:187], v[186:187], v[188:189]
	v_fma_f64 v[188:189], -v[180:181], v[186:187], 1.0
	v_fmac_f64_e32 v[186:187], v[186:187], v[188:189]
	v_div_scale_f64 v[188:189], vcc, 1.0, v[182:183], 1.0
	v_mul_f64 v[190:191], v[188:189], v[186:187]
	v_fma_f64 v[180:181], -v[180:181], v[190:191], v[188:189]
	s_nop 1
	v_div_fmas_f64 v[180:181], v[180:181], v[186:187], v[190:191]
	v_div_fixup_f64 v[186:187], v[180:181], v[182:183], 1.0
	v_mul_f64 v[184:185], v[184:185], v[186:187]
	v_xor_b32_e32 v187, 0x80000000, v187
                                        ; implicit-def: $vgpr180_vgpr181
.LBB89_311:
	s_andn2_saveexec_b64 s[2:3], s[2:3]
	s_cbranch_execz .LBB89_313
; %bb.312:
	v_div_scale_f64 v[184:185], s[10:11], v[180:181], v[180:181], v[182:183]
	v_rcp_f64_e32 v[186:187], v[184:185]
	v_div_scale_f64 v[188:189], vcc, v[182:183], v[180:181], v[182:183]
	v_fma_f64 v[190:191], -v[184:185], v[186:187], 1.0
	v_fmac_f64_e32 v[186:187], v[186:187], v[190:191]
	v_fma_f64 v[190:191], -v[184:185], v[186:187], 1.0
	v_fmac_f64_e32 v[186:187], v[186:187], v[190:191]
	v_mul_f64 v[190:191], v[188:189], v[186:187]
	v_fma_f64 v[184:185], -v[184:185], v[190:191], v[188:189]
	v_div_fmas_f64 v[184:185], v[184:185], v[186:187], v[190:191]
	v_div_fixup_f64 v[186:187], v[184:185], v[180:181], v[182:183]
	v_fmac_f64_e32 v[180:181], v[182:183], v[186:187]
	v_div_scale_f64 v[182:183], s[10:11], v[180:181], v[180:181], 1.0
	v_rcp_f64_e32 v[184:185], v[182:183]
	s_nop 0
	v_fma_f64 v[188:189], -v[182:183], v[184:185], 1.0
	v_fmac_f64_e32 v[184:185], v[184:185], v[188:189]
	v_fma_f64 v[188:189], -v[182:183], v[184:185], 1.0
	v_fmac_f64_e32 v[184:185], v[184:185], v[188:189]
	v_div_scale_f64 v[188:189], vcc, 1.0, v[180:181], 1.0
	v_mul_f64 v[190:191], v[188:189], v[184:185]
	v_fma_f64 v[182:183], -v[182:183], v[190:191], v[188:189]
	s_nop 1
	v_div_fmas_f64 v[182:183], v[182:183], v[184:185], v[190:191]
	v_div_fixup_f64 v[184:185], v[182:183], v[180:181], 1.0
	v_mul_f64 v[186:187], v[186:187], -v[184:185]
.LBB89_313:
	s_or_b64 exec, exec, s[2:3]
	ds_write2_b64 v208, v[184:185], v[186:187] offset1:1
.LBB89_314:
	s_or_b64 exec, exec, s[4:5]
	s_waitcnt lgkmcnt(0)
	s_barrier
	ds_read2_b64 v[180:183], v208 offset1:1
	v_cmp_lt_u32_e32 vcc, 34, v210
	s_waitcnt lgkmcnt(0)
	scratch_store_dwordx4 off, v[180:183], off offset:752 ; 16-byte Folded Spill
	s_and_saveexec_b64 s[2:3], vcc
	s_cbranch_execz .LBB89_316
; %bb.315:
	scratch_load_dwordx4 v[182:185], off, off offset:752 ; 16-byte Folded Reload
	s_waitcnt vmcnt(0)
	v_mul_f64 v[180:181], v[182:183], v[38:39]
	v_mul_f64 v[38:39], v[184:185], v[38:39]
	v_fmac_f64_e32 v[180:181], v[184:185], v[36:37]
	v_fma_f64 v[36:37], v[182:183], v[36:37], -v[38:39]
	ds_read2_b64 v[182:185], v209 offset0:70 offset1:71
	s_waitcnt lgkmcnt(0)
	v_mul_f64 v[38:39], v[184:185], v[180:181]
	v_fma_f64 v[38:39], v[182:183], v[36:37], -v[38:39]
	v_mul_f64 v[182:183], v[182:183], v[180:181]
	v_fmac_f64_e32 v[182:183], v[184:185], v[36:37]
	v_add_f64 v[34:35], v[34:35], -v[182:183]
	ds_read2_b64 v[182:185], v209 offset0:72 offset1:73
	v_add_f64 v[32:33], v[32:33], -v[38:39]
	s_waitcnt lgkmcnt(0)
	v_mul_f64 v[38:39], v[184:185], v[180:181]
	v_fma_f64 v[38:39], v[182:183], v[36:37], -v[38:39]
	v_mul_f64 v[182:183], v[182:183], v[180:181]
	v_fmac_f64_e32 v[182:183], v[184:185], v[36:37]
	v_add_f64 v[30:31], v[30:31], -v[182:183]
	ds_read2_b64 v[182:185], v209 offset0:74 offset1:75
	v_add_f64 v[28:29], v[28:29], -v[38:39]
	;; [unrolled: 8-line block ×9, first 2 shown]
	s_waitcnt lgkmcnt(0)
	v_mul_f64 v[38:39], v[184:185], v[180:181]
	v_fma_f64 v[38:39], v[182:183], v[36:37], -v[38:39]
	v_mul_f64 v[182:183], v[182:183], v[180:181]
	v_fmac_f64_e32 v[182:183], v[184:185], v[36:37]
	v_add_f64 v[176:177], v[176:177], -v[38:39]
	v_add_f64 v[178:179], v[178:179], -v[182:183]
	v_mov_b64_e32 v[38:39], v[180:181]
.LBB89_316:
	s_or_b64 exec, exec, s[2:3]
	v_cmp_eq_u32_e32 vcc, 35, v210
	s_waitcnt vmcnt(63) expcnt(7) lgkmcnt(15)
	s_barrier
	s_and_saveexec_b64 s[4:5], vcc
	s_cbranch_execz .LBB89_323
; %bb.317:
	s_waitcnt vmcnt(44)
	ds_write2_b64 v208, v[32:33], v[34:35] offset1:1
	s_waitcnt vmcnt(43)
	ds_write2_b64 v209, v[28:29], v[30:31] offset0:72 offset1:73
	s_waitcnt vmcnt(42)
	ds_write2_b64 v209, v[24:25], v[26:27] offset0:74 offset1:75
	;; [unrolled: 2-line block ×9, first 2 shown]
	ds_read2_b64 v[180:183], v208 offset1:1
	s_waitcnt lgkmcnt(0)
	v_cmp_neq_f64_e32 vcc, 0, v[180:181]
	v_cmp_neq_f64_e64 s[2:3], 0, v[182:183]
	s_or_b64 s[2:3], vcc, s[2:3]
	s_and_b64 exec, exec, s[2:3]
	s_cbranch_execz .LBB89_323
; %bb.318:
	v_cmp_ngt_f64_e64 s[2:3], |v[180:181]|, |v[182:183]|
                                        ; implicit-def: $vgpr184_vgpr185
	s_and_saveexec_b64 s[10:11], s[2:3]
	s_xor_b64 s[2:3], exec, s[10:11]
                                        ; implicit-def: $vgpr186_vgpr187
	s_cbranch_execz .LBB89_320
; %bb.319:
	v_div_scale_f64 v[184:185], s[10:11], v[182:183], v[182:183], v[180:181]
	v_rcp_f64_e32 v[186:187], v[184:185]
	v_div_scale_f64 v[188:189], vcc, v[180:181], v[182:183], v[180:181]
	v_fma_f64 v[190:191], -v[184:185], v[186:187], 1.0
	v_fmac_f64_e32 v[186:187], v[186:187], v[190:191]
	v_fma_f64 v[190:191], -v[184:185], v[186:187], 1.0
	v_fmac_f64_e32 v[186:187], v[186:187], v[190:191]
	v_mul_f64 v[190:191], v[188:189], v[186:187]
	v_fma_f64 v[184:185], -v[184:185], v[190:191], v[188:189]
	v_div_fmas_f64 v[184:185], v[184:185], v[186:187], v[190:191]
	v_div_fixup_f64 v[184:185], v[184:185], v[182:183], v[180:181]
	v_fmac_f64_e32 v[182:183], v[180:181], v[184:185]
	v_div_scale_f64 v[180:181], s[10:11], v[182:183], v[182:183], 1.0
	v_rcp_f64_e32 v[186:187], v[180:181]
	s_nop 0
	v_fma_f64 v[188:189], -v[180:181], v[186:187], 1.0
	v_fmac_f64_e32 v[186:187], v[186:187], v[188:189]
	v_fma_f64 v[188:189], -v[180:181], v[186:187], 1.0
	v_fmac_f64_e32 v[186:187], v[186:187], v[188:189]
	v_div_scale_f64 v[188:189], vcc, 1.0, v[182:183], 1.0
	v_mul_f64 v[190:191], v[188:189], v[186:187]
	v_fma_f64 v[180:181], -v[180:181], v[190:191], v[188:189]
	s_nop 1
	v_div_fmas_f64 v[180:181], v[180:181], v[186:187], v[190:191]
	v_div_fixup_f64 v[186:187], v[180:181], v[182:183], 1.0
	v_mul_f64 v[184:185], v[184:185], v[186:187]
	v_xor_b32_e32 v187, 0x80000000, v187
                                        ; implicit-def: $vgpr180_vgpr181
.LBB89_320:
	s_andn2_saveexec_b64 s[2:3], s[2:3]
	s_cbranch_execz .LBB89_322
; %bb.321:
	v_div_scale_f64 v[184:185], s[10:11], v[180:181], v[180:181], v[182:183]
	v_rcp_f64_e32 v[186:187], v[184:185]
	v_div_scale_f64 v[188:189], vcc, v[182:183], v[180:181], v[182:183]
	v_fma_f64 v[190:191], -v[184:185], v[186:187], 1.0
	v_fmac_f64_e32 v[186:187], v[186:187], v[190:191]
	v_fma_f64 v[190:191], -v[184:185], v[186:187], 1.0
	v_fmac_f64_e32 v[186:187], v[186:187], v[190:191]
	v_mul_f64 v[190:191], v[188:189], v[186:187]
	v_fma_f64 v[184:185], -v[184:185], v[190:191], v[188:189]
	v_div_fmas_f64 v[184:185], v[184:185], v[186:187], v[190:191]
	v_div_fixup_f64 v[186:187], v[184:185], v[180:181], v[182:183]
	v_fmac_f64_e32 v[180:181], v[182:183], v[186:187]
	v_div_scale_f64 v[182:183], s[10:11], v[180:181], v[180:181], 1.0
	v_rcp_f64_e32 v[184:185], v[182:183]
	s_nop 0
	v_fma_f64 v[188:189], -v[182:183], v[184:185], 1.0
	v_fmac_f64_e32 v[184:185], v[184:185], v[188:189]
	v_fma_f64 v[188:189], -v[182:183], v[184:185], 1.0
	v_fmac_f64_e32 v[184:185], v[184:185], v[188:189]
	v_div_scale_f64 v[188:189], vcc, 1.0, v[180:181], 1.0
	v_mul_f64 v[190:191], v[188:189], v[184:185]
	v_fma_f64 v[182:183], -v[182:183], v[190:191], v[188:189]
	s_nop 1
	v_div_fmas_f64 v[182:183], v[182:183], v[184:185], v[190:191]
	v_div_fixup_f64 v[184:185], v[182:183], v[180:181], 1.0
	v_mul_f64 v[186:187], v[186:187], -v[184:185]
.LBB89_322:
	s_or_b64 exec, exec, s[2:3]
	ds_write2_b64 v208, v[184:185], v[186:187] offset1:1
.LBB89_323:
	s_or_b64 exec, exec, s[4:5]
	s_waitcnt lgkmcnt(0)
	s_barrier
	ds_read2_b64 v[180:183], v208 offset1:1
	v_cmp_lt_u32_e32 vcc, 35, v210
	s_waitcnt lgkmcnt(0)
	scratch_store_dwordx4 off, v[180:183], off offset:768 ; 16-byte Folded Spill
	s_and_saveexec_b64 s[2:3], vcc
	s_cbranch_execz .LBB89_325
; %bb.324:
	scratch_load_dwordx4 v[182:185], off, off offset:768 ; 16-byte Folded Reload
	s_waitcnt vmcnt(0)
	v_mul_f64 v[180:181], v[182:183], v[34:35]
	v_mul_f64 v[34:35], v[184:185], v[34:35]
	v_fmac_f64_e32 v[180:181], v[184:185], v[32:33]
	v_fma_f64 v[32:33], v[182:183], v[32:33], -v[34:35]
	ds_read2_b64 v[182:185], v209 offset0:72 offset1:73
	s_waitcnt lgkmcnt(0)
	v_mul_f64 v[34:35], v[184:185], v[180:181]
	v_fma_f64 v[34:35], v[182:183], v[32:33], -v[34:35]
	v_mul_f64 v[182:183], v[182:183], v[180:181]
	v_fmac_f64_e32 v[182:183], v[184:185], v[32:33]
	v_add_f64 v[30:31], v[30:31], -v[182:183]
	ds_read2_b64 v[182:185], v209 offset0:74 offset1:75
	v_add_f64 v[28:29], v[28:29], -v[34:35]
	s_waitcnt lgkmcnt(0)
	v_mul_f64 v[34:35], v[184:185], v[180:181]
	v_fma_f64 v[34:35], v[182:183], v[32:33], -v[34:35]
	v_mul_f64 v[182:183], v[182:183], v[180:181]
	v_fmac_f64_e32 v[182:183], v[184:185], v[32:33]
	v_add_f64 v[26:27], v[26:27], -v[182:183]
	ds_read2_b64 v[182:185], v209 offset0:76 offset1:77
	v_add_f64 v[24:25], v[24:25], -v[34:35]
	;; [unrolled: 8-line block ×8, first 2 shown]
	s_waitcnt lgkmcnt(0)
	v_mul_f64 v[34:35], v[184:185], v[180:181]
	v_fma_f64 v[34:35], v[182:183], v[32:33], -v[34:35]
	v_mul_f64 v[182:183], v[182:183], v[180:181]
	v_fmac_f64_e32 v[182:183], v[184:185], v[32:33]
	v_add_f64 v[176:177], v[176:177], -v[34:35]
	v_add_f64 v[178:179], v[178:179], -v[182:183]
	v_mov_b64_e32 v[34:35], v[180:181]
.LBB89_325:
	s_or_b64 exec, exec, s[2:3]
	v_cmp_eq_u32_e32 vcc, 36, v210
	s_waitcnt vmcnt(63) expcnt(7) lgkmcnt(15)
	s_barrier
	s_and_saveexec_b64 s[4:5], vcc
	s_cbranch_execz .LBB89_332
; %bb.326:
	s_waitcnt vmcnt(44)
	ds_write2_b64 v208, v[28:29], v[30:31] offset1:1
	s_waitcnt vmcnt(43)
	ds_write2_b64 v209, v[24:25], v[26:27] offset0:74 offset1:75
	s_waitcnt vmcnt(42)
	ds_write2_b64 v209, v[20:21], v[22:23] offset0:76 offset1:77
	;; [unrolled: 2-line block ×8, first 2 shown]
	ds_read2_b64 v[180:183], v208 offset1:1
	s_waitcnt lgkmcnt(0)
	v_cmp_neq_f64_e32 vcc, 0, v[180:181]
	v_cmp_neq_f64_e64 s[2:3], 0, v[182:183]
	s_or_b64 s[2:3], vcc, s[2:3]
	s_and_b64 exec, exec, s[2:3]
	s_cbranch_execz .LBB89_332
; %bb.327:
	v_cmp_ngt_f64_e64 s[2:3], |v[180:181]|, |v[182:183]|
                                        ; implicit-def: $vgpr184_vgpr185
	s_and_saveexec_b64 s[10:11], s[2:3]
	s_xor_b64 s[2:3], exec, s[10:11]
                                        ; implicit-def: $vgpr186_vgpr187
	s_cbranch_execz .LBB89_329
; %bb.328:
	v_div_scale_f64 v[184:185], s[10:11], v[182:183], v[182:183], v[180:181]
	v_rcp_f64_e32 v[186:187], v[184:185]
	v_div_scale_f64 v[188:189], vcc, v[180:181], v[182:183], v[180:181]
	v_fma_f64 v[190:191], -v[184:185], v[186:187], 1.0
	v_fmac_f64_e32 v[186:187], v[186:187], v[190:191]
	v_fma_f64 v[190:191], -v[184:185], v[186:187], 1.0
	v_fmac_f64_e32 v[186:187], v[186:187], v[190:191]
	v_mul_f64 v[190:191], v[188:189], v[186:187]
	v_fma_f64 v[184:185], -v[184:185], v[190:191], v[188:189]
	v_div_fmas_f64 v[184:185], v[184:185], v[186:187], v[190:191]
	v_div_fixup_f64 v[184:185], v[184:185], v[182:183], v[180:181]
	v_fmac_f64_e32 v[182:183], v[180:181], v[184:185]
	v_div_scale_f64 v[180:181], s[10:11], v[182:183], v[182:183], 1.0
	v_rcp_f64_e32 v[186:187], v[180:181]
	s_nop 0
	v_fma_f64 v[188:189], -v[180:181], v[186:187], 1.0
	v_fmac_f64_e32 v[186:187], v[186:187], v[188:189]
	v_fma_f64 v[188:189], -v[180:181], v[186:187], 1.0
	v_fmac_f64_e32 v[186:187], v[186:187], v[188:189]
	v_div_scale_f64 v[188:189], vcc, 1.0, v[182:183], 1.0
	v_mul_f64 v[190:191], v[188:189], v[186:187]
	v_fma_f64 v[180:181], -v[180:181], v[190:191], v[188:189]
	s_nop 1
	v_div_fmas_f64 v[180:181], v[180:181], v[186:187], v[190:191]
	v_div_fixup_f64 v[186:187], v[180:181], v[182:183], 1.0
	v_mul_f64 v[184:185], v[184:185], v[186:187]
	v_xor_b32_e32 v187, 0x80000000, v187
                                        ; implicit-def: $vgpr180_vgpr181
.LBB89_329:
	s_andn2_saveexec_b64 s[2:3], s[2:3]
	s_cbranch_execz .LBB89_331
; %bb.330:
	v_div_scale_f64 v[184:185], s[10:11], v[180:181], v[180:181], v[182:183]
	v_rcp_f64_e32 v[186:187], v[184:185]
	v_div_scale_f64 v[188:189], vcc, v[182:183], v[180:181], v[182:183]
	v_fma_f64 v[190:191], -v[184:185], v[186:187], 1.0
	v_fmac_f64_e32 v[186:187], v[186:187], v[190:191]
	v_fma_f64 v[190:191], -v[184:185], v[186:187], 1.0
	v_fmac_f64_e32 v[186:187], v[186:187], v[190:191]
	v_mul_f64 v[190:191], v[188:189], v[186:187]
	v_fma_f64 v[184:185], -v[184:185], v[190:191], v[188:189]
	v_div_fmas_f64 v[184:185], v[184:185], v[186:187], v[190:191]
	v_div_fixup_f64 v[186:187], v[184:185], v[180:181], v[182:183]
	v_fmac_f64_e32 v[180:181], v[182:183], v[186:187]
	v_div_scale_f64 v[182:183], s[10:11], v[180:181], v[180:181], 1.0
	v_rcp_f64_e32 v[184:185], v[182:183]
	s_nop 0
	v_fma_f64 v[188:189], -v[182:183], v[184:185], 1.0
	v_fmac_f64_e32 v[184:185], v[184:185], v[188:189]
	v_fma_f64 v[188:189], -v[182:183], v[184:185], 1.0
	v_fmac_f64_e32 v[184:185], v[184:185], v[188:189]
	v_div_scale_f64 v[188:189], vcc, 1.0, v[180:181], 1.0
	v_mul_f64 v[190:191], v[188:189], v[184:185]
	v_fma_f64 v[182:183], -v[182:183], v[190:191], v[188:189]
	s_nop 1
	v_div_fmas_f64 v[182:183], v[182:183], v[184:185], v[190:191]
	v_div_fixup_f64 v[184:185], v[182:183], v[180:181], 1.0
	v_mul_f64 v[186:187], v[186:187], -v[184:185]
.LBB89_331:
	s_or_b64 exec, exec, s[2:3]
	ds_write2_b64 v208, v[184:185], v[186:187] offset1:1
.LBB89_332:
	s_or_b64 exec, exec, s[4:5]
	s_waitcnt lgkmcnt(0)
	s_barrier
	ds_read2_b64 v[180:183], v208 offset1:1
	v_cmp_lt_u32_e32 vcc, 36, v210
	s_waitcnt lgkmcnt(0)
	scratch_store_dwordx4 off, v[180:183], off offset:784 ; 16-byte Folded Spill
	s_and_saveexec_b64 s[2:3], vcc
	s_cbranch_execz .LBB89_334
; %bb.333:
	scratch_load_dwordx4 v[182:185], off, off offset:784 ; 16-byte Folded Reload
	s_waitcnt vmcnt(0)
	v_mul_f64 v[180:181], v[182:183], v[30:31]
	v_mul_f64 v[30:31], v[184:185], v[30:31]
	v_fmac_f64_e32 v[180:181], v[184:185], v[28:29]
	v_fma_f64 v[28:29], v[182:183], v[28:29], -v[30:31]
	ds_read2_b64 v[182:185], v209 offset0:74 offset1:75
	s_waitcnt lgkmcnt(0)
	v_mul_f64 v[30:31], v[184:185], v[180:181]
	v_fma_f64 v[30:31], v[182:183], v[28:29], -v[30:31]
	v_mul_f64 v[182:183], v[182:183], v[180:181]
	v_fmac_f64_e32 v[182:183], v[184:185], v[28:29]
	v_add_f64 v[26:27], v[26:27], -v[182:183]
	ds_read2_b64 v[182:185], v209 offset0:76 offset1:77
	v_add_f64 v[24:25], v[24:25], -v[30:31]
	s_waitcnt lgkmcnt(0)
	v_mul_f64 v[30:31], v[184:185], v[180:181]
	v_fma_f64 v[30:31], v[182:183], v[28:29], -v[30:31]
	v_mul_f64 v[182:183], v[182:183], v[180:181]
	v_fmac_f64_e32 v[182:183], v[184:185], v[28:29]
	v_add_f64 v[22:23], v[22:23], -v[182:183]
	ds_read2_b64 v[182:185], v209 offset0:78 offset1:79
	v_add_f64 v[20:21], v[20:21], -v[30:31]
	;; [unrolled: 8-line block ×7, first 2 shown]
	s_waitcnt lgkmcnt(0)
	v_mul_f64 v[30:31], v[184:185], v[180:181]
	v_fma_f64 v[30:31], v[182:183], v[28:29], -v[30:31]
	v_mul_f64 v[182:183], v[182:183], v[180:181]
	v_fmac_f64_e32 v[182:183], v[184:185], v[28:29]
	v_add_f64 v[176:177], v[176:177], -v[30:31]
	v_add_f64 v[178:179], v[178:179], -v[182:183]
	v_mov_b64_e32 v[30:31], v[180:181]
.LBB89_334:
	s_or_b64 exec, exec, s[2:3]
	v_cmp_eq_u32_e32 vcc, 37, v210
	s_waitcnt vmcnt(63) expcnt(7) lgkmcnt(15)
	s_barrier
	s_and_saveexec_b64 s[4:5], vcc
	s_cbranch_execz .LBB89_341
; %bb.335:
	s_waitcnt vmcnt(44)
	ds_write2_b64 v208, v[24:25], v[26:27] offset1:1
	s_waitcnt vmcnt(43)
	ds_write2_b64 v209, v[20:21], v[22:23] offset0:76 offset1:77
	s_waitcnt vmcnt(42)
	ds_write2_b64 v209, v[16:17], v[18:19] offset0:78 offset1:79
	;; [unrolled: 2-line block ×7, first 2 shown]
	ds_read2_b64 v[180:183], v208 offset1:1
	s_waitcnt lgkmcnt(0)
	v_cmp_neq_f64_e32 vcc, 0, v[180:181]
	v_cmp_neq_f64_e64 s[2:3], 0, v[182:183]
	s_or_b64 s[2:3], vcc, s[2:3]
	s_and_b64 exec, exec, s[2:3]
	s_cbranch_execz .LBB89_341
; %bb.336:
	v_cmp_ngt_f64_e64 s[2:3], |v[180:181]|, |v[182:183]|
                                        ; implicit-def: $vgpr184_vgpr185
	s_and_saveexec_b64 s[10:11], s[2:3]
	s_xor_b64 s[2:3], exec, s[10:11]
                                        ; implicit-def: $vgpr186_vgpr187
	s_cbranch_execz .LBB89_338
; %bb.337:
	v_div_scale_f64 v[184:185], s[10:11], v[182:183], v[182:183], v[180:181]
	v_rcp_f64_e32 v[186:187], v[184:185]
	v_div_scale_f64 v[188:189], vcc, v[180:181], v[182:183], v[180:181]
	v_fma_f64 v[190:191], -v[184:185], v[186:187], 1.0
	v_fmac_f64_e32 v[186:187], v[186:187], v[190:191]
	v_fma_f64 v[190:191], -v[184:185], v[186:187], 1.0
	v_fmac_f64_e32 v[186:187], v[186:187], v[190:191]
	v_mul_f64 v[190:191], v[188:189], v[186:187]
	v_fma_f64 v[184:185], -v[184:185], v[190:191], v[188:189]
	v_div_fmas_f64 v[184:185], v[184:185], v[186:187], v[190:191]
	v_div_fixup_f64 v[184:185], v[184:185], v[182:183], v[180:181]
	v_fmac_f64_e32 v[182:183], v[180:181], v[184:185]
	v_div_scale_f64 v[180:181], s[10:11], v[182:183], v[182:183], 1.0
	v_rcp_f64_e32 v[186:187], v[180:181]
	s_nop 0
	v_fma_f64 v[188:189], -v[180:181], v[186:187], 1.0
	v_fmac_f64_e32 v[186:187], v[186:187], v[188:189]
	v_fma_f64 v[188:189], -v[180:181], v[186:187], 1.0
	v_fmac_f64_e32 v[186:187], v[186:187], v[188:189]
	v_div_scale_f64 v[188:189], vcc, 1.0, v[182:183], 1.0
	v_mul_f64 v[190:191], v[188:189], v[186:187]
	v_fma_f64 v[180:181], -v[180:181], v[190:191], v[188:189]
	s_nop 1
	v_div_fmas_f64 v[180:181], v[180:181], v[186:187], v[190:191]
	v_div_fixup_f64 v[186:187], v[180:181], v[182:183], 1.0
	v_mul_f64 v[184:185], v[184:185], v[186:187]
	v_xor_b32_e32 v187, 0x80000000, v187
                                        ; implicit-def: $vgpr180_vgpr181
.LBB89_338:
	s_andn2_saveexec_b64 s[2:3], s[2:3]
	s_cbranch_execz .LBB89_340
; %bb.339:
	v_div_scale_f64 v[184:185], s[10:11], v[180:181], v[180:181], v[182:183]
	v_rcp_f64_e32 v[186:187], v[184:185]
	v_div_scale_f64 v[188:189], vcc, v[182:183], v[180:181], v[182:183]
	v_fma_f64 v[190:191], -v[184:185], v[186:187], 1.0
	v_fmac_f64_e32 v[186:187], v[186:187], v[190:191]
	v_fma_f64 v[190:191], -v[184:185], v[186:187], 1.0
	v_fmac_f64_e32 v[186:187], v[186:187], v[190:191]
	v_mul_f64 v[190:191], v[188:189], v[186:187]
	v_fma_f64 v[184:185], -v[184:185], v[190:191], v[188:189]
	v_div_fmas_f64 v[184:185], v[184:185], v[186:187], v[190:191]
	v_div_fixup_f64 v[186:187], v[184:185], v[180:181], v[182:183]
	v_fmac_f64_e32 v[180:181], v[182:183], v[186:187]
	v_div_scale_f64 v[182:183], s[10:11], v[180:181], v[180:181], 1.0
	v_rcp_f64_e32 v[184:185], v[182:183]
	s_nop 0
	v_fma_f64 v[188:189], -v[182:183], v[184:185], 1.0
	v_fmac_f64_e32 v[184:185], v[184:185], v[188:189]
	v_fma_f64 v[188:189], -v[182:183], v[184:185], 1.0
	v_fmac_f64_e32 v[184:185], v[184:185], v[188:189]
	v_div_scale_f64 v[188:189], vcc, 1.0, v[180:181], 1.0
	v_mul_f64 v[190:191], v[188:189], v[184:185]
	v_fma_f64 v[182:183], -v[182:183], v[190:191], v[188:189]
	s_nop 1
	v_div_fmas_f64 v[182:183], v[182:183], v[184:185], v[190:191]
	v_div_fixup_f64 v[184:185], v[182:183], v[180:181], 1.0
	v_mul_f64 v[186:187], v[186:187], -v[184:185]
.LBB89_340:
	s_or_b64 exec, exec, s[2:3]
	ds_write2_b64 v208, v[184:185], v[186:187] offset1:1
.LBB89_341:
	s_or_b64 exec, exec, s[4:5]
	s_waitcnt lgkmcnt(0)
	s_barrier
	ds_read2_b64 v[180:183], v208 offset1:1
	v_cmp_lt_u32_e32 vcc, 37, v210
	s_waitcnt lgkmcnt(0)
	scratch_store_dwordx4 off, v[180:183], off offset:800 ; 16-byte Folded Spill
	s_and_saveexec_b64 s[2:3], vcc
	s_cbranch_execz .LBB89_343
; %bb.342:
	scratch_load_dwordx4 v[182:185], off, off offset:800 ; 16-byte Folded Reload
	s_waitcnt vmcnt(0)
	v_mul_f64 v[180:181], v[182:183], v[26:27]
	v_mul_f64 v[26:27], v[184:185], v[26:27]
	v_fmac_f64_e32 v[180:181], v[184:185], v[24:25]
	v_fma_f64 v[24:25], v[182:183], v[24:25], -v[26:27]
	ds_read2_b64 v[182:185], v209 offset0:76 offset1:77
	s_waitcnt lgkmcnt(0)
	v_mul_f64 v[26:27], v[184:185], v[180:181]
	v_fma_f64 v[26:27], v[182:183], v[24:25], -v[26:27]
	v_mul_f64 v[182:183], v[182:183], v[180:181]
	v_fmac_f64_e32 v[182:183], v[184:185], v[24:25]
	v_add_f64 v[22:23], v[22:23], -v[182:183]
	ds_read2_b64 v[182:185], v209 offset0:78 offset1:79
	v_add_f64 v[20:21], v[20:21], -v[26:27]
	s_waitcnt lgkmcnt(0)
	v_mul_f64 v[26:27], v[184:185], v[180:181]
	v_fma_f64 v[26:27], v[182:183], v[24:25], -v[26:27]
	v_mul_f64 v[182:183], v[182:183], v[180:181]
	v_fmac_f64_e32 v[182:183], v[184:185], v[24:25]
	v_add_f64 v[18:19], v[18:19], -v[182:183]
	ds_read2_b64 v[182:185], v209 offset0:80 offset1:81
	v_add_f64 v[16:17], v[16:17], -v[26:27]
	;; [unrolled: 8-line block ×6, first 2 shown]
	s_waitcnt lgkmcnt(0)
	v_mul_f64 v[26:27], v[184:185], v[180:181]
	v_fma_f64 v[26:27], v[182:183], v[24:25], -v[26:27]
	v_mul_f64 v[182:183], v[182:183], v[180:181]
	v_fmac_f64_e32 v[182:183], v[184:185], v[24:25]
	v_add_f64 v[176:177], v[176:177], -v[26:27]
	v_add_f64 v[178:179], v[178:179], -v[182:183]
	v_mov_b64_e32 v[26:27], v[180:181]
.LBB89_343:
	s_or_b64 exec, exec, s[2:3]
	v_cmp_eq_u32_e32 vcc, 38, v210
	s_waitcnt vmcnt(63) expcnt(7) lgkmcnt(15)
	s_barrier
	s_and_saveexec_b64 s[4:5], vcc
	s_cbranch_execz .LBB89_350
; %bb.344:
	s_waitcnt vmcnt(44)
	ds_write2_b64 v208, v[20:21], v[22:23] offset1:1
	s_waitcnt vmcnt(43)
	ds_write2_b64 v209, v[16:17], v[18:19] offset0:78 offset1:79
	s_waitcnt vmcnt(42)
	ds_write2_b64 v209, v[12:13], v[14:15] offset0:80 offset1:81
	;; [unrolled: 2-line block ×6, first 2 shown]
	ds_read2_b64 v[180:183], v208 offset1:1
	s_waitcnt lgkmcnt(0)
	v_cmp_neq_f64_e32 vcc, 0, v[180:181]
	v_cmp_neq_f64_e64 s[2:3], 0, v[182:183]
	s_or_b64 s[2:3], vcc, s[2:3]
	s_and_b64 exec, exec, s[2:3]
	s_cbranch_execz .LBB89_350
; %bb.345:
	v_cmp_ngt_f64_e64 s[2:3], |v[180:181]|, |v[182:183]|
                                        ; implicit-def: $vgpr184_vgpr185
	s_and_saveexec_b64 s[10:11], s[2:3]
	s_xor_b64 s[2:3], exec, s[10:11]
                                        ; implicit-def: $vgpr186_vgpr187
	s_cbranch_execz .LBB89_347
; %bb.346:
	v_div_scale_f64 v[184:185], s[10:11], v[182:183], v[182:183], v[180:181]
	v_rcp_f64_e32 v[186:187], v[184:185]
	v_div_scale_f64 v[188:189], vcc, v[180:181], v[182:183], v[180:181]
	v_fma_f64 v[190:191], -v[184:185], v[186:187], 1.0
	v_fmac_f64_e32 v[186:187], v[186:187], v[190:191]
	v_fma_f64 v[190:191], -v[184:185], v[186:187], 1.0
	v_fmac_f64_e32 v[186:187], v[186:187], v[190:191]
	v_mul_f64 v[190:191], v[188:189], v[186:187]
	v_fma_f64 v[184:185], -v[184:185], v[190:191], v[188:189]
	v_div_fmas_f64 v[184:185], v[184:185], v[186:187], v[190:191]
	v_div_fixup_f64 v[184:185], v[184:185], v[182:183], v[180:181]
	v_fmac_f64_e32 v[182:183], v[180:181], v[184:185]
	v_div_scale_f64 v[180:181], s[10:11], v[182:183], v[182:183], 1.0
	v_rcp_f64_e32 v[186:187], v[180:181]
	s_nop 0
	v_fma_f64 v[188:189], -v[180:181], v[186:187], 1.0
	v_fmac_f64_e32 v[186:187], v[186:187], v[188:189]
	v_fma_f64 v[188:189], -v[180:181], v[186:187], 1.0
	v_fmac_f64_e32 v[186:187], v[186:187], v[188:189]
	v_div_scale_f64 v[188:189], vcc, 1.0, v[182:183], 1.0
	v_mul_f64 v[190:191], v[188:189], v[186:187]
	v_fma_f64 v[180:181], -v[180:181], v[190:191], v[188:189]
	s_nop 1
	v_div_fmas_f64 v[180:181], v[180:181], v[186:187], v[190:191]
	v_div_fixup_f64 v[186:187], v[180:181], v[182:183], 1.0
	v_mul_f64 v[184:185], v[184:185], v[186:187]
	v_xor_b32_e32 v187, 0x80000000, v187
                                        ; implicit-def: $vgpr180_vgpr181
.LBB89_347:
	s_andn2_saveexec_b64 s[2:3], s[2:3]
	s_cbranch_execz .LBB89_349
; %bb.348:
	v_div_scale_f64 v[184:185], s[10:11], v[180:181], v[180:181], v[182:183]
	v_rcp_f64_e32 v[186:187], v[184:185]
	v_div_scale_f64 v[188:189], vcc, v[182:183], v[180:181], v[182:183]
	v_fma_f64 v[190:191], -v[184:185], v[186:187], 1.0
	v_fmac_f64_e32 v[186:187], v[186:187], v[190:191]
	v_fma_f64 v[190:191], -v[184:185], v[186:187], 1.0
	v_fmac_f64_e32 v[186:187], v[186:187], v[190:191]
	v_mul_f64 v[190:191], v[188:189], v[186:187]
	v_fma_f64 v[184:185], -v[184:185], v[190:191], v[188:189]
	v_div_fmas_f64 v[184:185], v[184:185], v[186:187], v[190:191]
	v_div_fixup_f64 v[186:187], v[184:185], v[180:181], v[182:183]
	v_fmac_f64_e32 v[180:181], v[182:183], v[186:187]
	v_div_scale_f64 v[182:183], s[10:11], v[180:181], v[180:181], 1.0
	v_rcp_f64_e32 v[184:185], v[182:183]
	s_nop 0
	v_fma_f64 v[188:189], -v[182:183], v[184:185], 1.0
	v_fmac_f64_e32 v[184:185], v[184:185], v[188:189]
	v_fma_f64 v[188:189], -v[182:183], v[184:185], 1.0
	v_fmac_f64_e32 v[184:185], v[184:185], v[188:189]
	v_div_scale_f64 v[188:189], vcc, 1.0, v[180:181], 1.0
	v_mul_f64 v[190:191], v[188:189], v[184:185]
	v_fma_f64 v[182:183], -v[182:183], v[190:191], v[188:189]
	s_nop 1
	v_div_fmas_f64 v[182:183], v[182:183], v[184:185], v[190:191]
	v_div_fixup_f64 v[184:185], v[182:183], v[180:181], 1.0
	v_mul_f64 v[186:187], v[186:187], -v[184:185]
.LBB89_349:
	s_or_b64 exec, exec, s[2:3]
	ds_write2_b64 v208, v[184:185], v[186:187] offset1:1
.LBB89_350:
	s_or_b64 exec, exec, s[4:5]
	s_waitcnt lgkmcnt(0)
	s_barrier
	ds_read2_b64 v[180:183], v208 offset1:1
	v_cmp_lt_u32_e32 vcc, 38, v210
	s_and_saveexec_b64 s[2:3], vcc
	s_cbranch_execz .LBB89_352
; %bb.351:
	ds_read2_b64 v[184:187], v209 offset0:78 offset1:79
	s_waitcnt vmcnt(44) lgkmcnt(1)
	v_mul_f64 v[188:189], v[180:181], v[22:23]
	v_fmac_f64_e32 v[188:189], v[182:183], v[20:21]
	v_mul_f64 v[22:23], v[182:183], v[22:23]
	v_fma_f64 v[20:21], v[180:181], v[20:21], -v[22:23]
	s_waitcnt lgkmcnt(0)
	v_mul_f64 v[22:23], v[186:187], v[188:189]
	v_fma_f64 v[22:23], v[184:185], v[20:21], -v[22:23]
	v_mul_f64 v[184:185], v[184:185], v[188:189]
	v_fmac_f64_e32 v[184:185], v[186:187], v[20:21]
	s_waitcnt vmcnt(43)
	v_add_f64 v[18:19], v[18:19], -v[184:185]
	ds_read2_b64 v[184:187], v209 offset0:80 offset1:81
	v_add_f64 v[16:17], v[16:17], -v[22:23]
	s_waitcnt lgkmcnt(0)
	v_mul_f64 v[22:23], v[186:187], v[188:189]
	v_fma_f64 v[22:23], v[184:185], v[20:21], -v[22:23]
	v_mul_f64 v[184:185], v[184:185], v[188:189]
	v_fmac_f64_e32 v[184:185], v[186:187], v[20:21]
	s_waitcnt vmcnt(42)
	v_add_f64 v[14:15], v[14:15], -v[184:185]
	ds_read2_b64 v[184:187], v209 offset0:82 offset1:83
	v_add_f64 v[12:13], v[12:13], -v[22:23]
	;; [unrolled: 9-line block ×5, first 2 shown]
	s_waitcnt lgkmcnt(0)
	v_mul_f64 v[22:23], v[186:187], v[188:189]
	v_fma_f64 v[22:23], v[184:185], v[20:21], -v[22:23]
	v_mul_f64 v[184:185], v[184:185], v[188:189]
	v_fmac_f64_e32 v[184:185], v[186:187], v[20:21]
	s_waitcnt vmcnt(38)
	v_add_f64 v[176:177], v[176:177], -v[22:23]
	v_add_f64 v[178:179], v[178:179], -v[184:185]
	v_mov_b64_e32 v[22:23], v[188:189]
.LBB89_352:
	s_or_b64 exec, exec, s[2:3]
	v_cmp_eq_u32_e32 vcc, 39, v210
	s_waitcnt lgkmcnt(0)
	s_barrier
	s_and_saveexec_b64 s[4:5], vcc
	s_cbranch_execz .LBB89_359
; %bb.353:
	s_waitcnt vmcnt(43)
	ds_write2_b64 v208, v[16:17], v[18:19] offset1:1
	s_waitcnt vmcnt(42)
	ds_write2_b64 v209, v[12:13], v[14:15] offset0:80 offset1:81
	s_waitcnt vmcnt(41)
	ds_write2_b64 v209, v[8:9], v[10:11] offset0:82 offset1:83
	;; [unrolled: 2-line block ×5, first 2 shown]
	ds_read2_b64 v[184:187], v208 offset1:1
	s_waitcnt lgkmcnt(0)
	v_cmp_neq_f64_e32 vcc, 0, v[184:185]
	v_cmp_neq_f64_e64 s[2:3], 0, v[186:187]
	s_or_b64 s[2:3], vcc, s[2:3]
	s_and_b64 exec, exec, s[2:3]
	s_cbranch_execz .LBB89_359
; %bb.354:
	v_cmp_ngt_f64_e64 s[2:3], |v[184:185]|, |v[186:187]|
                                        ; implicit-def: $vgpr188_vgpr189
	s_and_saveexec_b64 s[10:11], s[2:3]
	s_xor_b64 s[2:3], exec, s[10:11]
                                        ; implicit-def: $vgpr190_vgpr191
	s_cbranch_execz .LBB89_356
; %bb.355:
	v_div_scale_f64 v[188:189], s[10:11], v[186:187], v[186:187], v[184:185]
	v_rcp_f64_e32 v[190:191], v[188:189]
	v_div_scale_f64 v[192:193], vcc, v[184:185], v[186:187], v[184:185]
	v_fma_f64 v[194:195], -v[188:189], v[190:191], 1.0
	v_fmac_f64_e32 v[190:191], v[190:191], v[194:195]
	v_fma_f64 v[194:195], -v[188:189], v[190:191], 1.0
	v_fmac_f64_e32 v[190:191], v[190:191], v[194:195]
	v_mul_f64 v[194:195], v[192:193], v[190:191]
	v_fma_f64 v[188:189], -v[188:189], v[194:195], v[192:193]
	v_div_fmas_f64 v[188:189], v[188:189], v[190:191], v[194:195]
	v_div_fixup_f64 v[188:189], v[188:189], v[186:187], v[184:185]
	v_fmac_f64_e32 v[186:187], v[184:185], v[188:189]
	v_div_scale_f64 v[184:185], s[10:11], v[186:187], v[186:187], 1.0
	v_rcp_f64_e32 v[190:191], v[184:185]
	s_nop 0
	v_fma_f64 v[192:193], -v[184:185], v[190:191], 1.0
	v_fmac_f64_e32 v[190:191], v[190:191], v[192:193]
	v_fma_f64 v[192:193], -v[184:185], v[190:191], 1.0
	v_fmac_f64_e32 v[190:191], v[190:191], v[192:193]
	v_div_scale_f64 v[192:193], vcc, 1.0, v[186:187], 1.0
	v_mul_f64 v[194:195], v[192:193], v[190:191]
	v_fma_f64 v[184:185], -v[184:185], v[194:195], v[192:193]
	s_nop 1
	v_div_fmas_f64 v[184:185], v[184:185], v[190:191], v[194:195]
	v_div_fixup_f64 v[190:191], v[184:185], v[186:187], 1.0
	v_mul_f64 v[188:189], v[188:189], v[190:191]
	v_xor_b32_e32 v191, 0x80000000, v191
                                        ; implicit-def: $vgpr184_vgpr185
.LBB89_356:
	s_andn2_saveexec_b64 s[2:3], s[2:3]
	s_cbranch_execz .LBB89_358
; %bb.357:
	v_div_scale_f64 v[188:189], s[10:11], v[184:185], v[184:185], v[186:187]
	v_rcp_f64_e32 v[190:191], v[188:189]
	v_div_scale_f64 v[192:193], vcc, v[186:187], v[184:185], v[186:187]
	v_fma_f64 v[194:195], -v[188:189], v[190:191], 1.0
	v_fmac_f64_e32 v[190:191], v[190:191], v[194:195]
	v_fma_f64 v[194:195], -v[188:189], v[190:191], 1.0
	v_fmac_f64_e32 v[190:191], v[190:191], v[194:195]
	v_mul_f64 v[194:195], v[192:193], v[190:191]
	v_fma_f64 v[188:189], -v[188:189], v[194:195], v[192:193]
	v_div_fmas_f64 v[188:189], v[188:189], v[190:191], v[194:195]
	v_div_fixup_f64 v[190:191], v[188:189], v[184:185], v[186:187]
	v_fmac_f64_e32 v[184:185], v[186:187], v[190:191]
	v_div_scale_f64 v[186:187], s[10:11], v[184:185], v[184:185], 1.0
	v_rcp_f64_e32 v[188:189], v[186:187]
	s_nop 0
	v_fma_f64 v[192:193], -v[186:187], v[188:189], 1.0
	v_fmac_f64_e32 v[188:189], v[188:189], v[192:193]
	v_fma_f64 v[192:193], -v[186:187], v[188:189], 1.0
	v_fmac_f64_e32 v[188:189], v[188:189], v[192:193]
	v_div_scale_f64 v[192:193], vcc, 1.0, v[184:185], 1.0
	v_mul_f64 v[194:195], v[192:193], v[188:189]
	v_fma_f64 v[186:187], -v[186:187], v[194:195], v[192:193]
	s_nop 1
	v_div_fmas_f64 v[186:187], v[186:187], v[188:189], v[194:195]
	v_div_fixup_f64 v[188:189], v[186:187], v[184:185], 1.0
	v_mul_f64 v[190:191], v[190:191], -v[188:189]
.LBB89_358:
	s_or_b64 exec, exec, s[2:3]
	ds_write2_b64 v208, v[188:189], v[190:191] offset1:1
.LBB89_359:
	s_or_b64 exec, exec, s[4:5]
	s_waitcnt lgkmcnt(0)
	s_barrier
	ds_read2_b64 v[184:187], v208 offset1:1
	v_cmp_lt_u32_e32 vcc, 39, v210
	s_and_saveexec_b64 s[2:3], vcc
	s_cbranch_execz .LBB89_361
; %bb.360:
	ds_read2_b64 v[188:191], v209 offset0:80 offset1:81
	s_waitcnt vmcnt(43) lgkmcnt(1)
	v_mul_f64 v[192:193], v[184:185], v[18:19]
	v_fmac_f64_e32 v[192:193], v[186:187], v[16:17]
	v_mul_f64 v[18:19], v[186:187], v[18:19]
	v_fma_f64 v[16:17], v[184:185], v[16:17], -v[18:19]
	s_waitcnt lgkmcnt(0)
	v_mul_f64 v[18:19], v[190:191], v[192:193]
	v_fma_f64 v[18:19], v[188:189], v[16:17], -v[18:19]
	v_mul_f64 v[188:189], v[188:189], v[192:193]
	v_fmac_f64_e32 v[188:189], v[190:191], v[16:17]
	s_waitcnt vmcnt(42)
	v_add_f64 v[14:15], v[14:15], -v[188:189]
	ds_read2_b64 v[188:191], v209 offset0:82 offset1:83
	v_add_f64 v[12:13], v[12:13], -v[18:19]
	s_waitcnt lgkmcnt(0)
	v_mul_f64 v[18:19], v[190:191], v[192:193]
	v_fma_f64 v[18:19], v[188:189], v[16:17], -v[18:19]
	v_mul_f64 v[188:189], v[188:189], v[192:193]
	v_fmac_f64_e32 v[188:189], v[190:191], v[16:17]
	s_waitcnt vmcnt(41)
	v_add_f64 v[10:11], v[10:11], -v[188:189]
	ds_read2_b64 v[188:191], v209 offset0:84 offset1:85
	v_add_f64 v[8:9], v[8:9], -v[18:19]
	;; [unrolled: 9-line block ×4, first 2 shown]
	s_waitcnt lgkmcnt(0)
	v_mul_f64 v[18:19], v[190:191], v[192:193]
	v_fma_f64 v[18:19], v[188:189], v[16:17], -v[18:19]
	v_mul_f64 v[188:189], v[188:189], v[192:193]
	v_fmac_f64_e32 v[188:189], v[190:191], v[16:17]
	s_waitcnt vmcnt(38)
	v_add_f64 v[176:177], v[176:177], -v[18:19]
	v_add_f64 v[178:179], v[178:179], -v[188:189]
	v_mov_b64_e32 v[18:19], v[192:193]
.LBB89_361:
	s_or_b64 exec, exec, s[2:3]
	v_cmp_eq_u32_e32 vcc, 40, v210
	s_waitcnt lgkmcnt(0)
	s_barrier
	s_and_saveexec_b64 s[4:5], vcc
	s_cbranch_execz .LBB89_368
; %bb.362:
	s_waitcnt vmcnt(42)
	ds_write2_b64 v208, v[12:13], v[14:15] offset1:1
	s_waitcnt vmcnt(41)
	ds_write2_b64 v209, v[8:9], v[10:11] offset0:82 offset1:83
	s_waitcnt vmcnt(40)
	ds_write2_b64 v209, v[4:5], v[6:7] offset0:84 offset1:85
	;; [unrolled: 2-line block ×4, first 2 shown]
	ds_read2_b64 v[188:191], v208 offset1:1
	s_waitcnt lgkmcnt(0)
	v_cmp_neq_f64_e32 vcc, 0, v[188:189]
	v_cmp_neq_f64_e64 s[2:3], 0, v[190:191]
	s_or_b64 s[2:3], vcc, s[2:3]
	s_and_b64 exec, exec, s[2:3]
	s_cbranch_execz .LBB89_368
; %bb.363:
	v_cmp_ngt_f64_e64 s[2:3], |v[188:189]|, |v[190:191]|
                                        ; implicit-def: $vgpr192_vgpr193
	s_and_saveexec_b64 s[10:11], s[2:3]
	s_xor_b64 s[2:3], exec, s[10:11]
                                        ; implicit-def: $vgpr194_vgpr195
	s_cbranch_execz .LBB89_365
; %bb.364:
	v_div_scale_f64 v[192:193], s[10:11], v[190:191], v[190:191], v[188:189]
	v_rcp_f64_e32 v[194:195], v[192:193]
	v_div_scale_f64 v[196:197], vcc, v[188:189], v[190:191], v[188:189]
	v_fma_f64 v[198:199], -v[192:193], v[194:195], 1.0
	v_fmac_f64_e32 v[194:195], v[194:195], v[198:199]
	v_fma_f64 v[198:199], -v[192:193], v[194:195], 1.0
	v_fmac_f64_e32 v[194:195], v[194:195], v[198:199]
	v_mul_f64 v[198:199], v[196:197], v[194:195]
	v_fma_f64 v[192:193], -v[192:193], v[198:199], v[196:197]
	v_div_fmas_f64 v[192:193], v[192:193], v[194:195], v[198:199]
	v_div_fixup_f64 v[192:193], v[192:193], v[190:191], v[188:189]
	v_fmac_f64_e32 v[190:191], v[188:189], v[192:193]
	v_div_scale_f64 v[188:189], s[10:11], v[190:191], v[190:191], 1.0
	v_rcp_f64_e32 v[194:195], v[188:189]
	s_nop 0
	v_fma_f64 v[196:197], -v[188:189], v[194:195], 1.0
	v_fmac_f64_e32 v[194:195], v[194:195], v[196:197]
	v_fma_f64 v[196:197], -v[188:189], v[194:195], 1.0
	v_fmac_f64_e32 v[194:195], v[194:195], v[196:197]
	v_div_scale_f64 v[196:197], vcc, 1.0, v[190:191], 1.0
	v_mul_f64 v[198:199], v[196:197], v[194:195]
	v_fma_f64 v[188:189], -v[188:189], v[198:199], v[196:197]
	s_nop 1
	v_div_fmas_f64 v[188:189], v[188:189], v[194:195], v[198:199]
	v_div_fixup_f64 v[194:195], v[188:189], v[190:191], 1.0
	v_mul_f64 v[192:193], v[192:193], v[194:195]
	v_xor_b32_e32 v195, 0x80000000, v195
                                        ; implicit-def: $vgpr188_vgpr189
.LBB89_365:
	s_andn2_saveexec_b64 s[2:3], s[2:3]
	s_cbranch_execz .LBB89_367
; %bb.366:
	v_div_scale_f64 v[192:193], s[10:11], v[188:189], v[188:189], v[190:191]
	v_rcp_f64_e32 v[194:195], v[192:193]
	v_div_scale_f64 v[196:197], vcc, v[190:191], v[188:189], v[190:191]
	v_fma_f64 v[198:199], -v[192:193], v[194:195], 1.0
	v_fmac_f64_e32 v[194:195], v[194:195], v[198:199]
	v_fma_f64 v[198:199], -v[192:193], v[194:195], 1.0
	v_fmac_f64_e32 v[194:195], v[194:195], v[198:199]
	v_mul_f64 v[198:199], v[196:197], v[194:195]
	v_fma_f64 v[192:193], -v[192:193], v[198:199], v[196:197]
	v_div_fmas_f64 v[192:193], v[192:193], v[194:195], v[198:199]
	v_div_fixup_f64 v[194:195], v[192:193], v[188:189], v[190:191]
	v_fmac_f64_e32 v[188:189], v[190:191], v[194:195]
	v_div_scale_f64 v[190:191], s[10:11], v[188:189], v[188:189], 1.0
	v_rcp_f64_e32 v[192:193], v[190:191]
	s_nop 0
	v_fma_f64 v[196:197], -v[190:191], v[192:193], 1.0
	v_fmac_f64_e32 v[192:193], v[192:193], v[196:197]
	v_fma_f64 v[196:197], -v[190:191], v[192:193], 1.0
	v_fmac_f64_e32 v[192:193], v[192:193], v[196:197]
	v_div_scale_f64 v[196:197], vcc, 1.0, v[188:189], 1.0
	v_mul_f64 v[198:199], v[196:197], v[192:193]
	v_fma_f64 v[190:191], -v[190:191], v[198:199], v[196:197]
	s_nop 1
	v_div_fmas_f64 v[190:191], v[190:191], v[192:193], v[198:199]
	v_div_fixup_f64 v[192:193], v[190:191], v[188:189], 1.0
	v_mul_f64 v[194:195], v[194:195], -v[192:193]
.LBB89_367:
	s_or_b64 exec, exec, s[2:3]
	ds_write2_b64 v208, v[192:193], v[194:195] offset1:1
.LBB89_368:
	s_or_b64 exec, exec, s[4:5]
	s_waitcnt lgkmcnt(0)
	s_barrier
	ds_read2_b64 v[188:191], v208 offset1:1
	v_cmp_lt_u32_e32 vcc, 40, v210
	s_and_saveexec_b64 s[2:3], vcc
	s_cbranch_execz .LBB89_370
; %bb.369:
	ds_read2_b64 v[192:195], v209 offset0:82 offset1:83
	s_waitcnt vmcnt(42) lgkmcnt(1)
	v_mul_f64 v[196:197], v[188:189], v[14:15]
	v_fmac_f64_e32 v[196:197], v[190:191], v[12:13]
	v_mul_f64 v[14:15], v[190:191], v[14:15]
	v_fma_f64 v[12:13], v[188:189], v[12:13], -v[14:15]
	s_waitcnt lgkmcnt(0)
	v_mul_f64 v[14:15], v[194:195], v[196:197]
	v_fma_f64 v[14:15], v[192:193], v[12:13], -v[14:15]
	v_mul_f64 v[192:193], v[192:193], v[196:197]
	v_fmac_f64_e32 v[192:193], v[194:195], v[12:13]
	s_waitcnt vmcnt(41)
	v_add_f64 v[10:11], v[10:11], -v[192:193]
	ds_read2_b64 v[192:195], v209 offset0:84 offset1:85
	v_add_f64 v[8:9], v[8:9], -v[14:15]
	s_waitcnt lgkmcnt(0)
	v_mul_f64 v[14:15], v[194:195], v[196:197]
	v_fma_f64 v[14:15], v[192:193], v[12:13], -v[14:15]
	v_mul_f64 v[192:193], v[192:193], v[196:197]
	v_fmac_f64_e32 v[192:193], v[194:195], v[12:13]
	s_waitcnt vmcnt(40)
	v_add_f64 v[6:7], v[6:7], -v[192:193]
	ds_read2_b64 v[192:195], v209 offset0:86 offset1:87
	v_add_f64 v[4:5], v[4:5], -v[14:15]
	;; [unrolled: 9-line block ×3, first 2 shown]
	s_waitcnt lgkmcnt(0)
	v_mul_f64 v[14:15], v[194:195], v[196:197]
	v_fma_f64 v[14:15], v[192:193], v[12:13], -v[14:15]
	v_mul_f64 v[192:193], v[192:193], v[196:197]
	v_fmac_f64_e32 v[192:193], v[194:195], v[12:13]
	s_waitcnt vmcnt(38)
	v_add_f64 v[176:177], v[176:177], -v[14:15]
	v_add_f64 v[178:179], v[178:179], -v[192:193]
	v_mov_b64_e32 v[14:15], v[196:197]
.LBB89_370:
	s_or_b64 exec, exec, s[2:3]
	v_cmp_eq_u32_e32 vcc, 41, v210
	s_waitcnt lgkmcnt(0)
	s_barrier
	s_and_saveexec_b64 s[4:5], vcc
	s_cbranch_execz .LBB89_377
; %bb.371:
	s_waitcnt vmcnt(41)
	ds_write2_b64 v208, v[8:9], v[10:11] offset1:1
	s_waitcnt vmcnt(40)
	ds_write2_b64 v209, v[4:5], v[6:7] offset0:84 offset1:85
	s_waitcnt vmcnt(39)
	ds_write2_b64 v209, v[0:1], v[2:3] offset0:86 offset1:87
	s_waitcnt vmcnt(38)
	ds_write2_b64 v209, v[176:177], v[178:179] offset0:88 offset1:89
	ds_read2_b64 v[192:195], v208 offset1:1
	s_waitcnt lgkmcnt(0)
	v_cmp_neq_f64_e32 vcc, 0, v[192:193]
	v_cmp_neq_f64_e64 s[2:3], 0, v[194:195]
	s_or_b64 s[2:3], vcc, s[2:3]
	s_and_b64 exec, exec, s[2:3]
	s_cbranch_execz .LBB89_377
; %bb.372:
	v_cmp_ngt_f64_e64 s[2:3], |v[192:193]|, |v[194:195]|
                                        ; implicit-def: $vgpr196_vgpr197
	s_and_saveexec_b64 s[10:11], s[2:3]
	s_xor_b64 s[2:3], exec, s[10:11]
                                        ; implicit-def: $vgpr198_vgpr199
	s_cbranch_execz .LBB89_374
; %bb.373:
	v_div_scale_f64 v[196:197], s[10:11], v[194:195], v[194:195], v[192:193]
	v_rcp_f64_e32 v[198:199], v[196:197]
	v_div_scale_f64 v[200:201], vcc, v[192:193], v[194:195], v[192:193]
	v_fma_f64 v[202:203], -v[196:197], v[198:199], 1.0
	v_fmac_f64_e32 v[198:199], v[198:199], v[202:203]
	v_fma_f64 v[202:203], -v[196:197], v[198:199], 1.0
	v_fmac_f64_e32 v[198:199], v[198:199], v[202:203]
	v_mul_f64 v[202:203], v[200:201], v[198:199]
	v_fma_f64 v[196:197], -v[196:197], v[202:203], v[200:201]
	v_div_fmas_f64 v[196:197], v[196:197], v[198:199], v[202:203]
	v_div_fixup_f64 v[196:197], v[196:197], v[194:195], v[192:193]
	v_fmac_f64_e32 v[194:195], v[192:193], v[196:197]
	v_div_scale_f64 v[192:193], s[10:11], v[194:195], v[194:195], 1.0
	v_rcp_f64_e32 v[198:199], v[192:193]
	s_nop 0
	v_fma_f64 v[200:201], -v[192:193], v[198:199], 1.0
	v_fmac_f64_e32 v[198:199], v[198:199], v[200:201]
	v_fma_f64 v[200:201], -v[192:193], v[198:199], 1.0
	v_fmac_f64_e32 v[198:199], v[198:199], v[200:201]
	v_div_scale_f64 v[200:201], vcc, 1.0, v[194:195], 1.0
	v_mul_f64 v[202:203], v[200:201], v[198:199]
	v_fma_f64 v[192:193], -v[192:193], v[202:203], v[200:201]
	s_nop 1
	v_div_fmas_f64 v[192:193], v[192:193], v[198:199], v[202:203]
	v_div_fixup_f64 v[198:199], v[192:193], v[194:195], 1.0
	v_mul_f64 v[196:197], v[196:197], v[198:199]
	v_xor_b32_e32 v199, 0x80000000, v199
                                        ; implicit-def: $vgpr192_vgpr193
.LBB89_374:
	s_andn2_saveexec_b64 s[2:3], s[2:3]
	s_cbranch_execz .LBB89_376
; %bb.375:
	v_div_scale_f64 v[196:197], s[10:11], v[192:193], v[192:193], v[194:195]
	v_rcp_f64_e32 v[198:199], v[196:197]
	v_div_scale_f64 v[200:201], vcc, v[194:195], v[192:193], v[194:195]
	v_fma_f64 v[202:203], -v[196:197], v[198:199], 1.0
	v_fmac_f64_e32 v[198:199], v[198:199], v[202:203]
	v_fma_f64 v[202:203], -v[196:197], v[198:199], 1.0
	v_fmac_f64_e32 v[198:199], v[198:199], v[202:203]
	v_mul_f64 v[202:203], v[200:201], v[198:199]
	v_fma_f64 v[196:197], -v[196:197], v[202:203], v[200:201]
	v_div_fmas_f64 v[196:197], v[196:197], v[198:199], v[202:203]
	v_div_fixup_f64 v[198:199], v[196:197], v[192:193], v[194:195]
	v_fmac_f64_e32 v[192:193], v[194:195], v[198:199]
	v_div_scale_f64 v[194:195], s[10:11], v[192:193], v[192:193], 1.0
	v_rcp_f64_e32 v[196:197], v[194:195]
	s_nop 0
	v_fma_f64 v[200:201], -v[194:195], v[196:197], 1.0
	v_fmac_f64_e32 v[196:197], v[196:197], v[200:201]
	v_fma_f64 v[200:201], -v[194:195], v[196:197], 1.0
	v_fmac_f64_e32 v[196:197], v[196:197], v[200:201]
	v_div_scale_f64 v[200:201], vcc, 1.0, v[192:193], 1.0
	v_mul_f64 v[202:203], v[200:201], v[196:197]
	v_fma_f64 v[194:195], -v[194:195], v[202:203], v[200:201]
	s_nop 1
	v_div_fmas_f64 v[194:195], v[194:195], v[196:197], v[202:203]
	v_div_fixup_f64 v[196:197], v[194:195], v[192:193], 1.0
	v_mul_f64 v[198:199], v[198:199], -v[196:197]
.LBB89_376:
	s_or_b64 exec, exec, s[2:3]
	ds_write2_b64 v208, v[196:197], v[198:199] offset1:1
.LBB89_377:
	s_or_b64 exec, exec, s[4:5]
	s_waitcnt lgkmcnt(0)
	s_barrier
	ds_read2_b64 v[192:195], v208 offset1:1
	v_cmp_lt_u32_e32 vcc, 41, v210
	s_and_saveexec_b64 s[2:3], vcc
	s_cbranch_execz .LBB89_379
; %bb.378:
	ds_read2_b64 v[196:199], v209 offset0:84 offset1:85
	s_waitcnt vmcnt(41) lgkmcnt(1)
	v_mul_f64 v[200:201], v[192:193], v[10:11]
	v_fmac_f64_e32 v[200:201], v[194:195], v[8:9]
	v_mul_f64 v[10:11], v[194:195], v[10:11]
	v_fma_f64 v[8:9], v[192:193], v[8:9], -v[10:11]
	s_waitcnt lgkmcnt(0)
	v_mul_f64 v[10:11], v[198:199], v[200:201]
	v_fma_f64 v[10:11], v[196:197], v[8:9], -v[10:11]
	v_mul_f64 v[196:197], v[196:197], v[200:201]
	v_fmac_f64_e32 v[196:197], v[198:199], v[8:9]
	s_waitcnt vmcnt(40)
	v_add_f64 v[6:7], v[6:7], -v[196:197]
	ds_read2_b64 v[196:199], v209 offset0:86 offset1:87
	v_add_f64 v[4:5], v[4:5], -v[10:11]
	s_waitcnt lgkmcnt(0)
	v_mul_f64 v[10:11], v[198:199], v[200:201]
	v_fma_f64 v[10:11], v[196:197], v[8:9], -v[10:11]
	v_mul_f64 v[196:197], v[196:197], v[200:201]
	v_fmac_f64_e32 v[196:197], v[198:199], v[8:9]
	s_waitcnt vmcnt(39)
	v_add_f64 v[2:3], v[2:3], -v[196:197]
	ds_read2_b64 v[196:199], v209 offset0:88 offset1:89
	v_add_f64 v[0:1], v[0:1], -v[10:11]
	s_waitcnt lgkmcnt(0)
	v_mul_f64 v[10:11], v[198:199], v[200:201]
	v_fma_f64 v[10:11], v[196:197], v[8:9], -v[10:11]
	v_mul_f64 v[196:197], v[196:197], v[200:201]
	v_fmac_f64_e32 v[196:197], v[198:199], v[8:9]
	s_waitcnt vmcnt(38)
	v_add_f64 v[176:177], v[176:177], -v[10:11]
	v_add_f64 v[178:179], v[178:179], -v[196:197]
	v_mov_b64_e32 v[10:11], v[200:201]
.LBB89_379:
	s_or_b64 exec, exec, s[2:3]
	v_cmp_eq_u32_e32 vcc, 42, v210
	s_waitcnt lgkmcnt(0)
	s_barrier
	s_and_saveexec_b64 s[4:5], vcc
	s_cbranch_execz .LBB89_386
; %bb.380:
	s_waitcnt vmcnt(40)
	ds_write2_b64 v208, v[4:5], v[6:7] offset1:1
	s_waitcnt vmcnt(39)
	ds_write2_b64 v209, v[0:1], v[2:3] offset0:86 offset1:87
	s_waitcnt vmcnt(38)
	ds_write2_b64 v209, v[176:177], v[178:179] offset0:88 offset1:89
	ds_read2_b64 v[196:199], v208 offset1:1
	s_waitcnt lgkmcnt(0)
	v_cmp_neq_f64_e32 vcc, 0, v[196:197]
	v_cmp_neq_f64_e64 s[2:3], 0, v[198:199]
	s_or_b64 s[2:3], vcc, s[2:3]
	s_and_b64 exec, exec, s[2:3]
	s_cbranch_execz .LBB89_386
; %bb.381:
	v_cmp_ngt_f64_e64 s[2:3], |v[196:197]|, |v[198:199]|
                                        ; implicit-def: $vgpr200_vgpr201
	s_and_saveexec_b64 s[10:11], s[2:3]
	s_xor_b64 s[2:3], exec, s[10:11]
                                        ; implicit-def: $vgpr202_vgpr203
	s_cbranch_execz .LBB89_383
; %bb.382:
	v_div_scale_f64 v[200:201], s[10:11], v[198:199], v[198:199], v[196:197]
	v_rcp_f64_e32 v[202:203], v[200:201]
	v_div_scale_f64 v[204:205], vcc, v[196:197], v[198:199], v[196:197]
	v_fma_f64 v[206:207], -v[200:201], v[202:203], 1.0
	v_fmac_f64_e32 v[202:203], v[202:203], v[206:207]
	v_fma_f64 v[206:207], -v[200:201], v[202:203], 1.0
	v_fmac_f64_e32 v[202:203], v[202:203], v[206:207]
	v_mul_f64 v[206:207], v[204:205], v[202:203]
	v_fma_f64 v[200:201], -v[200:201], v[206:207], v[204:205]
	v_div_fmas_f64 v[200:201], v[200:201], v[202:203], v[206:207]
	v_div_fixup_f64 v[200:201], v[200:201], v[198:199], v[196:197]
	v_fmac_f64_e32 v[198:199], v[196:197], v[200:201]
	v_div_scale_f64 v[196:197], s[10:11], v[198:199], v[198:199], 1.0
	v_rcp_f64_e32 v[202:203], v[196:197]
	s_nop 0
	v_fma_f64 v[204:205], -v[196:197], v[202:203], 1.0
	v_fmac_f64_e32 v[202:203], v[202:203], v[204:205]
	v_fma_f64 v[204:205], -v[196:197], v[202:203], 1.0
	v_fmac_f64_e32 v[202:203], v[202:203], v[204:205]
	v_div_scale_f64 v[204:205], vcc, 1.0, v[198:199], 1.0
	v_mul_f64 v[206:207], v[204:205], v[202:203]
	v_fma_f64 v[196:197], -v[196:197], v[206:207], v[204:205]
	s_nop 1
	v_div_fmas_f64 v[196:197], v[196:197], v[202:203], v[206:207]
	v_div_fixup_f64 v[202:203], v[196:197], v[198:199], 1.0
	v_mul_f64 v[200:201], v[200:201], v[202:203]
	v_xor_b32_e32 v203, 0x80000000, v203
                                        ; implicit-def: $vgpr196_vgpr197
.LBB89_383:
	s_andn2_saveexec_b64 s[2:3], s[2:3]
	s_cbranch_execz .LBB89_385
; %bb.384:
	v_div_scale_f64 v[200:201], s[10:11], v[196:197], v[196:197], v[198:199]
	v_rcp_f64_e32 v[202:203], v[200:201]
	v_div_scale_f64 v[204:205], vcc, v[198:199], v[196:197], v[198:199]
	v_fma_f64 v[206:207], -v[200:201], v[202:203], 1.0
	v_fmac_f64_e32 v[202:203], v[202:203], v[206:207]
	v_fma_f64 v[206:207], -v[200:201], v[202:203], 1.0
	v_fmac_f64_e32 v[202:203], v[202:203], v[206:207]
	v_mul_f64 v[206:207], v[204:205], v[202:203]
	v_fma_f64 v[200:201], -v[200:201], v[206:207], v[204:205]
	v_div_fmas_f64 v[200:201], v[200:201], v[202:203], v[206:207]
	v_div_fixup_f64 v[202:203], v[200:201], v[196:197], v[198:199]
	v_fmac_f64_e32 v[196:197], v[198:199], v[202:203]
	v_div_scale_f64 v[198:199], s[10:11], v[196:197], v[196:197], 1.0
	v_rcp_f64_e32 v[200:201], v[198:199]
	s_nop 0
	v_fma_f64 v[204:205], -v[198:199], v[200:201], 1.0
	v_fmac_f64_e32 v[200:201], v[200:201], v[204:205]
	v_fma_f64 v[204:205], -v[198:199], v[200:201], 1.0
	v_fmac_f64_e32 v[200:201], v[200:201], v[204:205]
	v_div_scale_f64 v[204:205], vcc, 1.0, v[196:197], 1.0
	v_mul_f64 v[206:207], v[204:205], v[200:201]
	v_fma_f64 v[198:199], -v[198:199], v[206:207], v[204:205]
	s_nop 1
	v_div_fmas_f64 v[198:199], v[198:199], v[200:201], v[206:207]
	v_div_fixup_f64 v[200:201], v[198:199], v[196:197], 1.0
	v_mul_f64 v[202:203], v[202:203], -v[200:201]
.LBB89_385:
	s_or_b64 exec, exec, s[2:3]
	ds_write2_b64 v208, v[200:201], v[202:203] offset1:1
.LBB89_386:
	s_or_b64 exec, exec, s[4:5]
	s_waitcnt lgkmcnt(0)
	s_barrier
	ds_read2_b64 v[196:199], v208 offset1:1
	v_cmp_lt_u32_e32 vcc, 42, v210
	s_and_saveexec_b64 s[2:3], vcc
	s_cbranch_execz .LBB89_388
; %bb.387:
	ds_read2_b64 v[200:203], v209 offset0:86 offset1:87
	s_waitcnt vmcnt(40) lgkmcnt(1)
	v_mul_f64 v[204:205], v[196:197], v[6:7]
	v_fmac_f64_e32 v[204:205], v[198:199], v[4:5]
	v_mul_f64 v[6:7], v[198:199], v[6:7]
	v_fma_f64 v[4:5], v[196:197], v[4:5], -v[6:7]
	s_waitcnt lgkmcnt(0)
	v_mul_f64 v[6:7], v[202:203], v[204:205]
	v_fma_f64 v[6:7], v[200:201], v[4:5], -v[6:7]
	v_mul_f64 v[200:201], v[200:201], v[204:205]
	v_fmac_f64_e32 v[200:201], v[202:203], v[4:5]
	s_waitcnt vmcnt(39)
	v_add_f64 v[2:3], v[2:3], -v[200:201]
	ds_read2_b64 v[200:203], v209 offset0:88 offset1:89
	v_add_f64 v[0:1], v[0:1], -v[6:7]
	s_waitcnt lgkmcnt(0)
	v_mul_f64 v[6:7], v[202:203], v[204:205]
	v_fma_f64 v[6:7], v[200:201], v[4:5], -v[6:7]
	v_mul_f64 v[200:201], v[200:201], v[204:205]
	v_fmac_f64_e32 v[200:201], v[202:203], v[4:5]
	s_waitcnt vmcnt(38)
	v_add_f64 v[176:177], v[176:177], -v[6:7]
	v_add_f64 v[178:179], v[178:179], -v[200:201]
	v_mov_b64_e32 v[6:7], v[204:205]
.LBB89_388:
	s_or_b64 exec, exec, s[2:3]
	v_cmp_eq_u32_e32 vcc, 43, v210
	s_waitcnt lgkmcnt(0)
	s_barrier
	s_and_saveexec_b64 s[4:5], vcc
	s_cbranch_execz .LBB89_395
; %bb.389:
	s_waitcnt vmcnt(39)
	ds_write2_b64 v208, v[0:1], v[2:3] offset1:1
	s_waitcnt vmcnt(38)
	ds_write2_b64 v209, v[176:177], v[178:179] offset0:88 offset1:89
	ds_read2_b64 v[200:203], v208 offset1:1
	s_waitcnt lgkmcnt(0)
	v_cmp_neq_f64_e32 vcc, 0, v[200:201]
	v_cmp_neq_f64_e64 s[2:3], 0, v[202:203]
	s_or_b64 s[2:3], vcc, s[2:3]
	s_and_b64 exec, exec, s[2:3]
	s_cbranch_execz .LBB89_395
; %bb.390:
	v_cmp_ngt_f64_e64 s[2:3], |v[200:201]|, |v[202:203]|
                                        ; implicit-def: $vgpr204_vgpr205
	s_and_saveexec_b64 s[10:11], s[2:3]
	s_xor_b64 s[2:3], exec, s[10:11]
                                        ; implicit-def: $vgpr206_vgpr207
	s_cbranch_execz .LBB89_392
; %bb.391:
	v_div_scale_f64 v[204:205], s[10:11], v[202:203], v[202:203], v[200:201]
	v_rcp_f64_e32 v[206:207], v[204:205]
	v_mov_b64_e32 v[168:169], v[214:215]
	v_div_scale_f64 v[212:213], vcc, v[200:201], v[202:203], v[200:201]
	v_fma_f64 v[214:215], -v[204:205], v[206:207], 1.0
	v_fmac_f64_e32 v[206:207], v[206:207], v[214:215]
	v_fma_f64 v[214:215], -v[204:205], v[206:207], 1.0
	v_fmac_f64_e32 v[206:207], v[206:207], v[214:215]
	v_mul_f64 v[214:215], v[212:213], v[206:207]
	v_fma_f64 v[204:205], -v[204:205], v[214:215], v[212:213]
	v_div_fmas_f64 v[204:205], v[204:205], v[206:207], v[214:215]
	v_div_fixup_f64 v[204:205], v[204:205], v[202:203], v[200:201]
	v_fmac_f64_e32 v[202:203], v[200:201], v[204:205]
	v_div_scale_f64 v[200:201], s[10:11], v[202:203], v[202:203], 1.0
	v_rcp_f64_e32 v[206:207], v[200:201]
	s_nop 0
	v_fma_f64 v[212:213], -v[200:201], v[206:207], 1.0
	v_fmac_f64_e32 v[206:207], v[206:207], v[212:213]
	v_fma_f64 v[212:213], -v[200:201], v[206:207], 1.0
	v_fmac_f64_e32 v[206:207], v[206:207], v[212:213]
	v_div_scale_f64 v[212:213], vcc, 1.0, v[202:203], 1.0
	v_mul_f64 v[214:215], v[212:213], v[206:207]
	v_fma_f64 v[200:201], -v[200:201], v[214:215], v[212:213]
	s_nop 1
	v_div_fmas_f64 v[200:201], v[200:201], v[206:207], v[214:215]
	v_div_fixup_f64 v[206:207], v[200:201], v[202:203], 1.0
	v_mov_b64_e32 v[214:215], v[168:169]
	v_mul_f64 v[204:205], v[204:205], v[206:207]
	v_xor_b32_e32 v207, 0x80000000, v207
                                        ; implicit-def: $vgpr200_vgpr201
.LBB89_392:
	s_andn2_saveexec_b64 s[2:3], s[2:3]
	s_cbranch_execz .LBB89_394
; %bb.393:
	v_div_scale_f64 v[204:205], s[10:11], v[200:201], v[200:201], v[202:203]
	v_rcp_f64_e32 v[206:207], v[204:205]
	v_mov_b64_e32 v[168:169], v[214:215]
	v_div_scale_f64 v[212:213], vcc, v[202:203], v[200:201], v[202:203]
	v_fma_f64 v[214:215], -v[204:205], v[206:207], 1.0
	v_fmac_f64_e32 v[206:207], v[206:207], v[214:215]
	v_fma_f64 v[214:215], -v[204:205], v[206:207], 1.0
	v_fmac_f64_e32 v[206:207], v[206:207], v[214:215]
	v_mul_f64 v[214:215], v[212:213], v[206:207]
	v_fma_f64 v[204:205], -v[204:205], v[214:215], v[212:213]
	v_div_fmas_f64 v[204:205], v[204:205], v[206:207], v[214:215]
	v_div_fixup_f64 v[206:207], v[204:205], v[200:201], v[202:203]
	v_fmac_f64_e32 v[200:201], v[202:203], v[206:207]
	v_div_scale_f64 v[202:203], s[10:11], v[200:201], v[200:201], 1.0
	v_rcp_f64_e32 v[204:205], v[202:203]
	s_nop 0
	v_fma_f64 v[212:213], -v[202:203], v[204:205], 1.0
	v_fmac_f64_e32 v[204:205], v[204:205], v[212:213]
	v_fma_f64 v[212:213], -v[202:203], v[204:205], 1.0
	v_fmac_f64_e32 v[204:205], v[204:205], v[212:213]
	v_div_scale_f64 v[212:213], vcc, 1.0, v[200:201], 1.0
	v_mul_f64 v[214:215], v[212:213], v[204:205]
	v_fma_f64 v[202:203], -v[202:203], v[214:215], v[212:213]
	s_nop 1
	v_div_fmas_f64 v[202:203], v[202:203], v[204:205], v[214:215]
	v_div_fixup_f64 v[204:205], v[202:203], v[200:201], 1.0
	v_mov_b64_e32 v[214:215], v[168:169]
	v_mul_f64 v[206:207], v[206:207], -v[204:205]
.LBB89_394:
	s_or_b64 exec, exec, s[2:3]
	ds_write2_b64 v208, v[204:205], v[206:207] offset1:1
.LBB89_395:
	s_or_b64 exec, exec, s[4:5]
	s_waitcnt lgkmcnt(0)
	s_barrier
	ds_read2_b64 v[200:203], v208 offset1:1
	v_cmp_lt_u32_e32 vcc, 43, v210
	s_and_saveexec_b64 s[2:3], vcc
	s_cbranch_execz .LBB89_397
; %bb.396:
	ds_read2_b64 v[204:207], v209 offset0:88 offset1:89
	s_waitcnt vmcnt(39) lgkmcnt(1)
	v_mul_f64 v[212:213], v[200:201], v[2:3]
	v_mul_f64 v[2:3], v[202:203], v[2:3]
	v_fmac_f64_e32 v[212:213], v[202:203], v[0:1]
	v_fma_f64 v[0:1], v[200:201], v[0:1], -v[2:3]
	s_waitcnt lgkmcnt(0)
	v_mul_f64 v[2:3], v[206:207], v[212:213]
	v_fma_f64 v[2:3], v[204:205], v[0:1], -v[2:3]
	v_mul_f64 v[204:205], v[204:205], v[212:213]
	v_fmac_f64_e32 v[204:205], v[206:207], v[0:1]
	s_waitcnt vmcnt(38)
	v_add_f64 v[176:177], v[176:177], -v[2:3]
	v_add_f64 v[178:179], v[178:179], -v[204:205]
	v_mov_b64_e32 v[2:3], v[212:213]
.LBB89_397:
	s_or_b64 exec, exec, s[2:3]
	v_cmp_eq_u32_e32 vcc, 44, v210
	s_waitcnt lgkmcnt(0)
	s_barrier
	s_and_saveexec_b64 s[4:5], vcc
	s_cbranch_execz .LBB89_404
; %bb.398:
	s_waitcnt vmcnt(38)
	v_cmp_neq_f64_e32 vcc, 0, v[176:177]
	v_cmp_neq_f64_e64 s[2:3], 0, v[178:179]
	s_or_b64 s[2:3], vcc, s[2:3]
	ds_write2_b64 v208, v[176:177], v[178:179] offset1:1
	s_and_b64 exec, exec, s[2:3]
	s_cbranch_execz .LBB89_404
; %bb.399:
	v_cmp_ngt_f64_e64 s[2:3], |v[176:177]|, |v[178:179]|
                                        ; implicit-def: $vgpr204_vgpr205
	s_and_saveexec_b64 s[10:11], s[2:3]
	s_xor_b64 s[2:3], exec, s[10:11]
                                        ; implicit-def: $vgpr206_vgpr207
	s_cbranch_execz .LBB89_401
; %bb.400:
	v_mov_b64_e32 v[48:49], v[180:181]
	v_mov_b64_e32 v[50:51], v[182:183]
	;; [unrolled: 1-line block ×27, first 2 shown]
	v_div_scale_f64 v[204:205], s[10:11], v[178:179], v[178:179], v[176:177]
	v_mov_b64_e32 v[252:253], v[96:97]
	v_mov_b64_e32 v[96:97], v[100:101]
	v_rcp_f64_e32 v[206:207], v[204:205]
	v_mov_b64_e32 v[98:99], v[102:103]
	v_mov_b64_e32 v[100:101], v[104:105]
	;; [unrolled: 1-line block ×39, first 2 shown]
	v_fma_f64 v[214:215], -v[204:205], v[206:207], 1.0
	v_fmac_f64_e32 v[206:207], v[206:207], v[214:215]
	v_fma_f64 v[214:215], -v[204:205], v[206:207], 1.0
	v_div_scale_f64 v[212:213], vcc, v[176:177], v[178:179], v[176:177]
	v_fmac_f64_e32 v[206:207], v[206:207], v[214:215]
	v_mul_f64 v[214:215], v[212:213], v[206:207]
	v_fma_f64 v[204:205], -v[204:205], v[214:215], v[212:213]
	s_nop 0
	v_div_fmas_f64 v[204:205], v[204:205], v[206:207], v[214:215]
	v_div_fixup_f64 v[204:205], v[204:205], v[178:179], v[176:177]
	v_fma_f64 v[206:207], v[176:177], v[204:205], v[178:179]
	v_div_scale_f64 v[212:213], s[10:11], v[206:207], v[206:207], 1.0
	v_rcp_f64_e32 v[214:215], v[212:213]
	v_mov_b64_e32 v[224:225], v[220:221]
	v_mov_b64_e32 v[222:223], v[218:219]
	v_mov_b64_e32 v[220:221], v[216:217]
	v_fma_f64 v[216:217], -v[212:213], v[214:215], 1.0
	v_fmac_f64_e32 v[214:215], v[214:215], v[216:217]
	v_fma_f64 v[216:217], -v[212:213], v[214:215], 1.0
	v_fmac_f64_e32 v[214:215], v[214:215], v[216:217]
	v_div_scale_f64 v[216:217], vcc, 1.0, v[206:207], 1.0
	v_mul_f64 v[218:219], v[216:217], v[214:215]
	v_mov_b64_e32 v[118:119], v[172:173]
	v_mov_b64_e32 v[172:173], v[240:241]
	;; [unrolled: 1-line block ×3, first 2 shown]
	v_fma_f64 v[212:213], -v[212:213], v[218:219], v[216:217]
	v_mov_b64_e32 v[236:237], v[240:241]
	v_mov_b64_e32 v[240:241], v[172:173]
	v_mov_b64_e32 v[172:173], v[118:119]
	v_div_fmas_f64 v[212:213], v[212:213], v[214:215], v[218:219]
	v_mov_b64_e32 v[214:215], v[170:171]
	v_mov_b64_e32 v[170:171], v[164:165]
	;; [unrolled: 1-line block ×73, first 2 shown]
	v_div_fixup_f64 v[206:207], v[212:213], v[206:207], 1.0
	v_mov_b64_e32 v[180:181], v[48:49]
	v_mov_b64_e32 v[220:221], v[224:225]
	;; [unrolled: 1-line block ×6, first 2 shown]
	v_mul_f64 v[204:205], v[204:205], v[206:207]
	v_xor_b32_e32 v207, 0x80000000, v207
.LBB89_401:
	s_andn2_saveexec_b64 s[2:3], s[2:3]
	s_cbranch_execz .LBB89_403
; %bb.402:
	v_mov_b64_e32 v[48:49], v[180:181]
	v_mov_b64_e32 v[50:51], v[182:183]
	v_mov_b64_e32 v[182:183], v[54:55]
	v_mov_b64_e32 v[180:181], v[52:53]
	v_mov_b64_e32 v[52:53], v[56:57]
	v_mov_b64_e32 v[54:55], v[58:59]
	v_mov_b64_e32 v[56:57], v[60:61]
	v_mov_b64_e32 v[58:59], v[62:63]
	v_mov_b64_e32 v[60:61], v[64:65]
	v_mov_b64_e32 v[62:63], v[66:67]
	v_mov_b64_e32 v[64:65], v[68:69]
	v_mov_b64_e32 v[66:67], v[70:71]
	v_mov_b64_e32 v[68:69], v[72:73]
	v_mov_b64_e32 v[70:71], v[74:75]
	v_mov_b64_e32 v[72:73], v[76:77]
	v_mov_b64_e32 v[74:75], v[78:79]
	v_mov_b64_e32 v[76:77], v[80:81]
	v_mov_b64_e32 v[78:79], v[82:83]
	v_mov_b64_e32 v[80:81], v[84:85]
	v_mov_b64_e32 v[82:83], v[86:87]
	v_mov_b64_e32 v[84:85], v[88:89]
	v_mov_b64_e32 v[86:87], v[90:91]
	v_mov_b64_e32 v[88:89], v[92:93]
	v_mov_b64_e32 v[90:91], v[94:95]
	v_mov_b64_e32 v[92:93], v[252:253]
	v_mov_b64_e32 v[94:95], v[254:255]
	v_mov_b64_e32 v[254:255], v[98:99]
	v_div_scale_f64 v[204:205], s[10:11], v[176:177], v[176:177], v[178:179]
	v_mov_b64_e32 v[252:253], v[96:97]
	v_mov_b64_e32 v[96:97], v[100:101]
	v_rcp_f64_e32 v[206:207], v[204:205]
	v_mov_b64_e32 v[98:99], v[102:103]
	v_mov_b64_e32 v[100:101], v[104:105]
	;; [unrolled: 1-line block ×39, first 2 shown]
	v_fma_f64 v[214:215], -v[204:205], v[206:207], 1.0
	v_fmac_f64_e32 v[206:207], v[206:207], v[214:215]
	v_fma_f64 v[214:215], -v[204:205], v[206:207], 1.0
	v_div_scale_f64 v[212:213], vcc, v[178:179], v[176:177], v[178:179]
	v_fmac_f64_e32 v[206:207], v[206:207], v[214:215]
	v_mul_f64 v[214:215], v[212:213], v[206:207]
	v_fma_f64 v[204:205], -v[204:205], v[214:215], v[212:213]
	s_nop 0
	v_div_fmas_f64 v[204:205], v[204:205], v[206:207], v[214:215]
	v_div_fixup_f64 v[206:207], v[204:205], v[176:177], v[178:179]
	v_fma_f64 v[204:205], v[178:179], v[206:207], v[176:177]
	v_div_scale_f64 v[212:213], s[10:11], v[204:205], v[204:205], 1.0
	v_rcp_f64_e32 v[214:215], v[212:213]
	v_mov_b64_e32 v[224:225], v[220:221]
	v_mov_b64_e32 v[222:223], v[218:219]
	v_mov_b64_e32 v[220:221], v[216:217]
	v_fma_f64 v[216:217], -v[212:213], v[214:215], 1.0
	v_fmac_f64_e32 v[214:215], v[214:215], v[216:217]
	v_fma_f64 v[216:217], -v[212:213], v[214:215], 1.0
	v_fmac_f64_e32 v[214:215], v[214:215], v[216:217]
	v_div_scale_f64 v[216:217], vcc, 1.0, v[204:205], 1.0
	v_mul_f64 v[218:219], v[216:217], v[214:215]
	v_mov_b64_e32 v[118:119], v[172:173]
	v_mov_b64_e32 v[172:173], v[240:241]
	;; [unrolled: 1-line block ×3, first 2 shown]
	v_fma_f64 v[212:213], -v[212:213], v[218:219], v[216:217]
	v_mov_b64_e32 v[236:237], v[240:241]
	v_mov_b64_e32 v[240:241], v[172:173]
	;; [unrolled: 1-line block ×3, first 2 shown]
	v_div_fmas_f64 v[212:213], v[212:213], v[214:215], v[218:219]
	v_mov_b64_e32 v[214:215], v[170:171]
	v_mov_b64_e32 v[170:171], v[164:165]
	;; [unrolled: 1-line block ×73, first 2 shown]
	v_div_fixup_f64 v[204:205], v[212:213], v[204:205], 1.0
	v_mov_b64_e32 v[180:181], v[48:49]
	v_mov_b64_e32 v[220:221], v[224:225]
	;; [unrolled: 1-line block ×6, first 2 shown]
	v_mul_f64 v[206:207], v[206:207], -v[204:205]
.LBB89_403:
	s_or_b64 exec, exec, s[2:3]
	ds_write2_b64 v208, v[204:205], v[206:207] offset1:1
.LBB89_404:
	s_or_b64 exec, exec, s[4:5]
	s_waitcnt lgkmcnt(0)
	s_barrier
	ds_read2_b64 v[204:207], v208 offset1:1
	s_waitcnt lgkmcnt(0)
	s_barrier
	s_and_saveexec_b64 s[2:3], s[0:1]
	s_cbranch_execz .LBB89_407
; %bb.405:
	v_mov_b64_e32 v[48:49], v[180:181]
	v_mov_b64_e32 v[50:51], v[182:183]
	scratch_load_dwordx4 v[180:183], off, off offset:208 ; 16-byte Folded Reload
	v_mov_b32_e32 v209, s7
	s_waitcnt vmcnt(0)
	v_cmp_eq_f64_e32 vcc, 0, v[180:181]
	v_cmp_eq_f64_e64 s[0:1], 0, v[182:183]
	scratch_load_dwordx4 v[180:183], off, off offset:224 ; 16-byte Folded Reload
	s_and_b64 s[4:5], vcc, s[0:1]
	v_cndmask_b32_e64 v208, 0, 1, s[4:5]
	s_waitcnt vmcnt(0)
	v_cmp_neq_f64_e32 vcc, 0, v[180:181]
	v_cmp_neq_f64_e64 s[0:1], 0, v[182:183]
	scratch_load_dwordx4 v[180:183], off, off offset:240 ; 16-byte Folded Reload
	s_or_b64 s[0:1], vcc, s[0:1]
	s_or_b64 vcc, s[0:1], s[4:5]
	v_cndmask_b32_e32 v208, 2, v208, vcc
	s_waitcnt vmcnt(0)
	v_cmp_eq_f64_e32 vcc, 0, v[180:181]
	v_cmp_eq_f64_e64 s[0:1], 0, v[182:183]
	scratch_load_dwordx4 v[180:183], off, off offset:256 ; 16-byte Folded Reload
	s_and_b64 s[0:1], vcc, s[0:1]
	v_cmp_eq_u32_e32 vcc, 0, v208
	s_and_b64 s[0:1], s[0:1], vcc
	v_cndmask_b32_e64 v208, v208, 3, s[0:1]
	s_waitcnt vmcnt(0)
	v_cmp_eq_f64_e32 vcc, 0, v[180:181]
	v_cmp_eq_f64_e64 s[0:1], 0, v[182:183]
	scratch_load_dwordx4 v[180:183], off, off offset:272 ; 16-byte Folded Reload
	s_and_b64 s[0:1], vcc, s[0:1]
	v_cmp_eq_u32_e32 vcc, 0, v208
	s_and_b64 s[0:1], s[0:1], vcc
	v_cndmask_b32_e64 v208, v208, 4, s[0:1]
	;; [unrolled: 8-line block ×29, first 2 shown]
	v_mov_b32_e32 v208, s6
	v_lshl_add_u64 v[208:209], v[240:241], 2, v[208:209]
	global_load_dword v212, v[208:209], off
	s_waitcnt vmcnt(1)
	v_cmp_eq_f64_e32 vcc, 0, v[180:181]
	v_cmp_eq_f64_e64 s[0:1], 0, v[182:183]
	scratch_load_dwordx4 v[180:183], off, off offset:720 ; 16-byte Folded Reload
	s_and_b64 s[0:1], vcc, s[0:1]
	v_cmp_eq_u32_e32 vcc, 0, v211
	s_and_b64 s[0:1], s[0:1], vcc
	v_cndmask_b32_e64 v211, v211, 32, s[0:1]
	s_waitcnt vmcnt(0)
	v_cmp_eq_f64_e32 vcc, 0, v[180:181]
	v_cmp_eq_f64_e64 s[0:1], 0, v[182:183]
	scratch_load_dwordx4 v[180:183], off, off offset:736 ; 16-byte Folded Reload
	s_and_b64 s[0:1], vcc, s[0:1]
	v_cmp_eq_u32_e32 vcc, 0, v211
	s_and_b64 s[0:1], s[0:1], vcc
	v_cndmask_b32_e64 v211, v211, 33, s[0:1]
	;; [unrolled: 8-line block ×6, first 2 shown]
	s_waitcnt vmcnt(0)
	v_cmp_eq_f64_e32 vcc, 0, v[180:181]
	v_cmp_eq_f64_e64 s[0:1], 0, v[182:183]
	s_and_b64 s[0:1], vcc, s[0:1]
	v_cmp_eq_u32_e32 vcc, 0, v211
	s_and_b64 s[0:1], s[0:1], vcc
	v_cndmask_b32_e64 v211, v211, 38, s[0:1]
	v_cmp_eq_f64_e32 vcc, 0, v[48:49]
	v_cmp_eq_f64_e64 s[0:1], 0, v[50:51]
	s_and_b64 s[0:1], vcc, s[0:1]
	v_cmp_eq_u32_e32 vcc, 0, v211
	s_and_b64 s[0:1], s[0:1], vcc
	v_cndmask_b32_e64 v180, v211, 39, s[0:1]
	;; [unrolled: 6-line block ×8, first 2 shown]
	v_cmp_eq_u32_e32 vcc, 0, v212
	v_cmp_ne_u32_e64 s[0:1], 0, v180
	s_and_b64 s[0:1], vcc, s[0:1]
	s_and_b64 exec, exec, s[0:1]
	s_cbranch_execz .LBB89_407
; %bb.406:
	v_add_u32_e32 v180, s9, v180
	global_store_dword v[208:209], v180, off
.LBB89_407:
	s_or_b64 exec, exec, s[2:3]
	s_waitcnt vmcnt(38)
	v_mul_f64 v[180:181], v[206:207], v[178:179]
	v_mul_f64 v[182:183], v[204:205], v[178:179]
	v_cmp_lt_u32_e32 vcc, 44, v210
	v_fma_f64 v[180:181], v[204:205], v[176:177], -v[180:181]
	v_fmac_f64_e32 v[182:183], v[206:207], v[176:177]
	v_cndmask_b32_e32 v179, v179, v183, vcc
	v_cndmask_b32_e32 v178, v178, v182, vcc
	;; [unrolled: 1-line block ×4, first 2 shown]
	scratch_load_dwordx4 v[180:183], off, off offset:192 ; 16-byte Folded Reload
	s_waitcnt vmcnt(0)
	global_store_dwordx4 v[216:217], v[180:183], off
	scratch_load_dwordx4 v[180:183], off, off offset:176 ; 16-byte Folded Reload
	s_waitcnt vmcnt(0)
	global_store_dwordx4 v[172:173], v[180:183], off
	scratch_load_dwordx4 v[180:183], off, off offset:160 ; 16-byte Folded Reload
	s_nop 0
	scratch_load_dwordx2 v[168:169], off, off offset:816 ; 8-byte Folded Reload
	s_waitcnt vmcnt(0)
	global_store_dwordx4 v[168:169], v[180:183], off
	scratch_load_dwordx4 v[180:183], off, off offset:144 ; 16-byte Folded Reload
	s_nop 0
	scratch_load_dwordx2 v[168:169], off, off offset:824 ; 8-byte Folded Reload
	;; [unrolled: 5-line block ×4, first 2 shown]
	s_waitcnt vmcnt(0)
	global_store_dwordx4 v[168:169], v[180:183], off
	scratch_load_dwordx4 v[180:183], off, off offset:96 ; 16-byte Folded Reload
	s_waitcnt vmcnt(0)
	global_store_dwordx4 v[228:229], v[180:183], off
	scratch_load_dwordx4 v[180:183], off, off offset:80 ; 16-byte Folded Reload
	;; [unrolled: 3-line block ×6, first 2 shown]
	s_waitcnt vmcnt(0)
	global_store_dwordx4 v[234:235], v[180:183], off
	scratch_load_dwordx4 v[180:183], off, off ; 16-byte Folded Reload
	s_waitcnt vmcnt(0)
	global_store_dwordx4 v[238:239], v[180:183], off
	global_store_dwordx4 v[174:175], v[252:255], off
	;; [unrolled: 1-line block ×33, first 2 shown]
.LBB89_408:
	s_endpgm
	.section	.rodata,"a",@progbits
	.p2align	6, 0x0
	.amdhsa_kernel _ZN9rocsolver6v33100L23getf2_npvt_small_kernelILi45E19rocblas_complex_numIdEiiPS3_EEvT1_T3_lS5_lPT2_S5_S5_
		.amdhsa_group_segment_fixed_size 0
		.amdhsa_private_segment_fixed_size 852
		.amdhsa_kernarg_size 312
		.amdhsa_user_sgpr_count 2
		.amdhsa_user_sgpr_dispatch_ptr 0
		.amdhsa_user_sgpr_queue_ptr 0
		.amdhsa_user_sgpr_kernarg_segment_ptr 1
		.amdhsa_user_sgpr_dispatch_id 0
		.amdhsa_user_sgpr_kernarg_preload_length 0
		.amdhsa_user_sgpr_kernarg_preload_offset 0
		.amdhsa_user_sgpr_private_segment_size 0
		.amdhsa_uses_dynamic_stack 0
		.amdhsa_enable_private_segment 1
		.amdhsa_system_sgpr_workgroup_id_x 1
		.amdhsa_system_sgpr_workgroup_id_y 1
		.amdhsa_system_sgpr_workgroup_id_z 0
		.amdhsa_system_sgpr_workgroup_info 0
		.amdhsa_system_vgpr_workitem_id 1
		.amdhsa_next_free_vgpr 256
		.amdhsa_next_free_sgpr 16
		.amdhsa_accum_offset 256
		.amdhsa_reserve_vcc 1
		.amdhsa_float_round_mode_32 0
		.amdhsa_float_round_mode_16_64 0
		.amdhsa_float_denorm_mode_32 3
		.amdhsa_float_denorm_mode_16_64 3
		.amdhsa_dx10_clamp 1
		.amdhsa_ieee_mode 1
		.amdhsa_fp16_overflow 0
		.amdhsa_tg_split 0
		.amdhsa_exception_fp_ieee_invalid_op 0
		.amdhsa_exception_fp_denorm_src 0
		.amdhsa_exception_fp_ieee_div_zero 0
		.amdhsa_exception_fp_ieee_overflow 0
		.amdhsa_exception_fp_ieee_underflow 0
		.amdhsa_exception_fp_ieee_inexact 0
		.amdhsa_exception_int_div_zero 0
	.end_amdhsa_kernel
	.section	.text._ZN9rocsolver6v33100L23getf2_npvt_small_kernelILi45E19rocblas_complex_numIdEiiPS3_EEvT1_T3_lS5_lPT2_S5_S5_,"axG",@progbits,_ZN9rocsolver6v33100L23getf2_npvt_small_kernelILi45E19rocblas_complex_numIdEiiPS3_EEvT1_T3_lS5_lPT2_S5_S5_,comdat
.Lfunc_end89:
	.size	_ZN9rocsolver6v33100L23getf2_npvt_small_kernelILi45E19rocblas_complex_numIdEiiPS3_EEvT1_T3_lS5_lPT2_S5_S5_, .Lfunc_end89-_ZN9rocsolver6v33100L23getf2_npvt_small_kernelILi45E19rocblas_complex_numIdEiiPS3_EEvT1_T3_lS5_lPT2_S5_S5_
                                        ; -- End function
	.set _ZN9rocsolver6v33100L23getf2_npvt_small_kernelILi45E19rocblas_complex_numIdEiiPS3_EEvT1_T3_lS5_lPT2_S5_S5_.num_vgpr, 256
	.set _ZN9rocsolver6v33100L23getf2_npvt_small_kernelILi45E19rocblas_complex_numIdEiiPS3_EEvT1_T3_lS5_lPT2_S5_S5_.num_agpr, 0
	.set _ZN9rocsolver6v33100L23getf2_npvt_small_kernelILi45E19rocblas_complex_numIdEiiPS3_EEvT1_T3_lS5_lPT2_S5_S5_.numbered_sgpr, 16
	.set _ZN9rocsolver6v33100L23getf2_npvt_small_kernelILi45E19rocblas_complex_numIdEiiPS3_EEvT1_T3_lS5_lPT2_S5_S5_.num_named_barrier, 0
	.set _ZN9rocsolver6v33100L23getf2_npvt_small_kernelILi45E19rocblas_complex_numIdEiiPS3_EEvT1_T3_lS5_lPT2_S5_S5_.private_seg_size, 852
	.set _ZN9rocsolver6v33100L23getf2_npvt_small_kernelILi45E19rocblas_complex_numIdEiiPS3_EEvT1_T3_lS5_lPT2_S5_S5_.uses_vcc, 1
	.set _ZN9rocsolver6v33100L23getf2_npvt_small_kernelILi45E19rocblas_complex_numIdEiiPS3_EEvT1_T3_lS5_lPT2_S5_S5_.uses_flat_scratch, 0
	.set _ZN9rocsolver6v33100L23getf2_npvt_small_kernelILi45E19rocblas_complex_numIdEiiPS3_EEvT1_T3_lS5_lPT2_S5_S5_.has_dyn_sized_stack, 0
	.set _ZN9rocsolver6v33100L23getf2_npvt_small_kernelILi45E19rocblas_complex_numIdEiiPS3_EEvT1_T3_lS5_lPT2_S5_S5_.has_recursion, 0
	.set _ZN9rocsolver6v33100L23getf2_npvt_small_kernelILi45E19rocblas_complex_numIdEiiPS3_EEvT1_T3_lS5_lPT2_S5_S5_.has_indirect_call, 0
	.section	.AMDGPU.csdata,"",@progbits
; Kernel info:
; codeLenInByte = 98152
; TotalNumSgprs: 22
; NumVgprs: 256
; NumAgprs: 0
; TotalNumVgprs: 256
; ScratchSize: 852
; MemoryBound: 1
; FloatMode: 240
; IeeeMode: 1
; LDSByteSize: 0 bytes/workgroup (compile time only)
; SGPRBlocks: 2
; VGPRBlocks: 31
; NumSGPRsForWavesPerEU: 22
; NumVGPRsForWavesPerEU: 256
; AccumOffset: 256
; Occupancy: 2
; WaveLimiterHint : 0
; COMPUTE_PGM_RSRC2:SCRATCH_EN: 1
; COMPUTE_PGM_RSRC2:USER_SGPR: 2
; COMPUTE_PGM_RSRC2:TRAP_HANDLER: 0
; COMPUTE_PGM_RSRC2:TGID_X_EN: 1
; COMPUTE_PGM_RSRC2:TGID_Y_EN: 1
; COMPUTE_PGM_RSRC2:TGID_Z_EN: 0
; COMPUTE_PGM_RSRC2:TIDIG_COMP_CNT: 1
; COMPUTE_PGM_RSRC3_GFX90A:ACCUM_OFFSET: 63
; COMPUTE_PGM_RSRC3_GFX90A:TG_SPLIT: 0
	.section	.text._ZN9rocsolver6v33100L18getf2_small_kernelILi46E19rocblas_complex_numIdEiiPS3_EEvT1_T3_lS5_lPS5_llPT2_S5_S5_S7_l,"axG",@progbits,_ZN9rocsolver6v33100L18getf2_small_kernelILi46E19rocblas_complex_numIdEiiPS3_EEvT1_T3_lS5_lPS5_llPT2_S5_S5_S7_l,comdat
	.globl	_ZN9rocsolver6v33100L18getf2_small_kernelILi46E19rocblas_complex_numIdEiiPS3_EEvT1_T3_lS5_lPS5_llPT2_S5_S5_S7_l ; -- Begin function _ZN9rocsolver6v33100L18getf2_small_kernelILi46E19rocblas_complex_numIdEiiPS3_EEvT1_T3_lS5_lPS5_llPT2_S5_S5_S7_l
	.p2align	8
	.type	_ZN9rocsolver6v33100L18getf2_small_kernelILi46E19rocblas_complex_numIdEiiPS3_EEvT1_T3_lS5_lPS5_llPT2_S5_S5_S7_l,@function
_ZN9rocsolver6v33100L18getf2_small_kernelILi46E19rocblas_complex_numIdEiiPS3_EEvT1_T3_lS5_lPS5_llPT2_S5_S5_S7_l: ; @_ZN9rocsolver6v33100L18getf2_small_kernelILi46E19rocblas_complex_numIdEiiPS3_EEvT1_T3_lS5_lPS5_llPT2_S5_S5_S7_l
; %bb.0:
	s_load_dword s2, s[0:1], 0x6c
	s_load_dwordx2 s[12:13], s[0:1], 0x48
	v_bfe_u32 v184, v0, 10, 10
	s_waitcnt lgkmcnt(0)
	s_lshr_b32 s2, s2, 16
	s_mul_i32 s3, s3, s2
	v_add_u32_e32 v190, s3, v184
	v_cmp_gt_i32_e32 vcc, s12, v190
	s_and_saveexec_b64 s[2:3], vcc
	s_cbranch_execz .LBB90_967
; %bb.1:
	s_load_dwordx4 s[4:7], s[0:1], 0x50
	v_ashrrev_i32_e32 v191, 31, v190
	v_mov_b64_e32 v[192:193], 0
	s_waitcnt lgkmcnt(0)
	s_cmp_eq_u64 s[4:5], 0
	s_cselect_b64 s[14:15], -1, 0
	s_and_b64 vcc, exec, s[14:15]
	s_cbranch_vccnz .LBB90_3
; %bb.2:
	v_mul_lo_u32 v1, s7, v190
	v_mul_lo_u32 v4, s6, v191
	v_mad_u64_u32 v[2:3], s[2:3], s6, v190, 0
	v_add3_u32 v3, v3, v4, v1
	v_lshl_add_u64 v[192:193], v[2:3], 2, s[4:5]
.LBB90_3:
	s_load_dwordx4 s[16:19], s[0:1], 0x8
	s_load_dwordx8 s[4:11], s[0:1], 0x20
	s_load_dword s2, s[0:1], 0x18
	s_load_dword s20, s[0:1], 0x0
	v_and_b32_e32 v199, 0x3ff, v0
	s_waitcnt lgkmcnt(0)
	v_mov_b32_e32 v2, s16
	v_mul_lo_u32 v1, s5, v190
	v_mul_lo_u32 v6, s4, v191
	v_mad_u64_u32 v[4:5], s[4:5], s4, v190, 0
	v_mov_b32_e32 v3, s17
	v_add3_u32 v5, v5, v6, v1
	v_lshl_add_u64 v[2:3], v[4:5], 4, v[2:3]
	s_add_i32 s12, s2, s2
	v_lshl_add_u64 v[188:189], s[18:19], 4, v[2:3]
	v_add_u32_e32 v2, s12, v199
	v_add_u32_e32 v4, s2, v2
	v_add_u32_e32 v6, s2, v4
	v_lshlrev_b32_e32 v194, 4, v199
	v_mov_b32_e32 v195, 0
	v_add_u32_e32 v8, s2, v6
	v_lshl_add_u64 v[0:1], v[188:189], 0, v[194:195]
	s_ashr_i32 s3, s2, 31
	v_ashrrev_i32_e32 v9, 31, v8
	v_add_u32_e32 v12, s2, v8
	v_lshl_add_u64 v[10:11], s[2:3], 4, v[0:1]
	global_load_dwordx4 v[120:123], v[0:1], off
	global_load_dwordx4 v[116:119], v[10:11], off
	v_lshl_add_u64 v[0:1], v[8:9], 4, v[188:189]
	v_ashrrev_i32_e32 v13, 31, v12
	v_add_u32_e32 v8, s2, v12
	v_lshl_add_u64 v[10:11], v[12:13], 4, v[188:189]
	v_add_u32_e32 v12, s2, v8
	v_add_u32_e32 v14, s2, v12
	;; [unrolled: 1-line block ×15, first 2 shown]
	v_ashrrev_i32_e32 v41, 31, v40
	v_lshl_add_u64 v[42:43], v[40:41], 4, v[188:189]
	v_add_u32_e32 v40, s2, v40
	v_ashrrev_i32_e32 v41, 31, v40
	v_lshl_add_u64 v[44:45], v[40:41], 4, v[188:189]
	v_add_u32_e32 v40, s2, v40
	;; [unrolled: 3-line block ×22, first 2 shown]
	v_ashrrev_i32_e32 v41, 31, v40
	v_ashrrev_i32_e32 v3, 31, v2
	;; [unrolled: 1-line block ×19, first 2 shown]
	v_lshl_add_u64 v[218:219], v[40:41], 4, v[188:189]
	v_add_u32_e32 v40, s2, v40
	v_lshl_add_u64 v[2:3], v[2:3], 4, v[188:189]
	v_lshl_add_u64 v[4:5], v[4:5], 4, v[188:189]
	;; [unrolled: 1-line block ×18, first 2 shown]
	v_ashrrev_i32_e32 v41, 31, v40
	v_lshl_add_u64 v[220:221], v[40:41], 4, v[188:189]
	global_load_dwordx4 v[176:179], v[2:3], off
	global_load_dwordx4 v[172:175], v[4:5], off
	;; [unrolled: 1-line block ×5, first 2 shown]
                                        ; kill: killed $vgpr2_vgpr3
                                        ; kill: killed $vgpr4_vgpr5
                                        ; kill: killed $vgpr6_vgpr7
                                        ; kill: killed $vgpr0_vgpr1
                                        ; kill: killed $vgpr10_vgpr11
	global_load_dwordx4 v[156:159], v[8:9], off
	global_load_dwordx4 v[152:155], v[12:13], off
	;; [unrolled: 1-line block ×3, first 2 shown]
                                        ; kill: killed $vgpr8_vgpr9
                                        ; kill: killed $vgpr12_vgpr13
                                        ; kill: killed $vgpr14_vgpr15
	global_load_dwordx4 v[144:147], v[16:17], off
	global_load_dwordx4 v[140:143], v[18:19], off
	;; [unrolled: 1-line block ×20, first 2 shown]
	s_nop 0
	global_load_dwordx4 v[56:59], v[58:59], off
	s_nop 0
	global_load_dwordx4 v[52:55], v[180:181], off
	global_load_dwordx4 v[48:51], v[182:183], off
	global_load_dwordx4 v[44:47], v[186:187], off
	global_load_dwordx4 v[40:43], v[196:197], off
	global_load_dwordx4 v[36:39], v[200:201], off
	global_load_dwordx4 v[32:35], v[202:203], off
	global_load_dwordx4 v[28:31], v[204:205], off
	global_load_dwordx4 v[24:27], v[206:207], off
	global_load_dwordx4 v[20:23], v[208:209], off
	global_load_dwordx4 v[16:19], v[210:211], off
	global_load_dwordx4 v[12:15], v[212:213], off
	global_load_dwordx4 v[8:11], v[214:215], off
	global_load_dwordx4 v[4:7], v[216:217], off
	global_load_dwordx4 v[0:3], v[218:219], off
	global_load_dwordx4 v[180:183], v[220:221], off
	s_load_dwordx2 s[4:5], s[0:1], 0x40
	s_max_i32 s0, s20, 46
	v_mul_lo_u32 v197, s0, v184
	v_lshl_add_u32 v196, v197, 4, 0
	v_add_u32_e32 v184, v196, v194
	s_waitcnt vmcnt(45)
	ds_write2_b64 v184, v[120:121], v[122:123] offset1:1
	s_waitcnt lgkmcnt(0)
	s_barrier
	ds_read2_b64 v[184:187], v196 offset1:1
	s_cmp_lt_i32 s20, 2
	v_lshlrev_b32_e32 v200, 4, v197
	s_cbranch_scc1 .LBB90_6
; %bb.4:
	v_add3_u32 v194, v200, 0, 16
	s_mov_b32 s16, 1
	v_mov_b32_e32 v195, 0
.LBB90_5:                               ; =>This Inner Loop Header: Depth=1
	ds_read2_b64 v[202:205], v194 offset1:1
	s_waitcnt lgkmcnt(1)
	v_xor_b32_e32 v197, 0x80000000, v185
	v_xor_b32_e32 v198, 0x80000000, v187
	v_cmp_gt_f64_e32 vcc, 0, v[186:187]
	v_cmp_gt_f64_e64 s[0:1], 0, v[184:185]
	v_mov_b32_e32 v206, v184
	v_mov_b32_e32 v208, v186
	v_cndmask_b32_e64 v207, v185, v197, s[0:1]
	v_cndmask_b32_e32 v209, v187, v198, vcc
	s_waitcnt lgkmcnt(0)
	v_xor_b32_e32 v197, 0x80000000, v203
	v_xor_b32_e32 v198, 0x80000000, v205
	v_cmp_gt_f64_e32 vcc, 0, v[204:205]
	v_cmp_gt_f64_e64 s[0:1], 0, v[202:203]
	v_add_f64 v[206:207], v[206:207], v[208:209]
	v_mov_b32_e32 v208, v202
	v_mov_b32_e32 v210, v204
	v_cndmask_b32_e64 v209, v203, v197, s[0:1]
	v_cndmask_b32_e32 v211, v205, v198, vcc
	v_add_f64 v[208:209], v[208:209], v[210:211]
	v_mov_b32_e32 v201, s16
	s_add_i32 s16, s16, 1
	v_cmp_lt_f64_e32 vcc, v[206:207], v[208:209]
	v_add_u32_e32 v194, 16, v194
	s_cmp_eq_u32 s20, s16
	v_cndmask_b32_e32 v185, v185, v203, vcc
	v_cndmask_b32_e32 v184, v184, v202, vcc
	;; [unrolled: 1-line block ×5, first 2 shown]
	s_cbranch_scc0 .LBB90_5
.LBB90_6:
	s_waitcnt lgkmcnt(0)
	v_cmp_neq_f64_e32 vcc, 0, v[184:185]
	v_cmp_neq_f64_e64 s[0:1], 0, v[186:187]
	s_or_b64 s[16:17], vcc, s[0:1]
	v_mov_b32_e32 v198, 1
	v_mov_b32_e32 v201, 1
	s_and_saveexec_b64 s[0:1], s[16:17]
	s_cbranch_execz .LBB90_12
; %bb.7:
	v_cmp_ngt_f64_e64 s[16:17], |v[184:185]|, |v[186:187]|
	s_and_saveexec_b64 s[18:19], s[16:17]
	s_xor_b64 s[16:17], exec, s[18:19]
	s_cbranch_execz .LBB90_9
; %bb.8:
	v_div_scale_f64 v[202:203], s[18:19], v[186:187], v[186:187], v[184:185]
	v_rcp_f64_e32 v[204:205], v[202:203]
	v_div_scale_f64 v[206:207], vcc, v[184:185], v[186:187], v[184:185]
	v_fma_f64 v[208:209], -v[202:203], v[204:205], 1.0
	v_fmac_f64_e32 v[204:205], v[204:205], v[208:209]
	v_fma_f64 v[208:209], -v[202:203], v[204:205], 1.0
	v_fmac_f64_e32 v[204:205], v[204:205], v[208:209]
	v_mul_f64 v[208:209], v[206:207], v[204:205]
	v_fma_f64 v[202:203], -v[202:203], v[208:209], v[206:207]
	v_div_fmas_f64 v[202:203], v[202:203], v[204:205], v[208:209]
	v_div_fixup_f64 v[202:203], v[202:203], v[186:187], v[184:185]
	v_fmac_f64_e32 v[186:187], v[184:185], v[202:203]
	v_div_scale_f64 v[184:185], s[18:19], v[186:187], v[186:187], 1.0
	v_rcp_f64_e32 v[204:205], v[184:185]
	s_nop 0
	v_fma_f64 v[206:207], -v[184:185], v[204:205], 1.0
	v_fmac_f64_e32 v[204:205], v[204:205], v[206:207]
	v_fma_f64 v[206:207], -v[184:185], v[204:205], 1.0
	v_fmac_f64_e32 v[204:205], v[204:205], v[206:207]
	v_div_scale_f64 v[206:207], vcc, 1.0, v[186:187], 1.0
	v_mul_f64 v[208:209], v[206:207], v[204:205]
	v_fma_f64 v[184:185], -v[184:185], v[208:209], v[206:207]
	s_nop 1
	v_div_fmas_f64 v[184:185], v[184:185], v[204:205], v[208:209]
	v_div_fixup_f64 v[186:187], v[184:185], v[186:187], 1.0
	v_mul_f64 v[184:185], v[202:203], v[186:187]
	v_xor_b32_e32 v187, 0x80000000, v187
.LBB90_9:
	s_andn2_saveexec_b64 s[16:17], s[16:17]
	s_cbranch_execz .LBB90_11
; %bb.10:
	v_div_scale_f64 v[202:203], s[18:19], v[184:185], v[184:185], v[186:187]
	v_rcp_f64_e32 v[204:205], v[202:203]
	v_div_scale_f64 v[206:207], vcc, v[186:187], v[184:185], v[186:187]
	v_fma_f64 v[208:209], -v[202:203], v[204:205], 1.0
	v_fmac_f64_e32 v[204:205], v[204:205], v[208:209]
	v_fma_f64 v[208:209], -v[202:203], v[204:205], 1.0
	v_fmac_f64_e32 v[204:205], v[204:205], v[208:209]
	v_mul_f64 v[208:209], v[206:207], v[204:205]
	v_fma_f64 v[202:203], -v[202:203], v[208:209], v[206:207]
	v_div_fmas_f64 v[202:203], v[202:203], v[204:205], v[208:209]
	v_div_fixup_f64 v[202:203], v[202:203], v[184:185], v[186:187]
	v_fmac_f64_e32 v[184:185], v[186:187], v[202:203]
	v_div_scale_f64 v[186:187], s[18:19], v[184:185], v[184:185], 1.0
	v_rcp_f64_e32 v[204:205], v[186:187]
	s_nop 0
	v_fma_f64 v[206:207], -v[186:187], v[204:205], 1.0
	v_fmac_f64_e32 v[204:205], v[204:205], v[206:207]
	v_fma_f64 v[206:207], -v[186:187], v[204:205], 1.0
	v_fmac_f64_e32 v[204:205], v[204:205], v[206:207]
	v_div_scale_f64 v[206:207], vcc, 1.0, v[184:185], 1.0
	v_mul_f64 v[208:209], v[206:207], v[204:205]
	v_fma_f64 v[186:187], -v[186:187], v[208:209], v[206:207]
	s_nop 1
	v_div_fmas_f64 v[186:187], v[186:187], v[204:205], v[208:209]
	v_div_fixup_f64 v[184:185], v[186:187], v[184:185], 1.0
	v_mul_f64 v[186:187], v[202:203], -v[184:185]
.LBB90_11:
	s_or_b64 exec, exec, s[16:17]
	v_mov_b32_e32 v201, 0
	v_mov_b32_e32 v198, 2
.LBB90_12:
	s_or_b64 exec, exec, s[0:1]
	v_cmp_ne_u32_e32 vcc, v199, v195
	s_and_saveexec_b64 s[0:1], vcc
	s_xor_b64 s[0:1], exec, s[0:1]
	s_cbranch_execz .LBB90_18
; %bb.13:
	v_cmp_eq_u32_e32 vcc, 0, v199
	s_and_saveexec_b64 s[16:17], vcc
	s_cbranch_execz .LBB90_17
; %bb.14:
	v_cmp_ne_u32_e32 vcc, 0, v195
	s_xor_b64 s[18:19], s[14:15], -1
	s_and_b64 s[22:23], s[18:19], vcc
	s_and_saveexec_b64 s[18:19], s[22:23]
	s_cbranch_execz .LBB90_16
; %bb.15:
	v_ashrrev_i32_e32 v203, 31, v195
	v_mov_b32_e32 v202, v195
	v_lshl_add_u64 v[202:203], v[202:203], 2, v[192:193]
	global_load_dword v194, v[202:203], off
	global_load_dword v197, v[192:193], off
	s_waitcnt vmcnt(1)
	global_store_dword v[192:193], v194, off
	s_waitcnt vmcnt(1)
	global_store_dword v[202:203], v197, off
.LBB90_16:
	s_or_b64 exec, exec, s[18:19]
	v_mov_b32_e32 v199, v195
.LBB90_17:
	s_or_b64 exec, exec, s[16:17]
.LBB90_18:
	s_or_saveexec_b64 s[0:1], s[0:1]
	v_mov_b32_e32 v197, v199
	s_xor_b64 exec, exec, s[0:1]
	s_cbranch_execz .LBB90_20
; %bb.19:
	v_mov_b32_e32 v197, 0
	s_waitcnt vmcnt(44)
	ds_write2_b64 v196, v[116:117], v[118:119] offset0:2 offset1:3
	s_waitcnt vmcnt(43)
	ds_write2_b64 v196, v[176:177], v[178:179] offset0:4 offset1:5
	;; [unrolled: 2-line block ×45, first 2 shown]
.LBB90_20:
	s_or_b64 exec, exec, s[0:1]
	v_cmp_lt_i32_e32 vcc, 0, v197
	s_waitcnt lgkmcnt(0)
	s_barrier
	s_and_saveexec_b64 s[0:1], vcc
	s_cbranch_execz .LBB90_22
; %bb.21:
	ds_read2_b64 v[202:205], v196 offset0:2 offset1:3
	v_mul_f64 v[194:195], v[186:187], v[122:123]
	v_mul_f64 v[122:123], v[184:185], v[122:123]
	v_fmac_f64_e32 v[122:123], v[186:187], v[120:121]
	v_fma_f64 v[194:195], v[184:185], v[120:121], -v[194:195]
	ds_read2_b64 v[184:187], v196 offset0:4 offset1:5
	s_waitcnt lgkmcnt(1)
	v_mul_f64 v[120:121], v[204:205], v[122:123]
	v_fma_f64 v[120:121], v[202:203], v[194:195], -v[120:121]
	v_mul_f64 v[202:203], v[202:203], v[122:123]
	v_fmac_f64_e32 v[202:203], v[204:205], v[194:195]
	s_waitcnt vmcnt(44)
	v_add_f64 v[118:119], v[118:119], -v[202:203]
	ds_read2_b64 v[202:205], v196 offset0:6 offset1:7
	v_add_f64 v[116:117], v[116:117], -v[120:121]
	s_waitcnt lgkmcnt(1)
	v_mul_f64 v[120:121], v[186:187], v[122:123]
	v_fma_f64 v[120:121], v[184:185], v[194:195], -v[120:121]
	v_mul_f64 v[184:185], v[184:185], v[122:123]
	v_fmac_f64_e32 v[184:185], v[186:187], v[194:195]
	s_waitcnt vmcnt(43)
	v_add_f64 v[176:177], v[176:177], -v[120:121]
	v_add_f64 v[178:179], v[178:179], -v[184:185]
	ds_read2_b64 v[184:187], v196 offset0:8 offset1:9
	s_waitcnt lgkmcnt(1)
	v_mul_f64 v[120:121], v[204:205], v[122:123]
	v_fma_f64 v[120:121], v[202:203], v[194:195], -v[120:121]
	v_mul_f64 v[202:203], v[202:203], v[122:123]
	v_fmac_f64_e32 v[202:203], v[204:205], v[194:195]
	s_waitcnt vmcnt(42)
	v_add_f64 v[174:175], v[174:175], -v[202:203]
	ds_read2_b64 v[202:205], v196 offset0:10 offset1:11
	v_add_f64 v[172:173], v[172:173], -v[120:121]
	s_waitcnt lgkmcnt(1)
	v_mul_f64 v[120:121], v[186:187], v[122:123]
	v_fma_f64 v[120:121], v[184:185], v[194:195], -v[120:121]
	v_mul_f64 v[184:185], v[184:185], v[122:123]
	v_fmac_f64_e32 v[184:185], v[186:187], v[194:195]
	s_waitcnt vmcnt(41)
	v_add_f64 v[168:169], v[168:169], -v[120:121]
	v_add_f64 v[170:171], v[170:171], -v[184:185]
	;; [unrolled: 18-line block ×22, first 2 shown]
	s_waitcnt lgkmcnt(0)
	v_mul_f64 v[120:121], v[204:205], v[122:123]
	v_mul_f64 v[184:185], v[202:203], v[122:123]
	v_fma_f64 v[120:121], v[202:203], v[194:195], -v[120:121]
	v_fmac_f64_e32 v[184:185], v[204:205], v[194:195]
	s_waitcnt vmcnt(0)
	v_add_f64 v[180:181], v[180:181], -v[120:121]
	v_add_f64 v[182:183], v[182:183], -v[184:185]
	v_mov_b64_e32 v[120:121], v[194:195]
.LBB90_22:
	s_or_b64 exec, exec, s[0:1]
	v_lshl_add_u32 v184, v197, 4, v196
	s_barrier
	s_waitcnt vmcnt(44)
	ds_write2_b64 v184, v[116:117], v[118:119] offset1:1
	s_waitcnt lgkmcnt(0)
	s_barrier
	ds_read2_b64 v[184:187], v196 offset0:2 offset1:3
	s_cmp_lt_i32 s20, 3
	v_mov_b32_e32 v194, 1
	s_cbranch_scc1 .LBB90_25
; %bb.23:
	v_add3_u32 v195, v200, 0, 32
	s_mov_b32 s16, 2
	v_mov_b32_e32 v194, 1
.LBB90_24:                              ; =>This Inner Loop Header: Depth=1
	ds_read2_b64 v[202:205], v195 offset1:1
	s_waitcnt lgkmcnt(1)
	v_xor_b32_e32 v207, 0x80000000, v185
	v_xor_b32_e32 v209, 0x80000000, v187
	v_cmp_gt_f64_e32 vcc, 0, v[186:187]
	v_cmp_gt_f64_e64 s[0:1], 0, v[184:185]
	v_mov_b32_e32 v206, v184
	v_mov_b32_e32 v208, v186
	v_cndmask_b32_e64 v207, v185, v207, s[0:1]
	v_cndmask_b32_e32 v209, v187, v209, vcc
	v_add_f64 v[206:207], v[206:207], v[208:209]
	s_waitcnt lgkmcnt(0)
	v_xor_b32_e32 v209, 0x80000000, v203
	v_xor_b32_e32 v211, 0x80000000, v205
	v_cmp_gt_f64_e32 vcc, 0, v[204:205]
	v_cmp_gt_f64_e64 s[0:1], 0, v[202:203]
	v_mov_b32_e32 v208, v202
	v_mov_b32_e32 v210, v204
	v_cndmask_b32_e64 v209, v203, v209, s[0:1]
	v_cndmask_b32_e32 v211, v205, v211, vcc
	v_add_f64 v[208:209], v[208:209], v[210:211]
	v_mov_b32_e32 v212, s16
	s_add_i32 s16, s16, 1
	v_cmp_lt_f64_e32 vcc, v[206:207], v[208:209]
	v_add_u32_e32 v195, 16, v195
	s_cmp_lg_u32 s20, s16
	v_cndmask_b32_e32 v185, v185, v203, vcc
	v_cndmask_b32_e32 v184, v184, v202, vcc
	;; [unrolled: 1-line block ×5, first 2 shown]
	s_cbranch_scc1 .LBB90_24
.LBB90_25:
	s_waitcnt lgkmcnt(0)
	v_cmp_neq_f64_e32 vcc, 0, v[184:185]
	v_cmp_neq_f64_e64 s[0:1], 0, v[186:187]
	s_or_b64 s[16:17], vcc, s[0:1]
	s_and_saveexec_b64 s[0:1], s[16:17]
	s_cbranch_execz .LBB90_31
; %bb.26:
	v_cmp_ngt_f64_e64 s[16:17], |v[184:185]|, |v[186:187]|
	s_and_saveexec_b64 s[18:19], s[16:17]
	s_xor_b64 s[16:17], exec, s[18:19]
	s_cbranch_execz .LBB90_28
; %bb.27:
	v_div_scale_f64 v[202:203], s[18:19], v[186:187], v[186:187], v[184:185]
	v_rcp_f64_e32 v[204:205], v[202:203]
	v_div_scale_f64 v[206:207], vcc, v[184:185], v[186:187], v[184:185]
	v_fma_f64 v[208:209], -v[202:203], v[204:205], 1.0
	v_fmac_f64_e32 v[204:205], v[204:205], v[208:209]
	v_fma_f64 v[208:209], -v[202:203], v[204:205], 1.0
	v_fmac_f64_e32 v[204:205], v[204:205], v[208:209]
	v_mul_f64 v[208:209], v[206:207], v[204:205]
	v_fma_f64 v[202:203], -v[202:203], v[208:209], v[206:207]
	v_div_fmas_f64 v[202:203], v[202:203], v[204:205], v[208:209]
	v_div_fixup_f64 v[202:203], v[202:203], v[186:187], v[184:185]
	v_fmac_f64_e32 v[186:187], v[184:185], v[202:203]
	v_div_scale_f64 v[184:185], s[18:19], v[186:187], v[186:187], 1.0
	v_rcp_f64_e32 v[204:205], v[184:185]
	s_nop 0
	v_fma_f64 v[206:207], -v[184:185], v[204:205], 1.0
	v_fmac_f64_e32 v[204:205], v[204:205], v[206:207]
	v_fma_f64 v[206:207], -v[184:185], v[204:205], 1.0
	v_fmac_f64_e32 v[204:205], v[204:205], v[206:207]
	v_div_scale_f64 v[206:207], vcc, 1.0, v[186:187], 1.0
	v_mul_f64 v[208:209], v[206:207], v[204:205]
	v_fma_f64 v[184:185], -v[184:185], v[208:209], v[206:207]
	s_nop 1
	v_div_fmas_f64 v[184:185], v[184:185], v[204:205], v[208:209]
	v_div_fixup_f64 v[186:187], v[184:185], v[186:187], 1.0
	v_mul_f64 v[184:185], v[202:203], v[186:187]
	v_xor_b32_e32 v187, 0x80000000, v187
.LBB90_28:
	s_andn2_saveexec_b64 s[16:17], s[16:17]
	s_cbranch_execz .LBB90_30
; %bb.29:
	v_div_scale_f64 v[202:203], s[18:19], v[184:185], v[184:185], v[186:187]
	v_rcp_f64_e32 v[204:205], v[202:203]
	v_div_scale_f64 v[206:207], vcc, v[186:187], v[184:185], v[186:187]
	v_fma_f64 v[208:209], -v[202:203], v[204:205], 1.0
	v_fmac_f64_e32 v[204:205], v[204:205], v[208:209]
	v_fma_f64 v[208:209], -v[202:203], v[204:205], 1.0
	v_fmac_f64_e32 v[204:205], v[204:205], v[208:209]
	v_mul_f64 v[208:209], v[206:207], v[204:205]
	v_fma_f64 v[202:203], -v[202:203], v[208:209], v[206:207]
	v_div_fmas_f64 v[202:203], v[202:203], v[204:205], v[208:209]
	v_div_fixup_f64 v[202:203], v[202:203], v[184:185], v[186:187]
	v_fmac_f64_e32 v[184:185], v[186:187], v[202:203]
	v_div_scale_f64 v[186:187], s[18:19], v[184:185], v[184:185], 1.0
	v_rcp_f64_e32 v[204:205], v[186:187]
	s_nop 0
	v_fma_f64 v[206:207], -v[186:187], v[204:205], 1.0
	v_fmac_f64_e32 v[204:205], v[204:205], v[206:207]
	v_fma_f64 v[206:207], -v[186:187], v[204:205], 1.0
	v_fmac_f64_e32 v[204:205], v[204:205], v[206:207]
	v_div_scale_f64 v[206:207], vcc, 1.0, v[184:185], 1.0
	v_mul_f64 v[208:209], v[206:207], v[204:205]
	v_fma_f64 v[186:187], -v[186:187], v[208:209], v[206:207]
	s_nop 1
	v_div_fmas_f64 v[186:187], v[186:187], v[204:205], v[208:209]
	v_div_fixup_f64 v[184:185], v[186:187], v[184:185], 1.0
	v_mul_f64 v[186:187], v[202:203], -v[184:185]
.LBB90_30:
	s_or_b64 exec, exec, s[16:17]
	v_mov_b32_e32 v198, v201
.LBB90_31:
	s_or_b64 exec, exec, s[0:1]
	v_cmp_ne_u32_e32 vcc, v197, v194
	s_and_saveexec_b64 s[0:1], vcc
	s_xor_b64 s[0:1], exec, s[0:1]
	s_cbranch_execz .LBB90_37
; %bb.32:
	v_cmp_eq_u32_e32 vcc, 1, v197
	s_and_saveexec_b64 s[16:17], vcc
	s_cbranch_execz .LBB90_36
; %bb.33:
	v_cmp_ne_u32_e32 vcc, 1, v194
	s_xor_b64 s[18:19], s[14:15], -1
	s_and_b64 s[22:23], s[18:19], vcc
	s_and_saveexec_b64 s[18:19], s[22:23]
	s_cbranch_execz .LBB90_35
; %bb.34:
	v_ashrrev_i32_e32 v195, 31, v194
	v_lshl_add_u64 v[202:203], v[194:195], 2, v[192:193]
	global_load_dword v195, v[202:203], off
	global_load_dword v197, v[192:193], off offset:4
	s_waitcnt vmcnt(1)
	global_store_dword v[192:193], v195, off offset:4
	s_waitcnt vmcnt(1)
	global_store_dword v[202:203], v197, off
.LBB90_35:
	s_or_b64 exec, exec, s[18:19]
	v_mov_b32_e32 v197, v194
	v_mov_b32_e32 v199, v194
.LBB90_36:
	s_or_b64 exec, exec, s[16:17]
.LBB90_37:
	s_andn2_saveexec_b64 s[0:1], s[0:1]
	s_cbranch_execz .LBB90_39
; %bb.38:
	v_mov_b32_e32 v197, 1
	s_waitcnt vmcnt(43)
	ds_write2_b64 v196, v[176:177], v[178:179] offset0:4 offset1:5
	s_waitcnt vmcnt(42)
	ds_write2_b64 v196, v[172:173], v[174:175] offset0:6 offset1:7
	;; [unrolled: 2-line block ×44, first 2 shown]
.LBB90_39:
	s_or_b64 exec, exec, s[0:1]
	v_cmp_lt_i32_e32 vcc, 1, v197
	s_waitcnt lgkmcnt(0)
	s_barrier
	s_and_saveexec_b64 s[0:1], vcc
	s_cbranch_execz .LBB90_41
; %bb.40:
	ds_read2_b64 v[202:205], v196 offset0:4 offset1:5
	v_mul_f64 v[194:195], v[186:187], v[118:119]
	v_mul_f64 v[118:119], v[184:185], v[118:119]
	v_fma_f64 v[194:195], v[184:185], v[116:117], -v[194:195]
	v_fmac_f64_e32 v[118:119], v[186:187], v[116:117]
	ds_read2_b64 v[184:187], v196 offset0:6 offset1:7
	s_waitcnt lgkmcnt(1)
	v_mul_f64 v[116:117], v[204:205], v[118:119]
	v_fma_f64 v[116:117], v[202:203], v[194:195], -v[116:117]
	v_mul_f64 v[202:203], v[202:203], v[118:119]
	v_fmac_f64_e32 v[202:203], v[204:205], v[194:195]
	s_waitcnt vmcnt(43)
	v_add_f64 v[176:177], v[176:177], -v[116:117]
	s_waitcnt lgkmcnt(0)
	v_mul_f64 v[116:117], v[186:187], v[118:119]
	v_add_f64 v[178:179], v[178:179], -v[202:203]
	v_fma_f64 v[116:117], v[184:185], v[194:195], -v[116:117]
	v_mul_f64 v[184:185], v[184:185], v[118:119]
	ds_read2_b64 v[202:205], v196 offset0:8 offset1:9
	v_fmac_f64_e32 v[184:185], v[186:187], v[194:195]
	s_waitcnt vmcnt(42)
	v_add_f64 v[174:175], v[174:175], -v[184:185]
	ds_read2_b64 v[184:187], v196 offset0:10 offset1:11
	v_add_f64 v[172:173], v[172:173], -v[116:117]
	s_waitcnt lgkmcnt(1)
	v_mul_f64 v[116:117], v[204:205], v[118:119]
	v_fma_f64 v[116:117], v[202:203], v[194:195], -v[116:117]
	v_mul_f64 v[202:203], v[202:203], v[118:119]
	v_fmac_f64_e32 v[202:203], v[204:205], v[194:195]
	s_waitcnt vmcnt(41)
	v_add_f64 v[168:169], v[168:169], -v[116:117]
	s_waitcnt lgkmcnt(0)
	v_mul_f64 v[116:117], v[186:187], v[118:119]
	v_add_f64 v[170:171], v[170:171], -v[202:203]
	v_fma_f64 v[116:117], v[184:185], v[194:195], -v[116:117]
	v_mul_f64 v[184:185], v[184:185], v[118:119]
	ds_read2_b64 v[202:205], v196 offset0:12 offset1:13
	v_fmac_f64_e32 v[184:185], v[186:187], v[194:195]
	s_waitcnt vmcnt(40)
	v_add_f64 v[166:167], v[166:167], -v[184:185]
	ds_read2_b64 v[184:187], v196 offset0:14 offset1:15
	v_add_f64 v[164:165], v[164:165], -v[116:117]
	;; [unrolled: 18-line block ×21, first 2 shown]
	s_waitcnt lgkmcnt(1)
	v_mul_f64 v[116:117], v[204:205], v[118:119]
	v_fma_f64 v[116:117], v[202:203], v[194:195], -v[116:117]
	s_waitcnt vmcnt(1)
	v_add_f64 v[0:1], v[0:1], -v[116:117]
	s_waitcnt lgkmcnt(0)
	v_mul_f64 v[116:117], v[186:187], v[118:119]
	v_mul_f64 v[202:203], v[202:203], v[118:119]
	v_fma_f64 v[116:117], v[184:185], v[194:195], -v[116:117]
	v_mul_f64 v[184:185], v[184:185], v[118:119]
	v_fmac_f64_e32 v[202:203], v[204:205], v[194:195]
	v_fmac_f64_e32 v[184:185], v[186:187], v[194:195]
	v_add_f64 v[2:3], v[2:3], -v[202:203]
	s_waitcnt vmcnt(0)
	v_add_f64 v[180:181], v[180:181], -v[116:117]
	v_add_f64 v[182:183], v[182:183], -v[184:185]
	v_mov_b64_e32 v[116:117], v[194:195]
.LBB90_41:
	s_or_b64 exec, exec, s[0:1]
	v_lshl_add_u32 v184, v197, 4, v196
	s_barrier
	s_waitcnt vmcnt(43)
	ds_write2_b64 v184, v[176:177], v[178:179] offset1:1
	s_waitcnt lgkmcnt(0)
	s_barrier
	ds_read2_b64 v[184:187], v196 offset0:4 offset1:5
	s_cmp_lt_i32 s20, 4
	v_mov_b32_e32 v194, 2
	s_cbranch_scc1 .LBB90_44
; %bb.42:
	v_add3_u32 v195, v200, 0, 48
	s_mov_b32 s16, 3
	v_mov_b32_e32 v194, 2
.LBB90_43:                              ; =>This Inner Loop Header: Depth=1
	ds_read2_b64 v[202:205], v195 offset1:1
	s_waitcnt lgkmcnt(1)
	v_xor_b32_e32 v201, 0x80000000, v185
	v_xor_b32_e32 v209, 0x80000000, v187
	v_cmp_gt_f64_e32 vcc, 0, v[186:187]
	v_cmp_gt_f64_e64 s[0:1], 0, v[184:185]
	v_mov_b32_e32 v206, v184
	v_mov_b32_e32 v208, v186
	v_cndmask_b32_e64 v207, v185, v201, s[0:1]
	v_cndmask_b32_e32 v209, v187, v209, vcc
	s_waitcnt lgkmcnt(0)
	v_xor_b32_e32 v201, 0x80000000, v203
	v_xor_b32_e32 v211, 0x80000000, v205
	v_cmp_gt_f64_e32 vcc, 0, v[204:205]
	v_cmp_gt_f64_e64 s[0:1], 0, v[202:203]
	v_add_f64 v[206:207], v[206:207], v[208:209]
	v_mov_b32_e32 v208, v202
	v_mov_b32_e32 v210, v204
	v_cndmask_b32_e64 v209, v203, v201, s[0:1]
	v_cndmask_b32_e32 v211, v205, v211, vcc
	v_add_f64 v[208:209], v[208:209], v[210:211]
	v_mov_b32_e32 v212, s16
	s_add_i32 s16, s16, 1
	v_cmp_lt_f64_e32 vcc, v[206:207], v[208:209]
	v_add_u32_e32 v195, 16, v195
	s_cmp_lg_u32 s20, s16
	v_cndmask_b32_e32 v185, v185, v203, vcc
	v_cndmask_b32_e32 v184, v184, v202, vcc
	;; [unrolled: 1-line block ×5, first 2 shown]
	s_cbranch_scc1 .LBB90_43
.LBB90_44:
	s_waitcnt lgkmcnt(0)
	v_cmp_eq_f64_e32 vcc, 0, v[184:185]
	v_cmp_eq_f64_e64 s[0:1], 0, v[186:187]
	s_and_b64 s[0:1], vcc, s[0:1]
	s_and_saveexec_b64 s[16:17], s[0:1]
	s_xor_b64 s[0:1], exec, s[16:17]
; %bb.45:
	v_cmp_ne_u32_e32 vcc, 0, v198
	s_nop 1
	v_cndmask_b32_e32 v198, 3, v198, vcc
; %bb.46:
	s_andn2_saveexec_b64 s[0:1], s[0:1]
	s_cbranch_execz .LBB90_52
; %bb.47:
	v_cmp_ngt_f64_e64 s[16:17], |v[184:185]|, |v[186:187]|
	s_and_saveexec_b64 s[18:19], s[16:17]
	s_xor_b64 s[16:17], exec, s[18:19]
	s_cbranch_execz .LBB90_49
; %bb.48:
	v_div_scale_f64 v[202:203], s[18:19], v[186:187], v[186:187], v[184:185]
	v_rcp_f64_e32 v[204:205], v[202:203]
	v_div_scale_f64 v[206:207], vcc, v[184:185], v[186:187], v[184:185]
	v_fma_f64 v[208:209], -v[202:203], v[204:205], 1.0
	v_fmac_f64_e32 v[204:205], v[204:205], v[208:209]
	v_fma_f64 v[208:209], -v[202:203], v[204:205], 1.0
	v_fmac_f64_e32 v[204:205], v[204:205], v[208:209]
	v_mul_f64 v[208:209], v[206:207], v[204:205]
	v_fma_f64 v[202:203], -v[202:203], v[208:209], v[206:207]
	v_div_fmas_f64 v[202:203], v[202:203], v[204:205], v[208:209]
	v_div_fixup_f64 v[202:203], v[202:203], v[186:187], v[184:185]
	v_fmac_f64_e32 v[186:187], v[184:185], v[202:203]
	v_div_scale_f64 v[184:185], s[18:19], v[186:187], v[186:187], 1.0
	v_rcp_f64_e32 v[204:205], v[184:185]
	s_nop 0
	v_fma_f64 v[206:207], -v[184:185], v[204:205], 1.0
	v_fmac_f64_e32 v[204:205], v[204:205], v[206:207]
	v_fma_f64 v[206:207], -v[184:185], v[204:205], 1.0
	v_fmac_f64_e32 v[204:205], v[204:205], v[206:207]
	v_div_scale_f64 v[206:207], vcc, 1.0, v[186:187], 1.0
	v_mul_f64 v[208:209], v[206:207], v[204:205]
	v_fma_f64 v[184:185], -v[184:185], v[208:209], v[206:207]
	s_nop 1
	v_div_fmas_f64 v[184:185], v[184:185], v[204:205], v[208:209]
	v_div_fixup_f64 v[186:187], v[184:185], v[186:187], 1.0
	v_mul_f64 v[184:185], v[202:203], v[186:187]
	v_xor_b32_e32 v187, 0x80000000, v187
.LBB90_49:
	s_andn2_saveexec_b64 s[16:17], s[16:17]
	s_cbranch_execz .LBB90_51
; %bb.50:
	v_div_scale_f64 v[202:203], s[18:19], v[184:185], v[184:185], v[186:187]
	v_rcp_f64_e32 v[204:205], v[202:203]
	v_div_scale_f64 v[206:207], vcc, v[186:187], v[184:185], v[186:187]
	v_fma_f64 v[208:209], -v[202:203], v[204:205], 1.0
	v_fmac_f64_e32 v[204:205], v[204:205], v[208:209]
	v_fma_f64 v[208:209], -v[202:203], v[204:205], 1.0
	v_fmac_f64_e32 v[204:205], v[204:205], v[208:209]
	v_mul_f64 v[208:209], v[206:207], v[204:205]
	v_fma_f64 v[202:203], -v[202:203], v[208:209], v[206:207]
	v_div_fmas_f64 v[202:203], v[202:203], v[204:205], v[208:209]
	v_div_fixup_f64 v[202:203], v[202:203], v[184:185], v[186:187]
	v_fmac_f64_e32 v[184:185], v[186:187], v[202:203]
	v_div_scale_f64 v[186:187], s[18:19], v[184:185], v[184:185], 1.0
	v_rcp_f64_e32 v[204:205], v[186:187]
	s_nop 0
	v_fma_f64 v[206:207], -v[186:187], v[204:205], 1.0
	v_fmac_f64_e32 v[204:205], v[204:205], v[206:207]
	v_fma_f64 v[206:207], -v[186:187], v[204:205], 1.0
	v_fmac_f64_e32 v[204:205], v[204:205], v[206:207]
	v_div_scale_f64 v[206:207], vcc, 1.0, v[184:185], 1.0
	v_mul_f64 v[208:209], v[206:207], v[204:205]
	v_fma_f64 v[186:187], -v[186:187], v[208:209], v[206:207]
	s_nop 1
	v_div_fmas_f64 v[186:187], v[186:187], v[204:205], v[208:209]
	v_div_fixup_f64 v[184:185], v[186:187], v[184:185], 1.0
	v_mul_f64 v[186:187], v[202:203], -v[184:185]
.LBB90_51:
	s_or_b64 exec, exec, s[16:17]
.LBB90_52:
	s_or_b64 exec, exec, s[0:1]
	v_cmp_ne_u32_e32 vcc, v197, v194
	s_and_saveexec_b64 s[0:1], vcc
	s_xor_b64 s[0:1], exec, s[0:1]
	s_cbranch_execz .LBB90_58
; %bb.53:
	v_cmp_eq_u32_e32 vcc, 2, v197
	s_and_saveexec_b64 s[16:17], vcc
	s_cbranch_execz .LBB90_57
; %bb.54:
	v_cmp_ne_u32_e32 vcc, 2, v194
	s_xor_b64 s[18:19], s[14:15], -1
	s_and_b64 s[22:23], s[18:19], vcc
	s_and_saveexec_b64 s[18:19], s[22:23]
	s_cbranch_execz .LBB90_56
; %bb.55:
	v_ashrrev_i32_e32 v195, 31, v194
	v_lshl_add_u64 v[202:203], v[194:195], 2, v[192:193]
	global_load_dword v195, v[202:203], off
	global_load_dword v197, v[192:193], off offset:8
	s_waitcnt vmcnt(1)
	global_store_dword v[192:193], v195, off offset:8
	s_waitcnt vmcnt(1)
	global_store_dword v[202:203], v197, off
.LBB90_56:
	s_or_b64 exec, exec, s[18:19]
	v_mov_b32_e32 v197, v194
	v_mov_b32_e32 v199, v194
.LBB90_57:
	s_or_b64 exec, exec, s[16:17]
.LBB90_58:
	s_andn2_saveexec_b64 s[0:1], s[0:1]
	s_cbranch_execz .LBB90_60
; %bb.59:
	v_mov_b32_e32 v197, 2
	s_waitcnt vmcnt(42)
	ds_write2_b64 v196, v[172:173], v[174:175] offset0:6 offset1:7
	s_waitcnt vmcnt(41)
	ds_write2_b64 v196, v[168:169], v[170:171] offset0:8 offset1:9
	;; [unrolled: 2-line block ×43, first 2 shown]
.LBB90_60:
	s_or_b64 exec, exec, s[0:1]
	v_cmp_lt_i32_e32 vcc, 2, v197
	s_waitcnt lgkmcnt(0)
	s_barrier
	s_and_saveexec_b64 s[0:1], vcc
	s_cbranch_execz .LBB90_62
; %bb.61:
	ds_read2_b64 v[202:205], v196 offset0:6 offset1:7
	v_mul_f64 v[194:195], v[186:187], v[178:179]
	v_mul_f64 v[178:179], v[184:185], v[178:179]
	v_fmac_f64_e32 v[178:179], v[186:187], v[176:177]
	v_fma_f64 v[194:195], v[184:185], v[176:177], -v[194:195]
	ds_read2_b64 v[184:187], v196 offset0:8 offset1:9
	s_waitcnt lgkmcnt(1)
	v_mul_f64 v[176:177], v[204:205], v[178:179]
	v_fma_f64 v[176:177], v[202:203], v[194:195], -v[176:177]
	v_mul_f64 v[202:203], v[202:203], v[178:179]
	v_fmac_f64_e32 v[202:203], v[204:205], v[194:195]
	s_waitcnt vmcnt(42)
	v_add_f64 v[174:175], v[174:175], -v[202:203]
	ds_read2_b64 v[202:205], v196 offset0:10 offset1:11
	v_add_f64 v[172:173], v[172:173], -v[176:177]
	s_waitcnt lgkmcnt(1)
	v_mul_f64 v[176:177], v[186:187], v[178:179]
	v_fma_f64 v[176:177], v[184:185], v[194:195], -v[176:177]
	v_mul_f64 v[184:185], v[184:185], v[178:179]
	v_fmac_f64_e32 v[184:185], v[186:187], v[194:195]
	s_waitcnt vmcnt(41)
	v_add_f64 v[168:169], v[168:169], -v[176:177]
	v_add_f64 v[170:171], v[170:171], -v[184:185]
	ds_read2_b64 v[184:187], v196 offset0:12 offset1:13
	s_waitcnt lgkmcnt(1)
	v_mul_f64 v[176:177], v[204:205], v[178:179]
	v_fma_f64 v[176:177], v[202:203], v[194:195], -v[176:177]
	v_mul_f64 v[202:203], v[202:203], v[178:179]
	v_fmac_f64_e32 v[202:203], v[204:205], v[194:195]
	s_waitcnt vmcnt(40)
	v_add_f64 v[166:167], v[166:167], -v[202:203]
	ds_read2_b64 v[202:205], v196 offset0:14 offset1:15
	v_add_f64 v[164:165], v[164:165], -v[176:177]
	s_waitcnt lgkmcnt(1)
	v_mul_f64 v[176:177], v[186:187], v[178:179]
	v_fma_f64 v[176:177], v[184:185], v[194:195], -v[176:177]
	v_mul_f64 v[184:185], v[184:185], v[178:179]
	v_fmac_f64_e32 v[184:185], v[186:187], v[194:195]
	s_waitcnt vmcnt(39)
	v_add_f64 v[160:161], v[160:161], -v[176:177]
	v_add_f64 v[162:163], v[162:163], -v[184:185]
	;; [unrolled: 18-line block ×21, first 2 shown]
	s_waitcnt lgkmcnt(0)
	v_mul_f64 v[176:177], v[204:205], v[178:179]
	v_mul_f64 v[184:185], v[202:203], v[178:179]
	v_fma_f64 v[176:177], v[202:203], v[194:195], -v[176:177]
	v_fmac_f64_e32 v[184:185], v[204:205], v[194:195]
	s_waitcnt vmcnt(0)
	v_add_f64 v[180:181], v[180:181], -v[176:177]
	v_add_f64 v[182:183], v[182:183], -v[184:185]
	v_mov_b64_e32 v[176:177], v[194:195]
.LBB90_62:
	s_or_b64 exec, exec, s[0:1]
	v_lshl_add_u32 v184, v197, 4, v196
	s_barrier
	s_waitcnt vmcnt(42)
	ds_write2_b64 v184, v[172:173], v[174:175] offset1:1
	s_waitcnt lgkmcnt(0)
	s_barrier
	ds_read2_b64 v[184:187], v196 offset0:6 offset1:7
	s_mov_b32 s16, 4
	s_cmp_lt_i32 s20, 5
	v_mov_b32_e32 v194, 3
	s_cbranch_scc1 .LBB90_65
; %bb.63:
	v_add3_u32 v195, v200, 0, 64
	v_mov_b32_e32 v194, 3
.LBB90_64:                              ; =>This Inner Loop Header: Depth=1
	ds_read2_b64 v[200:203], v195 offset1:1
	s_waitcnt lgkmcnt(1)
	v_xor_b32_e32 v205, 0x80000000, v185
	v_xor_b32_e32 v207, 0x80000000, v187
	v_cmp_gt_f64_e32 vcc, 0, v[186:187]
	v_cmp_gt_f64_e64 s[0:1], 0, v[184:185]
	v_mov_b32_e32 v204, v184
	v_mov_b32_e32 v206, v186
	v_cndmask_b32_e64 v205, v185, v205, s[0:1]
	v_cndmask_b32_e32 v207, v187, v207, vcc
	v_add_f64 v[204:205], v[204:205], v[206:207]
	s_waitcnt lgkmcnt(0)
	v_xor_b32_e32 v207, 0x80000000, v201
	v_xor_b32_e32 v209, 0x80000000, v203
	v_cmp_gt_f64_e32 vcc, 0, v[202:203]
	v_cmp_gt_f64_e64 s[0:1], 0, v[200:201]
	v_mov_b32_e32 v206, v200
	v_mov_b32_e32 v208, v202
	v_cndmask_b32_e64 v207, v201, v207, s[0:1]
	v_cndmask_b32_e32 v209, v203, v209, vcc
	v_add_f64 v[206:207], v[206:207], v[208:209]
	v_mov_b32_e32 v210, s16
	s_add_i32 s16, s16, 1
	v_cmp_lt_f64_e32 vcc, v[204:205], v[206:207]
	v_add_u32_e32 v195, 16, v195
	s_cmp_lg_u32 s20, s16
	v_cndmask_b32_e32 v185, v185, v201, vcc
	v_cndmask_b32_e32 v184, v184, v200, vcc
	;; [unrolled: 1-line block ×5, first 2 shown]
	s_cbranch_scc1 .LBB90_64
.LBB90_65:
	s_waitcnt lgkmcnt(0)
	v_cmp_eq_f64_e32 vcc, 0, v[184:185]
	v_cmp_eq_f64_e64 s[0:1], 0, v[186:187]
	s_and_b64 s[0:1], vcc, s[0:1]
	s_and_saveexec_b64 s[16:17], s[0:1]
	s_xor_b64 s[0:1], exec, s[16:17]
; %bb.66:
	v_cmp_ne_u32_e32 vcc, 0, v198
	s_nop 1
	v_cndmask_b32_e32 v198, 4, v198, vcc
; %bb.67:
	s_andn2_saveexec_b64 s[0:1], s[0:1]
	s_cbranch_execz .LBB90_73
; %bb.68:
	v_cmp_ngt_f64_e64 s[16:17], |v[184:185]|, |v[186:187]|
	s_and_saveexec_b64 s[18:19], s[16:17]
	s_xor_b64 s[16:17], exec, s[18:19]
	s_cbranch_execz .LBB90_70
; %bb.69:
	v_div_scale_f64 v[200:201], s[18:19], v[186:187], v[186:187], v[184:185]
	v_rcp_f64_e32 v[202:203], v[200:201]
	v_div_scale_f64 v[204:205], vcc, v[184:185], v[186:187], v[184:185]
	v_fma_f64 v[206:207], -v[200:201], v[202:203], 1.0
	v_fmac_f64_e32 v[202:203], v[202:203], v[206:207]
	v_fma_f64 v[206:207], -v[200:201], v[202:203], 1.0
	v_fmac_f64_e32 v[202:203], v[202:203], v[206:207]
	v_mul_f64 v[206:207], v[204:205], v[202:203]
	v_fma_f64 v[200:201], -v[200:201], v[206:207], v[204:205]
	v_div_fmas_f64 v[200:201], v[200:201], v[202:203], v[206:207]
	v_div_fixup_f64 v[200:201], v[200:201], v[186:187], v[184:185]
	v_fmac_f64_e32 v[186:187], v[184:185], v[200:201]
	v_div_scale_f64 v[184:185], s[18:19], v[186:187], v[186:187], 1.0
	v_rcp_f64_e32 v[202:203], v[184:185]
	s_nop 0
	v_fma_f64 v[204:205], -v[184:185], v[202:203], 1.0
	v_fmac_f64_e32 v[202:203], v[202:203], v[204:205]
	v_fma_f64 v[204:205], -v[184:185], v[202:203], 1.0
	v_fmac_f64_e32 v[202:203], v[202:203], v[204:205]
	v_div_scale_f64 v[204:205], vcc, 1.0, v[186:187], 1.0
	v_mul_f64 v[206:207], v[204:205], v[202:203]
	v_fma_f64 v[184:185], -v[184:185], v[206:207], v[204:205]
	s_nop 1
	v_div_fmas_f64 v[184:185], v[184:185], v[202:203], v[206:207]
	v_div_fixup_f64 v[186:187], v[184:185], v[186:187], 1.0
	v_mul_f64 v[184:185], v[200:201], v[186:187]
	v_xor_b32_e32 v187, 0x80000000, v187
.LBB90_70:
	s_andn2_saveexec_b64 s[16:17], s[16:17]
	s_cbranch_execz .LBB90_72
; %bb.71:
	v_div_scale_f64 v[200:201], s[18:19], v[184:185], v[184:185], v[186:187]
	v_rcp_f64_e32 v[202:203], v[200:201]
	v_div_scale_f64 v[204:205], vcc, v[186:187], v[184:185], v[186:187]
	v_fma_f64 v[206:207], -v[200:201], v[202:203], 1.0
	v_fmac_f64_e32 v[202:203], v[202:203], v[206:207]
	v_fma_f64 v[206:207], -v[200:201], v[202:203], 1.0
	v_fmac_f64_e32 v[202:203], v[202:203], v[206:207]
	v_mul_f64 v[206:207], v[204:205], v[202:203]
	v_fma_f64 v[200:201], -v[200:201], v[206:207], v[204:205]
	v_div_fmas_f64 v[200:201], v[200:201], v[202:203], v[206:207]
	v_div_fixup_f64 v[200:201], v[200:201], v[184:185], v[186:187]
	v_fmac_f64_e32 v[184:185], v[186:187], v[200:201]
	v_div_scale_f64 v[186:187], s[18:19], v[184:185], v[184:185], 1.0
	v_rcp_f64_e32 v[202:203], v[186:187]
	s_nop 0
	v_fma_f64 v[204:205], -v[186:187], v[202:203], 1.0
	v_fmac_f64_e32 v[202:203], v[202:203], v[204:205]
	v_fma_f64 v[204:205], -v[186:187], v[202:203], 1.0
	v_fmac_f64_e32 v[202:203], v[202:203], v[204:205]
	v_div_scale_f64 v[204:205], vcc, 1.0, v[184:185], 1.0
	v_mul_f64 v[206:207], v[204:205], v[202:203]
	v_fma_f64 v[186:187], -v[186:187], v[206:207], v[204:205]
	s_nop 1
	v_div_fmas_f64 v[186:187], v[186:187], v[202:203], v[206:207]
	v_div_fixup_f64 v[184:185], v[186:187], v[184:185], 1.0
	v_mul_f64 v[186:187], v[200:201], -v[184:185]
.LBB90_72:
	s_or_b64 exec, exec, s[16:17]
.LBB90_73:
	s_or_b64 exec, exec, s[0:1]
	v_cmp_ne_u32_e32 vcc, v197, v194
	s_and_saveexec_b64 s[0:1], vcc
	s_xor_b64 s[0:1], exec, s[0:1]
	s_cbranch_execz .LBB90_79
; %bb.74:
	v_cmp_eq_u32_e32 vcc, 3, v197
	s_and_saveexec_b64 s[16:17], vcc
	s_cbranch_execz .LBB90_78
; %bb.75:
	v_cmp_ne_u32_e32 vcc, 3, v194
	s_xor_b64 s[18:19], s[14:15], -1
	s_and_b64 s[22:23], s[18:19], vcc
	s_and_saveexec_b64 s[18:19], s[22:23]
	s_cbranch_execz .LBB90_77
; %bb.76:
	v_ashrrev_i32_e32 v195, 31, v194
	v_lshl_add_u64 v[200:201], v[194:195], 2, v[192:193]
	global_load_dword v195, v[200:201], off
	global_load_dword v197, v[192:193], off offset:12
	s_waitcnt vmcnt(1)
	global_store_dword v[192:193], v195, off offset:12
	s_waitcnt vmcnt(1)
	global_store_dword v[200:201], v197, off
.LBB90_77:
	s_or_b64 exec, exec, s[18:19]
	v_mov_b32_e32 v197, v194
	v_mov_b32_e32 v199, v194
.LBB90_78:
	s_or_b64 exec, exec, s[16:17]
.LBB90_79:
	s_andn2_saveexec_b64 s[0:1], s[0:1]
	s_cbranch_execz .LBB90_81
; %bb.80:
	v_mov_b32_e32 v197, 3
	s_waitcnt vmcnt(41)
	ds_write2_b64 v196, v[168:169], v[170:171] offset0:8 offset1:9
	s_waitcnt vmcnt(40)
	ds_write2_b64 v196, v[164:165], v[166:167] offset0:10 offset1:11
	;; [unrolled: 2-line block ×42, first 2 shown]
.LBB90_81:
	s_or_b64 exec, exec, s[0:1]
	v_cmp_lt_i32_e32 vcc, 3, v197
	s_waitcnt lgkmcnt(0)
	s_barrier
	s_and_saveexec_b64 s[0:1], vcc
	s_cbranch_execz .LBB90_83
; %bb.82:
	ds_read2_b64 v[200:203], v196 offset0:8 offset1:9
	v_mul_f64 v[194:195], v[186:187], v[174:175]
	v_mul_f64 v[174:175], v[184:185], v[174:175]
	v_fma_f64 v[194:195], v[184:185], v[172:173], -v[194:195]
	v_fmac_f64_e32 v[174:175], v[186:187], v[172:173]
	ds_read2_b64 v[184:187], v196 offset0:10 offset1:11
	s_waitcnt lgkmcnt(1)
	v_mul_f64 v[172:173], v[202:203], v[174:175]
	v_fma_f64 v[172:173], v[200:201], v[194:195], -v[172:173]
	v_mul_f64 v[200:201], v[200:201], v[174:175]
	v_fmac_f64_e32 v[200:201], v[202:203], v[194:195]
	s_waitcnt vmcnt(41)
	v_add_f64 v[168:169], v[168:169], -v[172:173]
	s_waitcnt lgkmcnt(0)
	v_mul_f64 v[172:173], v[186:187], v[174:175]
	v_add_f64 v[170:171], v[170:171], -v[200:201]
	v_fma_f64 v[172:173], v[184:185], v[194:195], -v[172:173]
	v_mul_f64 v[184:185], v[184:185], v[174:175]
	ds_read2_b64 v[200:203], v196 offset0:12 offset1:13
	v_fmac_f64_e32 v[184:185], v[186:187], v[194:195]
	s_waitcnt vmcnt(40)
	v_add_f64 v[166:167], v[166:167], -v[184:185]
	ds_read2_b64 v[184:187], v196 offset0:14 offset1:15
	v_add_f64 v[164:165], v[164:165], -v[172:173]
	s_waitcnt lgkmcnt(1)
	v_mul_f64 v[172:173], v[202:203], v[174:175]
	v_fma_f64 v[172:173], v[200:201], v[194:195], -v[172:173]
	v_mul_f64 v[200:201], v[200:201], v[174:175]
	v_fmac_f64_e32 v[200:201], v[202:203], v[194:195]
	s_waitcnt vmcnt(39)
	v_add_f64 v[160:161], v[160:161], -v[172:173]
	s_waitcnt lgkmcnt(0)
	v_mul_f64 v[172:173], v[186:187], v[174:175]
	v_add_f64 v[162:163], v[162:163], -v[200:201]
	v_fma_f64 v[172:173], v[184:185], v[194:195], -v[172:173]
	v_mul_f64 v[184:185], v[184:185], v[174:175]
	ds_read2_b64 v[200:203], v196 offset0:16 offset1:17
	v_fmac_f64_e32 v[184:185], v[186:187], v[194:195]
	s_waitcnt vmcnt(38)
	v_add_f64 v[158:159], v[158:159], -v[184:185]
	ds_read2_b64 v[184:187], v196 offset0:18 offset1:19
	v_add_f64 v[156:157], v[156:157], -v[172:173]
	;; [unrolled: 18-line block ×20, first 2 shown]
	s_waitcnt lgkmcnt(1)
	v_mul_f64 v[172:173], v[202:203], v[174:175]
	v_fma_f64 v[172:173], v[200:201], v[194:195], -v[172:173]
	s_waitcnt vmcnt(1)
	v_add_f64 v[0:1], v[0:1], -v[172:173]
	s_waitcnt lgkmcnt(0)
	v_mul_f64 v[172:173], v[186:187], v[174:175]
	v_mul_f64 v[200:201], v[200:201], v[174:175]
	v_fma_f64 v[172:173], v[184:185], v[194:195], -v[172:173]
	v_mul_f64 v[184:185], v[184:185], v[174:175]
	v_fmac_f64_e32 v[200:201], v[202:203], v[194:195]
	v_fmac_f64_e32 v[184:185], v[186:187], v[194:195]
	v_add_f64 v[2:3], v[2:3], -v[200:201]
	s_waitcnt vmcnt(0)
	v_add_f64 v[180:181], v[180:181], -v[172:173]
	v_add_f64 v[182:183], v[182:183], -v[184:185]
	v_mov_b64_e32 v[172:173], v[194:195]
.LBB90_83:
	s_or_b64 exec, exec, s[0:1]
	v_lshl_add_u32 v184, v197, 4, v196
	s_barrier
	s_waitcnt vmcnt(41)
	ds_write2_b64 v184, v[168:169], v[170:171] offset1:1
	s_waitcnt lgkmcnt(0)
	s_barrier
	ds_read2_b64 v[184:187], v196 offset0:8 offset1:9
	s_cmp_lt_i32 s20, 6
	v_mov_b32_e32 v194, 4
	s_cbranch_scc1 .LBB90_86
; %bb.84:
	v_mov_b32_e32 v194, 4
	v_add_u32_e32 v195, 0x50, v196
	s_mov_b32 s16, 5
.LBB90_85:                              ; =>This Inner Loop Header: Depth=1
	ds_read2_b64 v[200:203], v195 offset1:1
	s_waitcnt lgkmcnt(1)
	v_xor_b32_e32 v205, 0x80000000, v185
	v_xor_b32_e32 v207, 0x80000000, v187
	v_cmp_gt_f64_e32 vcc, 0, v[186:187]
	v_cmp_gt_f64_e64 s[0:1], 0, v[184:185]
	v_mov_b32_e32 v204, v184
	v_mov_b32_e32 v206, v186
	v_cndmask_b32_e64 v205, v185, v205, s[0:1]
	v_cndmask_b32_e32 v207, v187, v207, vcc
	v_add_f64 v[204:205], v[204:205], v[206:207]
	s_waitcnt lgkmcnt(0)
	v_xor_b32_e32 v207, 0x80000000, v201
	v_xor_b32_e32 v209, 0x80000000, v203
	v_cmp_gt_f64_e32 vcc, 0, v[202:203]
	v_cmp_gt_f64_e64 s[0:1], 0, v[200:201]
	v_mov_b32_e32 v206, v200
	v_mov_b32_e32 v208, v202
	v_cndmask_b32_e64 v207, v201, v207, s[0:1]
	v_cndmask_b32_e32 v209, v203, v209, vcc
	v_add_f64 v[206:207], v[206:207], v[208:209]
	v_mov_b32_e32 v210, s16
	s_add_i32 s16, s16, 1
	v_cmp_lt_f64_e32 vcc, v[204:205], v[206:207]
	v_add_u32_e32 v195, 16, v195
	s_cmp_lg_u32 s20, s16
	v_cndmask_b32_e32 v185, v185, v201, vcc
	v_cndmask_b32_e32 v184, v184, v200, vcc
	;; [unrolled: 1-line block ×5, first 2 shown]
	s_cbranch_scc1 .LBB90_85
.LBB90_86:
	s_waitcnt lgkmcnt(0)
	v_cmp_eq_f64_e32 vcc, 0, v[184:185]
	v_cmp_eq_f64_e64 s[0:1], 0, v[186:187]
	s_and_b64 s[0:1], vcc, s[0:1]
	s_and_saveexec_b64 s[16:17], s[0:1]
	s_xor_b64 s[0:1], exec, s[16:17]
; %bb.87:
	v_cmp_ne_u32_e32 vcc, 0, v198
	s_nop 1
	v_cndmask_b32_e32 v198, 5, v198, vcc
; %bb.88:
	s_andn2_saveexec_b64 s[0:1], s[0:1]
	s_cbranch_execz .LBB90_94
; %bb.89:
	v_cmp_ngt_f64_e64 s[16:17], |v[184:185]|, |v[186:187]|
	s_and_saveexec_b64 s[18:19], s[16:17]
	s_xor_b64 s[16:17], exec, s[18:19]
	s_cbranch_execz .LBB90_91
; %bb.90:
	v_div_scale_f64 v[200:201], s[18:19], v[186:187], v[186:187], v[184:185]
	v_rcp_f64_e32 v[202:203], v[200:201]
	v_div_scale_f64 v[204:205], vcc, v[184:185], v[186:187], v[184:185]
	v_fma_f64 v[206:207], -v[200:201], v[202:203], 1.0
	v_fmac_f64_e32 v[202:203], v[202:203], v[206:207]
	v_fma_f64 v[206:207], -v[200:201], v[202:203], 1.0
	v_fmac_f64_e32 v[202:203], v[202:203], v[206:207]
	v_mul_f64 v[206:207], v[204:205], v[202:203]
	v_fma_f64 v[200:201], -v[200:201], v[206:207], v[204:205]
	v_div_fmas_f64 v[200:201], v[200:201], v[202:203], v[206:207]
	v_div_fixup_f64 v[200:201], v[200:201], v[186:187], v[184:185]
	v_fmac_f64_e32 v[186:187], v[184:185], v[200:201]
	v_div_scale_f64 v[184:185], s[18:19], v[186:187], v[186:187], 1.0
	v_rcp_f64_e32 v[202:203], v[184:185]
	s_nop 0
	v_fma_f64 v[204:205], -v[184:185], v[202:203], 1.0
	v_fmac_f64_e32 v[202:203], v[202:203], v[204:205]
	v_fma_f64 v[204:205], -v[184:185], v[202:203], 1.0
	v_fmac_f64_e32 v[202:203], v[202:203], v[204:205]
	v_div_scale_f64 v[204:205], vcc, 1.0, v[186:187], 1.0
	v_mul_f64 v[206:207], v[204:205], v[202:203]
	v_fma_f64 v[184:185], -v[184:185], v[206:207], v[204:205]
	s_nop 1
	v_div_fmas_f64 v[184:185], v[184:185], v[202:203], v[206:207]
	v_div_fixup_f64 v[186:187], v[184:185], v[186:187], 1.0
	v_mul_f64 v[184:185], v[200:201], v[186:187]
	v_xor_b32_e32 v187, 0x80000000, v187
.LBB90_91:
	s_andn2_saveexec_b64 s[16:17], s[16:17]
	s_cbranch_execz .LBB90_93
; %bb.92:
	v_div_scale_f64 v[200:201], s[18:19], v[184:185], v[184:185], v[186:187]
	v_rcp_f64_e32 v[202:203], v[200:201]
	v_div_scale_f64 v[204:205], vcc, v[186:187], v[184:185], v[186:187]
	v_fma_f64 v[206:207], -v[200:201], v[202:203], 1.0
	v_fmac_f64_e32 v[202:203], v[202:203], v[206:207]
	v_fma_f64 v[206:207], -v[200:201], v[202:203], 1.0
	v_fmac_f64_e32 v[202:203], v[202:203], v[206:207]
	v_mul_f64 v[206:207], v[204:205], v[202:203]
	v_fma_f64 v[200:201], -v[200:201], v[206:207], v[204:205]
	v_div_fmas_f64 v[200:201], v[200:201], v[202:203], v[206:207]
	v_div_fixup_f64 v[200:201], v[200:201], v[184:185], v[186:187]
	v_fmac_f64_e32 v[184:185], v[186:187], v[200:201]
	v_div_scale_f64 v[186:187], s[18:19], v[184:185], v[184:185], 1.0
	v_rcp_f64_e32 v[202:203], v[186:187]
	s_nop 0
	v_fma_f64 v[204:205], -v[186:187], v[202:203], 1.0
	v_fmac_f64_e32 v[202:203], v[202:203], v[204:205]
	v_fma_f64 v[204:205], -v[186:187], v[202:203], 1.0
	v_fmac_f64_e32 v[202:203], v[202:203], v[204:205]
	v_div_scale_f64 v[204:205], vcc, 1.0, v[184:185], 1.0
	v_mul_f64 v[206:207], v[204:205], v[202:203]
	v_fma_f64 v[186:187], -v[186:187], v[206:207], v[204:205]
	s_nop 1
	v_div_fmas_f64 v[186:187], v[186:187], v[202:203], v[206:207]
	v_div_fixup_f64 v[184:185], v[186:187], v[184:185], 1.0
	v_mul_f64 v[186:187], v[200:201], -v[184:185]
.LBB90_93:
	s_or_b64 exec, exec, s[16:17]
.LBB90_94:
	s_or_b64 exec, exec, s[0:1]
	v_cmp_ne_u32_e32 vcc, v197, v194
	s_and_saveexec_b64 s[0:1], vcc
	s_xor_b64 s[0:1], exec, s[0:1]
	s_cbranch_execz .LBB90_100
; %bb.95:
	v_cmp_eq_u32_e32 vcc, 4, v197
	s_and_saveexec_b64 s[16:17], vcc
	s_cbranch_execz .LBB90_99
; %bb.96:
	v_cmp_ne_u32_e32 vcc, 4, v194
	s_xor_b64 s[18:19], s[14:15], -1
	s_and_b64 s[22:23], s[18:19], vcc
	s_and_saveexec_b64 s[18:19], s[22:23]
	s_cbranch_execz .LBB90_98
; %bb.97:
	v_ashrrev_i32_e32 v195, 31, v194
	v_lshl_add_u64 v[200:201], v[194:195], 2, v[192:193]
	global_load_dword v195, v[200:201], off
	global_load_dword v197, v[192:193], off offset:16
	s_waitcnt vmcnt(1)
	global_store_dword v[192:193], v195, off offset:16
	s_waitcnt vmcnt(1)
	global_store_dword v[200:201], v197, off
.LBB90_98:
	s_or_b64 exec, exec, s[18:19]
	v_mov_b32_e32 v197, v194
	v_mov_b32_e32 v199, v194
.LBB90_99:
	s_or_b64 exec, exec, s[16:17]
.LBB90_100:
	s_andn2_saveexec_b64 s[0:1], s[0:1]
	s_cbranch_execz .LBB90_102
; %bb.101:
	v_mov_b32_e32 v197, 4
	s_waitcnt vmcnt(40)
	ds_write2_b64 v196, v[164:165], v[166:167] offset0:10 offset1:11
	s_waitcnt vmcnt(39)
	ds_write2_b64 v196, v[160:161], v[162:163] offset0:12 offset1:13
	;; [unrolled: 2-line block ×41, first 2 shown]
.LBB90_102:
	s_or_b64 exec, exec, s[0:1]
	v_cmp_lt_i32_e32 vcc, 4, v197
	s_waitcnt lgkmcnt(0)
	s_barrier
	s_and_saveexec_b64 s[0:1], vcc
	s_cbranch_execz .LBB90_104
; %bb.103:
	ds_read2_b64 v[200:203], v196 offset0:10 offset1:11
	v_mul_f64 v[194:195], v[186:187], v[170:171]
	v_mul_f64 v[170:171], v[184:185], v[170:171]
	v_fmac_f64_e32 v[170:171], v[186:187], v[168:169]
	v_fma_f64 v[194:195], v[184:185], v[168:169], -v[194:195]
	ds_read2_b64 v[184:187], v196 offset0:12 offset1:13
	s_waitcnt lgkmcnt(1)
	v_mul_f64 v[168:169], v[202:203], v[170:171]
	v_fma_f64 v[168:169], v[200:201], v[194:195], -v[168:169]
	v_mul_f64 v[200:201], v[200:201], v[170:171]
	v_fmac_f64_e32 v[200:201], v[202:203], v[194:195]
	s_waitcnt vmcnt(40)
	v_add_f64 v[166:167], v[166:167], -v[200:201]
	ds_read2_b64 v[200:203], v196 offset0:14 offset1:15
	v_add_f64 v[164:165], v[164:165], -v[168:169]
	s_waitcnt lgkmcnt(1)
	v_mul_f64 v[168:169], v[186:187], v[170:171]
	v_fma_f64 v[168:169], v[184:185], v[194:195], -v[168:169]
	v_mul_f64 v[184:185], v[184:185], v[170:171]
	v_fmac_f64_e32 v[184:185], v[186:187], v[194:195]
	s_waitcnt vmcnt(39)
	v_add_f64 v[160:161], v[160:161], -v[168:169]
	v_add_f64 v[162:163], v[162:163], -v[184:185]
	ds_read2_b64 v[184:187], v196 offset0:16 offset1:17
	s_waitcnt lgkmcnt(1)
	v_mul_f64 v[168:169], v[202:203], v[170:171]
	v_fma_f64 v[168:169], v[200:201], v[194:195], -v[168:169]
	v_mul_f64 v[200:201], v[200:201], v[170:171]
	v_fmac_f64_e32 v[200:201], v[202:203], v[194:195]
	s_waitcnt vmcnt(38)
	v_add_f64 v[158:159], v[158:159], -v[200:201]
	ds_read2_b64 v[200:203], v196 offset0:18 offset1:19
	v_add_f64 v[156:157], v[156:157], -v[168:169]
	s_waitcnt lgkmcnt(1)
	v_mul_f64 v[168:169], v[186:187], v[170:171]
	v_fma_f64 v[168:169], v[184:185], v[194:195], -v[168:169]
	v_mul_f64 v[184:185], v[184:185], v[170:171]
	v_fmac_f64_e32 v[184:185], v[186:187], v[194:195]
	s_waitcnt vmcnt(37)
	v_add_f64 v[152:153], v[152:153], -v[168:169]
	v_add_f64 v[154:155], v[154:155], -v[184:185]
	;; [unrolled: 18-line block ×20, first 2 shown]
	s_waitcnt lgkmcnt(0)
	v_mul_f64 v[168:169], v[202:203], v[170:171]
	v_mul_f64 v[184:185], v[200:201], v[170:171]
	v_fma_f64 v[168:169], v[200:201], v[194:195], -v[168:169]
	v_fmac_f64_e32 v[184:185], v[202:203], v[194:195]
	s_waitcnt vmcnt(0)
	v_add_f64 v[180:181], v[180:181], -v[168:169]
	v_add_f64 v[182:183], v[182:183], -v[184:185]
	v_mov_b64_e32 v[168:169], v[194:195]
.LBB90_104:
	s_or_b64 exec, exec, s[0:1]
	v_lshl_add_u32 v184, v197, 4, v196
	s_barrier
	s_waitcnt vmcnt(40)
	ds_write2_b64 v184, v[164:165], v[166:167] offset1:1
	s_waitcnt lgkmcnt(0)
	s_barrier
	ds_read2_b64 v[184:187], v196 offset0:10 offset1:11
	s_cmp_lt_i32 s20, 7
	v_mov_b32_e32 v194, 5
	s_cbranch_scc1 .LBB90_107
; %bb.105:
	v_add_u32_e32 v195, 0x60, v196
	s_mov_b32 s16, 6
	v_mov_b32_e32 v194, 5
.LBB90_106:                             ; =>This Inner Loop Header: Depth=1
	ds_read2_b64 v[200:203], v195 offset1:1
	s_waitcnt lgkmcnt(1)
	v_xor_b32_e32 v205, 0x80000000, v185
	v_xor_b32_e32 v207, 0x80000000, v187
	v_cmp_gt_f64_e32 vcc, 0, v[186:187]
	v_cmp_gt_f64_e64 s[0:1], 0, v[184:185]
	v_mov_b32_e32 v204, v184
	v_mov_b32_e32 v206, v186
	v_cndmask_b32_e64 v205, v185, v205, s[0:1]
	v_cndmask_b32_e32 v207, v187, v207, vcc
	v_add_f64 v[204:205], v[204:205], v[206:207]
	s_waitcnt lgkmcnt(0)
	v_xor_b32_e32 v207, 0x80000000, v201
	v_xor_b32_e32 v209, 0x80000000, v203
	v_cmp_gt_f64_e32 vcc, 0, v[202:203]
	v_cmp_gt_f64_e64 s[0:1], 0, v[200:201]
	v_mov_b32_e32 v206, v200
	v_mov_b32_e32 v208, v202
	v_cndmask_b32_e64 v207, v201, v207, s[0:1]
	v_cndmask_b32_e32 v209, v203, v209, vcc
	v_add_f64 v[206:207], v[206:207], v[208:209]
	v_mov_b32_e32 v210, s16
	s_add_i32 s16, s16, 1
	v_cmp_lt_f64_e32 vcc, v[204:205], v[206:207]
	v_add_u32_e32 v195, 16, v195
	s_cmp_lg_u32 s20, s16
	v_cndmask_b32_e32 v185, v185, v201, vcc
	v_cndmask_b32_e32 v184, v184, v200, vcc
	;; [unrolled: 1-line block ×5, first 2 shown]
	s_cbranch_scc1 .LBB90_106
.LBB90_107:
	s_waitcnt lgkmcnt(0)
	v_cmp_eq_f64_e32 vcc, 0, v[184:185]
	v_cmp_eq_f64_e64 s[0:1], 0, v[186:187]
	s_and_b64 s[0:1], vcc, s[0:1]
	s_and_saveexec_b64 s[16:17], s[0:1]
	s_xor_b64 s[0:1], exec, s[16:17]
; %bb.108:
	v_cmp_ne_u32_e32 vcc, 0, v198
	s_nop 1
	v_cndmask_b32_e32 v198, 6, v198, vcc
; %bb.109:
	s_andn2_saveexec_b64 s[0:1], s[0:1]
	s_cbranch_execz .LBB90_115
; %bb.110:
	v_cmp_ngt_f64_e64 s[16:17], |v[184:185]|, |v[186:187]|
	s_and_saveexec_b64 s[18:19], s[16:17]
	s_xor_b64 s[16:17], exec, s[18:19]
	s_cbranch_execz .LBB90_112
; %bb.111:
	v_div_scale_f64 v[200:201], s[18:19], v[186:187], v[186:187], v[184:185]
	v_rcp_f64_e32 v[202:203], v[200:201]
	v_div_scale_f64 v[204:205], vcc, v[184:185], v[186:187], v[184:185]
	v_fma_f64 v[206:207], -v[200:201], v[202:203], 1.0
	v_fmac_f64_e32 v[202:203], v[202:203], v[206:207]
	v_fma_f64 v[206:207], -v[200:201], v[202:203], 1.0
	v_fmac_f64_e32 v[202:203], v[202:203], v[206:207]
	v_mul_f64 v[206:207], v[204:205], v[202:203]
	v_fma_f64 v[200:201], -v[200:201], v[206:207], v[204:205]
	v_div_fmas_f64 v[200:201], v[200:201], v[202:203], v[206:207]
	v_div_fixup_f64 v[200:201], v[200:201], v[186:187], v[184:185]
	v_fmac_f64_e32 v[186:187], v[184:185], v[200:201]
	v_div_scale_f64 v[184:185], s[18:19], v[186:187], v[186:187], 1.0
	v_rcp_f64_e32 v[202:203], v[184:185]
	s_nop 0
	v_fma_f64 v[204:205], -v[184:185], v[202:203], 1.0
	v_fmac_f64_e32 v[202:203], v[202:203], v[204:205]
	v_fma_f64 v[204:205], -v[184:185], v[202:203], 1.0
	v_fmac_f64_e32 v[202:203], v[202:203], v[204:205]
	v_div_scale_f64 v[204:205], vcc, 1.0, v[186:187], 1.0
	v_mul_f64 v[206:207], v[204:205], v[202:203]
	v_fma_f64 v[184:185], -v[184:185], v[206:207], v[204:205]
	s_nop 1
	v_div_fmas_f64 v[184:185], v[184:185], v[202:203], v[206:207]
	v_div_fixup_f64 v[186:187], v[184:185], v[186:187], 1.0
	v_mul_f64 v[184:185], v[200:201], v[186:187]
	v_xor_b32_e32 v187, 0x80000000, v187
.LBB90_112:
	s_andn2_saveexec_b64 s[16:17], s[16:17]
	s_cbranch_execz .LBB90_114
; %bb.113:
	v_div_scale_f64 v[200:201], s[18:19], v[184:185], v[184:185], v[186:187]
	v_rcp_f64_e32 v[202:203], v[200:201]
	v_div_scale_f64 v[204:205], vcc, v[186:187], v[184:185], v[186:187]
	v_fma_f64 v[206:207], -v[200:201], v[202:203], 1.0
	v_fmac_f64_e32 v[202:203], v[202:203], v[206:207]
	v_fma_f64 v[206:207], -v[200:201], v[202:203], 1.0
	v_fmac_f64_e32 v[202:203], v[202:203], v[206:207]
	v_mul_f64 v[206:207], v[204:205], v[202:203]
	v_fma_f64 v[200:201], -v[200:201], v[206:207], v[204:205]
	v_div_fmas_f64 v[200:201], v[200:201], v[202:203], v[206:207]
	v_div_fixup_f64 v[200:201], v[200:201], v[184:185], v[186:187]
	v_fmac_f64_e32 v[184:185], v[186:187], v[200:201]
	v_div_scale_f64 v[186:187], s[18:19], v[184:185], v[184:185], 1.0
	v_rcp_f64_e32 v[202:203], v[186:187]
	s_nop 0
	v_fma_f64 v[204:205], -v[186:187], v[202:203], 1.0
	v_fmac_f64_e32 v[202:203], v[202:203], v[204:205]
	v_fma_f64 v[204:205], -v[186:187], v[202:203], 1.0
	v_fmac_f64_e32 v[202:203], v[202:203], v[204:205]
	v_div_scale_f64 v[204:205], vcc, 1.0, v[184:185], 1.0
	v_mul_f64 v[206:207], v[204:205], v[202:203]
	v_fma_f64 v[186:187], -v[186:187], v[206:207], v[204:205]
	s_nop 1
	v_div_fmas_f64 v[186:187], v[186:187], v[202:203], v[206:207]
	v_div_fixup_f64 v[184:185], v[186:187], v[184:185], 1.0
	v_mul_f64 v[186:187], v[200:201], -v[184:185]
.LBB90_114:
	s_or_b64 exec, exec, s[16:17]
.LBB90_115:
	s_or_b64 exec, exec, s[0:1]
	v_cmp_ne_u32_e32 vcc, v197, v194
	s_and_saveexec_b64 s[0:1], vcc
	s_xor_b64 s[0:1], exec, s[0:1]
	s_cbranch_execz .LBB90_121
; %bb.116:
	v_cmp_eq_u32_e32 vcc, 5, v197
	s_and_saveexec_b64 s[16:17], vcc
	s_cbranch_execz .LBB90_120
; %bb.117:
	v_cmp_ne_u32_e32 vcc, 5, v194
	s_xor_b64 s[18:19], s[14:15], -1
	s_and_b64 s[22:23], s[18:19], vcc
	s_and_saveexec_b64 s[18:19], s[22:23]
	s_cbranch_execz .LBB90_119
; %bb.118:
	v_ashrrev_i32_e32 v195, 31, v194
	v_lshl_add_u64 v[200:201], v[194:195], 2, v[192:193]
	global_load_dword v195, v[200:201], off
	global_load_dword v197, v[192:193], off offset:20
	s_waitcnt vmcnt(1)
	global_store_dword v[192:193], v195, off offset:20
	s_waitcnt vmcnt(1)
	global_store_dword v[200:201], v197, off
.LBB90_119:
	s_or_b64 exec, exec, s[18:19]
	v_mov_b32_e32 v197, v194
	v_mov_b32_e32 v199, v194
.LBB90_120:
	s_or_b64 exec, exec, s[16:17]
.LBB90_121:
	s_andn2_saveexec_b64 s[0:1], s[0:1]
	s_cbranch_execz .LBB90_123
; %bb.122:
	v_mov_b32_e32 v197, 5
	s_waitcnt vmcnt(39)
	ds_write2_b64 v196, v[160:161], v[162:163] offset0:12 offset1:13
	s_waitcnt vmcnt(38)
	ds_write2_b64 v196, v[156:157], v[158:159] offset0:14 offset1:15
	;; [unrolled: 2-line block ×40, first 2 shown]
.LBB90_123:
	s_or_b64 exec, exec, s[0:1]
	v_cmp_lt_i32_e32 vcc, 5, v197
	s_waitcnt lgkmcnt(0)
	s_barrier
	s_and_saveexec_b64 s[0:1], vcc
	s_cbranch_execz .LBB90_125
; %bb.124:
	ds_read2_b64 v[200:203], v196 offset0:12 offset1:13
	v_mul_f64 v[194:195], v[186:187], v[166:167]
	v_mul_f64 v[166:167], v[184:185], v[166:167]
	v_fma_f64 v[194:195], v[184:185], v[164:165], -v[194:195]
	v_fmac_f64_e32 v[166:167], v[186:187], v[164:165]
	ds_read2_b64 v[184:187], v196 offset0:14 offset1:15
	s_waitcnt lgkmcnt(1)
	v_mul_f64 v[164:165], v[202:203], v[166:167]
	v_fma_f64 v[164:165], v[200:201], v[194:195], -v[164:165]
	v_mul_f64 v[200:201], v[200:201], v[166:167]
	v_fmac_f64_e32 v[200:201], v[202:203], v[194:195]
	s_waitcnt vmcnt(39)
	v_add_f64 v[160:161], v[160:161], -v[164:165]
	s_waitcnt lgkmcnt(0)
	v_mul_f64 v[164:165], v[186:187], v[166:167]
	v_add_f64 v[162:163], v[162:163], -v[200:201]
	v_fma_f64 v[164:165], v[184:185], v[194:195], -v[164:165]
	v_mul_f64 v[184:185], v[184:185], v[166:167]
	ds_read2_b64 v[200:203], v196 offset0:16 offset1:17
	v_fmac_f64_e32 v[184:185], v[186:187], v[194:195]
	s_waitcnt vmcnt(38)
	v_add_f64 v[158:159], v[158:159], -v[184:185]
	ds_read2_b64 v[184:187], v196 offset0:18 offset1:19
	v_add_f64 v[156:157], v[156:157], -v[164:165]
	s_waitcnt lgkmcnt(1)
	v_mul_f64 v[164:165], v[202:203], v[166:167]
	v_fma_f64 v[164:165], v[200:201], v[194:195], -v[164:165]
	v_mul_f64 v[200:201], v[200:201], v[166:167]
	v_fmac_f64_e32 v[200:201], v[202:203], v[194:195]
	s_waitcnt vmcnt(37)
	v_add_f64 v[152:153], v[152:153], -v[164:165]
	s_waitcnt lgkmcnt(0)
	v_mul_f64 v[164:165], v[186:187], v[166:167]
	v_add_f64 v[154:155], v[154:155], -v[200:201]
	v_fma_f64 v[164:165], v[184:185], v[194:195], -v[164:165]
	v_mul_f64 v[184:185], v[184:185], v[166:167]
	ds_read2_b64 v[200:203], v196 offset0:20 offset1:21
	v_fmac_f64_e32 v[184:185], v[186:187], v[194:195]
	s_waitcnt vmcnt(36)
	v_add_f64 v[150:151], v[150:151], -v[184:185]
	ds_read2_b64 v[184:187], v196 offset0:22 offset1:23
	v_add_f64 v[148:149], v[148:149], -v[164:165]
	s_waitcnt lgkmcnt(1)
	v_mul_f64 v[164:165], v[202:203], v[166:167]
	v_fma_f64 v[164:165], v[200:201], v[194:195], -v[164:165]
	v_mul_f64 v[200:201], v[200:201], v[166:167]
	v_fmac_f64_e32 v[200:201], v[202:203], v[194:195]
	s_waitcnt vmcnt(35)
	v_add_f64 v[144:145], v[144:145], -v[164:165]
	s_waitcnt lgkmcnt(0)
	v_mul_f64 v[164:165], v[186:187], v[166:167]
	v_add_f64 v[146:147], v[146:147], -v[200:201]
	v_fma_f64 v[164:165], v[184:185], v[194:195], -v[164:165]
	v_mul_f64 v[184:185], v[184:185], v[166:167]
	ds_read2_b64 v[200:203], v196 offset0:24 offset1:25
	v_fmac_f64_e32 v[184:185], v[186:187], v[194:195]
	s_waitcnt vmcnt(34)
	v_add_f64 v[142:143], v[142:143], -v[184:185]
	ds_read2_b64 v[184:187], v196 offset0:26 offset1:27
	v_add_f64 v[140:141], v[140:141], -v[164:165]
	s_waitcnt lgkmcnt(1)
	v_mul_f64 v[164:165], v[202:203], v[166:167]
	v_fma_f64 v[164:165], v[200:201], v[194:195], -v[164:165]
	v_mul_f64 v[200:201], v[200:201], v[166:167]
	v_fmac_f64_e32 v[200:201], v[202:203], v[194:195]
	s_waitcnt vmcnt(33)
	v_add_f64 v[136:137], v[136:137], -v[164:165]
	s_waitcnt lgkmcnt(0)
	v_mul_f64 v[164:165], v[186:187], v[166:167]
	v_add_f64 v[138:139], v[138:139], -v[200:201]
	v_fma_f64 v[164:165], v[184:185], v[194:195], -v[164:165]
	v_mul_f64 v[184:185], v[184:185], v[166:167]
	ds_read2_b64 v[200:203], v196 offset0:28 offset1:29
	v_fmac_f64_e32 v[184:185], v[186:187], v[194:195]
	s_waitcnt vmcnt(32)
	v_add_f64 v[134:135], v[134:135], -v[184:185]
	ds_read2_b64 v[184:187], v196 offset0:30 offset1:31
	v_add_f64 v[132:133], v[132:133], -v[164:165]
	s_waitcnt lgkmcnt(1)
	v_mul_f64 v[164:165], v[202:203], v[166:167]
	v_fma_f64 v[164:165], v[200:201], v[194:195], -v[164:165]
	v_mul_f64 v[200:201], v[200:201], v[166:167]
	v_fmac_f64_e32 v[200:201], v[202:203], v[194:195]
	s_waitcnt vmcnt(31)
	v_add_f64 v[128:129], v[128:129], -v[164:165]
	s_waitcnt lgkmcnt(0)
	v_mul_f64 v[164:165], v[186:187], v[166:167]
	v_add_f64 v[130:131], v[130:131], -v[200:201]
	v_fma_f64 v[164:165], v[184:185], v[194:195], -v[164:165]
	v_mul_f64 v[184:185], v[184:185], v[166:167]
	ds_read2_b64 v[200:203], v196 offset0:32 offset1:33
	v_fmac_f64_e32 v[184:185], v[186:187], v[194:195]
	s_waitcnt vmcnt(30)
	v_add_f64 v[126:127], v[126:127], -v[184:185]
	ds_read2_b64 v[184:187], v196 offset0:34 offset1:35
	v_add_f64 v[124:125], v[124:125], -v[164:165]
	s_waitcnt lgkmcnt(1)
	v_mul_f64 v[164:165], v[202:203], v[166:167]
	v_fma_f64 v[164:165], v[200:201], v[194:195], -v[164:165]
	v_mul_f64 v[200:201], v[200:201], v[166:167]
	v_fmac_f64_e32 v[200:201], v[202:203], v[194:195]
	s_waitcnt vmcnt(29)
	v_add_f64 v[112:113], v[112:113], -v[164:165]
	s_waitcnt lgkmcnt(0)
	v_mul_f64 v[164:165], v[186:187], v[166:167]
	v_add_f64 v[114:115], v[114:115], -v[200:201]
	v_fma_f64 v[164:165], v[184:185], v[194:195], -v[164:165]
	v_mul_f64 v[184:185], v[184:185], v[166:167]
	ds_read2_b64 v[200:203], v196 offset0:36 offset1:37
	v_fmac_f64_e32 v[184:185], v[186:187], v[194:195]
	s_waitcnt vmcnt(28)
	v_add_f64 v[110:111], v[110:111], -v[184:185]
	ds_read2_b64 v[184:187], v196 offset0:38 offset1:39
	v_add_f64 v[108:109], v[108:109], -v[164:165]
	s_waitcnt lgkmcnt(1)
	v_mul_f64 v[164:165], v[202:203], v[166:167]
	v_fma_f64 v[164:165], v[200:201], v[194:195], -v[164:165]
	v_mul_f64 v[200:201], v[200:201], v[166:167]
	v_fmac_f64_e32 v[200:201], v[202:203], v[194:195]
	s_waitcnt vmcnt(27)
	v_add_f64 v[104:105], v[104:105], -v[164:165]
	s_waitcnt lgkmcnt(0)
	v_mul_f64 v[164:165], v[186:187], v[166:167]
	v_add_f64 v[106:107], v[106:107], -v[200:201]
	v_fma_f64 v[164:165], v[184:185], v[194:195], -v[164:165]
	v_mul_f64 v[184:185], v[184:185], v[166:167]
	ds_read2_b64 v[200:203], v196 offset0:40 offset1:41
	v_fmac_f64_e32 v[184:185], v[186:187], v[194:195]
	s_waitcnt vmcnt(26)
	v_add_f64 v[102:103], v[102:103], -v[184:185]
	ds_read2_b64 v[184:187], v196 offset0:42 offset1:43
	v_add_f64 v[100:101], v[100:101], -v[164:165]
	s_waitcnt lgkmcnt(1)
	v_mul_f64 v[164:165], v[202:203], v[166:167]
	v_fma_f64 v[164:165], v[200:201], v[194:195], -v[164:165]
	v_mul_f64 v[200:201], v[200:201], v[166:167]
	v_fmac_f64_e32 v[200:201], v[202:203], v[194:195]
	s_waitcnt vmcnt(25)
	v_add_f64 v[96:97], v[96:97], -v[164:165]
	s_waitcnt lgkmcnt(0)
	v_mul_f64 v[164:165], v[186:187], v[166:167]
	v_add_f64 v[98:99], v[98:99], -v[200:201]
	v_fma_f64 v[164:165], v[184:185], v[194:195], -v[164:165]
	v_mul_f64 v[184:185], v[184:185], v[166:167]
	ds_read2_b64 v[200:203], v196 offset0:44 offset1:45
	v_fmac_f64_e32 v[184:185], v[186:187], v[194:195]
	s_waitcnt vmcnt(24)
	v_add_f64 v[94:95], v[94:95], -v[184:185]
	ds_read2_b64 v[184:187], v196 offset0:46 offset1:47
	v_add_f64 v[92:93], v[92:93], -v[164:165]
	s_waitcnt lgkmcnt(1)
	v_mul_f64 v[164:165], v[202:203], v[166:167]
	v_fma_f64 v[164:165], v[200:201], v[194:195], -v[164:165]
	v_mul_f64 v[200:201], v[200:201], v[166:167]
	v_fmac_f64_e32 v[200:201], v[202:203], v[194:195]
	s_waitcnt vmcnt(23)
	v_add_f64 v[88:89], v[88:89], -v[164:165]
	s_waitcnt lgkmcnt(0)
	v_mul_f64 v[164:165], v[186:187], v[166:167]
	v_add_f64 v[90:91], v[90:91], -v[200:201]
	v_fma_f64 v[164:165], v[184:185], v[194:195], -v[164:165]
	v_mul_f64 v[184:185], v[184:185], v[166:167]
	ds_read2_b64 v[200:203], v196 offset0:48 offset1:49
	v_fmac_f64_e32 v[184:185], v[186:187], v[194:195]
	s_waitcnt vmcnt(22)
	v_add_f64 v[86:87], v[86:87], -v[184:185]
	ds_read2_b64 v[184:187], v196 offset0:50 offset1:51
	v_add_f64 v[84:85], v[84:85], -v[164:165]
	s_waitcnt lgkmcnt(1)
	v_mul_f64 v[164:165], v[202:203], v[166:167]
	v_fma_f64 v[164:165], v[200:201], v[194:195], -v[164:165]
	v_mul_f64 v[200:201], v[200:201], v[166:167]
	v_fmac_f64_e32 v[200:201], v[202:203], v[194:195]
	s_waitcnt vmcnt(21)
	v_add_f64 v[80:81], v[80:81], -v[164:165]
	s_waitcnt lgkmcnt(0)
	v_mul_f64 v[164:165], v[186:187], v[166:167]
	v_add_f64 v[82:83], v[82:83], -v[200:201]
	v_fma_f64 v[164:165], v[184:185], v[194:195], -v[164:165]
	v_mul_f64 v[184:185], v[184:185], v[166:167]
	ds_read2_b64 v[200:203], v196 offset0:52 offset1:53
	v_fmac_f64_e32 v[184:185], v[186:187], v[194:195]
	s_waitcnt vmcnt(20)
	v_add_f64 v[78:79], v[78:79], -v[184:185]
	ds_read2_b64 v[184:187], v196 offset0:54 offset1:55
	v_add_f64 v[76:77], v[76:77], -v[164:165]
	s_waitcnt lgkmcnt(1)
	v_mul_f64 v[164:165], v[202:203], v[166:167]
	v_fma_f64 v[164:165], v[200:201], v[194:195], -v[164:165]
	v_mul_f64 v[200:201], v[200:201], v[166:167]
	v_fmac_f64_e32 v[200:201], v[202:203], v[194:195]
	s_waitcnt vmcnt(19)
	v_add_f64 v[72:73], v[72:73], -v[164:165]
	s_waitcnt lgkmcnt(0)
	v_mul_f64 v[164:165], v[186:187], v[166:167]
	v_add_f64 v[74:75], v[74:75], -v[200:201]
	v_fma_f64 v[164:165], v[184:185], v[194:195], -v[164:165]
	v_mul_f64 v[184:185], v[184:185], v[166:167]
	ds_read2_b64 v[200:203], v196 offset0:56 offset1:57
	v_fmac_f64_e32 v[184:185], v[186:187], v[194:195]
	s_waitcnt vmcnt(18)
	v_add_f64 v[70:71], v[70:71], -v[184:185]
	ds_read2_b64 v[184:187], v196 offset0:58 offset1:59
	v_add_f64 v[68:69], v[68:69], -v[164:165]
	s_waitcnt lgkmcnt(1)
	v_mul_f64 v[164:165], v[202:203], v[166:167]
	v_fma_f64 v[164:165], v[200:201], v[194:195], -v[164:165]
	v_mul_f64 v[200:201], v[200:201], v[166:167]
	v_fmac_f64_e32 v[200:201], v[202:203], v[194:195]
	s_waitcnt vmcnt(17)
	v_add_f64 v[64:65], v[64:65], -v[164:165]
	s_waitcnt lgkmcnt(0)
	v_mul_f64 v[164:165], v[186:187], v[166:167]
	v_add_f64 v[66:67], v[66:67], -v[200:201]
	v_fma_f64 v[164:165], v[184:185], v[194:195], -v[164:165]
	v_mul_f64 v[184:185], v[184:185], v[166:167]
	ds_read2_b64 v[200:203], v196 offset0:60 offset1:61
	v_fmac_f64_e32 v[184:185], v[186:187], v[194:195]
	s_waitcnt vmcnt(16)
	v_add_f64 v[62:63], v[62:63], -v[184:185]
	ds_read2_b64 v[184:187], v196 offset0:62 offset1:63
	v_add_f64 v[60:61], v[60:61], -v[164:165]
	s_waitcnt lgkmcnt(1)
	v_mul_f64 v[164:165], v[202:203], v[166:167]
	v_fma_f64 v[164:165], v[200:201], v[194:195], -v[164:165]
	v_mul_f64 v[200:201], v[200:201], v[166:167]
	v_fmac_f64_e32 v[200:201], v[202:203], v[194:195]
	s_waitcnt vmcnt(15)
	v_add_f64 v[56:57], v[56:57], -v[164:165]
	s_waitcnt lgkmcnt(0)
	v_mul_f64 v[164:165], v[186:187], v[166:167]
	v_add_f64 v[58:59], v[58:59], -v[200:201]
	v_fma_f64 v[164:165], v[184:185], v[194:195], -v[164:165]
	v_mul_f64 v[184:185], v[184:185], v[166:167]
	ds_read2_b64 v[200:203], v196 offset0:64 offset1:65
	v_fmac_f64_e32 v[184:185], v[186:187], v[194:195]
	s_waitcnt vmcnt(14)
	v_add_f64 v[54:55], v[54:55], -v[184:185]
	ds_read2_b64 v[184:187], v196 offset0:66 offset1:67
	v_add_f64 v[52:53], v[52:53], -v[164:165]
	s_waitcnt lgkmcnt(1)
	v_mul_f64 v[164:165], v[202:203], v[166:167]
	v_fma_f64 v[164:165], v[200:201], v[194:195], -v[164:165]
	v_mul_f64 v[200:201], v[200:201], v[166:167]
	v_fmac_f64_e32 v[200:201], v[202:203], v[194:195]
	s_waitcnt vmcnt(13)
	v_add_f64 v[48:49], v[48:49], -v[164:165]
	s_waitcnt lgkmcnt(0)
	v_mul_f64 v[164:165], v[186:187], v[166:167]
	v_add_f64 v[50:51], v[50:51], -v[200:201]
	v_fma_f64 v[164:165], v[184:185], v[194:195], -v[164:165]
	v_mul_f64 v[184:185], v[184:185], v[166:167]
	ds_read2_b64 v[200:203], v196 offset0:68 offset1:69
	v_fmac_f64_e32 v[184:185], v[186:187], v[194:195]
	s_waitcnt vmcnt(12)
	v_add_f64 v[46:47], v[46:47], -v[184:185]
	ds_read2_b64 v[184:187], v196 offset0:70 offset1:71
	v_add_f64 v[44:45], v[44:45], -v[164:165]
	s_waitcnt lgkmcnt(1)
	v_mul_f64 v[164:165], v[202:203], v[166:167]
	v_fma_f64 v[164:165], v[200:201], v[194:195], -v[164:165]
	v_mul_f64 v[200:201], v[200:201], v[166:167]
	v_fmac_f64_e32 v[200:201], v[202:203], v[194:195]
	s_waitcnt vmcnt(11)
	v_add_f64 v[40:41], v[40:41], -v[164:165]
	s_waitcnt lgkmcnt(0)
	v_mul_f64 v[164:165], v[186:187], v[166:167]
	v_add_f64 v[42:43], v[42:43], -v[200:201]
	v_fma_f64 v[164:165], v[184:185], v[194:195], -v[164:165]
	v_mul_f64 v[184:185], v[184:185], v[166:167]
	ds_read2_b64 v[200:203], v196 offset0:72 offset1:73
	v_fmac_f64_e32 v[184:185], v[186:187], v[194:195]
	s_waitcnt vmcnt(10)
	v_add_f64 v[38:39], v[38:39], -v[184:185]
	ds_read2_b64 v[184:187], v196 offset0:74 offset1:75
	v_add_f64 v[36:37], v[36:37], -v[164:165]
	s_waitcnt lgkmcnt(1)
	v_mul_f64 v[164:165], v[202:203], v[166:167]
	v_fma_f64 v[164:165], v[200:201], v[194:195], -v[164:165]
	v_mul_f64 v[200:201], v[200:201], v[166:167]
	v_fmac_f64_e32 v[200:201], v[202:203], v[194:195]
	s_waitcnt vmcnt(9)
	v_add_f64 v[32:33], v[32:33], -v[164:165]
	s_waitcnt lgkmcnt(0)
	v_mul_f64 v[164:165], v[186:187], v[166:167]
	v_add_f64 v[34:35], v[34:35], -v[200:201]
	v_fma_f64 v[164:165], v[184:185], v[194:195], -v[164:165]
	v_mul_f64 v[184:185], v[184:185], v[166:167]
	ds_read2_b64 v[200:203], v196 offset0:76 offset1:77
	v_fmac_f64_e32 v[184:185], v[186:187], v[194:195]
	s_waitcnt vmcnt(8)
	v_add_f64 v[30:31], v[30:31], -v[184:185]
	ds_read2_b64 v[184:187], v196 offset0:78 offset1:79
	v_add_f64 v[28:29], v[28:29], -v[164:165]
	s_waitcnt lgkmcnt(1)
	v_mul_f64 v[164:165], v[202:203], v[166:167]
	v_fma_f64 v[164:165], v[200:201], v[194:195], -v[164:165]
	v_mul_f64 v[200:201], v[200:201], v[166:167]
	v_fmac_f64_e32 v[200:201], v[202:203], v[194:195]
	s_waitcnt vmcnt(7)
	v_add_f64 v[24:25], v[24:25], -v[164:165]
	s_waitcnt lgkmcnt(0)
	v_mul_f64 v[164:165], v[186:187], v[166:167]
	v_add_f64 v[26:27], v[26:27], -v[200:201]
	v_fma_f64 v[164:165], v[184:185], v[194:195], -v[164:165]
	v_mul_f64 v[184:185], v[184:185], v[166:167]
	ds_read2_b64 v[200:203], v196 offset0:80 offset1:81
	v_fmac_f64_e32 v[184:185], v[186:187], v[194:195]
	s_waitcnt vmcnt(6)
	v_add_f64 v[22:23], v[22:23], -v[184:185]
	ds_read2_b64 v[184:187], v196 offset0:82 offset1:83
	v_add_f64 v[20:21], v[20:21], -v[164:165]
	s_waitcnt lgkmcnt(1)
	v_mul_f64 v[164:165], v[202:203], v[166:167]
	v_fma_f64 v[164:165], v[200:201], v[194:195], -v[164:165]
	v_mul_f64 v[200:201], v[200:201], v[166:167]
	v_fmac_f64_e32 v[200:201], v[202:203], v[194:195]
	s_waitcnt vmcnt(5)
	v_add_f64 v[16:17], v[16:17], -v[164:165]
	s_waitcnt lgkmcnt(0)
	v_mul_f64 v[164:165], v[186:187], v[166:167]
	v_add_f64 v[18:19], v[18:19], -v[200:201]
	v_fma_f64 v[164:165], v[184:185], v[194:195], -v[164:165]
	v_mul_f64 v[184:185], v[184:185], v[166:167]
	ds_read2_b64 v[200:203], v196 offset0:84 offset1:85
	v_fmac_f64_e32 v[184:185], v[186:187], v[194:195]
	s_waitcnt vmcnt(4)
	v_add_f64 v[14:15], v[14:15], -v[184:185]
	ds_read2_b64 v[184:187], v196 offset0:86 offset1:87
	v_add_f64 v[12:13], v[12:13], -v[164:165]
	s_waitcnt lgkmcnt(1)
	v_mul_f64 v[164:165], v[202:203], v[166:167]
	v_fma_f64 v[164:165], v[200:201], v[194:195], -v[164:165]
	v_mul_f64 v[200:201], v[200:201], v[166:167]
	v_fmac_f64_e32 v[200:201], v[202:203], v[194:195]
	s_waitcnt vmcnt(3)
	v_add_f64 v[8:9], v[8:9], -v[164:165]
	s_waitcnt lgkmcnt(0)
	v_mul_f64 v[164:165], v[186:187], v[166:167]
	v_add_f64 v[10:11], v[10:11], -v[200:201]
	v_fma_f64 v[164:165], v[184:185], v[194:195], -v[164:165]
	v_mul_f64 v[184:185], v[184:185], v[166:167]
	ds_read2_b64 v[200:203], v196 offset0:88 offset1:89
	v_fmac_f64_e32 v[184:185], v[186:187], v[194:195]
	s_waitcnt vmcnt(2)
	v_add_f64 v[6:7], v[6:7], -v[184:185]
	ds_read2_b64 v[184:187], v196 offset0:90 offset1:91
	v_add_f64 v[4:5], v[4:5], -v[164:165]
	s_waitcnt lgkmcnt(1)
	v_mul_f64 v[164:165], v[202:203], v[166:167]
	v_fma_f64 v[164:165], v[200:201], v[194:195], -v[164:165]
	s_waitcnt vmcnt(1)
	v_add_f64 v[0:1], v[0:1], -v[164:165]
	s_waitcnt lgkmcnt(0)
	v_mul_f64 v[164:165], v[186:187], v[166:167]
	v_mul_f64 v[200:201], v[200:201], v[166:167]
	v_fma_f64 v[164:165], v[184:185], v[194:195], -v[164:165]
	v_mul_f64 v[184:185], v[184:185], v[166:167]
	v_fmac_f64_e32 v[200:201], v[202:203], v[194:195]
	v_fmac_f64_e32 v[184:185], v[186:187], v[194:195]
	v_add_f64 v[2:3], v[2:3], -v[200:201]
	s_waitcnt vmcnt(0)
	v_add_f64 v[180:181], v[180:181], -v[164:165]
	v_add_f64 v[182:183], v[182:183], -v[184:185]
	v_mov_b64_e32 v[164:165], v[194:195]
.LBB90_125:
	s_or_b64 exec, exec, s[0:1]
	v_lshl_add_u32 v184, v197, 4, v196
	s_barrier
	s_waitcnt vmcnt(39)
	ds_write2_b64 v184, v[160:161], v[162:163] offset1:1
	s_waitcnt lgkmcnt(0)
	s_barrier
	ds_read2_b64 v[184:187], v196 offset0:12 offset1:13
	s_cmp_lt_i32 s20, 8
	v_mov_b32_e32 v194, 6
	s_cbranch_scc1 .LBB90_128
; %bb.126:
	v_add_u32_e32 v195, 0x70, v196
	s_mov_b32 s16, 7
	v_mov_b32_e32 v194, 6
.LBB90_127:                             ; =>This Inner Loop Header: Depth=1
	ds_read2_b64 v[200:203], v195 offset1:1
	s_waitcnt lgkmcnt(1)
	v_xor_b32_e32 v205, 0x80000000, v185
	v_xor_b32_e32 v207, 0x80000000, v187
	v_cmp_gt_f64_e32 vcc, 0, v[186:187]
	v_cmp_gt_f64_e64 s[0:1], 0, v[184:185]
	v_mov_b32_e32 v204, v184
	v_mov_b32_e32 v206, v186
	v_cndmask_b32_e64 v205, v185, v205, s[0:1]
	v_cndmask_b32_e32 v207, v187, v207, vcc
	v_add_f64 v[204:205], v[204:205], v[206:207]
	s_waitcnt lgkmcnt(0)
	v_xor_b32_e32 v207, 0x80000000, v201
	v_xor_b32_e32 v209, 0x80000000, v203
	v_cmp_gt_f64_e32 vcc, 0, v[202:203]
	v_cmp_gt_f64_e64 s[0:1], 0, v[200:201]
	v_mov_b32_e32 v206, v200
	v_mov_b32_e32 v208, v202
	v_cndmask_b32_e64 v207, v201, v207, s[0:1]
	v_cndmask_b32_e32 v209, v203, v209, vcc
	v_add_f64 v[206:207], v[206:207], v[208:209]
	v_mov_b32_e32 v210, s16
	s_add_i32 s16, s16, 1
	v_cmp_lt_f64_e32 vcc, v[204:205], v[206:207]
	v_add_u32_e32 v195, 16, v195
	s_cmp_lg_u32 s20, s16
	v_cndmask_b32_e32 v185, v185, v201, vcc
	v_cndmask_b32_e32 v184, v184, v200, vcc
	;; [unrolled: 1-line block ×5, first 2 shown]
	s_cbranch_scc1 .LBB90_127
.LBB90_128:
	s_waitcnt lgkmcnt(0)
	v_cmp_eq_f64_e32 vcc, 0, v[184:185]
	v_cmp_eq_f64_e64 s[0:1], 0, v[186:187]
	s_and_b64 s[0:1], vcc, s[0:1]
	s_and_saveexec_b64 s[16:17], s[0:1]
	s_xor_b64 s[0:1], exec, s[16:17]
; %bb.129:
	v_cmp_ne_u32_e32 vcc, 0, v198
	s_nop 1
	v_cndmask_b32_e32 v198, 7, v198, vcc
; %bb.130:
	s_andn2_saveexec_b64 s[0:1], s[0:1]
	s_cbranch_execz .LBB90_136
; %bb.131:
	v_cmp_ngt_f64_e64 s[16:17], |v[184:185]|, |v[186:187]|
	s_and_saveexec_b64 s[18:19], s[16:17]
	s_xor_b64 s[16:17], exec, s[18:19]
	s_cbranch_execz .LBB90_133
; %bb.132:
	v_div_scale_f64 v[200:201], s[18:19], v[186:187], v[186:187], v[184:185]
	v_rcp_f64_e32 v[202:203], v[200:201]
	v_div_scale_f64 v[204:205], vcc, v[184:185], v[186:187], v[184:185]
	v_fma_f64 v[206:207], -v[200:201], v[202:203], 1.0
	v_fmac_f64_e32 v[202:203], v[202:203], v[206:207]
	v_fma_f64 v[206:207], -v[200:201], v[202:203], 1.0
	v_fmac_f64_e32 v[202:203], v[202:203], v[206:207]
	v_mul_f64 v[206:207], v[204:205], v[202:203]
	v_fma_f64 v[200:201], -v[200:201], v[206:207], v[204:205]
	v_div_fmas_f64 v[200:201], v[200:201], v[202:203], v[206:207]
	v_div_fixup_f64 v[200:201], v[200:201], v[186:187], v[184:185]
	v_fmac_f64_e32 v[186:187], v[184:185], v[200:201]
	v_div_scale_f64 v[184:185], s[18:19], v[186:187], v[186:187], 1.0
	v_rcp_f64_e32 v[202:203], v[184:185]
	s_nop 0
	v_fma_f64 v[204:205], -v[184:185], v[202:203], 1.0
	v_fmac_f64_e32 v[202:203], v[202:203], v[204:205]
	v_fma_f64 v[204:205], -v[184:185], v[202:203], 1.0
	v_fmac_f64_e32 v[202:203], v[202:203], v[204:205]
	v_div_scale_f64 v[204:205], vcc, 1.0, v[186:187], 1.0
	v_mul_f64 v[206:207], v[204:205], v[202:203]
	v_fma_f64 v[184:185], -v[184:185], v[206:207], v[204:205]
	s_nop 1
	v_div_fmas_f64 v[184:185], v[184:185], v[202:203], v[206:207]
	v_div_fixup_f64 v[186:187], v[184:185], v[186:187], 1.0
	v_mul_f64 v[184:185], v[200:201], v[186:187]
	v_xor_b32_e32 v187, 0x80000000, v187
.LBB90_133:
	s_andn2_saveexec_b64 s[16:17], s[16:17]
	s_cbranch_execz .LBB90_135
; %bb.134:
	v_div_scale_f64 v[200:201], s[18:19], v[184:185], v[184:185], v[186:187]
	v_rcp_f64_e32 v[202:203], v[200:201]
	v_div_scale_f64 v[204:205], vcc, v[186:187], v[184:185], v[186:187]
	v_fma_f64 v[206:207], -v[200:201], v[202:203], 1.0
	v_fmac_f64_e32 v[202:203], v[202:203], v[206:207]
	v_fma_f64 v[206:207], -v[200:201], v[202:203], 1.0
	v_fmac_f64_e32 v[202:203], v[202:203], v[206:207]
	v_mul_f64 v[206:207], v[204:205], v[202:203]
	v_fma_f64 v[200:201], -v[200:201], v[206:207], v[204:205]
	v_div_fmas_f64 v[200:201], v[200:201], v[202:203], v[206:207]
	v_div_fixup_f64 v[200:201], v[200:201], v[184:185], v[186:187]
	v_fmac_f64_e32 v[184:185], v[186:187], v[200:201]
	v_div_scale_f64 v[186:187], s[18:19], v[184:185], v[184:185], 1.0
	v_rcp_f64_e32 v[202:203], v[186:187]
	s_nop 0
	v_fma_f64 v[204:205], -v[186:187], v[202:203], 1.0
	v_fmac_f64_e32 v[202:203], v[202:203], v[204:205]
	v_fma_f64 v[204:205], -v[186:187], v[202:203], 1.0
	v_fmac_f64_e32 v[202:203], v[202:203], v[204:205]
	v_div_scale_f64 v[204:205], vcc, 1.0, v[184:185], 1.0
	v_mul_f64 v[206:207], v[204:205], v[202:203]
	v_fma_f64 v[186:187], -v[186:187], v[206:207], v[204:205]
	s_nop 1
	v_div_fmas_f64 v[186:187], v[186:187], v[202:203], v[206:207]
	v_div_fixup_f64 v[184:185], v[186:187], v[184:185], 1.0
	v_mul_f64 v[186:187], v[200:201], -v[184:185]
.LBB90_135:
	s_or_b64 exec, exec, s[16:17]
.LBB90_136:
	s_or_b64 exec, exec, s[0:1]
	v_cmp_ne_u32_e32 vcc, v197, v194
	s_and_saveexec_b64 s[0:1], vcc
	s_xor_b64 s[0:1], exec, s[0:1]
	s_cbranch_execz .LBB90_142
; %bb.137:
	v_cmp_eq_u32_e32 vcc, 6, v197
	s_and_saveexec_b64 s[16:17], vcc
	s_cbranch_execz .LBB90_141
; %bb.138:
	v_cmp_ne_u32_e32 vcc, 6, v194
	s_xor_b64 s[18:19], s[14:15], -1
	s_and_b64 s[22:23], s[18:19], vcc
	s_and_saveexec_b64 s[18:19], s[22:23]
	s_cbranch_execz .LBB90_140
; %bb.139:
	v_ashrrev_i32_e32 v195, 31, v194
	v_lshl_add_u64 v[200:201], v[194:195], 2, v[192:193]
	global_load_dword v195, v[200:201], off
	global_load_dword v197, v[192:193], off offset:24
	s_waitcnt vmcnt(1)
	global_store_dword v[192:193], v195, off offset:24
	s_waitcnt vmcnt(1)
	global_store_dword v[200:201], v197, off
.LBB90_140:
	s_or_b64 exec, exec, s[18:19]
	v_mov_b32_e32 v197, v194
	v_mov_b32_e32 v199, v194
.LBB90_141:
	s_or_b64 exec, exec, s[16:17]
.LBB90_142:
	s_andn2_saveexec_b64 s[0:1], s[0:1]
	s_cbranch_execz .LBB90_144
; %bb.143:
	v_mov_b32_e32 v197, 6
	s_waitcnt vmcnt(38)
	ds_write2_b64 v196, v[156:157], v[158:159] offset0:14 offset1:15
	s_waitcnt vmcnt(37)
	ds_write2_b64 v196, v[152:153], v[154:155] offset0:16 offset1:17
	;; [unrolled: 2-line block ×39, first 2 shown]
.LBB90_144:
	s_or_b64 exec, exec, s[0:1]
	v_cmp_lt_i32_e32 vcc, 6, v197
	s_waitcnt lgkmcnt(0)
	s_barrier
	s_and_saveexec_b64 s[0:1], vcc
	s_cbranch_execz .LBB90_146
; %bb.145:
	ds_read2_b64 v[200:203], v196 offset0:14 offset1:15
	v_mul_f64 v[194:195], v[186:187], v[162:163]
	v_mul_f64 v[162:163], v[184:185], v[162:163]
	v_fmac_f64_e32 v[162:163], v[186:187], v[160:161]
	v_fma_f64 v[194:195], v[184:185], v[160:161], -v[194:195]
	ds_read2_b64 v[184:187], v196 offset0:16 offset1:17
	s_waitcnt lgkmcnt(1)
	v_mul_f64 v[160:161], v[202:203], v[162:163]
	v_fma_f64 v[160:161], v[200:201], v[194:195], -v[160:161]
	v_mul_f64 v[200:201], v[200:201], v[162:163]
	v_fmac_f64_e32 v[200:201], v[202:203], v[194:195]
	s_waitcnt vmcnt(38)
	v_add_f64 v[158:159], v[158:159], -v[200:201]
	ds_read2_b64 v[200:203], v196 offset0:18 offset1:19
	v_add_f64 v[156:157], v[156:157], -v[160:161]
	s_waitcnt lgkmcnt(1)
	v_mul_f64 v[160:161], v[186:187], v[162:163]
	v_fma_f64 v[160:161], v[184:185], v[194:195], -v[160:161]
	v_mul_f64 v[184:185], v[184:185], v[162:163]
	v_fmac_f64_e32 v[184:185], v[186:187], v[194:195]
	s_waitcnt vmcnt(37)
	v_add_f64 v[152:153], v[152:153], -v[160:161]
	v_add_f64 v[154:155], v[154:155], -v[184:185]
	ds_read2_b64 v[184:187], v196 offset0:20 offset1:21
	s_waitcnt lgkmcnt(1)
	v_mul_f64 v[160:161], v[202:203], v[162:163]
	v_fma_f64 v[160:161], v[200:201], v[194:195], -v[160:161]
	v_mul_f64 v[200:201], v[200:201], v[162:163]
	v_fmac_f64_e32 v[200:201], v[202:203], v[194:195]
	s_waitcnt vmcnt(36)
	v_add_f64 v[150:151], v[150:151], -v[200:201]
	ds_read2_b64 v[200:203], v196 offset0:22 offset1:23
	v_add_f64 v[148:149], v[148:149], -v[160:161]
	s_waitcnt lgkmcnt(1)
	v_mul_f64 v[160:161], v[186:187], v[162:163]
	v_fma_f64 v[160:161], v[184:185], v[194:195], -v[160:161]
	v_mul_f64 v[184:185], v[184:185], v[162:163]
	v_fmac_f64_e32 v[184:185], v[186:187], v[194:195]
	s_waitcnt vmcnt(35)
	v_add_f64 v[144:145], v[144:145], -v[160:161]
	v_add_f64 v[146:147], v[146:147], -v[184:185]
	;; [unrolled: 18-line block ×19, first 2 shown]
	s_waitcnt lgkmcnt(0)
	v_mul_f64 v[160:161], v[202:203], v[162:163]
	v_mul_f64 v[184:185], v[200:201], v[162:163]
	v_fma_f64 v[160:161], v[200:201], v[194:195], -v[160:161]
	v_fmac_f64_e32 v[184:185], v[202:203], v[194:195]
	s_waitcnt vmcnt(0)
	v_add_f64 v[180:181], v[180:181], -v[160:161]
	v_add_f64 v[182:183], v[182:183], -v[184:185]
	v_mov_b64_e32 v[160:161], v[194:195]
.LBB90_146:
	s_or_b64 exec, exec, s[0:1]
	v_lshl_add_u32 v184, v197, 4, v196
	s_barrier
	s_waitcnt vmcnt(38)
	ds_write2_b64 v184, v[156:157], v[158:159] offset1:1
	s_waitcnt lgkmcnt(0)
	s_barrier
	ds_read2_b64 v[184:187], v196 offset0:14 offset1:15
	s_cmp_lt_i32 s20, 9
	v_mov_b32_e32 v194, 7
	s_cbranch_scc1 .LBB90_149
; %bb.147:
	v_add_u32_e32 v195, 0x80, v196
	s_mov_b32 s16, 8
	v_mov_b32_e32 v194, 7
.LBB90_148:                             ; =>This Inner Loop Header: Depth=1
	ds_read2_b64 v[200:203], v195 offset1:1
	s_waitcnt lgkmcnt(1)
	v_xor_b32_e32 v205, 0x80000000, v185
	v_xor_b32_e32 v207, 0x80000000, v187
	v_cmp_gt_f64_e32 vcc, 0, v[186:187]
	v_cmp_gt_f64_e64 s[0:1], 0, v[184:185]
	v_mov_b32_e32 v204, v184
	v_mov_b32_e32 v206, v186
	v_cndmask_b32_e64 v205, v185, v205, s[0:1]
	v_cndmask_b32_e32 v207, v187, v207, vcc
	v_add_f64 v[204:205], v[204:205], v[206:207]
	s_waitcnt lgkmcnt(0)
	v_xor_b32_e32 v207, 0x80000000, v201
	v_xor_b32_e32 v209, 0x80000000, v203
	v_cmp_gt_f64_e32 vcc, 0, v[202:203]
	v_cmp_gt_f64_e64 s[0:1], 0, v[200:201]
	v_mov_b32_e32 v206, v200
	v_mov_b32_e32 v208, v202
	v_cndmask_b32_e64 v207, v201, v207, s[0:1]
	v_cndmask_b32_e32 v209, v203, v209, vcc
	v_add_f64 v[206:207], v[206:207], v[208:209]
	v_mov_b32_e32 v210, s16
	s_add_i32 s16, s16, 1
	v_cmp_lt_f64_e32 vcc, v[204:205], v[206:207]
	v_add_u32_e32 v195, 16, v195
	s_cmp_lg_u32 s20, s16
	v_cndmask_b32_e32 v185, v185, v201, vcc
	v_cndmask_b32_e32 v184, v184, v200, vcc
	;; [unrolled: 1-line block ×5, first 2 shown]
	s_cbranch_scc1 .LBB90_148
.LBB90_149:
	s_waitcnt lgkmcnt(0)
	v_cmp_eq_f64_e32 vcc, 0, v[184:185]
	v_cmp_eq_f64_e64 s[0:1], 0, v[186:187]
	s_and_b64 s[0:1], vcc, s[0:1]
	s_and_saveexec_b64 s[16:17], s[0:1]
	s_xor_b64 s[0:1], exec, s[16:17]
; %bb.150:
	v_cmp_ne_u32_e32 vcc, 0, v198
	s_nop 1
	v_cndmask_b32_e32 v198, 8, v198, vcc
; %bb.151:
	s_andn2_saveexec_b64 s[0:1], s[0:1]
	s_cbranch_execz .LBB90_157
; %bb.152:
	v_cmp_ngt_f64_e64 s[16:17], |v[184:185]|, |v[186:187]|
	s_and_saveexec_b64 s[18:19], s[16:17]
	s_xor_b64 s[16:17], exec, s[18:19]
	s_cbranch_execz .LBB90_154
; %bb.153:
	v_div_scale_f64 v[200:201], s[18:19], v[186:187], v[186:187], v[184:185]
	v_rcp_f64_e32 v[202:203], v[200:201]
	v_div_scale_f64 v[204:205], vcc, v[184:185], v[186:187], v[184:185]
	v_fma_f64 v[206:207], -v[200:201], v[202:203], 1.0
	v_fmac_f64_e32 v[202:203], v[202:203], v[206:207]
	v_fma_f64 v[206:207], -v[200:201], v[202:203], 1.0
	v_fmac_f64_e32 v[202:203], v[202:203], v[206:207]
	v_mul_f64 v[206:207], v[204:205], v[202:203]
	v_fma_f64 v[200:201], -v[200:201], v[206:207], v[204:205]
	v_div_fmas_f64 v[200:201], v[200:201], v[202:203], v[206:207]
	v_div_fixup_f64 v[200:201], v[200:201], v[186:187], v[184:185]
	v_fmac_f64_e32 v[186:187], v[184:185], v[200:201]
	v_div_scale_f64 v[184:185], s[18:19], v[186:187], v[186:187], 1.0
	v_rcp_f64_e32 v[202:203], v[184:185]
	s_nop 0
	v_fma_f64 v[204:205], -v[184:185], v[202:203], 1.0
	v_fmac_f64_e32 v[202:203], v[202:203], v[204:205]
	v_fma_f64 v[204:205], -v[184:185], v[202:203], 1.0
	v_fmac_f64_e32 v[202:203], v[202:203], v[204:205]
	v_div_scale_f64 v[204:205], vcc, 1.0, v[186:187], 1.0
	v_mul_f64 v[206:207], v[204:205], v[202:203]
	v_fma_f64 v[184:185], -v[184:185], v[206:207], v[204:205]
	s_nop 1
	v_div_fmas_f64 v[184:185], v[184:185], v[202:203], v[206:207]
	v_div_fixup_f64 v[186:187], v[184:185], v[186:187], 1.0
	v_mul_f64 v[184:185], v[200:201], v[186:187]
	v_xor_b32_e32 v187, 0x80000000, v187
.LBB90_154:
	s_andn2_saveexec_b64 s[16:17], s[16:17]
	s_cbranch_execz .LBB90_156
; %bb.155:
	v_div_scale_f64 v[200:201], s[18:19], v[184:185], v[184:185], v[186:187]
	v_rcp_f64_e32 v[202:203], v[200:201]
	v_div_scale_f64 v[204:205], vcc, v[186:187], v[184:185], v[186:187]
	v_fma_f64 v[206:207], -v[200:201], v[202:203], 1.0
	v_fmac_f64_e32 v[202:203], v[202:203], v[206:207]
	v_fma_f64 v[206:207], -v[200:201], v[202:203], 1.0
	v_fmac_f64_e32 v[202:203], v[202:203], v[206:207]
	v_mul_f64 v[206:207], v[204:205], v[202:203]
	v_fma_f64 v[200:201], -v[200:201], v[206:207], v[204:205]
	v_div_fmas_f64 v[200:201], v[200:201], v[202:203], v[206:207]
	v_div_fixup_f64 v[200:201], v[200:201], v[184:185], v[186:187]
	v_fmac_f64_e32 v[184:185], v[186:187], v[200:201]
	v_div_scale_f64 v[186:187], s[18:19], v[184:185], v[184:185], 1.0
	v_rcp_f64_e32 v[202:203], v[186:187]
	s_nop 0
	v_fma_f64 v[204:205], -v[186:187], v[202:203], 1.0
	v_fmac_f64_e32 v[202:203], v[202:203], v[204:205]
	v_fma_f64 v[204:205], -v[186:187], v[202:203], 1.0
	v_fmac_f64_e32 v[202:203], v[202:203], v[204:205]
	v_div_scale_f64 v[204:205], vcc, 1.0, v[184:185], 1.0
	v_mul_f64 v[206:207], v[204:205], v[202:203]
	v_fma_f64 v[186:187], -v[186:187], v[206:207], v[204:205]
	s_nop 1
	v_div_fmas_f64 v[186:187], v[186:187], v[202:203], v[206:207]
	v_div_fixup_f64 v[184:185], v[186:187], v[184:185], 1.0
	v_mul_f64 v[186:187], v[200:201], -v[184:185]
.LBB90_156:
	s_or_b64 exec, exec, s[16:17]
.LBB90_157:
	s_or_b64 exec, exec, s[0:1]
	v_cmp_ne_u32_e32 vcc, v197, v194
	s_and_saveexec_b64 s[0:1], vcc
	s_xor_b64 s[0:1], exec, s[0:1]
	s_cbranch_execz .LBB90_163
; %bb.158:
	v_cmp_eq_u32_e32 vcc, 7, v197
	s_and_saveexec_b64 s[16:17], vcc
	s_cbranch_execz .LBB90_162
; %bb.159:
	v_cmp_ne_u32_e32 vcc, 7, v194
	s_xor_b64 s[18:19], s[14:15], -1
	s_and_b64 s[22:23], s[18:19], vcc
	s_and_saveexec_b64 s[18:19], s[22:23]
	s_cbranch_execz .LBB90_161
; %bb.160:
	v_ashrrev_i32_e32 v195, 31, v194
	v_lshl_add_u64 v[200:201], v[194:195], 2, v[192:193]
	global_load_dword v195, v[200:201], off
	global_load_dword v197, v[192:193], off offset:28
	s_waitcnt vmcnt(1)
	global_store_dword v[192:193], v195, off offset:28
	s_waitcnt vmcnt(1)
	global_store_dword v[200:201], v197, off
.LBB90_161:
	s_or_b64 exec, exec, s[18:19]
	v_mov_b32_e32 v197, v194
	v_mov_b32_e32 v199, v194
.LBB90_162:
	s_or_b64 exec, exec, s[16:17]
.LBB90_163:
	s_andn2_saveexec_b64 s[0:1], s[0:1]
	s_cbranch_execz .LBB90_165
; %bb.164:
	v_mov_b32_e32 v197, 7
	s_waitcnt vmcnt(37)
	ds_write2_b64 v196, v[152:153], v[154:155] offset0:16 offset1:17
	s_waitcnt vmcnt(36)
	ds_write2_b64 v196, v[148:149], v[150:151] offset0:18 offset1:19
	;; [unrolled: 2-line block ×38, first 2 shown]
.LBB90_165:
	s_or_b64 exec, exec, s[0:1]
	v_cmp_lt_i32_e32 vcc, 7, v197
	s_waitcnt lgkmcnt(0)
	s_barrier
	s_and_saveexec_b64 s[0:1], vcc
	s_cbranch_execz .LBB90_167
; %bb.166:
	ds_read2_b64 v[200:203], v196 offset0:16 offset1:17
	v_mul_f64 v[194:195], v[186:187], v[158:159]
	v_mul_f64 v[158:159], v[184:185], v[158:159]
	v_fma_f64 v[194:195], v[184:185], v[156:157], -v[194:195]
	v_fmac_f64_e32 v[158:159], v[186:187], v[156:157]
	ds_read2_b64 v[184:187], v196 offset0:18 offset1:19
	s_waitcnt lgkmcnt(1)
	v_mul_f64 v[156:157], v[202:203], v[158:159]
	v_fma_f64 v[156:157], v[200:201], v[194:195], -v[156:157]
	v_mul_f64 v[200:201], v[200:201], v[158:159]
	v_fmac_f64_e32 v[200:201], v[202:203], v[194:195]
	s_waitcnt vmcnt(37)
	v_add_f64 v[152:153], v[152:153], -v[156:157]
	s_waitcnt lgkmcnt(0)
	v_mul_f64 v[156:157], v[186:187], v[158:159]
	v_add_f64 v[154:155], v[154:155], -v[200:201]
	v_fma_f64 v[156:157], v[184:185], v[194:195], -v[156:157]
	v_mul_f64 v[184:185], v[184:185], v[158:159]
	ds_read2_b64 v[200:203], v196 offset0:20 offset1:21
	v_fmac_f64_e32 v[184:185], v[186:187], v[194:195]
	s_waitcnt vmcnt(36)
	v_add_f64 v[150:151], v[150:151], -v[184:185]
	ds_read2_b64 v[184:187], v196 offset0:22 offset1:23
	v_add_f64 v[148:149], v[148:149], -v[156:157]
	s_waitcnt lgkmcnt(1)
	v_mul_f64 v[156:157], v[202:203], v[158:159]
	v_fma_f64 v[156:157], v[200:201], v[194:195], -v[156:157]
	v_mul_f64 v[200:201], v[200:201], v[158:159]
	v_fmac_f64_e32 v[200:201], v[202:203], v[194:195]
	s_waitcnt vmcnt(35)
	v_add_f64 v[144:145], v[144:145], -v[156:157]
	s_waitcnt lgkmcnt(0)
	v_mul_f64 v[156:157], v[186:187], v[158:159]
	v_add_f64 v[146:147], v[146:147], -v[200:201]
	v_fma_f64 v[156:157], v[184:185], v[194:195], -v[156:157]
	v_mul_f64 v[184:185], v[184:185], v[158:159]
	ds_read2_b64 v[200:203], v196 offset0:24 offset1:25
	v_fmac_f64_e32 v[184:185], v[186:187], v[194:195]
	s_waitcnt vmcnt(34)
	v_add_f64 v[142:143], v[142:143], -v[184:185]
	ds_read2_b64 v[184:187], v196 offset0:26 offset1:27
	v_add_f64 v[140:141], v[140:141], -v[156:157]
	;; [unrolled: 18-line block ×18, first 2 shown]
	s_waitcnt lgkmcnt(1)
	v_mul_f64 v[156:157], v[202:203], v[158:159]
	v_fma_f64 v[156:157], v[200:201], v[194:195], -v[156:157]
	s_waitcnt vmcnt(1)
	v_add_f64 v[0:1], v[0:1], -v[156:157]
	s_waitcnt lgkmcnt(0)
	v_mul_f64 v[156:157], v[186:187], v[158:159]
	v_mul_f64 v[200:201], v[200:201], v[158:159]
	v_fma_f64 v[156:157], v[184:185], v[194:195], -v[156:157]
	v_mul_f64 v[184:185], v[184:185], v[158:159]
	v_fmac_f64_e32 v[200:201], v[202:203], v[194:195]
	v_fmac_f64_e32 v[184:185], v[186:187], v[194:195]
	v_add_f64 v[2:3], v[2:3], -v[200:201]
	s_waitcnt vmcnt(0)
	v_add_f64 v[180:181], v[180:181], -v[156:157]
	v_add_f64 v[182:183], v[182:183], -v[184:185]
	v_mov_b64_e32 v[156:157], v[194:195]
.LBB90_167:
	s_or_b64 exec, exec, s[0:1]
	v_lshl_add_u32 v184, v197, 4, v196
	s_barrier
	s_waitcnt vmcnt(37)
	ds_write2_b64 v184, v[152:153], v[154:155] offset1:1
	s_waitcnt lgkmcnt(0)
	s_barrier
	ds_read2_b64 v[184:187], v196 offset0:16 offset1:17
	s_cmp_lt_i32 s20, 10
	v_mov_b32_e32 v194, 8
	s_cbranch_scc1 .LBB90_170
; %bb.168:
	v_add_u32_e32 v195, 0x90, v196
	s_mov_b32 s16, 9
	v_mov_b32_e32 v194, 8
.LBB90_169:                             ; =>This Inner Loop Header: Depth=1
	ds_read2_b64 v[200:203], v195 offset1:1
	s_waitcnt lgkmcnt(1)
	v_xor_b32_e32 v205, 0x80000000, v185
	v_xor_b32_e32 v207, 0x80000000, v187
	v_cmp_gt_f64_e32 vcc, 0, v[186:187]
	v_cmp_gt_f64_e64 s[0:1], 0, v[184:185]
	v_mov_b32_e32 v204, v184
	v_mov_b32_e32 v206, v186
	v_cndmask_b32_e64 v205, v185, v205, s[0:1]
	v_cndmask_b32_e32 v207, v187, v207, vcc
	v_add_f64 v[204:205], v[204:205], v[206:207]
	s_waitcnt lgkmcnt(0)
	v_xor_b32_e32 v207, 0x80000000, v201
	v_xor_b32_e32 v209, 0x80000000, v203
	v_cmp_gt_f64_e32 vcc, 0, v[202:203]
	v_cmp_gt_f64_e64 s[0:1], 0, v[200:201]
	v_mov_b32_e32 v206, v200
	v_mov_b32_e32 v208, v202
	v_cndmask_b32_e64 v207, v201, v207, s[0:1]
	v_cndmask_b32_e32 v209, v203, v209, vcc
	v_add_f64 v[206:207], v[206:207], v[208:209]
	v_mov_b32_e32 v210, s16
	s_add_i32 s16, s16, 1
	v_cmp_lt_f64_e32 vcc, v[204:205], v[206:207]
	v_add_u32_e32 v195, 16, v195
	s_cmp_lg_u32 s20, s16
	v_cndmask_b32_e32 v185, v185, v201, vcc
	v_cndmask_b32_e32 v184, v184, v200, vcc
	;; [unrolled: 1-line block ×5, first 2 shown]
	s_cbranch_scc1 .LBB90_169
.LBB90_170:
	s_waitcnt lgkmcnt(0)
	v_cmp_eq_f64_e32 vcc, 0, v[184:185]
	v_cmp_eq_f64_e64 s[0:1], 0, v[186:187]
	s_and_b64 s[0:1], vcc, s[0:1]
	s_and_saveexec_b64 s[16:17], s[0:1]
	s_xor_b64 s[0:1], exec, s[16:17]
; %bb.171:
	v_cmp_ne_u32_e32 vcc, 0, v198
	s_nop 1
	v_cndmask_b32_e32 v198, 9, v198, vcc
; %bb.172:
	s_andn2_saveexec_b64 s[0:1], s[0:1]
	s_cbranch_execz .LBB90_178
; %bb.173:
	v_cmp_ngt_f64_e64 s[16:17], |v[184:185]|, |v[186:187]|
	s_and_saveexec_b64 s[18:19], s[16:17]
	s_xor_b64 s[16:17], exec, s[18:19]
	s_cbranch_execz .LBB90_175
; %bb.174:
	v_div_scale_f64 v[200:201], s[18:19], v[186:187], v[186:187], v[184:185]
	v_rcp_f64_e32 v[202:203], v[200:201]
	v_div_scale_f64 v[204:205], vcc, v[184:185], v[186:187], v[184:185]
	v_fma_f64 v[206:207], -v[200:201], v[202:203], 1.0
	v_fmac_f64_e32 v[202:203], v[202:203], v[206:207]
	v_fma_f64 v[206:207], -v[200:201], v[202:203], 1.0
	v_fmac_f64_e32 v[202:203], v[202:203], v[206:207]
	v_mul_f64 v[206:207], v[204:205], v[202:203]
	v_fma_f64 v[200:201], -v[200:201], v[206:207], v[204:205]
	v_div_fmas_f64 v[200:201], v[200:201], v[202:203], v[206:207]
	v_div_fixup_f64 v[200:201], v[200:201], v[186:187], v[184:185]
	v_fmac_f64_e32 v[186:187], v[184:185], v[200:201]
	v_div_scale_f64 v[184:185], s[18:19], v[186:187], v[186:187], 1.0
	v_rcp_f64_e32 v[202:203], v[184:185]
	s_nop 0
	v_fma_f64 v[204:205], -v[184:185], v[202:203], 1.0
	v_fmac_f64_e32 v[202:203], v[202:203], v[204:205]
	v_fma_f64 v[204:205], -v[184:185], v[202:203], 1.0
	v_fmac_f64_e32 v[202:203], v[202:203], v[204:205]
	v_div_scale_f64 v[204:205], vcc, 1.0, v[186:187], 1.0
	v_mul_f64 v[206:207], v[204:205], v[202:203]
	v_fma_f64 v[184:185], -v[184:185], v[206:207], v[204:205]
	s_nop 1
	v_div_fmas_f64 v[184:185], v[184:185], v[202:203], v[206:207]
	v_div_fixup_f64 v[186:187], v[184:185], v[186:187], 1.0
	v_mul_f64 v[184:185], v[200:201], v[186:187]
	v_xor_b32_e32 v187, 0x80000000, v187
.LBB90_175:
	s_andn2_saveexec_b64 s[16:17], s[16:17]
	s_cbranch_execz .LBB90_177
; %bb.176:
	v_div_scale_f64 v[200:201], s[18:19], v[184:185], v[184:185], v[186:187]
	v_rcp_f64_e32 v[202:203], v[200:201]
	v_div_scale_f64 v[204:205], vcc, v[186:187], v[184:185], v[186:187]
	v_fma_f64 v[206:207], -v[200:201], v[202:203], 1.0
	v_fmac_f64_e32 v[202:203], v[202:203], v[206:207]
	v_fma_f64 v[206:207], -v[200:201], v[202:203], 1.0
	v_fmac_f64_e32 v[202:203], v[202:203], v[206:207]
	v_mul_f64 v[206:207], v[204:205], v[202:203]
	v_fma_f64 v[200:201], -v[200:201], v[206:207], v[204:205]
	v_div_fmas_f64 v[200:201], v[200:201], v[202:203], v[206:207]
	v_div_fixup_f64 v[200:201], v[200:201], v[184:185], v[186:187]
	v_fmac_f64_e32 v[184:185], v[186:187], v[200:201]
	v_div_scale_f64 v[186:187], s[18:19], v[184:185], v[184:185], 1.0
	v_rcp_f64_e32 v[202:203], v[186:187]
	s_nop 0
	v_fma_f64 v[204:205], -v[186:187], v[202:203], 1.0
	v_fmac_f64_e32 v[202:203], v[202:203], v[204:205]
	v_fma_f64 v[204:205], -v[186:187], v[202:203], 1.0
	v_fmac_f64_e32 v[202:203], v[202:203], v[204:205]
	v_div_scale_f64 v[204:205], vcc, 1.0, v[184:185], 1.0
	v_mul_f64 v[206:207], v[204:205], v[202:203]
	v_fma_f64 v[186:187], -v[186:187], v[206:207], v[204:205]
	s_nop 1
	v_div_fmas_f64 v[186:187], v[186:187], v[202:203], v[206:207]
	v_div_fixup_f64 v[184:185], v[186:187], v[184:185], 1.0
	v_mul_f64 v[186:187], v[200:201], -v[184:185]
.LBB90_177:
	s_or_b64 exec, exec, s[16:17]
.LBB90_178:
	s_or_b64 exec, exec, s[0:1]
	v_cmp_ne_u32_e32 vcc, v197, v194
	s_and_saveexec_b64 s[0:1], vcc
	s_xor_b64 s[0:1], exec, s[0:1]
	s_cbranch_execz .LBB90_184
; %bb.179:
	v_cmp_eq_u32_e32 vcc, 8, v197
	s_and_saveexec_b64 s[16:17], vcc
	s_cbranch_execz .LBB90_183
; %bb.180:
	v_cmp_ne_u32_e32 vcc, 8, v194
	s_xor_b64 s[18:19], s[14:15], -1
	s_and_b64 s[22:23], s[18:19], vcc
	s_and_saveexec_b64 s[18:19], s[22:23]
	s_cbranch_execz .LBB90_182
; %bb.181:
	v_ashrrev_i32_e32 v195, 31, v194
	v_lshl_add_u64 v[200:201], v[194:195], 2, v[192:193]
	global_load_dword v195, v[200:201], off
	global_load_dword v197, v[192:193], off offset:32
	s_waitcnt vmcnt(1)
	global_store_dword v[192:193], v195, off offset:32
	s_waitcnt vmcnt(1)
	global_store_dword v[200:201], v197, off
.LBB90_182:
	s_or_b64 exec, exec, s[18:19]
	v_mov_b32_e32 v197, v194
	v_mov_b32_e32 v199, v194
.LBB90_183:
	s_or_b64 exec, exec, s[16:17]
.LBB90_184:
	s_andn2_saveexec_b64 s[0:1], s[0:1]
	s_cbranch_execz .LBB90_186
; %bb.185:
	v_mov_b32_e32 v197, 8
	s_waitcnt vmcnt(36)
	ds_write2_b64 v196, v[148:149], v[150:151] offset0:18 offset1:19
	s_waitcnt vmcnt(35)
	ds_write2_b64 v196, v[144:145], v[146:147] offset0:20 offset1:21
	;; [unrolled: 2-line block ×37, first 2 shown]
.LBB90_186:
	s_or_b64 exec, exec, s[0:1]
	v_cmp_lt_i32_e32 vcc, 8, v197
	s_waitcnt lgkmcnt(0)
	s_barrier
	s_and_saveexec_b64 s[0:1], vcc
	s_cbranch_execz .LBB90_188
; %bb.187:
	ds_read2_b64 v[200:203], v196 offset0:18 offset1:19
	v_mul_f64 v[194:195], v[186:187], v[154:155]
	v_mul_f64 v[154:155], v[184:185], v[154:155]
	v_fmac_f64_e32 v[154:155], v[186:187], v[152:153]
	v_fma_f64 v[194:195], v[184:185], v[152:153], -v[194:195]
	ds_read2_b64 v[184:187], v196 offset0:20 offset1:21
	s_waitcnt lgkmcnt(1)
	v_mul_f64 v[152:153], v[202:203], v[154:155]
	v_fma_f64 v[152:153], v[200:201], v[194:195], -v[152:153]
	v_mul_f64 v[200:201], v[200:201], v[154:155]
	v_fmac_f64_e32 v[200:201], v[202:203], v[194:195]
	s_waitcnt vmcnt(36)
	v_add_f64 v[150:151], v[150:151], -v[200:201]
	ds_read2_b64 v[200:203], v196 offset0:22 offset1:23
	v_add_f64 v[148:149], v[148:149], -v[152:153]
	s_waitcnt lgkmcnt(1)
	v_mul_f64 v[152:153], v[186:187], v[154:155]
	v_fma_f64 v[152:153], v[184:185], v[194:195], -v[152:153]
	v_mul_f64 v[184:185], v[184:185], v[154:155]
	v_fmac_f64_e32 v[184:185], v[186:187], v[194:195]
	s_waitcnt vmcnt(35)
	v_add_f64 v[144:145], v[144:145], -v[152:153]
	v_add_f64 v[146:147], v[146:147], -v[184:185]
	ds_read2_b64 v[184:187], v196 offset0:24 offset1:25
	s_waitcnt lgkmcnt(1)
	v_mul_f64 v[152:153], v[202:203], v[154:155]
	v_fma_f64 v[152:153], v[200:201], v[194:195], -v[152:153]
	v_mul_f64 v[200:201], v[200:201], v[154:155]
	v_fmac_f64_e32 v[200:201], v[202:203], v[194:195]
	s_waitcnt vmcnt(34)
	v_add_f64 v[142:143], v[142:143], -v[200:201]
	ds_read2_b64 v[200:203], v196 offset0:26 offset1:27
	v_add_f64 v[140:141], v[140:141], -v[152:153]
	s_waitcnt lgkmcnt(1)
	v_mul_f64 v[152:153], v[186:187], v[154:155]
	v_fma_f64 v[152:153], v[184:185], v[194:195], -v[152:153]
	v_mul_f64 v[184:185], v[184:185], v[154:155]
	v_fmac_f64_e32 v[184:185], v[186:187], v[194:195]
	s_waitcnt vmcnt(33)
	v_add_f64 v[136:137], v[136:137], -v[152:153]
	v_add_f64 v[138:139], v[138:139], -v[184:185]
	;; [unrolled: 18-line block ×18, first 2 shown]
	s_waitcnt lgkmcnt(0)
	v_mul_f64 v[152:153], v[202:203], v[154:155]
	v_mul_f64 v[184:185], v[200:201], v[154:155]
	v_fma_f64 v[152:153], v[200:201], v[194:195], -v[152:153]
	v_fmac_f64_e32 v[184:185], v[202:203], v[194:195]
	s_waitcnt vmcnt(0)
	v_add_f64 v[180:181], v[180:181], -v[152:153]
	v_add_f64 v[182:183], v[182:183], -v[184:185]
	v_mov_b64_e32 v[152:153], v[194:195]
.LBB90_188:
	s_or_b64 exec, exec, s[0:1]
	v_lshl_add_u32 v184, v197, 4, v196
	s_barrier
	s_waitcnt vmcnt(36)
	ds_write2_b64 v184, v[148:149], v[150:151] offset1:1
	s_waitcnt lgkmcnt(0)
	s_barrier
	ds_read2_b64 v[184:187], v196 offset0:18 offset1:19
	s_cmp_lt_i32 s20, 11
	v_mov_b32_e32 v194, 9
	s_cbranch_scc1 .LBB90_191
; %bb.189:
	v_add_u32_e32 v195, 0xa0, v196
	s_mov_b32 s16, 10
	v_mov_b32_e32 v194, 9
.LBB90_190:                             ; =>This Inner Loop Header: Depth=1
	ds_read2_b64 v[200:203], v195 offset1:1
	s_waitcnt lgkmcnt(1)
	v_xor_b32_e32 v205, 0x80000000, v185
	v_xor_b32_e32 v207, 0x80000000, v187
	v_cmp_gt_f64_e32 vcc, 0, v[186:187]
	v_cmp_gt_f64_e64 s[0:1], 0, v[184:185]
	v_mov_b32_e32 v204, v184
	v_mov_b32_e32 v206, v186
	v_cndmask_b32_e64 v205, v185, v205, s[0:1]
	v_cndmask_b32_e32 v207, v187, v207, vcc
	v_add_f64 v[204:205], v[204:205], v[206:207]
	s_waitcnt lgkmcnt(0)
	v_xor_b32_e32 v207, 0x80000000, v201
	v_xor_b32_e32 v209, 0x80000000, v203
	v_cmp_gt_f64_e32 vcc, 0, v[202:203]
	v_cmp_gt_f64_e64 s[0:1], 0, v[200:201]
	v_mov_b32_e32 v206, v200
	v_mov_b32_e32 v208, v202
	v_cndmask_b32_e64 v207, v201, v207, s[0:1]
	v_cndmask_b32_e32 v209, v203, v209, vcc
	v_add_f64 v[206:207], v[206:207], v[208:209]
	v_mov_b32_e32 v210, s16
	s_add_i32 s16, s16, 1
	v_cmp_lt_f64_e32 vcc, v[204:205], v[206:207]
	v_add_u32_e32 v195, 16, v195
	s_cmp_lg_u32 s20, s16
	v_cndmask_b32_e32 v185, v185, v201, vcc
	v_cndmask_b32_e32 v184, v184, v200, vcc
	;; [unrolled: 1-line block ×5, first 2 shown]
	s_cbranch_scc1 .LBB90_190
.LBB90_191:
	s_waitcnt lgkmcnt(0)
	v_cmp_eq_f64_e32 vcc, 0, v[184:185]
	v_cmp_eq_f64_e64 s[0:1], 0, v[186:187]
	s_and_b64 s[0:1], vcc, s[0:1]
	s_and_saveexec_b64 s[16:17], s[0:1]
	s_xor_b64 s[0:1], exec, s[16:17]
; %bb.192:
	v_cmp_ne_u32_e32 vcc, 0, v198
	s_nop 1
	v_cndmask_b32_e32 v198, 10, v198, vcc
; %bb.193:
	s_andn2_saveexec_b64 s[0:1], s[0:1]
	s_cbranch_execz .LBB90_199
; %bb.194:
	v_cmp_ngt_f64_e64 s[16:17], |v[184:185]|, |v[186:187]|
	s_and_saveexec_b64 s[18:19], s[16:17]
	s_xor_b64 s[16:17], exec, s[18:19]
	s_cbranch_execz .LBB90_196
; %bb.195:
	v_div_scale_f64 v[200:201], s[18:19], v[186:187], v[186:187], v[184:185]
	v_rcp_f64_e32 v[202:203], v[200:201]
	v_div_scale_f64 v[204:205], vcc, v[184:185], v[186:187], v[184:185]
	v_fma_f64 v[206:207], -v[200:201], v[202:203], 1.0
	v_fmac_f64_e32 v[202:203], v[202:203], v[206:207]
	v_fma_f64 v[206:207], -v[200:201], v[202:203], 1.0
	v_fmac_f64_e32 v[202:203], v[202:203], v[206:207]
	v_mul_f64 v[206:207], v[204:205], v[202:203]
	v_fma_f64 v[200:201], -v[200:201], v[206:207], v[204:205]
	v_div_fmas_f64 v[200:201], v[200:201], v[202:203], v[206:207]
	v_div_fixup_f64 v[200:201], v[200:201], v[186:187], v[184:185]
	v_fmac_f64_e32 v[186:187], v[184:185], v[200:201]
	v_div_scale_f64 v[184:185], s[18:19], v[186:187], v[186:187], 1.0
	v_rcp_f64_e32 v[202:203], v[184:185]
	s_nop 0
	v_fma_f64 v[204:205], -v[184:185], v[202:203], 1.0
	v_fmac_f64_e32 v[202:203], v[202:203], v[204:205]
	v_fma_f64 v[204:205], -v[184:185], v[202:203], 1.0
	v_fmac_f64_e32 v[202:203], v[202:203], v[204:205]
	v_div_scale_f64 v[204:205], vcc, 1.0, v[186:187], 1.0
	v_mul_f64 v[206:207], v[204:205], v[202:203]
	v_fma_f64 v[184:185], -v[184:185], v[206:207], v[204:205]
	s_nop 1
	v_div_fmas_f64 v[184:185], v[184:185], v[202:203], v[206:207]
	v_div_fixup_f64 v[186:187], v[184:185], v[186:187], 1.0
	v_mul_f64 v[184:185], v[200:201], v[186:187]
	v_xor_b32_e32 v187, 0x80000000, v187
.LBB90_196:
	s_andn2_saveexec_b64 s[16:17], s[16:17]
	s_cbranch_execz .LBB90_198
; %bb.197:
	v_div_scale_f64 v[200:201], s[18:19], v[184:185], v[184:185], v[186:187]
	v_rcp_f64_e32 v[202:203], v[200:201]
	v_div_scale_f64 v[204:205], vcc, v[186:187], v[184:185], v[186:187]
	v_fma_f64 v[206:207], -v[200:201], v[202:203], 1.0
	v_fmac_f64_e32 v[202:203], v[202:203], v[206:207]
	v_fma_f64 v[206:207], -v[200:201], v[202:203], 1.0
	v_fmac_f64_e32 v[202:203], v[202:203], v[206:207]
	v_mul_f64 v[206:207], v[204:205], v[202:203]
	v_fma_f64 v[200:201], -v[200:201], v[206:207], v[204:205]
	v_div_fmas_f64 v[200:201], v[200:201], v[202:203], v[206:207]
	v_div_fixup_f64 v[200:201], v[200:201], v[184:185], v[186:187]
	v_fmac_f64_e32 v[184:185], v[186:187], v[200:201]
	v_div_scale_f64 v[186:187], s[18:19], v[184:185], v[184:185], 1.0
	v_rcp_f64_e32 v[202:203], v[186:187]
	s_nop 0
	v_fma_f64 v[204:205], -v[186:187], v[202:203], 1.0
	v_fmac_f64_e32 v[202:203], v[202:203], v[204:205]
	v_fma_f64 v[204:205], -v[186:187], v[202:203], 1.0
	v_fmac_f64_e32 v[202:203], v[202:203], v[204:205]
	v_div_scale_f64 v[204:205], vcc, 1.0, v[184:185], 1.0
	v_mul_f64 v[206:207], v[204:205], v[202:203]
	v_fma_f64 v[186:187], -v[186:187], v[206:207], v[204:205]
	s_nop 1
	v_div_fmas_f64 v[186:187], v[186:187], v[202:203], v[206:207]
	v_div_fixup_f64 v[184:185], v[186:187], v[184:185], 1.0
	v_mul_f64 v[186:187], v[200:201], -v[184:185]
.LBB90_198:
	s_or_b64 exec, exec, s[16:17]
.LBB90_199:
	s_or_b64 exec, exec, s[0:1]
	v_cmp_ne_u32_e32 vcc, v197, v194
	s_and_saveexec_b64 s[0:1], vcc
	s_xor_b64 s[0:1], exec, s[0:1]
	s_cbranch_execz .LBB90_205
; %bb.200:
	v_cmp_eq_u32_e32 vcc, 9, v197
	s_and_saveexec_b64 s[16:17], vcc
	s_cbranch_execz .LBB90_204
; %bb.201:
	v_cmp_ne_u32_e32 vcc, 9, v194
	s_xor_b64 s[18:19], s[14:15], -1
	s_and_b64 s[22:23], s[18:19], vcc
	s_and_saveexec_b64 s[18:19], s[22:23]
	s_cbranch_execz .LBB90_203
; %bb.202:
	v_ashrrev_i32_e32 v195, 31, v194
	v_lshl_add_u64 v[200:201], v[194:195], 2, v[192:193]
	global_load_dword v195, v[200:201], off
	global_load_dword v197, v[192:193], off offset:36
	s_waitcnt vmcnt(1)
	global_store_dword v[192:193], v195, off offset:36
	s_waitcnt vmcnt(1)
	global_store_dword v[200:201], v197, off
.LBB90_203:
	s_or_b64 exec, exec, s[18:19]
	v_mov_b32_e32 v197, v194
	v_mov_b32_e32 v199, v194
.LBB90_204:
	s_or_b64 exec, exec, s[16:17]
.LBB90_205:
	s_andn2_saveexec_b64 s[0:1], s[0:1]
	s_cbranch_execz .LBB90_207
; %bb.206:
	v_mov_b32_e32 v197, 9
	s_waitcnt vmcnt(35)
	ds_write2_b64 v196, v[144:145], v[146:147] offset0:20 offset1:21
	s_waitcnt vmcnt(34)
	ds_write2_b64 v196, v[140:141], v[142:143] offset0:22 offset1:23
	;; [unrolled: 2-line block ×36, first 2 shown]
.LBB90_207:
	s_or_b64 exec, exec, s[0:1]
	v_cmp_lt_i32_e32 vcc, 9, v197
	s_waitcnt lgkmcnt(0)
	s_barrier
	s_and_saveexec_b64 s[0:1], vcc
	s_cbranch_execz .LBB90_209
; %bb.208:
	ds_read2_b64 v[200:203], v196 offset0:20 offset1:21
	v_mul_f64 v[194:195], v[186:187], v[150:151]
	v_mul_f64 v[150:151], v[184:185], v[150:151]
	v_fma_f64 v[194:195], v[184:185], v[148:149], -v[194:195]
	v_fmac_f64_e32 v[150:151], v[186:187], v[148:149]
	ds_read2_b64 v[184:187], v196 offset0:22 offset1:23
	s_waitcnt lgkmcnt(1)
	v_mul_f64 v[148:149], v[202:203], v[150:151]
	v_fma_f64 v[148:149], v[200:201], v[194:195], -v[148:149]
	v_mul_f64 v[200:201], v[200:201], v[150:151]
	v_fmac_f64_e32 v[200:201], v[202:203], v[194:195]
	s_waitcnt vmcnt(35)
	v_add_f64 v[144:145], v[144:145], -v[148:149]
	s_waitcnt lgkmcnt(0)
	v_mul_f64 v[148:149], v[186:187], v[150:151]
	v_add_f64 v[146:147], v[146:147], -v[200:201]
	v_fma_f64 v[148:149], v[184:185], v[194:195], -v[148:149]
	v_mul_f64 v[184:185], v[184:185], v[150:151]
	ds_read2_b64 v[200:203], v196 offset0:24 offset1:25
	v_fmac_f64_e32 v[184:185], v[186:187], v[194:195]
	s_waitcnt vmcnt(34)
	v_add_f64 v[142:143], v[142:143], -v[184:185]
	ds_read2_b64 v[184:187], v196 offset0:26 offset1:27
	v_add_f64 v[140:141], v[140:141], -v[148:149]
	s_waitcnt lgkmcnt(1)
	v_mul_f64 v[148:149], v[202:203], v[150:151]
	v_fma_f64 v[148:149], v[200:201], v[194:195], -v[148:149]
	v_mul_f64 v[200:201], v[200:201], v[150:151]
	v_fmac_f64_e32 v[200:201], v[202:203], v[194:195]
	s_waitcnt vmcnt(33)
	v_add_f64 v[136:137], v[136:137], -v[148:149]
	s_waitcnt lgkmcnt(0)
	v_mul_f64 v[148:149], v[186:187], v[150:151]
	v_add_f64 v[138:139], v[138:139], -v[200:201]
	v_fma_f64 v[148:149], v[184:185], v[194:195], -v[148:149]
	v_mul_f64 v[184:185], v[184:185], v[150:151]
	ds_read2_b64 v[200:203], v196 offset0:28 offset1:29
	v_fmac_f64_e32 v[184:185], v[186:187], v[194:195]
	s_waitcnt vmcnt(32)
	v_add_f64 v[134:135], v[134:135], -v[184:185]
	ds_read2_b64 v[184:187], v196 offset0:30 offset1:31
	v_add_f64 v[132:133], v[132:133], -v[148:149]
	s_waitcnt lgkmcnt(1)
	v_mul_f64 v[148:149], v[202:203], v[150:151]
	v_fma_f64 v[148:149], v[200:201], v[194:195], -v[148:149]
	v_mul_f64 v[200:201], v[200:201], v[150:151]
	v_fmac_f64_e32 v[200:201], v[202:203], v[194:195]
	s_waitcnt vmcnt(31)
	v_add_f64 v[128:129], v[128:129], -v[148:149]
	s_waitcnt lgkmcnt(0)
	v_mul_f64 v[148:149], v[186:187], v[150:151]
	v_add_f64 v[130:131], v[130:131], -v[200:201]
	v_fma_f64 v[148:149], v[184:185], v[194:195], -v[148:149]
	v_mul_f64 v[184:185], v[184:185], v[150:151]
	ds_read2_b64 v[200:203], v196 offset0:32 offset1:33
	v_fmac_f64_e32 v[184:185], v[186:187], v[194:195]
	s_waitcnt vmcnt(30)
	v_add_f64 v[126:127], v[126:127], -v[184:185]
	ds_read2_b64 v[184:187], v196 offset0:34 offset1:35
	v_add_f64 v[124:125], v[124:125], -v[148:149]
	s_waitcnt lgkmcnt(1)
	v_mul_f64 v[148:149], v[202:203], v[150:151]
	v_fma_f64 v[148:149], v[200:201], v[194:195], -v[148:149]
	v_mul_f64 v[200:201], v[200:201], v[150:151]
	v_fmac_f64_e32 v[200:201], v[202:203], v[194:195]
	s_waitcnt vmcnt(29)
	v_add_f64 v[112:113], v[112:113], -v[148:149]
	s_waitcnt lgkmcnt(0)
	v_mul_f64 v[148:149], v[186:187], v[150:151]
	v_add_f64 v[114:115], v[114:115], -v[200:201]
	v_fma_f64 v[148:149], v[184:185], v[194:195], -v[148:149]
	v_mul_f64 v[184:185], v[184:185], v[150:151]
	ds_read2_b64 v[200:203], v196 offset0:36 offset1:37
	v_fmac_f64_e32 v[184:185], v[186:187], v[194:195]
	s_waitcnt vmcnt(28)
	v_add_f64 v[110:111], v[110:111], -v[184:185]
	ds_read2_b64 v[184:187], v196 offset0:38 offset1:39
	v_add_f64 v[108:109], v[108:109], -v[148:149]
	s_waitcnt lgkmcnt(1)
	v_mul_f64 v[148:149], v[202:203], v[150:151]
	v_fma_f64 v[148:149], v[200:201], v[194:195], -v[148:149]
	v_mul_f64 v[200:201], v[200:201], v[150:151]
	v_fmac_f64_e32 v[200:201], v[202:203], v[194:195]
	s_waitcnt vmcnt(27)
	v_add_f64 v[104:105], v[104:105], -v[148:149]
	s_waitcnt lgkmcnt(0)
	v_mul_f64 v[148:149], v[186:187], v[150:151]
	v_add_f64 v[106:107], v[106:107], -v[200:201]
	v_fma_f64 v[148:149], v[184:185], v[194:195], -v[148:149]
	v_mul_f64 v[184:185], v[184:185], v[150:151]
	ds_read2_b64 v[200:203], v196 offset0:40 offset1:41
	v_fmac_f64_e32 v[184:185], v[186:187], v[194:195]
	s_waitcnt vmcnt(26)
	v_add_f64 v[102:103], v[102:103], -v[184:185]
	ds_read2_b64 v[184:187], v196 offset0:42 offset1:43
	v_add_f64 v[100:101], v[100:101], -v[148:149]
	s_waitcnt lgkmcnt(1)
	v_mul_f64 v[148:149], v[202:203], v[150:151]
	v_fma_f64 v[148:149], v[200:201], v[194:195], -v[148:149]
	v_mul_f64 v[200:201], v[200:201], v[150:151]
	v_fmac_f64_e32 v[200:201], v[202:203], v[194:195]
	s_waitcnt vmcnt(25)
	v_add_f64 v[96:97], v[96:97], -v[148:149]
	s_waitcnt lgkmcnt(0)
	v_mul_f64 v[148:149], v[186:187], v[150:151]
	v_add_f64 v[98:99], v[98:99], -v[200:201]
	v_fma_f64 v[148:149], v[184:185], v[194:195], -v[148:149]
	v_mul_f64 v[184:185], v[184:185], v[150:151]
	ds_read2_b64 v[200:203], v196 offset0:44 offset1:45
	v_fmac_f64_e32 v[184:185], v[186:187], v[194:195]
	s_waitcnt vmcnt(24)
	v_add_f64 v[94:95], v[94:95], -v[184:185]
	ds_read2_b64 v[184:187], v196 offset0:46 offset1:47
	v_add_f64 v[92:93], v[92:93], -v[148:149]
	s_waitcnt lgkmcnt(1)
	v_mul_f64 v[148:149], v[202:203], v[150:151]
	v_fma_f64 v[148:149], v[200:201], v[194:195], -v[148:149]
	v_mul_f64 v[200:201], v[200:201], v[150:151]
	v_fmac_f64_e32 v[200:201], v[202:203], v[194:195]
	s_waitcnt vmcnt(23)
	v_add_f64 v[88:89], v[88:89], -v[148:149]
	s_waitcnt lgkmcnt(0)
	v_mul_f64 v[148:149], v[186:187], v[150:151]
	v_add_f64 v[90:91], v[90:91], -v[200:201]
	v_fma_f64 v[148:149], v[184:185], v[194:195], -v[148:149]
	v_mul_f64 v[184:185], v[184:185], v[150:151]
	ds_read2_b64 v[200:203], v196 offset0:48 offset1:49
	v_fmac_f64_e32 v[184:185], v[186:187], v[194:195]
	s_waitcnt vmcnt(22)
	v_add_f64 v[86:87], v[86:87], -v[184:185]
	ds_read2_b64 v[184:187], v196 offset0:50 offset1:51
	v_add_f64 v[84:85], v[84:85], -v[148:149]
	s_waitcnt lgkmcnt(1)
	v_mul_f64 v[148:149], v[202:203], v[150:151]
	v_fma_f64 v[148:149], v[200:201], v[194:195], -v[148:149]
	v_mul_f64 v[200:201], v[200:201], v[150:151]
	v_fmac_f64_e32 v[200:201], v[202:203], v[194:195]
	s_waitcnt vmcnt(21)
	v_add_f64 v[80:81], v[80:81], -v[148:149]
	s_waitcnt lgkmcnt(0)
	v_mul_f64 v[148:149], v[186:187], v[150:151]
	v_add_f64 v[82:83], v[82:83], -v[200:201]
	v_fma_f64 v[148:149], v[184:185], v[194:195], -v[148:149]
	v_mul_f64 v[184:185], v[184:185], v[150:151]
	ds_read2_b64 v[200:203], v196 offset0:52 offset1:53
	v_fmac_f64_e32 v[184:185], v[186:187], v[194:195]
	s_waitcnt vmcnt(20)
	v_add_f64 v[78:79], v[78:79], -v[184:185]
	ds_read2_b64 v[184:187], v196 offset0:54 offset1:55
	v_add_f64 v[76:77], v[76:77], -v[148:149]
	s_waitcnt lgkmcnt(1)
	v_mul_f64 v[148:149], v[202:203], v[150:151]
	v_fma_f64 v[148:149], v[200:201], v[194:195], -v[148:149]
	v_mul_f64 v[200:201], v[200:201], v[150:151]
	v_fmac_f64_e32 v[200:201], v[202:203], v[194:195]
	s_waitcnt vmcnt(19)
	v_add_f64 v[72:73], v[72:73], -v[148:149]
	s_waitcnt lgkmcnt(0)
	v_mul_f64 v[148:149], v[186:187], v[150:151]
	v_add_f64 v[74:75], v[74:75], -v[200:201]
	v_fma_f64 v[148:149], v[184:185], v[194:195], -v[148:149]
	v_mul_f64 v[184:185], v[184:185], v[150:151]
	ds_read2_b64 v[200:203], v196 offset0:56 offset1:57
	v_fmac_f64_e32 v[184:185], v[186:187], v[194:195]
	s_waitcnt vmcnt(18)
	v_add_f64 v[70:71], v[70:71], -v[184:185]
	ds_read2_b64 v[184:187], v196 offset0:58 offset1:59
	v_add_f64 v[68:69], v[68:69], -v[148:149]
	s_waitcnt lgkmcnt(1)
	v_mul_f64 v[148:149], v[202:203], v[150:151]
	v_fma_f64 v[148:149], v[200:201], v[194:195], -v[148:149]
	v_mul_f64 v[200:201], v[200:201], v[150:151]
	v_fmac_f64_e32 v[200:201], v[202:203], v[194:195]
	s_waitcnt vmcnt(17)
	v_add_f64 v[64:65], v[64:65], -v[148:149]
	s_waitcnt lgkmcnt(0)
	v_mul_f64 v[148:149], v[186:187], v[150:151]
	v_add_f64 v[66:67], v[66:67], -v[200:201]
	v_fma_f64 v[148:149], v[184:185], v[194:195], -v[148:149]
	v_mul_f64 v[184:185], v[184:185], v[150:151]
	ds_read2_b64 v[200:203], v196 offset0:60 offset1:61
	v_fmac_f64_e32 v[184:185], v[186:187], v[194:195]
	s_waitcnt vmcnt(16)
	v_add_f64 v[62:63], v[62:63], -v[184:185]
	ds_read2_b64 v[184:187], v196 offset0:62 offset1:63
	v_add_f64 v[60:61], v[60:61], -v[148:149]
	s_waitcnt lgkmcnt(1)
	v_mul_f64 v[148:149], v[202:203], v[150:151]
	v_fma_f64 v[148:149], v[200:201], v[194:195], -v[148:149]
	v_mul_f64 v[200:201], v[200:201], v[150:151]
	v_fmac_f64_e32 v[200:201], v[202:203], v[194:195]
	s_waitcnt vmcnt(15)
	v_add_f64 v[56:57], v[56:57], -v[148:149]
	s_waitcnt lgkmcnt(0)
	v_mul_f64 v[148:149], v[186:187], v[150:151]
	v_add_f64 v[58:59], v[58:59], -v[200:201]
	v_fma_f64 v[148:149], v[184:185], v[194:195], -v[148:149]
	v_mul_f64 v[184:185], v[184:185], v[150:151]
	ds_read2_b64 v[200:203], v196 offset0:64 offset1:65
	v_fmac_f64_e32 v[184:185], v[186:187], v[194:195]
	s_waitcnt vmcnt(14)
	v_add_f64 v[54:55], v[54:55], -v[184:185]
	ds_read2_b64 v[184:187], v196 offset0:66 offset1:67
	v_add_f64 v[52:53], v[52:53], -v[148:149]
	s_waitcnt lgkmcnt(1)
	v_mul_f64 v[148:149], v[202:203], v[150:151]
	v_fma_f64 v[148:149], v[200:201], v[194:195], -v[148:149]
	v_mul_f64 v[200:201], v[200:201], v[150:151]
	v_fmac_f64_e32 v[200:201], v[202:203], v[194:195]
	s_waitcnt vmcnt(13)
	v_add_f64 v[48:49], v[48:49], -v[148:149]
	s_waitcnt lgkmcnt(0)
	v_mul_f64 v[148:149], v[186:187], v[150:151]
	v_add_f64 v[50:51], v[50:51], -v[200:201]
	v_fma_f64 v[148:149], v[184:185], v[194:195], -v[148:149]
	v_mul_f64 v[184:185], v[184:185], v[150:151]
	ds_read2_b64 v[200:203], v196 offset0:68 offset1:69
	v_fmac_f64_e32 v[184:185], v[186:187], v[194:195]
	s_waitcnt vmcnt(12)
	v_add_f64 v[46:47], v[46:47], -v[184:185]
	ds_read2_b64 v[184:187], v196 offset0:70 offset1:71
	v_add_f64 v[44:45], v[44:45], -v[148:149]
	s_waitcnt lgkmcnt(1)
	v_mul_f64 v[148:149], v[202:203], v[150:151]
	v_fma_f64 v[148:149], v[200:201], v[194:195], -v[148:149]
	v_mul_f64 v[200:201], v[200:201], v[150:151]
	v_fmac_f64_e32 v[200:201], v[202:203], v[194:195]
	s_waitcnt vmcnt(11)
	v_add_f64 v[40:41], v[40:41], -v[148:149]
	s_waitcnt lgkmcnt(0)
	v_mul_f64 v[148:149], v[186:187], v[150:151]
	v_add_f64 v[42:43], v[42:43], -v[200:201]
	v_fma_f64 v[148:149], v[184:185], v[194:195], -v[148:149]
	v_mul_f64 v[184:185], v[184:185], v[150:151]
	ds_read2_b64 v[200:203], v196 offset0:72 offset1:73
	v_fmac_f64_e32 v[184:185], v[186:187], v[194:195]
	s_waitcnt vmcnt(10)
	v_add_f64 v[38:39], v[38:39], -v[184:185]
	ds_read2_b64 v[184:187], v196 offset0:74 offset1:75
	v_add_f64 v[36:37], v[36:37], -v[148:149]
	s_waitcnt lgkmcnt(1)
	v_mul_f64 v[148:149], v[202:203], v[150:151]
	v_fma_f64 v[148:149], v[200:201], v[194:195], -v[148:149]
	v_mul_f64 v[200:201], v[200:201], v[150:151]
	v_fmac_f64_e32 v[200:201], v[202:203], v[194:195]
	s_waitcnt vmcnt(9)
	v_add_f64 v[32:33], v[32:33], -v[148:149]
	s_waitcnt lgkmcnt(0)
	v_mul_f64 v[148:149], v[186:187], v[150:151]
	v_add_f64 v[34:35], v[34:35], -v[200:201]
	v_fma_f64 v[148:149], v[184:185], v[194:195], -v[148:149]
	v_mul_f64 v[184:185], v[184:185], v[150:151]
	ds_read2_b64 v[200:203], v196 offset0:76 offset1:77
	v_fmac_f64_e32 v[184:185], v[186:187], v[194:195]
	s_waitcnt vmcnt(8)
	v_add_f64 v[30:31], v[30:31], -v[184:185]
	ds_read2_b64 v[184:187], v196 offset0:78 offset1:79
	v_add_f64 v[28:29], v[28:29], -v[148:149]
	s_waitcnt lgkmcnt(1)
	v_mul_f64 v[148:149], v[202:203], v[150:151]
	v_fma_f64 v[148:149], v[200:201], v[194:195], -v[148:149]
	v_mul_f64 v[200:201], v[200:201], v[150:151]
	v_fmac_f64_e32 v[200:201], v[202:203], v[194:195]
	s_waitcnt vmcnt(7)
	v_add_f64 v[24:25], v[24:25], -v[148:149]
	s_waitcnt lgkmcnt(0)
	v_mul_f64 v[148:149], v[186:187], v[150:151]
	v_add_f64 v[26:27], v[26:27], -v[200:201]
	v_fma_f64 v[148:149], v[184:185], v[194:195], -v[148:149]
	v_mul_f64 v[184:185], v[184:185], v[150:151]
	ds_read2_b64 v[200:203], v196 offset0:80 offset1:81
	v_fmac_f64_e32 v[184:185], v[186:187], v[194:195]
	s_waitcnt vmcnt(6)
	v_add_f64 v[22:23], v[22:23], -v[184:185]
	ds_read2_b64 v[184:187], v196 offset0:82 offset1:83
	v_add_f64 v[20:21], v[20:21], -v[148:149]
	s_waitcnt lgkmcnt(1)
	v_mul_f64 v[148:149], v[202:203], v[150:151]
	v_fma_f64 v[148:149], v[200:201], v[194:195], -v[148:149]
	v_mul_f64 v[200:201], v[200:201], v[150:151]
	v_fmac_f64_e32 v[200:201], v[202:203], v[194:195]
	s_waitcnt vmcnt(5)
	v_add_f64 v[16:17], v[16:17], -v[148:149]
	s_waitcnt lgkmcnt(0)
	v_mul_f64 v[148:149], v[186:187], v[150:151]
	v_add_f64 v[18:19], v[18:19], -v[200:201]
	v_fma_f64 v[148:149], v[184:185], v[194:195], -v[148:149]
	v_mul_f64 v[184:185], v[184:185], v[150:151]
	ds_read2_b64 v[200:203], v196 offset0:84 offset1:85
	v_fmac_f64_e32 v[184:185], v[186:187], v[194:195]
	s_waitcnt vmcnt(4)
	v_add_f64 v[14:15], v[14:15], -v[184:185]
	ds_read2_b64 v[184:187], v196 offset0:86 offset1:87
	v_add_f64 v[12:13], v[12:13], -v[148:149]
	s_waitcnt lgkmcnt(1)
	v_mul_f64 v[148:149], v[202:203], v[150:151]
	v_fma_f64 v[148:149], v[200:201], v[194:195], -v[148:149]
	v_mul_f64 v[200:201], v[200:201], v[150:151]
	v_fmac_f64_e32 v[200:201], v[202:203], v[194:195]
	s_waitcnt vmcnt(3)
	v_add_f64 v[8:9], v[8:9], -v[148:149]
	s_waitcnt lgkmcnt(0)
	v_mul_f64 v[148:149], v[186:187], v[150:151]
	v_add_f64 v[10:11], v[10:11], -v[200:201]
	v_fma_f64 v[148:149], v[184:185], v[194:195], -v[148:149]
	v_mul_f64 v[184:185], v[184:185], v[150:151]
	ds_read2_b64 v[200:203], v196 offset0:88 offset1:89
	v_fmac_f64_e32 v[184:185], v[186:187], v[194:195]
	s_waitcnt vmcnt(2)
	v_add_f64 v[6:7], v[6:7], -v[184:185]
	ds_read2_b64 v[184:187], v196 offset0:90 offset1:91
	v_add_f64 v[4:5], v[4:5], -v[148:149]
	s_waitcnt lgkmcnt(1)
	v_mul_f64 v[148:149], v[202:203], v[150:151]
	v_fma_f64 v[148:149], v[200:201], v[194:195], -v[148:149]
	s_waitcnt vmcnt(1)
	v_add_f64 v[0:1], v[0:1], -v[148:149]
	s_waitcnt lgkmcnt(0)
	v_mul_f64 v[148:149], v[186:187], v[150:151]
	v_mul_f64 v[200:201], v[200:201], v[150:151]
	v_fma_f64 v[148:149], v[184:185], v[194:195], -v[148:149]
	v_mul_f64 v[184:185], v[184:185], v[150:151]
	v_fmac_f64_e32 v[200:201], v[202:203], v[194:195]
	v_fmac_f64_e32 v[184:185], v[186:187], v[194:195]
	v_add_f64 v[2:3], v[2:3], -v[200:201]
	s_waitcnt vmcnt(0)
	v_add_f64 v[180:181], v[180:181], -v[148:149]
	v_add_f64 v[182:183], v[182:183], -v[184:185]
	v_mov_b64_e32 v[148:149], v[194:195]
.LBB90_209:
	s_or_b64 exec, exec, s[0:1]
	v_lshl_add_u32 v184, v197, 4, v196
	s_barrier
	s_waitcnt vmcnt(35)
	ds_write2_b64 v184, v[144:145], v[146:147] offset1:1
	s_waitcnt lgkmcnt(0)
	s_barrier
	ds_read2_b64 v[184:187], v196 offset0:20 offset1:21
	s_cmp_lt_i32 s20, 12
	v_mov_b32_e32 v194, 10
	s_cbranch_scc1 .LBB90_212
; %bb.210:
	v_add_u32_e32 v195, 0xb0, v196
	s_mov_b32 s16, 11
	v_mov_b32_e32 v194, 10
.LBB90_211:                             ; =>This Inner Loop Header: Depth=1
	ds_read2_b64 v[200:203], v195 offset1:1
	s_waitcnt lgkmcnt(1)
	v_xor_b32_e32 v205, 0x80000000, v185
	v_xor_b32_e32 v207, 0x80000000, v187
	v_cmp_gt_f64_e32 vcc, 0, v[186:187]
	v_cmp_gt_f64_e64 s[0:1], 0, v[184:185]
	v_mov_b32_e32 v204, v184
	v_mov_b32_e32 v206, v186
	v_cndmask_b32_e64 v205, v185, v205, s[0:1]
	v_cndmask_b32_e32 v207, v187, v207, vcc
	v_add_f64 v[204:205], v[204:205], v[206:207]
	s_waitcnt lgkmcnt(0)
	v_xor_b32_e32 v207, 0x80000000, v201
	v_xor_b32_e32 v209, 0x80000000, v203
	v_cmp_gt_f64_e32 vcc, 0, v[202:203]
	v_cmp_gt_f64_e64 s[0:1], 0, v[200:201]
	v_mov_b32_e32 v206, v200
	v_mov_b32_e32 v208, v202
	v_cndmask_b32_e64 v207, v201, v207, s[0:1]
	v_cndmask_b32_e32 v209, v203, v209, vcc
	v_add_f64 v[206:207], v[206:207], v[208:209]
	v_mov_b32_e32 v210, s16
	s_add_i32 s16, s16, 1
	v_cmp_lt_f64_e32 vcc, v[204:205], v[206:207]
	v_add_u32_e32 v195, 16, v195
	s_cmp_lg_u32 s20, s16
	v_cndmask_b32_e32 v185, v185, v201, vcc
	v_cndmask_b32_e32 v184, v184, v200, vcc
	;; [unrolled: 1-line block ×5, first 2 shown]
	s_cbranch_scc1 .LBB90_211
.LBB90_212:
	s_waitcnt lgkmcnt(0)
	v_cmp_eq_f64_e32 vcc, 0, v[184:185]
	v_cmp_eq_f64_e64 s[0:1], 0, v[186:187]
	s_and_b64 s[0:1], vcc, s[0:1]
	s_and_saveexec_b64 s[16:17], s[0:1]
	s_xor_b64 s[0:1], exec, s[16:17]
; %bb.213:
	v_cmp_ne_u32_e32 vcc, 0, v198
	s_nop 1
	v_cndmask_b32_e32 v198, 11, v198, vcc
; %bb.214:
	s_andn2_saveexec_b64 s[0:1], s[0:1]
	s_cbranch_execz .LBB90_220
; %bb.215:
	v_cmp_ngt_f64_e64 s[16:17], |v[184:185]|, |v[186:187]|
	s_and_saveexec_b64 s[18:19], s[16:17]
	s_xor_b64 s[16:17], exec, s[18:19]
	s_cbranch_execz .LBB90_217
; %bb.216:
	v_div_scale_f64 v[200:201], s[18:19], v[186:187], v[186:187], v[184:185]
	v_rcp_f64_e32 v[202:203], v[200:201]
	v_div_scale_f64 v[204:205], vcc, v[184:185], v[186:187], v[184:185]
	v_fma_f64 v[206:207], -v[200:201], v[202:203], 1.0
	v_fmac_f64_e32 v[202:203], v[202:203], v[206:207]
	v_fma_f64 v[206:207], -v[200:201], v[202:203], 1.0
	v_fmac_f64_e32 v[202:203], v[202:203], v[206:207]
	v_mul_f64 v[206:207], v[204:205], v[202:203]
	v_fma_f64 v[200:201], -v[200:201], v[206:207], v[204:205]
	v_div_fmas_f64 v[200:201], v[200:201], v[202:203], v[206:207]
	v_div_fixup_f64 v[200:201], v[200:201], v[186:187], v[184:185]
	v_fmac_f64_e32 v[186:187], v[184:185], v[200:201]
	v_div_scale_f64 v[184:185], s[18:19], v[186:187], v[186:187], 1.0
	v_rcp_f64_e32 v[202:203], v[184:185]
	s_nop 0
	v_fma_f64 v[204:205], -v[184:185], v[202:203], 1.0
	v_fmac_f64_e32 v[202:203], v[202:203], v[204:205]
	v_fma_f64 v[204:205], -v[184:185], v[202:203], 1.0
	v_fmac_f64_e32 v[202:203], v[202:203], v[204:205]
	v_div_scale_f64 v[204:205], vcc, 1.0, v[186:187], 1.0
	v_mul_f64 v[206:207], v[204:205], v[202:203]
	v_fma_f64 v[184:185], -v[184:185], v[206:207], v[204:205]
	s_nop 1
	v_div_fmas_f64 v[184:185], v[184:185], v[202:203], v[206:207]
	v_div_fixup_f64 v[186:187], v[184:185], v[186:187], 1.0
	v_mul_f64 v[184:185], v[200:201], v[186:187]
	v_xor_b32_e32 v187, 0x80000000, v187
.LBB90_217:
	s_andn2_saveexec_b64 s[16:17], s[16:17]
	s_cbranch_execz .LBB90_219
; %bb.218:
	v_div_scale_f64 v[200:201], s[18:19], v[184:185], v[184:185], v[186:187]
	v_rcp_f64_e32 v[202:203], v[200:201]
	v_div_scale_f64 v[204:205], vcc, v[186:187], v[184:185], v[186:187]
	v_fma_f64 v[206:207], -v[200:201], v[202:203], 1.0
	v_fmac_f64_e32 v[202:203], v[202:203], v[206:207]
	v_fma_f64 v[206:207], -v[200:201], v[202:203], 1.0
	v_fmac_f64_e32 v[202:203], v[202:203], v[206:207]
	v_mul_f64 v[206:207], v[204:205], v[202:203]
	v_fma_f64 v[200:201], -v[200:201], v[206:207], v[204:205]
	v_div_fmas_f64 v[200:201], v[200:201], v[202:203], v[206:207]
	v_div_fixup_f64 v[200:201], v[200:201], v[184:185], v[186:187]
	v_fmac_f64_e32 v[184:185], v[186:187], v[200:201]
	v_div_scale_f64 v[186:187], s[18:19], v[184:185], v[184:185], 1.0
	v_rcp_f64_e32 v[202:203], v[186:187]
	s_nop 0
	v_fma_f64 v[204:205], -v[186:187], v[202:203], 1.0
	v_fmac_f64_e32 v[202:203], v[202:203], v[204:205]
	v_fma_f64 v[204:205], -v[186:187], v[202:203], 1.0
	v_fmac_f64_e32 v[202:203], v[202:203], v[204:205]
	v_div_scale_f64 v[204:205], vcc, 1.0, v[184:185], 1.0
	v_mul_f64 v[206:207], v[204:205], v[202:203]
	v_fma_f64 v[186:187], -v[186:187], v[206:207], v[204:205]
	s_nop 1
	v_div_fmas_f64 v[186:187], v[186:187], v[202:203], v[206:207]
	v_div_fixup_f64 v[184:185], v[186:187], v[184:185], 1.0
	v_mul_f64 v[186:187], v[200:201], -v[184:185]
.LBB90_219:
	s_or_b64 exec, exec, s[16:17]
.LBB90_220:
	s_or_b64 exec, exec, s[0:1]
	v_cmp_ne_u32_e32 vcc, v197, v194
	s_and_saveexec_b64 s[0:1], vcc
	s_xor_b64 s[0:1], exec, s[0:1]
	s_cbranch_execz .LBB90_226
; %bb.221:
	v_cmp_eq_u32_e32 vcc, 10, v197
	s_and_saveexec_b64 s[16:17], vcc
	s_cbranch_execz .LBB90_225
; %bb.222:
	v_cmp_ne_u32_e32 vcc, 10, v194
	s_xor_b64 s[18:19], s[14:15], -1
	s_and_b64 s[22:23], s[18:19], vcc
	s_and_saveexec_b64 s[18:19], s[22:23]
	s_cbranch_execz .LBB90_224
; %bb.223:
	v_ashrrev_i32_e32 v195, 31, v194
	v_lshl_add_u64 v[200:201], v[194:195], 2, v[192:193]
	global_load_dword v195, v[200:201], off
	global_load_dword v197, v[192:193], off offset:40
	s_waitcnt vmcnt(1)
	global_store_dword v[192:193], v195, off offset:40
	s_waitcnt vmcnt(1)
	global_store_dword v[200:201], v197, off
.LBB90_224:
	s_or_b64 exec, exec, s[18:19]
	v_mov_b32_e32 v197, v194
	v_mov_b32_e32 v199, v194
.LBB90_225:
	s_or_b64 exec, exec, s[16:17]
.LBB90_226:
	s_andn2_saveexec_b64 s[0:1], s[0:1]
	s_cbranch_execz .LBB90_228
; %bb.227:
	v_mov_b32_e32 v197, 10
	s_waitcnt vmcnt(34)
	ds_write2_b64 v196, v[140:141], v[142:143] offset0:22 offset1:23
	s_waitcnt vmcnt(33)
	ds_write2_b64 v196, v[136:137], v[138:139] offset0:24 offset1:25
	;; [unrolled: 2-line block ×35, first 2 shown]
.LBB90_228:
	s_or_b64 exec, exec, s[0:1]
	v_cmp_lt_i32_e32 vcc, 10, v197
	s_waitcnt lgkmcnt(0)
	s_barrier
	s_and_saveexec_b64 s[0:1], vcc
	s_cbranch_execz .LBB90_230
; %bb.229:
	ds_read2_b64 v[200:203], v196 offset0:22 offset1:23
	v_mul_f64 v[194:195], v[186:187], v[146:147]
	v_mul_f64 v[146:147], v[184:185], v[146:147]
	v_fmac_f64_e32 v[146:147], v[186:187], v[144:145]
	v_fma_f64 v[194:195], v[184:185], v[144:145], -v[194:195]
	ds_read2_b64 v[184:187], v196 offset0:24 offset1:25
	s_waitcnt lgkmcnt(1)
	v_mul_f64 v[144:145], v[202:203], v[146:147]
	v_fma_f64 v[144:145], v[200:201], v[194:195], -v[144:145]
	v_mul_f64 v[200:201], v[200:201], v[146:147]
	v_fmac_f64_e32 v[200:201], v[202:203], v[194:195]
	s_waitcnt vmcnt(34)
	v_add_f64 v[142:143], v[142:143], -v[200:201]
	ds_read2_b64 v[200:203], v196 offset0:26 offset1:27
	v_add_f64 v[140:141], v[140:141], -v[144:145]
	s_waitcnt lgkmcnt(1)
	v_mul_f64 v[144:145], v[186:187], v[146:147]
	v_fma_f64 v[144:145], v[184:185], v[194:195], -v[144:145]
	v_mul_f64 v[184:185], v[184:185], v[146:147]
	v_fmac_f64_e32 v[184:185], v[186:187], v[194:195]
	s_waitcnt vmcnt(33)
	v_add_f64 v[136:137], v[136:137], -v[144:145]
	v_add_f64 v[138:139], v[138:139], -v[184:185]
	ds_read2_b64 v[184:187], v196 offset0:28 offset1:29
	s_waitcnt lgkmcnt(1)
	v_mul_f64 v[144:145], v[202:203], v[146:147]
	v_fma_f64 v[144:145], v[200:201], v[194:195], -v[144:145]
	v_mul_f64 v[200:201], v[200:201], v[146:147]
	v_fmac_f64_e32 v[200:201], v[202:203], v[194:195]
	s_waitcnt vmcnt(32)
	v_add_f64 v[134:135], v[134:135], -v[200:201]
	ds_read2_b64 v[200:203], v196 offset0:30 offset1:31
	v_add_f64 v[132:133], v[132:133], -v[144:145]
	s_waitcnt lgkmcnt(1)
	v_mul_f64 v[144:145], v[186:187], v[146:147]
	v_fma_f64 v[144:145], v[184:185], v[194:195], -v[144:145]
	v_mul_f64 v[184:185], v[184:185], v[146:147]
	v_fmac_f64_e32 v[184:185], v[186:187], v[194:195]
	s_waitcnt vmcnt(31)
	v_add_f64 v[128:129], v[128:129], -v[144:145]
	v_add_f64 v[130:131], v[130:131], -v[184:185]
	;; [unrolled: 18-line block ×17, first 2 shown]
	s_waitcnt lgkmcnt(0)
	v_mul_f64 v[144:145], v[202:203], v[146:147]
	v_mul_f64 v[184:185], v[200:201], v[146:147]
	v_fma_f64 v[144:145], v[200:201], v[194:195], -v[144:145]
	v_fmac_f64_e32 v[184:185], v[202:203], v[194:195]
	s_waitcnt vmcnt(0)
	v_add_f64 v[180:181], v[180:181], -v[144:145]
	v_add_f64 v[182:183], v[182:183], -v[184:185]
	v_mov_b64_e32 v[144:145], v[194:195]
.LBB90_230:
	s_or_b64 exec, exec, s[0:1]
	v_lshl_add_u32 v184, v197, 4, v196
	s_barrier
	s_waitcnt vmcnt(34)
	ds_write2_b64 v184, v[140:141], v[142:143] offset1:1
	s_waitcnt lgkmcnt(0)
	s_barrier
	ds_read2_b64 v[184:187], v196 offset0:22 offset1:23
	s_cmp_lt_i32 s20, 13
	v_mov_b32_e32 v194, 11
	s_cbranch_scc1 .LBB90_233
; %bb.231:
	v_add_u32_e32 v195, 0xc0, v196
	s_mov_b32 s16, 12
	v_mov_b32_e32 v194, 11
.LBB90_232:                             ; =>This Inner Loop Header: Depth=1
	ds_read2_b64 v[200:203], v195 offset1:1
	s_waitcnt lgkmcnt(1)
	v_xor_b32_e32 v205, 0x80000000, v185
	v_xor_b32_e32 v207, 0x80000000, v187
	v_cmp_gt_f64_e32 vcc, 0, v[186:187]
	v_cmp_gt_f64_e64 s[0:1], 0, v[184:185]
	v_mov_b32_e32 v204, v184
	v_mov_b32_e32 v206, v186
	v_cndmask_b32_e64 v205, v185, v205, s[0:1]
	v_cndmask_b32_e32 v207, v187, v207, vcc
	v_add_f64 v[204:205], v[204:205], v[206:207]
	s_waitcnt lgkmcnt(0)
	v_xor_b32_e32 v207, 0x80000000, v201
	v_xor_b32_e32 v209, 0x80000000, v203
	v_cmp_gt_f64_e32 vcc, 0, v[202:203]
	v_cmp_gt_f64_e64 s[0:1], 0, v[200:201]
	v_mov_b32_e32 v206, v200
	v_mov_b32_e32 v208, v202
	v_cndmask_b32_e64 v207, v201, v207, s[0:1]
	v_cndmask_b32_e32 v209, v203, v209, vcc
	v_add_f64 v[206:207], v[206:207], v[208:209]
	v_mov_b32_e32 v210, s16
	s_add_i32 s16, s16, 1
	v_cmp_lt_f64_e32 vcc, v[204:205], v[206:207]
	v_add_u32_e32 v195, 16, v195
	s_cmp_lg_u32 s20, s16
	v_cndmask_b32_e32 v185, v185, v201, vcc
	v_cndmask_b32_e32 v184, v184, v200, vcc
	;; [unrolled: 1-line block ×5, first 2 shown]
	s_cbranch_scc1 .LBB90_232
.LBB90_233:
	s_waitcnt lgkmcnt(0)
	v_cmp_eq_f64_e32 vcc, 0, v[184:185]
	v_cmp_eq_f64_e64 s[0:1], 0, v[186:187]
	s_and_b64 s[0:1], vcc, s[0:1]
	s_and_saveexec_b64 s[16:17], s[0:1]
	s_xor_b64 s[0:1], exec, s[16:17]
; %bb.234:
	v_cmp_ne_u32_e32 vcc, 0, v198
	s_nop 1
	v_cndmask_b32_e32 v198, 12, v198, vcc
; %bb.235:
	s_andn2_saveexec_b64 s[0:1], s[0:1]
	s_cbranch_execz .LBB90_241
; %bb.236:
	v_cmp_ngt_f64_e64 s[16:17], |v[184:185]|, |v[186:187]|
	s_and_saveexec_b64 s[18:19], s[16:17]
	s_xor_b64 s[16:17], exec, s[18:19]
	s_cbranch_execz .LBB90_238
; %bb.237:
	v_div_scale_f64 v[200:201], s[18:19], v[186:187], v[186:187], v[184:185]
	v_rcp_f64_e32 v[202:203], v[200:201]
	v_div_scale_f64 v[204:205], vcc, v[184:185], v[186:187], v[184:185]
	v_fma_f64 v[206:207], -v[200:201], v[202:203], 1.0
	v_fmac_f64_e32 v[202:203], v[202:203], v[206:207]
	v_fma_f64 v[206:207], -v[200:201], v[202:203], 1.0
	v_fmac_f64_e32 v[202:203], v[202:203], v[206:207]
	v_mul_f64 v[206:207], v[204:205], v[202:203]
	v_fma_f64 v[200:201], -v[200:201], v[206:207], v[204:205]
	v_div_fmas_f64 v[200:201], v[200:201], v[202:203], v[206:207]
	v_div_fixup_f64 v[200:201], v[200:201], v[186:187], v[184:185]
	v_fmac_f64_e32 v[186:187], v[184:185], v[200:201]
	v_div_scale_f64 v[184:185], s[18:19], v[186:187], v[186:187], 1.0
	v_rcp_f64_e32 v[202:203], v[184:185]
	s_nop 0
	v_fma_f64 v[204:205], -v[184:185], v[202:203], 1.0
	v_fmac_f64_e32 v[202:203], v[202:203], v[204:205]
	v_fma_f64 v[204:205], -v[184:185], v[202:203], 1.0
	v_fmac_f64_e32 v[202:203], v[202:203], v[204:205]
	v_div_scale_f64 v[204:205], vcc, 1.0, v[186:187], 1.0
	v_mul_f64 v[206:207], v[204:205], v[202:203]
	v_fma_f64 v[184:185], -v[184:185], v[206:207], v[204:205]
	s_nop 1
	v_div_fmas_f64 v[184:185], v[184:185], v[202:203], v[206:207]
	v_div_fixup_f64 v[186:187], v[184:185], v[186:187], 1.0
	v_mul_f64 v[184:185], v[200:201], v[186:187]
	v_xor_b32_e32 v187, 0x80000000, v187
.LBB90_238:
	s_andn2_saveexec_b64 s[16:17], s[16:17]
	s_cbranch_execz .LBB90_240
; %bb.239:
	v_div_scale_f64 v[200:201], s[18:19], v[184:185], v[184:185], v[186:187]
	v_rcp_f64_e32 v[202:203], v[200:201]
	v_div_scale_f64 v[204:205], vcc, v[186:187], v[184:185], v[186:187]
	v_fma_f64 v[206:207], -v[200:201], v[202:203], 1.0
	v_fmac_f64_e32 v[202:203], v[202:203], v[206:207]
	v_fma_f64 v[206:207], -v[200:201], v[202:203], 1.0
	v_fmac_f64_e32 v[202:203], v[202:203], v[206:207]
	v_mul_f64 v[206:207], v[204:205], v[202:203]
	v_fma_f64 v[200:201], -v[200:201], v[206:207], v[204:205]
	v_div_fmas_f64 v[200:201], v[200:201], v[202:203], v[206:207]
	v_div_fixup_f64 v[200:201], v[200:201], v[184:185], v[186:187]
	v_fmac_f64_e32 v[184:185], v[186:187], v[200:201]
	v_div_scale_f64 v[186:187], s[18:19], v[184:185], v[184:185], 1.0
	v_rcp_f64_e32 v[202:203], v[186:187]
	s_nop 0
	v_fma_f64 v[204:205], -v[186:187], v[202:203], 1.0
	v_fmac_f64_e32 v[202:203], v[202:203], v[204:205]
	v_fma_f64 v[204:205], -v[186:187], v[202:203], 1.0
	v_fmac_f64_e32 v[202:203], v[202:203], v[204:205]
	v_div_scale_f64 v[204:205], vcc, 1.0, v[184:185], 1.0
	v_mul_f64 v[206:207], v[204:205], v[202:203]
	v_fma_f64 v[186:187], -v[186:187], v[206:207], v[204:205]
	s_nop 1
	v_div_fmas_f64 v[186:187], v[186:187], v[202:203], v[206:207]
	v_div_fixup_f64 v[184:185], v[186:187], v[184:185], 1.0
	v_mul_f64 v[186:187], v[200:201], -v[184:185]
.LBB90_240:
	s_or_b64 exec, exec, s[16:17]
.LBB90_241:
	s_or_b64 exec, exec, s[0:1]
	v_cmp_ne_u32_e32 vcc, v197, v194
	s_and_saveexec_b64 s[0:1], vcc
	s_xor_b64 s[0:1], exec, s[0:1]
	s_cbranch_execz .LBB90_247
; %bb.242:
	v_cmp_eq_u32_e32 vcc, 11, v197
	s_and_saveexec_b64 s[16:17], vcc
	s_cbranch_execz .LBB90_246
; %bb.243:
	v_cmp_ne_u32_e32 vcc, 11, v194
	s_xor_b64 s[18:19], s[14:15], -1
	s_and_b64 s[22:23], s[18:19], vcc
	s_and_saveexec_b64 s[18:19], s[22:23]
	s_cbranch_execz .LBB90_245
; %bb.244:
	v_ashrrev_i32_e32 v195, 31, v194
	v_lshl_add_u64 v[200:201], v[194:195], 2, v[192:193]
	global_load_dword v195, v[200:201], off
	global_load_dword v197, v[192:193], off offset:44
	s_waitcnt vmcnt(1)
	global_store_dword v[192:193], v195, off offset:44
	s_waitcnt vmcnt(1)
	global_store_dword v[200:201], v197, off
.LBB90_245:
	s_or_b64 exec, exec, s[18:19]
	v_mov_b32_e32 v197, v194
	v_mov_b32_e32 v199, v194
.LBB90_246:
	s_or_b64 exec, exec, s[16:17]
.LBB90_247:
	s_andn2_saveexec_b64 s[0:1], s[0:1]
	s_cbranch_execz .LBB90_249
; %bb.248:
	v_mov_b32_e32 v197, 11
	s_waitcnt vmcnt(33)
	ds_write2_b64 v196, v[136:137], v[138:139] offset0:24 offset1:25
	s_waitcnt vmcnt(32)
	ds_write2_b64 v196, v[132:133], v[134:135] offset0:26 offset1:27
	;; [unrolled: 2-line block ×34, first 2 shown]
.LBB90_249:
	s_or_b64 exec, exec, s[0:1]
	v_cmp_lt_i32_e32 vcc, 11, v197
	s_waitcnt lgkmcnt(0)
	s_barrier
	s_and_saveexec_b64 s[0:1], vcc
	s_cbranch_execz .LBB90_251
; %bb.250:
	ds_read2_b64 v[200:203], v196 offset0:24 offset1:25
	v_mul_f64 v[194:195], v[186:187], v[142:143]
	v_mul_f64 v[142:143], v[184:185], v[142:143]
	v_fma_f64 v[194:195], v[184:185], v[140:141], -v[194:195]
	v_fmac_f64_e32 v[142:143], v[186:187], v[140:141]
	ds_read2_b64 v[184:187], v196 offset0:26 offset1:27
	s_waitcnt lgkmcnt(1)
	v_mul_f64 v[140:141], v[202:203], v[142:143]
	v_fma_f64 v[140:141], v[200:201], v[194:195], -v[140:141]
	v_mul_f64 v[200:201], v[200:201], v[142:143]
	v_fmac_f64_e32 v[200:201], v[202:203], v[194:195]
	s_waitcnt vmcnt(33)
	v_add_f64 v[136:137], v[136:137], -v[140:141]
	s_waitcnt lgkmcnt(0)
	v_mul_f64 v[140:141], v[186:187], v[142:143]
	v_add_f64 v[138:139], v[138:139], -v[200:201]
	v_fma_f64 v[140:141], v[184:185], v[194:195], -v[140:141]
	v_mul_f64 v[184:185], v[184:185], v[142:143]
	ds_read2_b64 v[200:203], v196 offset0:28 offset1:29
	v_fmac_f64_e32 v[184:185], v[186:187], v[194:195]
	s_waitcnt vmcnt(32)
	v_add_f64 v[134:135], v[134:135], -v[184:185]
	ds_read2_b64 v[184:187], v196 offset0:30 offset1:31
	v_add_f64 v[132:133], v[132:133], -v[140:141]
	s_waitcnt lgkmcnt(1)
	v_mul_f64 v[140:141], v[202:203], v[142:143]
	v_fma_f64 v[140:141], v[200:201], v[194:195], -v[140:141]
	v_mul_f64 v[200:201], v[200:201], v[142:143]
	v_fmac_f64_e32 v[200:201], v[202:203], v[194:195]
	s_waitcnt vmcnt(31)
	v_add_f64 v[128:129], v[128:129], -v[140:141]
	s_waitcnt lgkmcnt(0)
	v_mul_f64 v[140:141], v[186:187], v[142:143]
	v_add_f64 v[130:131], v[130:131], -v[200:201]
	v_fma_f64 v[140:141], v[184:185], v[194:195], -v[140:141]
	v_mul_f64 v[184:185], v[184:185], v[142:143]
	ds_read2_b64 v[200:203], v196 offset0:32 offset1:33
	v_fmac_f64_e32 v[184:185], v[186:187], v[194:195]
	s_waitcnt vmcnt(30)
	v_add_f64 v[126:127], v[126:127], -v[184:185]
	ds_read2_b64 v[184:187], v196 offset0:34 offset1:35
	v_add_f64 v[124:125], v[124:125], -v[140:141]
	;; [unrolled: 18-line block ×16, first 2 shown]
	s_waitcnt lgkmcnt(1)
	v_mul_f64 v[140:141], v[202:203], v[142:143]
	v_fma_f64 v[140:141], v[200:201], v[194:195], -v[140:141]
	s_waitcnt vmcnt(1)
	v_add_f64 v[0:1], v[0:1], -v[140:141]
	s_waitcnt lgkmcnt(0)
	v_mul_f64 v[140:141], v[186:187], v[142:143]
	v_mul_f64 v[200:201], v[200:201], v[142:143]
	v_fma_f64 v[140:141], v[184:185], v[194:195], -v[140:141]
	v_mul_f64 v[184:185], v[184:185], v[142:143]
	v_fmac_f64_e32 v[200:201], v[202:203], v[194:195]
	v_fmac_f64_e32 v[184:185], v[186:187], v[194:195]
	v_add_f64 v[2:3], v[2:3], -v[200:201]
	s_waitcnt vmcnt(0)
	v_add_f64 v[180:181], v[180:181], -v[140:141]
	v_add_f64 v[182:183], v[182:183], -v[184:185]
	v_mov_b64_e32 v[140:141], v[194:195]
.LBB90_251:
	s_or_b64 exec, exec, s[0:1]
	v_lshl_add_u32 v184, v197, 4, v196
	s_barrier
	s_waitcnt vmcnt(33)
	ds_write2_b64 v184, v[136:137], v[138:139] offset1:1
	s_waitcnt lgkmcnt(0)
	s_barrier
	ds_read2_b64 v[184:187], v196 offset0:24 offset1:25
	s_cmp_lt_i32 s20, 14
	v_mov_b32_e32 v194, 12
	s_cbranch_scc1 .LBB90_254
; %bb.252:
	v_add_u32_e32 v195, 0xd0, v196
	s_mov_b32 s16, 13
	v_mov_b32_e32 v194, 12
.LBB90_253:                             ; =>This Inner Loop Header: Depth=1
	ds_read2_b64 v[200:203], v195 offset1:1
	s_waitcnt lgkmcnt(1)
	v_xor_b32_e32 v205, 0x80000000, v185
	v_xor_b32_e32 v207, 0x80000000, v187
	v_cmp_gt_f64_e32 vcc, 0, v[186:187]
	v_cmp_gt_f64_e64 s[0:1], 0, v[184:185]
	v_mov_b32_e32 v204, v184
	v_mov_b32_e32 v206, v186
	v_cndmask_b32_e64 v205, v185, v205, s[0:1]
	v_cndmask_b32_e32 v207, v187, v207, vcc
	v_add_f64 v[204:205], v[204:205], v[206:207]
	s_waitcnt lgkmcnt(0)
	v_xor_b32_e32 v207, 0x80000000, v201
	v_xor_b32_e32 v209, 0x80000000, v203
	v_cmp_gt_f64_e32 vcc, 0, v[202:203]
	v_cmp_gt_f64_e64 s[0:1], 0, v[200:201]
	v_mov_b32_e32 v206, v200
	v_mov_b32_e32 v208, v202
	v_cndmask_b32_e64 v207, v201, v207, s[0:1]
	v_cndmask_b32_e32 v209, v203, v209, vcc
	v_add_f64 v[206:207], v[206:207], v[208:209]
	v_mov_b32_e32 v210, s16
	s_add_i32 s16, s16, 1
	v_cmp_lt_f64_e32 vcc, v[204:205], v[206:207]
	v_add_u32_e32 v195, 16, v195
	s_cmp_lg_u32 s20, s16
	v_cndmask_b32_e32 v185, v185, v201, vcc
	v_cndmask_b32_e32 v184, v184, v200, vcc
	;; [unrolled: 1-line block ×5, first 2 shown]
	s_cbranch_scc1 .LBB90_253
.LBB90_254:
	s_waitcnt lgkmcnt(0)
	v_cmp_eq_f64_e32 vcc, 0, v[184:185]
	v_cmp_eq_f64_e64 s[0:1], 0, v[186:187]
	s_and_b64 s[0:1], vcc, s[0:1]
	s_and_saveexec_b64 s[16:17], s[0:1]
	s_xor_b64 s[0:1], exec, s[16:17]
; %bb.255:
	v_cmp_ne_u32_e32 vcc, 0, v198
	s_nop 1
	v_cndmask_b32_e32 v198, 13, v198, vcc
; %bb.256:
	s_andn2_saveexec_b64 s[0:1], s[0:1]
	s_cbranch_execz .LBB90_262
; %bb.257:
	v_cmp_ngt_f64_e64 s[16:17], |v[184:185]|, |v[186:187]|
	s_and_saveexec_b64 s[18:19], s[16:17]
	s_xor_b64 s[16:17], exec, s[18:19]
	s_cbranch_execz .LBB90_259
; %bb.258:
	v_div_scale_f64 v[200:201], s[18:19], v[186:187], v[186:187], v[184:185]
	v_rcp_f64_e32 v[202:203], v[200:201]
	v_div_scale_f64 v[204:205], vcc, v[184:185], v[186:187], v[184:185]
	v_fma_f64 v[206:207], -v[200:201], v[202:203], 1.0
	v_fmac_f64_e32 v[202:203], v[202:203], v[206:207]
	v_fma_f64 v[206:207], -v[200:201], v[202:203], 1.0
	v_fmac_f64_e32 v[202:203], v[202:203], v[206:207]
	v_mul_f64 v[206:207], v[204:205], v[202:203]
	v_fma_f64 v[200:201], -v[200:201], v[206:207], v[204:205]
	v_div_fmas_f64 v[200:201], v[200:201], v[202:203], v[206:207]
	v_div_fixup_f64 v[200:201], v[200:201], v[186:187], v[184:185]
	v_fmac_f64_e32 v[186:187], v[184:185], v[200:201]
	v_div_scale_f64 v[184:185], s[18:19], v[186:187], v[186:187], 1.0
	v_rcp_f64_e32 v[202:203], v[184:185]
	s_nop 0
	v_fma_f64 v[204:205], -v[184:185], v[202:203], 1.0
	v_fmac_f64_e32 v[202:203], v[202:203], v[204:205]
	v_fma_f64 v[204:205], -v[184:185], v[202:203], 1.0
	v_fmac_f64_e32 v[202:203], v[202:203], v[204:205]
	v_div_scale_f64 v[204:205], vcc, 1.0, v[186:187], 1.0
	v_mul_f64 v[206:207], v[204:205], v[202:203]
	v_fma_f64 v[184:185], -v[184:185], v[206:207], v[204:205]
	s_nop 1
	v_div_fmas_f64 v[184:185], v[184:185], v[202:203], v[206:207]
	v_div_fixup_f64 v[186:187], v[184:185], v[186:187], 1.0
	v_mul_f64 v[184:185], v[200:201], v[186:187]
	v_xor_b32_e32 v187, 0x80000000, v187
.LBB90_259:
	s_andn2_saveexec_b64 s[16:17], s[16:17]
	s_cbranch_execz .LBB90_261
; %bb.260:
	v_div_scale_f64 v[200:201], s[18:19], v[184:185], v[184:185], v[186:187]
	v_rcp_f64_e32 v[202:203], v[200:201]
	v_div_scale_f64 v[204:205], vcc, v[186:187], v[184:185], v[186:187]
	v_fma_f64 v[206:207], -v[200:201], v[202:203], 1.0
	v_fmac_f64_e32 v[202:203], v[202:203], v[206:207]
	v_fma_f64 v[206:207], -v[200:201], v[202:203], 1.0
	v_fmac_f64_e32 v[202:203], v[202:203], v[206:207]
	v_mul_f64 v[206:207], v[204:205], v[202:203]
	v_fma_f64 v[200:201], -v[200:201], v[206:207], v[204:205]
	v_div_fmas_f64 v[200:201], v[200:201], v[202:203], v[206:207]
	v_div_fixup_f64 v[200:201], v[200:201], v[184:185], v[186:187]
	v_fmac_f64_e32 v[184:185], v[186:187], v[200:201]
	v_div_scale_f64 v[186:187], s[18:19], v[184:185], v[184:185], 1.0
	v_rcp_f64_e32 v[202:203], v[186:187]
	s_nop 0
	v_fma_f64 v[204:205], -v[186:187], v[202:203], 1.0
	v_fmac_f64_e32 v[202:203], v[202:203], v[204:205]
	v_fma_f64 v[204:205], -v[186:187], v[202:203], 1.0
	v_fmac_f64_e32 v[202:203], v[202:203], v[204:205]
	v_div_scale_f64 v[204:205], vcc, 1.0, v[184:185], 1.0
	v_mul_f64 v[206:207], v[204:205], v[202:203]
	v_fma_f64 v[186:187], -v[186:187], v[206:207], v[204:205]
	s_nop 1
	v_div_fmas_f64 v[186:187], v[186:187], v[202:203], v[206:207]
	v_div_fixup_f64 v[184:185], v[186:187], v[184:185], 1.0
	v_mul_f64 v[186:187], v[200:201], -v[184:185]
.LBB90_261:
	s_or_b64 exec, exec, s[16:17]
.LBB90_262:
	s_or_b64 exec, exec, s[0:1]
	v_cmp_ne_u32_e32 vcc, v197, v194
	s_and_saveexec_b64 s[0:1], vcc
	s_xor_b64 s[0:1], exec, s[0:1]
	s_cbranch_execz .LBB90_268
; %bb.263:
	v_cmp_eq_u32_e32 vcc, 12, v197
	s_and_saveexec_b64 s[16:17], vcc
	s_cbranch_execz .LBB90_267
; %bb.264:
	v_cmp_ne_u32_e32 vcc, 12, v194
	s_xor_b64 s[18:19], s[14:15], -1
	s_and_b64 s[22:23], s[18:19], vcc
	s_and_saveexec_b64 s[18:19], s[22:23]
	s_cbranch_execz .LBB90_266
; %bb.265:
	v_ashrrev_i32_e32 v195, 31, v194
	v_lshl_add_u64 v[200:201], v[194:195], 2, v[192:193]
	global_load_dword v195, v[200:201], off
	global_load_dword v197, v[192:193], off offset:48
	s_waitcnt vmcnt(1)
	global_store_dword v[192:193], v195, off offset:48
	s_waitcnt vmcnt(1)
	global_store_dword v[200:201], v197, off
.LBB90_266:
	s_or_b64 exec, exec, s[18:19]
	v_mov_b32_e32 v197, v194
	v_mov_b32_e32 v199, v194
.LBB90_267:
	s_or_b64 exec, exec, s[16:17]
.LBB90_268:
	s_andn2_saveexec_b64 s[0:1], s[0:1]
	s_cbranch_execz .LBB90_270
; %bb.269:
	v_mov_b32_e32 v197, 12
	s_waitcnt vmcnt(32)
	ds_write2_b64 v196, v[132:133], v[134:135] offset0:26 offset1:27
	s_waitcnt vmcnt(31)
	ds_write2_b64 v196, v[128:129], v[130:131] offset0:28 offset1:29
	;; [unrolled: 2-line block ×33, first 2 shown]
.LBB90_270:
	s_or_b64 exec, exec, s[0:1]
	v_cmp_lt_i32_e32 vcc, 12, v197
	s_waitcnt lgkmcnt(0)
	s_barrier
	s_and_saveexec_b64 s[0:1], vcc
	s_cbranch_execz .LBB90_272
; %bb.271:
	ds_read2_b64 v[200:203], v196 offset0:26 offset1:27
	v_mul_f64 v[194:195], v[186:187], v[138:139]
	v_mul_f64 v[138:139], v[184:185], v[138:139]
	v_fmac_f64_e32 v[138:139], v[186:187], v[136:137]
	v_fma_f64 v[194:195], v[184:185], v[136:137], -v[194:195]
	ds_read2_b64 v[184:187], v196 offset0:28 offset1:29
	s_waitcnt lgkmcnt(1)
	v_mul_f64 v[136:137], v[202:203], v[138:139]
	v_fma_f64 v[136:137], v[200:201], v[194:195], -v[136:137]
	v_mul_f64 v[200:201], v[200:201], v[138:139]
	v_fmac_f64_e32 v[200:201], v[202:203], v[194:195]
	s_waitcnt vmcnt(32)
	v_add_f64 v[134:135], v[134:135], -v[200:201]
	ds_read2_b64 v[200:203], v196 offset0:30 offset1:31
	v_add_f64 v[132:133], v[132:133], -v[136:137]
	s_waitcnt lgkmcnt(1)
	v_mul_f64 v[136:137], v[186:187], v[138:139]
	v_fma_f64 v[136:137], v[184:185], v[194:195], -v[136:137]
	v_mul_f64 v[184:185], v[184:185], v[138:139]
	v_fmac_f64_e32 v[184:185], v[186:187], v[194:195]
	s_waitcnt vmcnt(31)
	v_add_f64 v[128:129], v[128:129], -v[136:137]
	v_add_f64 v[130:131], v[130:131], -v[184:185]
	ds_read2_b64 v[184:187], v196 offset0:32 offset1:33
	s_waitcnt lgkmcnt(1)
	v_mul_f64 v[136:137], v[202:203], v[138:139]
	v_fma_f64 v[136:137], v[200:201], v[194:195], -v[136:137]
	v_mul_f64 v[200:201], v[200:201], v[138:139]
	v_fmac_f64_e32 v[200:201], v[202:203], v[194:195]
	s_waitcnt vmcnt(30)
	v_add_f64 v[126:127], v[126:127], -v[200:201]
	ds_read2_b64 v[200:203], v196 offset0:34 offset1:35
	v_add_f64 v[124:125], v[124:125], -v[136:137]
	s_waitcnt lgkmcnt(1)
	v_mul_f64 v[136:137], v[186:187], v[138:139]
	v_fma_f64 v[136:137], v[184:185], v[194:195], -v[136:137]
	v_mul_f64 v[184:185], v[184:185], v[138:139]
	v_fmac_f64_e32 v[184:185], v[186:187], v[194:195]
	s_waitcnt vmcnt(29)
	v_add_f64 v[112:113], v[112:113], -v[136:137]
	v_add_f64 v[114:115], v[114:115], -v[184:185]
	;; [unrolled: 18-line block ×16, first 2 shown]
	s_waitcnt lgkmcnt(0)
	v_mul_f64 v[136:137], v[202:203], v[138:139]
	v_mul_f64 v[184:185], v[200:201], v[138:139]
	v_fma_f64 v[136:137], v[200:201], v[194:195], -v[136:137]
	v_fmac_f64_e32 v[184:185], v[202:203], v[194:195]
	s_waitcnt vmcnt(0)
	v_add_f64 v[180:181], v[180:181], -v[136:137]
	v_add_f64 v[182:183], v[182:183], -v[184:185]
	v_mov_b64_e32 v[136:137], v[194:195]
.LBB90_272:
	s_or_b64 exec, exec, s[0:1]
	v_lshl_add_u32 v184, v197, 4, v196
	s_barrier
	s_waitcnt vmcnt(32)
	ds_write2_b64 v184, v[132:133], v[134:135] offset1:1
	s_waitcnt lgkmcnt(0)
	s_barrier
	ds_read2_b64 v[184:187], v196 offset0:26 offset1:27
	s_cmp_lt_i32 s20, 15
	v_mov_b32_e32 v194, 13
	s_cbranch_scc1 .LBB90_275
; %bb.273:
	v_add_u32_e32 v195, 0xe0, v196
	s_mov_b32 s16, 14
	v_mov_b32_e32 v194, 13
.LBB90_274:                             ; =>This Inner Loop Header: Depth=1
	ds_read2_b64 v[200:203], v195 offset1:1
	s_waitcnt lgkmcnt(1)
	v_xor_b32_e32 v205, 0x80000000, v185
	v_xor_b32_e32 v207, 0x80000000, v187
	v_cmp_gt_f64_e32 vcc, 0, v[186:187]
	v_cmp_gt_f64_e64 s[0:1], 0, v[184:185]
	v_mov_b32_e32 v204, v184
	v_mov_b32_e32 v206, v186
	v_cndmask_b32_e64 v205, v185, v205, s[0:1]
	v_cndmask_b32_e32 v207, v187, v207, vcc
	v_add_f64 v[204:205], v[204:205], v[206:207]
	s_waitcnt lgkmcnt(0)
	v_xor_b32_e32 v207, 0x80000000, v201
	v_xor_b32_e32 v209, 0x80000000, v203
	v_cmp_gt_f64_e32 vcc, 0, v[202:203]
	v_cmp_gt_f64_e64 s[0:1], 0, v[200:201]
	v_mov_b32_e32 v206, v200
	v_mov_b32_e32 v208, v202
	v_cndmask_b32_e64 v207, v201, v207, s[0:1]
	v_cndmask_b32_e32 v209, v203, v209, vcc
	v_add_f64 v[206:207], v[206:207], v[208:209]
	v_mov_b32_e32 v210, s16
	s_add_i32 s16, s16, 1
	v_cmp_lt_f64_e32 vcc, v[204:205], v[206:207]
	v_add_u32_e32 v195, 16, v195
	s_cmp_lg_u32 s20, s16
	v_cndmask_b32_e32 v185, v185, v201, vcc
	v_cndmask_b32_e32 v184, v184, v200, vcc
	;; [unrolled: 1-line block ×5, first 2 shown]
	s_cbranch_scc1 .LBB90_274
.LBB90_275:
	s_waitcnt lgkmcnt(0)
	v_cmp_eq_f64_e32 vcc, 0, v[184:185]
	v_cmp_eq_f64_e64 s[0:1], 0, v[186:187]
	s_and_b64 s[0:1], vcc, s[0:1]
	s_and_saveexec_b64 s[16:17], s[0:1]
	s_xor_b64 s[0:1], exec, s[16:17]
; %bb.276:
	v_cmp_ne_u32_e32 vcc, 0, v198
	s_nop 1
	v_cndmask_b32_e32 v198, 14, v198, vcc
; %bb.277:
	s_andn2_saveexec_b64 s[0:1], s[0:1]
	s_cbranch_execz .LBB90_283
; %bb.278:
	v_cmp_ngt_f64_e64 s[16:17], |v[184:185]|, |v[186:187]|
	s_and_saveexec_b64 s[18:19], s[16:17]
	s_xor_b64 s[16:17], exec, s[18:19]
	s_cbranch_execz .LBB90_280
; %bb.279:
	v_div_scale_f64 v[200:201], s[18:19], v[186:187], v[186:187], v[184:185]
	v_rcp_f64_e32 v[202:203], v[200:201]
	v_div_scale_f64 v[204:205], vcc, v[184:185], v[186:187], v[184:185]
	v_fma_f64 v[206:207], -v[200:201], v[202:203], 1.0
	v_fmac_f64_e32 v[202:203], v[202:203], v[206:207]
	v_fma_f64 v[206:207], -v[200:201], v[202:203], 1.0
	v_fmac_f64_e32 v[202:203], v[202:203], v[206:207]
	v_mul_f64 v[206:207], v[204:205], v[202:203]
	v_fma_f64 v[200:201], -v[200:201], v[206:207], v[204:205]
	v_div_fmas_f64 v[200:201], v[200:201], v[202:203], v[206:207]
	v_div_fixup_f64 v[200:201], v[200:201], v[186:187], v[184:185]
	v_fmac_f64_e32 v[186:187], v[184:185], v[200:201]
	v_div_scale_f64 v[184:185], s[18:19], v[186:187], v[186:187], 1.0
	v_rcp_f64_e32 v[202:203], v[184:185]
	s_nop 0
	v_fma_f64 v[204:205], -v[184:185], v[202:203], 1.0
	v_fmac_f64_e32 v[202:203], v[202:203], v[204:205]
	v_fma_f64 v[204:205], -v[184:185], v[202:203], 1.0
	v_fmac_f64_e32 v[202:203], v[202:203], v[204:205]
	v_div_scale_f64 v[204:205], vcc, 1.0, v[186:187], 1.0
	v_mul_f64 v[206:207], v[204:205], v[202:203]
	v_fma_f64 v[184:185], -v[184:185], v[206:207], v[204:205]
	s_nop 1
	v_div_fmas_f64 v[184:185], v[184:185], v[202:203], v[206:207]
	v_div_fixup_f64 v[186:187], v[184:185], v[186:187], 1.0
	v_mul_f64 v[184:185], v[200:201], v[186:187]
	v_xor_b32_e32 v187, 0x80000000, v187
.LBB90_280:
	s_andn2_saveexec_b64 s[16:17], s[16:17]
	s_cbranch_execz .LBB90_282
; %bb.281:
	v_div_scale_f64 v[200:201], s[18:19], v[184:185], v[184:185], v[186:187]
	v_rcp_f64_e32 v[202:203], v[200:201]
	v_div_scale_f64 v[204:205], vcc, v[186:187], v[184:185], v[186:187]
	v_fma_f64 v[206:207], -v[200:201], v[202:203], 1.0
	v_fmac_f64_e32 v[202:203], v[202:203], v[206:207]
	v_fma_f64 v[206:207], -v[200:201], v[202:203], 1.0
	v_fmac_f64_e32 v[202:203], v[202:203], v[206:207]
	v_mul_f64 v[206:207], v[204:205], v[202:203]
	v_fma_f64 v[200:201], -v[200:201], v[206:207], v[204:205]
	v_div_fmas_f64 v[200:201], v[200:201], v[202:203], v[206:207]
	v_div_fixup_f64 v[200:201], v[200:201], v[184:185], v[186:187]
	v_fmac_f64_e32 v[184:185], v[186:187], v[200:201]
	v_div_scale_f64 v[186:187], s[18:19], v[184:185], v[184:185], 1.0
	v_rcp_f64_e32 v[202:203], v[186:187]
	s_nop 0
	v_fma_f64 v[204:205], -v[186:187], v[202:203], 1.0
	v_fmac_f64_e32 v[202:203], v[202:203], v[204:205]
	v_fma_f64 v[204:205], -v[186:187], v[202:203], 1.0
	v_fmac_f64_e32 v[202:203], v[202:203], v[204:205]
	v_div_scale_f64 v[204:205], vcc, 1.0, v[184:185], 1.0
	v_mul_f64 v[206:207], v[204:205], v[202:203]
	v_fma_f64 v[186:187], -v[186:187], v[206:207], v[204:205]
	s_nop 1
	v_div_fmas_f64 v[186:187], v[186:187], v[202:203], v[206:207]
	v_div_fixup_f64 v[184:185], v[186:187], v[184:185], 1.0
	v_mul_f64 v[186:187], v[200:201], -v[184:185]
.LBB90_282:
	s_or_b64 exec, exec, s[16:17]
.LBB90_283:
	s_or_b64 exec, exec, s[0:1]
	v_cmp_ne_u32_e32 vcc, v197, v194
	s_and_saveexec_b64 s[0:1], vcc
	s_xor_b64 s[0:1], exec, s[0:1]
	s_cbranch_execz .LBB90_289
; %bb.284:
	v_cmp_eq_u32_e32 vcc, 13, v197
	s_and_saveexec_b64 s[16:17], vcc
	s_cbranch_execz .LBB90_288
; %bb.285:
	v_cmp_ne_u32_e32 vcc, 13, v194
	s_xor_b64 s[18:19], s[14:15], -1
	s_and_b64 s[22:23], s[18:19], vcc
	s_and_saveexec_b64 s[18:19], s[22:23]
	s_cbranch_execz .LBB90_287
; %bb.286:
	v_ashrrev_i32_e32 v195, 31, v194
	v_lshl_add_u64 v[200:201], v[194:195], 2, v[192:193]
	global_load_dword v195, v[200:201], off
	global_load_dword v197, v[192:193], off offset:52
	s_waitcnt vmcnt(1)
	global_store_dword v[192:193], v195, off offset:52
	s_waitcnt vmcnt(1)
	global_store_dword v[200:201], v197, off
.LBB90_287:
	s_or_b64 exec, exec, s[18:19]
	v_mov_b32_e32 v197, v194
	v_mov_b32_e32 v199, v194
.LBB90_288:
	s_or_b64 exec, exec, s[16:17]
.LBB90_289:
	s_andn2_saveexec_b64 s[0:1], s[0:1]
	s_cbranch_execz .LBB90_291
; %bb.290:
	v_mov_b32_e32 v197, 13
	s_waitcnt vmcnt(31)
	ds_write2_b64 v196, v[128:129], v[130:131] offset0:28 offset1:29
	s_waitcnt vmcnt(30)
	ds_write2_b64 v196, v[124:125], v[126:127] offset0:30 offset1:31
	;; [unrolled: 2-line block ×32, first 2 shown]
.LBB90_291:
	s_or_b64 exec, exec, s[0:1]
	v_cmp_lt_i32_e32 vcc, 13, v197
	s_waitcnt lgkmcnt(0)
	s_barrier
	s_and_saveexec_b64 s[0:1], vcc
	s_cbranch_execz .LBB90_293
; %bb.292:
	ds_read2_b64 v[200:203], v196 offset0:28 offset1:29
	v_mul_f64 v[194:195], v[186:187], v[134:135]
	v_mul_f64 v[134:135], v[184:185], v[134:135]
	v_fma_f64 v[194:195], v[184:185], v[132:133], -v[194:195]
	v_fmac_f64_e32 v[134:135], v[186:187], v[132:133]
	ds_read2_b64 v[184:187], v196 offset0:30 offset1:31
	s_waitcnt lgkmcnt(1)
	v_mul_f64 v[132:133], v[202:203], v[134:135]
	v_fma_f64 v[132:133], v[200:201], v[194:195], -v[132:133]
	v_mul_f64 v[200:201], v[200:201], v[134:135]
	v_fmac_f64_e32 v[200:201], v[202:203], v[194:195]
	s_waitcnt vmcnt(31)
	v_add_f64 v[128:129], v[128:129], -v[132:133]
	s_waitcnt lgkmcnt(0)
	v_mul_f64 v[132:133], v[186:187], v[134:135]
	v_add_f64 v[130:131], v[130:131], -v[200:201]
	v_fma_f64 v[132:133], v[184:185], v[194:195], -v[132:133]
	v_mul_f64 v[184:185], v[184:185], v[134:135]
	ds_read2_b64 v[200:203], v196 offset0:32 offset1:33
	v_fmac_f64_e32 v[184:185], v[186:187], v[194:195]
	s_waitcnt vmcnt(30)
	v_add_f64 v[126:127], v[126:127], -v[184:185]
	ds_read2_b64 v[184:187], v196 offset0:34 offset1:35
	v_add_f64 v[124:125], v[124:125], -v[132:133]
	s_waitcnt lgkmcnt(1)
	v_mul_f64 v[132:133], v[202:203], v[134:135]
	v_fma_f64 v[132:133], v[200:201], v[194:195], -v[132:133]
	v_mul_f64 v[200:201], v[200:201], v[134:135]
	v_fmac_f64_e32 v[200:201], v[202:203], v[194:195]
	s_waitcnt vmcnt(29)
	v_add_f64 v[112:113], v[112:113], -v[132:133]
	s_waitcnt lgkmcnt(0)
	v_mul_f64 v[132:133], v[186:187], v[134:135]
	v_add_f64 v[114:115], v[114:115], -v[200:201]
	v_fma_f64 v[132:133], v[184:185], v[194:195], -v[132:133]
	v_mul_f64 v[184:185], v[184:185], v[134:135]
	ds_read2_b64 v[200:203], v196 offset0:36 offset1:37
	v_fmac_f64_e32 v[184:185], v[186:187], v[194:195]
	s_waitcnt vmcnt(28)
	v_add_f64 v[110:111], v[110:111], -v[184:185]
	ds_read2_b64 v[184:187], v196 offset0:38 offset1:39
	v_add_f64 v[108:109], v[108:109], -v[132:133]
	;; [unrolled: 18-line block ×15, first 2 shown]
	s_waitcnt lgkmcnt(1)
	v_mul_f64 v[132:133], v[202:203], v[134:135]
	v_fma_f64 v[132:133], v[200:201], v[194:195], -v[132:133]
	s_waitcnt vmcnt(1)
	v_add_f64 v[0:1], v[0:1], -v[132:133]
	s_waitcnt lgkmcnt(0)
	v_mul_f64 v[132:133], v[186:187], v[134:135]
	v_mul_f64 v[200:201], v[200:201], v[134:135]
	v_fma_f64 v[132:133], v[184:185], v[194:195], -v[132:133]
	v_mul_f64 v[184:185], v[184:185], v[134:135]
	v_fmac_f64_e32 v[200:201], v[202:203], v[194:195]
	v_fmac_f64_e32 v[184:185], v[186:187], v[194:195]
	v_add_f64 v[2:3], v[2:3], -v[200:201]
	s_waitcnt vmcnt(0)
	v_add_f64 v[180:181], v[180:181], -v[132:133]
	v_add_f64 v[182:183], v[182:183], -v[184:185]
	v_mov_b64_e32 v[132:133], v[194:195]
.LBB90_293:
	s_or_b64 exec, exec, s[0:1]
	v_lshl_add_u32 v184, v197, 4, v196
	s_barrier
	s_waitcnt vmcnt(31)
	ds_write2_b64 v184, v[128:129], v[130:131] offset1:1
	s_waitcnt lgkmcnt(0)
	s_barrier
	ds_read2_b64 v[184:187], v196 offset0:28 offset1:29
	s_cmp_lt_i32 s20, 16
	v_mov_b32_e32 v194, 14
	s_cbranch_scc1 .LBB90_296
; %bb.294:
	v_add_u32_e32 v195, 0xf0, v196
	s_mov_b32 s16, 15
	v_mov_b32_e32 v194, 14
.LBB90_295:                             ; =>This Inner Loop Header: Depth=1
	ds_read2_b64 v[200:203], v195 offset1:1
	s_waitcnt lgkmcnt(1)
	v_xor_b32_e32 v205, 0x80000000, v185
	v_xor_b32_e32 v207, 0x80000000, v187
	v_cmp_gt_f64_e32 vcc, 0, v[186:187]
	v_cmp_gt_f64_e64 s[0:1], 0, v[184:185]
	v_mov_b32_e32 v204, v184
	v_mov_b32_e32 v206, v186
	v_cndmask_b32_e64 v205, v185, v205, s[0:1]
	v_cndmask_b32_e32 v207, v187, v207, vcc
	v_add_f64 v[204:205], v[204:205], v[206:207]
	s_waitcnt lgkmcnt(0)
	v_xor_b32_e32 v207, 0x80000000, v201
	v_xor_b32_e32 v209, 0x80000000, v203
	v_cmp_gt_f64_e32 vcc, 0, v[202:203]
	v_cmp_gt_f64_e64 s[0:1], 0, v[200:201]
	v_mov_b32_e32 v206, v200
	v_mov_b32_e32 v208, v202
	v_cndmask_b32_e64 v207, v201, v207, s[0:1]
	v_cndmask_b32_e32 v209, v203, v209, vcc
	v_add_f64 v[206:207], v[206:207], v[208:209]
	v_mov_b32_e32 v210, s16
	s_add_i32 s16, s16, 1
	v_cmp_lt_f64_e32 vcc, v[204:205], v[206:207]
	v_add_u32_e32 v195, 16, v195
	s_cmp_lg_u32 s20, s16
	v_cndmask_b32_e32 v185, v185, v201, vcc
	v_cndmask_b32_e32 v184, v184, v200, vcc
	;; [unrolled: 1-line block ×5, first 2 shown]
	s_cbranch_scc1 .LBB90_295
.LBB90_296:
	s_waitcnt lgkmcnt(0)
	v_cmp_eq_f64_e32 vcc, 0, v[184:185]
	v_cmp_eq_f64_e64 s[0:1], 0, v[186:187]
	s_and_b64 s[0:1], vcc, s[0:1]
	s_and_saveexec_b64 s[16:17], s[0:1]
	s_xor_b64 s[0:1], exec, s[16:17]
; %bb.297:
	v_cmp_ne_u32_e32 vcc, 0, v198
	s_nop 1
	v_cndmask_b32_e32 v198, 15, v198, vcc
; %bb.298:
	s_andn2_saveexec_b64 s[0:1], s[0:1]
	s_cbranch_execz .LBB90_304
; %bb.299:
	v_cmp_ngt_f64_e64 s[16:17], |v[184:185]|, |v[186:187]|
	s_and_saveexec_b64 s[18:19], s[16:17]
	s_xor_b64 s[16:17], exec, s[18:19]
	s_cbranch_execz .LBB90_301
; %bb.300:
	v_div_scale_f64 v[200:201], s[18:19], v[186:187], v[186:187], v[184:185]
	v_rcp_f64_e32 v[202:203], v[200:201]
	v_div_scale_f64 v[204:205], vcc, v[184:185], v[186:187], v[184:185]
	v_fma_f64 v[206:207], -v[200:201], v[202:203], 1.0
	v_fmac_f64_e32 v[202:203], v[202:203], v[206:207]
	v_fma_f64 v[206:207], -v[200:201], v[202:203], 1.0
	v_fmac_f64_e32 v[202:203], v[202:203], v[206:207]
	v_mul_f64 v[206:207], v[204:205], v[202:203]
	v_fma_f64 v[200:201], -v[200:201], v[206:207], v[204:205]
	v_div_fmas_f64 v[200:201], v[200:201], v[202:203], v[206:207]
	v_div_fixup_f64 v[200:201], v[200:201], v[186:187], v[184:185]
	v_fmac_f64_e32 v[186:187], v[184:185], v[200:201]
	v_div_scale_f64 v[184:185], s[18:19], v[186:187], v[186:187], 1.0
	v_rcp_f64_e32 v[202:203], v[184:185]
	s_nop 0
	v_fma_f64 v[204:205], -v[184:185], v[202:203], 1.0
	v_fmac_f64_e32 v[202:203], v[202:203], v[204:205]
	v_fma_f64 v[204:205], -v[184:185], v[202:203], 1.0
	v_fmac_f64_e32 v[202:203], v[202:203], v[204:205]
	v_div_scale_f64 v[204:205], vcc, 1.0, v[186:187], 1.0
	v_mul_f64 v[206:207], v[204:205], v[202:203]
	v_fma_f64 v[184:185], -v[184:185], v[206:207], v[204:205]
	s_nop 1
	v_div_fmas_f64 v[184:185], v[184:185], v[202:203], v[206:207]
	v_div_fixup_f64 v[186:187], v[184:185], v[186:187], 1.0
	v_mul_f64 v[184:185], v[200:201], v[186:187]
	v_xor_b32_e32 v187, 0x80000000, v187
.LBB90_301:
	s_andn2_saveexec_b64 s[16:17], s[16:17]
	s_cbranch_execz .LBB90_303
; %bb.302:
	v_div_scale_f64 v[200:201], s[18:19], v[184:185], v[184:185], v[186:187]
	v_rcp_f64_e32 v[202:203], v[200:201]
	v_div_scale_f64 v[204:205], vcc, v[186:187], v[184:185], v[186:187]
	v_fma_f64 v[206:207], -v[200:201], v[202:203], 1.0
	v_fmac_f64_e32 v[202:203], v[202:203], v[206:207]
	v_fma_f64 v[206:207], -v[200:201], v[202:203], 1.0
	v_fmac_f64_e32 v[202:203], v[202:203], v[206:207]
	v_mul_f64 v[206:207], v[204:205], v[202:203]
	v_fma_f64 v[200:201], -v[200:201], v[206:207], v[204:205]
	v_div_fmas_f64 v[200:201], v[200:201], v[202:203], v[206:207]
	v_div_fixup_f64 v[200:201], v[200:201], v[184:185], v[186:187]
	v_fmac_f64_e32 v[184:185], v[186:187], v[200:201]
	v_div_scale_f64 v[186:187], s[18:19], v[184:185], v[184:185], 1.0
	v_rcp_f64_e32 v[202:203], v[186:187]
	s_nop 0
	v_fma_f64 v[204:205], -v[186:187], v[202:203], 1.0
	v_fmac_f64_e32 v[202:203], v[202:203], v[204:205]
	v_fma_f64 v[204:205], -v[186:187], v[202:203], 1.0
	v_fmac_f64_e32 v[202:203], v[202:203], v[204:205]
	v_div_scale_f64 v[204:205], vcc, 1.0, v[184:185], 1.0
	v_mul_f64 v[206:207], v[204:205], v[202:203]
	v_fma_f64 v[186:187], -v[186:187], v[206:207], v[204:205]
	s_nop 1
	v_div_fmas_f64 v[186:187], v[186:187], v[202:203], v[206:207]
	v_div_fixup_f64 v[184:185], v[186:187], v[184:185], 1.0
	v_mul_f64 v[186:187], v[200:201], -v[184:185]
.LBB90_303:
	s_or_b64 exec, exec, s[16:17]
.LBB90_304:
	s_or_b64 exec, exec, s[0:1]
	v_cmp_ne_u32_e32 vcc, v197, v194
	s_and_saveexec_b64 s[0:1], vcc
	s_xor_b64 s[0:1], exec, s[0:1]
	s_cbranch_execz .LBB90_310
; %bb.305:
	v_cmp_eq_u32_e32 vcc, 14, v197
	s_and_saveexec_b64 s[16:17], vcc
	s_cbranch_execz .LBB90_309
; %bb.306:
	v_cmp_ne_u32_e32 vcc, 14, v194
	s_xor_b64 s[18:19], s[14:15], -1
	s_and_b64 s[22:23], s[18:19], vcc
	s_and_saveexec_b64 s[18:19], s[22:23]
	s_cbranch_execz .LBB90_308
; %bb.307:
	v_ashrrev_i32_e32 v195, 31, v194
	v_lshl_add_u64 v[200:201], v[194:195], 2, v[192:193]
	global_load_dword v195, v[200:201], off
	global_load_dword v197, v[192:193], off offset:56
	s_waitcnt vmcnt(1)
	global_store_dword v[192:193], v195, off offset:56
	s_waitcnt vmcnt(1)
	global_store_dword v[200:201], v197, off
.LBB90_308:
	s_or_b64 exec, exec, s[18:19]
	v_mov_b32_e32 v197, v194
	v_mov_b32_e32 v199, v194
.LBB90_309:
	s_or_b64 exec, exec, s[16:17]
.LBB90_310:
	s_andn2_saveexec_b64 s[0:1], s[0:1]
	s_cbranch_execz .LBB90_312
; %bb.311:
	v_mov_b32_e32 v197, 14
	s_waitcnt vmcnt(30)
	ds_write2_b64 v196, v[124:125], v[126:127] offset0:30 offset1:31
	s_waitcnt vmcnt(29)
	ds_write2_b64 v196, v[112:113], v[114:115] offset0:32 offset1:33
	;; [unrolled: 2-line block ×31, first 2 shown]
.LBB90_312:
	s_or_b64 exec, exec, s[0:1]
	v_cmp_lt_i32_e32 vcc, 14, v197
	s_waitcnt lgkmcnt(0)
	s_barrier
	s_and_saveexec_b64 s[0:1], vcc
	s_cbranch_execz .LBB90_314
; %bb.313:
	ds_read2_b64 v[200:203], v196 offset0:30 offset1:31
	v_mul_f64 v[194:195], v[186:187], v[130:131]
	v_mul_f64 v[130:131], v[184:185], v[130:131]
	v_fmac_f64_e32 v[130:131], v[186:187], v[128:129]
	v_fma_f64 v[194:195], v[184:185], v[128:129], -v[194:195]
	ds_read2_b64 v[184:187], v196 offset0:32 offset1:33
	s_waitcnt lgkmcnt(1)
	v_mul_f64 v[128:129], v[202:203], v[130:131]
	v_fma_f64 v[128:129], v[200:201], v[194:195], -v[128:129]
	v_mul_f64 v[200:201], v[200:201], v[130:131]
	v_fmac_f64_e32 v[200:201], v[202:203], v[194:195]
	s_waitcnt vmcnt(30)
	v_add_f64 v[126:127], v[126:127], -v[200:201]
	ds_read2_b64 v[200:203], v196 offset0:34 offset1:35
	v_add_f64 v[124:125], v[124:125], -v[128:129]
	s_waitcnt lgkmcnt(1)
	v_mul_f64 v[128:129], v[186:187], v[130:131]
	v_fma_f64 v[128:129], v[184:185], v[194:195], -v[128:129]
	v_mul_f64 v[184:185], v[184:185], v[130:131]
	v_fmac_f64_e32 v[184:185], v[186:187], v[194:195]
	s_waitcnt vmcnt(29)
	v_add_f64 v[112:113], v[112:113], -v[128:129]
	v_add_f64 v[114:115], v[114:115], -v[184:185]
	ds_read2_b64 v[184:187], v196 offset0:36 offset1:37
	s_waitcnt lgkmcnt(1)
	v_mul_f64 v[128:129], v[202:203], v[130:131]
	v_fma_f64 v[128:129], v[200:201], v[194:195], -v[128:129]
	v_mul_f64 v[200:201], v[200:201], v[130:131]
	v_fmac_f64_e32 v[200:201], v[202:203], v[194:195]
	s_waitcnt vmcnt(28)
	v_add_f64 v[110:111], v[110:111], -v[200:201]
	ds_read2_b64 v[200:203], v196 offset0:38 offset1:39
	v_add_f64 v[108:109], v[108:109], -v[128:129]
	s_waitcnt lgkmcnt(1)
	v_mul_f64 v[128:129], v[186:187], v[130:131]
	v_fma_f64 v[128:129], v[184:185], v[194:195], -v[128:129]
	v_mul_f64 v[184:185], v[184:185], v[130:131]
	v_fmac_f64_e32 v[184:185], v[186:187], v[194:195]
	s_waitcnt vmcnt(27)
	v_add_f64 v[104:105], v[104:105], -v[128:129]
	v_add_f64 v[106:107], v[106:107], -v[184:185]
	;; [unrolled: 18-line block ×15, first 2 shown]
	s_waitcnt lgkmcnt(0)
	v_mul_f64 v[128:129], v[202:203], v[130:131]
	v_mul_f64 v[184:185], v[200:201], v[130:131]
	v_fma_f64 v[128:129], v[200:201], v[194:195], -v[128:129]
	v_fmac_f64_e32 v[184:185], v[202:203], v[194:195]
	s_waitcnt vmcnt(0)
	v_add_f64 v[180:181], v[180:181], -v[128:129]
	v_add_f64 v[182:183], v[182:183], -v[184:185]
	v_mov_b64_e32 v[128:129], v[194:195]
.LBB90_314:
	s_or_b64 exec, exec, s[0:1]
	v_lshl_add_u32 v184, v197, 4, v196
	s_barrier
	s_waitcnt vmcnt(30)
	ds_write2_b64 v184, v[124:125], v[126:127] offset1:1
	s_waitcnt lgkmcnt(0)
	s_barrier
	ds_read2_b64 v[184:187], v196 offset0:30 offset1:31
	s_cmp_lt_i32 s20, 17
	v_mov_b32_e32 v194, 15
	s_cbranch_scc1 .LBB90_317
; %bb.315:
	v_add_u32_e32 v195, 0x100, v196
	s_mov_b32 s16, 16
	v_mov_b32_e32 v194, 15
.LBB90_316:                             ; =>This Inner Loop Header: Depth=1
	ds_read2_b64 v[200:203], v195 offset1:1
	s_waitcnt lgkmcnt(1)
	v_xor_b32_e32 v205, 0x80000000, v185
	v_xor_b32_e32 v207, 0x80000000, v187
	v_cmp_gt_f64_e32 vcc, 0, v[186:187]
	v_cmp_gt_f64_e64 s[0:1], 0, v[184:185]
	v_mov_b32_e32 v204, v184
	v_mov_b32_e32 v206, v186
	v_cndmask_b32_e64 v205, v185, v205, s[0:1]
	v_cndmask_b32_e32 v207, v187, v207, vcc
	v_add_f64 v[204:205], v[204:205], v[206:207]
	s_waitcnt lgkmcnt(0)
	v_xor_b32_e32 v207, 0x80000000, v201
	v_xor_b32_e32 v209, 0x80000000, v203
	v_cmp_gt_f64_e32 vcc, 0, v[202:203]
	v_cmp_gt_f64_e64 s[0:1], 0, v[200:201]
	v_mov_b32_e32 v206, v200
	v_mov_b32_e32 v208, v202
	v_cndmask_b32_e64 v207, v201, v207, s[0:1]
	v_cndmask_b32_e32 v209, v203, v209, vcc
	v_add_f64 v[206:207], v[206:207], v[208:209]
	v_mov_b32_e32 v210, s16
	s_add_i32 s16, s16, 1
	v_cmp_lt_f64_e32 vcc, v[204:205], v[206:207]
	v_add_u32_e32 v195, 16, v195
	s_cmp_lg_u32 s20, s16
	v_cndmask_b32_e32 v185, v185, v201, vcc
	v_cndmask_b32_e32 v184, v184, v200, vcc
	;; [unrolled: 1-line block ×5, first 2 shown]
	s_cbranch_scc1 .LBB90_316
.LBB90_317:
	s_waitcnt lgkmcnt(0)
	v_cmp_eq_f64_e32 vcc, 0, v[184:185]
	v_cmp_eq_f64_e64 s[0:1], 0, v[186:187]
	s_and_b64 s[0:1], vcc, s[0:1]
	s_and_saveexec_b64 s[16:17], s[0:1]
	s_xor_b64 s[0:1], exec, s[16:17]
; %bb.318:
	v_cmp_ne_u32_e32 vcc, 0, v198
	s_nop 1
	v_cndmask_b32_e32 v198, 16, v198, vcc
; %bb.319:
	s_andn2_saveexec_b64 s[0:1], s[0:1]
	s_cbranch_execz .LBB90_325
; %bb.320:
	v_cmp_ngt_f64_e64 s[16:17], |v[184:185]|, |v[186:187]|
	s_and_saveexec_b64 s[18:19], s[16:17]
	s_xor_b64 s[16:17], exec, s[18:19]
	s_cbranch_execz .LBB90_322
; %bb.321:
	v_div_scale_f64 v[200:201], s[18:19], v[186:187], v[186:187], v[184:185]
	v_rcp_f64_e32 v[202:203], v[200:201]
	v_div_scale_f64 v[204:205], vcc, v[184:185], v[186:187], v[184:185]
	v_fma_f64 v[206:207], -v[200:201], v[202:203], 1.0
	v_fmac_f64_e32 v[202:203], v[202:203], v[206:207]
	v_fma_f64 v[206:207], -v[200:201], v[202:203], 1.0
	v_fmac_f64_e32 v[202:203], v[202:203], v[206:207]
	v_mul_f64 v[206:207], v[204:205], v[202:203]
	v_fma_f64 v[200:201], -v[200:201], v[206:207], v[204:205]
	v_div_fmas_f64 v[200:201], v[200:201], v[202:203], v[206:207]
	v_div_fixup_f64 v[200:201], v[200:201], v[186:187], v[184:185]
	v_fmac_f64_e32 v[186:187], v[184:185], v[200:201]
	v_div_scale_f64 v[184:185], s[18:19], v[186:187], v[186:187], 1.0
	v_rcp_f64_e32 v[202:203], v[184:185]
	s_nop 0
	v_fma_f64 v[204:205], -v[184:185], v[202:203], 1.0
	v_fmac_f64_e32 v[202:203], v[202:203], v[204:205]
	v_fma_f64 v[204:205], -v[184:185], v[202:203], 1.0
	v_fmac_f64_e32 v[202:203], v[202:203], v[204:205]
	v_div_scale_f64 v[204:205], vcc, 1.0, v[186:187], 1.0
	v_mul_f64 v[206:207], v[204:205], v[202:203]
	v_fma_f64 v[184:185], -v[184:185], v[206:207], v[204:205]
	s_nop 1
	v_div_fmas_f64 v[184:185], v[184:185], v[202:203], v[206:207]
	v_div_fixup_f64 v[186:187], v[184:185], v[186:187], 1.0
	v_mul_f64 v[184:185], v[200:201], v[186:187]
	v_xor_b32_e32 v187, 0x80000000, v187
.LBB90_322:
	s_andn2_saveexec_b64 s[16:17], s[16:17]
	s_cbranch_execz .LBB90_324
; %bb.323:
	v_div_scale_f64 v[200:201], s[18:19], v[184:185], v[184:185], v[186:187]
	v_rcp_f64_e32 v[202:203], v[200:201]
	v_div_scale_f64 v[204:205], vcc, v[186:187], v[184:185], v[186:187]
	v_fma_f64 v[206:207], -v[200:201], v[202:203], 1.0
	v_fmac_f64_e32 v[202:203], v[202:203], v[206:207]
	v_fma_f64 v[206:207], -v[200:201], v[202:203], 1.0
	v_fmac_f64_e32 v[202:203], v[202:203], v[206:207]
	v_mul_f64 v[206:207], v[204:205], v[202:203]
	v_fma_f64 v[200:201], -v[200:201], v[206:207], v[204:205]
	v_div_fmas_f64 v[200:201], v[200:201], v[202:203], v[206:207]
	v_div_fixup_f64 v[200:201], v[200:201], v[184:185], v[186:187]
	v_fmac_f64_e32 v[184:185], v[186:187], v[200:201]
	v_div_scale_f64 v[186:187], s[18:19], v[184:185], v[184:185], 1.0
	v_rcp_f64_e32 v[202:203], v[186:187]
	s_nop 0
	v_fma_f64 v[204:205], -v[186:187], v[202:203], 1.0
	v_fmac_f64_e32 v[202:203], v[202:203], v[204:205]
	v_fma_f64 v[204:205], -v[186:187], v[202:203], 1.0
	v_fmac_f64_e32 v[202:203], v[202:203], v[204:205]
	v_div_scale_f64 v[204:205], vcc, 1.0, v[184:185], 1.0
	v_mul_f64 v[206:207], v[204:205], v[202:203]
	v_fma_f64 v[186:187], -v[186:187], v[206:207], v[204:205]
	s_nop 1
	v_div_fmas_f64 v[186:187], v[186:187], v[202:203], v[206:207]
	v_div_fixup_f64 v[184:185], v[186:187], v[184:185], 1.0
	v_mul_f64 v[186:187], v[200:201], -v[184:185]
.LBB90_324:
	s_or_b64 exec, exec, s[16:17]
.LBB90_325:
	s_or_b64 exec, exec, s[0:1]
	v_cmp_ne_u32_e32 vcc, v197, v194
	s_and_saveexec_b64 s[0:1], vcc
	s_xor_b64 s[0:1], exec, s[0:1]
	s_cbranch_execz .LBB90_331
; %bb.326:
	v_cmp_eq_u32_e32 vcc, 15, v197
	s_and_saveexec_b64 s[16:17], vcc
	s_cbranch_execz .LBB90_330
; %bb.327:
	v_cmp_ne_u32_e32 vcc, 15, v194
	s_xor_b64 s[18:19], s[14:15], -1
	s_and_b64 s[22:23], s[18:19], vcc
	s_and_saveexec_b64 s[18:19], s[22:23]
	s_cbranch_execz .LBB90_329
; %bb.328:
	v_ashrrev_i32_e32 v195, 31, v194
	v_lshl_add_u64 v[200:201], v[194:195], 2, v[192:193]
	global_load_dword v195, v[200:201], off
	global_load_dword v197, v[192:193], off offset:60
	s_waitcnt vmcnt(1)
	global_store_dword v[192:193], v195, off offset:60
	s_waitcnt vmcnt(1)
	global_store_dword v[200:201], v197, off
.LBB90_329:
	s_or_b64 exec, exec, s[18:19]
	v_mov_b32_e32 v197, v194
	v_mov_b32_e32 v199, v194
.LBB90_330:
	s_or_b64 exec, exec, s[16:17]
.LBB90_331:
	s_andn2_saveexec_b64 s[0:1], s[0:1]
	s_cbranch_execz .LBB90_333
; %bb.332:
	v_mov_b32_e32 v197, 15
	s_waitcnt vmcnt(29)
	ds_write2_b64 v196, v[112:113], v[114:115] offset0:32 offset1:33
	s_waitcnt vmcnt(28)
	ds_write2_b64 v196, v[108:109], v[110:111] offset0:34 offset1:35
	;; [unrolled: 2-line block ×30, first 2 shown]
.LBB90_333:
	s_or_b64 exec, exec, s[0:1]
	v_cmp_lt_i32_e32 vcc, 15, v197
	s_waitcnt lgkmcnt(0)
	s_barrier
	s_and_saveexec_b64 s[0:1], vcc
	s_cbranch_execz .LBB90_335
; %bb.334:
	ds_read2_b64 v[200:203], v196 offset0:32 offset1:33
	v_mul_f64 v[194:195], v[186:187], v[126:127]
	v_mul_f64 v[126:127], v[184:185], v[126:127]
	v_fma_f64 v[194:195], v[184:185], v[124:125], -v[194:195]
	v_fmac_f64_e32 v[126:127], v[186:187], v[124:125]
	ds_read2_b64 v[184:187], v196 offset0:34 offset1:35
	s_waitcnt lgkmcnt(1)
	v_mul_f64 v[124:125], v[202:203], v[126:127]
	v_fma_f64 v[124:125], v[200:201], v[194:195], -v[124:125]
	v_mul_f64 v[200:201], v[200:201], v[126:127]
	v_fmac_f64_e32 v[200:201], v[202:203], v[194:195]
	s_waitcnt vmcnt(29)
	v_add_f64 v[112:113], v[112:113], -v[124:125]
	s_waitcnt lgkmcnt(0)
	v_mul_f64 v[124:125], v[186:187], v[126:127]
	v_add_f64 v[114:115], v[114:115], -v[200:201]
	v_fma_f64 v[124:125], v[184:185], v[194:195], -v[124:125]
	v_mul_f64 v[184:185], v[184:185], v[126:127]
	ds_read2_b64 v[200:203], v196 offset0:36 offset1:37
	v_fmac_f64_e32 v[184:185], v[186:187], v[194:195]
	s_waitcnt vmcnt(28)
	v_add_f64 v[110:111], v[110:111], -v[184:185]
	ds_read2_b64 v[184:187], v196 offset0:38 offset1:39
	v_add_f64 v[108:109], v[108:109], -v[124:125]
	s_waitcnt lgkmcnt(1)
	v_mul_f64 v[124:125], v[202:203], v[126:127]
	v_fma_f64 v[124:125], v[200:201], v[194:195], -v[124:125]
	v_mul_f64 v[200:201], v[200:201], v[126:127]
	v_fmac_f64_e32 v[200:201], v[202:203], v[194:195]
	s_waitcnt vmcnt(27)
	v_add_f64 v[104:105], v[104:105], -v[124:125]
	s_waitcnt lgkmcnt(0)
	v_mul_f64 v[124:125], v[186:187], v[126:127]
	v_add_f64 v[106:107], v[106:107], -v[200:201]
	v_fma_f64 v[124:125], v[184:185], v[194:195], -v[124:125]
	v_mul_f64 v[184:185], v[184:185], v[126:127]
	ds_read2_b64 v[200:203], v196 offset0:40 offset1:41
	v_fmac_f64_e32 v[184:185], v[186:187], v[194:195]
	s_waitcnt vmcnt(26)
	v_add_f64 v[102:103], v[102:103], -v[184:185]
	ds_read2_b64 v[184:187], v196 offset0:42 offset1:43
	v_add_f64 v[100:101], v[100:101], -v[124:125]
	;; [unrolled: 18-line block ×14, first 2 shown]
	s_waitcnt lgkmcnt(1)
	v_mul_f64 v[124:125], v[202:203], v[126:127]
	v_fma_f64 v[124:125], v[200:201], v[194:195], -v[124:125]
	s_waitcnt vmcnt(1)
	v_add_f64 v[0:1], v[0:1], -v[124:125]
	s_waitcnt lgkmcnt(0)
	v_mul_f64 v[124:125], v[186:187], v[126:127]
	v_mul_f64 v[200:201], v[200:201], v[126:127]
	v_fma_f64 v[124:125], v[184:185], v[194:195], -v[124:125]
	v_mul_f64 v[184:185], v[184:185], v[126:127]
	v_fmac_f64_e32 v[200:201], v[202:203], v[194:195]
	v_fmac_f64_e32 v[184:185], v[186:187], v[194:195]
	v_add_f64 v[2:3], v[2:3], -v[200:201]
	s_waitcnt vmcnt(0)
	v_add_f64 v[180:181], v[180:181], -v[124:125]
	v_add_f64 v[182:183], v[182:183], -v[184:185]
	v_mov_b64_e32 v[124:125], v[194:195]
.LBB90_335:
	s_or_b64 exec, exec, s[0:1]
	v_lshl_add_u32 v184, v197, 4, v196
	s_barrier
	s_waitcnt vmcnt(29)
	ds_write2_b64 v184, v[112:113], v[114:115] offset1:1
	s_waitcnt lgkmcnt(0)
	s_barrier
	ds_read2_b64 v[184:187], v196 offset0:32 offset1:33
	s_cmp_lt_i32 s20, 18
	v_mov_b32_e32 v194, 16
	s_cbranch_scc1 .LBB90_338
; %bb.336:
	v_add_u32_e32 v195, 0x110, v196
	s_mov_b32 s16, 17
	v_mov_b32_e32 v194, 16
.LBB90_337:                             ; =>This Inner Loop Header: Depth=1
	ds_read2_b64 v[200:203], v195 offset1:1
	s_waitcnt lgkmcnt(1)
	v_xor_b32_e32 v205, 0x80000000, v185
	v_xor_b32_e32 v207, 0x80000000, v187
	v_cmp_gt_f64_e32 vcc, 0, v[186:187]
	v_cmp_gt_f64_e64 s[0:1], 0, v[184:185]
	v_mov_b32_e32 v204, v184
	v_mov_b32_e32 v206, v186
	v_cndmask_b32_e64 v205, v185, v205, s[0:1]
	v_cndmask_b32_e32 v207, v187, v207, vcc
	v_add_f64 v[204:205], v[204:205], v[206:207]
	s_waitcnt lgkmcnt(0)
	v_xor_b32_e32 v207, 0x80000000, v201
	v_xor_b32_e32 v209, 0x80000000, v203
	v_cmp_gt_f64_e32 vcc, 0, v[202:203]
	v_cmp_gt_f64_e64 s[0:1], 0, v[200:201]
	v_mov_b32_e32 v206, v200
	v_mov_b32_e32 v208, v202
	v_cndmask_b32_e64 v207, v201, v207, s[0:1]
	v_cndmask_b32_e32 v209, v203, v209, vcc
	v_add_f64 v[206:207], v[206:207], v[208:209]
	v_mov_b32_e32 v210, s16
	s_add_i32 s16, s16, 1
	v_cmp_lt_f64_e32 vcc, v[204:205], v[206:207]
	v_add_u32_e32 v195, 16, v195
	s_cmp_lg_u32 s20, s16
	v_cndmask_b32_e32 v185, v185, v201, vcc
	v_cndmask_b32_e32 v184, v184, v200, vcc
	;; [unrolled: 1-line block ×5, first 2 shown]
	s_cbranch_scc1 .LBB90_337
.LBB90_338:
	s_waitcnt lgkmcnt(0)
	v_cmp_eq_f64_e32 vcc, 0, v[184:185]
	v_cmp_eq_f64_e64 s[0:1], 0, v[186:187]
	s_and_b64 s[0:1], vcc, s[0:1]
	s_and_saveexec_b64 s[16:17], s[0:1]
	s_xor_b64 s[0:1], exec, s[16:17]
; %bb.339:
	v_cmp_ne_u32_e32 vcc, 0, v198
	s_nop 1
	v_cndmask_b32_e32 v198, 17, v198, vcc
; %bb.340:
	s_andn2_saveexec_b64 s[0:1], s[0:1]
	s_cbranch_execz .LBB90_346
; %bb.341:
	v_cmp_ngt_f64_e64 s[16:17], |v[184:185]|, |v[186:187]|
	s_and_saveexec_b64 s[18:19], s[16:17]
	s_xor_b64 s[16:17], exec, s[18:19]
	s_cbranch_execz .LBB90_343
; %bb.342:
	v_div_scale_f64 v[200:201], s[18:19], v[186:187], v[186:187], v[184:185]
	v_rcp_f64_e32 v[202:203], v[200:201]
	v_div_scale_f64 v[204:205], vcc, v[184:185], v[186:187], v[184:185]
	v_fma_f64 v[206:207], -v[200:201], v[202:203], 1.0
	v_fmac_f64_e32 v[202:203], v[202:203], v[206:207]
	v_fma_f64 v[206:207], -v[200:201], v[202:203], 1.0
	v_fmac_f64_e32 v[202:203], v[202:203], v[206:207]
	v_mul_f64 v[206:207], v[204:205], v[202:203]
	v_fma_f64 v[200:201], -v[200:201], v[206:207], v[204:205]
	v_div_fmas_f64 v[200:201], v[200:201], v[202:203], v[206:207]
	v_div_fixup_f64 v[200:201], v[200:201], v[186:187], v[184:185]
	v_fmac_f64_e32 v[186:187], v[184:185], v[200:201]
	v_div_scale_f64 v[184:185], s[18:19], v[186:187], v[186:187], 1.0
	v_rcp_f64_e32 v[202:203], v[184:185]
	s_nop 0
	v_fma_f64 v[204:205], -v[184:185], v[202:203], 1.0
	v_fmac_f64_e32 v[202:203], v[202:203], v[204:205]
	v_fma_f64 v[204:205], -v[184:185], v[202:203], 1.0
	v_fmac_f64_e32 v[202:203], v[202:203], v[204:205]
	v_div_scale_f64 v[204:205], vcc, 1.0, v[186:187], 1.0
	v_mul_f64 v[206:207], v[204:205], v[202:203]
	v_fma_f64 v[184:185], -v[184:185], v[206:207], v[204:205]
	s_nop 1
	v_div_fmas_f64 v[184:185], v[184:185], v[202:203], v[206:207]
	v_div_fixup_f64 v[186:187], v[184:185], v[186:187], 1.0
	v_mul_f64 v[184:185], v[200:201], v[186:187]
	v_xor_b32_e32 v187, 0x80000000, v187
.LBB90_343:
	s_andn2_saveexec_b64 s[16:17], s[16:17]
	s_cbranch_execz .LBB90_345
; %bb.344:
	v_div_scale_f64 v[200:201], s[18:19], v[184:185], v[184:185], v[186:187]
	v_rcp_f64_e32 v[202:203], v[200:201]
	v_div_scale_f64 v[204:205], vcc, v[186:187], v[184:185], v[186:187]
	v_fma_f64 v[206:207], -v[200:201], v[202:203], 1.0
	v_fmac_f64_e32 v[202:203], v[202:203], v[206:207]
	v_fma_f64 v[206:207], -v[200:201], v[202:203], 1.0
	v_fmac_f64_e32 v[202:203], v[202:203], v[206:207]
	v_mul_f64 v[206:207], v[204:205], v[202:203]
	v_fma_f64 v[200:201], -v[200:201], v[206:207], v[204:205]
	v_div_fmas_f64 v[200:201], v[200:201], v[202:203], v[206:207]
	v_div_fixup_f64 v[200:201], v[200:201], v[184:185], v[186:187]
	v_fmac_f64_e32 v[184:185], v[186:187], v[200:201]
	v_div_scale_f64 v[186:187], s[18:19], v[184:185], v[184:185], 1.0
	v_rcp_f64_e32 v[202:203], v[186:187]
	s_nop 0
	v_fma_f64 v[204:205], -v[186:187], v[202:203], 1.0
	v_fmac_f64_e32 v[202:203], v[202:203], v[204:205]
	v_fma_f64 v[204:205], -v[186:187], v[202:203], 1.0
	v_fmac_f64_e32 v[202:203], v[202:203], v[204:205]
	v_div_scale_f64 v[204:205], vcc, 1.0, v[184:185], 1.0
	v_mul_f64 v[206:207], v[204:205], v[202:203]
	v_fma_f64 v[186:187], -v[186:187], v[206:207], v[204:205]
	s_nop 1
	v_div_fmas_f64 v[186:187], v[186:187], v[202:203], v[206:207]
	v_div_fixup_f64 v[184:185], v[186:187], v[184:185], 1.0
	v_mul_f64 v[186:187], v[200:201], -v[184:185]
.LBB90_345:
	s_or_b64 exec, exec, s[16:17]
.LBB90_346:
	s_or_b64 exec, exec, s[0:1]
	v_cmp_ne_u32_e32 vcc, v197, v194
	s_and_saveexec_b64 s[0:1], vcc
	s_xor_b64 s[0:1], exec, s[0:1]
	s_cbranch_execz .LBB90_352
; %bb.347:
	v_cmp_eq_u32_e32 vcc, 16, v197
	s_and_saveexec_b64 s[16:17], vcc
	s_cbranch_execz .LBB90_351
; %bb.348:
	v_cmp_ne_u32_e32 vcc, 16, v194
	s_xor_b64 s[18:19], s[14:15], -1
	s_and_b64 s[22:23], s[18:19], vcc
	s_and_saveexec_b64 s[18:19], s[22:23]
	s_cbranch_execz .LBB90_350
; %bb.349:
	v_ashrrev_i32_e32 v195, 31, v194
	v_lshl_add_u64 v[200:201], v[194:195], 2, v[192:193]
	global_load_dword v195, v[200:201], off
	global_load_dword v197, v[192:193], off offset:64
	s_waitcnt vmcnt(1)
	global_store_dword v[192:193], v195, off offset:64
	s_waitcnt vmcnt(1)
	global_store_dword v[200:201], v197, off
.LBB90_350:
	s_or_b64 exec, exec, s[18:19]
	v_mov_b32_e32 v197, v194
	v_mov_b32_e32 v199, v194
.LBB90_351:
	s_or_b64 exec, exec, s[16:17]
.LBB90_352:
	s_andn2_saveexec_b64 s[0:1], s[0:1]
	s_cbranch_execz .LBB90_354
; %bb.353:
	v_mov_b32_e32 v197, 16
	s_waitcnt vmcnt(28)
	ds_write2_b64 v196, v[108:109], v[110:111] offset0:34 offset1:35
	s_waitcnt vmcnt(27)
	ds_write2_b64 v196, v[104:105], v[106:107] offset0:36 offset1:37
	;; [unrolled: 2-line block ×29, first 2 shown]
.LBB90_354:
	s_or_b64 exec, exec, s[0:1]
	v_cmp_lt_i32_e32 vcc, 16, v197
	s_waitcnt lgkmcnt(0)
	s_barrier
	s_and_saveexec_b64 s[0:1], vcc
	s_cbranch_execz .LBB90_356
; %bb.355:
	ds_read2_b64 v[200:203], v196 offset0:34 offset1:35
	v_mul_f64 v[194:195], v[186:187], v[114:115]
	v_mul_f64 v[114:115], v[184:185], v[114:115]
	v_fmac_f64_e32 v[114:115], v[186:187], v[112:113]
	v_fma_f64 v[194:195], v[184:185], v[112:113], -v[194:195]
	ds_read2_b64 v[184:187], v196 offset0:36 offset1:37
	s_waitcnt lgkmcnt(1)
	v_mul_f64 v[112:113], v[202:203], v[114:115]
	v_fma_f64 v[112:113], v[200:201], v[194:195], -v[112:113]
	v_mul_f64 v[200:201], v[200:201], v[114:115]
	v_fmac_f64_e32 v[200:201], v[202:203], v[194:195]
	s_waitcnt vmcnt(28)
	v_add_f64 v[110:111], v[110:111], -v[200:201]
	ds_read2_b64 v[200:203], v196 offset0:38 offset1:39
	v_add_f64 v[108:109], v[108:109], -v[112:113]
	s_waitcnt lgkmcnt(1)
	v_mul_f64 v[112:113], v[186:187], v[114:115]
	v_fma_f64 v[112:113], v[184:185], v[194:195], -v[112:113]
	v_mul_f64 v[184:185], v[184:185], v[114:115]
	v_fmac_f64_e32 v[184:185], v[186:187], v[194:195]
	s_waitcnt vmcnt(27)
	v_add_f64 v[104:105], v[104:105], -v[112:113]
	v_add_f64 v[106:107], v[106:107], -v[184:185]
	ds_read2_b64 v[184:187], v196 offset0:40 offset1:41
	s_waitcnt lgkmcnt(1)
	v_mul_f64 v[112:113], v[202:203], v[114:115]
	v_fma_f64 v[112:113], v[200:201], v[194:195], -v[112:113]
	v_mul_f64 v[200:201], v[200:201], v[114:115]
	v_fmac_f64_e32 v[200:201], v[202:203], v[194:195]
	s_waitcnt vmcnt(26)
	v_add_f64 v[102:103], v[102:103], -v[200:201]
	ds_read2_b64 v[200:203], v196 offset0:42 offset1:43
	v_add_f64 v[100:101], v[100:101], -v[112:113]
	s_waitcnt lgkmcnt(1)
	v_mul_f64 v[112:113], v[186:187], v[114:115]
	v_fma_f64 v[112:113], v[184:185], v[194:195], -v[112:113]
	v_mul_f64 v[184:185], v[184:185], v[114:115]
	v_fmac_f64_e32 v[184:185], v[186:187], v[194:195]
	s_waitcnt vmcnt(25)
	v_add_f64 v[96:97], v[96:97], -v[112:113]
	v_add_f64 v[98:99], v[98:99], -v[184:185]
	;; [unrolled: 18-line block ×14, first 2 shown]
	s_waitcnt lgkmcnt(0)
	v_mul_f64 v[112:113], v[202:203], v[114:115]
	v_mul_f64 v[184:185], v[200:201], v[114:115]
	v_fma_f64 v[112:113], v[200:201], v[194:195], -v[112:113]
	v_fmac_f64_e32 v[184:185], v[202:203], v[194:195]
	s_waitcnt vmcnt(0)
	v_add_f64 v[180:181], v[180:181], -v[112:113]
	v_add_f64 v[182:183], v[182:183], -v[184:185]
	v_mov_b64_e32 v[112:113], v[194:195]
.LBB90_356:
	s_or_b64 exec, exec, s[0:1]
	v_lshl_add_u32 v184, v197, 4, v196
	s_barrier
	s_waitcnt vmcnt(28)
	ds_write2_b64 v184, v[108:109], v[110:111] offset1:1
	s_waitcnt lgkmcnt(0)
	s_barrier
	ds_read2_b64 v[184:187], v196 offset0:34 offset1:35
	s_cmp_lt_i32 s20, 19
	v_mov_b32_e32 v194, 17
	s_cbranch_scc1 .LBB90_359
; %bb.357:
	v_add_u32_e32 v195, 0x120, v196
	s_mov_b32 s16, 18
	v_mov_b32_e32 v194, 17
.LBB90_358:                             ; =>This Inner Loop Header: Depth=1
	ds_read2_b64 v[200:203], v195 offset1:1
	s_waitcnt lgkmcnt(1)
	v_xor_b32_e32 v205, 0x80000000, v185
	v_xor_b32_e32 v207, 0x80000000, v187
	v_cmp_gt_f64_e32 vcc, 0, v[186:187]
	v_cmp_gt_f64_e64 s[0:1], 0, v[184:185]
	v_mov_b32_e32 v204, v184
	v_mov_b32_e32 v206, v186
	v_cndmask_b32_e64 v205, v185, v205, s[0:1]
	v_cndmask_b32_e32 v207, v187, v207, vcc
	v_add_f64 v[204:205], v[204:205], v[206:207]
	s_waitcnt lgkmcnt(0)
	v_xor_b32_e32 v207, 0x80000000, v201
	v_xor_b32_e32 v209, 0x80000000, v203
	v_cmp_gt_f64_e32 vcc, 0, v[202:203]
	v_cmp_gt_f64_e64 s[0:1], 0, v[200:201]
	v_mov_b32_e32 v206, v200
	v_mov_b32_e32 v208, v202
	v_cndmask_b32_e64 v207, v201, v207, s[0:1]
	v_cndmask_b32_e32 v209, v203, v209, vcc
	v_add_f64 v[206:207], v[206:207], v[208:209]
	v_mov_b32_e32 v210, s16
	s_add_i32 s16, s16, 1
	v_cmp_lt_f64_e32 vcc, v[204:205], v[206:207]
	v_add_u32_e32 v195, 16, v195
	s_cmp_lg_u32 s20, s16
	v_cndmask_b32_e32 v185, v185, v201, vcc
	v_cndmask_b32_e32 v184, v184, v200, vcc
	;; [unrolled: 1-line block ×5, first 2 shown]
	s_cbranch_scc1 .LBB90_358
.LBB90_359:
	s_waitcnt lgkmcnt(0)
	v_cmp_eq_f64_e32 vcc, 0, v[184:185]
	v_cmp_eq_f64_e64 s[0:1], 0, v[186:187]
	s_and_b64 s[0:1], vcc, s[0:1]
	s_and_saveexec_b64 s[16:17], s[0:1]
	s_xor_b64 s[0:1], exec, s[16:17]
; %bb.360:
	v_cmp_ne_u32_e32 vcc, 0, v198
	s_nop 1
	v_cndmask_b32_e32 v198, 18, v198, vcc
; %bb.361:
	s_andn2_saveexec_b64 s[0:1], s[0:1]
	s_cbranch_execz .LBB90_367
; %bb.362:
	v_cmp_ngt_f64_e64 s[16:17], |v[184:185]|, |v[186:187]|
	s_and_saveexec_b64 s[18:19], s[16:17]
	s_xor_b64 s[16:17], exec, s[18:19]
	s_cbranch_execz .LBB90_364
; %bb.363:
	v_div_scale_f64 v[200:201], s[18:19], v[186:187], v[186:187], v[184:185]
	v_rcp_f64_e32 v[202:203], v[200:201]
	v_div_scale_f64 v[204:205], vcc, v[184:185], v[186:187], v[184:185]
	v_fma_f64 v[206:207], -v[200:201], v[202:203], 1.0
	v_fmac_f64_e32 v[202:203], v[202:203], v[206:207]
	v_fma_f64 v[206:207], -v[200:201], v[202:203], 1.0
	v_fmac_f64_e32 v[202:203], v[202:203], v[206:207]
	v_mul_f64 v[206:207], v[204:205], v[202:203]
	v_fma_f64 v[200:201], -v[200:201], v[206:207], v[204:205]
	v_div_fmas_f64 v[200:201], v[200:201], v[202:203], v[206:207]
	v_div_fixup_f64 v[200:201], v[200:201], v[186:187], v[184:185]
	v_fmac_f64_e32 v[186:187], v[184:185], v[200:201]
	v_div_scale_f64 v[184:185], s[18:19], v[186:187], v[186:187], 1.0
	v_rcp_f64_e32 v[202:203], v[184:185]
	s_nop 0
	v_fma_f64 v[204:205], -v[184:185], v[202:203], 1.0
	v_fmac_f64_e32 v[202:203], v[202:203], v[204:205]
	v_fma_f64 v[204:205], -v[184:185], v[202:203], 1.0
	v_fmac_f64_e32 v[202:203], v[202:203], v[204:205]
	v_div_scale_f64 v[204:205], vcc, 1.0, v[186:187], 1.0
	v_mul_f64 v[206:207], v[204:205], v[202:203]
	v_fma_f64 v[184:185], -v[184:185], v[206:207], v[204:205]
	s_nop 1
	v_div_fmas_f64 v[184:185], v[184:185], v[202:203], v[206:207]
	v_div_fixup_f64 v[186:187], v[184:185], v[186:187], 1.0
	v_mul_f64 v[184:185], v[200:201], v[186:187]
	v_xor_b32_e32 v187, 0x80000000, v187
.LBB90_364:
	s_andn2_saveexec_b64 s[16:17], s[16:17]
	s_cbranch_execz .LBB90_366
; %bb.365:
	v_div_scale_f64 v[200:201], s[18:19], v[184:185], v[184:185], v[186:187]
	v_rcp_f64_e32 v[202:203], v[200:201]
	v_div_scale_f64 v[204:205], vcc, v[186:187], v[184:185], v[186:187]
	v_fma_f64 v[206:207], -v[200:201], v[202:203], 1.0
	v_fmac_f64_e32 v[202:203], v[202:203], v[206:207]
	v_fma_f64 v[206:207], -v[200:201], v[202:203], 1.0
	v_fmac_f64_e32 v[202:203], v[202:203], v[206:207]
	v_mul_f64 v[206:207], v[204:205], v[202:203]
	v_fma_f64 v[200:201], -v[200:201], v[206:207], v[204:205]
	v_div_fmas_f64 v[200:201], v[200:201], v[202:203], v[206:207]
	v_div_fixup_f64 v[200:201], v[200:201], v[184:185], v[186:187]
	v_fmac_f64_e32 v[184:185], v[186:187], v[200:201]
	v_div_scale_f64 v[186:187], s[18:19], v[184:185], v[184:185], 1.0
	v_rcp_f64_e32 v[202:203], v[186:187]
	s_nop 0
	v_fma_f64 v[204:205], -v[186:187], v[202:203], 1.0
	v_fmac_f64_e32 v[202:203], v[202:203], v[204:205]
	v_fma_f64 v[204:205], -v[186:187], v[202:203], 1.0
	v_fmac_f64_e32 v[202:203], v[202:203], v[204:205]
	v_div_scale_f64 v[204:205], vcc, 1.0, v[184:185], 1.0
	v_mul_f64 v[206:207], v[204:205], v[202:203]
	v_fma_f64 v[186:187], -v[186:187], v[206:207], v[204:205]
	s_nop 1
	v_div_fmas_f64 v[186:187], v[186:187], v[202:203], v[206:207]
	v_div_fixup_f64 v[184:185], v[186:187], v[184:185], 1.0
	v_mul_f64 v[186:187], v[200:201], -v[184:185]
.LBB90_366:
	s_or_b64 exec, exec, s[16:17]
.LBB90_367:
	s_or_b64 exec, exec, s[0:1]
	v_cmp_ne_u32_e32 vcc, v197, v194
	s_and_saveexec_b64 s[0:1], vcc
	s_xor_b64 s[0:1], exec, s[0:1]
	s_cbranch_execz .LBB90_373
; %bb.368:
	v_cmp_eq_u32_e32 vcc, 17, v197
	s_and_saveexec_b64 s[16:17], vcc
	s_cbranch_execz .LBB90_372
; %bb.369:
	v_cmp_ne_u32_e32 vcc, 17, v194
	s_xor_b64 s[18:19], s[14:15], -1
	s_and_b64 s[22:23], s[18:19], vcc
	s_and_saveexec_b64 s[18:19], s[22:23]
	s_cbranch_execz .LBB90_371
; %bb.370:
	v_ashrrev_i32_e32 v195, 31, v194
	v_lshl_add_u64 v[200:201], v[194:195], 2, v[192:193]
	global_load_dword v195, v[200:201], off
	global_load_dword v197, v[192:193], off offset:68
	s_waitcnt vmcnt(1)
	global_store_dword v[192:193], v195, off offset:68
	s_waitcnt vmcnt(1)
	global_store_dword v[200:201], v197, off
.LBB90_371:
	s_or_b64 exec, exec, s[18:19]
	v_mov_b32_e32 v197, v194
	v_mov_b32_e32 v199, v194
.LBB90_372:
	s_or_b64 exec, exec, s[16:17]
.LBB90_373:
	s_andn2_saveexec_b64 s[0:1], s[0:1]
	s_cbranch_execz .LBB90_375
; %bb.374:
	v_mov_b32_e32 v197, 17
	s_waitcnt vmcnt(27)
	ds_write2_b64 v196, v[104:105], v[106:107] offset0:36 offset1:37
	s_waitcnt vmcnt(26)
	ds_write2_b64 v196, v[100:101], v[102:103] offset0:38 offset1:39
	;; [unrolled: 2-line block ×28, first 2 shown]
.LBB90_375:
	s_or_b64 exec, exec, s[0:1]
	v_cmp_lt_i32_e32 vcc, 17, v197
	s_waitcnt lgkmcnt(0)
	s_barrier
	s_and_saveexec_b64 s[0:1], vcc
	s_cbranch_execz .LBB90_377
; %bb.376:
	ds_read2_b64 v[200:203], v196 offset0:36 offset1:37
	v_mul_f64 v[194:195], v[186:187], v[110:111]
	v_mul_f64 v[110:111], v[184:185], v[110:111]
	v_fma_f64 v[194:195], v[184:185], v[108:109], -v[194:195]
	v_fmac_f64_e32 v[110:111], v[186:187], v[108:109]
	ds_read2_b64 v[184:187], v196 offset0:38 offset1:39
	s_waitcnt lgkmcnt(1)
	v_mul_f64 v[108:109], v[202:203], v[110:111]
	v_fma_f64 v[108:109], v[200:201], v[194:195], -v[108:109]
	v_mul_f64 v[200:201], v[200:201], v[110:111]
	v_fmac_f64_e32 v[200:201], v[202:203], v[194:195]
	s_waitcnt vmcnt(27)
	v_add_f64 v[104:105], v[104:105], -v[108:109]
	s_waitcnt lgkmcnt(0)
	v_mul_f64 v[108:109], v[186:187], v[110:111]
	v_add_f64 v[106:107], v[106:107], -v[200:201]
	v_fma_f64 v[108:109], v[184:185], v[194:195], -v[108:109]
	v_mul_f64 v[184:185], v[184:185], v[110:111]
	ds_read2_b64 v[200:203], v196 offset0:40 offset1:41
	v_fmac_f64_e32 v[184:185], v[186:187], v[194:195]
	s_waitcnt vmcnt(26)
	v_add_f64 v[102:103], v[102:103], -v[184:185]
	ds_read2_b64 v[184:187], v196 offset0:42 offset1:43
	v_add_f64 v[100:101], v[100:101], -v[108:109]
	s_waitcnt lgkmcnt(1)
	v_mul_f64 v[108:109], v[202:203], v[110:111]
	v_fma_f64 v[108:109], v[200:201], v[194:195], -v[108:109]
	v_mul_f64 v[200:201], v[200:201], v[110:111]
	v_fmac_f64_e32 v[200:201], v[202:203], v[194:195]
	s_waitcnt vmcnt(25)
	v_add_f64 v[96:97], v[96:97], -v[108:109]
	s_waitcnt lgkmcnt(0)
	v_mul_f64 v[108:109], v[186:187], v[110:111]
	v_add_f64 v[98:99], v[98:99], -v[200:201]
	v_fma_f64 v[108:109], v[184:185], v[194:195], -v[108:109]
	v_mul_f64 v[184:185], v[184:185], v[110:111]
	ds_read2_b64 v[200:203], v196 offset0:44 offset1:45
	v_fmac_f64_e32 v[184:185], v[186:187], v[194:195]
	s_waitcnt vmcnt(24)
	v_add_f64 v[94:95], v[94:95], -v[184:185]
	ds_read2_b64 v[184:187], v196 offset0:46 offset1:47
	v_add_f64 v[92:93], v[92:93], -v[108:109]
	s_waitcnt lgkmcnt(1)
	v_mul_f64 v[108:109], v[202:203], v[110:111]
	v_fma_f64 v[108:109], v[200:201], v[194:195], -v[108:109]
	v_mul_f64 v[200:201], v[200:201], v[110:111]
	v_fmac_f64_e32 v[200:201], v[202:203], v[194:195]
	s_waitcnt vmcnt(23)
	v_add_f64 v[88:89], v[88:89], -v[108:109]
	s_waitcnt lgkmcnt(0)
	v_mul_f64 v[108:109], v[186:187], v[110:111]
	v_add_f64 v[90:91], v[90:91], -v[200:201]
	v_fma_f64 v[108:109], v[184:185], v[194:195], -v[108:109]
	v_mul_f64 v[184:185], v[184:185], v[110:111]
	ds_read2_b64 v[200:203], v196 offset0:48 offset1:49
	v_fmac_f64_e32 v[184:185], v[186:187], v[194:195]
	s_waitcnt vmcnt(22)
	v_add_f64 v[86:87], v[86:87], -v[184:185]
	ds_read2_b64 v[184:187], v196 offset0:50 offset1:51
	v_add_f64 v[84:85], v[84:85], -v[108:109]
	s_waitcnt lgkmcnt(1)
	v_mul_f64 v[108:109], v[202:203], v[110:111]
	v_fma_f64 v[108:109], v[200:201], v[194:195], -v[108:109]
	v_mul_f64 v[200:201], v[200:201], v[110:111]
	v_fmac_f64_e32 v[200:201], v[202:203], v[194:195]
	s_waitcnt vmcnt(21)
	v_add_f64 v[80:81], v[80:81], -v[108:109]
	s_waitcnt lgkmcnt(0)
	v_mul_f64 v[108:109], v[186:187], v[110:111]
	v_add_f64 v[82:83], v[82:83], -v[200:201]
	v_fma_f64 v[108:109], v[184:185], v[194:195], -v[108:109]
	v_mul_f64 v[184:185], v[184:185], v[110:111]
	ds_read2_b64 v[200:203], v196 offset0:52 offset1:53
	v_fmac_f64_e32 v[184:185], v[186:187], v[194:195]
	s_waitcnt vmcnt(20)
	v_add_f64 v[78:79], v[78:79], -v[184:185]
	ds_read2_b64 v[184:187], v196 offset0:54 offset1:55
	v_add_f64 v[76:77], v[76:77], -v[108:109]
	s_waitcnt lgkmcnt(1)
	v_mul_f64 v[108:109], v[202:203], v[110:111]
	v_fma_f64 v[108:109], v[200:201], v[194:195], -v[108:109]
	v_mul_f64 v[200:201], v[200:201], v[110:111]
	v_fmac_f64_e32 v[200:201], v[202:203], v[194:195]
	s_waitcnt vmcnt(19)
	v_add_f64 v[72:73], v[72:73], -v[108:109]
	s_waitcnt lgkmcnt(0)
	v_mul_f64 v[108:109], v[186:187], v[110:111]
	v_add_f64 v[74:75], v[74:75], -v[200:201]
	v_fma_f64 v[108:109], v[184:185], v[194:195], -v[108:109]
	v_mul_f64 v[184:185], v[184:185], v[110:111]
	ds_read2_b64 v[200:203], v196 offset0:56 offset1:57
	v_fmac_f64_e32 v[184:185], v[186:187], v[194:195]
	s_waitcnt vmcnt(18)
	v_add_f64 v[70:71], v[70:71], -v[184:185]
	ds_read2_b64 v[184:187], v196 offset0:58 offset1:59
	v_add_f64 v[68:69], v[68:69], -v[108:109]
	s_waitcnt lgkmcnt(1)
	v_mul_f64 v[108:109], v[202:203], v[110:111]
	v_fma_f64 v[108:109], v[200:201], v[194:195], -v[108:109]
	v_mul_f64 v[200:201], v[200:201], v[110:111]
	v_fmac_f64_e32 v[200:201], v[202:203], v[194:195]
	s_waitcnt vmcnt(17)
	v_add_f64 v[64:65], v[64:65], -v[108:109]
	s_waitcnt lgkmcnt(0)
	v_mul_f64 v[108:109], v[186:187], v[110:111]
	v_add_f64 v[66:67], v[66:67], -v[200:201]
	v_fma_f64 v[108:109], v[184:185], v[194:195], -v[108:109]
	v_mul_f64 v[184:185], v[184:185], v[110:111]
	ds_read2_b64 v[200:203], v196 offset0:60 offset1:61
	v_fmac_f64_e32 v[184:185], v[186:187], v[194:195]
	s_waitcnt vmcnt(16)
	v_add_f64 v[62:63], v[62:63], -v[184:185]
	ds_read2_b64 v[184:187], v196 offset0:62 offset1:63
	v_add_f64 v[60:61], v[60:61], -v[108:109]
	s_waitcnt lgkmcnt(1)
	v_mul_f64 v[108:109], v[202:203], v[110:111]
	v_fma_f64 v[108:109], v[200:201], v[194:195], -v[108:109]
	v_mul_f64 v[200:201], v[200:201], v[110:111]
	v_fmac_f64_e32 v[200:201], v[202:203], v[194:195]
	s_waitcnt vmcnt(15)
	v_add_f64 v[56:57], v[56:57], -v[108:109]
	s_waitcnt lgkmcnt(0)
	v_mul_f64 v[108:109], v[186:187], v[110:111]
	v_add_f64 v[58:59], v[58:59], -v[200:201]
	v_fma_f64 v[108:109], v[184:185], v[194:195], -v[108:109]
	v_mul_f64 v[184:185], v[184:185], v[110:111]
	ds_read2_b64 v[200:203], v196 offset0:64 offset1:65
	v_fmac_f64_e32 v[184:185], v[186:187], v[194:195]
	s_waitcnt vmcnt(14)
	v_add_f64 v[54:55], v[54:55], -v[184:185]
	ds_read2_b64 v[184:187], v196 offset0:66 offset1:67
	v_add_f64 v[52:53], v[52:53], -v[108:109]
	s_waitcnt lgkmcnt(1)
	v_mul_f64 v[108:109], v[202:203], v[110:111]
	v_fma_f64 v[108:109], v[200:201], v[194:195], -v[108:109]
	v_mul_f64 v[200:201], v[200:201], v[110:111]
	v_fmac_f64_e32 v[200:201], v[202:203], v[194:195]
	s_waitcnt vmcnt(13)
	v_add_f64 v[48:49], v[48:49], -v[108:109]
	s_waitcnt lgkmcnt(0)
	v_mul_f64 v[108:109], v[186:187], v[110:111]
	v_add_f64 v[50:51], v[50:51], -v[200:201]
	v_fma_f64 v[108:109], v[184:185], v[194:195], -v[108:109]
	v_mul_f64 v[184:185], v[184:185], v[110:111]
	ds_read2_b64 v[200:203], v196 offset0:68 offset1:69
	v_fmac_f64_e32 v[184:185], v[186:187], v[194:195]
	s_waitcnt vmcnt(12)
	v_add_f64 v[46:47], v[46:47], -v[184:185]
	ds_read2_b64 v[184:187], v196 offset0:70 offset1:71
	v_add_f64 v[44:45], v[44:45], -v[108:109]
	s_waitcnt lgkmcnt(1)
	v_mul_f64 v[108:109], v[202:203], v[110:111]
	v_fma_f64 v[108:109], v[200:201], v[194:195], -v[108:109]
	v_mul_f64 v[200:201], v[200:201], v[110:111]
	v_fmac_f64_e32 v[200:201], v[202:203], v[194:195]
	s_waitcnt vmcnt(11)
	v_add_f64 v[40:41], v[40:41], -v[108:109]
	s_waitcnt lgkmcnt(0)
	v_mul_f64 v[108:109], v[186:187], v[110:111]
	v_add_f64 v[42:43], v[42:43], -v[200:201]
	v_fma_f64 v[108:109], v[184:185], v[194:195], -v[108:109]
	v_mul_f64 v[184:185], v[184:185], v[110:111]
	ds_read2_b64 v[200:203], v196 offset0:72 offset1:73
	v_fmac_f64_e32 v[184:185], v[186:187], v[194:195]
	s_waitcnt vmcnt(10)
	v_add_f64 v[38:39], v[38:39], -v[184:185]
	ds_read2_b64 v[184:187], v196 offset0:74 offset1:75
	v_add_f64 v[36:37], v[36:37], -v[108:109]
	s_waitcnt lgkmcnt(1)
	v_mul_f64 v[108:109], v[202:203], v[110:111]
	v_fma_f64 v[108:109], v[200:201], v[194:195], -v[108:109]
	v_mul_f64 v[200:201], v[200:201], v[110:111]
	v_fmac_f64_e32 v[200:201], v[202:203], v[194:195]
	s_waitcnt vmcnt(9)
	v_add_f64 v[32:33], v[32:33], -v[108:109]
	s_waitcnt lgkmcnt(0)
	v_mul_f64 v[108:109], v[186:187], v[110:111]
	v_add_f64 v[34:35], v[34:35], -v[200:201]
	v_fma_f64 v[108:109], v[184:185], v[194:195], -v[108:109]
	v_mul_f64 v[184:185], v[184:185], v[110:111]
	ds_read2_b64 v[200:203], v196 offset0:76 offset1:77
	v_fmac_f64_e32 v[184:185], v[186:187], v[194:195]
	s_waitcnt vmcnt(8)
	v_add_f64 v[30:31], v[30:31], -v[184:185]
	ds_read2_b64 v[184:187], v196 offset0:78 offset1:79
	v_add_f64 v[28:29], v[28:29], -v[108:109]
	s_waitcnt lgkmcnt(1)
	v_mul_f64 v[108:109], v[202:203], v[110:111]
	v_fma_f64 v[108:109], v[200:201], v[194:195], -v[108:109]
	v_mul_f64 v[200:201], v[200:201], v[110:111]
	v_fmac_f64_e32 v[200:201], v[202:203], v[194:195]
	s_waitcnt vmcnt(7)
	v_add_f64 v[24:25], v[24:25], -v[108:109]
	s_waitcnt lgkmcnt(0)
	v_mul_f64 v[108:109], v[186:187], v[110:111]
	v_add_f64 v[26:27], v[26:27], -v[200:201]
	v_fma_f64 v[108:109], v[184:185], v[194:195], -v[108:109]
	v_mul_f64 v[184:185], v[184:185], v[110:111]
	ds_read2_b64 v[200:203], v196 offset0:80 offset1:81
	v_fmac_f64_e32 v[184:185], v[186:187], v[194:195]
	s_waitcnt vmcnt(6)
	v_add_f64 v[22:23], v[22:23], -v[184:185]
	ds_read2_b64 v[184:187], v196 offset0:82 offset1:83
	v_add_f64 v[20:21], v[20:21], -v[108:109]
	s_waitcnt lgkmcnt(1)
	v_mul_f64 v[108:109], v[202:203], v[110:111]
	v_fma_f64 v[108:109], v[200:201], v[194:195], -v[108:109]
	v_mul_f64 v[200:201], v[200:201], v[110:111]
	v_fmac_f64_e32 v[200:201], v[202:203], v[194:195]
	s_waitcnt vmcnt(5)
	v_add_f64 v[16:17], v[16:17], -v[108:109]
	s_waitcnt lgkmcnt(0)
	v_mul_f64 v[108:109], v[186:187], v[110:111]
	v_add_f64 v[18:19], v[18:19], -v[200:201]
	v_fma_f64 v[108:109], v[184:185], v[194:195], -v[108:109]
	v_mul_f64 v[184:185], v[184:185], v[110:111]
	ds_read2_b64 v[200:203], v196 offset0:84 offset1:85
	v_fmac_f64_e32 v[184:185], v[186:187], v[194:195]
	s_waitcnt vmcnt(4)
	v_add_f64 v[14:15], v[14:15], -v[184:185]
	ds_read2_b64 v[184:187], v196 offset0:86 offset1:87
	v_add_f64 v[12:13], v[12:13], -v[108:109]
	s_waitcnt lgkmcnt(1)
	v_mul_f64 v[108:109], v[202:203], v[110:111]
	v_fma_f64 v[108:109], v[200:201], v[194:195], -v[108:109]
	v_mul_f64 v[200:201], v[200:201], v[110:111]
	v_fmac_f64_e32 v[200:201], v[202:203], v[194:195]
	s_waitcnt vmcnt(3)
	v_add_f64 v[8:9], v[8:9], -v[108:109]
	s_waitcnt lgkmcnt(0)
	v_mul_f64 v[108:109], v[186:187], v[110:111]
	v_add_f64 v[10:11], v[10:11], -v[200:201]
	v_fma_f64 v[108:109], v[184:185], v[194:195], -v[108:109]
	v_mul_f64 v[184:185], v[184:185], v[110:111]
	ds_read2_b64 v[200:203], v196 offset0:88 offset1:89
	v_fmac_f64_e32 v[184:185], v[186:187], v[194:195]
	s_waitcnt vmcnt(2)
	v_add_f64 v[6:7], v[6:7], -v[184:185]
	ds_read2_b64 v[184:187], v196 offset0:90 offset1:91
	v_add_f64 v[4:5], v[4:5], -v[108:109]
	s_waitcnt lgkmcnt(1)
	v_mul_f64 v[108:109], v[202:203], v[110:111]
	v_fma_f64 v[108:109], v[200:201], v[194:195], -v[108:109]
	s_waitcnt vmcnt(1)
	v_add_f64 v[0:1], v[0:1], -v[108:109]
	s_waitcnt lgkmcnt(0)
	v_mul_f64 v[108:109], v[186:187], v[110:111]
	v_mul_f64 v[200:201], v[200:201], v[110:111]
	v_fma_f64 v[108:109], v[184:185], v[194:195], -v[108:109]
	v_mul_f64 v[184:185], v[184:185], v[110:111]
	v_fmac_f64_e32 v[200:201], v[202:203], v[194:195]
	v_fmac_f64_e32 v[184:185], v[186:187], v[194:195]
	v_add_f64 v[2:3], v[2:3], -v[200:201]
	s_waitcnt vmcnt(0)
	v_add_f64 v[180:181], v[180:181], -v[108:109]
	v_add_f64 v[182:183], v[182:183], -v[184:185]
	v_mov_b64_e32 v[108:109], v[194:195]
.LBB90_377:
	s_or_b64 exec, exec, s[0:1]
	v_lshl_add_u32 v184, v197, 4, v196
	s_barrier
	s_waitcnt vmcnt(27)
	ds_write2_b64 v184, v[104:105], v[106:107] offset1:1
	s_waitcnt lgkmcnt(0)
	s_barrier
	ds_read2_b64 v[184:187], v196 offset0:36 offset1:37
	s_cmp_lt_i32 s20, 20
	v_mov_b32_e32 v194, 18
	s_cbranch_scc1 .LBB90_380
; %bb.378:
	v_add_u32_e32 v195, 0x130, v196
	s_mov_b32 s16, 19
	v_mov_b32_e32 v194, 18
.LBB90_379:                             ; =>This Inner Loop Header: Depth=1
	ds_read2_b64 v[200:203], v195 offset1:1
	s_waitcnt lgkmcnt(1)
	v_xor_b32_e32 v205, 0x80000000, v185
	v_xor_b32_e32 v207, 0x80000000, v187
	v_cmp_gt_f64_e32 vcc, 0, v[186:187]
	v_cmp_gt_f64_e64 s[0:1], 0, v[184:185]
	v_mov_b32_e32 v204, v184
	v_mov_b32_e32 v206, v186
	v_cndmask_b32_e64 v205, v185, v205, s[0:1]
	v_cndmask_b32_e32 v207, v187, v207, vcc
	v_add_f64 v[204:205], v[204:205], v[206:207]
	s_waitcnt lgkmcnt(0)
	v_xor_b32_e32 v207, 0x80000000, v201
	v_xor_b32_e32 v209, 0x80000000, v203
	v_cmp_gt_f64_e32 vcc, 0, v[202:203]
	v_cmp_gt_f64_e64 s[0:1], 0, v[200:201]
	v_mov_b32_e32 v206, v200
	v_mov_b32_e32 v208, v202
	v_cndmask_b32_e64 v207, v201, v207, s[0:1]
	v_cndmask_b32_e32 v209, v203, v209, vcc
	v_add_f64 v[206:207], v[206:207], v[208:209]
	v_mov_b32_e32 v210, s16
	s_add_i32 s16, s16, 1
	v_cmp_lt_f64_e32 vcc, v[204:205], v[206:207]
	v_add_u32_e32 v195, 16, v195
	s_cmp_lg_u32 s20, s16
	v_cndmask_b32_e32 v185, v185, v201, vcc
	v_cndmask_b32_e32 v184, v184, v200, vcc
	;; [unrolled: 1-line block ×5, first 2 shown]
	s_cbranch_scc1 .LBB90_379
.LBB90_380:
	s_waitcnt lgkmcnt(0)
	v_cmp_eq_f64_e32 vcc, 0, v[184:185]
	v_cmp_eq_f64_e64 s[0:1], 0, v[186:187]
	s_and_b64 s[0:1], vcc, s[0:1]
	s_and_saveexec_b64 s[16:17], s[0:1]
	s_xor_b64 s[0:1], exec, s[16:17]
; %bb.381:
	v_cmp_ne_u32_e32 vcc, 0, v198
	s_nop 1
	v_cndmask_b32_e32 v198, 19, v198, vcc
; %bb.382:
	s_andn2_saveexec_b64 s[0:1], s[0:1]
	s_cbranch_execz .LBB90_388
; %bb.383:
	v_cmp_ngt_f64_e64 s[16:17], |v[184:185]|, |v[186:187]|
	s_and_saveexec_b64 s[18:19], s[16:17]
	s_xor_b64 s[16:17], exec, s[18:19]
	s_cbranch_execz .LBB90_385
; %bb.384:
	v_div_scale_f64 v[200:201], s[18:19], v[186:187], v[186:187], v[184:185]
	v_rcp_f64_e32 v[202:203], v[200:201]
	v_div_scale_f64 v[204:205], vcc, v[184:185], v[186:187], v[184:185]
	v_fma_f64 v[206:207], -v[200:201], v[202:203], 1.0
	v_fmac_f64_e32 v[202:203], v[202:203], v[206:207]
	v_fma_f64 v[206:207], -v[200:201], v[202:203], 1.0
	v_fmac_f64_e32 v[202:203], v[202:203], v[206:207]
	v_mul_f64 v[206:207], v[204:205], v[202:203]
	v_fma_f64 v[200:201], -v[200:201], v[206:207], v[204:205]
	v_div_fmas_f64 v[200:201], v[200:201], v[202:203], v[206:207]
	v_div_fixup_f64 v[200:201], v[200:201], v[186:187], v[184:185]
	v_fmac_f64_e32 v[186:187], v[184:185], v[200:201]
	v_div_scale_f64 v[184:185], s[18:19], v[186:187], v[186:187], 1.0
	v_rcp_f64_e32 v[202:203], v[184:185]
	s_nop 0
	v_fma_f64 v[204:205], -v[184:185], v[202:203], 1.0
	v_fmac_f64_e32 v[202:203], v[202:203], v[204:205]
	v_fma_f64 v[204:205], -v[184:185], v[202:203], 1.0
	v_fmac_f64_e32 v[202:203], v[202:203], v[204:205]
	v_div_scale_f64 v[204:205], vcc, 1.0, v[186:187], 1.0
	v_mul_f64 v[206:207], v[204:205], v[202:203]
	v_fma_f64 v[184:185], -v[184:185], v[206:207], v[204:205]
	s_nop 1
	v_div_fmas_f64 v[184:185], v[184:185], v[202:203], v[206:207]
	v_div_fixup_f64 v[186:187], v[184:185], v[186:187], 1.0
	v_mul_f64 v[184:185], v[200:201], v[186:187]
	v_xor_b32_e32 v187, 0x80000000, v187
.LBB90_385:
	s_andn2_saveexec_b64 s[16:17], s[16:17]
	s_cbranch_execz .LBB90_387
; %bb.386:
	v_div_scale_f64 v[200:201], s[18:19], v[184:185], v[184:185], v[186:187]
	v_rcp_f64_e32 v[202:203], v[200:201]
	v_div_scale_f64 v[204:205], vcc, v[186:187], v[184:185], v[186:187]
	v_fma_f64 v[206:207], -v[200:201], v[202:203], 1.0
	v_fmac_f64_e32 v[202:203], v[202:203], v[206:207]
	v_fma_f64 v[206:207], -v[200:201], v[202:203], 1.0
	v_fmac_f64_e32 v[202:203], v[202:203], v[206:207]
	v_mul_f64 v[206:207], v[204:205], v[202:203]
	v_fma_f64 v[200:201], -v[200:201], v[206:207], v[204:205]
	v_div_fmas_f64 v[200:201], v[200:201], v[202:203], v[206:207]
	v_div_fixup_f64 v[200:201], v[200:201], v[184:185], v[186:187]
	v_fmac_f64_e32 v[184:185], v[186:187], v[200:201]
	v_div_scale_f64 v[186:187], s[18:19], v[184:185], v[184:185], 1.0
	v_rcp_f64_e32 v[202:203], v[186:187]
	s_nop 0
	v_fma_f64 v[204:205], -v[186:187], v[202:203], 1.0
	v_fmac_f64_e32 v[202:203], v[202:203], v[204:205]
	v_fma_f64 v[204:205], -v[186:187], v[202:203], 1.0
	v_fmac_f64_e32 v[202:203], v[202:203], v[204:205]
	v_div_scale_f64 v[204:205], vcc, 1.0, v[184:185], 1.0
	v_mul_f64 v[206:207], v[204:205], v[202:203]
	v_fma_f64 v[186:187], -v[186:187], v[206:207], v[204:205]
	s_nop 1
	v_div_fmas_f64 v[186:187], v[186:187], v[202:203], v[206:207]
	v_div_fixup_f64 v[184:185], v[186:187], v[184:185], 1.0
	v_mul_f64 v[186:187], v[200:201], -v[184:185]
.LBB90_387:
	s_or_b64 exec, exec, s[16:17]
.LBB90_388:
	s_or_b64 exec, exec, s[0:1]
	v_cmp_ne_u32_e32 vcc, v197, v194
	s_and_saveexec_b64 s[0:1], vcc
	s_xor_b64 s[0:1], exec, s[0:1]
	s_cbranch_execz .LBB90_394
; %bb.389:
	v_cmp_eq_u32_e32 vcc, 18, v197
	s_and_saveexec_b64 s[16:17], vcc
	s_cbranch_execz .LBB90_393
; %bb.390:
	v_cmp_ne_u32_e32 vcc, 18, v194
	s_xor_b64 s[18:19], s[14:15], -1
	s_and_b64 s[22:23], s[18:19], vcc
	s_and_saveexec_b64 s[18:19], s[22:23]
	s_cbranch_execz .LBB90_392
; %bb.391:
	v_ashrrev_i32_e32 v195, 31, v194
	v_lshl_add_u64 v[200:201], v[194:195], 2, v[192:193]
	global_load_dword v195, v[200:201], off
	global_load_dword v197, v[192:193], off offset:72
	s_waitcnt vmcnt(1)
	global_store_dword v[192:193], v195, off offset:72
	s_waitcnt vmcnt(1)
	global_store_dword v[200:201], v197, off
.LBB90_392:
	s_or_b64 exec, exec, s[18:19]
	v_mov_b32_e32 v197, v194
	v_mov_b32_e32 v199, v194
.LBB90_393:
	s_or_b64 exec, exec, s[16:17]
.LBB90_394:
	s_andn2_saveexec_b64 s[0:1], s[0:1]
	s_cbranch_execz .LBB90_396
; %bb.395:
	v_mov_b32_e32 v197, 18
	s_waitcnt vmcnt(26)
	ds_write2_b64 v196, v[100:101], v[102:103] offset0:38 offset1:39
	s_waitcnt vmcnt(25)
	ds_write2_b64 v196, v[96:97], v[98:99] offset0:40 offset1:41
	;; [unrolled: 2-line block ×27, first 2 shown]
.LBB90_396:
	s_or_b64 exec, exec, s[0:1]
	v_cmp_lt_i32_e32 vcc, 18, v197
	s_waitcnt lgkmcnt(0)
	s_barrier
	s_and_saveexec_b64 s[0:1], vcc
	s_cbranch_execz .LBB90_398
; %bb.397:
	ds_read2_b64 v[200:203], v196 offset0:38 offset1:39
	v_mul_f64 v[194:195], v[186:187], v[106:107]
	v_mul_f64 v[106:107], v[184:185], v[106:107]
	v_fmac_f64_e32 v[106:107], v[186:187], v[104:105]
	v_fma_f64 v[194:195], v[184:185], v[104:105], -v[194:195]
	ds_read2_b64 v[184:187], v196 offset0:40 offset1:41
	s_waitcnt lgkmcnt(1)
	v_mul_f64 v[104:105], v[202:203], v[106:107]
	v_fma_f64 v[104:105], v[200:201], v[194:195], -v[104:105]
	v_mul_f64 v[200:201], v[200:201], v[106:107]
	v_fmac_f64_e32 v[200:201], v[202:203], v[194:195]
	s_waitcnt vmcnt(26)
	v_add_f64 v[102:103], v[102:103], -v[200:201]
	ds_read2_b64 v[200:203], v196 offset0:42 offset1:43
	v_add_f64 v[100:101], v[100:101], -v[104:105]
	s_waitcnt lgkmcnt(1)
	v_mul_f64 v[104:105], v[186:187], v[106:107]
	v_fma_f64 v[104:105], v[184:185], v[194:195], -v[104:105]
	v_mul_f64 v[184:185], v[184:185], v[106:107]
	v_fmac_f64_e32 v[184:185], v[186:187], v[194:195]
	s_waitcnt vmcnt(25)
	v_add_f64 v[96:97], v[96:97], -v[104:105]
	v_add_f64 v[98:99], v[98:99], -v[184:185]
	ds_read2_b64 v[184:187], v196 offset0:44 offset1:45
	s_waitcnt lgkmcnt(1)
	v_mul_f64 v[104:105], v[202:203], v[106:107]
	v_fma_f64 v[104:105], v[200:201], v[194:195], -v[104:105]
	v_mul_f64 v[200:201], v[200:201], v[106:107]
	v_fmac_f64_e32 v[200:201], v[202:203], v[194:195]
	s_waitcnt vmcnt(24)
	v_add_f64 v[94:95], v[94:95], -v[200:201]
	ds_read2_b64 v[200:203], v196 offset0:46 offset1:47
	v_add_f64 v[92:93], v[92:93], -v[104:105]
	s_waitcnt lgkmcnt(1)
	v_mul_f64 v[104:105], v[186:187], v[106:107]
	v_fma_f64 v[104:105], v[184:185], v[194:195], -v[104:105]
	v_mul_f64 v[184:185], v[184:185], v[106:107]
	v_fmac_f64_e32 v[184:185], v[186:187], v[194:195]
	s_waitcnt vmcnt(23)
	v_add_f64 v[88:89], v[88:89], -v[104:105]
	v_add_f64 v[90:91], v[90:91], -v[184:185]
	;; [unrolled: 18-line block ×13, first 2 shown]
	s_waitcnt lgkmcnt(0)
	v_mul_f64 v[104:105], v[202:203], v[106:107]
	v_mul_f64 v[184:185], v[200:201], v[106:107]
	v_fma_f64 v[104:105], v[200:201], v[194:195], -v[104:105]
	v_fmac_f64_e32 v[184:185], v[202:203], v[194:195]
	s_waitcnt vmcnt(0)
	v_add_f64 v[180:181], v[180:181], -v[104:105]
	v_add_f64 v[182:183], v[182:183], -v[184:185]
	v_mov_b64_e32 v[104:105], v[194:195]
.LBB90_398:
	s_or_b64 exec, exec, s[0:1]
	v_lshl_add_u32 v184, v197, 4, v196
	s_barrier
	s_waitcnt vmcnt(26)
	ds_write2_b64 v184, v[100:101], v[102:103] offset1:1
	s_waitcnt lgkmcnt(0)
	s_barrier
	ds_read2_b64 v[184:187], v196 offset0:38 offset1:39
	s_cmp_lt_i32 s20, 21
	v_mov_b32_e32 v194, 19
	s_cbranch_scc1 .LBB90_401
; %bb.399:
	v_add_u32_e32 v195, 0x140, v196
	s_mov_b32 s16, 20
	v_mov_b32_e32 v194, 19
.LBB90_400:                             ; =>This Inner Loop Header: Depth=1
	ds_read2_b64 v[200:203], v195 offset1:1
	s_waitcnt lgkmcnt(1)
	v_xor_b32_e32 v205, 0x80000000, v185
	v_xor_b32_e32 v207, 0x80000000, v187
	v_cmp_gt_f64_e32 vcc, 0, v[186:187]
	v_cmp_gt_f64_e64 s[0:1], 0, v[184:185]
	v_mov_b32_e32 v204, v184
	v_mov_b32_e32 v206, v186
	v_cndmask_b32_e64 v205, v185, v205, s[0:1]
	v_cndmask_b32_e32 v207, v187, v207, vcc
	v_add_f64 v[204:205], v[204:205], v[206:207]
	s_waitcnt lgkmcnt(0)
	v_xor_b32_e32 v207, 0x80000000, v201
	v_xor_b32_e32 v209, 0x80000000, v203
	v_cmp_gt_f64_e32 vcc, 0, v[202:203]
	v_cmp_gt_f64_e64 s[0:1], 0, v[200:201]
	v_mov_b32_e32 v206, v200
	v_mov_b32_e32 v208, v202
	v_cndmask_b32_e64 v207, v201, v207, s[0:1]
	v_cndmask_b32_e32 v209, v203, v209, vcc
	v_add_f64 v[206:207], v[206:207], v[208:209]
	v_mov_b32_e32 v210, s16
	s_add_i32 s16, s16, 1
	v_cmp_lt_f64_e32 vcc, v[204:205], v[206:207]
	v_add_u32_e32 v195, 16, v195
	s_cmp_lg_u32 s20, s16
	v_cndmask_b32_e32 v185, v185, v201, vcc
	v_cndmask_b32_e32 v184, v184, v200, vcc
	;; [unrolled: 1-line block ×5, first 2 shown]
	s_cbranch_scc1 .LBB90_400
.LBB90_401:
	s_waitcnt lgkmcnt(0)
	v_cmp_eq_f64_e32 vcc, 0, v[184:185]
	v_cmp_eq_f64_e64 s[0:1], 0, v[186:187]
	s_and_b64 s[0:1], vcc, s[0:1]
	s_and_saveexec_b64 s[16:17], s[0:1]
	s_xor_b64 s[0:1], exec, s[16:17]
; %bb.402:
	v_cmp_ne_u32_e32 vcc, 0, v198
	s_nop 1
	v_cndmask_b32_e32 v198, 20, v198, vcc
; %bb.403:
	s_andn2_saveexec_b64 s[0:1], s[0:1]
	s_cbranch_execz .LBB90_409
; %bb.404:
	v_cmp_ngt_f64_e64 s[16:17], |v[184:185]|, |v[186:187]|
	s_and_saveexec_b64 s[18:19], s[16:17]
	s_xor_b64 s[16:17], exec, s[18:19]
	s_cbranch_execz .LBB90_406
; %bb.405:
	v_div_scale_f64 v[200:201], s[18:19], v[186:187], v[186:187], v[184:185]
	v_rcp_f64_e32 v[202:203], v[200:201]
	v_div_scale_f64 v[204:205], vcc, v[184:185], v[186:187], v[184:185]
	v_fma_f64 v[206:207], -v[200:201], v[202:203], 1.0
	v_fmac_f64_e32 v[202:203], v[202:203], v[206:207]
	v_fma_f64 v[206:207], -v[200:201], v[202:203], 1.0
	v_fmac_f64_e32 v[202:203], v[202:203], v[206:207]
	v_mul_f64 v[206:207], v[204:205], v[202:203]
	v_fma_f64 v[200:201], -v[200:201], v[206:207], v[204:205]
	v_div_fmas_f64 v[200:201], v[200:201], v[202:203], v[206:207]
	v_div_fixup_f64 v[200:201], v[200:201], v[186:187], v[184:185]
	v_fmac_f64_e32 v[186:187], v[184:185], v[200:201]
	v_div_scale_f64 v[184:185], s[18:19], v[186:187], v[186:187], 1.0
	v_rcp_f64_e32 v[202:203], v[184:185]
	s_nop 0
	v_fma_f64 v[204:205], -v[184:185], v[202:203], 1.0
	v_fmac_f64_e32 v[202:203], v[202:203], v[204:205]
	v_fma_f64 v[204:205], -v[184:185], v[202:203], 1.0
	v_fmac_f64_e32 v[202:203], v[202:203], v[204:205]
	v_div_scale_f64 v[204:205], vcc, 1.0, v[186:187], 1.0
	v_mul_f64 v[206:207], v[204:205], v[202:203]
	v_fma_f64 v[184:185], -v[184:185], v[206:207], v[204:205]
	s_nop 1
	v_div_fmas_f64 v[184:185], v[184:185], v[202:203], v[206:207]
	v_div_fixup_f64 v[186:187], v[184:185], v[186:187], 1.0
	v_mul_f64 v[184:185], v[200:201], v[186:187]
	v_xor_b32_e32 v187, 0x80000000, v187
.LBB90_406:
	s_andn2_saveexec_b64 s[16:17], s[16:17]
	s_cbranch_execz .LBB90_408
; %bb.407:
	v_div_scale_f64 v[200:201], s[18:19], v[184:185], v[184:185], v[186:187]
	v_rcp_f64_e32 v[202:203], v[200:201]
	v_div_scale_f64 v[204:205], vcc, v[186:187], v[184:185], v[186:187]
	v_fma_f64 v[206:207], -v[200:201], v[202:203], 1.0
	v_fmac_f64_e32 v[202:203], v[202:203], v[206:207]
	v_fma_f64 v[206:207], -v[200:201], v[202:203], 1.0
	v_fmac_f64_e32 v[202:203], v[202:203], v[206:207]
	v_mul_f64 v[206:207], v[204:205], v[202:203]
	v_fma_f64 v[200:201], -v[200:201], v[206:207], v[204:205]
	v_div_fmas_f64 v[200:201], v[200:201], v[202:203], v[206:207]
	v_div_fixup_f64 v[200:201], v[200:201], v[184:185], v[186:187]
	v_fmac_f64_e32 v[184:185], v[186:187], v[200:201]
	v_div_scale_f64 v[186:187], s[18:19], v[184:185], v[184:185], 1.0
	v_rcp_f64_e32 v[202:203], v[186:187]
	s_nop 0
	v_fma_f64 v[204:205], -v[186:187], v[202:203], 1.0
	v_fmac_f64_e32 v[202:203], v[202:203], v[204:205]
	v_fma_f64 v[204:205], -v[186:187], v[202:203], 1.0
	v_fmac_f64_e32 v[202:203], v[202:203], v[204:205]
	v_div_scale_f64 v[204:205], vcc, 1.0, v[184:185], 1.0
	v_mul_f64 v[206:207], v[204:205], v[202:203]
	v_fma_f64 v[186:187], -v[186:187], v[206:207], v[204:205]
	s_nop 1
	v_div_fmas_f64 v[186:187], v[186:187], v[202:203], v[206:207]
	v_div_fixup_f64 v[184:185], v[186:187], v[184:185], 1.0
	v_mul_f64 v[186:187], v[200:201], -v[184:185]
.LBB90_408:
	s_or_b64 exec, exec, s[16:17]
.LBB90_409:
	s_or_b64 exec, exec, s[0:1]
	v_cmp_ne_u32_e32 vcc, v197, v194
	s_and_saveexec_b64 s[0:1], vcc
	s_xor_b64 s[0:1], exec, s[0:1]
	s_cbranch_execz .LBB90_415
; %bb.410:
	v_cmp_eq_u32_e32 vcc, 19, v197
	s_and_saveexec_b64 s[16:17], vcc
	s_cbranch_execz .LBB90_414
; %bb.411:
	v_cmp_ne_u32_e32 vcc, 19, v194
	s_xor_b64 s[18:19], s[14:15], -1
	s_and_b64 s[22:23], s[18:19], vcc
	s_and_saveexec_b64 s[18:19], s[22:23]
	s_cbranch_execz .LBB90_413
; %bb.412:
	v_ashrrev_i32_e32 v195, 31, v194
	v_lshl_add_u64 v[200:201], v[194:195], 2, v[192:193]
	global_load_dword v195, v[200:201], off
	global_load_dword v197, v[192:193], off offset:76
	s_waitcnt vmcnt(1)
	global_store_dword v[192:193], v195, off offset:76
	s_waitcnt vmcnt(1)
	global_store_dword v[200:201], v197, off
.LBB90_413:
	s_or_b64 exec, exec, s[18:19]
	v_mov_b32_e32 v197, v194
	v_mov_b32_e32 v199, v194
.LBB90_414:
	s_or_b64 exec, exec, s[16:17]
.LBB90_415:
	s_andn2_saveexec_b64 s[0:1], s[0:1]
	s_cbranch_execz .LBB90_417
; %bb.416:
	v_mov_b32_e32 v197, 19
	s_waitcnt vmcnt(25)
	ds_write2_b64 v196, v[96:97], v[98:99] offset0:40 offset1:41
	s_waitcnt vmcnt(24)
	ds_write2_b64 v196, v[92:93], v[94:95] offset0:42 offset1:43
	;; [unrolled: 2-line block ×26, first 2 shown]
.LBB90_417:
	s_or_b64 exec, exec, s[0:1]
	v_cmp_lt_i32_e32 vcc, 19, v197
	s_waitcnt lgkmcnt(0)
	s_barrier
	s_and_saveexec_b64 s[0:1], vcc
	s_cbranch_execz .LBB90_419
; %bb.418:
	ds_read2_b64 v[200:203], v196 offset0:40 offset1:41
	v_mul_f64 v[194:195], v[186:187], v[102:103]
	v_mul_f64 v[102:103], v[184:185], v[102:103]
	v_fma_f64 v[194:195], v[184:185], v[100:101], -v[194:195]
	v_fmac_f64_e32 v[102:103], v[186:187], v[100:101]
	ds_read2_b64 v[184:187], v196 offset0:42 offset1:43
	s_waitcnt lgkmcnt(1)
	v_mul_f64 v[100:101], v[202:203], v[102:103]
	v_fma_f64 v[100:101], v[200:201], v[194:195], -v[100:101]
	v_mul_f64 v[200:201], v[200:201], v[102:103]
	v_fmac_f64_e32 v[200:201], v[202:203], v[194:195]
	s_waitcnt vmcnt(25)
	v_add_f64 v[96:97], v[96:97], -v[100:101]
	s_waitcnt lgkmcnt(0)
	v_mul_f64 v[100:101], v[186:187], v[102:103]
	v_add_f64 v[98:99], v[98:99], -v[200:201]
	v_fma_f64 v[100:101], v[184:185], v[194:195], -v[100:101]
	v_mul_f64 v[184:185], v[184:185], v[102:103]
	ds_read2_b64 v[200:203], v196 offset0:44 offset1:45
	v_fmac_f64_e32 v[184:185], v[186:187], v[194:195]
	s_waitcnt vmcnt(24)
	v_add_f64 v[94:95], v[94:95], -v[184:185]
	ds_read2_b64 v[184:187], v196 offset0:46 offset1:47
	v_add_f64 v[92:93], v[92:93], -v[100:101]
	s_waitcnt lgkmcnt(1)
	v_mul_f64 v[100:101], v[202:203], v[102:103]
	v_fma_f64 v[100:101], v[200:201], v[194:195], -v[100:101]
	v_mul_f64 v[200:201], v[200:201], v[102:103]
	v_fmac_f64_e32 v[200:201], v[202:203], v[194:195]
	s_waitcnt vmcnt(23)
	v_add_f64 v[88:89], v[88:89], -v[100:101]
	s_waitcnt lgkmcnt(0)
	v_mul_f64 v[100:101], v[186:187], v[102:103]
	v_add_f64 v[90:91], v[90:91], -v[200:201]
	v_fma_f64 v[100:101], v[184:185], v[194:195], -v[100:101]
	v_mul_f64 v[184:185], v[184:185], v[102:103]
	ds_read2_b64 v[200:203], v196 offset0:48 offset1:49
	v_fmac_f64_e32 v[184:185], v[186:187], v[194:195]
	s_waitcnt vmcnt(22)
	v_add_f64 v[86:87], v[86:87], -v[184:185]
	ds_read2_b64 v[184:187], v196 offset0:50 offset1:51
	v_add_f64 v[84:85], v[84:85], -v[100:101]
	;; [unrolled: 18-line block ×12, first 2 shown]
	s_waitcnt lgkmcnt(1)
	v_mul_f64 v[100:101], v[202:203], v[102:103]
	v_fma_f64 v[100:101], v[200:201], v[194:195], -v[100:101]
	s_waitcnt vmcnt(1)
	v_add_f64 v[0:1], v[0:1], -v[100:101]
	s_waitcnt lgkmcnt(0)
	v_mul_f64 v[100:101], v[186:187], v[102:103]
	v_mul_f64 v[200:201], v[200:201], v[102:103]
	v_fma_f64 v[100:101], v[184:185], v[194:195], -v[100:101]
	v_mul_f64 v[184:185], v[184:185], v[102:103]
	v_fmac_f64_e32 v[200:201], v[202:203], v[194:195]
	v_fmac_f64_e32 v[184:185], v[186:187], v[194:195]
	v_add_f64 v[2:3], v[2:3], -v[200:201]
	s_waitcnt vmcnt(0)
	v_add_f64 v[180:181], v[180:181], -v[100:101]
	v_add_f64 v[182:183], v[182:183], -v[184:185]
	v_mov_b64_e32 v[100:101], v[194:195]
.LBB90_419:
	s_or_b64 exec, exec, s[0:1]
	v_lshl_add_u32 v184, v197, 4, v196
	s_barrier
	s_waitcnt vmcnt(25)
	ds_write2_b64 v184, v[96:97], v[98:99] offset1:1
	s_waitcnt lgkmcnt(0)
	s_barrier
	ds_read2_b64 v[184:187], v196 offset0:40 offset1:41
	s_cmp_lt_i32 s20, 22
	v_mov_b32_e32 v194, 20
	s_cbranch_scc1 .LBB90_422
; %bb.420:
	v_add_u32_e32 v195, 0x150, v196
	s_mov_b32 s16, 21
	v_mov_b32_e32 v194, 20
.LBB90_421:                             ; =>This Inner Loop Header: Depth=1
	ds_read2_b64 v[200:203], v195 offset1:1
	s_waitcnt lgkmcnt(1)
	v_xor_b32_e32 v205, 0x80000000, v185
	v_xor_b32_e32 v207, 0x80000000, v187
	v_cmp_gt_f64_e32 vcc, 0, v[186:187]
	v_cmp_gt_f64_e64 s[0:1], 0, v[184:185]
	v_mov_b32_e32 v204, v184
	v_mov_b32_e32 v206, v186
	v_cndmask_b32_e64 v205, v185, v205, s[0:1]
	v_cndmask_b32_e32 v207, v187, v207, vcc
	v_add_f64 v[204:205], v[204:205], v[206:207]
	s_waitcnt lgkmcnt(0)
	v_xor_b32_e32 v207, 0x80000000, v201
	v_xor_b32_e32 v209, 0x80000000, v203
	v_cmp_gt_f64_e32 vcc, 0, v[202:203]
	v_cmp_gt_f64_e64 s[0:1], 0, v[200:201]
	v_mov_b32_e32 v206, v200
	v_mov_b32_e32 v208, v202
	v_cndmask_b32_e64 v207, v201, v207, s[0:1]
	v_cndmask_b32_e32 v209, v203, v209, vcc
	v_add_f64 v[206:207], v[206:207], v[208:209]
	v_mov_b32_e32 v210, s16
	s_add_i32 s16, s16, 1
	v_cmp_lt_f64_e32 vcc, v[204:205], v[206:207]
	v_add_u32_e32 v195, 16, v195
	s_cmp_lg_u32 s20, s16
	v_cndmask_b32_e32 v185, v185, v201, vcc
	v_cndmask_b32_e32 v184, v184, v200, vcc
	;; [unrolled: 1-line block ×5, first 2 shown]
	s_cbranch_scc1 .LBB90_421
.LBB90_422:
	s_waitcnt lgkmcnt(0)
	v_cmp_eq_f64_e32 vcc, 0, v[184:185]
	v_cmp_eq_f64_e64 s[0:1], 0, v[186:187]
	s_and_b64 s[0:1], vcc, s[0:1]
	s_and_saveexec_b64 s[16:17], s[0:1]
	s_xor_b64 s[0:1], exec, s[16:17]
; %bb.423:
	v_cmp_ne_u32_e32 vcc, 0, v198
	s_nop 1
	v_cndmask_b32_e32 v198, 21, v198, vcc
; %bb.424:
	s_andn2_saveexec_b64 s[0:1], s[0:1]
	s_cbranch_execz .LBB90_430
; %bb.425:
	v_cmp_ngt_f64_e64 s[16:17], |v[184:185]|, |v[186:187]|
	s_and_saveexec_b64 s[18:19], s[16:17]
	s_xor_b64 s[16:17], exec, s[18:19]
	s_cbranch_execz .LBB90_427
; %bb.426:
	v_div_scale_f64 v[200:201], s[18:19], v[186:187], v[186:187], v[184:185]
	v_rcp_f64_e32 v[202:203], v[200:201]
	v_div_scale_f64 v[204:205], vcc, v[184:185], v[186:187], v[184:185]
	v_fma_f64 v[206:207], -v[200:201], v[202:203], 1.0
	v_fmac_f64_e32 v[202:203], v[202:203], v[206:207]
	v_fma_f64 v[206:207], -v[200:201], v[202:203], 1.0
	v_fmac_f64_e32 v[202:203], v[202:203], v[206:207]
	v_mul_f64 v[206:207], v[204:205], v[202:203]
	v_fma_f64 v[200:201], -v[200:201], v[206:207], v[204:205]
	v_div_fmas_f64 v[200:201], v[200:201], v[202:203], v[206:207]
	v_div_fixup_f64 v[200:201], v[200:201], v[186:187], v[184:185]
	v_fmac_f64_e32 v[186:187], v[184:185], v[200:201]
	v_div_scale_f64 v[184:185], s[18:19], v[186:187], v[186:187], 1.0
	v_rcp_f64_e32 v[202:203], v[184:185]
	s_nop 0
	v_fma_f64 v[204:205], -v[184:185], v[202:203], 1.0
	v_fmac_f64_e32 v[202:203], v[202:203], v[204:205]
	v_fma_f64 v[204:205], -v[184:185], v[202:203], 1.0
	v_fmac_f64_e32 v[202:203], v[202:203], v[204:205]
	v_div_scale_f64 v[204:205], vcc, 1.0, v[186:187], 1.0
	v_mul_f64 v[206:207], v[204:205], v[202:203]
	v_fma_f64 v[184:185], -v[184:185], v[206:207], v[204:205]
	s_nop 1
	v_div_fmas_f64 v[184:185], v[184:185], v[202:203], v[206:207]
	v_div_fixup_f64 v[186:187], v[184:185], v[186:187], 1.0
	v_mul_f64 v[184:185], v[200:201], v[186:187]
	v_xor_b32_e32 v187, 0x80000000, v187
.LBB90_427:
	s_andn2_saveexec_b64 s[16:17], s[16:17]
	s_cbranch_execz .LBB90_429
; %bb.428:
	v_div_scale_f64 v[200:201], s[18:19], v[184:185], v[184:185], v[186:187]
	v_rcp_f64_e32 v[202:203], v[200:201]
	v_div_scale_f64 v[204:205], vcc, v[186:187], v[184:185], v[186:187]
	v_fma_f64 v[206:207], -v[200:201], v[202:203], 1.0
	v_fmac_f64_e32 v[202:203], v[202:203], v[206:207]
	v_fma_f64 v[206:207], -v[200:201], v[202:203], 1.0
	v_fmac_f64_e32 v[202:203], v[202:203], v[206:207]
	v_mul_f64 v[206:207], v[204:205], v[202:203]
	v_fma_f64 v[200:201], -v[200:201], v[206:207], v[204:205]
	v_div_fmas_f64 v[200:201], v[200:201], v[202:203], v[206:207]
	v_div_fixup_f64 v[200:201], v[200:201], v[184:185], v[186:187]
	v_fmac_f64_e32 v[184:185], v[186:187], v[200:201]
	v_div_scale_f64 v[186:187], s[18:19], v[184:185], v[184:185], 1.0
	v_rcp_f64_e32 v[202:203], v[186:187]
	s_nop 0
	v_fma_f64 v[204:205], -v[186:187], v[202:203], 1.0
	v_fmac_f64_e32 v[202:203], v[202:203], v[204:205]
	v_fma_f64 v[204:205], -v[186:187], v[202:203], 1.0
	v_fmac_f64_e32 v[202:203], v[202:203], v[204:205]
	v_div_scale_f64 v[204:205], vcc, 1.0, v[184:185], 1.0
	v_mul_f64 v[206:207], v[204:205], v[202:203]
	v_fma_f64 v[186:187], -v[186:187], v[206:207], v[204:205]
	s_nop 1
	v_div_fmas_f64 v[186:187], v[186:187], v[202:203], v[206:207]
	v_div_fixup_f64 v[184:185], v[186:187], v[184:185], 1.0
	v_mul_f64 v[186:187], v[200:201], -v[184:185]
.LBB90_429:
	s_or_b64 exec, exec, s[16:17]
.LBB90_430:
	s_or_b64 exec, exec, s[0:1]
	v_cmp_ne_u32_e32 vcc, v197, v194
	s_and_saveexec_b64 s[0:1], vcc
	s_xor_b64 s[0:1], exec, s[0:1]
	s_cbranch_execz .LBB90_436
; %bb.431:
	v_cmp_eq_u32_e32 vcc, 20, v197
	s_and_saveexec_b64 s[16:17], vcc
	s_cbranch_execz .LBB90_435
; %bb.432:
	v_cmp_ne_u32_e32 vcc, 20, v194
	s_xor_b64 s[18:19], s[14:15], -1
	s_and_b64 s[22:23], s[18:19], vcc
	s_and_saveexec_b64 s[18:19], s[22:23]
	s_cbranch_execz .LBB90_434
; %bb.433:
	v_ashrrev_i32_e32 v195, 31, v194
	v_lshl_add_u64 v[200:201], v[194:195], 2, v[192:193]
	global_load_dword v195, v[200:201], off
	global_load_dword v197, v[192:193], off offset:80
	s_waitcnt vmcnt(1)
	global_store_dword v[192:193], v195, off offset:80
	s_waitcnt vmcnt(1)
	global_store_dword v[200:201], v197, off
.LBB90_434:
	s_or_b64 exec, exec, s[18:19]
	v_mov_b32_e32 v197, v194
	v_mov_b32_e32 v199, v194
.LBB90_435:
	s_or_b64 exec, exec, s[16:17]
.LBB90_436:
	s_andn2_saveexec_b64 s[0:1], s[0:1]
	s_cbranch_execz .LBB90_438
; %bb.437:
	v_mov_b32_e32 v197, 20
	s_waitcnt vmcnt(24)
	ds_write2_b64 v196, v[92:93], v[94:95] offset0:42 offset1:43
	s_waitcnt vmcnt(23)
	ds_write2_b64 v196, v[88:89], v[90:91] offset0:44 offset1:45
	;; [unrolled: 2-line block ×25, first 2 shown]
.LBB90_438:
	s_or_b64 exec, exec, s[0:1]
	v_cmp_lt_i32_e32 vcc, 20, v197
	s_waitcnt lgkmcnt(0)
	s_barrier
	s_and_saveexec_b64 s[0:1], vcc
	s_cbranch_execz .LBB90_440
; %bb.439:
	ds_read2_b64 v[200:203], v196 offset0:42 offset1:43
	v_mul_f64 v[194:195], v[186:187], v[98:99]
	v_mul_f64 v[98:99], v[184:185], v[98:99]
	v_fmac_f64_e32 v[98:99], v[186:187], v[96:97]
	v_fma_f64 v[194:195], v[184:185], v[96:97], -v[194:195]
	ds_read2_b64 v[184:187], v196 offset0:44 offset1:45
	s_waitcnt lgkmcnt(1)
	v_mul_f64 v[96:97], v[202:203], v[98:99]
	v_fma_f64 v[96:97], v[200:201], v[194:195], -v[96:97]
	v_mul_f64 v[200:201], v[200:201], v[98:99]
	v_fmac_f64_e32 v[200:201], v[202:203], v[194:195]
	s_waitcnt vmcnt(24)
	v_add_f64 v[94:95], v[94:95], -v[200:201]
	ds_read2_b64 v[200:203], v196 offset0:46 offset1:47
	v_add_f64 v[92:93], v[92:93], -v[96:97]
	s_waitcnt lgkmcnt(1)
	v_mul_f64 v[96:97], v[186:187], v[98:99]
	v_fma_f64 v[96:97], v[184:185], v[194:195], -v[96:97]
	v_mul_f64 v[184:185], v[184:185], v[98:99]
	v_fmac_f64_e32 v[184:185], v[186:187], v[194:195]
	s_waitcnt vmcnt(23)
	v_add_f64 v[88:89], v[88:89], -v[96:97]
	v_add_f64 v[90:91], v[90:91], -v[184:185]
	ds_read2_b64 v[184:187], v196 offset0:48 offset1:49
	s_waitcnt lgkmcnt(1)
	v_mul_f64 v[96:97], v[202:203], v[98:99]
	v_fma_f64 v[96:97], v[200:201], v[194:195], -v[96:97]
	v_mul_f64 v[200:201], v[200:201], v[98:99]
	v_fmac_f64_e32 v[200:201], v[202:203], v[194:195]
	s_waitcnt vmcnt(22)
	v_add_f64 v[86:87], v[86:87], -v[200:201]
	ds_read2_b64 v[200:203], v196 offset0:50 offset1:51
	v_add_f64 v[84:85], v[84:85], -v[96:97]
	s_waitcnt lgkmcnt(1)
	v_mul_f64 v[96:97], v[186:187], v[98:99]
	v_fma_f64 v[96:97], v[184:185], v[194:195], -v[96:97]
	v_mul_f64 v[184:185], v[184:185], v[98:99]
	v_fmac_f64_e32 v[184:185], v[186:187], v[194:195]
	s_waitcnt vmcnt(21)
	v_add_f64 v[80:81], v[80:81], -v[96:97]
	v_add_f64 v[82:83], v[82:83], -v[184:185]
	;; [unrolled: 18-line block ×12, first 2 shown]
	s_waitcnt lgkmcnt(0)
	v_mul_f64 v[96:97], v[202:203], v[98:99]
	v_mul_f64 v[184:185], v[200:201], v[98:99]
	v_fma_f64 v[96:97], v[200:201], v[194:195], -v[96:97]
	v_fmac_f64_e32 v[184:185], v[202:203], v[194:195]
	s_waitcnt vmcnt(0)
	v_add_f64 v[180:181], v[180:181], -v[96:97]
	v_add_f64 v[182:183], v[182:183], -v[184:185]
	v_mov_b64_e32 v[96:97], v[194:195]
.LBB90_440:
	s_or_b64 exec, exec, s[0:1]
	v_lshl_add_u32 v184, v197, 4, v196
	s_barrier
	s_waitcnt vmcnt(24)
	ds_write2_b64 v184, v[92:93], v[94:95] offset1:1
	s_waitcnt lgkmcnt(0)
	s_barrier
	ds_read2_b64 v[184:187], v196 offset0:42 offset1:43
	s_cmp_lt_i32 s20, 23
	v_mov_b32_e32 v194, 21
	s_cbranch_scc1 .LBB90_443
; %bb.441:
	v_add_u32_e32 v195, 0x160, v196
	s_mov_b32 s16, 22
	v_mov_b32_e32 v194, 21
.LBB90_442:                             ; =>This Inner Loop Header: Depth=1
	ds_read2_b64 v[200:203], v195 offset1:1
	s_waitcnt lgkmcnt(1)
	v_xor_b32_e32 v205, 0x80000000, v185
	v_xor_b32_e32 v207, 0x80000000, v187
	v_cmp_gt_f64_e32 vcc, 0, v[186:187]
	v_cmp_gt_f64_e64 s[0:1], 0, v[184:185]
	v_mov_b32_e32 v204, v184
	v_mov_b32_e32 v206, v186
	v_cndmask_b32_e64 v205, v185, v205, s[0:1]
	v_cndmask_b32_e32 v207, v187, v207, vcc
	v_add_f64 v[204:205], v[204:205], v[206:207]
	s_waitcnt lgkmcnt(0)
	v_xor_b32_e32 v207, 0x80000000, v201
	v_xor_b32_e32 v209, 0x80000000, v203
	v_cmp_gt_f64_e32 vcc, 0, v[202:203]
	v_cmp_gt_f64_e64 s[0:1], 0, v[200:201]
	v_mov_b32_e32 v206, v200
	v_mov_b32_e32 v208, v202
	v_cndmask_b32_e64 v207, v201, v207, s[0:1]
	v_cndmask_b32_e32 v209, v203, v209, vcc
	v_add_f64 v[206:207], v[206:207], v[208:209]
	v_mov_b32_e32 v210, s16
	s_add_i32 s16, s16, 1
	v_cmp_lt_f64_e32 vcc, v[204:205], v[206:207]
	v_add_u32_e32 v195, 16, v195
	s_cmp_lg_u32 s20, s16
	v_cndmask_b32_e32 v185, v185, v201, vcc
	v_cndmask_b32_e32 v184, v184, v200, vcc
	;; [unrolled: 1-line block ×5, first 2 shown]
	s_cbranch_scc1 .LBB90_442
.LBB90_443:
	s_waitcnt lgkmcnt(0)
	v_cmp_eq_f64_e32 vcc, 0, v[184:185]
	v_cmp_eq_f64_e64 s[0:1], 0, v[186:187]
	s_and_b64 s[0:1], vcc, s[0:1]
	s_and_saveexec_b64 s[16:17], s[0:1]
	s_xor_b64 s[0:1], exec, s[16:17]
; %bb.444:
	v_cmp_ne_u32_e32 vcc, 0, v198
	s_nop 1
	v_cndmask_b32_e32 v198, 22, v198, vcc
; %bb.445:
	s_andn2_saveexec_b64 s[0:1], s[0:1]
	s_cbranch_execz .LBB90_451
; %bb.446:
	v_cmp_ngt_f64_e64 s[16:17], |v[184:185]|, |v[186:187]|
	s_and_saveexec_b64 s[18:19], s[16:17]
	s_xor_b64 s[16:17], exec, s[18:19]
	s_cbranch_execz .LBB90_448
; %bb.447:
	v_div_scale_f64 v[200:201], s[18:19], v[186:187], v[186:187], v[184:185]
	v_rcp_f64_e32 v[202:203], v[200:201]
	v_div_scale_f64 v[204:205], vcc, v[184:185], v[186:187], v[184:185]
	v_fma_f64 v[206:207], -v[200:201], v[202:203], 1.0
	v_fmac_f64_e32 v[202:203], v[202:203], v[206:207]
	v_fma_f64 v[206:207], -v[200:201], v[202:203], 1.0
	v_fmac_f64_e32 v[202:203], v[202:203], v[206:207]
	v_mul_f64 v[206:207], v[204:205], v[202:203]
	v_fma_f64 v[200:201], -v[200:201], v[206:207], v[204:205]
	v_div_fmas_f64 v[200:201], v[200:201], v[202:203], v[206:207]
	v_div_fixup_f64 v[200:201], v[200:201], v[186:187], v[184:185]
	v_fmac_f64_e32 v[186:187], v[184:185], v[200:201]
	v_div_scale_f64 v[184:185], s[18:19], v[186:187], v[186:187], 1.0
	v_rcp_f64_e32 v[202:203], v[184:185]
	s_nop 0
	v_fma_f64 v[204:205], -v[184:185], v[202:203], 1.0
	v_fmac_f64_e32 v[202:203], v[202:203], v[204:205]
	v_fma_f64 v[204:205], -v[184:185], v[202:203], 1.0
	v_fmac_f64_e32 v[202:203], v[202:203], v[204:205]
	v_div_scale_f64 v[204:205], vcc, 1.0, v[186:187], 1.0
	v_mul_f64 v[206:207], v[204:205], v[202:203]
	v_fma_f64 v[184:185], -v[184:185], v[206:207], v[204:205]
	s_nop 1
	v_div_fmas_f64 v[184:185], v[184:185], v[202:203], v[206:207]
	v_div_fixup_f64 v[186:187], v[184:185], v[186:187], 1.0
	v_mul_f64 v[184:185], v[200:201], v[186:187]
	v_xor_b32_e32 v187, 0x80000000, v187
.LBB90_448:
	s_andn2_saveexec_b64 s[16:17], s[16:17]
	s_cbranch_execz .LBB90_450
; %bb.449:
	v_div_scale_f64 v[200:201], s[18:19], v[184:185], v[184:185], v[186:187]
	v_rcp_f64_e32 v[202:203], v[200:201]
	v_div_scale_f64 v[204:205], vcc, v[186:187], v[184:185], v[186:187]
	v_fma_f64 v[206:207], -v[200:201], v[202:203], 1.0
	v_fmac_f64_e32 v[202:203], v[202:203], v[206:207]
	v_fma_f64 v[206:207], -v[200:201], v[202:203], 1.0
	v_fmac_f64_e32 v[202:203], v[202:203], v[206:207]
	v_mul_f64 v[206:207], v[204:205], v[202:203]
	v_fma_f64 v[200:201], -v[200:201], v[206:207], v[204:205]
	v_div_fmas_f64 v[200:201], v[200:201], v[202:203], v[206:207]
	v_div_fixup_f64 v[200:201], v[200:201], v[184:185], v[186:187]
	v_fmac_f64_e32 v[184:185], v[186:187], v[200:201]
	v_div_scale_f64 v[186:187], s[18:19], v[184:185], v[184:185], 1.0
	v_rcp_f64_e32 v[202:203], v[186:187]
	s_nop 0
	v_fma_f64 v[204:205], -v[186:187], v[202:203], 1.0
	v_fmac_f64_e32 v[202:203], v[202:203], v[204:205]
	v_fma_f64 v[204:205], -v[186:187], v[202:203], 1.0
	v_fmac_f64_e32 v[202:203], v[202:203], v[204:205]
	v_div_scale_f64 v[204:205], vcc, 1.0, v[184:185], 1.0
	v_mul_f64 v[206:207], v[204:205], v[202:203]
	v_fma_f64 v[186:187], -v[186:187], v[206:207], v[204:205]
	s_nop 1
	v_div_fmas_f64 v[186:187], v[186:187], v[202:203], v[206:207]
	v_div_fixup_f64 v[184:185], v[186:187], v[184:185], 1.0
	v_mul_f64 v[186:187], v[200:201], -v[184:185]
.LBB90_450:
	s_or_b64 exec, exec, s[16:17]
.LBB90_451:
	s_or_b64 exec, exec, s[0:1]
	v_cmp_ne_u32_e32 vcc, v197, v194
	s_and_saveexec_b64 s[0:1], vcc
	s_xor_b64 s[0:1], exec, s[0:1]
	s_cbranch_execz .LBB90_457
; %bb.452:
	v_cmp_eq_u32_e32 vcc, 21, v197
	s_and_saveexec_b64 s[16:17], vcc
	s_cbranch_execz .LBB90_456
; %bb.453:
	v_cmp_ne_u32_e32 vcc, 21, v194
	s_xor_b64 s[18:19], s[14:15], -1
	s_and_b64 s[22:23], s[18:19], vcc
	s_and_saveexec_b64 s[18:19], s[22:23]
	s_cbranch_execz .LBB90_455
; %bb.454:
	v_ashrrev_i32_e32 v195, 31, v194
	v_lshl_add_u64 v[200:201], v[194:195], 2, v[192:193]
	global_load_dword v195, v[200:201], off
	global_load_dword v197, v[192:193], off offset:84
	s_waitcnt vmcnt(1)
	global_store_dword v[192:193], v195, off offset:84
	s_waitcnt vmcnt(1)
	global_store_dword v[200:201], v197, off
.LBB90_455:
	s_or_b64 exec, exec, s[18:19]
	v_mov_b32_e32 v197, v194
	v_mov_b32_e32 v199, v194
.LBB90_456:
	s_or_b64 exec, exec, s[16:17]
.LBB90_457:
	s_andn2_saveexec_b64 s[0:1], s[0:1]
	s_cbranch_execz .LBB90_459
; %bb.458:
	v_mov_b32_e32 v197, 21
	s_waitcnt vmcnt(23)
	ds_write2_b64 v196, v[88:89], v[90:91] offset0:44 offset1:45
	s_waitcnt vmcnt(22)
	ds_write2_b64 v196, v[84:85], v[86:87] offset0:46 offset1:47
	;; [unrolled: 2-line block ×24, first 2 shown]
.LBB90_459:
	s_or_b64 exec, exec, s[0:1]
	v_cmp_lt_i32_e32 vcc, 21, v197
	s_waitcnt lgkmcnt(0)
	s_barrier
	s_and_saveexec_b64 s[0:1], vcc
	s_cbranch_execz .LBB90_461
; %bb.460:
	ds_read2_b64 v[200:203], v196 offset0:44 offset1:45
	v_mul_f64 v[194:195], v[186:187], v[94:95]
	v_mul_f64 v[94:95], v[184:185], v[94:95]
	v_fma_f64 v[194:195], v[184:185], v[92:93], -v[194:195]
	v_fmac_f64_e32 v[94:95], v[186:187], v[92:93]
	ds_read2_b64 v[184:187], v196 offset0:46 offset1:47
	s_waitcnt lgkmcnt(1)
	v_mul_f64 v[92:93], v[202:203], v[94:95]
	v_fma_f64 v[92:93], v[200:201], v[194:195], -v[92:93]
	v_mul_f64 v[200:201], v[200:201], v[94:95]
	v_fmac_f64_e32 v[200:201], v[202:203], v[194:195]
	s_waitcnt vmcnt(23)
	v_add_f64 v[88:89], v[88:89], -v[92:93]
	s_waitcnt lgkmcnt(0)
	v_mul_f64 v[92:93], v[186:187], v[94:95]
	v_add_f64 v[90:91], v[90:91], -v[200:201]
	v_fma_f64 v[92:93], v[184:185], v[194:195], -v[92:93]
	v_mul_f64 v[184:185], v[184:185], v[94:95]
	ds_read2_b64 v[200:203], v196 offset0:48 offset1:49
	v_fmac_f64_e32 v[184:185], v[186:187], v[194:195]
	s_waitcnt vmcnt(22)
	v_add_f64 v[86:87], v[86:87], -v[184:185]
	ds_read2_b64 v[184:187], v196 offset0:50 offset1:51
	v_add_f64 v[84:85], v[84:85], -v[92:93]
	s_waitcnt lgkmcnt(1)
	v_mul_f64 v[92:93], v[202:203], v[94:95]
	v_fma_f64 v[92:93], v[200:201], v[194:195], -v[92:93]
	v_mul_f64 v[200:201], v[200:201], v[94:95]
	v_fmac_f64_e32 v[200:201], v[202:203], v[194:195]
	s_waitcnt vmcnt(21)
	v_add_f64 v[80:81], v[80:81], -v[92:93]
	s_waitcnt lgkmcnt(0)
	v_mul_f64 v[92:93], v[186:187], v[94:95]
	v_add_f64 v[82:83], v[82:83], -v[200:201]
	v_fma_f64 v[92:93], v[184:185], v[194:195], -v[92:93]
	v_mul_f64 v[184:185], v[184:185], v[94:95]
	ds_read2_b64 v[200:203], v196 offset0:52 offset1:53
	v_fmac_f64_e32 v[184:185], v[186:187], v[194:195]
	s_waitcnt vmcnt(20)
	v_add_f64 v[78:79], v[78:79], -v[184:185]
	ds_read2_b64 v[184:187], v196 offset0:54 offset1:55
	v_add_f64 v[76:77], v[76:77], -v[92:93]
	;; [unrolled: 18-line block ×11, first 2 shown]
	s_waitcnt lgkmcnt(1)
	v_mul_f64 v[92:93], v[202:203], v[94:95]
	v_fma_f64 v[92:93], v[200:201], v[194:195], -v[92:93]
	s_waitcnt vmcnt(1)
	v_add_f64 v[0:1], v[0:1], -v[92:93]
	s_waitcnt lgkmcnt(0)
	v_mul_f64 v[92:93], v[186:187], v[94:95]
	v_mul_f64 v[200:201], v[200:201], v[94:95]
	v_fma_f64 v[92:93], v[184:185], v[194:195], -v[92:93]
	v_mul_f64 v[184:185], v[184:185], v[94:95]
	v_fmac_f64_e32 v[200:201], v[202:203], v[194:195]
	v_fmac_f64_e32 v[184:185], v[186:187], v[194:195]
	v_add_f64 v[2:3], v[2:3], -v[200:201]
	s_waitcnt vmcnt(0)
	v_add_f64 v[180:181], v[180:181], -v[92:93]
	v_add_f64 v[182:183], v[182:183], -v[184:185]
	v_mov_b64_e32 v[92:93], v[194:195]
.LBB90_461:
	s_or_b64 exec, exec, s[0:1]
	v_lshl_add_u32 v184, v197, 4, v196
	s_barrier
	s_waitcnt vmcnt(23)
	ds_write2_b64 v184, v[88:89], v[90:91] offset1:1
	s_waitcnt lgkmcnt(0)
	s_barrier
	ds_read2_b64 v[184:187], v196 offset0:44 offset1:45
	s_cmp_lt_i32 s20, 24
	v_mov_b32_e32 v194, 22
	s_cbranch_scc1 .LBB90_464
; %bb.462:
	v_add_u32_e32 v195, 0x170, v196
	s_mov_b32 s16, 23
	v_mov_b32_e32 v194, 22
.LBB90_463:                             ; =>This Inner Loop Header: Depth=1
	ds_read2_b64 v[200:203], v195 offset1:1
	s_waitcnt lgkmcnt(1)
	v_xor_b32_e32 v205, 0x80000000, v185
	v_xor_b32_e32 v207, 0x80000000, v187
	v_cmp_gt_f64_e32 vcc, 0, v[186:187]
	v_cmp_gt_f64_e64 s[0:1], 0, v[184:185]
	v_mov_b32_e32 v204, v184
	v_mov_b32_e32 v206, v186
	v_cndmask_b32_e64 v205, v185, v205, s[0:1]
	v_cndmask_b32_e32 v207, v187, v207, vcc
	v_add_f64 v[204:205], v[204:205], v[206:207]
	s_waitcnt lgkmcnt(0)
	v_xor_b32_e32 v207, 0x80000000, v201
	v_xor_b32_e32 v209, 0x80000000, v203
	v_cmp_gt_f64_e32 vcc, 0, v[202:203]
	v_cmp_gt_f64_e64 s[0:1], 0, v[200:201]
	v_mov_b32_e32 v206, v200
	v_mov_b32_e32 v208, v202
	v_cndmask_b32_e64 v207, v201, v207, s[0:1]
	v_cndmask_b32_e32 v209, v203, v209, vcc
	v_add_f64 v[206:207], v[206:207], v[208:209]
	v_mov_b32_e32 v210, s16
	s_add_i32 s16, s16, 1
	v_cmp_lt_f64_e32 vcc, v[204:205], v[206:207]
	v_add_u32_e32 v195, 16, v195
	s_cmp_lg_u32 s20, s16
	v_cndmask_b32_e32 v185, v185, v201, vcc
	v_cndmask_b32_e32 v184, v184, v200, vcc
	v_cndmask_b32_e32 v187, v187, v203, vcc
	v_cndmask_b32_e32 v186, v186, v202, vcc
	v_cndmask_b32_e32 v194, v194, v210, vcc
	s_cbranch_scc1 .LBB90_463
.LBB90_464:
	s_waitcnt lgkmcnt(0)
	v_cmp_eq_f64_e32 vcc, 0, v[184:185]
	v_cmp_eq_f64_e64 s[0:1], 0, v[186:187]
	s_and_b64 s[0:1], vcc, s[0:1]
	s_and_saveexec_b64 s[16:17], s[0:1]
	s_xor_b64 s[0:1], exec, s[16:17]
; %bb.465:
	v_cmp_ne_u32_e32 vcc, 0, v198
	s_nop 1
	v_cndmask_b32_e32 v198, 23, v198, vcc
; %bb.466:
	s_andn2_saveexec_b64 s[0:1], s[0:1]
	s_cbranch_execz .LBB90_472
; %bb.467:
	v_cmp_ngt_f64_e64 s[16:17], |v[184:185]|, |v[186:187]|
	s_and_saveexec_b64 s[18:19], s[16:17]
	s_xor_b64 s[16:17], exec, s[18:19]
	s_cbranch_execz .LBB90_469
; %bb.468:
	v_div_scale_f64 v[200:201], s[18:19], v[186:187], v[186:187], v[184:185]
	v_rcp_f64_e32 v[202:203], v[200:201]
	v_div_scale_f64 v[204:205], vcc, v[184:185], v[186:187], v[184:185]
	v_fma_f64 v[206:207], -v[200:201], v[202:203], 1.0
	v_fmac_f64_e32 v[202:203], v[202:203], v[206:207]
	v_fma_f64 v[206:207], -v[200:201], v[202:203], 1.0
	v_fmac_f64_e32 v[202:203], v[202:203], v[206:207]
	v_mul_f64 v[206:207], v[204:205], v[202:203]
	v_fma_f64 v[200:201], -v[200:201], v[206:207], v[204:205]
	v_div_fmas_f64 v[200:201], v[200:201], v[202:203], v[206:207]
	v_div_fixup_f64 v[200:201], v[200:201], v[186:187], v[184:185]
	v_fmac_f64_e32 v[186:187], v[184:185], v[200:201]
	v_div_scale_f64 v[184:185], s[18:19], v[186:187], v[186:187], 1.0
	v_rcp_f64_e32 v[202:203], v[184:185]
	s_nop 0
	v_fma_f64 v[204:205], -v[184:185], v[202:203], 1.0
	v_fmac_f64_e32 v[202:203], v[202:203], v[204:205]
	v_fma_f64 v[204:205], -v[184:185], v[202:203], 1.0
	v_fmac_f64_e32 v[202:203], v[202:203], v[204:205]
	v_div_scale_f64 v[204:205], vcc, 1.0, v[186:187], 1.0
	v_mul_f64 v[206:207], v[204:205], v[202:203]
	v_fma_f64 v[184:185], -v[184:185], v[206:207], v[204:205]
	s_nop 1
	v_div_fmas_f64 v[184:185], v[184:185], v[202:203], v[206:207]
	v_div_fixup_f64 v[186:187], v[184:185], v[186:187], 1.0
	v_mul_f64 v[184:185], v[200:201], v[186:187]
	v_xor_b32_e32 v187, 0x80000000, v187
.LBB90_469:
	s_andn2_saveexec_b64 s[16:17], s[16:17]
	s_cbranch_execz .LBB90_471
; %bb.470:
	v_div_scale_f64 v[200:201], s[18:19], v[184:185], v[184:185], v[186:187]
	v_rcp_f64_e32 v[202:203], v[200:201]
	v_div_scale_f64 v[204:205], vcc, v[186:187], v[184:185], v[186:187]
	v_fma_f64 v[206:207], -v[200:201], v[202:203], 1.0
	v_fmac_f64_e32 v[202:203], v[202:203], v[206:207]
	v_fma_f64 v[206:207], -v[200:201], v[202:203], 1.0
	v_fmac_f64_e32 v[202:203], v[202:203], v[206:207]
	v_mul_f64 v[206:207], v[204:205], v[202:203]
	v_fma_f64 v[200:201], -v[200:201], v[206:207], v[204:205]
	v_div_fmas_f64 v[200:201], v[200:201], v[202:203], v[206:207]
	v_div_fixup_f64 v[200:201], v[200:201], v[184:185], v[186:187]
	v_fmac_f64_e32 v[184:185], v[186:187], v[200:201]
	v_div_scale_f64 v[186:187], s[18:19], v[184:185], v[184:185], 1.0
	v_rcp_f64_e32 v[202:203], v[186:187]
	s_nop 0
	v_fma_f64 v[204:205], -v[186:187], v[202:203], 1.0
	v_fmac_f64_e32 v[202:203], v[202:203], v[204:205]
	v_fma_f64 v[204:205], -v[186:187], v[202:203], 1.0
	v_fmac_f64_e32 v[202:203], v[202:203], v[204:205]
	v_div_scale_f64 v[204:205], vcc, 1.0, v[184:185], 1.0
	v_mul_f64 v[206:207], v[204:205], v[202:203]
	v_fma_f64 v[186:187], -v[186:187], v[206:207], v[204:205]
	s_nop 1
	v_div_fmas_f64 v[186:187], v[186:187], v[202:203], v[206:207]
	v_div_fixup_f64 v[184:185], v[186:187], v[184:185], 1.0
	v_mul_f64 v[186:187], v[200:201], -v[184:185]
.LBB90_471:
	s_or_b64 exec, exec, s[16:17]
.LBB90_472:
	s_or_b64 exec, exec, s[0:1]
	v_cmp_ne_u32_e32 vcc, v197, v194
	s_and_saveexec_b64 s[0:1], vcc
	s_xor_b64 s[0:1], exec, s[0:1]
	s_cbranch_execz .LBB90_478
; %bb.473:
	v_cmp_eq_u32_e32 vcc, 22, v197
	s_and_saveexec_b64 s[16:17], vcc
	s_cbranch_execz .LBB90_477
; %bb.474:
	v_cmp_ne_u32_e32 vcc, 22, v194
	s_xor_b64 s[18:19], s[14:15], -1
	s_and_b64 s[22:23], s[18:19], vcc
	s_and_saveexec_b64 s[18:19], s[22:23]
	s_cbranch_execz .LBB90_476
; %bb.475:
	v_ashrrev_i32_e32 v195, 31, v194
	v_lshl_add_u64 v[200:201], v[194:195], 2, v[192:193]
	global_load_dword v195, v[200:201], off
	global_load_dword v197, v[192:193], off offset:88
	s_waitcnt vmcnt(1)
	global_store_dword v[192:193], v195, off offset:88
	s_waitcnt vmcnt(1)
	global_store_dword v[200:201], v197, off
.LBB90_476:
	s_or_b64 exec, exec, s[18:19]
	v_mov_b32_e32 v197, v194
	v_mov_b32_e32 v199, v194
.LBB90_477:
	s_or_b64 exec, exec, s[16:17]
.LBB90_478:
	s_andn2_saveexec_b64 s[0:1], s[0:1]
	s_cbranch_execz .LBB90_480
; %bb.479:
	v_mov_b32_e32 v197, 22
	s_waitcnt vmcnt(22)
	ds_write2_b64 v196, v[84:85], v[86:87] offset0:46 offset1:47
	s_waitcnt vmcnt(21)
	ds_write2_b64 v196, v[80:81], v[82:83] offset0:48 offset1:49
	;; [unrolled: 2-line block ×23, first 2 shown]
.LBB90_480:
	s_or_b64 exec, exec, s[0:1]
	v_cmp_lt_i32_e32 vcc, 22, v197
	s_waitcnt lgkmcnt(0)
	s_barrier
	s_and_saveexec_b64 s[0:1], vcc
	s_cbranch_execz .LBB90_482
; %bb.481:
	ds_read2_b64 v[200:203], v196 offset0:46 offset1:47
	v_mul_f64 v[194:195], v[186:187], v[90:91]
	v_mul_f64 v[90:91], v[184:185], v[90:91]
	v_fmac_f64_e32 v[90:91], v[186:187], v[88:89]
	v_fma_f64 v[194:195], v[184:185], v[88:89], -v[194:195]
	ds_read2_b64 v[184:187], v196 offset0:48 offset1:49
	s_waitcnt lgkmcnt(1)
	v_mul_f64 v[88:89], v[202:203], v[90:91]
	v_fma_f64 v[88:89], v[200:201], v[194:195], -v[88:89]
	v_mul_f64 v[200:201], v[200:201], v[90:91]
	v_fmac_f64_e32 v[200:201], v[202:203], v[194:195]
	s_waitcnt vmcnt(22)
	v_add_f64 v[86:87], v[86:87], -v[200:201]
	ds_read2_b64 v[200:203], v196 offset0:50 offset1:51
	v_add_f64 v[84:85], v[84:85], -v[88:89]
	s_waitcnt lgkmcnt(1)
	v_mul_f64 v[88:89], v[186:187], v[90:91]
	v_fma_f64 v[88:89], v[184:185], v[194:195], -v[88:89]
	v_mul_f64 v[184:185], v[184:185], v[90:91]
	v_fmac_f64_e32 v[184:185], v[186:187], v[194:195]
	s_waitcnt vmcnt(21)
	v_add_f64 v[80:81], v[80:81], -v[88:89]
	v_add_f64 v[82:83], v[82:83], -v[184:185]
	ds_read2_b64 v[184:187], v196 offset0:52 offset1:53
	s_waitcnt lgkmcnt(1)
	v_mul_f64 v[88:89], v[202:203], v[90:91]
	v_fma_f64 v[88:89], v[200:201], v[194:195], -v[88:89]
	v_mul_f64 v[200:201], v[200:201], v[90:91]
	v_fmac_f64_e32 v[200:201], v[202:203], v[194:195]
	s_waitcnt vmcnt(20)
	v_add_f64 v[78:79], v[78:79], -v[200:201]
	ds_read2_b64 v[200:203], v196 offset0:54 offset1:55
	v_add_f64 v[76:77], v[76:77], -v[88:89]
	s_waitcnt lgkmcnt(1)
	v_mul_f64 v[88:89], v[186:187], v[90:91]
	v_fma_f64 v[88:89], v[184:185], v[194:195], -v[88:89]
	v_mul_f64 v[184:185], v[184:185], v[90:91]
	v_fmac_f64_e32 v[184:185], v[186:187], v[194:195]
	s_waitcnt vmcnt(19)
	v_add_f64 v[72:73], v[72:73], -v[88:89]
	v_add_f64 v[74:75], v[74:75], -v[184:185]
	;; [unrolled: 18-line block ×11, first 2 shown]
	s_waitcnt lgkmcnt(0)
	v_mul_f64 v[88:89], v[202:203], v[90:91]
	v_mul_f64 v[184:185], v[200:201], v[90:91]
	v_fma_f64 v[88:89], v[200:201], v[194:195], -v[88:89]
	v_fmac_f64_e32 v[184:185], v[202:203], v[194:195]
	s_waitcnt vmcnt(0)
	v_add_f64 v[180:181], v[180:181], -v[88:89]
	v_add_f64 v[182:183], v[182:183], -v[184:185]
	v_mov_b64_e32 v[88:89], v[194:195]
.LBB90_482:
	s_or_b64 exec, exec, s[0:1]
	v_lshl_add_u32 v184, v197, 4, v196
	s_barrier
	s_waitcnt vmcnt(22)
	ds_write2_b64 v184, v[84:85], v[86:87] offset1:1
	s_waitcnt lgkmcnt(0)
	s_barrier
	ds_read2_b64 v[184:187], v196 offset0:46 offset1:47
	s_cmp_lt_i32 s20, 25
	v_mov_b32_e32 v194, 23
	s_cbranch_scc1 .LBB90_485
; %bb.483:
	v_add_u32_e32 v195, 0x180, v196
	s_mov_b32 s16, 24
	v_mov_b32_e32 v194, 23
.LBB90_484:                             ; =>This Inner Loop Header: Depth=1
	ds_read2_b64 v[200:203], v195 offset1:1
	s_waitcnt lgkmcnt(1)
	v_xor_b32_e32 v205, 0x80000000, v185
	v_xor_b32_e32 v207, 0x80000000, v187
	v_cmp_gt_f64_e32 vcc, 0, v[186:187]
	v_cmp_gt_f64_e64 s[0:1], 0, v[184:185]
	v_mov_b32_e32 v204, v184
	v_mov_b32_e32 v206, v186
	v_cndmask_b32_e64 v205, v185, v205, s[0:1]
	v_cndmask_b32_e32 v207, v187, v207, vcc
	v_add_f64 v[204:205], v[204:205], v[206:207]
	s_waitcnt lgkmcnt(0)
	v_xor_b32_e32 v207, 0x80000000, v201
	v_xor_b32_e32 v209, 0x80000000, v203
	v_cmp_gt_f64_e32 vcc, 0, v[202:203]
	v_cmp_gt_f64_e64 s[0:1], 0, v[200:201]
	v_mov_b32_e32 v206, v200
	v_mov_b32_e32 v208, v202
	v_cndmask_b32_e64 v207, v201, v207, s[0:1]
	v_cndmask_b32_e32 v209, v203, v209, vcc
	v_add_f64 v[206:207], v[206:207], v[208:209]
	v_mov_b32_e32 v210, s16
	s_add_i32 s16, s16, 1
	v_cmp_lt_f64_e32 vcc, v[204:205], v[206:207]
	v_add_u32_e32 v195, 16, v195
	s_cmp_lg_u32 s20, s16
	v_cndmask_b32_e32 v185, v185, v201, vcc
	v_cndmask_b32_e32 v184, v184, v200, vcc
	;; [unrolled: 1-line block ×5, first 2 shown]
	s_cbranch_scc1 .LBB90_484
.LBB90_485:
	s_waitcnt lgkmcnt(0)
	v_cmp_eq_f64_e32 vcc, 0, v[184:185]
	v_cmp_eq_f64_e64 s[0:1], 0, v[186:187]
	s_and_b64 s[0:1], vcc, s[0:1]
	s_and_saveexec_b64 s[16:17], s[0:1]
	s_xor_b64 s[0:1], exec, s[16:17]
; %bb.486:
	v_cmp_ne_u32_e32 vcc, 0, v198
	s_nop 1
	v_cndmask_b32_e32 v198, 24, v198, vcc
; %bb.487:
	s_andn2_saveexec_b64 s[0:1], s[0:1]
	s_cbranch_execz .LBB90_493
; %bb.488:
	v_cmp_ngt_f64_e64 s[16:17], |v[184:185]|, |v[186:187]|
	s_and_saveexec_b64 s[18:19], s[16:17]
	s_xor_b64 s[16:17], exec, s[18:19]
	s_cbranch_execz .LBB90_490
; %bb.489:
	v_div_scale_f64 v[200:201], s[18:19], v[186:187], v[186:187], v[184:185]
	v_rcp_f64_e32 v[202:203], v[200:201]
	v_div_scale_f64 v[204:205], vcc, v[184:185], v[186:187], v[184:185]
	v_fma_f64 v[206:207], -v[200:201], v[202:203], 1.0
	v_fmac_f64_e32 v[202:203], v[202:203], v[206:207]
	v_fma_f64 v[206:207], -v[200:201], v[202:203], 1.0
	v_fmac_f64_e32 v[202:203], v[202:203], v[206:207]
	v_mul_f64 v[206:207], v[204:205], v[202:203]
	v_fma_f64 v[200:201], -v[200:201], v[206:207], v[204:205]
	v_div_fmas_f64 v[200:201], v[200:201], v[202:203], v[206:207]
	v_div_fixup_f64 v[200:201], v[200:201], v[186:187], v[184:185]
	v_fmac_f64_e32 v[186:187], v[184:185], v[200:201]
	v_div_scale_f64 v[184:185], s[18:19], v[186:187], v[186:187], 1.0
	v_rcp_f64_e32 v[202:203], v[184:185]
	s_nop 0
	v_fma_f64 v[204:205], -v[184:185], v[202:203], 1.0
	v_fmac_f64_e32 v[202:203], v[202:203], v[204:205]
	v_fma_f64 v[204:205], -v[184:185], v[202:203], 1.0
	v_fmac_f64_e32 v[202:203], v[202:203], v[204:205]
	v_div_scale_f64 v[204:205], vcc, 1.0, v[186:187], 1.0
	v_mul_f64 v[206:207], v[204:205], v[202:203]
	v_fma_f64 v[184:185], -v[184:185], v[206:207], v[204:205]
	s_nop 1
	v_div_fmas_f64 v[184:185], v[184:185], v[202:203], v[206:207]
	v_div_fixup_f64 v[186:187], v[184:185], v[186:187], 1.0
	v_mul_f64 v[184:185], v[200:201], v[186:187]
	v_xor_b32_e32 v187, 0x80000000, v187
.LBB90_490:
	s_andn2_saveexec_b64 s[16:17], s[16:17]
	s_cbranch_execz .LBB90_492
; %bb.491:
	v_div_scale_f64 v[200:201], s[18:19], v[184:185], v[184:185], v[186:187]
	v_rcp_f64_e32 v[202:203], v[200:201]
	v_div_scale_f64 v[204:205], vcc, v[186:187], v[184:185], v[186:187]
	v_fma_f64 v[206:207], -v[200:201], v[202:203], 1.0
	v_fmac_f64_e32 v[202:203], v[202:203], v[206:207]
	v_fma_f64 v[206:207], -v[200:201], v[202:203], 1.0
	v_fmac_f64_e32 v[202:203], v[202:203], v[206:207]
	v_mul_f64 v[206:207], v[204:205], v[202:203]
	v_fma_f64 v[200:201], -v[200:201], v[206:207], v[204:205]
	v_div_fmas_f64 v[200:201], v[200:201], v[202:203], v[206:207]
	v_div_fixup_f64 v[200:201], v[200:201], v[184:185], v[186:187]
	v_fmac_f64_e32 v[184:185], v[186:187], v[200:201]
	v_div_scale_f64 v[186:187], s[18:19], v[184:185], v[184:185], 1.0
	v_rcp_f64_e32 v[202:203], v[186:187]
	s_nop 0
	v_fma_f64 v[204:205], -v[186:187], v[202:203], 1.0
	v_fmac_f64_e32 v[202:203], v[202:203], v[204:205]
	v_fma_f64 v[204:205], -v[186:187], v[202:203], 1.0
	v_fmac_f64_e32 v[202:203], v[202:203], v[204:205]
	v_div_scale_f64 v[204:205], vcc, 1.0, v[184:185], 1.0
	v_mul_f64 v[206:207], v[204:205], v[202:203]
	v_fma_f64 v[186:187], -v[186:187], v[206:207], v[204:205]
	s_nop 1
	v_div_fmas_f64 v[186:187], v[186:187], v[202:203], v[206:207]
	v_div_fixup_f64 v[184:185], v[186:187], v[184:185], 1.0
	v_mul_f64 v[186:187], v[200:201], -v[184:185]
.LBB90_492:
	s_or_b64 exec, exec, s[16:17]
.LBB90_493:
	s_or_b64 exec, exec, s[0:1]
	v_cmp_ne_u32_e32 vcc, v197, v194
	s_and_saveexec_b64 s[0:1], vcc
	s_xor_b64 s[0:1], exec, s[0:1]
	s_cbranch_execz .LBB90_499
; %bb.494:
	v_cmp_eq_u32_e32 vcc, 23, v197
	s_and_saveexec_b64 s[16:17], vcc
	s_cbranch_execz .LBB90_498
; %bb.495:
	v_cmp_ne_u32_e32 vcc, 23, v194
	s_xor_b64 s[18:19], s[14:15], -1
	s_and_b64 s[22:23], s[18:19], vcc
	s_and_saveexec_b64 s[18:19], s[22:23]
	s_cbranch_execz .LBB90_497
; %bb.496:
	v_ashrrev_i32_e32 v195, 31, v194
	v_lshl_add_u64 v[200:201], v[194:195], 2, v[192:193]
	global_load_dword v195, v[200:201], off
	global_load_dword v197, v[192:193], off offset:92
	s_waitcnt vmcnt(1)
	global_store_dword v[192:193], v195, off offset:92
	s_waitcnt vmcnt(1)
	global_store_dword v[200:201], v197, off
.LBB90_497:
	s_or_b64 exec, exec, s[18:19]
	v_mov_b32_e32 v197, v194
	v_mov_b32_e32 v199, v194
.LBB90_498:
	s_or_b64 exec, exec, s[16:17]
.LBB90_499:
	s_andn2_saveexec_b64 s[0:1], s[0:1]
	s_cbranch_execz .LBB90_501
; %bb.500:
	v_mov_b32_e32 v197, 23
	s_waitcnt vmcnt(21)
	ds_write2_b64 v196, v[80:81], v[82:83] offset0:48 offset1:49
	s_waitcnt vmcnt(20)
	ds_write2_b64 v196, v[76:77], v[78:79] offset0:50 offset1:51
	s_waitcnt vmcnt(19)
	ds_write2_b64 v196, v[72:73], v[74:75] offset0:52 offset1:53
	s_waitcnt vmcnt(18)
	ds_write2_b64 v196, v[68:69], v[70:71] offset0:54 offset1:55
	s_waitcnt vmcnt(17)
	ds_write2_b64 v196, v[64:65], v[66:67] offset0:56 offset1:57
	s_waitcnt vmcnt(16)
	ds_write2_b64 v196, v[60:61], v[62:63] offset0:58 offset1:59
	s_waitcnt vmcnt(15)
	ds_write2_b64 v196, v[56:57], v[58:59] offset0:60 offset1:61
	s_waitcnt vmcnt(14)
	ds_write2_b64 v196, v[52:53], v[54:55] offset0:62 offset1:63
	s_waitcnt vmcnt(13)
	ds_write2_b64 v196, v[48:49], v[50:51] offset0:64 offset1:65
	s_waitcnt vmcnt(12)
	ds_write2_b64 v196, v[44:45], v[46:47] offset0:66 offset1:67
	s_waitcnt vmcnt(11)
	ds_write2_b64 v196, v[40:41], v[42:43] offset0:68 offset1:69
	s_waitcnt vmcnt(10)
	ds_write2_b64 v196, v[36:37], v[38:39] offset0:70 offset1:71
	s_waitcnt vmcnt(9)
	ds_write2_b64 v196, v[32:33], v[34:35] offset0:72 offset1:73
	s_waitcnt vmcnt(8)
	ds_write2_b64 v196, v[28:29], v[30:31] offset0:74 offset1:75
	s_waitcnt vmcnt(7)
	ds_write2_b64 v196, v[24:25], v[26:27] offset0:76 offset1:77
	s_waitcnt vmcnt(6)
	ds_write2_b64 v196, v[20:21], v[22:23] offset0:78 offset1:79
	s_waitcnt vmcnt(5)
	ds_write2_b64 v196, v[16:17], v[18:19] offset0:80 offset1:81
	s_waitcnt vmcnt(4)
	ds_write2_b64 v196, v[12:13], v[14:15] offset0:82 offset1:83
	s_waitcnt vmcnt(3)
	ds_write2_b64 v196, v[8:9], v[10:11] offset0:84 offset1:85
	s_waitcnt vmcnt(2)
	ds_write2_b64 v196, v[4:5], v[6:7] offset0:86 offset1:87
	s_waitcnt vmcnt(1)
	ds_write2_b64 v196, v[0:1], v[2:3] offset0:88 offset1:89
	s_waitcnt vmcnt(0)
	ds_write2_b64 v196, v[180:181], v[182:183] offset0:90 offset1:91
.LBB90_501:
	s_or_b64 exec, exec, s[0:1]
	v_cmp_lt_i32_e32 vcc, 23, v197
	s_waitcnt lgkmcnt(0)
	s_barrier
	s_and_saveexec_b64 s[0:1], vcc
	s_cbranch_execz .LBB90_503
; %bb.502:
	ds_read2_b64 v[200:203], v196 offset0:48 offset1:49
	v_mul_f64 v[194:195], v[186:187], v[86:87]
	v_mul_f64 v[86:87], v[184:185], v[86:87]
	v_fma_f64 v[194:195], v[184:185], v[84:85], -v[194:195]
	v_fmac_f64_e32 v[86:87], v[186:187], v[84:85]
	ds_read2_b64 v[184:187], v196 offset0:50 offset1:51
	s_waitcnt lgkmcnt(1)
	v_mul_f64 v[84:85], v[202:203], v[86:87]
	v_fma_f64 v[84:85], v[200:201], v[194:195], -v[84:85]
	v_mul_f64 v[200:201], v[200:201], v[86:87]
	v_fmac_f64_e32 v[200:201], v[202:203], v[194:195]
	s_waitcnt vmcnt(21)
	v_add_f64 v[80:81], v[80:81], -v[84:85]
	s_waitcnt lgkmcnt(0)
	v_mul_f64 v[84:85], v[186:187], v[86:87]
	v_add_f64 v[82:83], v[82:83], -v[200:201]
	v_fma_f64 v[84:85], v[184:185], v[194:195], -v[84:85]
	v_mul_f64 v[184:185], v[184:185], v[86:87]
	ds_read2_b64 v[200:203], v196 offset0:52 offset1:53
	v_fmac_f64_e32 v[184:185], v[186:187], v[194:195]
	s_waitcnt vmcnt(20)
	v_add_f64 v[78:79], v[78:79], -v[184:185]
	ds_read2_b64 v[184:187], v196 offset0:54 offset1:55
	v_add_f64 v[76:77], v[76:77], -v[84:85]
	s_waitcnt lgkmcnt(1)
	v_mul_f64 v[84:85], v[202:203], v[86:87]
	v_fma_f64 v[84:85], v[200:201], v[194:195], -v[84:85]
	v_mul_f64 v[200:201], v[200:201], v[86:87]
	v_fmac_f64_e32 v[200:201], v[202:203], v[194:195]
	s_waitcnt vmcnt(19)
	v_add_f64 v[72:73], v[72:73], -v[84:85]
	s_waitcnt lgkmcnt(0)
	v_mul_f64 v[84:85], v[186:187], v[86:87]
	v_add_f64 v[74:75], v[74:75], -v[200:201]
	v_fma_f64 v[84:85], v[184:185], v[194:195], -v[84:85]
	v_mul_f64 v[184:185], v[184:185], v[86:87]
	ds_read2_b64 v[200:203], v196 offset0:56 offset1:57
	v_fmac_f64_e32 v[184:185], v[186:187], v[194:195]
	s_waitcnt vmcnt(18)
	v_add_f64 v[70:71], v[70:71], -v[184:185]
	ds_read2_b64 v[184:187], v196 offset0:58 offset1:59
	v_add_f64 v[68:69], v[68:69], -v[84:85]
	;; [unrolled: 18-line block ×10, first 2 shown]
	s_waitcnt lgkmcnt(1)
	v_mul_f64 v[84:85], v[202:203], v[86:87]
	v_fma_f64 v[84:85], v[200:201], v[194:195], -v[84:85]
	s_waitcnt vmcnt(1)
	v_add_f64 v[0:1], v[0:1], -v[84:85]
	s_waitcnt lgkmcnt(0)
	v_mul_f64 v[84:85], v[186:187], v[86:87]
	v_mul_f64 v[200:201], v[200:201], v[86:87]
	v_fma_f64 v[84:85], v[184:185], v[194:195], -v[84:85]
	v_mul_f64 v[184:185], v[184:185], v[86:87]
	v_fmac_f64_e32 v[200:201], v[202:203], v[194:195]
	v_fmac_f64_e32 v[184:185], v[186:187], v[194:195]
	v_add_f64 v[2:3], v[2:3], -v[200:201]
	s_waitcnt vmcnt(0)
	v_add_f64 v[180:181], v[180:181], -v[84:85]
	v_add_f64 v[182:183], v[182:183], -v[184:185]
	v_mov_b64_e32 v[84:85], v[194:195]
.LBB90_503:
	s_or_b64 exec, exec, s[0:1]
	v_lshl_add_u32 v184, v197, 4, v196
	s_barrier
	s_waitcnt vmcnt(21)
	ds_write2_b64 v184, v[80:81], v[82:83] offset1:1
	s_waitcnt lgkmcnt(0)
	s_barrier
	ds_read2_b64 v[184:187], v196 offset0:48 offset1:49
	s_cmp_lt_i32 s20, 26
	v_mov_b32_e32 v194, 24
	s_cbranch_scc1 .LBB90_506
; %bb.504:
	v_add_u32_e32 v195, 0x190, v196
	s_mov_b32 s16, 25
	v_mov_b32_e32 v194, 24
.LBB90_505:                             ; =>This Inner Loop Header: Depth=1
	ds_read2_b64 v[200:203], v195 offset1:1
	s_waitcnt lgkmcnt(1)
	v_xor_b32_e32 v205, 0x80000000, v185
	v_xor_b32_e32 v207, 0x80000000, v187
	v_cmp_gt_f64_e32 vcc, 0, v[186:187]
	v_cmp_gt_f64_e64 s[0:1], 0, v[184:185]
	v_mov_b32_e32 v204, v184
	v_mov_b32_e32 v206, v186
	v_cndmask_b32_e64 v205, v185, v205, s[0:1]
	v_cndmask_b32_e32 v207, v187, v207, vcc
	v_add_f64 v[204:205], v[204:205], v[206:207]
	s_waitcnt lgkmcnt(0)
	v_xor_b32_e32 v207, 0x80000000, v201
	v_xor_b32_e32 v209, 0x80000000, v203
	v_cmp_gt_f64_e32 vcc, 0, v[202:203]
	v_cmp_gt_f64_e64 s[0:1], 0, v[200:201]
	v_mov_b32_e32 v206, v200
	v_mov_b32_e32 v208, v202
	v_cndmask_b32_e64 v207, v201, v207, s[0:1]
	v_cndmask_b32_e32 v209, v203, v209, vcc
	v_add_f64 v[206:207], v[206:207], v[208:209]
	v_mov_b32_e32 v210, s16
	s_add_i32 s16, s16, 1
	v_cmp_lt_f64_e32 vcc, v[204:205], v[206:207]
	v_add_u32_e32 v195, 16, v195
	s_cmp_lg_u32 s20, s16
	v_cndmask_b32_e32 v185, v185, v201, vcc
	v_cndmask_b32_e32 v184, v184, v200, vcc
	v_cndmask_b32_e32 v187, v187, v203, vcc
	v_cndmask_b32_e32 v186, v186, v202, vcc
	v_cndmask_b32_e32 v194, v194, v210, vcc
	s_cbranch_scc1 .LBB90_505
.LBB90_506:
	s_waitcnt lgkmcnt(0)
	v_cmp_eq_f64_e32 vcc, 0, v[184:185]
	v_cmp_eq_f64_e64 s[0:1], 0, v[186:187]
	s_and_b64 s[0:1], vcc, s[0:1]
	s_and_saveexec_b64 s[16:17], s[0:1]
	s_xor_b64 s[0:1], exec, s[16:17]
; %bb.507:
	v_cmp_ne_u32_e32 vcc, 0, v198
	s_nop 1
	v_cndmask_b32_e32 v198, 25, v198, vcc
; %bb.508:
	s_andn2_saveexec_b64 s[0:1], s[0:1]
	s_cbranch_execz .LBB90_514
; %bb.509:
	v_cmp_ngt_f64_e64 s[16:17], |v[184:185]|, |v[186:187]|
	s_and_saveexec_b64 s[18:19], s[16:17]
	s_xor_b64 s[16:17], exec, s[18:19]
	s_cbranch_execz .LBB90_511
; %bb.510:
	v_div_scale_f64 v[200:201], s[18:19], v[186:187], v[186:187], v[184:185]
	v_rcp_f64_e32 v[202:203], v[200:201]
	v_div_scale_f64 v[204:205], vcc, v[184:185], v[186:187], v[184:185]
	v_fma_f64 v[206:207], -v[200:201], v[202:203], 1.0
	v_fmac_f64_e32 v[202:203], v[202:203], v[206:207]
	v_fma_f64 v[206:207], -v[200:201], v[202:203], 1.0
	v_fmac_f64_e32 v[202:203], v[202:203], v[206:207]
	v_mul_f64 v[206:207], v[204:205], v[202:203]
	v_fma_f64 v[200:201], -v[200:201], v[206:207], v[204:205]
	v_div_fmas_f64 v[200:201], v[200:201], v[202:203], v[206:207]
	v_div_fixup_f64 v[200:201], v[200:201], v[186:187], v[184:185]
	v_fmac_f64_e32 v[186:187], v[184:185], v[200:201]
	v_div_scale_f64 v[184:185], s[18:19], v[186:187], v[186:187], 1.0
	v_rcp_f64_e32 v[202:203], v[184:185]
	s_nop 0
	v_fma_f64 v[204:205], -v[184:185], v[202:203], 1.0
	v_fmac_f64_e32 v[202:203], v[202:203], v[204:205]
	v_fma_f64 v[204:205], -v[184:185], v[202:203], 1.0
	v_fmac_f64_e32 v[202:203], v[202:203], v[204:205]
	v_div_scale_f64 v[204:205], vcc, 1.0, v[186:187], 1.0
	v_mul_f64 v[206:207], v[204:205], v[202:203]
	v_fma_f64 v[184:185], -v[184:185], v[206:207], v[204:205]
	s_nop 1
	v_div_fmas_f64 v[184:185], v[184:185], v[202:203], v[206:207]
	v_div_fixup_f64 v[186:187], v[184:185], v[186:187], 1.0
	v_mul_f64 v[184:185], v[200:201], v[186:187]
	v_xor_b32_e32 v187, 0x80000000, v187
.LBB90_511:
	s_andn2_saveexec_b64 s[16:17], s[16:17]
	s_cbranch_execz .LBB90_513
; %bb.512:
	v_div_scale_f64 v[200:201], s[18:19], v[184:185], v[184:185], v[186:187]
	v_rcp_f64_e32 v[202:203], v[200:201]
	v_div_scale_f64 v[204:205], vcc, v[186:187], v[184:185], v[186:187]
	v_fma_f64 v[206:207], -v[200:201], v[202:203], 1.0
	v_fmac_f64_e32 v[202:203], v[202:203], v[206:207]
	v_fma_f64 v[206:207], -v[200:201], v[202:203], 1.0
	v_fmac_f64_e32 v[202:203], v[202:203], v[206:207]
	v_mul_f64 v[206:207], v[204:205], v[202:203]
	v_fma_f64 v[200:201], -v[200:201], v[206:207], v[204:205]
	v_div_fmas_f64 v[200:201], v[200:201], v[202:203], v[206:207]
	v_div_fixup_f64 v[200:201], v[200:201], v[184:185], v[186:187]
	v_fmac_f64_e32 v[184:185], v[186:187], v[200:201]
	v_div_scale_f64 v[186:187], s[18:19], v[184:185], v[184:185], 1.0
	v_rcp_f64_e32 v[202:203], v[186:187]
	s_nop 0
	v_fma_f64 v[204:205], -v[186:187], v[202:203], 1.0
	v_fmac_f64_e32 v[202:203], v[202:203], v[204:205]
	v_fma_f64 v[204:205], -v[186:187], v[202:203], 1.0
	v_fmac_f64_e32 v[202:203], v[202:203], v[204:205]
	v_div_scale_f64 v[204:205], vcc, 1.0, v[184:185], 1.0
	v_mul_f64 v[206:207], v[204:205], v[202:203]
	v_fma_f64 v[186:187], -v[186:187], v[206:207], v[204:205]
	s_nop 1
	v_div_fmas_f64 v[186:187], v[186:187], v[202:203], v[206:207]
	v_div_fixup_f64 v[184:185], v[186:187], v[184:185], 1.0
	v_mul_f64 v[186:187], v[200:201], -v[184:185]
.LBB90_513:
	s_or_b64 exec, exec, s[16:17]
.LBB90_514:
	s_or_b64 exec, exec, s[0:1]
	v_cmp_ne_u32_e32 vcc, v197, v194
	s_and_saveexec_b64 s[0:1], vcc
	s_xor_b64 s[0:1], exec, s[0:1]
	s_cbranch_execz .LBB90_520
; %bb.515:
	v_cmp_eq_u32_e32 vcc, 24, v197
	s_and_saveexec_b64 s[16:17], vcc
	s_cbranch_execz .LBB90_519
; %bb.516:
	v_cmp_ne_u32_e32 vcc, 24, v194
	s_xor_b64 s[18:19], s[14:15], -1
	s_and_b64 s[22:23], s[18:19], vcc
	s_and_saveexec_b64 s[18:19], s[22:23]
	s_cbranch_execz .LBB90_518
; %bb.517:
	v_ashrrev_i32_e32 v195, 31, v194
	v_lshl_add_u64 v[200:201], v[194:195], 2, v[192:193]
	global_load_dword v195, v[200:201], off
	global_load_dword v197, v[192:193], off offset:96
	s_waitcnt vmcnt(1)
	global_store_dword v[192:193], v195, off offset:96
	s_waitcnt vmcnt(1)
	global_store_dword v[200:201], v197, off
.LBB90_518:
	s_or_b64 exec, exec, s[18:19]
	v_mov_b32_e32 v197, v194
	v_mov_b32_e32 v199, v194
.LBB90_519:
	s_or_b64 exec, exec, s[16:17]
.LBB90_520:
	s_andn2_saveexec_b64 s[0:1], s[0:1]
	s_cbranch_execz .LBB90_522
; %bb.521:
	v_mov_b32_e32 v197, 24
	s_waitcnt vmcnt(20)
	ds_write2_b64 v196, v[76:77], v[78:79] offset0:50 offset1:51
	s_waitcnt vmcnt(19)
	ds_write2_b64 v196, v[72:73], v[74:75] offset0:52 offset1:53
	s_waitcnt vmcnt(18)
	ds_write2_b64 v196, v[68:69], v[70:71] offset0:54 offset1:55
	s_waitcnt vmcnt(17)
	ds_write2_b64 v196, v[64:65], v[66:67] offset0:56 offset1:57
	s_waitcnt vmcnt(16)
	ds_write2_b64 v196, v[60:61], v[62:63] offset0:58 offset1:59
	s_waitcnt vmcnt(15)
	ds_write2_b64 v196, v[56:57], v[58:59] offset0:60 offset1:61
	s_waitcnt vmcnt(14)
	ds_write2_b64 v196, v[52:53], v[54:55] offset0:62 offset1:63
	s_waitcnt vmcnt(13)
	ds_write2_b64 v196, v[48:49], v[50:51] offset0:64 offset1:65
	s_waitcnt vmcnt(12)
	ds_write2_b64 v196, v[44:45], v[46:47] offset0:66 offset1:67
	s_waitcnt vmcnt(11)
	ds_write2_b64 v196, v[40:41], v[42:43] offset0:68 offset1:69
	s_waitcnt vmcnt(10)
	ds_write2_b64 v196, v[36:37], v[38:39] offset0:70 offset1:71
	s_waitcnt vmcnt(9)
	ds_write2_b64 v196, v[32:33], v[34:35] offset0:72 offset1:73
	s_waitcnt vmcnt(8)
	ds_write2_b64 v196, v[28:29], v[30:31] offset0:74 offset1:75
	s_waitcnt vmcnt(7)
	ds_write2_b64 v196, v[24:25], v[26:27] offset0:76 offset1:77
	s_waitcnt vmcnt(6)
	ds_write2_b64 v196, v[20:21], v[22:23] offset0:78 offset1:79
	s_waitcnt vmcnt(5)
	ds_write2_b64 v196, v[16:17], v[18:19] offset0:80 offset1:81
	s_waitcnt vmcnt(4)
	ds_write2_b64 v196, v[12:13], v[14:15] offset0:82 offset1:83
	s_waitcnt vmcnt(3)
	ds_write2_b64 v196, v[8:9], v[10:11] offset0:84 offset1:85
	s_waitcnt vmcnt(2)
	ds_write2_b64 v196, v[4:5], v[6:7] offset0:86 offset1:87
	s_waitcnt vmcnt(1)
	ds_write2_b64 v196, v[0:1], v[2:3] offset0:88 offset1:89
	s_waitcnt vmcnt(0)
	ds_write2_b64 v196, v[180:181], v[182:183] offset0:90 offset1:91
.LBB90_522:
	s_or_b64 exec, exec, s[0:1]
	v_cmp_lt_i32_e32 vcc, 24, v197
	s_waitcnt lgkmcnt(0)
	s_barrier
	s_and_saveexec_b64 s[0:1], vcc
	s_cbranch_execz .LBB90_524
; %bb.523:
	ds_read2_b64 v[200:203], v196 offset0:50 offset1:51
	v_mul_f64 v[194:195], v[186:187], v[82:83]
	v_mul_f64 v[82:83], v[184:185], v[82:83]
	v_fmac_f64_e32 v[82:83], v[186:187], v[80:81]
	v_fma_f64 v[194:195], v[184:185], v[80:81], -v[194:195]
	ds_read2_b64 v[184:187], v196 offset0:52 offset1:53
	s_waitcnt lgkmcnt(1)
	v_mul_f64 v[80:81], v[202:203], v[82:83]
	v_fma_f64 v[80:81], v[200:201], v[194:195], -v[80:81]
	v_mul_f64 v[200:201], v[200:201], v[82:83]
	v_fmac_f64_e32 v[200:201], v[202:203], v[194:195]
	s_waitcnt vmcnt(20)
	v_add_f64 v[78:79], v[78:79], -v[200:201]
	ds_read2_b64 v[200:203], v196 offset0:54 offset1:55
	v_add_f64 v[76:77], v[76:77], -v[80:81]
	s_waitcnt lgkmcnt(1)
	v_mul_f64 v[80:81], v[186:187], v[82:83]
	v_fma_f64 v[80:81], v[184:185], v[194:195], -v[80:81]
	v_mul_f64 v[184:185], v[184:185], v[82:83]
	v_fmac_f64_e32 v[184:185], v[186:187], v[194:195]
	s_waitcnt vmcnt(19)
	v_add_f64 v[72:73], v[72:73], -v[80:81]
	v_add_f64 v[74:75], v[74:75], -v[184:185]
	ds_read2_b64 v[184:187], v196 offset0:56 offset1:57
	s_waitcnt lgkmcnt(1)
	v_mul_f64 v[80:81], v[202:203], v[82:83]
	v_fma_f64 v[80:81], v[200:201], v[194:195], -v[80:81]
	v_mul_f64 v[200:201], v[200:201], v[82:83]
	v_fmac_f64_e32 v[200:201], v[202:203], v[194:195]
	s_waitcnt vmcnt(18)
	v_add_f64 v[70:71], v[70:71], -v[200:201]
	ds_read2_b64 v[200:203], v196 offset0:58 offset1:59
	v_add_f64 v[68:69], v[68:69], -v[80:81]
	s_waitcnt lgkmcnt(1)
	v_mul_f64 v[80:81], v[186:187], v[82:83]
	v_fma_f64 v[80:81], v[184:185], v[194:195], -v[80:81]
	v_mul_f64 v[184:185], v[184:185], v[82:83]
	v_fmac_f64_e32 v[184:185], v[186:187], v[194:195]
	s_waitcnt vmcnt(17)
	v_add_f64 v[64:65], v[64:65], -v[80:81]
	v_add_f64 v[66:67], v[66:67], -v[184:185]
	;; [unrolled: 18-line block ×10, first 2 shown]
	s_waitcnt lgkmcnt(0)
	v_mul_f64 v[80:81], v[202:203], v[82:83]
	v_mul_f64 v[184:185], v[200:201], v[82:83]
	v_fma_f64 v[80:81], v[200:201], v[194:195], -v[80:81]
	v_fmac_f64_e32 v[184:185], v[202:203], v[194:195]
	s_waitcnt vmcnt(0)
	v_add_f64 v[180:181], v[180:181], -v[80:81]
	v_add_f64 v[182:183], v[182:183], -v[184:185]
	v_mov_b64_e32 v[80:81], v[194:195]
.LBB90_524:
	s_or_b64 exec, exec, s[0:1]
	v_lshl_add_u32 v184, v197, 4, v196
	s_barrier
	s_waitcnt vmcnt(20)
	ds_write2_b64 v184, v[76:77], v[78:79] offset1:1
	s_waitcnt lgkmcnt(0)
	s_barrier
	ds_read2_b64 v[184:187], v196 offset0:50 offset1:51
	s_cmp_lt_i32 s20, 27
	v_mov_b32_e32 v194, 25
	s_cbranch_scc1 .LBB90_527
; %bb.525:
	v_add_u32_e32 v195, 0x1a0, v196
	s_mov_b32 s16, 26
	v_mov_b32_e32 v194, 25
.LBB90_526:                             ; =>This Inner Loop Header: Depth=1
	ds_read2_b64 v[200:203], v195 offset1:1
	s_waitcnt lgkmcnt(1)
	v_xor_b32_e32 v205, 0x80000000, v185
	v_xor_b32_e32 v207, 0x80000000, v187
	v_cmp_gt_f64_e32 vcc, 0, v[186:187]
	v_cmp_gt_f64_e64 s[0:1], 0, v[184:185]
	v_mov_b32_e32 v204, v184
	v_mov_b32_e32 v206, v186
	v_cndmask_b32_e64 v205, v185, v205, s[0:1]
	v_cndmask_b32_e32 v207, v187, v207, vcc
	v_add_f64 v[204:205], v[204:205], v[206:207]
	s_waitcnt lgkmcnt(0)
	v_xor_b32_e32 v207, 0x80000000, v201
	v_xor_b32_e32 v209, 0x80000000, v203
	v_cmp_gt_f64_e32 vcc, 0, v[202:203]
	v_cmp_gt_f64_e64 s[0:1], 0, v[200:201]
	v_mov_b32_e32 v206, v200
	v_mov_b32_e32 v208, v202
	v_cndmask_b32_e64 v207, v201, v207, s[0:1]
	v_cndmask_b32_e32 v209, v203, v209, vcc
	v_add_f64 v[206:207], v[206:207], v[208:209]
	v_mov_b32_e32 v210, s16
	s_add_i32 s16, s16, 1
	v_cmp_lt_f64_e32 vcc, v[204:205], v[206:207]
	v_add_u32_e32 v195, 16, v195
	s_cmp_lg_u32 s20, s16
	v_cndmask_b32_e32 v185, v185, v201, vcc
	v_cndmask_b32_e32 v184, v184, v200, vcc
	;; [unrolled: 1-line block ×5, first 2 shown]
	s_cbranch_scc1 .LBB90_526
.LBB90_527:
	s_waitcnt lgkmcnt(0)
	v_cmp_eq_f64_e32 vcc, 0, v[184:185]
	v_cmp_eq_f64_e64 s[0:1], 0, v[186:187]
	s_and_b64 s[0:1], vcc, s[0:1]
	s_and_saveexec_b64 s[16:17], s[0:1]
	s_xor_b64 s[0:1], exec, s[16:17]
; %bb.528:
	v_cmp_ne_u32_e32 vcc, 0, v198
	s_nop 1
	v_cndmask_b32_e32 v198, 26, v198, vcc
; %bb.529:
	s_andn2_saveexec_b64 s[0:1], s[0:1]
	s_cbranch_execz .LBB90_535
; %bb.530:
	v_cmp_ngt_f64_e64 s[16:17], |v[184:185]|, |v[186:187]|
	s_and_saveexec_b64 s[18:19], s[16:17]
	s_xor_b64 s[16:17], exec, s[18:19]
	s_cbranch_execz .LBB90_532
; %bb.531:
	v_div_scale_f64 v[200:201], s[18:19], v[186:187], v[186:187], v[184:185]
	v_rcp_f64_e32 v[202:203], v[200:201]
	v_div_scale_f64 v[204:205], vcc, v[184:185], v[186:187], v[184:185]
	v_fma_f64 v[206:207], -v[200:201], v[202:203], 1.0
	v_fmac_f64_e32 v[202:203], v[202:203], v[206:207]
	v_fma_f64 v[206:207], -v[200:201], v[202:203], 1.0
	v_fmac_f64_e32 v[202:203], v[202:203], v[206:207]
	v_mul_f64 v[206:207], v[204:205], v[202:203]
	v_fma_f64 v[200:201], -v[200:201], v[206:207], v[204:205]
	v_div_fmas_f64 v[200:201], v[200:201], v[202:203], v[206:207]
	v_div_fixup_f64 v[200:201], v[200:201], v[186:187], v[184:185]
	v_fmac_f64_e32 v[186:187], v[184:185], v[200:201]
	v_div_scale_f64 v[184:185], s[18:19], v[186:187], v[186:187], 1.0
	v_rcp_f64_e32 v[202:203], v[184:185]
	s_nop 0
	v_fma_f64 v[204:205], -v[184:185], v[202:203], 1.0
	v_fmac_f64_e32 v[202:203], v[202:203], v[204:205]
	v_fma_f64 v[204:205], -v[184:185], v[202:203], 1.0
	v_fmac_f64_e32 v[202:203], v[202:203], v[204:205]
	v_div_scale_f64 v[204:205], vcc, 1.0, v[186:187], 1.0
	v_mul_f64 v[206:207], v[204:205], v[202:203]
	v_fma_f64 v[184:185], -v[184:185], v[206:207], v[204:205]
	s_nop 1
	v_div_fmas_f64 v[184:185], v[184:185], v[202:203], v[206:207]
	v_div_fixup_f64 v[186:187], v[184:185], v[186:187], 1.0
	v_mul_f64 v[184:185], v[200:201], v[186:187]
	v_xor_b32_e32 v187, 0x80000000, v187
.LBB90_532:
	s_andn2_saveexec_b64 s[16:17], s[16:17]
	s_cbranch_execz .LBB90_534
; %bb.533:
	v_div_scale_f64 v[200:201], s[18:19], v[184:185], v[184:185], v[186:187]
	v_rcp_f64_e32 v[202:203], v[200:201]
	v_div_scale_f64 v[204:205], vcc, v[186:187], v[184:185], v[186:187]
	v_fma_f64 v[206:207], -v[200:201], v[202:203], 1.0
	v_fmac_f64_e32 v[202:203], v[202:203], v[206:207]
	v_fma_f64 v[206:207], -v[200:201], v[202:203], 1.0
	v_fmac_f64_e32 v[202:203], v[202:203], v[206:207]
	v_mul_f64 v[206:207], v[204:205], v[202:203]
	v_fma_f64 v[200:201], -v[200:201], v[206:207], v[204:205]
	v_div_fmas_f64 v[200:201], v[200:201], v[202:203], v[206:207]
	v_div_fixup_f64 v[200:201], v[200:201], v[184:185], v[186:187]
	v_fmac_f64_e32 v[184:185], v[186:187], v[200:201]
	v_div_scale_f64 v[186:187], s[18:19], v[184:185], v[184:185], 1.0
	v_rcp_f64_e32 v[202:203], v[186:187]
	s_nop 0
	v_fma_f64 v[204:205], -v[186:187], v[202:203], 1.0
	v_fmac_f64_e32 v[202:203], v[202:203], v[204:205]
	v_fma_f64 v[204:205], -v[186:187], v[202:203], 1.0
	v_fmac_f64_e32 v[202:203], v[202:203], v[204:205]
	v_div_scale_f64 v[204:205], vcc, 1.0, v[184:185], 1.0
	v_mul_f64 v[206:207], v[204:205], v[202:203]
	v_fma_f64 v[186:187], -v[186:187], v[206:207], v[204:205]
	s_nop 1
	v_div_fmas_f64 v[186:187], v[186:187], v[202:203], v[206:207]
	v_div_fixup_f64 v[184:185], v[186:187], v[184:185], 1.0
	v_mul_f64 v[186:187], v[200:201], -v[184:185]
.LBB90_534:
	s_or_b64 exec, exec, s[16:17]
.LBB90_535:
	s_or_b64 exec, exec, s[0:1]
	v_cmp_ne_u32_e32 vcc, v197, v194
	s_and_saveexec_b64 s[0:1], vcc
	s_xor_b64 s[0:1], exec, s[0:1]
	s_cbranch_execz .LBB90_541
; %bb.536:
	v_cmp_eq_u32_e32 vcc, 25, v197
	s_and_saveexec_b64 s[16:17], vcc
	s_cbranch_execz .LBB90_540
; %bb.537:
	v_cmp_ne_u32_e32 vcc, 25, v194
	s_xor_b64 s[18:19], s[14:15], -1
	s_and_b64 s[22:23], s[18:19], vcc
	s_and_saveexec_b64 s[18:19], s[22:23]
	s_cbranch_execz .LBB90_539
; %bb.538:
	v_ashrrev_i32_e32 v195, 31, v194
	v_lshl_add_u64 v[200:201], v[194:195], 2, v[192:193]
	global_load_dword v195, v[200:201], off
	global_load_dword v197, v[192:193], off offset:100
	s_waitcnt vmcnt(1)
	global_store_dword v[192:193], v195, off offset:100
	s_waitcnt vmcnt(1)
	global_store_dword v[200:201], v197, off
.LBB90_539:
	s_or_b64 exec, exec, s[18:19]
	v_mov_b32_e32 v197, v194
	v_mov_b32_e32 v199, v194
.LBB90_540:
	s_or_b64 exec, exec, s[16:17]
.LBB90_541:
	s_andn2_saveexec_b64 s[0:1], s[0:1]
	s_cbranch_execz .LBB90_543
; %bb.542:
	v_mov_b32_e32 v197, 25
	s_waitcnt vmcnt(19)
	ds_write2_b64 v196, v[72:73], v[74:75] offset0:52 offset1:53
	s_waitcnt vmcnt(18)
	ds_write2_b64 v196, v[68:69], v[70:71] offset0:54 offset1:55
	;; [unrolled: 2-line block ×20, first 2 shown]
.LBB90_543:
	s_or_b64 exec, exec, s[0:1]
	v_cmp_lt_i32_e32 vcc, 25, v197
	s_waitcnt lgkmcnt(0)
	s_barrier
	s_and_saveexec_b64 s[0:1], vcc
	s_cbranch_execz .LBB90_545
; %bb.544:
	ds_read2_b64 v[200:203], v196 offset0:52 offset1:53
	v_mul_f64 v[194:195], v[186:187], v[78:79]
	v_mul_f64 v[78:79], v[184:185], v[78:79]
	v_fma_f64 v[194:195], v[184:185], v[76:77], -v[194:195]
	v_fmac_f64_e32 v[78:79], v[186:187], v[76:77]
	ds_read2_b64 v[184:187], v196 offset0:54 offset1:55
	s_waitcnt lgkmcnt(1)
	v_mul_f64 v[76:77], v[202:203], v[78:79]
	v_fma_f64 v[76:77], v[200:201], v[194:195], -v[76:77]
	v_mul_f64 v[200:201], v[200:201], v[78:79]
	v_fmac_f64_e32 v[200:201], v[202:203], v[194:195]
	s_waitcnt vmcnt(19)
	v_add_f64 v[72:73], v[72:73], -v[76:77]
	s_waitcnt lgkmcnt(0)
	v_mul_f64 v[76:77], v[186:187], v[78:79]
	v_add_f64 v[74:75], v[74:75], -v[200:201]
	v_fma_f64 v[76:77], v[184:185], v[194:195], -v[76:77]
	v_mul_f64 v[184:185], v[184:185], v[78:79]
	ds_read2_b64 v[200:203], v196 offset0:56 offset1:57
	v_fmac_f64_e32 v[184:185], v[186:187], v[194:195]
	s_waitcnt vmcnt(18)
	v_add_f64 v[70:71], v[70:71], -v[184:185]
	ds_read2_b64 v[184:187], v196 offset0:58 offset1:59
	v_add_f64 v[68:69], v[68:69], -v[76:77]
	s_waitcnt lgkmcnt(1)
	v_mul_f64 v[76:77], v[202:203], v[78:79]
	v_fma_f64 v[76:77], v[200:201], v[194:195], -v[76:77]
	v_mul_f64 v[200:201], v[200:201], v[78:79]
	v_fmac_f64_e32 v[200:201], v[202:203], v[194:195]
	s_waitcnt vmcnt(17)
	v_add_f64 v[64:65], v[64:65], -v[76:77]
	s_waitcnt lgkmcnt(0)
	v_mul_f64 v[76:77], v[186:187], v[78:79]
	v_add_f64 v[66:67], v[66:67], -v[200:201]
	v_fma_f64 v[76:77], v[184:185], v[194:195], -v[76:77]
	v_mul_f64 v[184:185], v[184:185], v[78:79]
	ds_read2_b64 v[200:203], v196 offset0:60 offset1:61
	v_fmac_f64_e32 v[184:185], v[186:187], v[194:195]
	s_waitcnt vmcnt(16)
	v_add_f64 v[62:63], v[62:63], -v[184:185]
	ds_read2_b64 v[184:187], v196 offset0:62 offset1:63
	v_add_f64 v[60:61], v[60:61], -v[76:77]
	;; [unrolled: 18-line block ×9, first 2 shown]
	s_waitcnt lgkmcnt(1)
	v_mul_f64 v[76:77], v[202:203], v[78:79]
	v_fma_f64 v[76:77], v[200:201], v[194:195], -v[76:77]
	s_waitcnt vmcnt(1)
	v_add_f64 v[0:1], v[0:1], -v[76:77]
	s_waitcnt lgkmcnt(0)
	v_mul_f64 v[76:77], v[186:187], v[78:79]
	v_mul_f64 v[200:201], v[200:201], v[78:79]
	v_fma_f64 v[76:77], v[184:185], v[194:195], -v[76:77]
	v_mul_f64 v[184:185], v[184:185], v[78:79]
	v_fmac_f64_e32 v[200:201], v[202:203], v[194:195]
	v_fmac_f64_e32 v[184:185], v[186:187], v[194:195]
	v_add_f64 v[2:3], v[2:3], -v[200:201]
	s_waitcnt vmcnt(0)
	v_add_f64 v[180:181], v[180:181], -v[76:77]
	v_add_f64 v[182:183], v[182:183], -v[184:185]
	v_mov_b64_e32 v[76:77], v[194:195]
.LBB90_545:
	s_or_b64 exec, exec, s[0:1]
	v_lshl_add_u32 v184, v197, 4, v196
	s_barrier
	s_waitcnt vmcnt(19)
	ds_write2_b64 v184, v[72:73], v[74:75] offset1:1
	s_waitcnt lgkmcnt(0)
	s_barrier
	ds_read2_b64 v[184:187], v196 offset0:52 offset1:53
	s_cmp_lt_i32 s20, 28
	v_mov_b32_e32 v194, 26
	s_cbranch_scc1 .LBB90_548
; %bb.546:
	v_add_u32_e32 v195, 0x1b0, v196
	s_mov_b32 s16, 27
	v_mov_b32_e32 v194, 26
.LBB90_547:                             ; =>This Inner Loop Header: Depth=1
	ds_read2_b64 v[200:203], v195 offset1:1
	s_waitcnt lgkmcnt(1)
	v_xor_b32_e32 v205, 0x80000000, v185
	v_xor_b32_e32 v207, 0x80000000, v187
	v_cmp_gt_f64_e32 vcc, 0, v[186:187]
	v_cmp_gt_f64_e64 s[0:1], 0, v[184:185]
	v_mov_b32_e32 v204, v184
	v_mov_b32_e32 v206, v186
	v_cndmask_b32_e64 v205, v185, v205, s[0:1]
	v_cndmask_b32_e32 v207, v187, v207, vcc
	v_add_f64 v[204:205], v[204:205], v[206:207]
	s_waitcnt lgkmcnt(0)
	v_xor_b32_e32 v207, 0x80000000, v201
	v_xor_b32_e32 v209, 0x80000000, v203
	v_cmp_gt_f64_e32 vcc, 0, v[202:203]
	v_cmp_gt_f64_e64 s[0:1], 0, v[200:201]
	v_mov_b32_e32 v206, v200
	v_mov_b32_e32 v208, v202
	v_cndmask_b32_e64 v207, v201, v207, s[0:1]
	v_cndmask_b32_e32 v209, v203, v209, vcc
	v_add_f64 v[206:207], v[206:207], v[208:209]
	v_mov_b32_e32 v210, s16
	s_add_i32 s16, s16, 1
	v_cmp_lt_f64_e32 vcc, v[204:205], v[206:207]
	v_add_u32_e32 v195, 16, v195
	s_cmp_lg_u32 s20, s16
	v_cndmask_b32_e32 v185, v185, v201, vcc
	v_cndmask_b32_e32 v184, v184, v200, vcc
	;; [unrolled: 1-line block ×5, first 2 shown]
	s_cbranch_scc1 .LBB90_547
.LBB90_548:
	s_waitcnt lgkmcnt(0)
	v_cmp_eq_f64_e32 vcc, 0, v[184:185]
	v_cmp_eq_f64_e64 s[0:1], 0, v[186:187]
	s_and_b64 s[0:1], vcc, s[0:1]
	s_and_saveexec_b64 s[16:17], s[0:1]
	s_xor_b64 s[0:1], exec, s[16:17]
; %bb.549:
	v_cmp_ne_u32_e32 vcc, 0, v198
	s_nop 1
	v_cndmask_b32_e32 v198, 27, v198, vcc
; %bb.550:
	s_andn2_saveexec_b64 s[0:1], s[0:1]
	s_cbranch_execz .LBB90_556
; %bb.551:
	v_cmp_ngt_f64_e64 s[16:17], |v[184:185]|, |v[186:187]|
	s_and_saveexec_b64 s[18:19], s[16:17]
	s_xor_b64 s[16:17], exec, s[18:19]
	s_cbranch_execz .LBB90_553
; %bb.552:
	v_div_scale_f64 v[200:201], s[18:19], v[186:187], v[186:187], v[184:185]
	v_rcp_f64_e32 v[202:203], v[200:201]
	v_div_scale_f64 v[204:205], vcc, v[184:185], v[186:187], v[184:185]
	v_fma_f64 v[206:207], -v[200:201], v[202:203], 1.0
	v_fmac_f64_e32 v[202:203], v[202:203], v[206:207]
	v_fma_f64 v[206:207], -v[200:201], v[202:203], 1.0
	v_fmac_f64_e32 v[202:203], v[202:203], v[206:207]
	v_mul_f64 v[206:207], v[204:205], v[202:203]
	v_fma_f64 v[200:201], -v[200:201], v[206:207], v[204:205]
	v_div_fmas_f64 v[200:201], v[200:201], v[202:203], v[206:207]
	v_div_fixup_f64 v[200:201], v[200:201], v[186:187], v[184:185]
	v_fmac_f64_e32 v[186:187], v[184:185], v[200:201]
	v_div_scale_f64 v[184:185], s[18:19], v[186:187], v[186:187], 1.0
	v_rcp_f64_e32 v[202:203], v[184:185]
	s_nop 0
	v_fma_f64 v[204:205], -v[184:185], v[202:203], 1.0
	v_fmac_f64_e32 v[202:203], v[202:203], v[204:205]
	v_fma_f64 v[204:205], -v[184:185], v[202:203], 1.0
	v_fmac_f64_e32 v[202:203], v[202:203], v[204:205]
	v_div_scale_f64 v[204:205], vcc, 1.0, v[186:187], 1.0
	v_mul_f64 v[206:207], v[204:205], v[202:203]
	v_fma_f64 v[184:185], -v[184:185], v[206:207], v[204:205]
	s_nop 1
	v_div_fmas_f64 v[184:185], v[184:185], v[202:203], v[206:207]
	v_div_fixup_f64 v[186:187], v[184:185], v[186:187], 1.0
	v_mul_f64 v[184:185], v[200:201], v[186:187]
	v_xor_b32_e32 v187, 0x80000000, v187
.LBB90_553:
	s_andn2_saveexec_b64 s[16:17], s[16:17]
	s_cbranch_execz .LBB90_555
; %bb.554:
	v_div_scale_f64 v[200:201], s[18:19], v[184:185], v[184:185], v[186:187]
	v_rcp_f64_e32 v[202:203], v[200:201]
	v_div_scale_f64 v[204:205], vcc, v[186:187], v[184:185], v[186:187]
	v_fma_f64 v[206:207], -v[200:201], v[202:203], 1.0
	v_fmac_f64_e32 v[202:203], v[202:203], v[206:207]
	v_fma_f64 v[206:207], -v[200:201], v[202:203], 1.0
	v_fmac_f64_e32 v[202:203], v[202:203], v[206:207]
	v_mul_f64 v[206:207], v[204:205], v[202:203]
	v_fma_f64 v[200:201], -v[200:201], v[206:207], v[204:205]
	v_div_fmas_f64 v[200:201], v[200:201], v[202:203], v[206:207]
	v_div_fixup_f64 v[200:201], v[200:201], v[184:185], v[186:187]
	v_fmac_f64_e32 v[184:185], v[186:187], v[200:201]
	v_div_scale_f64 v[186:187], s[18:19], v[184:185], v[184:185], 1.0
	v_rcp_f64_e32 v[202:203], v[186:187]
	s_nop 0
	v_fma_f64 v[204:205], -v[186:187], v[202:203], 1.0
	v_fmac_f64_e32 v[202:203], v[202:203], v[204:205]
	v_fma_f64 v[204:205], -v[186:187], v[202:203], 1.0
	v_fmac_f64_e32 v[202:203], v[202:203], v[204:205]
	v_div_scale_f64 v[204:205], vcc, 1.0, v[184:185], 1.0
	v_mul_f64 v[206:207], v[204:205], v[202:203]
	v_fma_f64 v[186:187], -v[186:187], v[206:207], v[204:205]
	s_nop 1
	v_div_fmas_f64 v[186:187], v[186:187], v[202:203], v[206:207]
	v_div_fixup_f64 v[184:185], v[186:187], v[184:185], 1.0
	v_mul_f64 v[186:187], v[200:201], -v[184:185]
.LBB90_555:
	s_or_b64 exec, exec, s[16:17]
.LBB90_556:
	s_or_b64 exec, exec, s[0:1]
	v_cmp_ne_u32_e32 vcc, v197, v194
	s_and_saveexec_b64 s[0:1], vcc
	s_xor_b64 s[0:1], exec, s[0:1]
	s_cbranch_execz .LBB90_562
; %bb.557:
	v_cmp_eq_u32_e32 vcc, 26, v197
	s_and_saveexec_b64 s[16:17], vcc
	s_cbranch_execz .LBB90_561
; %bb.558:
	v_cmp_ne_u32_e32 vcc, 26, v194
	s_xor_b64 s[18:19], s[14:15], -1
	s_and_b64 s[22:23], s[18:19], vcc
	s_and_saveexec_b64 s[18:19], s[22:23]
	s_cbranch_execz .LBB90_560
; %bb.559:
	v_ashrrev_i32_e32 v195, 31, v194
	v_lshl_add_u64 v[200:201], v[194:195], 2, v[192:193]
	global_load_dword v195, v[200:201], off
	global_load_dword v197, v[192:193], off offset:104
	s_waitcnt vmcnt(1)
	global_store_dword v[192:193], v195, off offset:104
	s_waitcnt vmcnt(1)
	global_store_dword v[200:201], v197, off
.LBB90_560:
	s_or_b64 exec, exec, s[18:19]
	v_mov_b32_e32 v197, v194
	v_mov_b32_e32 v199, v194
.LBB90_561:
	s_or_b64 exec, exec, s[16:17]
.LBB90_562:
	s_andn2_saveexec_b64 s[0:1], s[0:1]
	s_cbranch_execz .LBB90_564
; %bb.563:
	v_mov_b32_e32 v197, 26
	s_waitcnt vmcnt(18)
	ds_write2_b64 v196, v[68:69], v[70:71] offset0:54 offset1:55
	s_waitcnt vmcnt(17)
	ds_write2_b64 v196, v[64:65], v[66:67] offset0:56 offset1:57
	;; [unrolled: 2-line block ×19, first 2 shown]
.LBB90_564:
	s_or_b64 exec, exec, s[0:1]
	v_cmp_lt_i32_e32 vcc, 26, v197
	s_waitcnt lgkmcnt(0)
	s_barrier
	s_and_saveexec_b64 s[0:1], vcc
	s_cbranch_execz .LBB90_566
; %bb.565:
	ds_read2_b64 v[200:203], v196 offset0:54 offset1:55
	v_mul_f64 v[194:195], v[186:187], v[74:75]
	v_mul_f64 v[74:75], v[184:185], v[74:75]
	v_fmac_f64_e32 v[74:75], v[186:187], v[72:73]
	v_fma_f64 v[194:195], v[184:185], v[72:73], -v[194:195]
	ds_read2_b64 v[184:187], v196 offset0:56 offset1:57
	s_waitcnt lgkmcnt(1)
	v_mul_f64 v[72:73], v[202:203], v[74:75]
	v_fma_f64 v[72:73], v[200:201], v[194:195], -v[72:73]
	v_mul_f64 v[200:201], v[200:201], v[74:75]
	v_fmac_f64_e32 v[200:201], v[202:203], v[194:195]
	s_waitcnt vmcnt(18)
	v_add_f64 v[70:71], v[70:71], -v[200:201]
	ds_read2_b64 v[200:203], v196 offset0:58 offset1:59
	v_add_f64 v[68:69], v[68:69], -v[72:73]
	s_waitcnt lgkmcnt(1)
	v_mul_f64 v[72:73], v[186:187], v[74:75]
	v_fma_f64 v[72:73], v[184:185], v[194:195], -v[72:73]
	v_mul_f64 v[184:185], v[184:185], v[74:75]
	v_fmac_f64_e32 v[184:185], v[186:187], v[194:195]
	s_waitcnt vmcnt(17)
	v_add_f64 v[64:65], v[64:65], -v[72:73]
	v_add_f64 v[66:67], v[66:67], -v[184:185]
	ds_read2_b64 v[184:187], v196 offset0:60 offset1:61
	s_waitcnt lgkmcnt(1)
	v_mul_f64 v[72:73], v[202:203], v[74:75]
	v_fma_f64 v[72:73], v[200:201], v[194:195], -v[72:73]
	v_mul_f64 v[200:201], v[200:201], v[74:75]
	v_fmac_f64_e32 v[200:201], v[202:203], v[194:195]
	s_waitcnt vmcnt(16)
	v_add_f64 v[62:63], v[62:63], -v[200:201]
	ds_read2_b64 v[200:203], v196 offset0:62 offset1:63
	v_add_f64 v[60:61], v[60:61], -v[72:73]
	s_waitcnt lgkmcnt(1)
	v_mul_f64 v[72:73], v[186:187], v[74:75]
	v_fma_f64 v[72:73], v[184:185], v[194:195], -v[72:73]
	v_mul_f64 v[184:185], v[184:185], v[74:75]
	v_fmac_f64_e32 v[184:185], v[186:187], v[194:195]
	s_waitcnt vmcnt(15)
	v_add_f64 v[56:57], v[56:57], -v[72:73]
	v_add_f64 v[58:59], v[58:59], -v[184:185]
	;; [unrolled: 18-line block ×9, first 2 shown]
	s_waitcnt lgkmcnt(0)
	v_mul_f64 v[72:73], v[202:203], v[74:75]
	v_mul_f64 v[184:185], v[200:201], v[74:75]
	v_fma_f64 v[72:73], v[200:201], v[194:195], -v[72:73]
	v_fmac_f64_e32 v[184:185], v[202:203], v[194:195]
	s_waitcnt vmcnt(0)
	v_add_f64 v[180:181], v[180:181], -v[72:73]
	v_add_f64 v[182:183], v[182:183], -v[184:185]
	v_mov_b64_e32 v[72:73], v[194:195]
.LBB90_566:
	s_or_b64 exec, exec, s[0:1]
	v_lshl_add_u32 v184, v197, 4, v196
	s_barrier
	s_waitcnt vmcnt(18)
	ds_write2_b64 v184, v[68:69], v[70:71] offset1:1
	s_waitcnt lgkmcnt(0)
	s_barrier
	ds_read2_b64 v[184:187], v196 offset0:54 offset1:55
	s_cmp_lt_i32 s20, 29
	v_mov_b32_e32 v194, 27
	s_cbranch_scc1 .LBB90_569
; %bb.567:
	v_add_u32_e32 v195, 0x1c0, v196
	s_mov_b32 s16, 28
	v_mov_b32_e32 v194, 27
.LBB90_568:                             ; =>This Inner Loop Header: Depth=1
	ds_read2_b64 v[200:203], v195 offset1:1
	s_waitcnt lgkmcnt(1)
	v_xor_b32_e32 v205, 0x80000000, v185
	v_xor_b32_e32 v207, 0x80000000, v187
	v_cmp_gt_f64_e32 vcc, 0, v[186:187]
	v_cmp_gt_f64_e64 s[0:1], 0, v[184:185]
	v_mov_b32_e32 v204, v184
	v_mov_b32_e32 v206, v186
	v_cndmask_b32_e64 v205, v185, v205, s[0:1]
	v_cndmask_b32_e32 v207, v187, v207, vcc
	v_add_f64 v[204:205], v[204:205], v[206:207]
	s_waitcnt lgkmcnt(0)
	v_xor_b32_e32 v207, 0x80000000, v201
	v_xor_b32_e32 v209, 0x80000000, v203
	v_cmp_gt_f64_e32 vcc, 0, v[202:203]
	v_cmp_gt_f64_e64 s[0:1], 0, v[200:201]
	v_mov_b32_e32 v206, v200
	v_mov_b32_e32 v208, v202
	v_cndmask_b32_e64 v207, v201, v207, s[0:1]
	v_cndmask_b32_e32 v209, v203, v209, vcc
	v_add_f64 v[206:207], v[206:207], v[208:209]
	v_mov_b32_e32 v210, s16
	s_add_i32 s16, s16, 1
	v_cmp_lt_f64_e32 vcc, v[204:205], v[206:207]
	v_add_u32_e32 v195, 16, v195
	s_cmp_lg_u32 s20, s16
	v_cndmask_b32_e32 v185, v185, v201, vcc
	v_cndmask_b32_e32 v184, v184, v200, vcc
	;; [unrolled: 1-line block ×5, first 2 shown]
	s_cbranch_scc1 .LBB90_568
.LBB90_569:
	s_waitcnt lgkmcnt(0)
	v_cmp_eq_f64_e32 vcc, 0, v[184:185]
	v_cmp_eq_f64_e64 s[0:1], 0, v[186:187]
	s_and_b64 s[0:1], vcc, s[0:1]
	s_and_saveexec_b64 s[16:17], s[0:1]
	s_xor_b64 s[0:1], exec, s[16:17]
; %bb.570:
	v_cmp_ne_u32_e32 vcc, 0, v198
	s_nop 1
	v_cndmask_b32_e32 v198, 28, v198, vcc
; %bb.571:
	s_andn2_saveexec_b64 s[0:1], s[0:1]
	s_cbranch_execz .LBB90_577
; %bb.572:
	v_cmp_ngt_f64_e64 s[16:17], |v[184:185]|, |v[186:187]|
	s_and_saveexec_b64 s[18:19], s[16:17]
	s_xor_b64 s[16:17], exec, s[18:19]
	s_cbranch_execz .LBB90_574
; %bb.573:
	v_div_scale_f64 v[200:201], s[18:19], v[186:187], v[186:187], v[184:185]
	v_rcp_f64_e32 v[202:203], v[200:201]
	v_div_scale_f64 v[204:205], vcc, v[184:185], v[186:187], v[184:185]
	v_fma_f64 v[206:207], -v[200:201], v[202:203], 1.0
	v_fmac_f64_e32 v[202:203], v[202:203], v[206:207]
	v_fma_f64 v[206:207], -v[200:201], v[202:203], 1.0
	v_fmac_f64_e32 v[202:203], v[202:203], v[206:207]
	v_mul_f64 v[206:207], v[204:205], v[202:203]
	v_fma_f64 v[200:201], -v[200:201], v[206:207], v[204:205]
	v_div_fmas_f64 v[200:201], v[200:201], v[202:203], v[206:207]
	v_div_fixup_f64 v[200:201], v[200:201], v[186:187], v[184:185]
	v_fmac_f64_e32 v[186:187], v[184:185], v[200:201]
	v_div_scale_f64 v[184:185], s[18:19], v[186:187], v[186:187], 1.0
	v_rcp_f64_e32 v[202:203], v[184:185]
	s_nop 0
	v_fma_f64 v[204:205], -v[184:185], v[202:203], 1.0
	v_fmac_f64_e32 v[202:203], v[202:203], v[204:205]
	v_fma_f64 v[204:205], -v[184:185], v[202:203], 1.0
	v_fmac_f64_e32 v[202:203], v[202:203], v[204:205]
	v_div_scale_f64 v[204:205], vcc, 1.0, v[186:187], 1.0
	v_mul_f64 v[206:207], v[204:205], v[202:203]
	v_fma_f64 v[184:185], -v[184:185], v[206:207], v[204:205]
	s_nop 1
	v_div_fmas_f64 v[184:185], v[184:185], v[202:203], v[206:207]
	v_div_fixup_f64 v[186:187], v[184:185], v[186:187], 1.0
	v_mul_f64 v[184:185], v[200:201], v[186:187]
	v_xor_b32_e32 v187, 0x80000000, v187
.LBB90_574:
	s_andn2_saveexec_b64 s[16:17], s[16:17]
	s_cbranch_execz .LBB90_576
; %bb.575:
	v_div_scale_f64 v[200:201], s[18:19], v[184:185], v[184:185], v[186:187]
	v_rcp_f64_e32 v[202:203], v[200:201]
	v_div_scale_f64 v[204:205], vcc, v[186:187], v[184:185], v[186:187]
	v_fma_f64 v[206:207], -v[200:201], v[202:203], 1.0
	v_fmac_f64_e32 v[202:203], v[202:203], v[206:207]
	v_fma_f64 v[206:207], -v[200:201], v[202:203], 1.0
	v_fmac_f64_e32 v[202:203], v[202:203], v[206:207]
	v_mul_f64 v[206:207], v[204:205], v[202:203]
	v_fma_f64 v[200:201], -v[200:201], v[206:207], v[204:205]
	v_div_fmas_f64 v[200:201], v[200:201], v[202:203], v[206:207]
	v_div_fixup_f64 v[200:201], v[200:201], v[184:185], v[186:187]
	v_fmac_f64_e32 v[184:185], v[186:187], v[200:201]
	v_div_scale_f64 v[186:187], s[18:19], v[184:185], v[184:185], 1.0
	v_rcp_f64_e32 v[202:203], v[186:187]
	s_nop 0
	v_fma_f64 v[204:205], -v[186:187], v[202:203], 1.0
	v_fmac_f64_e32 v[202:203], v[202:203], v[204:205]
	v_fma_f64 v[204:205], -v[186:187], v[202:203], 1.0
	v_fmac_f64_e32 v[202:203], v[202:203], v[204:205]
	v_div_scale_f64 v[204:205], vcc, 1.0, v[184:185], 1.0
	v_mul_f64 v[206:207], v[204:205], v[202:203]
	v_fma_f64 v[186:187], -v[186:187], v[206:207], v[204:205]
	s_nop 1
	v_div_fmas_f64 v[186:187], v[186:187], v[202:203], v[206:207]
	v_div_fixup_f64 v[184:185], v[186:187], v[184:185], 1.0
	v_mul_f64 v[186:187], v[200:201], -v[184:185]
.LBB90_576:
	s_or_b64 exec, exec, s[16:17]
.LBB90_577:
	s_or_b64 exec, exec, s[0:1]
	v_cmp_ne_u32_e32 vcc, v197, v194
	s_and_saveexec_b64 s[0:1], vcc
	s_xor_b64 s[0:1], exec, s[0:1]
	s_cbranch_execz .LBB90_583
; %bb.578:
	v_cmp_eq_u32_e32 vcc, 27, v197
	s_and_saveexec_b64 s[16:17], vcc
	s_cbranch_execz .LBB90_582
; %bb.579:
	v_cmp_ne_u32_e32 vcc, 27, v194
	s_xor_b64 s[18:19], s[14:15], -1
	s_and_b64 s[22:23], s[18:19], vcc
	s_and_saveexec_b64 s[18:19], s[22:23]
	s_cbranch_execz .LBB90_581
; %bb.580:
	v_ashrrev_i32_e32 v195, 31, v194
	v_lshl_add_u64 v[200:201], v[194:195], 2, v[192:193]
	global_load_dword v195, v[200:201], off
	global_load_dword v197, v[192:193], off offset:108
	s_waitcnt vmcnt(1)
	global_store_dword v[192:193], v195, off offset:108
	s_waitcnt vmcnt(1)
	global_store_dword v[200:201], v197, off
.LBB90_581:
	s_or_b64 exec, exec, s[18:19]
	v_mov_b32_e32 v197, v194
	v_mov_b32_e32 v199, v194
.LBB90_582:
	s_or_b64 exec, exec, s[16:17]
.LBB90_583:
	s_andn2_saveexec_b64 s[0:1], s[0:1]
	s_cbranch_execz .LBB90_585
; %bb.584:
	v_mov_b32_e32 v197, 27
	s_waitcnt vmcnt(17)
	ds_write2_b64 v196, v[64:65], v[66:67] offset0:56 offset1:57
	s_waitcnt vmcnt(16)
	ds_write2_b64 v196, v[60:61], v[62:63] offset0:58 offset1:59
	;; [unrolled: 2-line block ×18, first 2 shown]
.LBB90_585:
	s_or_b64 exec, exec, s[0:1]
	v_cmp_lt_i32_e32 vcc, 27, v197
	s_waitcnt lgkmcnt(0)
	s_barrier
	s_and_saveexec_b64 s[0:1], vcc
	s_cbranch_execz .LBB90_587
; %bb.586:
	ds_read2_b64 v[200:203], v196 offset0:56 offset1:57
	v_mul_f64 v[194:195], v[186:187], v[70:71]
	v_mul_f64 v[70:71], v[184:185], v[70:71]
	v_fma_f64 v[194:195], v[184:185], v[68:69], -v[194:195]
	v_fmac_f64_e32 v[70:71], v[186:187], v[68:69]
	ds_read2_b64 v[184:187], v196 offset0:58 offset1:59
	s_waitcnt lgkmcnt(1)
	v_mul_f64 v[68:69], v[202:203], v[70:71]
	v_fma_f64 v[68:69], v[200:201], v[194:195], -v[68:69]
	v_mul_f64 v[200:201], v[200:201], v[70:71]
	v_fmac_f64_e32 v[200:201], v[202:203], v[194:195]
	s_waitcnt vmcnt(17)
	v_add_f64 v[64:65], v[64:65], -v[68:69]
	s_waitcnt lgkmcnt(0)
	v_mul_f64 v[68:69], v[186:187], v[70:71]
	v_add_f64 v[66:67], v[66:67], -v[200:201]
	v_fma_f64 v[68:69], v[184:185], v[194:195], -v[68:69]
	v_mul_f64 v[184:185], v[184:185], v[70:71]
	ds_read2_b64 v[200:203], v196 offset0:60 offset1:61
	v_fmac_f64_e32 v[184:185], v[186:187], v[194:195]
	s_waitcnt vmcnt(16)
	v_add_f64 v[62:63], v[62:63], -v[184:185]
	ds_read2_b64 v[184:187], v196 offset0:62 offset1:63
	v_add_f64 v[60:61], v[60:61], -v[68:69]
	s_waitcnt lgkmcnt(1)
	v_mul_f64 v[68:69], v[202:203], v[70:71]
	v_fma_f64 v[68:69], v[200:201], v[194:195], -v[68:69]
	v_mul_f64 v[200:201], v[200:201], v[70:71]
	v_fmac_f64_e32 v[200:201], v[202:203], v[194:195]
	s_waitcnt vmcnt(15)
	v_add_f64 v[56:57], v[56:57], -v[68:69]
	s_waitcnt lgkmcnt(0)
	v_mul_f64 v[68:69], v[186:187], v[70:71]
	v_add_f64 v[58:59], v[58:59], -v[200:201]
	v_fma_f64 v[68:69], v[184:185], v[194:195], -v[68:69]
	v_mul_f64 v[184:185], v[184:185], v[70:71]
	ds_read2_b64 v[200:203], v196 offset0:64 offset1:65
	v_fmac_f64_e32 v[184:185], v[186:187], v[194:195]
	s_waitcnt vmcnt(14)
	v_add_f64 v[54:55], v[54:55], -v[184:185]
	ds_read2_b64 v[184:187], v196 offset0:66 offset1:67
	v_add_f64 v[52:53], v[52:53], -v[68:69]
	;; [unrolled: 18-line block ×8, first 2 shown]
	s_waitcnt lgkmcnt(1)
	v_mul_f64 v[68:69], v[202:203], v[70:71]
	v_fma_f64 v[68:69], v[200:201], v[194:195], -v[68:69]
	s_waitcnt vmcnt(1)
	v_add_f64 v[0:1], v[0:1], -v[68:69]
	s_waitcnt lgkmcnt(0)
	v_mul_f64 v[68:69], v[186:187], v[70:71]
	v_mul_f64 v[200:201], v[200:201], v[70:71]
	v_fma_f64 v[68:69], v[184:185], v[194:195], -v[68:69]
	v_mul_f64 v[184:185], v[184:185], v[70:71]
	v_fmac_f64_e32 v[200:201], v[202:203], v[194:195]
	v_fmac_f64_e32 v[184:185], v[186:187], v[194:195]
	v_add_f64 v[2:3], v[2:3], -v[200:201]
	s_waitcnt vmcnt(0)
	v_add_f64 v[180:181], v[180:181], -v[68:69]
	v_add_f64 v[182:183], v[182:183], -v[184:185]
	v_mov_b64_e32 v[68:69], v[194:195]
.LBB90_587:
	s_or_b64 exec, exec, s[0:1]
	v_lshl_add_u32 v184, v197, 4, v196
	s_barrier
	s_waitcnt vmcnt(17)
	ds_write2_b64 v184, v[64:65], v[66:67] offset1:1
	s_waitcnt lgkmcnt(0)
	s_barrier
	ds_read2_b64 v[184:187], v196 offset0:56 offset1:57
	s_cmp_lt_i32 s20, 30
	v_mov_b32_e32 v194, 28
	s_cbranch_scc1 .LBB90_590
; %bb.588:
	v_add_u32_e32 v195, 0x1d0, v196
	s_mov_b32 s16, 29
	v_mov_b32_e32 v194, 28
.LBB90_589:                             ; =>This Inner Loop Header: Depth=1
	ds_read2_b64 v[200:203], v195 offset1:1
	s_waitcnt lgkmcnt(1)
	v_xor_b32_e32 v205, 0x80000000, v185
	v_xor_b32_e32 v207, 0x80000000, v187
	v_cmp_gt_f64_e32 vcc, 0, v[186:187]
	v_cmp_gt_f64_e64 s[0:1], 0, v[184:185]
	v_mov_b32_e32 v204, v184
	v_mov_b32_e32 v206, v186
	v_cndmask_b32_e64 v205, v185, v205, s[0:1]
	v_cndmask_b32_e32 v207, v187, v207, vcc
	v_add_f64 v[204:205], v[204:205], v[206:207]
	s_waitcnt lgkmcnt(0)
	v_xor_b32_e32 v207, 0x80000000, v201
	v_xor_b32_e32 v209, 0x80000000, v203
	v_cmp_gt_f64_e32 vcc, 0, v[202:203]
	v_cmp_gt_f64_e64 s[0:1], 0, v[200:201]
	v_mov_b32_e32 v206, v200
	v_mov_b32_e32 v208, v202
	v_cndmask_b32_e64 v207, v201, v207, s[0:1]
	v_cndmask_b32_e32 v209, v203, v209, vcc
	v_add_f64 v[206:207], v[206:207], v[208:209]
	v_mov_b32_e32 v210, s16
	s_add_i32 s16, s16, 1
	v_cmp_lt_f64_e32 vcc, v[204:205], v[206:207]
	v_add_u32_e32 v195, 16, v195
	s_cmp_lg_u32 s20, s16
	v_cndmask_b32_e32 v185, v185, v201, vcc
	v_cndmask_b32_e32 v184, v184, v200, vcc
	;; [unrolled: 1-line block ×5, first 2 shown]
	s_cbranch_scc1 .LBB90_589
.LBB90_590:
	s_waitcnt lgkmcnt(0)
	v_cmp_eq_f64_e32 vcc, 0, v[184:185]
	v_cmp_eq_f64_e64 s[0:1], 0, v[186:187]
	s_and_b64 s[0:1], vcc, s[0:1]
	s_and_saveexec_b64 s[16:17], s[0:1]
	s_xor_b64 s[0:1], exec, s[16:17]
; %bb.591:
	v_cmp_ne_u32_e32 vcc, 0, v198
	s_nop 1
	v_cndmask_b32_e32 v198, 29, v198, vcc
; %bb.592:
	s_andn2_saveexec_b64 s[0:1], s[0:1]
	s_cbranch_execz .LBB90_598
; %bb.593:
	v_cmp_ngt_f64_e64 s[16:17], |v[184:185]|, |v[186:187]|
	s_and_saveexec_b64 s[18:19], s[16:17]
	s_xor_b64 s[16:17], exec, s[18:19]
	s_cbranch_execz .LBB90_595
; %bb.594:
	v_div_scale_f64 v[200:201], s[18:19], v[186:187], v[186:187], v[184:185]
	v_rcp_f64_e32 v[202:203], v[200:201]
	v_div_scale_f64 v[204:205], vcc, v[184:185], v[186:187], v[184:185]
	v_fma_f64 v[206:207], -v[200:201], v[202:203], 1.0
	v_fmac_f64_e32 v[202:203], v[202:203], v[206:207]
	v_fma_f64 v[206:207], -v[200:201], v[202:203], 1.0
	v_fmac_f64_e32 v[202:203], v[202:203], v[206:207]
	v_mul_f64 v[206:207], v[204:205], v[202:203]
	v_fma_f64 v[200:201], -v[200:201], v[206:207], v[204:205]
	v_div_fmas_f64 v[200:201], v[200:201], v[202:203], v[206:207]
	v_div_fixup_f64 v[200:201], v[200:201], v[186:187], v[184:185]
	v_fmac_f64_e32 v[186:187], v[184:185], v[200:201]
	v_div_scale_f64 v[184:185], s[18:19], v[186:187], v[186:187], 1.0
	v_rcp_f64_e32 v[202:203], v[184:185]
	s_nop 0
	v_fma_f64 v[204:205], -v[184:185], v[202:203], 1.0
	v_fmac_f64_e32 v[202:203], v[202:203], v[204:205]
	v_fma_f64 v[204:205], -v[184:185], v[202:203], 1.0
	v_fmac_f64_e32 v[202:203], v[202:203], v[204:205]
	v_div_scale_f64 v[204:205], vcc, 1.0, v[186:187], 1.0
	v_mul_f64 v[206:207], v[204:205], v[202:203]
	v_fma_f64 v[184:185], -v[184:185], v[206:207], v[204:205]
	s_nop 1
	v_div_fmas_f64 v[184:185], v[184:185], v[202:203], v[206:207]
	v_div_fixup_f64 v[186:187], v[184:185], v[186:187], 1.0
	v_mul_f64 v[184:185], v[200:201], v[186:187]
	v_xor_b32_e32 v187, 0x80000000, v187
.LBB90_595:
	s_andn2_saveexec_b64 s[16:17], s[16:17]
	s_cbranch_execz .LBB90_597
; %bb.596:
	v_div_scale_f64 v[200:201], s[18:19], v[184:185], v[184:185], v[186:187]
	v_rcp_f64_e32 v[202:203], v[200:201]
	v_div_scale_f64 v[204:205], vcc, v[186:187], v[184:185], v[186:187]
	v_fma_f64 v[206:207], -v[200:201], v[202:203], 1.0
	v_fmac_f64_e32 v[202:203], v[202:203], v[206:207]
	v_fma_f64 v[206:207], -v[200:201], v[202:203], 1.0
	v_fmac_f64_e32 v[202:203], v[202:203], v[206:207]
	v_mul_f64 v[206:207], v[204:205], v[202:203]
	v_fma_f64 v[200:201], -v[200:201], v[206:207], v[204:205]
	v_div_fmas_f64 v[200:201], v[200:201], v[202:203], v[206:207]
	v_div_fixup_f64 v[200:201], v[200:201], v[184:185], v[186:187]
	v_fmac_f64_e32 v[184:185], v[186:187], v[200:201]
	v_div_scale_f64 v[186:187], s[18:19], v[184:185], v[184:185], 1.0
	v_rcp_f64_e32 v[202:203], v[186:187]
	s_nop 0
	v_fma_f64 v[204:205], -v[186:187], v[202:203], 1.0
	v_fmac_f64_e32 v[202:203], v[202:203], v[204:205]
	v_fma_f64 v[204:205], -v[186:187], v[202:203], 1.0
	v_fmac_f64_e32 v[202:203], v[202:203], v[204:205]
	v_div_scale_f64 v[204:205], vcc, 1.0, v[184:185], 1.0
	v_mul_f64 v[206:207], v[204:205], v[202:203]
	v_fma_f64 v[186:187], -v[186:187], v[206:207], v[204:205]
	s_nop 1
	v_div_fmas_f64 v[186:187], v[186:187], v[202:203], v[206:207]
	v_div_fixup_f64 v[184:185], v[186:187], v[184:185], 1.0
	v_mul_f64 v[186:187], v[200:201], -v[184:185]
.LBB90_597:
	s_or_b64 exec, exec, s[16:17]
.LBB90_598:
	s_or_b64 exec, exec, s[0:1]
	v_cmp_ne_u32_e32 vcc, v197, v194
	s_and_saveexec_b64 s[0:1], vcc
	s_xor_b64 s[0:1], exec, s[0:1]
	s_cbranch_execz .LBB90_604
; %bb.599:
	v_cmp_eq_u32_e32 vcc, 28, v197
	s_and_saveexec_b64 s[16:17], vcc
	s_cbranch_execz .LBB90_603
; %bb.600:
	v_cmp_ne_u32_e32 vcc, 28, v194
	s_xor_b64 s[18:19], s[14:15], -1
	s_and_b64 s[22:23], s[18:19], vcc
	s_and_saveexec_b64 s[18:19], s[22:23]
	s_cbranch_execz .LBB90_602
; %bb.601:
	v_ashrrev_i32_e32 v195, 31, v194
	v_lshl_add_u64 v[200:201], v[194:195], 2, v[192:193]
	global_load_dword v195, v[200:201], off
	global_load_dword v197, v[192:193], off offset:112
	s_waitcnt vmcnt(1)
	global_store_dword v[192:193], v195, off offset:112
	s_waitcnt vmcnt(1)
	global_store_dword v[200:201], v197, off
.LBB90_602:
	s_or_b64 exec, exec, s[18:19]
	v_mov_b32_e32 v197, v194
	v_mov_b32_e32 v199, v194
.LBB90_603:
	s_or_b64 exec, exec, s[16:17]
.LBB90_604:
	s_andn2_saveexec_b64 s[0:1], s[0:1]
	s_cbranch_execz .LBB90_606
; %bb.605:
	v_mov_b32_e32 v197, 28
	s_waitcnt vmcnt(16)
	ds_write2_b64 v196, v[60:61], v[62:63] offset0:58 offset1:59
	s_waitcnt vmcnt(15)
	ds_write2_b64 v196, v[56:57], v[58:59] offset0:60 offset1:61
	s_waitcnt vmcnt(14)
	ds_write2_b64 v196, v[52:53], v[54:55] offset0:62 offset1:63
	s_waitcnt vmcnt(13)
	ds_write2_b64 v196, v[48:49], v[50:51] offset0:64 offset1:65
	s_waitcnt vmcnt(12)
	ds_write2_b64 v196, v[44:45], v[46:47] offset0:66 offset1:67
	s_waitcnt vmcnt(11)
	ds_write2_b64 v196, v[40:41], v[42:43] offset0:68 offset1:69
	s_waitcnt vmcnt(10)
	ds_write2_b64 v196, v[36:37], v[38:39] offset0:70 offset1:71
	s_waitcnt vmcnt(9)
	ds_write2_b64 v196, v[32:33], v[34:35] offset0:72 offset1:73
	s_waitcnt vmcnt(8)
	ds_write2_b64 v196, v[28:29], v[30:31] offset0:74 offset1:75
	s_waitcnt vmcnt(7)
	ds_write2_b64 v196, v[24:25], v[26:27] offset0:76 offset1:77
	s_waitcnt vmcnt(6)
	ds_write2_b64 v196, v[20:21], v[22:23] offset0:78 offset1:79
	s_waitcnt vmcnt(5)
	ds_write2_b64 v196, v[16:17], v[18:19] offset0:80 offset1:81
	s_waitcnt vmcnt(4)
	ds_write2_b64 v196, v[12:13], v[14:15] offset0:82 offset1:83
	s_waitcnt vmcnt(3)
	ds_write2_b64 v196, v[8:9], v[10:11] offset0:84 offset1:85
	s_waitcnt vmcnt(2)
	ds_write2_b64 v196, v[4:5], v[6:7] offset0:86 offset1:87
	s_waitcnt vmcnt(1)
	ds_write2_b64 v196, v[0:1], v[2:3] offset0:88 offset1:89
	s_waitcnt vmcnt(0)
	ds_write2_b64 v196, v[180:181], v[182:183] offset0:90 offset1:91
.LBB90_606:
	s_or_b64 exec, exec, s[0:1]
	v_cmp_lt_i32_e32 vcc, 28, v197
	s_waitcnt lgkmcnt(0)
	s_barrier
	s_and_saveexec_b64 s[0:1], vcc
	s_cbranch_execz .LBB90_608
; %bb.607:
	ds_read2_b64 v[200:203], v196 offset0:58 offset1:59
	v_mul_f64 v[194:195], v[186:187], v[66:67]
	v_mul_f64 v[66:67], v[184:185], v[66:67]
	v_fmac_f64_e32 v[66:67], v[186:187], v[64:65]
	v_fma_f64 v[194:195], v[184:185], v[64:65], -v[194:195]
	ds_read2_b64 v[184:187], v196 offset0:60 offset1:61
	s_waitcnt lgkmcnt(1)
	v_mul_f64 v[64:65], v[202:203], v[66:67]
	v_fma_f64 v[64:65], v[200:201], v[194:195], -v[64:65]
	v_mul_f64 v[200:201], v[200:201], v[66:67]
	v_fmac_f64_e32 v[200:201], v[202:203], v[194:195]
	s_waitcnt vmcnt(16)
	v_add_f64 v[62:63], v[62:63], -v[200:201]
	ds_read2_b64 v[200:203], v196 offset0:62 offset1:63
	v_add_f64 v[60:61], v[60:61], -v[64:65]
	s_waitcnt lgkmcnt(1)
	v_mul_f64 v[64:65], v[186:187], v[66:67]
	v_fma_f64 v[64:65], v[184:185], v[194:195], -v[64:65]
	v_mul_f64 v[184:185], v[184:185], v[66:67]
	v_fmac_f64_e32 v[184:185], v[186:187], v[194:195]
	s_waitcnt vmcnt(15)
	v_add_f64 v[56:57], v[56:57], -v[64:65]
	v_add_f64 v[58:59], v[58:59], -v[184:185]
	ds_read2_b64 v[184:187], v196 offset0:64 offset1:65
	s_waitcnt lgkmcnt(1)
	v_mul_f64 v[64:65], v[202:203], v[66:67]
	v_fma_f64 v[64:65], v[200:201], v[194:195], -v[64:65]
	v_mul_f64 v[200:201], v[200:201], v[66:67]
	v_fmac_f64_e32 v[200:201], v[202:203], v[194:195]
	s_waitcnt vmcnt(14)
	v_add_f64 v[54:55], v[54:55], -v[200:201]
	ds_read2_b64 v[200:203], v196 offset0:66 offset1:67
	v_add_f64 v[52:53], v[52:53], -v[64:65]
	s_waitcnt lgkmcnt(1)
	v_mul_f64 v[64:65], v[186:187], v[66:67]
	v_fma_f64 v[64:65], v[184:185], v[194:195], -v[64:65]
	v_mul_f64 v[184:185], v[184:185], v[66:67]
	v_fmac_f64_e32 v[184:185], v[186:187], v[194:195]
	s_waitcnt vmcnt(13)
	v_add_f64 v[48:49], v[48:49], -v[64:65]
	v_add_f64 v[50:51], v[50:51], -v[184:185]
	;; [unrolled: 18-line block ×8, first 2 shown]
	s_waitcnt lgkmcnt(0)
	v_mul_f64 v[64:65], v[202:203], v[66:67]
	v_mul_f64 v[184:185], v[200:201], v[66:67]
	v_fma_f64 v[64:65], v[200:201], v[194:195], -v[64:65]
	v_fmac_f64_e32 v[184:185], v[202:203], v[194:195]
	s_waitcnt vmcnt(0)
	v_add_f64 v[180:181], v[180:181], -v[64:65]
	v_add_f64 v[182:183], v[182:183], -v[184:185]
	v_mov_b64_e32 v[64:65], v[194:195]
.LBB90_608:
	s_or_b64 exec, exec, s[0:1]
	v_lshl_add_u32 v184, v197, 4, v196
	s_barrier
	s_waitcnt vmcnt(16)
	ds_write2_b64 v184, v[60:61], v[62:63] offset1:1
	s_waitcnt lgkmcnt(0)
	s_barrier
	ds_read2_b64 v[184:187], v196 offset0:58 offset1:59
	s_cmp_lt_i32 s20, 31
	v_mov_b32_e32 v194, 29
	s_cbranch_scc1 .LBB90_611
; %bb.609:
	v_add_u32_e32 v195, 0x1e0, v196
	s_mov_b32 s16, 30
	v_mov_b32_e32 v194, 29
.LBB90_610:                             ; =>This Inner Loop Header: Depth=1
	ds_read2_b64 v[200:203], v195 offset1:1
	s_waitcnt lgkmcnt(1)
	v_xor_b32_e32 v205, 0x80000000, v185
	v_xor_b32_e32 v207, 0x80000000, v187
	v_cmp_gt_f64_e32 vcc, 0, v[186:187]
	v_cmp_gt_f64_e64 s[0:1], 0, v[184:185]
	v_mov_b32_e32 v204, v184
	v_mov_b32_e32 v206, v186
	v_cndmask_b32_e64 v205, v185, v205, s[0:1]
	v_cndmask_b32_e32 v207, v187, v207, vcc
	v_add_f64 v[204:205], v[204:205], v[206:207]
	s_waitcnt lgkmcnt(0)
	v_xor_b32_e32 v207, 0x80000000, v201
	v_xor_b32_e32 v209, 0x80000000, v203
	v_cmp_gt_f64_e32 vcc, 0, v[202:203]
	v_cmp_gt_f64_e64 s[0:1], 0, v[200:201]
	v_mov_b32_e32 v206, v200
	v_mov_b32_e32 v208, v202
	v_cndmask_b32_e64 v207, v201, v207, s[0:1]
	v_cndmask_b32_e32 v209, v203, v209, vcc
	v_add_f64 v[206:207], v[206:207], v[208:209]
	v_mov_b32_e32 v210, s16
	s_add_i32 s16, s16, 1
	v_cmp_lt_f64_e32 vcc, v[204:205], v[206:207]
	v_add_u32_e32 v195, 16, v195
	s_cmp_lg_u32 s20, s16
	v_cndmask_b32_e32 v185, v185, v201, vcc
	v_cndmask_b32_e32 v184, v184, v200, vcc
	;; [unrolled: 1-line block ×5, first 2 shown]
	s_cbranch_scc1 .LBB90_610
.LBB90_611:
	s_waitcnt lgkmcnt(0)
	v_cmp_eq_f64_e32 vcc, 0, v[184:185]
	v_cmp_eq_f64_e64 s[0:1], 0, v[186:187]
	s_and_b64 s[0:1], vcc, s[0:1]
	s_and_saveexec_b64 s[16:17], s[0:1]
	s_xor_b64 s[0:1], exec, s[16:17]
; %bb.612:
	v_cmp_ne_u32_e32 vcc, 0, v198
	s_nop 1
	v_cndmask_b32_e32 v198, 30, v198, vcc
; %bb.613:
	s_andn2_saveexec_b64 s[0:1], s[0:1]
	s_cbranch_execz .LBB90_619
; %bb.614:
	v_cmp_ngt_f64_e64 s[16:17], |v[184:185]|, |v[186:187]|
	s_and_saveexec_b64 s[18:19], s[16:17]
	s_xor_b64 s[16:17], exec, s[18:19]
	s_cbranch_execz .LBB90_616
; %bb.615:
	v_div_scale_f64 v[200:201], s[18:19], v[186:187], v[186:187], v[184:185]
	v_rcp_f64_e32 v[202:203], v[200:201]
	v_div_scale_f64 v[204:205], vcc, v[184:185], v[186:187], v[184:185]
	v_fma_f64 v[206:207], -v[200:201], v[202:203], 1.0
	v_fmac_f64_e32 v[202:203], v[202:203], v[206:207]
	v_fma_f64 v[206:207], -v[200:201], v[202:203], 1.0
	v_fmac_f64_e32 v[202:203], v[202:203], v[206:207]
	v_mul_f64 v[206:207], v[204:205], v[202:203]
	v_fma_f64 v[200:201], -v[200:201], v[206:207], v[204:205]
	v_div_fmas_f64 v[200:201], v[200:201], v[202:203], v[206:207]
	v_div_fixup_f64 v[200:201], v[200:201], v[186:187], v[184:185]
	v_fmac_f64_e32 v[186:187], v[184:185], v[200:201]
	v_div_scale_f64 v[184:185], s[18:19], v[186:187], v[186:187], 1.0
	v_rcp_f64_e32 v[202:203], v[184:185]
	s_nop 0
	v_fma_f64 v[204:205], -v[184:185], v[202:203], 1.0
	v_fmac_f64_e32 v[202:203], v[202:203], v[204:205]
	v_fma_f64 v[204:205], -v[184:185], v[202:203], 1.0
	v_fmac_f64_e32 v[202:203], v[202:203], v[204:205]
	v_div_scale_f64 v[204:205], vcc, 1.0, v[186:187], 1.0
	v_mul_f64 v[206:207], v[204:205], v[202:203]
	v_fma_f64 v[184:185], -v[184:185], v[206:207], v[204:205]
	s_nop 1
	v_div_fmas_f64 v[184:185], v[184:185], v[202:203], v[206:207]
	v_div_fixup_f64 v[186:187], v[184:185], v[186:187], 1.0
	v_mul_f64 v[184:185], v[200:201], v[186:187]
	v_xor_b32_e32 v187, 0x80000000, v187
.LBB90_616:
	s_andn2_saveexec_b64 s[16:17], s[16:17]
	s_cbranch_execz .LBB90_618
; %bb.617:
	v_div_scale_f64 v[200:201], s[18:19], v[184:185], v[184:185], v[186:187]
	v_rcp_f64_e32 v[202:203], v[200:201]
	v_div_scale_f64 v[204:205], vcc, v[186:187], v[184:185], v[186:187]
	v_fma_f64 v[206:207], -v[200:201], v[202:203], 1.0
	v_fmac_f64_e32 v[202:203], v[202:203], v[206:207]
	v_fma_f64 v[206:207], -v[200:201], v[202:203], 1.0
	v_fmac_f64_e32 v[202:203], v[202:203], v[206:207]
	v_mul_f64 v[206:207], v[204:205], v[202:203]
	v_fma_f64 v[200:201], -v[200:201], v[206:207], v[204:205]
	v_div_fmas_f64 v[200:201], v[200:201], v[202:203], v[206:207]
	v_div_fixup_f64 v[200:201], v[200:201], v[184:185], v[186:187]
	v_fmac_f64_e32 v[184:185], v[186:187], v[200:201]
	v_div_scale_f64 v[186:187], s[18:19], v[184:185], v[184:185], 1.0
	v_rcp_f64_e32 v[202:203], v[186:187]
	s_nop 0
	v_fma_f64 v[204:205], -v[186:187], v[202:203], 1.0
	v_fmac_f64_e32 v[202:203], v[202:203], v[204:205]
	v_fma_f64 v[204:205], -v[186:187], v[202:203], 1.0
	v_fmac_f64_e32 v[202:203], v[202:203], v[204:205]
	v_div_scale_f64 v[204:205], vcc, 1.0, v[184:185], 1.0
	v_mul_f64 v[206:207], v[204:205], v[202:203]
	v_fma_f64 v[186:187], -v[186:187], v[206:207], v[204:205]
	s_nop 1
	v_div_fmas_f64 v[186:187], v[186:187], v[202:203], v[206:207]
	v_div_fixup_f64 v[184:185], v[186:187], v[184:185], 1.0
	v_mul_f64 v[186:187], v[200:201], -v[184:185]
.LBB90_618:
	s_or_b64 exec, exec, s[16:17]
.LBB90_619:
	s_or_b64 exec, exec, s[0:1]
	v_cmp_ne_u32_e32 vcc, v197, v194
	s_and_saveexec_b64 s[0:1], vcc
	s_xor_b64 s[0:1], exec, s[0:1]
	s_cbranch_execz .LBB90_625
; %bb.620:
	v_cmp_eq_u32_e32 vcc, 29, v197
	s_and_saveexec_b64 s[16:17], vcc
	s_cbranch_execz .LBB90_624
; %bb.621:
	v_cmp_ne_u32_e32 vcc, 29, v194
	s_xor_b64 s[18:19], s[14:15], -1
	s_and_b64 s[22:23], s[18:19], vcc
	s_and_saveexec_b64 s[18:19], s[22:23]
	s_cbranch_execz .LBB90_623
; %bb.622:
	v_ashrrev_i32_e32 v195, 31, v194
	v_lshl_add_u64 v[200:201], v[194:195], 2, v[192:193]
	global_load_dword v195, v[200:201], off
	global_load_dword v197, v[192:193], off offset:116
	s_waitcnt vmcnt(1)
	global_store_dword v[192:193], v195, off offset:116
	s_waitcnt vmcnt(1)
	global_store_dword v[200:201], v197, off
.LBB90_623:
	s_or_b64 exec, exec, s[18:19]
	v_mov_b32_e32 v197, v194
	v_mov_b32_e32 v199, v194
.LBB90_624:
	s_or_b64 exec, exec, s[16:17]
.LBB90_625:
	s_andn2_saveexec_b64 s[0:1], s[0:1]
	s_cbranch_execz .LBB90_627
; %bb.626:
	v_mov_b32_e32 v197, 29
	s_waitcnt vmcnt(15)
	ds_write2_b64 v196, v[56:57], v[58:59] offset0:60 offset1:61
	s_waitcnt vmcnt(14)
	ds_write2_b64 v196, v[52:53], v[54:55] offset0:62 offset1:63
	;; [unrolled: 2-line block ×16, first 2 shown]
.LBB90_627:
	s_or_b64 exec, exec, s[0:1]
	v_cmp_lt_i32_e32 vcc, 29, v197
	s_waitcnt lgkmcnt(0)
	s_barrier
	s_and_saveexec_b64 s[0:1], vcc
	s_cbranch_execz .LBB90_629
; %bb.628:
	ds_read2_b64 v[200:203], v196 offset0:60 offset1:61
	v_mul_f64 v[194:195], v[184:185], v[62:63]
	v_mul_f64 v[62:63], v[186:187], v[62:63]
	v_fmac_f64_e32 v[194:195], v[186:187], v[60:61]
	v_fma_f64 v[60:61], v[184:185], v[60:61], -v[62:63]
	ds_read2_b64 v[184:187], v196 offset0:62 offset1:63
	s_waitcnt lgkmcnt(1)
	v_mul_f64 v[62:63], v[202:203], v[194:195]
	v_fma_f64 v[62:63], v[200:201], v[60:61], -v[62:63]
	v_mul_f64 v[200:201], v[200:201], v[194:195]
	v_fmac_f64_e32 v[200:201], v[202:203], v[60:61]
	s_waitcnt vmcnt(15)
	v_add_f64 v[56:57], v[56:57], -v[62:63]
	s_waitcnt lgkmcnt(0)
	v_mul_f64 v[62:63], v[186:187], v[194:195]
	v_add_f64 v[58:59], v[58:59], -v[200:201]
	v_fma_f64 v[62:63], v[184:185], v[60:61], -v[62:63]
	v_mul_f64 v[184:185], v[184:185], v[194:195]
	ds_read2_b64 v[200:203], v196 offset0:64 offset1:65
	v_fmac_f64_e32 v[184:185], v[186:187], v[60:61]
	s_waitcnt vmcnt(14)
	v_add_f64 v[54:55], v[54:55], -v[184:185]
	ds_read2_b64 v[184:187], v196 offset0:66 offset1:67
	v_add_f64 v[52:53], v[52:53], -v[62:63]
	s_waitcnt lgkmcnt(1)
	v_mul_f64 v[62:63], v[202:203], v[194:195]
	v_fma_f64 v[62:63], v[200:201], v[60:61], -v[62:63]
	v_mul_f64 v[200:201], v[200:201], v[194:195]
	v_fmac_f64_e32 v[200:201], v[202:203], v[60:61]
	s_waitcnt vmcnt(13)
	v_add_f64 v[48:49], v[48:49], -v[62:63]
	s_waitcnt lgkmcnt(0)
	v_mul_f64 v[62:63], v[186:187], v[194:195]
	v_add_f64 v[50:51], v[50:51], -v[200:201]
	v_fma_f64 v[62:63], v[184:185], v[60:61], -v[62:63]
	v_mul_f64 v[184:185], v[184:185], v[194:195]
	ds_read2_b64 v[200:203], v196 offset0:68 offset1:69
	v_fmac_f64_e32 v[184:185], v[186:187], v[60:61]
	s_waitcnt vmcnt(12)
	v_add_f64 v[46:47], v[46:47], -v[184:185]
	ds_read2_b64 v[184:187], v196 offset0:70 offset1:71
	v_add_f64 v[44:45], v[44:45], -v[62:63]
	;; [unrolled: 18-line block ×7, first 2 shown]
	s_waitcnt lgkmcnt(1)
	v_mul_f64 v[62:63], v[202:203], v[194:195]
	v_fma_f64 v[62:63], v[200:201], v[60:61], -v[62:63]
	s_waitcnt vmcnt(1)
	v_add_f64 v[0:1], v[0:1], -v[62:63]
	s_waitcnt lgkmcnt(0)
	v_mul_f64 v[62:63], v[186:187], v[194:195]
	v_mul_f64 v[200:201], v[200:201], v[194:195]
	v_fma_f64 v[62:63], v[184:185], v[60:61], -v[62:63]
	v_mul_f64 v[184:185], v[184:185], v[194:195]
	v_fmac_f64_e32 v[200:201], v[202:203], v[60:61]
	v_fmac_f64_e32 v[184:185], v[186:187], v[60:61]
	v_add_f64 v[2:3], v[2:3], -v[200:201]
	s_waitcnt vmcnt(0)
	v_add_f64 v[180:181], v[180:181], -v[62:63]
	v_add_f64 v[182:183], v[182:183], -v[184:185]
	v_mov_b64_e32 v[62:63], v[194:195]
.LBB90_629:
	s_or_b64 exec, exec, s[0:1]
	v_lshl_add_u32 v184, v197, 4, v196
	s_barrier
	s_waitcnt vmcnt(15)
	ds_write2_b64 v184, v[56:57], v[58:59] offset1:1
	s_waitcnt lgkmcnt(0)
	s_barrier
	ds_read2_b64 v[184:187], v196 offset0:60 offset1:61
	s_cmp_lt_i32 s20, 32
	v_mov_b32_e32 v194, 30
	s_cbranch_scc1 .LBB90_632
; %bb.630:
	v_add_u32_e32 v195, 0x1f0, v196
	s_mov_b32 s16, 31
	v_mov_b32_e32 v194, 30
.LBB90_631:                             ; =>This Inner Loop Header: Depth=1
	ds_read2_b64 v[200:203], v195 offset1:1
	s_waitcnt lgkmcnt(1)
	v_xor_b32_e32 v205, 0x80000000, v185
	v_xor_b32_e32 v207, 0x80000000, v187
	v_cmp_gt_f64_e32 vcc, 0, v[186:187]
	v_cmp_gt_f64_e64 s[0:1], 0, v[184:185]
	v_mov_b32_e32 v204, v184
	v_mov_b32_e32 v206, v186
	v_cndmask_b32_e64 v205, v185, v205, s[0:1]
	v_cndmask_b32_e32 v207, v187, v207, vcc
	v_add_f64 v[204:205], v[204:205], v[206:207]
	s_waitcnt lgkmcnt(0)
	v_xor_b32_e32 v207, 0x80000000, v201
	v_xor_b32_e32 v209, 0x80000000, v203
	v_cmp_gt_f64_e32 vcc, 0, v[202:203]
	v_cmp_gt_f64_e64 s[0:1], 0, v[200:201]
	v_mov_b32_e32 v206, v200
	v_mov_b32_e32 v208, v202
	v_cndmask_b32_e64 v207, v201, v207, s[0:1]
	v_cndmask_b32_e32 v209, v203, v209, vcc
	v_add_f64 v[206:207], v[206:207], v[208:209]
	v_mov_b32_e32 v210, s16
	s_add_i32 s16, s16, 1
	v_cmp_lt_f64_e32 vcc, v[204:205], v[206:207]
	v_add_u32_e32 v195, 16, v195
	s_cmp_lg_u32 s20, s16
	v_cndmask_b32_e32 v185, v185, v201, vcc
	v_cndmask_b32_e32 v184, v184, v200, vcc
	v_cndmask_b32_e32 v187, v187, v203, vcc
	v_cndmask_b32_e32 v186, v186, v202, vcc
	v_cndmask_b32_e32 v194, v194, v210, vcc
	s_cbranch_scc1 .LBB90_631
.LBB90_632:
	s_waitcnt lgkmcnt(0)
	v_cmp_eq_f64_e32 vcc, 0, v[184:185]
	v_cmp_eq_f64_e64 s[0:1], 0, v[186:187]
	s_and_b64 s[0:1], vcc, s[0:1]
	s_and_saveexec_b64 s[16:17], s[0:1]
	s_xor_b64 s[0:1], exec, s[16:17]
; %bb.633:
	v_cmp_ne_u32_e32 vcc, 0, v198
	s_nop 1
	v_cndmask_b32_e32 v198, 31, v198, vcc
; %bb.634:
	s_andn2_saveexec_b64 s[0:1], s[0:1]
	s_cbranch_execz .LBB90_640
; %bb.635:
	v_cmp_ngt_f64_e64 s[16:17], |v[184:185]|, |v[186:187]|
	s_and_saveexec_b64 s[18:19], s[16:17]
	s_xor_b64 s[16:17], exec, s[18:19]
	s_cbranch_execz .LBB90_637
; %bb.636:
	v_div_scale_f64 v[200:201], s[18:19], v[186:187], v[186:187], v[184:185]
	v_rcp_f64_e32 v[202:203], v[200:201]
	v_div_scale_f64 v[204:205], vcc, v[184:185], v[186:187], v[184:185]
	v_fma_f64 v[206:207], -v[200:201], v[202:203], 1.0
	v_fmac_f64_e32 v[202:203], v[202:203], v[206:207]
	v_fma_f64 v[206:207], -v[200:201], v[202:203], 1.0
	v_fmac_f64_e32 v[202:203], v[202:203], v[206:207]
	v_mul_f64 v[206:207], v[204:205], v[202:203]
	v_fma_f64 v[200:201], -v[200:201], v[206:207], v[204:205]
	v_div_fmas_f64 v[200:201], v[200:201], v[202:203], v[206:207]
	v_div_fixup_f64 v[200:201], v[200:201], v[186:187], v[184:185]
	v_fmac_f64_e32 v[186:187], v[184:185], v[200:201]
	v_div_scale_f64 v[184:185], s[18:19], v[186:187], v[186:187], 1.0
	v_rcp_f64_e32 v[202:203], v[184:185]
	s_nop 0
	v_fma_f64 v[204:205], -v[184:185], v[202:203], 1.0
	v_fmac_f64_e32 v[202:203], v[202:203], v[204:205]
	v_fma_f64 v[204:205], -v[184:185], v[202:203], 1.0
	v_fmac_f64_e32 v[202:203], v[202:203], v[204:205]
	v_div_scale_f64 v[204:205], vcc, 1.0, v[186:187], 1.0
	v_mul_f64 v[206:207], v[204:205], v[202:203]
	v_fma_f64 v[184:185], -v[184:185], v[206:207], v[204:205]
	s_nop 1
	v_div_fmas_f64 v[184:185], v[184:185], v[202:203], v[206:207]
	v_div_fixup_f64 v[186:187], v[184:185], v[186:187], 1.0
	v_mul_f64 v[184:185], v[200:201], v[186:187]
	v_xor_b32_e32 v187, 0x80000000, v187
.LBB90_637:
	s_andn2_saveexec_b64 s[16:17], s[16:17]
	s_cbranch_execz .LBB90_639
; %bb.638:
	v_div_scale_f64 v[200:201], s[18:19], v[184:185], v[184:185], v[186:187]
	v_rcp_f64_e32 v[202:203], v[200:201]
	v_div_scale_f64 v[204:205], vcc, v[186:187], v[184:185], v[186:187]
	v_fma_f64 v[206:207], -v[200:201], v[202:203], 1.0
	v_fmac_f64_e32 v[202:203], v[202:203], v[206:207]
	v_fma_f64 v[206:207], -v[200:201], v[202:203], 1.0
	v_fmac_f64_e32 v[202:203], v[202:203], v[206:207]
	v_mul_f64 v[206:207], v[204:205], v[202:203]
	v_fma_f64 v[200:201], -v[200:201], v[206:207], v[204:205]
	v_div_fmas_f64 v[200:201], v[200:201], v[202:203], v[206:207]
	v_div_fixup_f64 v[200:201], v[200:201], v[184:185], v[186:187]
	v_fmac_f64_e32 v[184:185], v[186:187], v[200:201]
	v_div_scale_f64 v[186:187], s[18:19], v[184:185], v[184:185], 1.0
	v_rcp_f64_e32 v[202:203], v[186:187]
	s_nop 0
	v_fma_f64 v[204:205], -v[186:187], v[202:203], 1.0
	v_fmac_f64_e32 v[202:203], v[202:203], v[204:205]
	v_fma_f64 v[204:205], -v[186:187], v[202:203], 1.0
	v_fmac_f64_e32 v[202:203], v[202:203], v[204:205]
	v_div_scale_f64 v[204:205], vcc, 1.0, v[184:185], 1.0
	v_mul_f64 v[206:207], v[204:205], v[202:203]
	v_fma_f64 v[186:187], -v[186:187], v[206:207], v[204:205]
	s_nop 1
	v_div_fmas_f64 v[186:187], v[186:187], v[202:203], v[206:207]
	v_div_fixup_f64 v[184:185], v[186:187], v[184:185], 1.0
	v_mul_f64 v[186:187], v[200:201], -v[184:185]
.LBB90_639:
	s_or_b64 exec, exec, s[16:17]
.LBB90_640:
	s_or_b64 exec, exec, s[0:1]
	v_cmp_ne_u32_e32 vcc, v197, v194
	s_and_saveexec_b64 s[0:1], vcc
	s_xor_b64 s[0:1], exec, s[0:1]
	s_cbranch_execz .LBB90_646
; %bb.641:
	v_cmp_eq_u32_e32 vcc, 30, v197
	s_and_saveexec_b64 s[16:17], vcc
	s_cbranch_execz .LBB90_645
; %bb.642:
	v_cmp_ne_u32_e32 vcc, 30, v194
	s_xor_b64 s[18:19], s[14:15], -1
	s_and_b64 s[22:23], s[18:19], vcc
	s_and_saveexec_b64 s[18:19], s[22:23]
	s_cbranch_execz .LBB90_644
; %bb.643:
	v_ashrrev_i32_e32 v195, 31, v194
	v_lshl_add_u64 v[200:201], v[194:195], 2, v[192:193]
	global_load_dword v195, v[200:201], off
	global_load_dword v197, v[192:193], off offset:120
	s_waitcnt vmcnt(1)
	global_store_dword v[192:193], v195, off offset:120
	s_waitcnt vmcnt(1)
	global_store_dword v[200:201], v197, off
.LBB90_644:
	s_or_b64 exec, exec, s[18:19]
	v_mov_b32_e32 v197, v194
	v_mov_b32_e32 v199, v194
.LBB90_645:
	s_or_b64 exec, exec, s[16:17]
.LBB90_646:
	s_andn2_saveexec_b64 s[0:1], s[0:1]
	s_cbranch_execz .LBB90_648
; %bb.647:
	v_mov_b32_e32 v197, 30
	s_waitcnt vmcnt(14)
	ds_write2_b64 v196, v[52:53], v[54:55] offset0:62 offset1:63
	s_waitcnt vmcnt(13)
	ds_write2_b64 v196, v[48:49], v[50:51] offset0:64 offset1:65
	;; [unrolled: 2-line block ×15, first 2 shown]
.LBB90_648:
	s_or_b64 exec, exec, s[0:1]
	v_cmp_lt_i32_e32 vcc, 30, v197
	s_waitcnt lgkmcnt(0)
	s_barrier
	s_and_saveexec_b64 s[0:1], vcc
	s_cbranch_execz .LBB90_650
; %bb.649:
	ds_read2_b64 v[200:203], v196 offset0:62 offset1:63
	v_mul_f64 v[194:195], v[184:185], v[58:59]
	v_fmac_f64_e32 v[194:195], v[186:187], v[56:57]
	v_mul_f64 v[58:59], v[186:187], v[58:59]
	v_fma_f64 v[56:57], v[184:185], v[56:57], -v[58:59]
	ds_read2_b64 v[184:187], v196 offset0:64 offset1:65
	s_waitcnt lgkmcnt(1)
	v_mul_f64 v[58:59], v[202:203], v[194:195]
	v_fma_f64 v[58:59], v[200:201], v[56:57], -v[58:59]
	v_mul_f64 v[200:201], v[200:201], v[194:195]
	v_fmac_f64_e32 v[200:201], v[202:203], v[56:57]
	s_waitcnt vmcnt(14)
	v_add_f64 v[54:55], v[54:55], -v[200:201]
	ds_read2_b64 v[200:203], v196 offset0:66 offset1:67
	v_add_f64 v[52:53], v[52:53], -v[58:59]
	s_waitcnt lgkmcnt(1)
	v_mul_f64 v[58:59], v[186:187], v[194:195]
	v_fma_f64 v[58:59], v[184:185], v[56:57], -v[58:59]
	v_mul_f64 v[184:185], v[184:185], v[194:195]
	v_fmac_f64_e32 v[184:185], v[186:187], v[56:57]
	s_waitcnt vmcnt(13)
	v_add_f64 v[48:49], v[48:49], -v[58:59]
	v_add_f64 v[50:51], v[50:51], -v[184:185]
	ds_read2_b64 v[184:187], v196 offset0:68 offset1:69
	s_waitcnt lgkmcnt(1)
	v_mul_f64 v[58:59], v[202:203], v[194:195]
	v_fma_f64 v[58:59], v[200:201], v[56:57], -v[58:59]
	v_mul_f64 v[200:201], v[200:201], v[194:195]
	v_fmac_f64_e32 v[200:201], v[202:203], v[56:57]
	s_waitcnt vmcnt(12)
	v_add_f64 v[46:47], v[46:47], -v[200:201]
	ds_read2_b64 v[200:203], v196 offset0:70 offset1:71
	v_add_f64 v[44:45], v[44:45], -v[58:59]
	s_waitcnt lgkmcnt(1)
	v_mul_f64 v[58:59], v[186:187], v[194:195]
	v_fma_f64 v[58:59], v[184:185], v[56:57], -v[58:59]
	v_mul_f64 v[184:185], v[184:185], v[194:195]
	v_fmac_f64_e32 v[184:185], v[186:187], v[56:57]
	s_waitcnt vmcnt(11)
	v_add_f64 v[40:41], v[40:41], -v[58:59]
	v_add_f64 v[42:43], v[42:43], -v[184:185]
	;; [unrolled: 18-line block ×7, first 2 shown]
	s_waitcnt lgkmcnt(0)
	v_mul_f64 v[58:59], v[202:203], v[194:195]
	v_mul_f64 v[184:185], v[200:201], v[194:195]
	v_fma_f64 v[58:59], v[200:201], v[56:57], -v[58:59]
	v_fmac_f64_e32 v[184:185], v[202:203], v[56:57]
	s_waitcnt vmcnt(0)
	v_add_f64 v[180:181], v[180:181], -v[58:59]
	v_add_f64 v[182:183], v[182:183], -v[184:185]
	v_mov_b64_e32 v[58:59], v[194:195]
.LBB90_650:
	s_or_b64 exec, exec, s[0:1]
	v_lshl_add_u32 v184, v197, 4, v196
	s_barrier
	s_waitcnt vmcnt(14)
	ds_write2_b64 v184, v[52:53], v[54:55] offset1:1
	s_waitcnt lgkmcnt(0)
	s_barrier
	ds_read2_b64 v[184:187], v196 offset0:62 offset1:63
	s_cmp_lt_i32 s20, 33
	v_mov_b32_e32 v194, 31
	s_cbranch_scc1 .LBB90_653
; %bb.651:
	v_add_u32_e32 v195, 0x200, v196
	s_mov_b32 s16, 32
	v_mov_b32_e32 v194, 31
.LBB90_652:                             ; =>This Inner Loop Header: Depth=1
	ds_read2_b64 v[200:203], v195 offset1:1
	s_waitcnt lgkmcnt(1)
	v_xor_b32_e32 v205, 0x80000000, v185
	v_xor_b32_e32 v207, 0x80000000, v187
	v_cmp_gt_f64_e32 vcc, 0, v[186:187]
	v_cmp_gt_f64_e64 s[0:1], 0, v[184:185]
	v_mov_b32_e32 v204, v184
	v_mov_b32_e32 v206, v186
	v_cndmask_b32_e64 v205, v185, v205, s[0:1]
	v_cndmask_b32_e32 v207, v187, v207, vcc
	v_add_f64 v[204:205], v[204:205], v[206:207]
	s_waitcnt lgkmcnt(0)
	v_xor_b32_e32 v207, 0x80000000, v201
	v_xor_b32_e32 v209, 0x80000000, v203
	v_cmp_gt_f64_e32 vcc, 0, v[202:203]
	v_cmp_gt_f64_e64 s[0:1], 0, v[200:201]
	v_mov_b32_e32 v206, v200
	v_mov_b32_e32 v208, v202
	v_cndmask_b32_e64 v207, v201, v207, s[0:1]
	v_cndmask_b32_e32 v209, v203, v209, vcc
	v_add_f64 v[206:207], v[206:207], v[208:209]
	v_mov_b32_e32 v210, s16
	s_add_i32 s16, s16, 1
	v_cmp_lt_f64_e32 vcc, v[204:205], v[206:207]
	v_add_u32_e32 v195, 16, v195
	s_cmp_lg_u32 s20, s16
	v_cndmask_b32_e32 v185, v185, v201, vcc
	v_cndmask_b32_e32 v184, v184, v200, vcc
	;; [unrolled: 1-line block ×5, first 2 shown]
	s_cbranch_scc1 .LBB90_652
.LBB90_653:
	s_waitcnt lgkmcnt(0)
	v_cmp_eq_f64_e32 vcc, 0, v[184:185]
	v_cmp_eq_f64_e64 s[0:1], 0, v[186:187]
	s_and_b64 s[0:1], vcc, s[0:1]
	s_and_saveexec_b64 s[16:17], s[0:1]
	s_xor_b64 s[0:1], exec, s[16:17]
; %bb.654:
	v_cmp_ne_u32_e32 vcc, 0, v198
	s_nop 1
	v_cndmask_b32_e32 v198, 32, v198, vcc
; %bb.655:
	s_andn2_saveexec_b64 s[0:1], s[0:1]
	s_cbranch_execz .LBB90_661
; %bb.656:
	v_cmp_ngt_f64_e64 s[16:17], |v[184:185]|, |v[186:187]|
	s_and_saveexec_b64 s[18:19], s[16:17]
	s_xor_b64 s[16:17], exec, s[18:19]
	s_cbranch_execz .LBB90_658
; %bb.657:
	v_div_scale_f64 v[200:201], s[18:19], v[186:187], v[186:187], v[184:185]
	v_rcp_f64_e32 v[202:203], v[200:201]
	v_div_scale_f64 v[204:205], vcc, v[184:185], v[186:187], v[184:185]
	v_fma_f64 v[206:207], -v[200:201], v[202:203], 1.0
	v_fmac_f64_e32 v[202:203], v[202:203], v[206:207]
	v_fma_f64 v[206:207], -v[200:201], v[202:203], 1.0
	v_fmac_f64_e32 v[202:203], v[202:203], v[206:207]
	v_mul_f64 v[206:207], v[204:205], v[202:203]
	v_fma_f64 v[200:201], -v[200:201], v[206:207], v[204:205]
	v_div_fmas_f64 v[200:201], v[200:201], v[202:203], v[206:207]
	v_div_fixup_f64 v[200:201], v[200:201], v[186:187], v[184:185]
	v_fmac_f64_e32 v[186:187], v[184:185], v[200:201]
	v_div_scale_f64 v[184:185], s[18:19], v[186:187], v[186:187], 1.0
	v_rcp_f64_e32 v[202:203], v[184:185]
	s_nop 0
	v_fma_f64 v[204:205], -v[184:185], v[202:203], 1.0
	v_fmac_f64_e32 v[202:203], v[202:203], v[204:205]
	v_fma_f64 v[204:205], -v[184:185], v[202:203], 1.0
	v_fmac_f64_e32 v[202:203], v[202:203], v[204:205]
	v_div_scale_f64 v[204:205], vcc, 1.0, v[186:187], 1.0
	v_mul_f64 v[206:207], v[204:205], v[202:203]
	v_fma_f64 v[184:185], -v[184:185], v[206:207], v[204:205]
	s_nop 1
	v_div_fmas_f64 v[184:185], v[184:185], v[202:203], v[206:207]
	v_div_fixup_f64 v[186:187], v[184:185], v[186:187], 1.0
	v_mul_f64 v[184:185], v[200:201], v[186:187]
	v_xor_b32_e32 v187, 0x80000000, v187
.LBB90_658:
	s_andn2_saveexec_b64 s[16:17], s[16:17]
	s_cbranch_execz .LBB90_660
; %bb.659:
	v_div_scale_f64 v[200:201], s[18:19], v[184:185], v[184:185], v[186:187]
	v_rcp_f64_e32 v[202:203], v[200:201]
	v_div_scale_f64 v[204:205], vcc, v[186:187], v[184:185], v[186:187]
	v_fma_f64 v[206:207], -v[200:201], v[202:203], 1.0
	v_fmac_f64_e32 v[202:203], v[202:203], v[206:207]
	v_fma_f64 v[206:207], -v[200:201], v[202:203], 1.0
	v_fmac_f64_e32 v[202:203], v[202:203], v[206:207]
	v_mul_f64 v[206:207], v[204:205], v[202:203]
	v_fma_f64 v[200:201], -v[200:201], v[206:207], v[204:205]
	v_div_fmas_f64 v[200:201], v[200:201], v[202:203], v[206:207]
	v_div_fixup_f64 v[200:201], v[200:201], v[184:185], v[186:187]
	v_fmac_f64_e32 v[184:185], v[186:187], v[200:201]
	v_div_scale_f64 v[186:187], s[18:19], v[184:185], v[184:185], 1.0
	v_rcp_f64_e32 v[202:203], v[186:187]
	s_nop 0
	v_fma_f64 v[204:205], -v[186:187], v[202:203], 1.0
	v_fmac_f64_e32 v[202:203], v[202:203], v[204:205]
	v_fma_f64 v[204:205], -v[186:187], v[202:203], 1.0
	v_fmac_f64_e32 v[202:203], v[202:203], v[204:205]
	v_div_scale_f64 v[204:205], vcc, 1.0, v[184:185], 1.0
	v_mul_f64 v[206:207], v[204:205], v[202:203]
	v_fma_f64 v[186:187], -v[186:187], v[206:207], v[204:205]
	s_nop 1
	v_div_fmas_f64 v[186:187], v[186:187], v[202:203], v[206:207]
	v_div_fixup_f64 v[184:185], v[186:187], v[184:185], 1.0
	v_mul_f64 v[186:187], v[200:201], -v[184:185]
.LBB90_660:
	s_or_b64 exec, exec, s[16:17]
.LBB90_661:
	s_or_b64 exec, exec, s[0:1]
	v_cmp_ne_u32_e32 vcc, v197, v194
	s_and_saveexec_b64 s[0:1], vcc
	s_xor_b64 s[0:1], exec, s[0:1]
	s_cbranch_execz .LBB90_667
; %bb.662:
	v_cmp_eq_u32_e32 vcc, 31, v197
	s_and_saveexec_b64 s[16:17], vcc
	s_cbranch_execz .LBB90_666
; %bb.663:
	v_cmp_ne_u32_e32 vcc, 31, v194
	s_xor_b64 s[18:19], s[14:15], -1
	s_and_b64 s[22:23], s[18:19], vcc
	s_and_saveexec_b64 s[18:19], s[22:23]
	s_cbranch_execz .LBB90_665
; %bb.664:
	v_ashrrev_i32_e32 v195, 31, v194
	v_lshl_add_u64 v[200:201], v[194:195], 2, v[192:193]
	global_load_dword v195, v[200:201], off
	global_load_dword v197, v[192:193], off offset:124
	s_waitcnt vmcnt(1)
	global_store_dword v[192:193], v195, off offset:124
	s_waitcnt vmcnt(1)
	global_store_dword v[200:201], v197, off
.LBB90_665:
	s_or_b64 exec, exec, s[18:19]
	v_mov_b32_e32 v197, v194
	v_mov_b32_e32 v199, v194
.LBB90_666:
	s_or_b64 exec, exec, s[16:17]
.LBB90_667:
	s_andn2_saveexec_b64 s[0:1], s[0:1]
	s_cbranch_execz .LBB90_669
; %bb.668:
	v_mov_b32_e32 v197, 31
	s_waitcnt vmcnt(13)
	ds_write2_b64 v196, v[48:49], v[50:51] offset0:64 offset1:65
	s_waitcnt vmcnt(12)
	ds_write2_b64 v196, v[44:45], v[46:47] offset0:66 offset1:67
	;; [unrolled: 2-line block ×14, first 2 shown]
.LBB90_669:
	s_or_b64 exec, exec, s[0:1]
	v_cmp_lt_i32_e32 vcc, 31, v197
	s_waitcnt lgkmcnt(0)
	s_barrier
	s_and_saveexec_b64 s[0:1], vcc
	s_cbranch_execz .LBB90_671
; %bb.670:
	ds_read2_b64 v[200:203], v196 offset0:64 offset1:65
	v_mul_f64 v[194:195], v[184:185], v[54:55]
	v_mul_f64 v[54:55], v[186:187], v[54:55]
	v_fmac_f64_e32 v[194:195], v[186:187], v[52:53]
	v_fma_f64 v[52:53], v[184:185], v[52:53], -v[54:55]
	ds_read2_b64 v[184:187], v196 offset0:66 offset1:67
	s_waitcnt lgkmcnt(1)
	v_mul_f64 v[54:55], v[202:203], v[194:195]
	v_fma_f64 v[54:55], v[200:201], v[52:53], -v[54:55]
	v_mul_f64 v[200:201], v[200:201], v[194:195]
	v_fmac_f64_e32 v[200:201], v[202:203], v[52:53]
	s_waitcnt vmcnt(13)
	v_add_f64 v[48:49], v[48:49], -v[54:55]
	s_waitcnt lgkmcnt(0)
	v_mul_f64 v[54:55], v[186:187], v[194:195]
	v_add_f64 v[50:51], v[50:51], -v[200:201]
	v_fma_f64 v[54:55], v[184:185], v[52:53], -v[54:55]
	v_mul_f64 v[184:185], v[184:185], v[194:195]
	ds_read2_b64 v[200:203], v196 offset0:68 offset1:69
	v_fmac_f64_e32 v[184:185], v[186:187], v[52:53]
	s_waitcnt vmcnt(12)
	v_add_f64 v[46:47], v[46:47], -v[184:185]
	ds_read2_b64 v[184:187], v196 offset0:70 offset1:71
	v_add_f64 v[44:45], v[44:45], -v[54:55]
	s_waitcnt lgkmcnt(1)
	v_mul_f64 v[54:55], v[202:203], v[194:195]
	v_fma_f64 v[54:55], v[200:201], v[52:53], -v[54:55]
	v_mul_f64 v[200:201], v[200:201], v[194:195]
	v_fmac_f64_e32 v[200:201], v[202:203], v[52:53]
	s_waitcnt vmcnt(11)
	v_add_f64 v[40:41], v[40:41], -v[54:55]
	s_waitcnt lgkmcnt(0)
	v_mul_f64 v[54:55], v[186:187], v[194:195]
	v_add_f64 v[42:43], v[42:43], -v[200:201]
	v_fma_f64 v[54:55], v[184:185], v[52:53], -v[54:55]
	v_mul_f64 v[184:185], v[184:185], v[194:195]
	ds_read2_b64 v[200:203], v196 offset0:72 offset1:73
	v_fmac_f64_e32 v[184:185], v[186:187], v[52:53]
	s_waitcnt vmcnt(10)
	v_add_f64 v[38:39], v[38:39], -v[184:185]
	ds_read2_b64 v[184:187], v196 offset0:74 offset1:75
	v_add_f64 v[36:37], v[36:37], -v[54:55]
	;; [unrolled: 18-line block ×6, first 2 shown]
	s_waitcnt lgkmcnt(1)
	v_mul_f64 v[54:55], v[202:203], v[194:195]
	v_fma_f64 v[54:55], v[200:201], v[52:53], -v[54:55]
	s_waitcnt vmcnt(1)
	v_add_f64 v[0:1], v[0:1], -v[54:55]
	s_waitcnt lgkmcnt(0)
	v_mul_f64 v[54:55], v[186:187], v[194:195]
	v_mul_f64 v[200:201], v[200:201], v[194:195]
	v_fma_f64 v[54:55], v[184:185], v[52:53], -v[54:55]
	v_mul_f64 v[184:185], v[184:185], v[194:195]
	v_fmac_f64_e32 v[200:201], v[202:203], v[52:53]
	v_fmac_f64_e32 v[184:185], v[186:187], v[52:53]
	v_add_f64 v[2:3], v[2:3], -v[200:201]
	s_waitcnt vmcnt(0)
	v_add_f64 v[180:181], v[180:181], -v[54:55]
	v_add_f64 v[182:183], v[182:183], -v[184:185]
	v_mov_b64_e32 v[54:55], v[194:195]
.LBB90_671:
	s_or_b64 exec, exec, s[0:1]
	v_lshl_add_u32 v184, v197, 4, v196
	s_barrier
	s_waitcnt vmcnt(13)
	ds_write2_b64 v184, v[48:49], v[50:51] offset1:1
	s_waitcnt lgkmcnt(0)
	s_barrier
	ds_read2_b64 v[184:187], v196 offset0:64 offset1:65
	s_cmp_lt_i32 s20, 34
	v_mov_b32_e32 v194, 32
	s_cbranch_scc1 .LBB90_674
; %bb.672:
	v_add_u32_e32 v195, 0x210, v196
	s_mov_b32 s16, 33
	v_mov_b32_e32 v194, 32
.LBB90_673:                             ; =>This Inner Loop Header: Depth=1
	ds_read2_b64 v[200:203], v195 offset1:1
	s_waitcnt lgkmcnt(1)
	v_xor_b32_e32 v205, 0x80000000, v185
	v_xor_b32_e32 v207, 0x80000000, v187
	v_cmp_gt_f64_e32 vcc, 0, v[186:187]
	v_cmp_gt_f64_e64 s[0:1], 0, v[184:185]
	v_mov_b32_e32 v204, v184
	v_mov_b32_e32 v206, v186
	v_cndmask_b32_e64 v205, v185, v205, s[0:1]
	v_cndmask_b32_e32 v207, v187, v207, vcc
	v_add_f64 v[204:205], v[204:205], v[206:207]
	s_waitcnt lgkmcnt(0)
	v_xor_b32_e32 v207, 0x80000000, v201
	v_xor_b32_e32 v209, 0x80000000, v203
	v_cmp_gt_f64_e32 vcc, 0, v[202:203]
	v_cmp_gt_f64_e64 s[0:1], 0, v[200:201]
	v_mov_b32_e32 v206, v200
	v_mov_b32_e32 v208, v202
	v_cndmask_b32_e64 v207, v201, v207, s[0:1]
	v_cndmask_b32_e32 v209, v203, v209, vcc
	v_add_f64 v[206:207], v[206:207], v[208:209]
	v_mov_b32_e32 v210, s16
	s_add_i32 s16, s16, 1
	v_cmp_lt_f64_e32 vcc, v[204:205], v[206:207]
	v_add_u32_e32 v195, 16, v195
	s_cmp_lg_u32 s20, s16
	v_cndmask_b32_e32 v185, v185, v201, vcc
	v_cndmask_b32_e32 v184, v184, v200, vcc
	;; [unrolled: 1-line block ×5, first 2 shown]
	s_cbranch_scc1 .LBB90_673
.LBB90_674:
	s_waitcnt lgkmcnt(0)
	v_cmp_eq_f64_e32 vcc, 0, v[184:185]
	v_cmp_eq_f64_e64 s[0:1], 0, v[186:187]
	s_and_b64 s[0:1], vcc, s[0:1]
	s_and_saveexec_b64 s[16:17], s[0:1]
	s_xor_b64 s[0:1], exec, s[16:17]
; %bb.675:
	v_cmp_ne_u32_e32 vcc, 0, v198
	s_nop 1
	v_cndmask_b32_e32 v198, 33, v198, vcc
; %bb.676:
	s_andn2_saveexec_b64 s[0:1], s[0:1]
	s_cbranch_execz .LBB90_682
; %bb.677:
	v_cmp_ngt_f64_e64 s[16:17], |v[184:185]|, |v[186:187]|
	s_and_saveexec_b64 s[18:19], s[16:17]
	s_xor_b64 s[16:17], exec, s[18:19]
	s_cbranch_execz .LBB90_679
; %bb.678:
	v_div_scale_f64 v[200:201], s[18:19], v[186:187], v[186:187], v[184:185]
	v_rcp_f64_e32 v[202:203], v[200:201]
	v_div_scale_f64 v[204:205], vcc, v[184:185], v[186:187], v[184:185]
	v_fma_f64 v[206:207], -v[200:201], v[202:203], 1.0
	v_fmac_f64_e32 v[202:203], v[202:203], v[206:207]
	v_fma_f64 v[206:207], -v[200:201], v[202:203], 1.0
	v_fmac_f64_e32 v[202:203], v[202:203], v[206:207]
	v_mul_f64 v[206:207], v[204:205], v[202:203]
	v_fma_f64 v[200:201], -v[200:201], v[206:207], v[204:205]
	v_div_fmas_f64 v[200:201], v[200:201], v[202:203], v[206:207]
	v_div_fixup_f64 v[200:201], v[200:201], v[186:187], v[184:185]
	v_fmac_f64_e32 v[186:187], v[184:185], v[200:201]
	v_div_scale_f64 v[184:185], s[18:19], v[186:187], v[186:187], 1.0
	v_rcp_f64_e32 v[202:203], v[184:185]
	s_nop 0
	v_fma_f64 v[204:205], -v[184:185], v[202:203], 1.0
	v_fmac_f64_e32 v[202:203], v[202:203], v[204:205]
	v_fma_f64 v[204:205], -v[184:185], v[202:203], 1.0
	v_fmac_f64_e32 v[202:203], v[202:203], v[204:205]
	v_div_scale_f64 v[204:205], vcc, 1.0, v[186:187], 1.0
	v_mul_f64 v[206:207], v[204:205], v[202:203]
	v_fma_f64 v[184:185], -v[184:185], v[206:207], v[204:205]
	s_nop 1
	v_div_fmas_f64 v[184:185], v[184:185], v[202:203], v[206:207]
	v_div_fixup_f64 v[186:187], v[184:185], v[186:187], 1.0
	v_mul_f64 v[184:185], v[200:201], v[186:187]
	v_xor_b32_e32 v187, 0x80000000, v187
.LBB90_679:
	s_andn2_saveexec_b64 s[16:17], s[16:17]
	s_cbranch_execz .LBB90_681
; %bb.680:
	v_div_scale_f64 v[200:201], s[18:19], v[184:185], v[184:185], v[186:187]
	v_rcp_f64_e32 v[202:203], v[200:201]
	v_div_scale_f64 v[204:205], vcc, v[186:187], v[184:185], v[186:187]
	v_fma_f64 v[206:207], -v[200:201], v[202:203], 1.0
	v_fmac_f64_e32 v[202:203], v[202:203], v[206:207]
	v_fma_f64 v[206:207], -v[200:201], v[202:203], 1.0
	v_fmac_f64_e32 v[202:203], v[202:203], v[206:207]
	v_mul_f64 v[206:207], v[204:205], v[202:203]
	v_fma_f64 v[200:201], -v[200:201], v[206:207], v[204:205]
	v_div_fmas_f64 v[200:201], v[200:201], v[202:203], v[206:207]
	v_div_fixup_f64 v[200:201], v[200:201], v[184:185], v[186:187]
	v_fmac_f64_e32 v[184:185], v[186:187], v[200:201]
	v_div_scale_f64 v[186:187], s[18:19], v[184:185], v[184:185], 1.0
	v_rcp_f64_e32 v[202:203], v[186:187]
	s_nop 0
	v_fma_f64 v[204:205], -v[186:187], v[202:203], 1.0
	v_fmac_f64_e32 v[202:203], v[202:203], v[204:205]
	v_fma_f64 v[204:205], -v[186:187], v[202:203], 1.0
	v_fmac_f64_e32 v[202:203], v[202:203], v[204:205]
	v_div_scale_f64 v[204:205], vcc, 1.0, v[184:185], 1.0
	v_mul_f64 v[206:207], v[204:205], v[202:203]
	v_fma_f64 v[186:187], -v[186:187], v[206:207], v[204:205]
	s_nop 1
	v_div_fmas_f64 v[186:187], v[186:187], v[202:203], v[206:207]
	v_div_fixup_f64 v[184:185], v[186:187], v[184:185], 1.0
	v_mul_f64 v[186:187], v[200:201], -v[184:185]
.LBB90_681:
	s_or_b64 exec, exec, s[16:17]
.LBB90_682:
	s_or_b64 exec, exec, s[0:1]
	v_cmp_ne_u32_e32 vcc, v197, v194
	s_and_saveexec_b64 s[0:1], vcc
	s_xor_b64 s[0:1], exec, s[0:1]
	s_cbranch_execz .LBB90_688
; %bb.683:
	v_cmp_eq_u32_e32 vcc, 32, v197
	s_and_saveexec_b64 s[16:17], vcc
	s_cbranch_execz .LBB90_687
; %bb.684:
	v_cmp_ne_u32_e32 vcc, 32, v194
	s_xor_b64 s[18:19], s[14:15], -1
	s_and_b64 s[22:23], s[18:19], vcc
	s_and_saveexec_b64 s[18:19], s[22:23]
	s_cbranch_execz .LBB90_686
; %bb.685:
	v_ashrrev_i32_e32 v195, 31, v194
	v_lshl_add_u64 v[200:201], v[194:195], 2, v[192:193]
	global_load_dword v195, v[200:201], off
	global_load_dword v197, v[192:193], off offset:128
	s_waitcnt vmcnt(1)
	global_store_dword v[192:193], v195, off offset:128
	s_waitcnt vmcnt(1)
	global_store_dword v[200:201], v197, off
.LBB90_686:
	s_or_b64 exec, exec, s[18:19]
	v_mov_b32_e32 v197, v194
	v_mov_b32_e32 v199, v194
.LBB90_687:
	s_or_b64 exec, exec, s[16:17]
.LBB90_688:
	s_andn2_saveexec_b64 s[0:1], s[0:1]
	s_cbranch_execz .LBB90_690
; %bb.689:
	v_mov_b32_e32 v197, 32
	s_waitcnt vmcnt(12)
	ds_write2_b64 v196, v[44:45], v[46:47] offset0:66 offset1:67
	s_waitcnt vmcnt(11)
	ds_write2_b64 v196, v[40:41], v[42:43] offset0:68 offset1:69
	;; [unrolled: 2-line block ×13, first 2 shown]
.LBB90_690:
	s_or_b64 exec, exec, s[0:1]
	v_cmp_lt_i32_e32 vcc, 32, v197
	s_waitcnt lgkmcnt(0)
	s_barrier
	s_and_saveexec_b64 s[0:1], vcc
	s_cbranch_execz .LBB90_692
; %bb.691:
	ds_read2_b64 v[200:203], v196 offset0:66 offset1:67
	v_mul_f64 v[194:195], v[184:185], v[50:51]
	v_fmac_f64_e32 v[194:195], v[186:187], v[48:49]
	v_mul_f64 v[50:51], v[186:187], v[50:51]
	v_fma_f64 v[48:49], v[184:185], v[48:49], -v[50:51]
	ds_read2_b64 v[184:187], v196 offset0:68 offset1:69
	s_waitcnt lgkmcnt(1)
	v_mul_f64 v[50:51], v[202:203], v[194:195]
	v_fma_f64 v[50:51], v[200:201], v[48:49], -v[50:51]
	v_mul_f64 v[200:201], v[200:201], v[194:195]
	v_fmac_f64_e32 v[200:201], v[202:203], v[48:49]
	s_waitcnt vmcnt(12)
	v_add_f64 v[46:47], v[46:47], -v[200:201]
	ds_read2_b64 v[200:203], v196 offset0:70 offset1:71
	v_add_f64 v[44:45], v[44:45], -v[50:51]
	s_waitcnt lgkmcnt(1)
	v_mul_f64 v[50:51], v[186:187], v[194:195]
	v_fma_f64 v[50:51], v[184:185], v[48:49], -v[50:51]
	v_mul_f64 v[184:185], v[184:185], v[194:195]
	v_fmac_f64_e32 v[184:185], v[186:187], v[48:49]
	s_waitcnt vmcnt(11)
	v_add_f64 v[40:41], v[40:41], -v[50:51]
	v_add_f64 v[42:43], v[42:43], -v[184:185]
	ds_read2_b64 v[184:187], v196 offset0:72 offset1:73
	s_waitcnt lgkmcnt(1)
	v_mul_f64 v[50:51], v[202:203], v[194:195]
	v_fma_f64 v[50:51], v[200:201], v[48:49], -v[50:51]
	v_mul_f64 v[200:201], v[200:201], v[194:195]
	v_fmac_f64_e32 v[200:201], v[202:203], v[48:49]
	s_waitcnt vmcnt(10)
	v_add_f64 v[38:39], v[38:39], -v[200:201]
	ds_read2_b64 v[200:203], v196 offset0:74 offset1:75
	v_add_f64 v[36:37], v[36:37], -v[50:51]
	s_waitcnt lgkmcnt(1)
	v_mul_f64 v[50:51], v[186:187], v[194:195]
	v_fma_f64 v[50:51], v[184:185], v[48:49], -v[50:51]
	v_mul_f64 v[184:185], v[184:185], v[194:195]
	v_fmac_f64_e32 v[184:185], v[186:187], v[48:49]
	s_waitcnt vmcnt(9)
	v_add_f64 v[32:33], v[32:33], -v[50:51]
	v_add_f64 v[34:35], v[34:35], -v[184:185]
	ds_read2_b64 v[184:187], v196 offset0:76 offset1:77
	s_waitcnt lgkmcnt(1)
	v_mul_f64 v[50:51], v[202:203], v[194:195]
	v_fma_f64 v[50:51], v[200:201], v[48:49], -v[50:51]
	v_mul_f64 v[200:201], v[200:201], v[194:195]
	v_fmac_f64_e32 v[200:201], v[202:203], v[48:49]
	s_waitcnt vmcnt(8)
	v_add_f64 v[30:31], v[30:31], -v[200:201]
	ds_read2_b64 v[200:203], v196 offset0:78 offset1:79
	v_add_f64 v[28:29], v[28:29], -v[50:51]
	s_waitcnt lgkmcnt(1)
	v_mul_f64 v[50:51], v[186:187], v[194:195]
	v_fma_f64 v[50:51], v[184:185], v[48:49], -v[50:51]
	v_mul_f64 v[184:185], v[184:185], v[194:195]
	v_fmac_f64_e32 v[184:185], v[186:187], v[48:49]
	s_waitcnt vmcnt(7)
	v_add_f64 v[24:25], v[24:25], -v[50:51]
	v_add_f64 v[26:27], v[26:27], -v[184:185]
	ds_read2_b64 v[184:187], v196 offset0:80 offset1:81
	s_waitcnt lgkmcnt(1)
	v_mul_f64 v[50:51], v[202:203], v[194:195]
	v_fma_f64 v[50:51], v[200:201], v[48:49], -v[50:51]
	v_mul_f64 v[200:201], v[200:201], v[194:195]
	v_fmac_f64_e32 v[200:201], v[202:203], v[48:49]
	s_waitcnt vmcnt(6)
	v_add_f64 v[22:23], v[22:23], -v[200:201]
	ds_read2_b64 v[200:203], v196 offset0:82 offset1:83
	v_add_f64 v[20:21], v[20:21], -v[50:51]
	s_waitcnt lgkmcnt(1)
	v_mul_f64 v[50:51], v[186:187], v[194:195]
	v_fma_f64 v[50:51], v[184:185], v[48:49], -v[50:51]
	v_mul_f64 v[184:185], v[184:185], v[194:195]
	v_fmac_f64_e32 v[184:185], v[186:187], v[48:49]
	s_waitcnt vmcnt(5)
	v_add_f64 v[16:17], v[16:17], -v[50:51]
	v_add_f64 v[18:19], v[18:19], -v[184:185]
	ds_read2_b64 v[184:187], v196 offset0:84 offset1:85
	s_waitcnt lgkmcnt(1)
	v_mul_f64 v[50:51], v[202:203], v[194:195]
	v_fma_f64 v[50:51], v[200:201], v[48:49], -v[50:51]
	v_mul_f64 v[200:201], v[200:201], v[194:195]
	v_fmac_f64_e32 v[200:201], v[202:203], v[48:49]
	s_waitcnt vmcnt(4)
	v_add_f64 v[14:15], v[14:15], -v[200:201]
	ds_read2_b64 v[200:203], v196 offset0:86 offset1:87
	v_add_f64 v[12:13], v[12:13], -v[50:51]
	s_waitcnt lgkmcnt(1)
	v_mul_f64 v[50:51], v[186:187], v[194:195]
	v_fma_f64 v[50:51], v[184:185], v[48:49], -v[50:51]
	v_mul_f64 v[184:185], v[184:185], v[194:195]
	v_fmac_f64_e32 v[184:185], v[186:187], v[48:49]
	s_waitcnt vmcnt(3)
	v_add_f64 v[8:9], v[8:9], -v[50:51]
	v_add_f64 v[10:11], v[10:11], -v[184:185]
	ds_read2_b64 v[184:187], v196 offset0:88 offset1:89
	s_waitcnt lgkmcnt(1)
	v_mul_f64 v[50:51], v[202:203], v[194:195]
	v_fma_f64 v[50:51], v[200:201], v[48:49], -v[50:51]
	v_mul_f64 v[200:201], v[200:201], v[194:195]
	v_fmac_f64_e32 v[200:201], v[202:203], v[48:49]
	s_waitcnt vmcnt(2)
	v_add_f64 v[6:7], v[6:7], -v[200:201]
	ds_read2_b64 v[200:203], v196 offset0:90 offset1:91
	v_add_f64 v[4:5], v[4:5], -v[50:51]
	s_waitcnt lgkmcnt(1)
	v_mul_f64 v[50:51], v[186:187], v[194:195]
	v_fma_f64 v[50:51], v[184:185], v[48:49], -v[50:51]
	v_mul_f64 v[184:185], v[184:185], v[194:195]
	v_fmac_f64_e32 v[184:185], v[186:187], v[48:49]
	s_waitcnt vmcnt(1)
	v_add_f64 v[0:1], v[0:1], -v[50:51]
	v_add_f64 v[2:3], v[2:3], -v[184:185]
	s_waitcnt lgkmcnt(0)
	v_mul_f64 v[50:51], v[202:203], v[194:195]
	v_mul_f64 v[184:185], v[200:201], v[194:195]
	v_fma_f64 v[50:51], v[200:201], v[48:49], -v[50:51]
	v_fmac_f64_e32 v[184:185], v[202:203], v[48:49]
	s_waitcnt vmcnt(0)
	v_add_f64 v[180:181], v[180:181], -v[50:51]
	v_add_f64 v[182:183], v[182:183], -v[184:185]
	v_mov_b64_e32 v[50:51], v[194:195]
.LBB90_692:
	s_or_b64 exec, exec, s[0:1]
	v_lshl_add_u32 v184, v197, 4, v196
	s_barrier
	s_waitcnt vmcnt(12)
	ds_write2_b64 v184, v[44:45], v[46:47] offset1:1
	s_waitcnt lgkmcnt(0)
	s_barrier
	ds_read2_b64 v[184:187], v196 offset0:66 offset1:67
	s_cmp_lt_i32 s20, 35
	v_mov_b32_e32 v194, 33
	s_cbranch_scc1 .LBB90_695
; %bb.693:
	v_add_u32_e32 v195, 0x220, v196
	s_mov_b32 s16, 34
	v_mov_b32_e32 v194, 33
.LBB90_694:                             ; =>This Inner Loop Header: Depth=1
	ds_read2_b64 v[200:203], v195 offset1:1
	s_waitcnt lgkmcnt(1)
	v_xor_b32_e32 v205, 0x80000000, v185
	v_xor_b32_e32 v207, 0x80000000, v187
	v_cmp_gt_f64_e32 vcc, 0, v[186:187]
	v_cmp_gt_f64_e64 s[0:1], 0, v[184:185]
	v_mov_b32_e32 v204, v184
	v_mov_b32_e32 v206, v186
	v_cndmask_b32_e64 v205, v185, v205, s[0:1]
	v_cndmask_b32_e32 v207, v187, v207, vcc
	v_add_f64 v[204:205], v[204:205], v[206:207]
	s_waitcnt lgkmcnt(0)
	v_xor_b32_e32 v207, 0x80000000, v201
	v_xor_b32_e32 v209, 0x80000000, v203
	v_cmp_gt_f64_e32 vcc, 0, v[202:203]
	v_cmp_gt_f64_e64 s[0:1], 0, v[200:201]
	v_mov_b32_e32 v206, v200
	v_mov_b32_e32 v208, v202
	v_cndmask_b32_e64 v207, v201, v207, s[0:1]
	v_cndmask_b32_e32 v209, v203, v209, vcc
	v_add_f64 v[206:207], v[206:207], v[208:209]
	v_mov_b32_e32 v210, s16
	s_add_i32 s16, s16, 1
	v_cmp_lt_f64_e32 vcc, v[204:205], v[206:207]
	v_add_u32_e32 v195, 16, v195
	s_cmp_lg_u32 s20, s16
	v_cndmask_b32_e32 v185, v185, v201, vcc
	v_cndmask_b32_e32 v184, v184, v200, vcc
	;; [unrolled: 1-line block ×5, first 2 shown]
	s_cbranch_scc1 .LBB90_694
.LBB90_695:
	s_waitcnt lgkmcnt(0)
	v_cmp_eq_f64_e32 vcc, 0, v[184:185]
	v_cmp_eq_f64_e64 s[0:1], 0, v[186:187]
	s_and_b64 s[0:1], vcc, s[0:1]
	s_and_saveexec_b64 s[16:17], s[0:1]
	s_xor_b64 s[0:1], exec, s[16:17]
; %bb.696:
	v_cmp_ne_u32_e32 vcc, 0, v198
	s_nop 1
	v_cndmask_b32_e32 v198, 34, v198, vcc
; %bb.697:
	s_andn2_saveexec_b64 s[0:1], s[0:1]
	s_cbranch_execz .LBB90_703
; %bb.698:
	v_cmp_ngt_f64_e64 s[16:17], |v[184:185]|, |v[186:187]|
	s_and_saveexec_b64 s[18:19], s[16:17]
	s_xor_b64 s[16:17], exec, s[18:19]
	s_cbranch_execz .LBB90_700
; %bb.699:
	v_div_scale_f64 v[200:201], s[18:19], v[186:187], v[186:187], v[184:185]
	v_rcp_f64_e32 v[202:203], v[200:201]
	v_div_scale_f64 v[204:205], vcc, v[184:185], v[186:187], v[184:185]
	v_fma_f64 v[206:207], -v[200:201], v[202:203], 1.0
	v_fmac_f64_e32 v[202:203], v[202:203], v[206:207]
	v_fma_f64 v[206:207], -v[200:201], v[202:203], 1.0
	v_fmac_f64_e32 v[202:203], v[202:203], v[206:207]
	v_mul_f64 v[206:207], v[204:205], v[202:203]
	v_fma_f64 v[200:201], -v[200:201], v[206:207], v[204:205]
	v_div_fmas_f64 v[200:201], v[200:201], v[202:203], v[206:207]
	v_div_fixup_f64 v[200:201], v[200:201], v[186:187], v[184:185]
	v_fmac_f64_e32 v[186:187], v[184:185], v[200:201]
	v_div_scale_f64 v[184:185], s[18:19], v[186:187], v[186:187], 1.0
	v_rcp_f64_e32 v[202:203], v[184:185]
	s_nop 0
	v_fma_f64 v[204:205], -v[184:185], v[202:203], 1.0
	v_fmac_f64_e32 v[202:203], v[202:203], v[204:205]
	v_fma_f64 v[204:205], -v[184:185], v[202:203], 1.0
	v_fmac_f64_e32 v[202:203], v[202:203], v[204:205]
	v_div_scale_f64 v[204:205], vcc, 1.0, v[186:187], 1.0
	v_mul_f64 v[206:207], v[204:205], v[202:203]
	v_fma_f64 v[184:185], -v[184:185], v[206:207], v[204:205]
	s_nop 1
	v_div_fmas_f64 v[184:185], v[184:185], v[202:203], v[206:207]
	v_div_fixup_f64 v[186:187], v[184:185], v[186:187], 1.0
	v_mul_f64 v[184:185], v[200:201], v[186:187]
	v_xor_b32_e32 v187, 0x80000000, v187
.LBB90_700:
	s_andn2_saveexec_b64 s[16:17], s[16:17]
	s_cbranch_execz .LBB90_702
; %bb.701:
	v_div_scale_f64 v[200:201], s[18:19], v[184:185], v[184:185], v[186:187]
	v_rcp_f64_e32 v[202:203], v[200:201]
	v_div_scale_f64 v[204:205], vcc, v[186:187], v[184:185], v[186:187]
	v_fma_f64 v[206:207], -v[200:201], v[202:203], 1.0
	v_fmac_f64_e32 v[202:203], v[202:203], v[206:207]
	v_fma_f64 v[206:207], -v[200:201], v[202:203], 1.0
	v_fmac_f64_e32 v[202:203], v[202:203], v[206:207]
	v_mul_f64 v[206:207], v[204:205], v[202:203]
	v_fma_f64 v[200:201], -v[200:201], v[206:207], v[204:205]
	v_div_fmas_f64 v[200:201], v[200:201], v[202:203], v[206:207]
	v_div_fixup_f64 v[200:201], v[200:201], v[184:185], v[186:187]
	v_fmac_f64_e32 v[184:185], v[186:187], v[200:201]
	v_div_scale_f64 v[186:187], s[18:19], v[184:185], v[184:185], 1.0
	v_rcp_f64_e32 v[202:203], v[186:187]
	s_nop 0
	v_fma_f64 v[204:205], -v[186:187], v[202:203], 1.0
	v_fmac_f64_e32 v[202:203], v[202:203], v[204:205]
	v_fma_f64 v[204:205], -v[186:187], v[202:203], 1.0
	v_fmac_f64_e32 v[202:203], v[202:203], v[204:205]
	v_div_scale_f64 v[204:205], vcc, 1.0, v[184:185], 1.0
	v_mul_f64 v[206:207], v[204:205], v[202:203]
	v_fma_f64 v[186:187], -v[186:187], v[206:207], v[204:205]
	s_nop 1
	v_div_fmas_f64 v[186:187], v[186:187], v[202:203], v[206:207]
	v_div_fixup_f64 v[184:185], v[186:187], v[184:185], 1.0
	v_mul_f64 v[186:187], v[200:201], -v[184:185]
.LBB90_702:
	s_or_b64 exec, exec, s[16:17]
.LBB90_703:
	s_or_b64 exec, exec, s[0:1]
	v_cmp_ne_u32_e32 vcc, v197, v194
	s_and_saveexec_b64 s[0:1], vcc
	s_xor_b64 s[0:1], exec, s[0:1]
	s_cbranch_execz .LBB90_709
; %bb.704:
	v_cmp_eq_u32_e32 vcc, 33, v197
	s_and_saveexec_b64 s[16:17], vcc
	s_cbranch_execz .LBB90_708
; %bb.705:
	v_cmp_ne_u32_e32 vcc, 33, v194
	s_xor_b64 s[18:19], s[14:15], -1
	s_and_b64 s[22:23], s[18:19], vcc
	s_and_saveexec_b64 s[18:19], s[22:23]
	s_cbranch_execz .LBB90_707
; %bb.706:
	v_ashrrev_i32_e32 v195, 31, v194
	v_lshl_add_u64 v[200:201], v[194:195], 2, v[192:193]
	global_load_dword v195, v[200:201], off
	global_load_dword v197, v[192:193], off offset:132
	s_waitcnt vmcnt(1)
	global_store_dword v[192:193], v195, off offset:132
	s_waitcnt vmcnt(1)
	global_store_dword v[200:201], v197, off
.LBB90_707:
	s_or_b64 exec, exec, s[18:19]
	v_mov_b32_e32 v197, v194
	v_mov_b32_e32 v199, v194
.LBB90_708:
	s_or_b64 exec, exec, s[16:17]
.LBB90_709:
	s_andn2_saveexec_b64 s[0:1], s[0:1]
	s_cbranch_execz .LBB90_711
; %bb.710:
	v_mov_b32_e32 v197, 33
	s_waitcnt vmcnt(11)
	ds_write2_b64 v196, v[40:41], v[42:43] offset0:68 offset1:69
	s_waitcnt vmcnt(10)
	ds_write2_b64 v196, v[36:37], v[38:39] offset0:70 offset1:71
	;; [unrolled: 2-line block ×12, first 2 shown]
.LBB90_711:
	s_or_b64 exec, exec, s[0:1]
	v_cmp_lt_i32_e32 vcc, 33, v197
	s_waitcnt lgkmcnt(0)
	s_barrier
	s_and_saveexec_b64 s[0:1], vcc
	s_cbranch_execz .LBB90_713
; %bb.712:
	ds_read2_b64 v[200:203], v196 offset0:68 offset1:69
	v_mul_f64 v[194:195], v[184:185], v[46:47]
	v_mul_f64 v[46:47], v[186:187], v[46:47]
	v_fmac_f64_e32 v[194:195], v[186:187], v[44:45]
	v_fma_f64 v[44:45], v[184:185], v[44:45], -v[46:47]
	ds_read2_b64 v[184:187], v196 offset0:70 offset1:71
	s_waitcnt lgkmcnt(1)
	v_mul_f64 v[46:47], v[202:203], v[194:195]
	v_fma_f64 v[46:47], v[200:201], v[44:45], -v[46:47]
	v_mul_f64 v[200:201], v[200:201], v[194:195]
	v_fmac_f64_e32 v[200:201], v[202:203], v[44:45]
	s_waitcnt vmcnt(11)
	v_add_f64 v[40:41], v[40:41], -v[46:47]
	s_waitcnt lgkmcnt(0)
	v_mul_f64 v[46:47], v[186:187], v[194:195]
	v_add_f64 v[42:43], v[42:43], -v[200:201]
	v_fma_f64 v[46:47], v[184:185], v[44:45], -v[46:47]
	v_mul_f64 v[184:185], v[184:185], v[194:195]
	ds_read2_b64 v[200:203], v196 offset0:72 offset1:73
	v_fmac_f64_e32 v[184:185], v[186:187], v[44:45]
	s_waitcnt vmcnt(10)
	v_add_f64 v[38:39], v[38:39], -v[184:185]
	ds_read2_b64 v[184:187], v196 offset0:74 offset1:75
	v_add_f64 v[36:37], v[36:37], -v[46:47]
	s_waitcnt lgkmcnt(1)
	v_mul_f64 v[46:47], v[202:203], v[194:195]
	v_fma_f64 v[46:47], v[200:201], v[44:45], -v[46:47]
	v_mul_f64 v[200:201], v[200:201], v[194:195]
	v_fmac_f64_e32 v[200:201], v[202:203], v[44:45]
	s_waitcnt vmcnt(9)
	v_add_f64 v[32:33], v[32:33], -v[46:47]
	s_waitcnt lgkmcnt(0)
	v_mul_f64 v[46:47], v[186:187], v[194:195]
	v_add_f64 v[34:35], v[34:35], -v[200:201]
	v_fma_f64 v[46:47], v[184:185], v[44:45], -v[46:47]
	v_mul_f64 v[184:185], v[184:185], v[194:195]
	ds_read2_b64 v[200:203], v196 offset0:76 offset1:77
	v_fmac_f64_e32 v[184:185], v[186:187], v[44:45]
	s_waitcnt vmcnt(8)
	v_add_f64 v[30:31], v[30:31], -v[184:185]
	ds_read2_b64 v[184:187], v196 offset0:78 offset1:79
	v_add_f64 v[28:29], v[28:29], -v[46:47]
	;; [unrolled: 18-line block ×5, first 2 shown]
	s_waitcnt lgkmcnt(1)
	v_mul_f64 v[46:47], v[202:203], v[194:195]
	v_fma_f64 v[46:47], v[200:201], v[44:45], -v[46:47]
	s_waitcnt vmcnt(1)
	v_add_f64 v[0:1], v[0:1], -v[46:47]
	s_waitcnt lgkmcnt(0)
	v_mul_f64 v[46:47], v[186:187], v[194:195]
	v_mul_f64 v[200:201], v[200:201], v[194:195]
	v_fma_f64 v[46:47], v[184:185], v[44:45], -v[46:47]
	v_mul_f64 v[184:185], v[184:185], v[194:195]
	v_fmac_f64_e32 v[200:201], v[202:203], v[44:45]
	v_fmac_f64_e32 v[184:185], v[186:187], v[44:45]
	v_add_f64 v[2:3], v[2:3], -v[200:201]
	s_waitcnt vmcnt(0)
	v_add_f64 v[180:181], v[180:181], -v[46:47]
	v_add_f64 v[182:183], v[182:183], -v[184:185]
	v_mov_b64_e32 v[46:47], v[194:195]
.LBB90_713:
	s_or_b64 exec, exec, s[0:1]
	v_lshl_add_u32 v184, v197, 4, v196
	s_barrier
	s_waitcnt vmcnt(11)
	ds_write2_b64 v184, v[40:41], v[42:43] offset1:1
	s_waitcnt lgkmcnt(0)
	s_barrier
	ds_read2_b64 v[184:187], v196 offset0:68 offset1:69
	s_cmp_lt_i32 s20, 36
	v_mov_b32_e32 v194, 34
	s_cbranch_scc1 .LBB90_716
; %bb.714:
	v_add_u32_e32 v195, 0x230, v196
	s_mov_b32 s16, 35
	v_mov_b32_e32 v194, 34
.LBB90_715:                             ; =>This Inner Loop Header: Depth=1
	ds_read2_b64 v[200:203], v195 offset1:1
	s_waitcnt lgkmcnt(1)
	v_xor_b32_e32 v205, 0x80000000, v185
	v_xor_b32_e32 v207, 0x80000000, v187
	v_cmp_gt_f64_e32 vcc, 0, v[186:187]
	v_cmp_gt_f64_e64 s[0:1], 0, v[184:185]
	v_mov_b32_e32 v204, v184
	v_mov_b32_e32 v206, v186
	v_cndmask_b32_e64 v205, v185, v205, s[0:1]
	v_cndmask_b32_e32 v207, v187, v207, vcc
	v_add_f64 v[204:205], v[204:205], v[206:207]
	s_waitcnt lgkmcnt(0)
	v_xor_b32_e32 v207, 0x80000000, v201
	v_xor_b32_e32 v209, 0x80000000, v203
	v_cmp_gt_f64_e32 vcc, 0, v[202:203]
	v_cmp_gt_f64_e64 s[0:1], 0, v[200:201]
	v_mov_b32_e32 v206, v200
	v_mov_b32_e32 v208, v202
	v_cndmask_b32_e64 v207, v201, v207, s[0:1]
	v_cndmask_b32_e32 v209, v203, v209, vcc
	v_add_f64 v[206:207], v[206:207], v[208:209]
	v_mov_b32_e32 v210, s16
	s_add_i32 s16, s16, 1
	v_cmp_lt_f64_e32 vcc, v[204:205], v[206:207]
	v_add_u32_e32 v195, 16, v195
	s_cmp_lg_u32 s20, s16
	v_cndmask_b32_e32 v185, v185, v201, vcc
	v_cndmask_b32_e32 v184, v184, v200, vcc
	;; [unrolled: 1-line block ×5, first 2 shown]
	s_cbranch_scc1 .LBB90_715
.LBB90_716:
	s_waitcnt lgkmcnt(0)
	v_cmp_eq_f64_e32 vcc, 0, v[184:185]
	v_cmp_eq_f64_e64 s[0:1], 0, v[186:187]
	s_and_b64 s[0:1], vcc, s[0:1]
	s_and_saveexec_b64 s[16:17], s[0:1]
	s_xor_b64 s[0:1], exec, s[16:17]
; %bb.717:
	v_cmp_ne_u32_e32 vcc, 0, v198
	s_nop 1
	v_cndmask_b32_e32 v198, 35, v198, vcc
; %bb.718:
	s_andn2_saveexec_b64 s[0:1], s[0:1]
	s_cbranch_execz .LBB90_724
; %bb.719:
	v_cmp_ngt_f64_e64 s[16:17], |v[184:185]|, |v[186:187]|
	s_and_saveexec_b64 s[18:19], s[16:17]
	s_xor_b64 s[16:17], exec, s[18:19]
	s_cbranch_execz .LBB90_721
; %bb.720:
	v_div_scale_f64 v[200:201], s[18:19], v[186:187], v[186:187], v[184:185]
	v_rcp_f64_e32 v[202:203], v[200:201]
	v_div_scale_f64 v[204:205], vcc, v[184:185], v[186:187], v[184:185]
	v_fma_f64 v[206:207], -v[200:201], v[202:203], 1.0
	v_fmac_f64_e32 v[202:203], v[202:203], v[206:207]
	v_fma_f64 v[206:207], -v[200:201], v[202:203], 1.0
	v_fmac_f64_e32 v[202:203], v[202:203], v[206:207]
	v_mul_f64 v[206:207], v[204:205], v[202:203]
	v_fma_f64 v[200:201], -v[200:201], v[206:207], v[204:205]
	v_div_fmas_f64 v[200:201], v[200:201], v[202:203], v[206:207]
	v_div_fixup_f64 v[200:201], v[200:201], v[186:187], v[184:185]
	v_fmac_f64_e32 v[186:187], v[184:185], v[200:201]
	v_div_scale_f64 v[184:185], s[18:19], v[186:187], v[186:187], 1.0
	v_rcp_f64_e32 v[202:203], v[184:185]
	s_nop 0
	v_fma_f64 v[204:205], -v[184:185], v[202:203], 1.0
	v_fmac_f64_e32 v[202:203], v[202:203], v[204:205]
	v_fma_f64 v[204:205], -v[184:185], v[202:203], 1.0
	v_fmac_f64_e32 v[202:203], v[202:203], v[204:205]
	v_div_scale_f64 v[204:205], vcc, 1.0, v[186:187], 1.0
	v_mul_f64 v[206:207], v[204:205], v[202:203]
	v_fma_f64 v[184:185], -v[184:185], v[206:207], v[204:205]
	s_nop 1
	v_div_fmas_f64 v[184:185], v[184:185], v[202:203], v[206:207]
	v_div_fixup_f64 v[186:187], v[184:185], v[186:187], 1.0
	v_mul_f64 v[184:185], v[200:201], v[186:187]
	v_xor_b32_e32 v187, 0x80000000, v187
.LBB90_721:
	s_andn2_saveexec_b64 s[16:17], s[16:17]
	s_cbranch_execz .LBB90_723
; %bb.722:
	v_div_scale_f64 v[200:201], s[18:19], v[184:185], v[184:185], v[186:187]
	v_rcp_f64_e32 v[202:203], v[200:201]
	v_div_scale_f64 v[204:205], vcc, v[186:187], v[184:185], v[186:187]
	v_fma_f64 v[206:207], -v[200:201], v[202:203], 1.0
	v_fmac_f64_e32 v[202:203], v[202:203], v[206:207]
	v_fma_f64 v[206:207], -v[200:201], v[202:203], 1.0
	v_fmac_f64_e32 v[202:203], v[202:203], v[206:207]
	v_mul_f64 v[206:207], v[204:205], v[202:203]
	v_fma_f64 v[200:201], -v[200:201], v[206:207], v[204:205]
	v_div_fmas_f64 v[200:201], v[200:201], v[202:203], v[206:207]
	v_div_fixup_f64 v[200:201], v[200:201], v[184:185], v[186:187]
	v_fmac_f64_e32 v[184:185], v[186:187], v[200:201]
	v_div_scale_f64 v[186:187], s[18:19], v[184:185], v[184:185], 1.0
	v_rcp_f64_e32 v[202:203], v[186:187]
	s_nop 0
	v_fma_f64 v[204:205], -v[186:187], v[202:203], 1.0
	v_fmac_f64_e32 v[202:203], v[202:203], v[204:205]
	v_fma_f64 v[204:205], -v[186:187], v[202:203], 1.0
	v_fmac_f64_e32 v[202:203], v[202:203], v[204:205]
	v_div_scale_f64 v[204:205], vcc, 1.0, v[184:185], 1.0
	v_mul_f64 v[206:207], v[204:205], v[202:203]
	v_fma_f64 v[186:187], -v[186:187], v[206:207], v[204:205]
	s_nop 1
	v_div_fmas_f64 v[186:187], v[186:187], v[202:203], v[206:207]
	v_div_fixup_f64 v[184:185], v[186:187], v[184:185], 1.0
	v_mul_f64 v[186:187], v[200:201], -v[184:185]
.LBB90_723:
	s_or_b64 exec, exec, s[16:17]
.LBB90_724:
	s_or_b64 exec, exec, s[0:1]
	v_cmp_ne_u32_e32 vcc, v197, v194
	s_and_saveexec_b64 s[0:1], vcc
	s_xor_b64 s[0:1], exec, s[0:1]
	s_cbranch_execz .LBB90_730
; %bb.725:
	v_cmp_eq_u32_e32 vcc, 34, v197
	s_and_saveexec_b64 s[16:17], vcc
	s_cbranch_execz .LBB90_729
; %bb.726:
	v_cmp_ne_u32_e32 vcc, 34, v194
	s_xor_b64 s[18:19], s[14:15], -1
	s_and_b64 s[22:23], s[18:19], vcc
	s_and_saveexec_b64 s[18:19], s[22:23]
	s_cbranch_execz .LBB90_728
; %bb.727:
	v_ashrrev_i32_e32 v195, 31, v194
	v_lshl_add_u64 v[200:201], v[194:195], 2, v[192:193]
	global_load_dword v195, v[200:201], off
	global_load_dword v197, v[192:193], off offset:136
	s_waitcnt vmcnt(1)
	global_store_dword v[192:193], v195, off offset:136
	s_waitcnt vmcnt(1)
	global_store_dword v[200:201], v197, off
.LBB90_728:
	s_or_b64 exec, exec, s[18:19]
	v_mov_b32_e32 v197, v194
	v_mov_b32_e32 v199, v194
.LBB90_729:
	s_or_b64 exec, exec, s[16:17]
.LBB90_730:
	s_andn2_saveexec_b64 s[0:1], s[0:1]
	s_cbranch_execz .LBB90_732
; %bb.731:
	v_mov_b32_e32 v197, 34
	s_waitcnt vmcnt(10)
	ds_write2_b64 v196, v[36:37], v[38:39] offset0:70 offset1:71
	s_waitcnt vmcnt(9)
	ds_write2_b64 v196, v[32:33], v[34:35] offset0:72 offset1:73
	;; [unrolled: 2-line block ×11, first 2 shown]
.LBB90_732:
	s_or_b64 exec, exec, s[0:1]
	v_cmp_lt_i32_e32 vcc, 34, v197
	s_waitcnt lgkmcnt(0)
	s_barrier
	s_and_saveexec_b64 s[0:1], vcc
	s_cbranch_execz .LBB90_734
; %bb.733:
	ds_read2_b64 v[200:203], v196 offset0:70 offset1:71
	v_mul_f64 v[194:195], v[184:185], v[42:43]
	v_fmac_f64_e32 v[194:195], v[186:187], v[40:41]
	v_mul_f64 v[42:43], v[186:187], v[42:43]
	v_fma_f64 v[40:41], v[184:185], v[40:41], -v[42:43]
	ds_read2_b64 v[184:187], v196 offset0:72 offset1:73
	s_waitcnt lgkmcnt(1)
	v_mul_f64 v[42:43], v[202:203], v[194:195]
	v_fma_f64 v[42:43], v[200:201], v[40:41], -v[42:43]
	v_mul_f64 v[200:201], v[200:201], v[194:195]
	v_fmac_f64_e32 v[200:201], v[202:203], v[40:41]
	s_waitcnt vmcnt(10)
	v_add_f64 v[38:39], v[38:39], -v[200:201]
	ds_read2_b64 v[200:203], v196 offset0:74 offset1:75
	v_add_f64 v[36:37], v[36:37], -v[42:43]
	s_waitcnt lgkmcnt(1)
	v_mul_f64 v[42:43], v[186:187], v[194:195]
	v_fma_f64 v[42:43], v[184:185], v[40:41], -v[42:43]
	v_mul_f64 v[184:185], v[184:185], v[194:195]
	v_fmac_f64_e32 v[184:185], v[186:187], v[40:41]
	s_waitcnt vmcnt(9)
	v_add_f64 v[32:33], v[32:33], -v[42:43]
	v_add_f64 v[34:35], v[34:35], -v[184:185]
	ds_read2_b64 v[184:187], v196 offset0:76 offset1:77
	s_waitcnt lgkmcnt(1)
	v_mul_f64 v[42:43], v[202:203], v[194:195]
	v_fma_f64 v[42:43], v[200:201], v[40:41], -v[42:43]
	v_mul_f64 v[200:201], v[200:201], v[194:195]
	v_fmac_f64_e32 v[200:201], v[202:203], v[40:41]
	s_waitcnt vmcnt(8)
	v_add_f64 v[30:31], v[30:31], -v[200:201]
	ds_read2_b64 v[200:203], v196 offset0:78 offset1:79
	v_add_f64 v[28:29], v[28:29], -v[42:43]
	s_waitcnt lgkmcnt(1)
	v_mul_f64 v[42:43], v[186:187], v[194:195]
	v_fma_f64 v[42:43], v[184:185], v[40:41], -v[42:43]
	v_mul_f64 v[184:185], v[184:185], v[194:195]
	v_fmac_f64_e32 v[184:185], v[186:187], v[40:41]
	s_waitcnt vmcnt(7)
	v_add_f64 v[24:25], v[24:25], -v[42:43]
	v_add_f64 v[26:27], v[26:27], -v[184:185]
	;; [unrolled: 18-line block ×5, first 2 shown]
	s_waitcnt lgkmcnt(0)
	v_mul_f64 v[42:43], v[202:203], v[194:195]
	v_mul_f64 v[184:185], v[200:201], v[194:195]
	v_fma_f64 v[42:43], v[200:201], v[40:41], -v[42:43]
	v_fmac_f64_e32 v[184:185], v[202:203], v[40:41]
	s_waitcnt vmcnt(0)
	v_add_f64 v[180:181], v[180:181], -v[42:43]
	v_add_f64 v[182:183], v[182:183], -v[184:185]
	v_mov_b64_e32 v[42:43], v[194:195]
.LBB90_734:
	s_or_b64 exec, exec, s[0:1]
	v_lshl_add_u32 v184, v197, 4, v196
	s_barrier
	s_waitcnt vmcnt(10)
	ds_write2_b64 v184, v[36:37], v[38:39] offset1:1
	s_waitcnt lgkmcnt(0)
	s_barrier
	ds_read2_b64 v[184:187], v196 offset0:70 offset1:71
	s_cmp_lt_i32 s20, 37
	v_mov_b32_e32 v194, 35
	s_cbranch_scc1 .LBB90_737
; %bb.735:
	v_add_u32_e32 v195, 0x240, v196
	s_mov_b32 s16, 36
	v_mov_b32_e32 v194, 35
.LBB90_736:                             ; =>This Inner Loop Header: Depth=1
	ds_read2_b64 v[200:203], v195 offset1:1
	s_waitcnt lgkmcnt(1)
	v_xor_b32_e32 v205, 0x80000000, v185
	v_xor_b32_e32 v207, 0x80000000, v187
	v_cmp_gt_f64_e32 vcc, 0, v[186:187]
	v_cmp_gt_f64_e64 s[0:1], 0, v[184:185]
	v_mov_b32_e32 v204, v184
	v_mov_b32_e32 v206, v186
	v_cndmask_b32_e64 v205, v185, v205, s[0:1]
	v_cndmask_b32_e32 v207, v187, v207, vcc
	v_add_f64 v[204:205], v[204:205], v[206:207]
	s_waitcnt lgkmcnt(0)
	v_xor_b32_e32 v207, 0x80000000, v201
	v_xor_b32_e32 v209, 0x80000000, v203
	v_cmp_gt_f64_e32 vcc, 0, v[202:203]
	v_cmp_gt_f64_e64 s[0:1], 0, v[200:201]
	v_mov_b32_e32 v206, v200
	v_mov_b32_e32 v208, v202
	v_cndmask_b32_e64 v207, v201, v207, s[0:1]
	v_cndmask_b32_e32 v209, v203, v209, vcc
	v_add_f64 v[206:207], v[206:207], v[208:209]
	v_mov_b32_e32 v210, s16
	s_add_i32 s16, s16, 1
	v_cmp_lt_f64_e32 vcc, v[204:205], v[206:207]
	v_add_u32_e32 v195, 16, v195
	s_cmp_lg_u32 s20, s16
	v_cndmask_b32_e32 v185, v185, v201, vcc
	v_cndmask_b32_e32 v184, v184, v200, vcc
	;; [unrolled: 1-line block ×5, first 2 shown]
	s_cbranch_scc1 .LBB90_736
.LBB90_737:
	s_waitcnt lgkmcnt(0)
	v_cmp_eq_f64_e32 vcc, 0, v[184:185]
	v_cmp_eq_f64_e64 s[0:1], 0, v[186:187]
	s_and_b64 s[0:1], vcc, s[0:1]
	s_and_saveexec_b64 s[16:17], s[0:1]
	s_xor_b64 s[0:1], exec, s[16:17]
; %bb.738:
	v_cmp_ne_u32_e32 vcc, 0, v198
	s_nop 1
	v_cndmask_b32_e32 v198, 36, v198, vcc
; %bb.739:
	s_andn2_saveexec_b64 s[0:1], s[0:1]
	s_cbranch_execz .LBB90_745
; %bb.740:
	v_cmp_ngt_f64_e64 s[16:17], |v[184:185]|, |v[186:187]|
	s_and_saveexec_b64 s[18:19], s[16:17]
	s_xor_b64 s[16:17], exec, s[18:19]
	s_cbranch_execz .LBB90_742
; %bb.741:
	v_div_scale_f64 v[200:201], s[18:19], v[186:187], v[186:187], v[184:185]
	v_rcp_f64_e32 v[202:203], v[200:201]
	v_div_scale_f64 v[204:205], vcc, v[184:185], v[186:187], v[184:185]
	v_fma_f64 v[206:207], -v[200:201], v[202:203], 1.0
	v_fmac_f64_e32 v[202:203], v[202:203], v[206:207]
	v_fma_f64 v[206:207], -v[200:201], v[202:203], 1.0
	v_fmac_f64_e32 v[202:203], v[202:203], v[206:207]
	v_mul_f64 v[206:207], v[204:205], v[202:203]
	v_fma_f64 v[200:201], -v[200:201], v[206:207], v[204:205]
	v_div_fmas_f64 v[200:201], v[200:201], v[202:203], v[206:207]
	v_div_fixup_f64 v[200:201], v[200:201], v[186:187], v[184:185]
	v_fmac_f64_e32 v[186:187], v[184:185], v[200:201]
	v_div_scale_f64 v[184:185], s[18:19], v[186:187], v[186:187], 1.0
	v_rcp_f64_e32 v[202:203], v[184:185]
	s_nop 0
	v_fma_f64 v[204:205], -v[184:185], v[202:203], 1.0
	v_fmac_f64_e32 v[202:203], v[202:203], v[204:205]
	v_fma_f64 v[204:205], -v[184:185], v[202:203], 1.0
	v_fmac_f64_e32 v[202:203], v[202:203], v[204:205]
	v_div_scale_f64 v[204:205], vcc, 1.0, v[186:187], 1.0
	v_mul_f64 v[206:207], v[204:205], v[202:203]
	v_fma_f64 v[184:185], -v[184:185], v[206:207], v[204:205]
	s_nop 1
	v_div_fmas_f64 v[184:185], v[184:185], v[202:203], v[206:207]
	v_div_fixup_f64 v[186:187], v[184:185], v[186:187], 1.0
	v_mul_f64 v[184:185], v[200:201], v[186:187]
	v_xor_b32_e32 v187, 0x80000000, v187
.LBB90_742:
	s_andn2_saveexec_b64 s[16:17], s[16:17]
	s_cbranch_execz .LBB90_744
; %bb.743:
	v_div_scale_f64 v[200:201], s[18:19], v[184:185], v[184:185], v[186:187]
	v_rcp_f64_e32 v[202:203], v[200:201]
	v_div_scale_f64 v[204:205], vcc, v[186:187], v[184:185], v[186:187]
	v_fma_f64 v[206:207], -v[200:201], v[202:203], 1.0
	v_fmac_f64_e32 v[202:203], v[202:203], v[206:207]
	v_fma_f64 v[206:207], -v[200:201], v[202:203], 1.0
	v_fmac_f64_e32 v[202:203], v[202:203], v[206:207]
	v_mul_f64 v[206:207], v[204:205], v[202:203]
	v_fma_f64 v[200:201], -v[200:201], v[206:207], v[204:205]
	v_div_fmas_f64 v[200:201], v[200:201], v[202:203], v[206:207]
	v_div_fixup_f64 v[200:201], v[200:201], v[184:185], v[186:187]
	v_fmac_f64_e32 v[184:185], v[186:187], v[200:201]
	v_div_scale_f64 v[186:187], s[18:19], v[184:185], v[184:185], 1.0
	v_rcp_f64_e32 v[202:203], v[186:187]
	s_nop 0
	v_fma_f64 v[204:205], -v[186:187], v[202:203], 1.0
	v_fmac_f64_e32 v[202:203], v[202:203], v[204:205]
	v_fma_f64 v[204:205], -v[186:187], v[202:203], 1.0
	v_fmac_f64_e32 v[202:203], v[202:203], v[204:205]
	v_div_scale_f64 v[204:205], vcc, 1.0, v[184:185], 1.0
	v_mul_f64 v[206:207], v[204:205], v[202:203]
	v_fma_f64 v[186:187], -v[186:187], v[206:207], v[204:205]
	s_nop 1
	v_div_fmas_f64 v[186:187], v[186:187], v[202:203], v[206:207]
	v_div_fixup_f64 v[184:185], v[186:187], v[184:185], 1.0
	v_mul_f64 v[186:187], v[200:201], -v[184:185]
.LBB90_744:
	s_or_b64 exec, exec, s[16:17]
.LBB90_745:
	s_or_b64 exec, exec, s[0:1]
	v_cmp_ne_u32_e32 vcc, v197, v194
	s_and_saveexec_b64 s[0:1], vcc
	s_xor_b64 s[0:1], exec, s[0:1]
	s_cbranch_execz .LBB90_751
; %bb.746:
	v_cmp_eq_u32_e32 vcc, 35, v197
	s_and_saveexec_b64 s[16:17], vcc
	s_cbranch_execz .LBB90_750
; %bb.747:
	v_cmp_ne_u32_e32 vcc, 35, v194
	s_xor_b64 s[18:19], s[14:15], -1
	s_and_b64 s[22:23], s[18:19], vcc
	s_and_saveexec_b64 s[18:19], s[22:23]
	s_cbranch_execz .LBB90_749
; %bb.748:
	v_ashrrev_i32_e32 v195, 31, v194
	v_lshl_add_u64 v[200:201], v[194:195], 2, v[192:193]
	global_load_dword v195, v[200:201], off
	global_load_dword v197, v[192:193], off offset:140
	s_waitcnt vmcnt(1)
	global_store_dword v[192:193], v195, off offset:140
	s_waitcnt vmcnt(1)
	global_store_dword v[200:201], v197, off
.LBB90_749:
	s_or_b64 exec, exec, s[18:19]
	v_mov_b32_e32 v197, v194
	v_mov_b32_e32 v199, v194
.LBB90_750:
	s_or_b64 exec, exec, s[16:17]
.LBB90_751:
	s_andn2_saveexec_b64 s[0:1], s[0:1]
	s_cbranch_execz .LBB90_753
; %bb.752:
	v_mov_b32_e32 v197, 35
	s_waitcnt vmcnt(9)
	ds_write2_b64 v196, v[32:33], v[34:35] offset0:72 offset1:73
	s_waitcnt vmcnt(8)
	ds_write2_b64 v196, v[28:29], v[30:31] offset0:74 offset1:75
	;; [unrolled: 2-line block ×10, first 2 shown]
.LBB90_753:
	s_or_b64 exec, exec, s[0:1]
	v_cmp_lt_i32_e32 vcc, 35, v197
	s_waitcnt lgkmcnt(0)
	s_barrier
	s_and_saveexec_b64 s[0:1], vcc
	s_cbranch_execz .LBB90_755
; %bb.754:
	ds_read2_b64 v[200:203], v196 offset0:72 offset1:73
	v_mul_f64 v[194:195], v[184:185], v[38:39]
	v_mul_f64 v[38:39], v[186:187], v[38:39]
	v_fmac_f64_e32 v[194:195], v[186:187], v[36:37]
	v_fma_f64 v[36:37], v[184:185], v[36:37], -v[38:39]
	ds_read2_b64 v[184:187], v196 offset0:74 offset1:75
	s_waitcnt lgkmcnt(1)
	v_mul_f64 v[38:39], v[202:203], v[194:195]
	v_fma_f64 v[38:39], v[200:201], v[36:37], -v[38:39]
	v_mul_f64 v[200:201], v[200:201], v[194:195]
	v_fmac_f64_e32 v[200:201], v[202:203], v[36:37]
	s_waitcnt vmcnt(9)
	v_add_f64 v[32:33], v[32:33], -v[38:39]
	s_waitcnt lgkmcnt(0)
	v_mul_f64 v[38:39], v[186:187], v[194:195]
	v_add_f64 v[34:35], v[34:35], -v[200:201]
	v_fma_f64 v[38:39], v[184:185], v[36:37], -v[38:39]
	v_mul_f64 v[184:185], v[184:185], v[194:195]
	ds_read2_b64 v[200:203], v196 offset0:76 offset1:77
	v_fmac_f64_e32 v[184:185], v[186:187], v[36:37]
	s_waitcnt vmcnt(8)
	v_add_f64 v[30:31], v[30:31], -v[184:185]
	ds_read2_b64 v[184:187], v196 offset0:78 offset1:79
	v_add_f64 v[28:29], v[28:29], -v[38:39]
	s_waitcnt lgkmcnt(1)
	v_mul_f64 v[38:39], v[202:203], v[194:195]
	v_fma_f64 v[38:39], v[200:201], v[36:37], -v[38:39]
	v_mul_f64 v[200:201], v[200:201], v[194:195]
	v_fmac_f64_e32 v[200:201], v[202:203], v[36:37]
	s_waitcnt vmcnt(7)
	v_add_f64 v[24:25], v[24:25], -v[38:39]
	s_waitcnt lgkmcnt(0)
	v_mul_f64 v[38:39], v[186:187], v[194:195]
	v_add_f64 v[26:27], v[26:27], -v[200:201]
	v_fma_f64 v[38:39], v[184:185], v[36:37], -v[38:39]
	v_mul_f64 v[184:185], v[184:185], v[194:195]
	ds_read2_b64 v[200:203], v196 offset0:80 offset1:81
	v_fmac_f64_e32 v[184:185], v[186:187], v[36:37]
	s_waitcnt vmcnt(6)
	v_add_f64 v[22:23], v[22:23], -v[184:185]
	ds_read2_b64 v[184:187], v196 offset0:82 offset1:83
	v_add_f64 v[20:21], v[20:21], -v[38:39]
	s_waitcnt lgkmcnt(1)
	v_mul_f64 v[38:39], v[202:203], v[194:195]
	v_fma_f64 v[38:39], v[200:201], v[36:37], -v[38:39]
	v_mul_f64 v[200:201], v[200:201], v[194:195]
	v_fmac_f64_e32 v[200:201], v[202:203], v[36:37]
	s_waitcnt vmcnt(5)
	v_add_f64 v[16:17], v[16:17], -v[38:39]
	s_waitcnt lgkmcnt(0)
	v_mul_f64 v[38:39], v[186:187], v[194:195]
	v_add_f64 v[18:19], v[18:19], -v[200:201]
	v_fma_f64 v[38:39], v[184:185], v[36:37], -v[38:39]
	v_mul_f64 v[184:185], v[184:185], v[194:195]
	ds_read2_b64 v[200:203], v196 offset0:84 offset1:85
	v_fmac_f64_e32 v[184:185], v[186:187], v[36:37]
	s_waitcnt vmcnt(4)
	v_add_f64 v[14:15], v[14:15], -v[184:185]
	ds_read2_b64 v[184:187], v196 offset0:86 offset1:87
	v_add_f64 v[12:13], v[12:13], -v[38:39]
	s_waitcnt lgkmcnt(1)
	v_mul_f64 v[38:39], v[202:203], v[194:195]
	v_fma_f64 v[38:39], v[200:201], v[36:37], -v[38:39]
	v_mul_f64 v[200:201], v[200:201], v[194:195]
	v_fmac_f64_e32 v[200:201], v[202:203], v[36:37]
	s_waitcnt vmcnt(3)
	v_add_f64 v[8:9], v[8:9], -v[38:39]
	s_waitcnt lgkmcnt(0)
	v_mul_f64 v[38:39], v[186:187], v[194:195]
	v_add_f64 v[10:11], v[10:11], -v[200:201]
	v_fma_f64 v[38:39], v[184:185], v[36:37], -v[38:39]
	v_mul_f64 v[184:185], v[184:185], v[194:195]
	ds_read2_b64 v[200:203], v196 offset0:88 offset1:89
	v_fmac_f64_e32 v[184:185], v[186:187], v[36:37]
	s_waitcnt vmcnt(2)
	v_add_f64 v[6:7], v[6:7], -v[184:185]
	ds_read2_b64 v[184:187], v196 offset0:90 offset1:91
	v_add_f64 v[4:5], v[4:5], -v[38:39]
	s_waitcnt lgkmcnt(1)
	v_mul_f64 v[38:39], v[202:203], v[194:195]
	v_fma_f64 v[38:39], v[200:201], v[36:37], -v[38:39]
	s_waitcnt vmcnt(1)
	v_add_f64 v[0:1], v[0:1], -v[38:39]
	s_waitcnt lgkmcnt(0)
	v_mul_f64 v[38:39], v[186:187], v[194:195]
	v_mul_f64 v[200:201], v[200:201], v[194:195]
	v_fma_f64 v[38:39], v[184:185], v[36:37], -v[38:39]
	v_mul_f64 v[184:185], v[184:185], v[194:195]
	v_fmac_f64_e32 v[200:201], v[202:203], v[36:37]
	v_fmac_f64_e32 v[184:185], v[186:187], v[36:37]
	v_add_f64 v[2:3], v[2:3], -v[200:201]
	s_waitcnt vmcnt(0)
	v_add_f64 v[180:181], v[180:181], -v[38:39]
	v_add_f64 v[182:183], v[182:183], -v[184:185]
	v_mov_b64_e32 v[38:39], v[194:195]
.LBB90_755:
	s_or_b64 exec, exec, s[0:1]
	v_lshl_add_u32 v184, v197, 4, v196
	s_barrier
	s_waitcnt vmcnt(9)
	ds_write2_b64 v184, v[32:33], v[34:35] offset1:1
	s_waitcnt lgkmcnt(0)
	s_barrier
	ds_read2_b64 v[184:187], v196 offset0:72 offset1:73
	s_cmp_lt_i32 s20, 38
	v_mov_b32_e32 v194, 36
	s_cbranch_scc1 .LBB90_758
; %bb.756:
	v_add_u32_e32 v195, 0x250, v196
	s_mov_b32 s16, 37
	v_mov_b32_e32 v194, 36
.LBB90_757:                             ; =>This Inner Loop Header: Depth=1
	ds_read2_b64 v[200:203], v195 offset1:1
	s_waitcnt lgkmcnt(1)
	v_xor_b32_e32 v205, 0x80000000, v185
	v_xor_b32_e32 v207, 0x80000000, v187
	v_cmp_gt_f64_e32 vcc, 0, v[186:187]
	v_cmp_gt_f64_e64 s[0:1], 0, v[184:185]
	v_mov_b32_e32 v204, v184
	v_mov_b32_e32 v206, v186
	v_cndmask_b32_e64 v205, v185, v205, s[0:1]
	v_cndmask_b32_e32 v207, v187, v207, vcc
	v_add_f64 v[204:205], v[204:205], v[206:207]
	s_waitcnt lgkmcnt(0)
	v_xor_b32_e32 v207, 0x80000000, v201
	v_xor_b32_e32 v209, 0x80000000, v203
	v_cmp_gt_f64_e32 vcc, 0, v[202:203]
	v_cmp_gt_f64_e64 s[0:1], 0, v[200:201]
	v_mov_b32_e32 v206, v200
	v_mov_b32_e32 v208, v202
	v_cndmask_b32_e64 v207, v201, v207, s[0:1]
	v_cndmask_b32_e32 v209, v203, v209, vcc
	v_add_f64 v[206:207], v[206:207], v[208:209]
	v_mov_b32_e32 v210, s16
	s_add_i32 s16, s16, 1
	v_cmp_lt_f64_e32 vcc, v[204:205], v[206:207]
	v_add_u32_e32 v195, 16, v195
	s_cmp_lg_u32 s20, s16
	v_cndmask_b32_e32 v185, v185, v201, vcc
	v_cndmask_b32_e32 v184, v184, v200, vcc
	;; [unrolled: 1-line block ×5, first 2 shown]
	s_cbranch_scc1 .LBB90_757
.LBB90_758:
	s_waitcnt lgkmcnt(0)
	v_cmp_eq_f64_e32 vcc, 0, v[184:185]
	v_cmp_eq_f64_e64 s[0:1], 0, v[186:187]
	s_and_b64 s[0:1], vcc, s[0:1]
	s_and_saveexec_b64 s[16:17], s[0:1]
	s_xor_b64 s[0:1], exec, s[16:17]
; %bb.759:
	v_cmp_ne_u32_e32 vcc, 0, v198
	s_nop 1
	v_cndmask_b32_e32 v198, 37, v198, vcc
; %bb.760:
	s_andn2_saveexec_b64 s[0:1], s[0:1]
	s_cbranch_execz .LBB90_766
; %bb.761:
	v_cmp_ngt_f64_e64 s[16:17], |v[184:185]|, |v[186:187]|
	s_and_saveexec_b64 s[18:19], s[16:17]
	s_xor_b64 s[16:17], exec, s[18:19]
	s_cbranch_execz .LBB90_763
; %bb.762:
	v_div_scale_f64 v[200:201], s[18:19], v[186:187], v[186:187], v[184:185]
	v_rcp_f64_e32 v[202:203], v[200:201]
	v_div_scale_f64 v[204:205], vcc, v[184:185], v[186:187], v[184:185]
	v_fma_f64 v[206:207], -v[200:201], v[202:203], 1.0
	v_fmac_f64_e32 v[202:203], v[202:203], v[206:207]
	v_fma_f64 v[206:207], -v[200:201], v[202:203], 1.0
	v_fmac_f64_e32 v[202:203], v[202:203], v[206:207]
	v_mul_f64 v[206:207], v[204:205], v[202:203]
	v_fma_f64 v[200:201], -v[200:201], v[206:207], v[204:205]
	v_div_fmas_f64 v[200:201], v[200:201], v[202:203], v[206:207]
	v_div_fixup_f64 v[200:201], v[200:201], v[186:187], v[184:185]
	v_fmac_f64_e32 v[186:187], v[184:185], v[200:201]
	v_div_scale_f64 v[184:185], s[18:19], v[186:187], v[186:187], 1.0
	v_rcp_f64_e32 v[202:203], v[184:185]
	s_nop 0
	v_fma_f64 v[204:205], -v[184:185], v[202:203], 1.0
	v_fmac_f64_e32 v[202:203], v[202:203], v[204:205]
	v_fma_f64 v[204:205], -v[184:185], v[202:203], 1.0
	v_fmac_f64_e32 v[202:203], v[202:203], v[204:205]
	v_div_scale_f64 v[204:205], vcc, 1.0, v[186:187], 1.0
	v_mul_f64 v[206:207], v[204:205], v[202:203]
	v_fma_f64 v[184:185], -v[184:185], v[206:207], v[204:205]
	s_nop 1
	v_div_fmas_f64 v[184:185], v[184:185], v[202:203], v[206:207]
	v_div_fixup_f64 v[186:187], v[184:185], v[186:187], 1.0
	v_mul_f64 v[184:185], v[200:201], v[186:187]
	v_xor_b32_e32 v187, 0x80000000, v187
.LBB90_763:
	s_andn2_saveexec_b64 s[16:17], s[16:17]
	s_cbranch_execz .LBB90_765
; %bb.764:
	v_div_scale_f64 v[200:201], s[18:19], v[184:185], v[184:185], v[186:187]
	v_rcp_f64_e32 v[202:203], v[200:201]
	v_div_scale_f64 v[204:205], vcc, v[186:187], v[184:185], v[186:187]
	v_fma_f64 v[206:207], -v[200:201], v[202:203], 1.0
	v_fmac_f64_e32 v[202:203], v[202:203], v[206:207]
	v_fma_f64 v[206:207], -v[200:201], v[202:203], 1.0
	v_fmac_f64_e32 v[202:203], v[202:203], v[206:207]
	v_mul_f64 v[206:207], v[204:205], v[202:203]
	v_fma_f64 v[200:201], -v[200:201], v[206:207], v[204:205]
	v_div_fmas_f64 v[200:201], v[200:201], v[202:203], v[206:207]
	v_div_fixup_f64 v[200:201], v[200:201], v[184:185], v[186:187]
	v_fmac_f64_e32 v[184:185], v[186:187], v[200:201]
	v_div_scale_f64 v[186:187], s[18:19], v[184:185], v[184:185], 1.0
	v_rcp_f64_e32 v[202:203], v[186:187]
	s_nop 0
	v_fma_f64 v[204:205], -v[186:187], v[202:203], 1.0
	v_fmac_f64_e32 v[202:203], v[202:203], v[204:205]
	v_fma_f64 v[204:205], -v[186:187], v[202:203], 1.0
	v_fmac_f64_e32 v[202:203], v[202:203], v[204:205]
	v_div_scale_f64 v[204:205], vcc, 1.0, v[184:185], 1.0
	v_mul_f64 v[206:207], v[204:205], v[202:203]
	v_fma_f64 v[186:187], -v[186:187], v[206:207], v[204:205]
	s_nop 1
	v_div_fmas_f64 v[186:187], v[186:187], v[202:203], v[206:207]
	v_div_fixup_f64 v[184:185], v[186:187], v[184:185], 1.0
	v_mul_f64 v[186:187], v[200:201], -v[184:185]
.LBB90_765:
	s_or_b64 exec, exec, s[16:17]
.LBB90_766:
	s_or_b64 exec, exec, s[0:1]
	v_cmp_ne_u32_e32 vcc, v197, v194
	s_and_saveexec_b64 s[0:1], vcc
	s_xor_b64 s[0:1], exec, s[0:1]
	s_cbranch_execz .LBB90_772
; %bb.767:
	v_cmp_eq_u32_e32 vcc, 36, v197
	s_and_saveexec_b64 s[16:17], vcc
	s_cbranch_execz .LBB90_771
; %bb.768:
	v_cmp_ne_u32_e32 vcc, 36, v194
	s_xor_b64 s[18:19], s[14:15], -1
	s_and_b64 s[22:23], s[18:19], vcc
	s_and_saveexec_b64 s[18:19], s[22:23]
	s_cbranch_execz .LBB90_770
; %bb.769:
	v_ashrrev_i32_e32 v195, 31, v194
	v_lshl_add_u64 v[200:201], v[194:195], 2, v[192:193]
	global_load_dword v195, v[200:201], off
	global_load_dword v197, v[192:193], off offset:144
	s_waitcnt vmcnt(1)
	global_store_dword v[192:193], v195, off offset:144
	s_waitcnt vmcnt(1)
	global_store_dword v[200:201], v197, off
.LBB90_770:
	s_or_b64 exec, exec, s[18:19]
	v_mov_b32_e32 v197, v194
	v_mov_b32_e32 v199, v194
.LBB90_771:
	s_or_b64 exec, exec, s[16:17]
.LBB90_772:
	s_andn2_saveexec_b64 s[0:1], s[0:1]
	s_cbranch_execz .LBB90_774
; %bb.773:
	v_mov_b32_e32 v197, 36
	s_waitcnt vmcnt(8)
	ds_write2_b64 v196, v[28:29], v[30:31] offset0:74 offset1:75
	s_waitcnt vmcnt(7)
	ds_write2_b64 v196, v[24:25], v[26:27] offset0:76 offset1:77
	;; [unrolled: 2-line block ×9, first 2 shown]
.LBB90_774:
	s_or_b64 exec, exec, s[0:1]
	v_cmp_lt_i32_e32 vcc, 36, v197
	s_waitcnt lgkmcnt(0)
	s_barrier
	s_and_saveexec_b64 s[0:1], vcc
	s_cbranch_execz .LBB90_776
; %bb.775:
	ds_read2_b64 v[200:203], v196 offset0:74 offset1:75
	v_mul_f64 v[194:195], v[184:185], v[34:35]
	v_fmac_f64_e32 v[194:195], v[186:187], v[32:33]
	v_mul_f64 v[34:35], v[186:187], v[34:35]
	v_fma_f64 v[32:33], v[184:185], v[32:33], -v[34:35]
	ds_read2_b64 v[184:187], v196 offset0:76 offset1:77
	s_waitcnt lgkmcnt(1)
	v_mul_f64 v[34:35], v[202:203], v[194:195]
	v_fma_f64 v[34:35], v[200:201], v[32:33], -v[34:35]
	v_mul_f64 v[200:201], v[200:201], v[194:195]
	v_fmac_f64_e32 v[200:201], v[202:203], v[32:33]
	s_waitcnt vmcnt(8)
	v_add_f64 v[30:31], v[30:31], -v[200:201]
	ds_read2_b64 v[200:203], v196 offset0:78 offset1:79
	v_add_f64 v[28:29], v[28:29], -v[34:35]
	s_waitcnt lgkmcnt(1)
	v_mul_f64 v[34:35], v[186:187], v[194:195]
	v_fma_f64 v[34:35], v[184:185], v[32:33], -v[34:35]
	v_mul_f64 v[184:185], v[184:185], v[194:195]
	v_fmac_f64_e32 v[184:185], v[186:187], v[32:33]
	s_waitcnt vmcnt(7)
	v_add_f64 v[24:25], v[24:25], -v[34:35]
	v_add_f64 v[26:27], v[26:27], -v[184:185]
	ds_read2_b64 v[184:187], v196 offset0:80 offset1:81
	s_waitcnt lgkmcnt(1)
	v_mul_f64 v[34:35], v[202:203], v[194:195]
	v_fma_f64 v[34:35], v[200:201], v[32:33], -v[34:35]
	v_mul_f64 v[200:201], v[200:201], v[194:195]
	v_fmac_f64_e32 v[200:201], v[202:203], v[32:33]
	s_waitcnt vmcnt(6)
	v_add_f64 v[22:23], v[22:23], -v[200:201]
	ds_read2_b64 v[200:203], v196 offset0:82 offset1:83
	v_add_f64 v[20:21], v[20:21], -v[34:35]
	s_waitcnt lgkmcnt(1)
	v_mul_f64 v[34:35], v[186:187], v[194:195]
	v_fma_f64 v[34:35], v[184:185], v[32:33], -v[34:35]
	v_mul_f64 v[184:185], v[184:185], v[194:195]
	v_fmac_f64_e32 v[184:185], v[186:187], v[32:33]
	s_waitcnt vmcnt(5)
	v_add_f64 v[16:17], v[16:17], -v[34:35]
	v_add_f64 v[18:19], v[18:19], -v[184:185]
	;; [unrolled: 18-line block ×4, first 2 shown]
	s_waitcnt lgkmcnt(0)
	v_mul_f64 v[34:35], v[202:203], v[194:195]
	v_mul_f64 v[184:185], v[200:201], v[194:195]
	v_fma_f64 v[34:35], v[200:201], v[32:33], -v[34:35]
	v_fmac_f64_e32 v[184:185], v[202:203], v[32:33]
	s_waitcnt vmcnt(0)
	v_add_f64 v[180:181], v[180:181], -v[34:35]
	v_add_f64 v[182:183], v[182:183], -v[184:185]
	v_mov_b64_e32 v[34:35], v[194:195]
.LBB90_776:
	s_or_b64 exec, exec, s[0:1]
	v_lshl_add_u32 v184, v197, 4, v196
	s_barrier
	s_waitcnt vmcnt(8)
	ds_write2_b64 v184, v[28:29], v[30:31] offset1:1
	s_waitcnt lgkmcnt(0)
	s_barrier
	ds_read2_b64 v[184:187], v196 offset0:74 offset1:75
	s_cmp_lt_i32 s20, 39
	v_mov_b32_e32 v194, 37
	s_cbranch_scc1 .LBB90_779
; %bb.777:
	v_add_u32_e32 v195, 0x260, v196
	s_mov_b32 s16, 38
	v_mov_b32_e32 v194, 37
.LBB90_778:                             ; =>This Inner Loop Header: Depth=1
	ds_read2_b64 v[200:203], v195 offset1:1
	s_waitcnt lgkmcnt(1)
	v_xor_b32_e32 v205, 0x80000000, v185
	v_xor_b32_e32 v207, 0x80000000, v187
	v_cmp_gt_f64_e32 vcc, 0, v[186:187]
	v_cmp_gt_f64_e64 s[0:1], 0, v[184:185]
	v_mov_b32_e32 v204, v184
	v_mov_b32_e32 v206, v186
	v_cndmask_b32_e64 v205, v185, v205, s[0:1]
	v_cndmask_b32_e32 v207, v187, v207, vcc
	v_add_f64 v[204:205], v[204:205], v[206:207]
	s_waitcnt lgkmcnt(0)
	v_xor_b32_e32 v207, 0x80000000, v201
	v_xor_b32_e32 v209, 0x80000000, v203
	v_cmp_gt_f64_e32 vcc, 0, v[202:203]
	v_cmp_gt_f64_e64 s[0:1], 0, v[200:201]
	v_mov_b32_e32 v206, v200
	v_mov_b32_e32 v208, v202
	v_cndmask_b32_e64 v207, v201, v207, s[0:1]
	v_cndmask_b32_e32 v209, v203, v209, vcc
	v_add_f64 v[206:207], v[206:207], v[208:209]
	v_mov_b32_e32 v210, s16
	s_add_i32 s16, s16, 1
	v_cmp_lt_f64_e32 vcc, v[204:205], v[206:207]
	v_add_u32_e32 v195, 16, v195
	s_cmp_lg_u32 s20, s16
	v_cndmask_b32_e32 v185, v185, v201, vcc
	v_cndmask_b32_e32 v184, v184, v200, vcc
	;; [unrolled: 1-line block ×5, first 2 shown]
	s_cbranch_scc1 .LBB90_778
.LBB90_779:
	s_waitcnt lgkmcnt(0)
	v_cmp_eq_f64_e32 vcc, 0, v[184:185]
	v_cmp_eq_f64_e64 s[0:1], 0, v[186:187]
	s_and_b64 s[0:1], vcc, s[0:1]
	s_and_saveexec_b64 s[16:17], s[0:1]
	s_xor_b64 s[0:1], exec, s[16:17]
; %bb.780:
	v_cmp_ne_u32_e32 vcc, 0, v198
	s_nop 1
	v_cndmask_b32_e32 v198, 38, v198, vcc
; %bb.781:
	s_andn2_saveexec_b64 s[0:1], s[0:1]
	s_cbranch_execz .LBB90_787
; %bb.782:
	v_cmp_ngt_f64_e64 s[16:17], |v[184:185]|, |v[186:187]|
	s_and_saveexec_b64 s[18:19], s[16:17]
	s_xor_b64 s[16:17], exec, s[18:19]
	s_cbranch_execz .LBB90_784
; %bb.783:
	v_div_scale_f64 v[200:201], s[18:19], v[186:187], v[186:187], v[184:185]
	v_rcp_f64_e32 v[202:203], v[200:201]
	v_div_scale_f64 v[204:205], vcc, v[184:185], v[186:187], v[184:185]
	v_fma_f64 v[206:207], -v[200:201], v[202:203], 1.0
	v_fmac_f64_e32 v[202:203], v[202:203], v[206:207]
	v_fma_f64 v[206:207], -v[200:201], v[202:203], 1.0
	v_fmac_f64_e32 v[202:203], v[202:203], v[206:207]
	v_mul_f64 v[206:207], v[204:205], v[202:203]
	v_fma_f64 v[200:201], -v[200:201], v[206:207], v[204:205]
	v_div_fmas_f64 v[200:201], v[200:201], v[202:203], v[206:207]
	v_div_fixup_f64 v[200:201], v[200:201], v[186:187], v[184:185]
	v_fmac_f64_e32 v[186:187], v[184:185], v[200:201]
	v_div_scale_f64 v[184:185], s[18:19], v[186:187], v[186:187], 1.0
	v_rcp_f64_e32 v[202:203], v[184:185]
	s_nop 0
	v_fma_f64 v[204:205], -v[184:185], v[202:203], 1.0
	v_fmac_f64_e32 v[202:203], v[202:203], v[204:205]
	v_fma_f64 v[204:205], -v[184:185], v[202:203], 1.0
	v_fmac_f64_e32 v[202:203], v[202:203], v[204:205]
	v_div_scale_f64 v[204:205], vcc, 1.0, v[186:187], 1.0
	v_mul_f64 v[206:207], v[204:205], v[202:203]
	v_fma_f64 v[184:185], -v[184:185], v[206:207], v[204:205]
	s_nop 1
	v_div_fmas_f64 v[184:185], v[184:185], v[202:203], v[206:207]
	v_div_fixup_f64 v[186:187], v[184:185], v[186:187], 1.0
	v_mul_f64 v[184:185], v[200:201], v[186:187]
	v_xor_b32_e32 v187, 0x80000000, v187
.LBB90_784:
	s_andn2_saveexec_b64 s[16:17], s[16:17]
	s_cbranch_execz .LBB90_786
; %bb.785:
	v_div_scale_f64 v[200:201], s[18:19], v[184:185], v[184:185], v[186:187]
	v_rcp_f64_e32 v[202:203], v[200:201]
	v_div_scale_f64 v[204:205], vcc, v[186:187], v[184:185], v[186:187]
	v_fma_f64 v[206:207], -v[200:201], v[202:203], 1.0
	v_fmac_f64_e32 v[202:203], v[202:203], v[206:207]
	v_fma_f64 v[206:207], -v[200:201], v[202:203], 1.0
	v_fmac_f64_e32 v[202:203], v[202:203], v[206:207]
	v_mul_f64 v[206:207], v[204:205], v[202:203]
	v_fma_f64 v[200:201], -v[200:201], v[206:207], v[204:205]
	v_div_fmas_f64 v[200:201], v[200:201], v[202:203], v[206:207]
	v_div_fixup_f64 v[200:201], v[200:201], v[184:185], v[186:187]
	v_fmac_f64_e32 v[184:185], v[186:187], v[200:201]
	v_div_scale_f64 v[186:187], s[18:19], v[184:185], v[184:185], 1.0
	v_rcp_f64_e32 v[202:203], v[186:187]
	s_nop 0
	v_fma_f64 v[204:205], -v[186:187], v[202:203], 1.0
	v_fmac_f64_e32 v[202:203], v[202:203], v[204:205]
	v_fma_f64 v[204:205], -v[186:187], v[202:203], 1.0
	v_fmac_f64_e32 v[202:203], v[202:203], v[204:205]
	v_div_scale_f64 v[204:205], vcc, 1.0, v[184:185], 1.0
	v_mul_f64 v[206:207], v[204:205], v[202:203]
	v_fma_f64 v[186:187], -v[186:187], v[206:207], v[204:205]
	s_nop 1
	v_div_fmas_f64 v[186:187], v[186:187], v[202:203], v[206:207]
	v_div_fixup_f64 v[184:185], v[186:187], v[184:185], 1.0
	v_mul_f64 v[186:187], v[200:201], -v[184:185]
.LBB90_786:
	s_or_b64 exec, exec, s[16:17]
.LBB90_787:
	s_or_b64 exec, exec, s[0:1]
	v_cmp_ne_u32_e32 vcc, v197, v194
	s_and_saveexec_b64 s[0:1], vcc
	s_xor_b64 s[0:1], exec, s[0:1]
	s_cbranch_execz .LBB90_793
; %bb.788:
	v_cmp_eq_u32_e32 vcc, 37, v197
	s_and_saveexec_b64 s[16:17], vcc
	s_cbranch_execz .LBB90_792
; %bb.789:
	v_cmp_ne_u32_e32 vcc, 37, v194
	s_xor_b64 s[18:19], s[14:15], -1
	s_and_b64 s[22:23], s[18:19], vcc
	s_and_saveexec_b64 s[18:19], s[22:23]
	s_cbranch_execz .LBB90_791
; %bb.790:
	v_ashrrev_i32_e32 v195, 31, v194
	v_lshl_add_u64 v[200:201], v[194:195], 2, v[192:193]
	global_load_dword v195, v[200:201], off
	global_load_dword v197, v[192:193], off offset:148
	s_waitcnt vmcnt(1)
	global_store_dword v[192:193], v195, off offset:148
	s_waitcnt vmcnt(1)
	global_store_dword v[200:201], v197, off
.LBB90_791:
	s_or_b64 exec, exec, s[18:19]
	v_mov_b32_e32 v197, v194
	v_mov_b32_e32 v199, v194
.LBB90_792:
	s_or_b64 exec, exec, s[16:17]
.LBB90_793:
	s_andn2_saveexec_b64 s[0:1], s[0:1]
	s_cbranch_execz .LBB90_795
; %bb.794:
	v_mov_b32_e32 v197, 37
	s_waitcnt vmcnt(7)
	ds_write2_b64 v196, v[24:25], v[26:27] offset0:76 offset1:77
	s_waitcnt vmcnt(6)
	ds_write2_b64 v196, v[20:21], v[22:23] offset0:78 offset1:79
	;; [unrolled: 2-line block ×8, first 2 shown]
.LBB90_795:
	s_or_b64 exec, exec, s[0:1]
	v_cmp_lt_i32_e32 vcc, 37, v197
	s_waitcnt lgkmcnt(0)
	s_barrier
	s_and_saveexec_b64 s[0:1], vcc
	s_cbranch_execz .LBB90_797
; %bb.796:
	ds_read2_b64 v[200:203], v196 offset0:76 offset1:77
	v_mul_f64 v[194:195], v[184:185], v[30:31]
	v_mul_f64 v[30:31], v[186:187], v[30:31]
	v_fmac_f64_e32 v[194:195], v[186:187], v[28:29]
	v_fma_f64 v[28:29], v[184:185], v[28:29], -v[30:31]
	ds_read2_b64 v[184:187], v196 offset0:78 offset1:79
	s_waitcnt lgkmcnt(1)
	v_mul_f64 v[30:31], v[202:203], v[194:195]
	v_fma_f64 v[30:31], v[200:201], v[28:29], -v[30:31]
	v_mul_f64 v[200:201], v[200:201], v[194:195]
	v_fmac_f64_e32 v[200:201], v[202:203], v[28:29]
	s_waitcnt vmcnt(7)
	v_add_f64 v[24:25], v[24:25], -v[30:31]
	s_waitcnt lgkmcnt(0)
	v_mul_f64 v[30:31], v[186:187], v[194:195]
	v_add_f64 v[26:27], v[26:27], -v[200:201]
	v_fma_f64 v[30:31], v[184:185], v[28:29], -v[30:31]
	v_mul_f64 v[184:185], v[184:185], v[194:195]
	ds_read2_b64 v[200:203], v196 offset0:80 offset1:81
	v_fmac_f64_e32 v[184:185], v[186:187], v[28:29]
	s_waitcnt vmcnt(6)
	v_add_f64 v[22:23], v[22:23], -v[184:185]
	ds_read2_b64 v[184:187], v196 offset0:82 offset1:83
	v_add_f64 v[20:21], v[20:21], -v[30:31]
	s_waitcnt lgkmcnt(1)
	v_mul_f64 v[30:31], v[202:203], v[194:195]
	v_fma_f64 v[30:31], v[200:201], v[28:29], -v[30:31]
	v_mul_f64 v[200:201], v[200:201], v[194:195]
	v_fmac_f64_e32 v[200:201], v[202:203], v[28:29]
	s_waitcnt vmcnt(5)
	v_add_f64 v[16:17], v[16:17], -v[30:31]
	s_waitcnt lgkmcnt(0)
	v_mul_f64 v[30:31], v[186:187], v[194:195]
	v_add_f64 v[18:19], v[18:19], -v[200:201]
	v_fma_f64 v[30:31], v[184:185], v[28:29], -v[30:31]
	v_mul_f64 v[184:185], v[184:185], v[194:195]
	ds_read2_b64 v[200:203], v196 offset0:84 offset1:85
	v_fmac_f64_e32 v[184:185], v[186:187], v[28:29]
	s_waitcnt vmcnt(4)
	v_add_f64 v[14:15], v[14:15], -v[184:185]
	ds_read2_b64 v[184:187], v196 offset0:86 offset1:87
	v_add_f64 v[12:13], v[12:13], -v[30:31]
	;; [unrolled: 18-line block ×3, first 2 shown]
	s_waitcnt lgkmcnt(1)
	v_mul_f64 v[30:31], v[202:203], v[194:195]
	v_fma_f64 v[30:31], v[200:201], v[28:29], -v[30:31]
	s_waitcnt vmcnt(1)
	v_add_f64 v[0:1], v[0:1], -v[30:31]
	s_waitcnt lgkmcnt(0)
	v_mul_f64 v[30:31], v[186:187], v[194:195]
	v_mul_f64 v[200:201], v[200:201], v[194:195]
	v_fma_f64 v[30:31], v[184:185], v[28:29], -v[30:31]
	v_mul_f64 v[184:185], v[184:185], v[194:195]
	v_fmac_f64_e32 v[200:201], v[202:203], v[28:29]
	v_fmac_f64_e32 v[184:185], v[186:187], v[28:29]
	v_add_f64 v[2:3], v[2:3], -v[200:201]
	s_waitcnt vmcnt(0)
	v_add_f64 v[180:181], v[180:181], -v[30:31]
	v_add_f64 v[182:183], v[182:183], -v[184:185]
	v_mov_b64_e32 v[30:31], v[194:195]
.LBB90_797:
	s_or_b64 exec, exec, s[0:1]
	v_lshl_add_u32 v184, v197, 4, v196
	s_barrier
	s_waitcnt vmcnt(7)
	ds_write2_b64 v184, v[24:25], v[26:27] offset1:1
	s_waitcnt lgkmcnt(0)
	s_barrier
	ds_read2_b64 v[184:187], v196 offset0:76 offset1:77
	s_cmp_lt_i32 s20, 40
	v_mov_b32_e32 v194, 38
	s_cbranch_scc1 .LBB90_800
; %bb.798:
	v_add_u32_e32 v195, 0x270, v196
	s_mov_b32 s16, 39
	v_mov_b32_e32 v194, 38
.LBB90_799:                             ; =>This Inner Loop Header: Depth=1
	ds_read2_b64 v[200:203], v195 offset1:1
	s_waitcnt lgkmcnt(1)
	v_xor_b32_e32 v205, 0x80000000, v185
	v_xor_b32_e32 v207, 0x80000000, v187
	v_cmp_gt_f64_e32 vcc, 0, v[186:187]
	v_cmp_gt_f64_e64 s[0:1], 0, v[184:185]
	v_mov_b32_e32 v204, v184
	v_mov_b32_e32 v206, v186
	v_cndmask_b32_e64 v205, v185, v205, s[0:1]
	v_cndmask_b32_e32 v207, v187, v207, vcc
	v_add_f64 v[204:205], v[204:205], v[206:207]
	s_waitcnt lgkmcnt(0)
	v_xor_b32_e32 v207, 0x80000000, v201
	v_xor_b32_e32 v209, 0x80000000, v203
	v_cmp_gt_f64_e32 vcc, 0, v[202:203]
	v_cmp_gt_f64_e64 s[0:1], 0, v[200:201]
	v_mov_b32_e32 v206, v200
	v_mov_b32_e32 v208, v202
	v_cndmask_b32_e64 v207, v201, v207, s[0:1]
	v_cndmask_b32_e32 v209, v203, v209, vcc
	v_add_f64 v[206:207], v[206:207], v[208:209]
	v_mov_b32_e32 v210, s16
	s_add_i32 s16, s16, 1
	v_cmp_lt_f64_e32 vcc, v[204:205], v[206:207]
	v_add_u32_e32 v195, 16, v195
	s_cmp_lg_u32 s20, s16
	v_cndmask_b32_e32 v185, v185, v201, vcc
	v_cndmask_b32_e32 v184, v184, v200, vcc
	;; [unrolled: 1-line block ×5, first 2 shown]
	s_cbranch_scc1 .LBB90_799
.LBB90_800:
	s_waitcnt lgkmcnt(0)
	v_cmp_eq_f64_e32 vcc, 0, v[184:185]
	v_cmp_eq_f64_e64 s[0:1], 0, v[186:187]
	s_and_b64 s[0:1], vcc, s[0:1]
	s_and_saveexec_b64 s[16:17], s[0:1]
	s_xor_b64 s[0:1], exec, s[16:17]
; %bb.801:
	v_cmp_ne_u32_e32 vcc, 0, v198
	s_nop 1
	v_cndmask_b32_e32 v198, 39, v198, vcc
; %bb.802:
	s_andn2_saveexec_b64 s[0:1], s[0:1]
	s_cbranch_execz .LBB90_808
; %bb.803:
	v_cmp_ngt_f64_e64 s[16:17], |v[184:185]|, |v[186:187]|
	s_and_saveexec_b64 s[18:19], s[16:17]
	s_xor_b64 s[16:17], exec, s[18:19]
	s_cbranch_execz .LBB90_805
; %bb.804:
	v_div_scale_f64 v[200:201], s[18:19], v[186:187], v[186:187], v[184:185]
	v_rcp_f64_e32 v[202:203], v[200:201]
	v_div_scale_f64 v[204:205], vcc, v[184:185], v[186:187], v[184:185]
	v_fma_f64 v[206:207], -v[200:201], v[202:203], 1.0
	v_fmac_f64_e32 v[202:203], v[202:203], v[206:207]
	v_fma_f64 v[206:207], -v[200:201], v[202:203], 1.0
	v_fmac_f64_e32 v[202:203], v[202:203], v[206:207]
	v_mul_f64 v[206:207], v[204:205], v[202:203]
	v_fma_f64 v[200:201], -v[200:201], v[206:207], v[204:205]
	v_div_fmas_f64 v[200:201], v[200:201], v[202:203], v[206:207]
	v_div_fixup_f64 v[200:201], v[200:201], v[186:187], v[184:185]
	v_fmac_f64_e32 v[186:187], v[184:185], v[200:201]
	v_div_scale_f64 v[184:185], s[18:19], v[186:187], v[186:187], 1.0
	v_rcp_f64_e32 v[202:203], v[184:185]
	s_nop 0
	v_fma_f64 v[204:205], -v[184:185], v[202:203], 1.0
	v_fmac_f64_e32 v[202:203], v[202:203], v[204:205]
	v_fma_f64 v[204:205], -v[184:185], v[202:203], 1.0
	v_fmac_f64_e32 v[202:203], v[202:203], v[204:205]
	v_div_scale_f64 v[204:205], vcc, 1.0, v[186:187], 1.0
	v_mul_f64 v[206:207], v[204:205], v[202:203]
	v_fma_f64 v[184:185], -v[184:185], v[206:207], v[204:205]
	s_nop 1
	v_div_fmas_f64 v[184:185], v[184:185], v[202:203], v[206:207]
	v_div_fixup_f64 v[186:187], v[184:185], v[186:187], 1.0
	v_mul_f64 v[184:185], v[200:201], v[186:187]
	v_xor_b32_e32 v187, 0x80000000, v187
.LBB90_805:
	s_andn2_saveexec_b64 s[16:17], s[16:17]
	s_cbranch_execz .LBB90_807
; %bb.806:
	v_div_scale_f64 v[200:201], s[18:19], v[184:185], v[184:185], v[186:187]
	v_rcp_f64_e32 v[202:203], v[200:201]
	v_div_scale_f64 v[204:205], vcc, v[186:187], v[184:185], v[186:187]
	v_fma_f64 v[206:207], -v[200:201], v[202:203], 1.0
	v_fmac_f64_e32 v[202:203], v[202:203], v[206:207]
	v_fma_f64 v[206:207], -v[200:201], v[202:203], 1.0
	v_fmac_f64_e32 v[202:203], v[202:203], v[206:207]
	v_mul_f64 v[206:207], v[204:205], v[202:203]
	v_fma_f64 v[200:201], -v[200:201], v[206:207], v[204:205]
	v_div_fmas_f64 v[200:201], v[200:201], v[202:203], v[206:207]
	v_div_fixup_f64 v[200:201], v[200:201], v[184:185], v[186:187]
	v_fmac_f64_e32 v[184:185], v[186:187], v[200:201]
	v_div_scale_f64 v[186:187], s[18:19], v[184:185], v[184:185], 1.0
	v_rcp_f64_e32 v[202:203], v[186:187]
	s_nop 0
	v_fma_f64 v[204:205], -v[186:187], v[202:203], 1.0
	v_fmac_f64_e32 v[202:203], v[202:203], v[204:205]
	v_fma_f64 v[204:205], -v[186:187], v[202:203], 1.0
	v_fmac_f64_e32 v[202:203], v[202:203], v[204:205]
	v_div_scale_f64 v[204:205], vcc, 1.0, v[184:185], 1.0
	v_mul_f64 v[206:207], v[204:205], v[202:203]
	v_fma_f64 v[186:187], -v[186:187], v[206:207], v[204:205]
	s_nop 1
	v_div_fmas_f64 v[186:187], v[186:187], v[202:203], v[206:207]
	v_div_fixup_f64 v[184:185], v[186:187], v[184:185], 1.0
	v_mul_f64 v[186:187], v[200:201], -v[184:185]
.LBB90_807:
	s_or_b64 exec, exec, s[16:17]
.LBB90_808:
	s_or_b64 exec, exec, s[0:1]
	v_cmp_ne_u32_e32 vcc, v197, v194
	s_and_saveexec_b64 s[0:1], vcc
	s_xor_b64 s[0:1], exec, s[0:1]
	s_cbranch_execz .LBB90_814
; %bb.809:
	v_cmp_eq_u32_e32 vcc, 38, v197
	s_and_saveexec_b64 s[16:17], vcc
	s_cbranch_execz .LBB90_813
; %bb.810:
	v_cmp_ne_u32_e32 vcc, 38, v194
	s_xor_b64 s[18:19], s[14:15], -1
	s_and_b64 s[22:23], s[18:19], vcc
	s_and_saveexec_b64 s[18:19], s[22:23]
	s_cbranch_execz .LBB90_812
; %bb.811:
	v_ashrrev_i32_e32 v195, 31, v194
	v_lshl_add_u64 v[200:201], v[194:195], 2, v[192:193]
	global_load_dword v195, v[200:201], off
	global_load_dword v197, v[192:193], off offset:152
	s_waitcnt vmcnt(1)
	global_store_dword v[192:193], v195, off offset:152
	s_waitcnt vmcnt(1)
	global_store_dword v[200:201], v197, off
.LBB90_812:
	s_or_b64 exec, exec, s[18:19]
	v_mov_b32_e32 v197, v194
	v_mov_b32_e32 v199, v194
.LBB90_813:
	s_or_b64 exec, exec, s[16:17]
.LBB90_814:
	s_andn2_saveexec_b64 s[0:1], s[0:1]
	s_cbranch_execz .LBB90_816
; %bb.815:
	v_mov_b32_e32 v197, 38
	s_waitcnt vmcnt(6)
	ds_write2_b64 v196, v[20:21], v[22:23] offset0:78 offset1:79
	s_waitcnt vmcnt(5)
	ds_write2_b64 v196, v[16:17], v[18:19] offset0:80 offset1:81
	;; [unrolled: 2-line block ×7, first 2 shown]
.LBB90_816:
	s_or_b64 exec, exec, s[0:1]
	v_cmp_lt_i32_e32 vcc, 38, v197
	s_waitcnt lgkmcnt(0)
	s_barrier
	s_and_saveexec_b64 s[0:1], vcc
	s_cbranch_execz .LBB90_818
; %bb.817:
	ds_read2_b64 v[200:203], v196 offset0:78 offset1:79
	v_mul_f64 v[194:195], v[184:185], v[26:27]
	v_fmac_f64_e32 v[194:195], v[186:187], v[24:25]
	v_mul_f64 v[26:27], v[186:187], v[26:27]
	v_fma_f64 v[24:25], v[184:185], v[24:25], -v[26:27]
	ds_read2_b64 v[184:187], v196 offset0:80 offset1:81
	s_waitcnt lgkmcnt(1)
	v_mul_f64 v[26:27], v[202:203], v[194:195]
	v_fma_f64 v[26:27], v[200:201], v[24:25], -v[26:27]
	v_mul_f64 v[200:201], v[200:201], v[194:195]
	v_fmac_f64_e32 v[200:201], v[202:203], v[24:25]
	s_waitcnt vmcnt(6)
	v_add_f64 v[22:23], v[22:23], -v[200:201]
	ds_read2_b64 v[200:203], v196 offset0:82 offset1:83
	v_add_f64 v[20:21], v[20:21], -v[26:27]
	s_waitcnt lgkmcnt(1)
	v_mul_f64 v[26:27], v[186:187], v[194:195]
	v_fma_f64 v[26:27], v[184:185], v[24:25], -v[26:27]
	v_mul_f64 v[184:185], v[184:185], v[194:195]
	v_fmac_f64_e32 v[184:185], v[186:187], v[24:25]
	s_waitcnt vmcnt(5)
	v_add_f64 v[16:17], v[16:17], -v[26:27]
	v_add_f64 v[18:19], v[18:19], -v[184:185]
	ds_read2_b64 v[184:187], v196 offset0:84 offset1:85
	s_waitcnt lgkmcnt(1)
	v_mul_f64 v[26:27], v[202:203], v[194:195]
	v_fma_f64 v[26:27], v[200:201], v[24:25], -v[26:27]
	v_mul_f64 v[200:201], v[200:201], v[194:195]
	v_fmac_f64_e32 v[200:201], v[202:203], v[24:25]
	s_waitcnt vmcnt(4)
	v_add_f64 v[14:15], v[14:15], -v[200:201]
	ds_read2_b64 v[200:203], v196 offset0:86 offset1:87
	v_add_f64 v[12:13], v[12:13], -v[26:27]
	s_waitcnt lgkmcnt(1)
	v_mul_f64 v[26:27], v[186:187], v[194:195]
	v_fma_f64 v[26:27], v[184:185], v[24:25], -v[26:27]
	v_mul_f64 v[184:185], v[184:185], v[194:195]
	v_fmac_f64_e32 v[184:185], v[186:187], v[24:25]
	s_waitcnt vmcnt(3)
	v_add_f64 v[8:9], v[8:9], -v[26:27]
	v_add_f64 v[10:11], v[10:11], -v[184:185]
	;; [unrolled: 18-line block ×3, first 2 shown]
	s_waitcnt lgkmcnt(0)
	v_mul_f64 v[26:27], v[202:203], v[194:195]
	v_mul_f64 v[184:185], v[200:201], v[194:195]
	v_fma_f64 v[26:27], v[200:201], v[24:25], -v[26:27]
	v_fmac_f64_e32 v[184:185], v[202:203], v[24:25]
	s_waitcnt vmcnt(0)
	v_add_f64 v[180:181], v[180:181], -v[26:27]
	v_add_f64 v[182:183], v[182:183], -v[184:185]
	v_mov_b64_e32 v[26:27], v[194:195]
.LBB90_818:
	s_or_b64 exec, exec, s[0:1]
	v_lshl_add_u32 v184, v197, 4, v196
	s_barrier
	s_waitcnt vmcnt(6)
	ds_write2_b64 v184, v[20:21], v[22:23] offset1:1
	s_waitcnt lgkmcnt(0)
	s_barrier
	ds_read2_b64 v[184:187], v196 offset0:78 offset1:79
	s_cmp_lt_i32 s20, 41
	v_mov_b32_e32 v194, 39
	s_cbranch_scc1 .LBB90_821
; %bb.819:
	v_add_u32_e32 v195, 0x280, v196
	s_mov_b32 s16, 40
	v_mov_b32_e32 v194, 39
.LBB90_820:                             ; =>This Inner Loop Header: Depth=1
	ds_read2_b64 v[200:203], v195 offset1:1
	s_waitcnt lgkmcnt(1)
	v_xor_b32_e32 v205, 0x80000000, v185
	v_xor_b32_e32 v207, 0x80000000, v187
	v_cmp_gt_f64_e32 vcc, 0, v[186:187]
	v_cmp_gt_f64_e64 s[0:1], 0, v[184:185]
	v_mov_b32_e32 v204, v184
	v_mov_b32_e32 v206, v186
	v_cndmask_b32_e64 v205, v185, v205, s[0:1]
	v_cndmask_b32_e32 v207, v187, v207, vcc
	v_add_f64 v[204:205], v[204:205], v[206:207]
	s_waitcnt lgkmcnt(0)
	v_xor_b32_e32 v207, 0x80000000, v201
	v_xor_b32_e32 v209, 0x80000000, v203
	v_cmp_gt_f64_e32 vcc, 0, v[202:203]
	v_cmp_gt_f64_e64 s[0:1], 0, v[200:201]
	v_mov_b32_e32 v206, v200
	v_mov_b32_e32 v208, v202
	v_cndmask_b32_e64 v207, v201, v207, s[0:1]
	v_cndmask_b32_e32 v209, v203, v209, vcc
	v_add_f64 v[206:207], v[206:207], v[208:209]
	v_mov_b32_e32 v210, s16
	s_add_i32 s16, s16, 1
	v_cmp_lt_f64_e32 vcc, v[204:205], v[206:207]
	v_add_u32_e32 v195, 16, v195
	s_cmp_lg_u32 s20, s16
	v_cndmask_b32_e32 v185, v185, v201, vcc
	v_cndmask_b32_e32 v184, v184, v200, vcc
	;; [unrolled: 1-line block ×5, first 2 shown]
	s_cbranch_scc1 .LBB90_820
.LBB90_821:
	s_waitcnt lgkmcnt(0)
	v_cmp_eq_f64_e32 vcc, 0, v[184:185]
	v_cmp_eq_f64_e64 s[0:1], 0, v[186:187]
	s_and_b64 s[0:1], vcc, s[0:1]
	s_and_saveexec_b64 s[16:17], s[0:1]
	s_xor_b64 s[0:1], exec, s[16:17]
; %bb.822:
	v_cmp_ne_u32_e32 vcc, 0, v198
	s_nop 1
	v_cndmask_b32_e32 v198, 40, v198, vcc
; %bb.823:
	s_andn2_saveexec_b64 s[0:1], s[0:1]
	s_cbranch_execz .LBB90_829
; %bb.824:
	v_cmp_ngt_f64_e64 s[16:17], |v[184:185]|, |v[186:187]|
	s_and_saveexec_b64 s[18:19], s[16:17]
	s_xor_b64 s[16:17], exec, s[18:19]
	s_cbranch_execz .LBB90_826
; %bb.825:
	v_div_scale_f64 v[200:201], s[18:19], v[186:187], v[186:187], v[184:185]
	v_rcp_f64_e32 v[202:203], v[200:201]
	v_div_scale_f64 v[204:205], vcc, v[184:185], v[186:187], v[184:185]
	v_fma_f64 v[206:207], -v[200:201], v[202:203], 1.0
	v_fmac_f64_e32 v[202:203], v[202:203], v[206:207]
	v_fma_f64 v[206:207], -v[200:201], v[202:203], 1.0
	v_fmac_f64_e32 v[202:203], v[202:203], v[206:207]
	v_mul_f64 v[206:207], v[204:205], v[202:203]
	v_fma_f64 v[200:201], -v[200:201], v[206:207], v[204:205]
	v_div_fmas_f64 v[200:201], v[200:201], v[202:203], v[206:207]
	v_div_fixup_f64 v[200:201], v[200:201], v[186:187], v[184:185]
	v_fmac_f64_e32 v[186:187], v[184:185], v[200:201]
	v_div_scale_f64 v[184:185], s[18:19], v[186:187], v[186:187], 1.0
	v_rcp_f64_e32 v[202:203], v[184:185]
	s_nop 0
	v_fma_f64 v[204:205], -v[184:185], v[202:203], 1.0
	v_fmac_f64_e32 v[202:203], v[202:203], v[204:205]
	v_fma_f64 v[204:205], -v[184:185], v[202:203], 1.0
	v_fmac_f64_e32 v[202:203], v[202:203], v[204:205]
	v_div_scale_f64 v[204:205], vcc, 1.0, v[186:187], 1.0
	v_mul_f64 v[206:207], v[204:205], v[202:203]
	v_fma_f64 v[184:185], -v[184:185], v[206:207], v[204:205]
	s_nop 1
	v_div_fmas_f64 v[184:185], v[184:185], v[202:203], v[206:207]
	v_div_fixup_f64 v[186:187], v[184:185], v[186:187], 1.0
	v_mul_f64 v[184:185], v[200:201], v[186:187]
	v_xor_b32_e32 v187, 0x80000000, v187
.LBB90_826:
	s_andn2_saveexec_b64 s[16:17], s[16:17]
	s_cbranch_execz .LBB90_828
; %bb.827:
	v_div_scale_f64 v[200:201], s[18:19], v[184:185], v[184:185], v[186:187]
	v_rcp_f64_e32 v[202:203], v[200:201]
	v_div_scale_f64 v[204:205], vcc, v[186:187], v[184:185], v[186:187]
	v_fma_f64 v[206:207], -v[200:201], v[202:203], 1.0
	v_fmac_f64_e32 v[202:203], v[202:203], v[206:207]
	v_fma_f64 v[206:207], -v[200:201], v[202:203], 1.0
	v_fmac_f64_e32 v[202:203], v[202:203], v[206:207]
	v_mul_f64 v[206:207], v[204:205], v[202:203]
	v_fma_f64 v[200:201], -v[200:201], v[206:207], v[204:205]
	v_div_fmas_f64 v[200:201], v[200:201], v[202:203], v[206:207]
	v_div_fixup_f64 v[200:201], v[200:201], v[184:185], v[186:187]
	v_fmac_f64_e32 v[184:185], v[186:187], v[200:201]
	v_div_scale_f64 v[186:187], s[18:19], v[184:185], v[184:185], 1.0
	v_rcp_f64_e32 v[202:203], v[186:187]
	s_nop 0
	v_fma_f64 v[204:205], -v[186:187], v[202:203], 1.0
	v_fmac_f64_e32 v[202:203], v[202:203], v[204:205]
	v_fma_f64 v[204:205], -v[186:187], v[202:203], 1.0
	v_fmac_f64_e32 v[202:203], v[202:203], v[204:205]
	v_div_scale_f64 v[204:205], vcc, 1.0, v[184:185], 1.0
	v_mul_f64 v[206:207], v[204:205], v[202:203]
	v_fma_f64 v[186:187], -v[186:187], v[206:207], v[204:205]
	s_nop 1
	v_div_fmas_f64 v[186:187], v[186:187], v[202:203], v[206:207]
	v_div_fixup_f64 v[184:185], v[186:187], v[184:185], 1.0
	v_mul_f64 v[186:187], v[200:201], -v[184:185]
.LBB90_828:
	s_or_b64 exec, exec, s[16:17]
.LBB90_829:
	s_or_b64 exec, exec, s[0:1]
	v_cmp_ne_u32_e32 vcc, v197, v194
	s_and_saveexec_b64 s[0:1], vcc
	s_xor_b64 s[0:1], exec, s[0:1]
	s_cbranch_execz .LBB90_835
; %bb.830:
	v_cmp_eq_u32_e32 vcc, 39, v197
	s_and_saveexec_b64 s[16:17], vcc
	s_cbranch_execz .LBB90_834
; %bb.831:
	v_cmp_ne_u32_e32 vcc, 39, v194
	s_xor_b64 s[18:19], s[14:15], -1
	s_and_b64 s[22:23], s[18:19], vcc
	s_and_saveexec_b64 s[18:19], s[22:23]
	s_cbranch_execz .LBB90_833
; %bb.832:
	v_ashrrev_i32_e32 v195, 31, v194
	v_lshl_add_u64 v[200:201], v[194:195], 2, v[192:193]
	global_load_dword v195, v[200:201], off
	global_load_dword v197, v[192:193], off offset:156
	s_waitcnt vmcnt(1)
	global_store_dword v[192:193], v195, off offset:156
	s_waitcnt vmcnt(1)
	global_store_dword v[200:201], v197, off
.LBB90_833:
	s_or_b64 exec, exec, s[18:19]
	v_mov_b32_e32 v197, v194
	v_mov_b32_e32 v199, v194
.LBB90_834:
	s_or_b64 exec, exec, s[16:17]
.LBB90_835:
	s_andn2_saveexec_b64 s[0:1], s[0:1]
	s_cbranch_execz .LBB90_837
; %bb.836:
	v_mov_b32_e32 v197, 39
	s_waitcnt vmcnt(5)
	ds_write2_b64 v196, v[16:17], v[18:19] offset0:80 offset1:81
	s_waitcnt vmcnt(4)
	ds_write2_b64 v196, v[12:13], v[14:15] offset0:82 offset1:83
	s_waitcnt vmcnt(3)
	ds_write2_b64 v196, v[8:9], v[10:11] offset0:84 offset1:85
	s_waitcnt vmcnt(2)
	ds_write2_b64 v196, v[4:5], v[6:7] offset0:86 offset1:87
	s_waitcnt vmcnt(1)
	ds_write2_b64 v196, v[0:1], v[2:3] offset0:88 offset1:89
	s_waitcnt vmcnt(0)
	ds_write2_b64 v196, v[180:181], v[182:183] offset0:90 offset1:91
.LBB90_837:
	s_or_b64 exec, exec, s[0:1]
	v_cmp_lt_i32_e32 vcc, 39, v197
	s_waitcnt lgkmcnt(0)
	s_barrier
	s_and_saveexec_b64 s[0:1], vcc
	s_cbranch_execz .LBB90_839
; %bb.838:
	ds_read2_b64 v[200:203], v196 offset0:80 offset1:81
	v_mul_f64 v[194:195], v[184:185], v[22:23]
	v_mul_f64 v[22:23], v[186:187], v[22:23]
	v_fmac_f64_e32 v[194:195], v[186:187], v[20:21]
	v_fma_f64 v[20:21], v[184:185], v[20:21], -v[22:23]
	ds_read2_b64 v[184:187], v196 offset0:82 offset1:83
	s_waitcnt lgkmcnt(1)
	v_mul_f64 v[22:23], v[202:203], v[194:195]
	v_fma_f64 v[22:23], v[200:201], v[20:21], -v[22:23]
	v_mul_f64 v[200:201], v[200:201], v[194:195]
	v_fmac_f64_e32 v[200:201], v[202:203], v[20:21]
	s_waitcnt vmcnt(5)
	v_add_f64 v[16:17], v[16:17], -v[22:23]
	s_waitcnt lgkmcnt(0)
	v_mul_f64 v[22:23], v[186:187], v[194:195]
	v_add_f64 v[18:19], v[18:19], -v[200:201]
	v_fma_f64 v[22:23], v[184:185], v[20:21], -v[22:23]
	v_mul_f64 v[184:185], v[184:185], v[194:195]
	ds_read2_b64 v[200:203], v196 offset0:84 offset1:85
	v_fmac_f64_e32 v[184:185], v[186:187], v[20:21]
	s_waitcnt vmcnt(4)
	v_add_f64 v[14:15], v[14:15], -v[184:185]
	ds_read2_b64 v[184:187], v196 offset0:86 offset1:87
	v_add_f64 v[12:13], v[12:13], -v[22:23]
	s_waitcnt lgkmcnt(1)
	v_mul_f64 v[22:23], v[202:203], v[194:195]
	v_fma_f64 v[22:23], v[200:201], v[20:21], -v[22:23]
	v_mul_f64 v[200:201], v[200:201], v[194:195]
	v_fmac_f64_e32 v[200:201], v[202:203], v[20:21]
	s_waitcnt vmcnt(3)
	v_add_f64 v[8:9], v[8:9], -v[22:23]
	s_waitcnt lgkmcnt(0)
	v_mul_f64 v[22:23], v[186:187], v[194:195]
	v_add_f64 v[10:11], v[10:11], -v[200:201]
	v_fma_f64 v[22:23], v[184:185], v[20:21], -v[22:23]
	v_mul_f64 v[184:185], v[184:185], v[194:195]
	ds_read2_b64 v[200:203], v196 offset0:88 offset1:89
	v_fmac_f64_e32 v[184:185], v[186:187], v[20:21]
	s_waitcnt vmcnt(2)
	v_add_f64 v[6:7], v[6:7], -v[184:185]
	ds_read2_b64 v[184:187], v196 offset0:90 offset1:91
	v_add_f64 v[4:5], v[4:5], -v[22:23]
	s_waitcnt lgkmcnt(1)
	v_mul_f64 v[22:23], v[202:203], v[194:195]
	v_fma_f64 v[22:23], v[200:201], v[20:21], -v[22:23]
	s_waitcnt vmcnt(1)
	v_add_f64 v[0:1], v[0:1], -v[22:23]
	s_waitcnt lgkmcnt(0)
	v_mul_f64 v[22:23], v[186:187], v[194:195]
	v_mul_f64 v[200:201], v[200:201], v[194:195]
	v_fma_f64 v[22:23], v[184:185], v[20:21], -v[22:23]
	v_mul_f64 v[184:185], v[184:185], v[194:195]
	v_fmac_f64_e32 v[200:201], v[202:203], v[20:21]
	v_fmac_f64_e32 v[184:185], v[186:187], v[20:21]
	v_add_f64 v[2:3], v[2:3], -v[200:201]
	s_waitcnt vmcnt(0)
	v_add_f64 v[180:181], v[180:181], -v[22:23]
	v_add_f64 v[182:183], v[182:183], -v[184:185]
	v_mov_b64_e32 v[22:23], v[194:195]
.LBB90_839:
	s_or_b64 exec, exec, s[0:1]
	v_lshl_add_u32 v184, v197, 4, v196
	s_barrier
	s_waitcnt vmcnt(5)
	ds_write2_b64 v184, v[16:17], v[18:19] offset1:1
	s_waitcnt lgkmcnt(0)
	s_barrier
	ds_read2_b64 v[184:187], v196 offset0:80 offset1:81
	s_cmp_lt_i32 s20, 42
	v_mov_b32_e32 v194, 40
	s_cbranch_scc1 .LBB90_842
; %bb.840:
	v_add_u32_e32 v195, 0x290, v196
	s_mov_b32 s16, 41
	v_mov_b32_e32 v194, 40
.LBB90_841:                             ; =>This Inner Loop Header: Depth=1
	ds_read2_b64 v[200:203], v195 offset1:1
	s_waitcnt lgkmcnt(1)
	v_xor_b32_e32 v205, 0x80000000, v185
	v_xor_b32_e32 v207, 0x80000000, v187
	v_cmp_gt_f64_e32 vcc, 0, v[186:187]
	v_cmp_gt_f64_e64 s[0:1], 0, v[184:185]
	v_mov_b32_e32 v204, v184
	v_mov_b32_e32 v206, v186
	v_cndmask_b32_e64 v205, v185, v205, s[0:1]
	v_cndmask_b32_e32 v207, v187, v207, vcc
	v_add_f64 v[204:205], v[204:205], v[206:207]
	s_waitcnt lgkmcnt(0)
	v_xor_b32_e32 v207, 0x80000000, v201
	v_xor_b32_e32 v209, 0x80000000, v203
	v_cmp_gt_f64_e32 vcc, 0, v[202:203]
	v_cmp_gt_f64_e64 s[0:1], 0, v[200:201]
	v_mov_b32_e32 v206, v200
	v_mov_b32_e32 v208, v202
	v_cndmask_b32_e64 v207, v201, v207, s[0:1]
	v_cndmask_b32_e32 v209, v203, v209, vcc
	v_add_f64 v[206:207], v[206:207], v[208:209]
	v_mov_b32_e32 v210, s16
	s_add_i32 s16, s16, 1
	v_cmp_lt_f64_e32 vcc, v[204:205], v[206:207]
	v_add_u32_e32 v195, 16, v195
	s_cmp_lg_u32 s20, s16
	v_cndmask_b32_e32 v185, v185, v201, vcc
	v_cndmask_b32_e32 v184, v184, v200, vcc
	;; [unrolled: 1-line block ×5, first 2 shown]
	s_cbranch_scc1 .LBB90_841
.LBB90_842:
	s_waitcnt lgkmcnt(0)
	v_cmp_eq_f64_e32 vcc, 0, v[184:185]
	v_cmp_eq_f64_e64 s[0:1], 0, v[186:187]
	s_and_b64 s[0:1], vcc, s[0:1]
	s_and_saveexec_b64 s[16:17], s[0:1]
	s_xor_b64 s[0:1], exec, s[16:17]
; %bb.843:
	v_cmp_ne_u32_e32 vcc, 0, v198
	s_nop 1
	v_cndmask_b32_e32 v198, 41, v198, vcc
; %bb.844:
	s_andn2_saveexec_b64 s[0:1], s[0:1]
	s_cbranch_execz .LBB90_850
; %bb.845:
	v_cmp_ngt_f64_e64 s[16:17], |v[184:185]|, |v[186:187]|
	s_and_saveexec_b64 s[18:19], s[16:17]
	s_xor_b64 s[16:17], exec, s[18:19]
	s_cbranch_execz .LBB90_847
; %bb.846:
	v_div_scale_f64 v[200:201], s[18:19], v[186:187], v[186:187], v[184:185]
	v_rcp_f64_e32 v[202:203], v[200:201]
	v_div_scale_f64 v[204:205], vcc, v[184:185], v[186:187], v[184:185]
	v_fma_f64 v[206:207], -v[200:201], v[202:203], 1.0
	v_fmac_f64_e32 v[202:203], v[202:203], v[206:207]
	v_fma_f64 v[206:207], -v[200:201], v[202:203], 1.0
	v_fmac_f64_e32 v[202:203], v[202:203], v[206:207]
	v_mul_f64 v[206:207], v[204:205], v[202:203]
	v_fma_f64 v[200:201], -v[200:201], v[206:207], v[204:205]
	v_div_fmas_f64 v[200:201], v[200:201], v[202:203], v[206:207]
	v_div_fixup_f64 v[200:201], v[200:201], v[186:187], v[184:185]
	v_fmac_f64_e32 v[186:187], v[184:185], v[200:201]
	v_div_scale_f64 v[184:185], s[18:19], v[186:187], v[186:187], 1.0
	v_rcp_f64_e32 v[202:203], v[184:185]
	s_nop 0
	v_fma_f64 v[204:205], -v[184:185], v[202:203], 1.0
	v_fmac_f64_e32 v[202:203], v[202:203], v[204:205]
	v_fma_f64 v[204:205], -v[184:185], v[202:203], 1.0
	v_fmac_f64_e32 v[202:203], v[202:203], v[204:205]
	v_div_scale_f64 v[204:205], vcc, 1.0, v[186:187], 1.0
	v_mul_f64 v[206:207], v[204:205], v[202:203]
	v_fma_f64 v[184:185], -v[184:185], v[206:207], v[204:205]
	s_nop 1
	v_div_fmas_f64 v[184:185], v[184:185], v[202:203], v[206:207]
	v_div_fixup_f64 v[186:187], v[184:185], v[186:187], 1.0
	v_mul_f64 v[184:185], v[200:201], v[186:187]
	v_xor_b32_e32 v187, 0x80000000, v187
.LBB90_847:
	s_andn2_saveexec_b64 s[16:17], s[16:17]
	s_cbranch_execz .LBB90_849
; %bb.848:
	v_div_scale_f64 v[200:201], s[18:19], v[184:185], v[184:185], v[186:187]
	v_rcp_f64_e32 v[202:203], v[200:201]
	v_div_scale_f64 v[204:205], vcc, v[186:187], v[184:185], v[186:187]
	v_fma_f64 v[206:207], -v[200:201], v[202:203], 1.0
	v_fmac_f64_e32 v[202:203], v[202:203], v[206:207]
	v_fma_f64 v[206:207], -v[200:201], v[202:203], 1.0
	v_fmac_f64_e32 v[202:203], v[202:203], v[206:207]
	v_mul_f64 v[206:207], v[204:205], v[202:203]
	v_fma_f64 v[200:201], -v[200:201], v[206:207], v[204:205]
	v_div_fmas_f64 v[200:201], v[200:201], v[202:203], v[206:207]
	v_div_fixup_f64 v[200:201], v[200:201], v[184:185], v[186:187]
	v_fmac_f64_e32 v[184:185], v[186:187], v[200:201]
	v_div_scale_f64 v[186:187], s[18:19], v[184:185], v[184:185], 1.0
	v_rcp_f64_e32 v[202:203], v[186:187]
	s_nop 0
	v_fma_f64 v[204:205], -v[186:187], v[202:203], 1.0
	v_fmac_f64_e32 v[202:203], v[202:203], v[204:205]
	v_fma_f64 v[204:205], -v[186:187], v[202:203], 1.0
	v_fmac_f64_e32 v[202:203], v[202:203], v[204:205]
	v_div_scale_f64 v[204:205], vcc, 1.0, v[184:185], 1.0
	v_mul_f64 v[206:207], v[204:205], v[202:203]
	v_fma_f64 v[186:187], -v[186:187], v[206:207], v[204:205]
	s_nop 1
	v_div_fmas_f64 v[186:187], v[186:187], v[202:203], v[206:207]
	v_div_fixup_f64 v[184:185], v[186:187], v[184:185], 1.0
	v_mul_f64 v[186:187], v[200:201], -v[184:185]
.LBB90_849:
	s_or_b64 exec, exec, s[16:17]
.LBB90_850:
	s_or_b64 exec, exec, s[0:1]
	v_cmp_ne_u32_e32 vcc, v197, v194
	s_and_saveexec_b64 s[0:1], vcc
	s_xor_b64 s[0:1], exec, s[0:1]
	s_cbranch_execz .LBB90_856
; %bb.851:
	v_cmp_eq_u32_e32 vcc, 40, v197
	s_and_saveexec_b64 s[16:17], vcc
	s_cbranch_execz .LBB90_855
; %bb.852:
	v_cmp_ne_u32_e32 vcc, 40, v194
	s_xor_b64 s[18:19], s[14:15], -1
	s_and_b64 s[22:23], s[18:19], vcc
	s_and_saveexec_b64 s[18:19], s[22:23]
	s_cbranch_execz .LBB90_854
; %bb.853:
	v_ashrrev_i32_e32 v195, 31, v194
	v_lshl_add_u64 v[200:201], v[194:195], 2, v[192:193]
	global_load_dword v195, v[200:201], off
	global_load_dword v197, v[192:193], off offset:160
	s_waitcnt vmcnt(1)
	global_store_dword v[192:193], v195, off offset:160
	s_waitcnt vmcnt(1)
	global_store_dword v[200:201], v197, off
.LBB90_854:
	s_or_b64 exec, exec, s[18:19]
	v_mov_b32_e32 v197, v194
	v_mov_b32_e32 v199, v194
.LBB90_855:
	s_or_b64 exec, exec, s[16:17]
.LBB90_856:
	s_andn2_saveexec_b64 s[0:1], s[0:1]
	s_cbranch_execz .LBB90_858
; %bb.857:
	v_mov_b32_e32 v197, 40
	s_waitcnt vmcnt(4)
	ds_write2_b64 v196, v[12:13], v[14:15] offset0:82 offset1:83
	s_waitcnt vmcnt(3)
	ds_write2_b64 v196, v[8:9], v[10:11] offset0:84 offset1:85
	;; [unrolled: 2-line block ×5, first 2 shown]
.LBB90_858:
	s_or_b64 exec, exec, s[0:1]
	v_cmp_lt_i32_e32 vcc, 40, v197
	s_waitcnt lgkmcnt(0)
	s_barrier
	s_and_saveexec_b64 s[0:1], vcc
	s_cbranch_execz .LBB90_860
; %bb.859:
	ds_read2_b64 v[200:203], v196 offset0:82 offset1:83
	v_mul_f64 v[194:195], v[184:185], v[18:19]
	v_fmac_f64_e32 v[194:195], v[186:187], v[16:17]
	v_mul_f64 v[18:19], v[186:187], v[18:19]
	v_fma_f64 v[16:17], v[184:185], v[16:17], -v[18:19]
	ds_read2_b64 v[184:187], v196 offset0:84 offset1:85
	s_waitcnt lgkmcnt(1)
	v_mul_f64 v[18:19], v[202:203], v[194:195]
	v_fma_f64 v[18:19], v[200:201], v[16:17], -v[18:19]
	v_mul_f64 v[200:201], v[200:201], v[194:195]
	v_fmac_f64_e32 v[200:201], v[202:203], v[16:17]
	s_waitcnt vmcnt(4)
	v_add_f64 v[14:15], v[14:15], -v[200:201]
	ds_read2_b64 v[200:203], v196 offset0:86 offset1:87
	v_add_f64 v[12:13], v[12:13], -v[18:19]
	s_waitcnt lgkmcnt(1)
	v_mul_f64 v[18:19], v[186:187], v[194:195]
	v_fma_f64 v[18:19], v[184:185], v[16:17], -v[18:19]
	v_mul_f64 v[184:185], v[184:185], v[194:195]
	v_fmac_f64_e32 v[184:185], v[186:187], v[16:17]
	s_waitcnt vmcnt(3)
	v_add_f64 v[8:9], v[8:9], -v[18:19]
	v_add_f64 v[10:11], v[10:11], -v[184:185]
	ds_read2_b64 v[184:187], v196 offset0:88 offset1:89
	s_waitcnt lgkmcnt(1)
	v_mul_f64 v[18:19], v[202:203], v[194:195]
	v_fma_f64 v[18:19], v[200:201], v[16:17], -v[18:19]
	v_mul_f64 v[200:201], v[200:201], v[194:195]
	v_fmac_f64_e32 v[200:201], v[202:203], v[16:17]
	s_waitcnt vmcnt(2)
	v_add_f64 v[6:7], v[6:7], -v[200:201]
	ds_read2_b64 v[200:203], v196 offset0:90 offset1:91
	v_add_f64 v[4:5], v[4:5], -v[18:19]
	s_waitcnt lgkmcnt(1)
	v_mul_f64 v[18:19], v[186:187], v[194:195]
	v_fma_f64 v[18:19], v[184:185], v[16:17], -v[18:19]
	v_mul_f64 v[184:185], v[184:185], v[194:195]
	v_fmac_f64_e32 v[184:185], v[186:187], v[16:17]
	s_waitcnt vmcnt(1)
	v_add_f64 v[0:1], v[0:1], -v[18:19]
	v_add_f64 v[2:3], v[2:3], -v[184:185]
	s_waitcnt lgkmcnt(0)
	v_mul_f64 v[18:19], v[202:203], v[194:195]
	v_mul_f64 v[184:185], v[200:201], v[194:195]
	v_fma_f64 v[18:19], v[200:201], v[16:17], -v[18:19]
	v_fmac_f64_e32 v[184:185], v[202:203], v[16:17]
	s_waitcnt vmcnt(0)
	v_add_f64 v[180:181], v[180:181], -v[18:19]
	v_add_f64 v[182:183], v[182:183], -v[184:185]
	v_mov_b64_e32 v[18:19], v[194:195]
.LBB90_860:
	s_or_b64 exec, exec, s[0:1]
	v_lshl_add_u32 v184, v197, 4, v196
	s_barrier
	s_waitcnt vmcnt(4)
	ds_write2_b64 v184, v[12:13], v[14:15] offset1:1
	s_waitcnt lgkmcnt(0)
	s_barrier
	ds_read2_b64 v[184:187], v196 offset0:82 offset1:83
	s_cmp_lt_i32 s20, 43
	v_mov_b32_e32 v194, 41
	s_cbranch_scc1 .LBB90_863
; %bb.861:
	v_add_u32_e32 v195, 0x2a0, v196
	s_mov_b32 s16, 42
	v_mov_b32_e32 v194, 41
.LBB90_862:                             ; =>This Inner Loop Header: Depth=1
	ds_read2_b64 v[200:203], v195 offset1:1
	s_waitcnt lgkmcnt(1)
	v_xor_b32_e32 v205, 0x80000000, v185
	v_xor_b32_e32 v207, 0x80000000, v187
	v_cmp_gt_f64_e32 vcc, 0, v[186:187]
	v_cmp_gt_f64_e64 s[0:1], 0, v[184:185]
	v_mov_b32_e32 v204, v184
	v_mov_b32_e32 v206, v186
	v_cndmask_b32_e64 v205, v185, v205, s[0:1]
	v_cndmask_b32_e32 v207, v187, v207, vcc
	v_add_f64 v[204:205], v[204:205], v[206:207]
	s_waitcnt lgkmcnt(0)
	v_xor_b32_e32 v207, 0x80000000, v201
	v_xor_b32_e32 v209, 0x80000000, v203
	v_cmp_gt_f64_e32 vcc, 0, v[202:203]
	v_cmp_gt_f64_e64 s[0:1], 0, v[200:201]
	v_mov_b32_e32 v206, v200
	v_mov_b32_e32 v208, v202
	v_cndmask_b32_e64 v207, v201, v207, s[0:1]
	v_cndmask_b32_e32 v209, v203, v209, vcc
	v_add_f64 v[206:207], v[206:207], v[208:209]
	v_mov_b32_e32 v210, s16
	s_add_i32 s16, s16, 1
	v_cmp_lt_f64_e32 vcc, v[204:205], v[206:207]
	v_add_u32_e32 v195, 16, v195
	s_cmp_lg_u32 s20, s16
	v_cndmask_b32_e32 v185, v185, v201, vcc
	v_cndmask_b32_e32 v184, v184, v200, vcc
	;; [unrolled: 1-line block ×5, first 2 shown]
	s_cbranch_scc1 .LBB90_862
.LBB90_863:
	s_waitcnt lgkmcnt(0)
	v_cmp_eq_f64_e32 vcc, 0, v[184:185]
	v_cmp_eq_f64_e64 s[0:1], 0, v[186:187]
	s_and_b64 s[0:1], vcc, s[0:1]
	s_and_saveexec_b64 s[16:17], s[0:1]
	s_xor_b64 s[0:1], exec, s[16:17]
; %bb.864:
	v_cmp_ne_u32_e32 vcc, 0, v198
	s_nop 1
	v_cndmask_b32_e32 v198, 42, v198, vcc
; %bb.865:
	s_andn2_saveexec_b64 s[0:1], s[0:1]
	s_cbranch_execz .LBB90_871
; %bb.866:
	v_cmp_ngt_f64_e64 s[16:17], |v[184:185]|, |v[186:187]|
	s_and_saveexec_b64 s[18:19], s[16:17]
	s_xor_b64 s[16:17], exec, s[18:19]
	s_cbranch_execz .LBB90_868
; %bb.867:
	v_div_scale_f64 v[200:201], s[18:19], v[186:187], v[186:187], v[184:185]
	v_rcp_f64_e32 v[202:203], v[200:201]
	v_div_scale_f64 v[204:205], vcc, v[184:185], v[186:187], v[184:185]
	v_fma_f64 v[206:207], -v[200:201], v[202:203], 1.0
	v_fmac_f64_e32 v[202:203], v[202:203], v[206:207]
	v_fma_f64 v[206:207], -v[200:201], v[202:203], 1.0
	v_fmac_f64_e32 v[202:203], v[202:203], v[206:207]
	v_mul_f64 v[206:207], v[204:205], v[202:203]
	v_fma_f64 v[200:201], -v[200:201], v[206:207], v[204:205]
	v_div_fmas_f64 v[200:201], v[200:201], v[202:203], v[206:207]
	v_div_fixup_f64 v[200:201], v[200:201], v[186:187], v[184:185]
	v_fmac_f64_e32 v[186:187], v[184:185], v[200:201]
	v_div_scale_f64 v[184:185], s[18:19], v[186:187], v[186:187], 1.0
	v_rcp_f64_e32 v[202:203], v[184:185]
	s_nop 0
	v_fma_f64 v[204:205], -v[184:185], v[202:203], 1.0
	v_fmac_f64_e32 v[202:203], v[202:203], v[204:205]
	v_fma_f64 v[204:205], -v[184:185], v[202:203], 1.0
	v_fmac_f64_e32 v[202:203], v[202:203], v[204:205]
	v_div_scale_f64 v[204:205], vcc, 1.0, v[186:187], 1.0
	v_mul_f64 v[206:207], v[204:205], v[202:203]
	v_fma_f64 v[184:185], -v[184:185], v[206:207], v[204:205]
	s_nop 1
	v_div_fmas_f64 v[184:185], v[184:185], v[202:203], v[206:207]
	v_div_fixup_f64 v[186:187], v[184:185], v[186:187], 1.0
	v_mul_f64 v[184:185], v[200:201], v[186:187]
	v_xor_b32_e32 v187, 0x80000000, v187
.LBB90_868:
	s_andn2_saveexec_b64 s[16:17], s[16:17]
	s_cbranch_execz .LBB90_870
; %bb.869:
	v_div_scale_f64 v[200:201], s[18:19], v[184:185], v[184:185], v[186:187]
	v_rcp_f64_e32 v[202:203], v[200:201]
	v_div_scale_f64 v[204:205], vcc, v[186:187], v[184:185], v[186:187]
	v_fma_f64 v[206:207], -v[200:201], v[202:203], 1.0
	v_fmac_f64_e32 v[202:203], v[202:203], v[206:207]
	v_fma_f64 v[206:207], -v[200:201], v[202:203], 1.0
	v_fmac_f64_e32 v[202:203], v[202:203], v[206:207]
	v_mul_f64 v[206:207], v[204:205], v[202:203]
	v_fma_f64 v[200:201], -v[200:201], v[206:207], v[204:205]
	v_div_fmas_f64 v[200:201], v[200:201], v[202:203], v[206:207]
	v_div_fixup_f64 v[200:201], v[200:201], v[184:185], v[186:187]
	v_fmac_f64_e32 v[184:185], v[186:187], v[200:201]
	v_div_scale_f64 v[186:187], s[18:19], v[184:185], v[184:185], 1.0
	v_rcp_f64_e32 v[202:203], v[186:187]
	s_nop 0
	v_fma_f64 v[204:205], -v[186:187], v[202:203], 1.0
	v_fmac_f64_e32 v[202:203], v[202:203], v[204:205]
	v_fma_f64 v[204:205], -v[186:187], v[202:203], 1.0
	v_fmac_f64_e32 v[202:203], v[202:203], v[204:205]
	v_div_scale_f64 v[204:205], vcc, 1.0, v[184:185], 1.0
	v_mul_f64 v[206:207], v[204:205], v[202:203]
	v_fma_f64 v[186:187], -v[186:187], v[206:207], v[204:205]
	s_nop 1
	v_div_fmas_f64 v[186:187], v[186:187], v[202:203], v[206:207]
	v_div_fixup_f64 v[184:185], v[186:187], v[184:185], 1.0
	v_mul_f64 v[186:187], v[200:201], -v[184:185]
.LBB90_870:
	s_or_b64 exec, exec, s[16:17]
.LBB90_871:
	s_or_b64 exec, exec, s[0:1]
	v_cmp_ne_u32_e32 vcc, v197, v194
	s_and_saveexec_b64 s[0:1], vcc
	s_xor_b64 s[0:1], exec, s[0:1]
	s_cbranch_execz .LBB90_877
; %bb.872:
	v_cmp_eq_u32_e32 vcc, 41, v197
	s_and_saveexec_b64 s[16:17], vcc
	s_cbranch_execz .LBB90_876
; %bb.873:
	v_cmp_ne_u32_e32 vcc, 41, v194
	s_xor_b64 s[18:19], s[14:15], -1
	s_and_b64 s[22:23], s[18:19], vcc
	s_and_saveexec_b64 s[18:19], s[22:23]
	s_cbranch_execz .LBB90_875
; %bb.874:
	v_ashrrev_i32_e32 v195, 31, v194
	v_lshl_add_u64 v[200:201], v[194:195], 2, v[192:193]
	global_load_dword v195, v[200:201], off
	global_load_dword v197, v[192:193], off offset:164
	s_waitcnt vmcnt(1)
	global_store_dword v[192:193], v195, off offset:164
	s_waitcnt vmcnt(1)
	global_store_dword v[200:201], v197, off
.LBB90_875:
	s_or_b64 exec, exec, s[18:19]
	v_mov_b32_e32 v197, v194
	v_mov_b32_e32 v199, v194
.LBB90_876:
	s_or_b64 exec, exec, s[16:17]
.LBB90_877:
	s_andn2_saveexec_b64 s[0:1], s[0:1]
	s_cbranch_execz .LBB90_879
; %bb.878:
	v_mov_b32_e32 v197, 41
	s_waitcnt vmcnt(3)
	ds_write2_b64 v196, v[8:9], v[10:11] offset0:84 offset1:85
	s_waitcnt vmcnt(2)
	ds_write2_b64 v196, v[4:5], v[6:7] offset0:86 offset1:87
	s_waitcnt vmcnt(1)
	ds_write2_b64 v196, v[0:1], v[2:3] offset0:88 offset1:89
	s_waitcnt vmcnt(0)
	ds_write2_b64 v196, v[180:181], v[182:183] offset0:90 offset1:91
.LBB90_879:
	s_or_b64 exec, exec, s[0:1]
	v_cmp_lt_i32_e32 vcc, 41, v197
	s_waitcnt lgkmcnt(0)
	s_barrier
	s_and_saveexec_b64 s[0:1], vcc
	s_cbranch_execz .LBB90_881
; %bb.880:
	ds_read2_b64 v[200:203], v196 offset0:84 offset1:85
	v_mul_f64 v[194:195], v[184:185], v[14:15]
	v_mul_f64 v[14:15], v[186:187], v[14:15]
	v_fmac_f64_e32 v[194:195], v[186:187], v[12:13]
	v_fma_f64 v[12:13], v[184:185], v[12:13], -v[14:15]
	ds_read2_b64 v[184:187], v196 offset0:86 offset1:87
	s_waitcnt lgkmcnt(1)
	v_mul_f64 v[14:15], v[202:203], v[194:195]
	v_fma_f64 v[14:15], v[200:201], v[12:13], -v[14:15]
	v_mul_f64 v[200:201], v[200:201], v[194:195]
	v_fmac_f64_e32 v[200:201], v[202:203], v[12:13]
	s_waitcnt vmcnt(3)
	v_add_f64 v[8:9], v[8:9], -v[14:15]
	s_waitcnt lgkmcnt(0)
	v_mul_f64 v[14:15], v[186:187], v[194:195]
	v_add_f64 v[10:11], v[10:11], -v[200:201]
	v_fma_f64 v[14:15], v[184:185], v[12:13], -v[14:15]
	v_mul_f64 v[184:185], v[184:185], v[194:195]
	ds_read2_b64 v[200:203], v196 offset0:88 offset1:89
	v_fmac_f64_e32 v[184:185], v[186:187], v[12:13]
	s_waitcnt vmcnt(2)
	v_add_f64 v[6:7], v[6:7], -v[184:185]
	ds_read2_b64 v[184:187], v196 offset0:90 offset1:91
	v_add_f64 v[4:5], v[4:5], -v[14:15]
	s_waitcnt lgkmcnt(1)
	v_mul_f64 v[14:15], v[202:203], v[194:195]
	v_fma_f64 v[14:15], v[200:201], v[12:13], -v[14:15]
	s_waitcnt vmcnt(1)
	v_add_f64 v[0:1], v[0:1], -v[14:15]
	s_waitcnt lgkmcnt(0)
	v_mul_f64 v[14:15], v[186:187], v[194:195]
	v_mul_f64 v[200:201], v[200:201], v[194:195]
	v_fma_f64 v[14:15], v[184:185], v[12:13], -v[14:15]
	v_mul_f64 v[184:185], v[184:185], v[194:195]
	v_fmac_f64_e32 v[200:201], v[202:203], v[12:13]
	v_fmac_f64_e32 v[184:185], v[186:187], v[12:13]
	v_add_f64 v[2:3], v[2:3], -v[200:201]
	s_waitcnt vmcnt(0)
	v_add_f64 v[180:181], v[180:181], -v[14:15]
	v_add_f64 v[182:183], v[182:183], -v[184:185]
	v_mov_b64_e32 v[14:15], v[194:195]
.LBB90_881:
	s_or_b64 exec, exec, s[0:1]
	v_lshl_add_u32 v184, v197, 4, v196
	s_barrier
	s_waitcnt vmcnt(3)
	ds_write2_b64 v184, v[8:9], v[10:11] offset1:1
	s_waitcnt lgkmcnt(0)
	s_barrier
	ds_read2_b64 v[184:187], v196 offset0:84 offset1:85
	s_cmp_lt_i32 s20, 44
	v_mov_b32_e32 v194, 42
	s_cbranch_scc1 .LBB90_884
; %bb.882:
	v_add_u32_e32 v195, 0x2b0, v196
	s_mov_b32 s16, 43
	v_mov_b32_e32 v194, 42
.LBB90_883:                             ; =>This Inner Loop Header: Depth=1
	ds_read2_b64 v[200:203], v195 offset1:1
	s_waitcnt lgkmcnt(1)
	v_xor_b32_e32 v205, 0x80000000, v185
	v_xor_b32_e32 v207, 0x80000000, v187
	v_cmp_gt_f64_e32 vcc, 0, v[186:187]
	v_cmp_gt_f64_e64 s[0:1], 0, v[184:185]
	v_mov_b32_e32 v204, v184
	v_mov_b32_e32 v206, v186
	v_cndmask_b32_e64 v205, v185, v205, s[0:1]
	v_cndmask_b32_e32 v207, v187, v207, vcc
	v_add_f64 v[204:205], v[204:205], v[206:207]
	s_waitcnt lgkmcnt(0)
	v_xor_b32_e32 v207, 0x80000000, v201
	v_xor_b32_e32 v209, 0x80000000, v203
	v_cmp_gt_f64_e32 vcc, 0, v[202:203]
	v_cmp_gt_f64_e64 s[0:1], 0, v[200:201]
	v_mov_b32_e32 v206, v200
	v_mov_b32_e32 v208, v202
	v_cndmask_b32_e64 v207, v201, v207, s[0:1]
	v_cndmask_b32_e32 v209, v203, v209, vcc
	v_add_f64 v[206:207], v[206:207], v[208:209]
	v_mov_b32_e32 v210, s16
	s_add_i32 s16, s16, 1
	v_cmp_lt_f64_e32 vcc, v[204:205], v[206:207]
	v_add_u32_e32 v195, 16, v195
	s_cmp_lg_u32 s20, s16
	v_cndmask_b32_e32 v185, v185, v201, vcc
	v_cndmask_b32_e32 v184, v184, v200, vcc
	;; [unrolled: 1-line block ×5, first 2 shown]
	s_cbranch_scc1 .LBB90_883
.LBB90_884:
	s_waitcnt lgkmcnt(0)
	v_cmp_eq_f64_e32 vcc, 0, v[184:185]
	v_cmp_eq_f64_e64 s[0:1], 0, v[186:187]
	s_and_b64 s[0:1], vcc, s[0:1]
	s_and_saveexec_b64 s[16:17], s[0:1]
	s_xor_b64 s[0:1], exec, s[16:17]
; %bb.885:
	v_cmp_ne_u32_e32 vcc, 0, v198
	s_nop 1
	v_cndmask_b32_e32 v198, 43, v198, vcc
; %bb.886:
	s_andn2_saveexec_b64 s[0:1], s[0:1]
	s_cbranch_execz .LBB90_892
; %bb.887:
	v_cmp_ngt_f64_e64 s[16:17], |v[184:185]|, |v[186:187]|
	s_and_saveexec_b64 s[18:19], s[16:17]
	s_xor_b64 s[16:17], exec, s[18:19]
	s_cbranch_execz .LBB90_889
; %bb.888:
	v_div_scale_f64 v[200:201], s[18:19], v[186:187], v[186:187], v[184:185]
	v_rcp_f64_e32 v[202:203], v[200:201]
	v_div_scale_f64 v[204:205], vcc, v[184:185], v[186:187], v[184:185]
	v_fma_f64 v[206:207], -v[200:201], v[202:203], 1.0
	v_fmac_f64_e32 v[202:203], v[202:203], v[206:207]
	v_fma_f64 v[206:207], -v[200:201], v[202:203], 1.0
	v_fmac_f64_e32 v[202:203], v[202:203], v[206:207]
	v_mul_f64 v[206:207], v[204:205], v[202:203]
	v_fma_f64 v[200:201], -v[200:201], v[206:207], v[204:205]
	v_div_fmas_f64 v[200:201], v[200:201], v[202:203], v[206:207]
	v_div_fixup_f64 v[200:201], v[200:201], v[186:187], v[184:185]
	v_fmac_f64_e32 v[186:187], v[184:185], v[200:201]
	v_div_scale_f64 v[184:185], s[18:19], v[186:187], v[186:187], 1.0
	v_rcp_f64_e32 v[202:203], v[184:185]
	s_nop 0
	v_fma_f64 v[204:205], -v[184:185], v[202:203], 1.0
	v_fmac_f64_e32 v[202:203], v[202:203], v[204:205]
	v_fma_f64 v[204:205], -v[184:185], v[202:203], 1.0
	v_fmac_f64_e32 v[202:203], v[202:203], v[204:205]
	v_div_scale_f64 v[204:205], vcc, 1.0, v[186:187], 1.0
	v_mul_f64 v[206:207], v[204:205], v[202:203]
	v_fma_f64 v[184:185], -v[184:185], v[206:207], v[204:205]
	s_nop 1
	v_div_fmas_f64 v[184:185], v[184:185], v[202:203], v[206:207]
	v_div_fixup_f64 v[186:187], v[184:185], v[186:187], 1.0
	v_mul_f64 v[184:185], v[200:201], v[186:187]
	v_xor_b32_e32 v187, 0x80000000, v187
.LBB90_889:
	s_andn2_saveexec_b64 s[16:17], s[16:17]
	s_cbranch_execz .LBB90_891
; %bb.890:
	v_div_scale_f64 v[200:201], s[18:19], v[184:185], v[184:185], v[186:187]
	v_rcp_f64_e32 v[202:203], v[200:201]
	v_div_scale_f64 v[204:205], vcc, v[186:187], v[184:185], v[186:187]
	v_fma_f64 v[206:207], -v[200:201], v[202:203], 1.0
	v_fmac_f64_e32 v[202:203], v[202:203], v[206:207]
	v_fma_f64 v[206:207], -v[200:201], v[202:203], 1.0
	v_fmac_f64_e32 v[202:203], v[202:203], v[206:207]
	v_mul_f64 v[206:207], v[204:205], v[202:203]
	v_fma_f64 v[200:201], -v[200:201], v[206:207], v[204:205]
	v_div_fmas_f64 v[200:201], v[200:201], v[202:203], v[206:207]
	v_div_fixup_f64 v[200:201], v[200:201], v[184:185], v[186:187]
	v_fmac_f64_e32 v[184:185], v[186:187], v[200:201]
	v_div_scale_f64 v[186:187], s[18:19], v[184:185], v[184:185], 1.0
	v_rcp_f64_e32 v[202:203], v[186:187]
	s_nop 0
	v_fma_f64 v[204:205], -v[186:187], v[202:203], 1.0
	v_fmac_f64_e32 v[202:203], v[202:203], v[204:205]
	v_fma_f64 v[204:205], -v[186:187], v[202:203], 1.0
	v_fmac_f64_e32 v[202:203], v[202:203], v[204:205]
	v_div_scale_f64 v[204:205], vcc, 1.0, v[184:185], 1.0
	v_mul_f64 v[206:207], v[204:205], v[202:203]
	v_fma_f64 v[186:187], -v[186:187], v[206:207], v[204:205]
	s_nop 1
	v_div_fmas_f64 v[186:187], v[186:187], v[202:203], v[206:207]
	v_div_fixup_f64 v[184:185], v[186:187], v[184:185], 1.0
	v_mul_f64 v[186:187], v[200:201], -v[184:185]
.LBB90_891:
	s_or_b64 exec, exec, s[16:17]
.LBB90_892:
	s_or_b64 exec, exec, s[0:1]
	v_cmp_ne_u32_e32 vcc, v197, v194
	s_and_saveexec_b64 s[0:1], vcc
	s_xor_b64 s[0:1], exec, s[0:1]
	s_cbranch_execz .LBB90_898
; %bb.893:
	v_cmp_eq_u32_e32 vcc, 42, v197
	s_and_saveexec_b64 s[16:17], vcc
	s_cbranch_execz .LBB90_897
; %bb.894:
	v_cmp_ne_u32_e32 vcc, 42, v194
	s_xor_b64 s[18:19], s[14:15], -1
	s_and_b64 s[22:23], s[18:19], vcc
	s_and_saveexec_b64 s[18:19], s[22:23]
	s_cbranch_execz .LBB90_896
; %bb.895:
	v_ashrrev_i32_e32 v195, 31, v194
	v_lshl_add_u64 v[200:201], v[194:195], 2, v[192:193]
	global_load_dword v195, v[200:201], off
	global_load_dword v197, v[192:193], off offset:168
	s_waitcnt vmcnt(1)
	global_store_dword v[192:193], v195, off offset:168
	s_waitcnt vmcnt(1)
	global_store_dword v[200:201], v197, off
.LBB90_896:
	s_or_b64 exec, exec, s[18:19]
	v_mov_b32_e32 v197, v194
	v_mov_b32_e32 v199, v194
.LBB90_897:
	s_or_b64 exec, exec, s[16:17]
.LBB90_898:
	s_andn2_saveexec_b64 s[0:1], s[0:1]
	s_cbranch_execz .LBB90_900
; %bb.899:
	v_mov_b32_e32 v197, 42
	s_waitcnt vmcnt(2)
	ds_write2_b64 v196, v[4:5], v[6:7] offset0:86 offset1:87
	s_waitcnt vmcnt(1)
	ds_write2_b64 v196, v[0:1], v[2:3] offset0:88 offset1:89
	;; [unrolled: 2-line block ×3, first 2 shown]
.LBB90_900:
	s_or_b64 exec, exec, s[0:1]
	v_cmp_lt_i32_e32 vcc, 42, v197
	s_waitcnt lgkmcnt(0)
	s_barrier
	s_and_saveexec_b64 s[0:1], vcc
	s_cbranch_execz .LBB90_902
; %bb.901:
	ds_read2_b64 v[200:203], v196 offset0:86 offset1:87
	v_mul_f64 v[194:195], v[184:185], v[10:11]
	v_fmac_f64_e32 v[194:195], v[186:187], v[8:9]
	v_mul_f64 v[10:11], v[186:187], v[10:11]
	v_fma_f64 v[8:9], v[184:185], v[8:9], -v[10:11]
	ds_read2_b64 v[184:187], v196 offset0:88 offset1:89
	s_waitcnt lgkmcnt(1)
	v_mul_f64 v[10:11], v[202:203], v[194:195]
	v_fma_f64 v[10:11], v[200:201], v[8:9], -v[10:11]
	v_mul_f64 v[200:201], v[200:201], v[194:195]
	v_fmac_f64_e32 v[200:201], v[202:203], v[8:9]
	s_waitcnt vmcnt(2)
	v_add_f64 v[6:7], v[6:7], -v[200:201]
	ds_read2_b64 v[200:203], v196 offset0:90 offset1:91
	v_add_f64 v[4:5], v[4:5], -v[10:11]
	s_waitcnt lgkmcnt(1)
	v_mul_f64 v[10:11], v[186:187], v[194:195]
	v_fma_f64 v[10:11], v[184:185], v[8:9], -v[10:11]
	v_mul_f64 v[184:185], v[184:185], v[194:195]
	v_fmac_f64_e32 v[184:185], v[186:187], v[8:9]
	s_waitcnt vmcnt(1)
	v_add_f64 v[0:1], v[0:1], -v[10:11]
	v_add_f64 v[2:3], v[2:3], -v[184:185]
	s_waitcnt lgkmcnt(0)
	v_mul_f64 v[10:11], v[202:203], v[194:195]
	v_mul_f64 v[184:185], v[200:201], v[194:195]
	v_fma_f64 v[10:11], v[200:201], v[8:9], -v[10:11]
	v_fmac_f64_e32 v[184:185], v[202:203], v[8:9]
	s_waitcnt vmcnt(0)
	v_add_f64 v[180:181], v[180:181], -v[10:11]
	v_add_f64 v[182:183], v[182:183], -v[184:185]
	v_mov_b64_e32 v[10:11], v[194:195]
.LBB90_902:
	s_or_b64 exec, exec, s[0:1]
	v_lshl_add_u32 v184, v197, 4, v196
	s_barrier
	s_waitcnt vmcnt(2)
	ds_write2_b64 v184, v[4:5], v[6:7] offset1:1
	s_waitcnt lgkmcnt(0)
	s_barrier
	ds_read2_b64 v[184:187], v196 offset0:86 offset1:87
	s_cmp_lt_i32 s20, 45
	v_mov_b32_e32 v194, 43
	s_cbranch_scc1 .LBB90_905
; %bb.903:
	v_add_u32_e32 v195, 0x2c0, v196
	s_mov_b32 s16, 44
	v_mov_b32_e32 v194, 43
.LBB90_904:                             ; =>This Inner Loop Header: Depth=1
	ds_read2_b64 v[200:203], v195 offset1:1
	s_waitcnt lgkmcnt(1)
	v_xor_b32_e32 v205, 0x80000000, v185
	v_xor_b32_e32 v207, 0x80000000, v187
	v_cmp_gt_f64_e32 vcc, 0, v[186:187]
	v_cmp_gt_f64_e64 s[0:1], 0, v[184:185]
	v_mov_b32_e32 v204, v184
	v_mov_b32_e32 v206, v186
	v_cndmask_b32_e64 v205, v185, v205, s[0:1]
	v_cndmask_b32_e32 v207, v187, v207, vcc
	v_add_f64 v[204:205], v[204:205], v[206:207]
	s_waitcnt lgkmcnt(0)
	v_xor_b32_e32 v207, 0x80000000, v201
	v_xor_b32_e32 v209, 0x80000000, v203
	v_cmp_gt_f64_e32 vcc, 0, v[202:203]
	v_cmp_gt_f64_e64 s[0:1], 0, v[200:201]
	v_mov_b32_e32 v206, v200
	v_mov_b32_e32 v208, v202
	v_cndmask_b32_e64 v207, v201, v207, s[0:1]
	v_cndmask_b32_e32 v209, v203, v209, vcc
	v_add_f64 v[206:207], v[206:207], v[208:209]
	v_mov_b32_e32 v210, s16
	s_add_i32 s16, s16, 1
	v_cmp_lt_f64_e32 vcc, v[204:205], v[206:207]
	v_add_u32_e32 v195, 16, v195
	s_cmp_lg_u32 s20, s16
	v_cndmask_b32_e32 v185, v185, v201, vcc
	v_cndmask_b32_e32 v184, v184, v200, vcc
	;; [unrolled: 1-line block ×5, first 2 shown]
	s_cbranch_scc1 .LBB90_904
.LBB90_905:
	s_waitcnt lgkmcnt(0)
	v_cmp_eq_f64_e32 vcc, 0, v[184:185]
	v_cmp_eq_f64_e64 s[0:1], 0, v[186:187]
	s_and_b64 s[0:1], vcc, s[0:1]
	s_and_saveexec_b64 s[16:17], s[0:1]
	s_xor_b64 s[0:1], exec, s[16:17]
; %bb.906:
	v_cmp_ne_u32_e32 vcc, 0, v198
	s_nop 1
	v_cndmask_b32_e32 v198, 44, v198, vcc
; %bb.907:
	s_andn2_saveexec_b64 s[0:1], s[0:1]
	s_cbranch_execz .LBB90_913
; %bb.908:
	v_cmp_ngt_f64_e64 s[16:17], |v[184:185]|, |v[186:187]|
	s_and_saveexec_b64 s[18:19], s[16:17]
	s_xor_b64 s[16:17], exec, s[18:19]
	s_cbranch_execz .LBB90_910
; %bb.909:
	v_div_scale_f64 v[200:201], s[18:19], v[186:187], v[186:187], v[184:185]
	v_rcp_f64_e32 v[202:203], v[200:201]
	v_div_scale_f64 v[204:205], vcc, v[184:185], v[186:187], v[184:185]
	v_fma_f64 v[206:207], -v[200:201], v[202:203], 1.0
	v_fmac_f64_e32 v[202:203], v[202:203], v[206:207]
	v_fma_f64 v[206:207], -v[200:201], v[202:203], 1.0
	v_fmac_f64_e32 v[202:203], v[202:203], v[206:207]
	v_mul_f64 v[206:207], v[204:205], v[202:203]
	v_fma_f64 v[200:201], -v[200:201], v[206:207], v[204:205]
	v_div_fmas_f64 v[200:201], v[200:201], v[202:203], v[206:207]
	v_div_fixup_f64 v[200:201], v[200:201], v[186:187], v[184:185]
	v_fmac_f64_e32 v[186:187], v[184:185], v[200:201]
	v_div_scale_f64 v[184:185], s[18:19], v[186:187], v[186:187], 1.0
	v_rcp_f64_e32 v[202:203], v[184:185]
	s_nop 0
	v_fma_f64 v[204:205], -v[184:185], v[202:203], 1.0
	v_fmac_f64_e32 v[202:203], v[202:203], v[204:205]
	v_fma_f64 v[204:205], -v[184:185], v[202:203], 1.0
	v_fmac_f64_e32 v[202:203], v[202:203], v[204:205]
	v_div_scale_f64 v[204:205], vcc, 1.0, v[186:187], 1.0
	v_mul_f64 v[206:207], v[204:205], v[202:203]
	v_fma_f64 v[184:185], -v[184:185], v[206:207], v[204:205]
	s_nop 1
	v_div_fmas_f64 v[184:185], v[184:185], v[202:203], v[206:207]
	v_div_fixup_f64 v[186:187], v[184:185], v[186:187], 1.0
	v_mul_f64 v[184:185], v[200:201], v[186:187]
	v_xor_b32_e32 v187, 0x80000000, v187
.LBB90_910:
	s_andn2_saveexec_b64 s[16:17], s[16:17]
	s_cbranch_execz .LBB90_912
; %bb.911:
	v_div_scale_f64 v[200:201], s[18:19], v[184:185], v[184:185], v[186:187]
	v_rcp_f64_e32 v[202:203], v[200:201]
	v_div_scale_f64 v[204:205], vcc, v[186:187], v[184:185], v[186:187]
	v_fma_f64 v[206:207], -v[200:201], v[202:203], 1.0
	v_fmac_f64_e32 v[202:203], v[202:203], v[206:207]
	v_fma_f64 v[206:207], -v[200:201], v[202:203], 1.0
	v_fmac_f64_e32 v[202:203], v[202:203], v[206:207]
	v_mul_f64 v[206:207], v[204:205], v[202:203]
	v_fma_f64 v[200:201], -v[200:201], v[206:207], v[204:205]
	v_div_fmas_f64 v[200:201], v[200:201], v[202:203], v[206:207]
	v_div_fixup_f64 v[200:201], v[200:201], v[184:185], v[186:187]
	v_fmac_f64_e32 v[184:185], v[186:187], v[200:201]
	v_div_scale_f64 v[186:187], s[18:19], v[184:185], v[184:185], 1.0
	v_rcp_f64_e32 v[202:203], v[186:187]
	s_nop 0
	v_fma_f64 v[204:205], -v[186:187], v[202:203], 1.0
	v_fmac_f64_e32 v[202:203], v[202:203], v[204:205]
	v_fma_f64 v[204:205], -v[186:187], v[202:203], 1.0
	v_fmac_f64_e32 v[202:203], v[202:203], v[204:205]
	v_div_scale_f64 v[204:205], vcc, 1.0, v[184:185], 1.0
	v_mul_f64 v[206:207], v[204:205], v[202:203]
	v_fma_f64 v[186:187], -v[186:187], v[206:207], v[204:205]
	s_nop 1
	v_div_fmas_f64 v[186:187], v[186:187], v[202:203], v[206:207]
	v_div_fixup_f64 v[184:185], v[186:187], v[184:185], 1.0
	v_mul_f64 v[186:187], v[200:201], -v[184:185]
.LBB90_912:
	s_or_b64 exec, exec, s[16:17]
.LBB90_913:
	s_or_b64 exec, exec, s[0:1]
	v_cmp_ne_u32_e32 vcc, v197, v194
	s_and_saveexec_b64 s[0:1], vcc
	s_xor_b64 s[0:1], exec, s[0:1]
	s_cbranch_execz .LBB90_919
; %bb.914:
	v_cmp_eq_u32_e32 vcc, 43, v197
	s_and_saveexec_b64 s[16:17], vcc
	s_cbranch_execz .LBB90_918
; %bb.915:
	v_cmp_ne_u32_e32 vcc, 43, v194
	s_xor_b64 s[18:19], s[14:15], -1
	s_and_b64 s[22:23], s[18:19], vcc
	s_and_saveexec_b64 s[18:19], s[22:23]
	s_cbranch_execz .LBB90_917
; %bb.916:
	v_ashrrev_i32_e32 v195, 31, v194
	v_lshl_add_u64 v[200:201], v[194:195], 2, v[192:193]
	global_load_dword v195, v[200:201], off
	global_load_dword v197, v[192:193], off offset:172
	s_waitcnt vmcnt(1)
	global_store_dword v[192:193], v195, off offset:172
	s_waitcnt vmcnt(1)
	global_store_dword v[200:201], v197, off
.LBB90_917:
	s_or_b64 exec, exec, s[18:19]
	v_mov_b32_e32 v197, v194
	v_mov_b32_e32 v199, v194
.LBB90_918:
	s_or_b64 exec, exec, s[16:17]
.LBB90_919:
	s_andn2_saveexec_b64 s[0:1], s[0:1]
	s_cbranch_execz .LBB90_921
; %bb.920:
	v_mov_b32_e32 v197, 43
	s_waitcnt vmcnt(1)
	ds_write2_b64 v196, v[0:1], v[2:3] offset0:88 offset1:89
	s_waitcnt vmcnt(0)
	ds_write2_b64 v196, v[180:181], v[182:183] offset0:90 offset1:91
.LBB90_921:
	s_or_b64 exec, exec, s[0:1]
	v_cmp_lt_i32_e32 vcc, 43, v197
	s_waitcnt lgkmcnt(0)
	s_barrier
	s_and_saveexec_b64 s[0:1], vcc
	s_cbranch_execz .LBB90_923
; %bb.922:
	ds_read2_b64 v[200:203], v196 offset0:88 offset1:89
	v_mul_f64 v[194:195], v[184:185], v[6:7]
	v_mul_f64 v[6:7], v[186:187], v[6:7]
	v_fmac_f64_e32 v[194:195], v[186:187], v[4:5]
	v_fma_f64 v[4:5], v[184:185], v[4:5], -v[6:7]
	ds_read2_b64 v[184:187], v196 offset0:90 offset1:91
	s_waitcnt lgkmcnt(1)
	v_mul_f64 v[6:7], v[202:203], v[194:195]
	v_fma_f64 v[6:7], v[200:201], v[4:5], -v[6:7]
	s_waitcnt vmcnt(1)
	v_add_f64 v[0:1], v[0:1], -v[6:7]
	v_mul_f64 v[200:201], v[200:201], v[194:195]
	s_waitcnt lgkmcnt(0)
	v_mul_f64 v[6:7], v[186:187], v[194:195]
	v_fma_f64 v[6:7], v[184:185], v[4:5], -v[6:7]
	v_mul_f64 v[184:185], v[184:185], v[194:195]
	v_fmac_f64_e32 v[200:201], v[202:203], v[4:5]
	v_fmac_f64_e32 v[184:185], v[186:187], v[4:5]
	v_add_f64 v[2:3], v[2:3], -v[200:201]
	s_waitcnt vmcnt(0)
	v_add_f64 v[180:181], v[180:181], -v[6:7]
	v_add_f64 v[182:183], v[182:183], -v[184:185]
	v_mov_b64_e32 v[6:7], v[194:195]
.LBB90_923:
	s_or_b64 exec, exec, s[0:1]
	v_lshl_add_u32 v184, v197, 4, v196
	s_barrier
	s_waitcnt vmcnt(1)
	ds_write2_b64 v184, v[0:1], v[2:3] offset1:1
	s_waitcnt lgkmcnt(0)
	s_barrier
	ds_read2_b64 v[184:187], v196 offset0:88 offset1:89
	s_cmp_lt_i32 s20, 46
	v_mov_b32_e32 v194, 44
	s_cbranch_scc1 .LBB90_926
; %bb.924:
	v_add_u32_e32 v195, 0x2d0, v196
	s_mov_b32 s16, 45
	v_mov_b32_e32 v194, 44
.LBB90_925:                             ; =>This Inner Loop Header: Depth=1
	ds_read2_b64 v[200:203], v195 offset1:1
	s_waitcnt lgkmcnt(1)
	v_xor_b32_e32 v205, 0x80000000, v185
	v_xor_b32_e32 v207, 0x80000000, v187
	v_cmp_gt_f64_e32 vcc, 0, v[186:187]
	v_cmp_gt_f64_e64 s[0:1], 0, v[184:185]
	v_mov_b32_e32 v204, v184
	v_mov_b32_e32 v206, v186
	v_cndmask_b32_e64 v205, v185, v205, s[0:1]
	v_cndmask_b32_e32 v207, v187, v207, vcc
	v_add_f64 v[204:205], v[204:205], v[206:207]
	s_waitcnt lgkmcnt(0)
	v_xor_b32_e32 v207, 0x80000000, v201
	v_xor_b32_e32 v209, 0x80000000, v203
	v_cmp_gt_f64_e32 vcc, 0, v[202:203]
	v_cmp_gt_f64_e64 s[0:1], 0, v[200:201]
	v_mov_b32_e32 v206, v200
	v_mov_b32_e32 v208, v202
	v_cndmask_b32_e64 v207, v201, v207, s[0:1]
	v_cndmask_b32_e32 v209, v203, v209, vcc
	v_add_f64 v[206:207], v[206:207], v[208:209]
	v_mov_b32_e32 v210, s16
	s_add_i32 s16, s16, 1
	v_cmp_lt_f64_e32 vcc, v[204:205], v[206:207]
	v_add_u32_e32 v195, 16, v195
	s_cmp_lg_u32 s20, s16
	v_cndmask_b32_e32 v185, v185, v201, vcc
	v_cndmask_b32_e32 v184, v184, v200, vcc
	;; [unrolled: 1-line block ×5, first 2 shown]
	s_cbranch_scc1 .LBB90_925
.LBB90_926:
	s_waitcnt lgkmcnt(0)
	v_cmp_eq_f64_e32 vcc, 0, v[184:185]
	v_cmp_eq_f64_e64 s[0:1], 0, v[186:187]
	s_and_b64 s[0:1], vcc, s[0:1]
	s_and_saveexec_b64 s[16:17], s[0:1]
	s_xor_b64 s[0:1], exec, s[16:17]
; %bb.927:
	v_cmp_ne_u32_e32 vcc, 0, v198
	s_nop 1
	v_cndmask_b32_e32 v198, 45, v198, vcc
; %bb.928:
	s_andn2_saveexec_b64 s[0:1], s[0:1]
	s_cbranch_execz .LBB90_934
; %bb.929:
	v_cmp_ngt_f64_e64 s[16:17], |v[184:185]|, |v[186:187]|
	s_and_saveexec_b64 s[18:19], s[16:17]
	s_xor_b64 s[16:17], exec, s[18:19]
	s_cbranch_execz .LBB90_931
; %bb.930:
	v_div_scale_f64 v[200:201], s[18:19], v[186:187], v[186:187], v[184:185]
	v_rcp_f64_e32 v[202:203], v[200:201]
	v_div_scale_f64 v[204:205], vcc, v[184:185], v[186:187], v[184:185]
	v_fma_f64 v[206:207], -v[200:201], v[202:203], 1.0
	v_fmac_f64_e32 v[202:203], v[202:203], v[206:207]
	v_fma_f64 v[206:207], -v[200:201], v[202:203], 1.0
	v_fmac_f64_e32 v[202:203], v[202:203], v[206:207]
	v_mul_f64 v[206:207], v[204:205], v[202:203]
	v_fma_f64 v[200:201], -v[200:201], v[206:207], v[204:205]
	v_div_fmas_f64 v[200:201], v[200:201], v[202:203], v[206:207]
	v_div_fixup_f64 v[200:201], v[200:201], v[186:187], v[184:185]
	v_fmac_f64_e32 v[186:187], v[184:185], v[200:201]
	v_div_scale_f64 v[184:185], s[18:19], v[186:187], v[186:187], 1.0
	v_rcp_f64_e32 v[202:203], v[184:185]
	s_nop 0
	v_fma_f64 v[204:205], -v[184:185], v[202:203], 1.0
	v_fmac_f64_e32 v[202:203], v[202:203], v[204:205]
	v_fma_f64 v[204:205], -v[184:185], v[202:203], 1.0
	v_fmac_f64_e32 v[202:203], v[202:203], v[204:205]
	v_div_scale_f64 v[204:205], vcc, 1.0, v[186:187], 1.0
	v_mul_f64 v[206:207], v[204:205], v[202:203]
	v_fma_f64 v[184:185], -v[184:185], v[206:207], v[204:205]
	s_nop 1
	v_div_fmas_f64 v[184:185], v[184:185], v[202:203], v[206:207]
	v_div_fixup_f64 v[186:187], v[184:185], v[186:187], 1.0
	v_mul_f64 v[184:185], v[200:201], v[186:187]
	v_xor_b32_e32 v187, 0x80000000, v187
.LBB90_931:
	s_andn2_saveexec_b64 s[16:17], s[16:17]
	s_cbranch_execz .LBB90_933
; %bb.932:
	v_div_scale_f64 v[200:201], s[18:19], v[184:185], v[184:185], v[186:187]
	v_rcp_f64_e32 v[202:203], v[200:201]
	v_div_scale_f64 v[204:205], vcc, v[186:187], v[184:185], v[186:187]
	v_fma_f64 v[206:207], -v[200:201], v[202:203], 1.0
	v_fmac_f64_e32 v[202:203], v[202:203], v[206:207]
	v_fma_f64 v[206:207], -v[200:201], v[202:203], 1.0
	v_fmac_f64_e32 v[202:203], v[202:203], v[206:207]
	v_mul_f64 v[206:207], v[204:205], v[202:203]
	v_fma_f64 v[200:201], -v[200:201], v[206:207], v[204:205]
	v_div_fmas_f64 v[200:201], v[200:201], v[202:203], v[206:207]
	v_div_fixup_f64 v[200:201], v[200:201], v[184:185], v[186:187]
	v_fmac_f64_e32 v[184:185], v[186:187], v[200:201]
	v_div_scale_f64 v[186:187], s[18:19], v[184:185], v[184:185], 1.0
	v_rcp_f64_e32 v[202:203], v[186:187]
	s_nop 0
	v_fma_f64 v[204:205], -v[186:187], v[202:203], 1.0
	v_fmac_f64_e32 v[202:203], v[202:203], v[204:205]
	v_fma_f64 v[204:205], -v[186:187], v[202:203], 1.0
	v_fmac_f64_e32 v[202:203], v[202:203], v[204:205]
	v_div_scale_f64 v[204:205], vcc, 1.0, v[184:185], 1.0
	v_mul_f64 v[206:207], v[204:205], v[202:203]
	v_fma_f64 v[186:187], -v[186:187], v[206:207], v[204:205]
	s_nop 1
	v_div_fmas_f64 v[186:187], v[186:187], v[202:203], v[206:207]
	v_div_fixup_f64 v[184:185], v[186:187], v[184:185], 1.0
	v_mul_f64 v[186:187], v[200:201], -v[184:185]
.LBB90_933:
	s_or_b64 exec, exec, s[16:17]
.LBB90_934:
	s_or_b64 exec, exec, s[0:1]
	v_cmp_ne_u32_e32 vcc, v197, v194
	s_and_saveexec_b64 s[0:1], vcc
	s_xor_b64 s[0:1], exec, s[0:1]
	s_cbranch_execz .LBB90_940
; %bb.935:
	v_cmp_eq_u32_e32 vcc, 44, v197
	s_and_saveexec_b64 s[16:17], vcc
	s_cbranch_execz .LBB90_939
; %bb.936:
	v_cmp_ne_u32_e32 vcc, 44, v194
	s_xor_b64 s[18:19], s[14:15], -1
	s_and_b64 s[22:23], s[18:19], vcc
	s_and_saveexec_b64 s[18:19], s[22:23]
	s_cbranch_execz .LBB90_938
; %bb.937:
	v_ashrrev_i32_e32 v195, 31, v194
	v_lshl_add_u64 v[200:201], v[194:195], 2, v[192:193]
	global_load_dword v195, v[200:201], off
	global_load_dword v197, v[192:193], off offset:176
	s_waitcnt vmcnt(1)
	global_store_dword v[192:193], v195, off offset:176
	s_waitcnt vmcnt(1)
	global_store_dword v[200:201], v197, off
.LBB90_938:
	s_or_b64 exec, exec, s[18:19]
	v_mov_b32_e32 v197, v194
	v_mov_b32_e32 v199, v194
.LBB90_939:
	s_or_b64 exec, exec, s[16:17]
.LBB90_940:
	s_andn2_saveexec_b64 s[0:1], s[0:1]
	s_cbranch_execz .LBB90_942
; %bb.941:
	v_mov_b32_e32 v197, 44
	s_waitcnt vmcnt(0)
	ds_write2_b64 v196, v[180:181], v[182:183] offset0:90 offset1:91
.LBB90_942:
	s_or_b64 exec, exec, s[0:1]
	v_cmp_lt_i32_e32 vcc, 44, v197
	s_waitcnt lgkmcnt(0)
	s_barrier
	s_and_saveexec_b64 s[0:1], vcc
	s_cbranch_execz .LBB90_944
; %bb.943:
	ds_read2_b64 v[200:203], v196 offset0:90 offset1:91
	v_mul_f64 v[194:195], v[184:185], v[2:3]
	v_mul_f64 v[2:3], v[186:187], v[2:3]
	v_fmac_f64_e32 v[194:195], v[186:187], v[0:1]
	v_fma_f64 v[0:1], v[184:185], v[0:1], -v[2:3]
	s_waitcnt lgkmcnt(0)
	v_mul_f64 v[2:3], v[202:203], v[194:195]
	v_mul_f64 v[184:185], v[200:201], v[194:195]
	v_fma_f64 v[2:3], v[200:201], v[0:1], -v[2:3]
	v_fmac_f64_e32 v[184:185], v[202:203], v[0:1]
	s_waitcnt vmcnt(0)
	v_add_f64 v[180:181], v[180:181], -v[2:3]
	v_add_f64 v[182:183], v[182:183], -v[184:185]
	v_mov_b64_e32 v[2:3], v[194:195]
.LBB90_944:
	s_or_b64 exec, exec, s[0:1]
	v_lshl_add_u32 v184, v197, 4, v196
	s_barrier
	s_waitcnt vmcnt(0)
	ds_write2_b64 v184, v[180:181], v[182:183] offset1:1
	s_waitcnt lgkmcnt(0)
	s_barrier
	ds_read2_b64 v[184:187], v196 offset0:90 offset1:91
	s_cmp_lt_i32 s20, 47
	v_mov_b32_e32 v194, 45
	s_cbranch_scc1 .LBB90_947
; %bb.945:
	v_add_u32_e32 v195, 0x2e0, v196
	s_mov_b32 s16, 46
	v_mov_b32_e32 v194, 45
.LBB90_946:                             ; =>This Inner Loop Header: Depth=1
	ds_read2_b64 v[200:203], v195 offset1:1
	s_waitcnt lgkmcnt(1)
	v_xor_b32_e32 v196, 0x80000000, v185
	v_xor_b32_e32 v207, 0x80000000, v187
	v_cmp_gt_f64_e32 vcc, 0, v[186:187]
	v_cmp_gt_f64_e64 s[0:1], 0, v[184:185]
	v_mov_b32_e32 v204, v184
	v_mov_b32_e32 v206, v186
	v_cndmask_b32_e64 v205, v185, v196, s[0:1]
	v_cndmask_b32_e32 v207, v187, v207, vcc
	s_waitcnt lgkmcnt(0)
	v_xor_b32_e32 v196, 0x80000000, v201
	v_xor_b32_e32 v209, 0x80000000, v203
	v_cmp_gt_f64_e32 vcc, 0, v[202:203]
	v_cmp_gt_f64_e64 s[0:1], 0, v[200:201]
	v_add_f64 v[204:205], v[204:205], v[206:207]
	v_mov_b32_e32 v206, v200
	v_mov_b32_e32 v208, v202
	v_cndmask_b32_e64 v207, v201, v196, s[0:1]
	v_cndmask_b32_e32 v209, v203, v209, vcc
	v_add_f64 v[206:207], v[206:207], v[208:209]
	v_mov_b32_e32 v210, s16
	s_add_i32 s16, s16, 1
	v_cmp_lt_f64_e32 vcc, v[204:205], v[206:207]
	v_add_u32_e32 v195, 16, v195
	s_cmp_lg_u32 s20, s16
	v_cndmask_b32_e32 v185, v185, v201, vcc
	v_cndmask_b32_e32 v184, v184, v200, vcc
	;; [unrolled: 1-line block ×5, first 2 shown]
	s_cbranch_scc1 .LBB90_946
.LBB90_947:
	s_waitcnt lgkmcnt(0)
	v_cmp_eq_f64_e32 vcc, 0, v[184:185]
	v_cmp_eq_f64_e64 s[0:1], 0, v[186:187]
	s_and_b64 s[0:1], vcc, s[0:1]
	s_and_saveexec_b64 s[16:17], s[0:1]
	s_xor_b64 s[0:1], exec, s[16:17]
; %bb.948:
	v_cmp_ne_u32_e32 vcc, 0, v198
	s_nop 1
	v_cndmask_b32_e32 v198, 46, v198, vcc
; %bb.949:
	s_andn2_saveexec_b64 s[0:1], s[0:1]
	s_cbranch_execz .LBB90_955
; %bb.950:
	v_cmp_ngt_f64_e64 s[16:17], |v[184:185]|, |v[186:187]|
	s_and_saveexec_b64 s[18:19], s[16:17]
	s_xor_b64 s[16:17], exec, s[18:19]
	s_cbranch_execz .LBB90_952
; %bb.951:
	v_div_scale_f64 v[200:201], s[18:19], v[186:187], v[186:187], v[184:185]
	v_rcp_f64_e32 v[202:203], v[200:201]
	v_div_scale_f64 v[204:205], vcc, v[184:185], v[186:187], v[184:185]
	v_fma_f64 v[206:207], -v[200:201], v[202:203], 1.0
	v_fmac_f64_e32 v[202:203], v[202:203], v[206:207]
	v_fma_f64 v[206:207], -v[200:201], v[202:203], 1.0
	v_fmac_f64_e32 v[202:203], v[202:203], v[206:207]
	v_mul_f64 v[206:207], v[204:205], v[202:203]
	v_fma_f64 v[200:201], -v[200:201], v[206:207], v[204:205]
	v_div_fmas_f64 v[200:201], v[200:201], v[202:203], v[206:207]
	v_div_fixup_f64 v[200:201], v[200:201], v[186:187], v[184:185]
	v_fmac_f64_e32 v[186:187], v[184:185], v[200:201]
	v_div_scale_f64 v[184:185], s[18:19], v[186:187], v[186:187], 1.0
	v_rcp_f64_e32 v[202:203], v[184:185]
	s_nop 0
	v_fma_f64 v[204:205], -v[184:185], v[202:203], 1.0
	v_fmac_f64_e32 v[202:203], v[202:203], v[204:205]
	v_fma_f64 v[204:205], -v[184:185], v[202:203], 1.0
	v_fmac_f64_e32 v[202:203], v[202:203], v[204:205]
	v_div_scale_f64 v[204:205], vcc, 1.0, v[186:187], 1.0
	v_mul_f64 v[206:207], v[204:205], v[202:203]
	v_fma_f64 v[184:185], -v[184:185], v[206:207], v[204:205]
	s_nop 1
	v_div_fmas_f64 v[184:185], v[184:185], v[202:203], v[206:207]
	v_div_fixup_f64 v[186:187], v[184:185], v[186:187], 1.0
	v_mul_f64 v[184:185], v[200:201], v[186:187]
	v_xor_b32_e32 v187, 0x80000000, v187
.LBB90_952:
	s_andn2_saveexec_b64 s[16:17], s[16:17]
	s_cbranch_execz .LBB90_954
; %bb.953:
	v_div_scale_f64 v[200:201], s[18:19], v[184:185], v[184:185], v[186:187]
	v_rcp_f64_e32 v[202:203], v[200:201]
	v_div_scale_f64 v[204:205], vcc, v[186:187], v[184:185], v[186:187]
	v_fma_f64 v[206:207], -v[200:201], v[202:203], 1.0
	v_fmac_f64_e32 v[202:203], v[202:203], v[206:207]
	v_fma_f64 v[206:207], -v[200:201], v[202:203], 1.0
	v_fmac_f64_e32 v[202:203], v[202:203], v[206:207]
	v_mul_f64 v[206:207], v[204:205], v[202:203]
	v_fma_f64 v[200:201], -v[200:201], v[206:207], v[204:205]
	v_div_fmas_f64 v[200:201], v[200:201], v[202:203], v[206:207]
	v_div_fixup_f64 v[200:201], v[200:201], v[184:185], v[186:187]
	v_fmac_f64_e32 v[184:185], v[186:187], v[200:201]
	v_div_scale_f64 v[186:187], s[18:19], v[184:185], v[184:185], 1.0
	v_rcp_f64_e32 v[202:203], v[186:187]
	s_nop 0
	v_fma_f64 v[204:205], -v[186:187], v[202:203], 1.0
	v_fmac_f64_e32 v[202:203], v[202:203], v[204:205]
	v_fma_f64 v[204:205], -v[186:187], v[202:203], 1.0
	v_fmac_f64_e32 v[202:203], v[202:203], v[204:205]
	v_div_scale_f64 v[204:205], vcc, 1.0, v[184:185], 1.0
	v_mul_f64 v[206:207], v[204:205], v[202:203]
	v_fma_f64 v[186:187], -v[186:187], v[206:207], v[204:205]
	s_nop 1
	v_div_fmas_f64 v[186:187], v[186:187], v[202:203], v[206:207]
	v_div_fixup_f64 v[184:185], v[186:187], v[184:185], 1.0
	v_mul_f64 v[186:187], v[200:201], -v[184:185]
.LBB90_954:
	s_or_b64 exec, exec, s[16:17]
.LBB90_955:
	s_or_b64 exec, exec, s[0:1]
	v_cmp_ne_u32_e32 vcc, v197, v194
	v_mov_b32_e32 v196, 45
	s_and_saveexec_b64 s[0:1], vcc
	s_cbranch_execz .LBB90_961
; %bb.956:
	v_cmp_eq_u32_e32 vcc, 45, v197
	s_and_saveexec_b64 s[16:17], vcc
	s_cbranch_execz .LBB90_960
; %bb.957:
	v_cmp_ne_u32_e32 vcc, 45, v194
	s_xor_b64 s[14:15], s[14:15], -1
	s_and_b64 s[18:19], s[14:15], vcc
	s_and_saveexec_b64 s[14:15], s[18:19]
	s_cbranch_execz .LBB90_959
; %bb.958:
	v_ashrrev_i32_e32 v195, 31, v194
	v_lshl_add_u64 v[196:197], v[194:195], 2, v[192:193]
	global_load_dword v195, v[196:197], off
	global_load_dword v199, v[192:193], off offset:180
	s_waitcnt vmcnt(1)
	global_store_dword v[192:193], v195, off offset:180
	s_waitcnt vmcnt(1)
	global_store_dword v[196:197], v199, off
.LBB90_959:
	s_or_b64 exec, exec, s[14:15]
	v_mov_b32_e32 v197, v194
	v_mov_b32_e32 v199, v194
.LBB90_960:
	s_or_b64 exec, exec, s[16:17]
	v_mov_b32_e32 v196, v197
.LBB90_961:
	s_or_b64 exec, exec, s[0:1]
	v_cmp_gt_i32_e32 vcc, 46, v196
	v_ashrrev_i32_e32 v197, 31, v196
	s_barrier
	s_barrier
	s_and_saveexec_b64 s[0:1], vcc
	s_cbranch_execz .LBB90_963
; %bb.962:
	v_mov_b32_e32 v192, s6
	v_mov_b32_e32 v193, s7
	v_mul_lo_u32 v200, s11, v190
	v_mul_lo_u32 v201, s10, v191
	v_mad_u64_u32 v[194:195], s[6:7], s10, v190, 0
	v_add3_u32 v195, v195, v201, v200
	v_lshl_add_u64 v[192:193], v[194:195], 2, v[192:193]
	v_lshl_add_u64 v[192:193], s[8:9], 2, v[192:193]
	;; [unrolled: 1-line block ×3, first 2 shown]
	v_add3_u32 v194, v199, s13, 1
	global_store_dword v[192:193], v194, off
.LBB90_963:
	s_or_b64 exec, exec, s[0:1]
	v_cmp_eq_u32_e32 vcc, 0, v196
	s_and_saveexec_b64 s[6:7], vcc
	s_cbranch_execz .LBB90_966
; %bb.964:
	v_mov_b32_e32 v192, s4
	v_mov_b32_e32 v193, s5
	v_lshl_add_u64 v[190:191], v[190:191], 2, v[192:193]
	global_load_dword v192, v[190:191], off
	v_cmp_ne_u32_e64 s[0:1], 0, v198
	s_waitcnt vmcnt(0)
	v_cmp_eq_u32_e32 vcc, 0, v192
	s_and_b64 s[0:1], vcc, s[0:1]
	s_and_b64 exec, exec, s[0:1]
	s_cbranch_execz .LBB90_966
; %bb.965:
	v_add_u32_e32 v192, s13, v198
	global_store_dword v[190:191], v192, off
.LBB90_966:
	s_or_b64 exec, exec, s[6:7]
	v_mul_f64 v[190:191], v[186:187], v[182:183]
	v_fma_f64 v[190:191], v[184:185], v[180:181], -v[190:191]
	v_mul_f64 v[184:185], v[184:185], v[182:183]
	v_fmac_f64_e32 v[184:185], v[186:187], v[180:181]
	v_cmp_lt_i32_e32 vcc, 45, v196
	s_nop 1
	v_cndmask_b32_e32 v183, v183, v185, vcc
	v_cndmask_b32_e32 v182, v182, v184, vcc
	v_lshl_add_u64 v[184:185], v[196:197], 4, v[188:189]
	global_store_dwordx4 v[184:185], v[120:123], off
	v_cndmask_b32_e32 v181, v181, v191, vcc
	v_cndmask_b32_e32 v180, v180, v190, vcc
	v_lshl_add_u64 v[120:121], s[2:3], 4, v[184:185]
	global_store_dwordx4 v[120:121], v[116:119], off
	s_nop 1
	v_add_u32_e32 v116, s12, v196
	v_ashrrev_i32_e32 v117, 31, v116
	v_lshl_add_u64 v[118:119], v[116:117], 4, v[188:189]
	v_add_u32_e32 v116, s2, v116
	v_ashrrev_i32_e32 v117, 31, v116
	global_store_dwordx4 v[118:119], v[176:179], off
	v_lshl_add_u64 v[118:119], v[116:117], 4, v[188:189]
	v_add_u32_e32 v116, s2, v116
	v_ashrrev_i32_e32 v117, 31, v116
	global_store_dwordx4 v[118:119], v[172:175], off
	;; [unrolled: 4-line block ×14, first 2 shown]
	v_lshl_add_u64 v[118:119], v[116:117], 4, v[188:189]
	global_store_dwordx4 v[118:119], v[112:115], off
	s_nop 1
	v_add_u32_e32 v112, s2, v116
	v_ashrrev_i32_e32 v113, 31, v112
	v_lshl_add_u64 v[114:115], v[112:113], 4, v[188:189]
	global_store_dwordx4 v[114:115], v[108:111], off
	s_nop 1
	v_add_u32_e32 v108, s2, v112
	v_ashrrev_i32_e32 v109, 31, v108
	;; [unrolled: 5-line block ×29, first 2 shown]
	v_lshl_add_u64 v[0:1], v[0:1], 4, v[188:189]
	global_store_dwordx4 v[0:1], v[180:183], off
.LBB90_967:
	s_endpgm
	.section	.rodata,"a",@progbits
	.p2align	6, 0x0
	.amdhsa_kernel _ZN9rocsolver6v33100L18getf2_small_kernelILi46E19rocblas_complex_numIdEiiPS3_EEvT1_T3_lS5_lPS5_llPT2_S5_S5_S7_l
		.amdhsa_group_segment_fixed_size 0
		.amdhsa_private_segment_fixed_size 0
		.amdhsa_kernarg_size 352
		.amdhsa_user_sgpr_count 2
		.amdhsa_user_sgpr_dispatch_ptr 0
		.amdhsa_user_sgpr_queue_ptr 0
		.amdhsa_user_sgpr_kernarg_segment_ptr 1
		.amdhsa_user_sgpr_dispatch_id 0
		.amdhsa_user_sgpr_kernarg_preload_length 0
		.amdhsa_user_sgpr_kernarg_preload_offset 0
		.amdhsa_user_sgpr_private_segment_size 0
		.amdhsa_uses_dynamic_stack 0
		.amdhsa_enable_private_segment 0
		.amdhsa_system_sgpr_workgroup_id_x 1
		.amdhsa_system_sgpr_workgroup_id_y 1
		.amdhsa_system_sgpr_workgroup_id_z 0
		.amdhsa_system_sgpr_workgroup_info 0
		.amdhsa_system_vgpr_workitem_id 1
		.amdhsa_next_free_vgpr 222
		.amdhsa_next_free_sgpr 24
		.amdhsa_accum_offset 224
		.amdhsa_reserve_vcc 1
		.amdhsa_float_round_mode_32 0
		.amdhsa_float_round_mode_16_64 0
		.amdhsa_float_denorm_mode_32 3
		.amdhsa_float_denorm_mode_16_64 3
		.amdhsa_dx10_clamp 1
		.amdhsa_ieee_mode 1
		.amdhsa_fp16_overflow 0
		.amdhsa_tg_split 0
		.amdhsa_exception_fp_ieee_invalid_op 0
		.amdhsa_exception_fp_denorm_src 0
		.amdhsa_exception_fp_ieee_div_zero 0
		.amdhsa_exception_fp_ieee_overflow 0
		.amdhsa_exception_fp_ieee_underflow 0
		.amdhsa_exception_fp_ieee_inexact 0
		.amdhsa_exception_int_div_zero 0
	.end_amdhsa_kernel
	.section	.text._ZN9rocsolver6v33100L18getf2_small_kernelILi46E19rocblas_complex_numIdEiiPS3_EEvT1_T3_lS5_lPS5_llPT2_S5_S5_S7_l,"axG",@progbits,_ZN9rocsolver6v33100L18getf2_small_kernelILi46E19rocblas_complex_numIdEiiPS3_EEvT1_T3_lS5_lPS5_llPT2_S5_S5_S7_l,comdat
.Lfunc_end90:
	.size	_ZN9rocsolver6v33100L18getf2_small_kernelILi46E19rocblas_complex_numIdEiiPS3_EEvT1_T3_lS5_lPS5_llPT2_S5_S5_S7_l, .Lfunc_end90-_ZN9rocsolver6v33100L18getf2_small_kernelILi46E19rocblas_complex_numIdEiiPS3_EEvT1_T3_lS5_lPS5_llPT2_S5_S5_S7_l
                                        ; -- End function
	.set _ZN9rocsolver6v33100L18getf2_small_kernelILi46E19rocblas_complex_numIdEiiPS3_EEvT1_T3_lS5_lPS5_llPT2_S5_S5_S7_l.num_vgpr, 222
	.set _ZN9rocsolver6v33100L18getf2_small_kernelILi46E19rocblas_complex_numIdEiiPS3_EEvT1_T3_lS5_lPS5_llPT2_S5_S5_S7_l.num_agpr, 0
	.set _ZN9rocsolver6v33100L18getf2_small_kernelILi46E19rocblas_complex_numIdEiiPS3_EEvT1_T3_lS5_lPS5_llPT2_S5_S5_S7_l.numbered_sgpr, 24
	.set _ZN9rocsolver6v33100L18getf2_small_kernelILi46E19rocblas_complex_numIdEiiPS3_EEvT1_T3_lS5_lPS5_llPT2_S5_S5_S7_l.num_named_barrier, 0
	.set _ZN9rocsolver6v33100L18getf2_small_kernelILi46E19rocblas_complex_numIdEiiPS3_EEvT1_T3_lS5_lPS5_llPT2_S5_S5_S7_l.private_seg_size, 0
	.set _ZN9rocsolver6v33100L18getf2_small_kernelILi46E19rocblas_complex_numIdEiiPS3_EEvT1_T3_lS5_lPS5_llPT2_S5_S5_S7_l.uses_vcc, 1
	.set _ZN9rocsolver6v33100L18getf2_small_kernelILi46E19rocblas_complex_numIdEiiPS3_EEvT1_T3_lS5_lPS5_llPT2_S5_S5_S7_l.uses_flat_scratch, 0
	.set _ZN9rocsolver6v33100L18getf2_small_kernelILi46E19rocblas_complex_numIdEiiPS3_EEvT1_T3_lS5_lPS5_llPT2_S5_S5_S7_l.has_dyn_sized_stack, 0
	.set _ZN9rocsolver6v33100L18getf2_small_kernelILi46E19rocblas_complex_numIdEiiPS3_EEvT1_T3_lS5_lPS5_llPT2_S5_S5_S7_l.has_recursion, 0
	.set _ZN9rocsolver6v33100L18getf2_small_kernelILi46E19rocblas_complex_numIdEiiPS3_EEvT1_T3_lS5_lPS5_llPT2_S5_S5_S7_l.has_indirect_call, 0
	.section	.AMDGPU.csdata,"",@progbits
; Kernel info:
; codeLenInByte = 117000
; TotalNumSgprs: 30
; NumVgprs: 222
; NumAgprs: 0
; TotalNumVgprs: 222
; ScratchSize: 0
; MemoryBound: 0
; FloatMode: 240
; IeeeMode: 1
; LDSByteSize: 0 bytes/workgroup (compile time only)
; SGPRBlocks: 3
; VGPRBlocks: 27
; NumSGPRsForWavesPerEU: 30
; NumVGPRsForWavesPerEU: 222
; AccumOffset: 224
; Occupancy: 2
; WaveLimiterHint : 0
; COMPUTE_PGM_RSRC2:SCRATCH_EN: 0
; COMPUTE_PGM_RSRC2:USER_SGPR: 2
; COMPUTE_PGM_RSRC2:TRAP_HANDLER: 0
; COMPUTE_PGM_RSRC2:TGID_X_EN: 1
; COMPUTE_PGM_RSRC2:TGID_Y_EN: 1
; COMPUTE_PGM_RSRC2:TGID_Z_EN: 0
; COMPUTE_PGM_RSRC2:TIDIG_COMP_CNT: 1
; COMPUTE_PGM_RSRC3_GFX90A:ACCUM_OFFSET: 55
; COMPUTE_PGM_RSRC3_GFX90A:TG_SPLIT: 0
	.section	.text._ZN9rocsolver6v33100L23getf2_npvt_small_kernelILi46E19rocblas_complex_numIdEiiPS3_EEvT1_T3_lS5_lPT2_S5_S5_,"axG",@progbits,_ZN9rocsolver6v33100L23getf2_npvt_small_kernelILi46E19rocblas_complex_numIdEiiPS3_EEvT1_T3_lS5_lPT2_S5_S5_,comdat
	.globl	_ZN9rocsolver6v33100L23getf2_npvt_small_kernelILi46E19rocblas_complex_numIdEiiPS3_EEvT1_T3_lS5_lPT2_S5_S5_ ; -- Begin function _ZN9rocsolver6v33100L23getf2_npvt_small_kernelILi46E19rocblas_complex_numIdEiiPS3_EEvT1_T3_lS5_lPT2_S5_S5_
	.p2align	8
	.type	_ZN9rocsolver6v33100L23getf2_npvt_small_kernelILi46E19rocblas_complex_numIdEiiPS3_EEvT1_T3_lS5_lPT2_S5_S5_,@function
_ZN9rocsolver6v33100L23getf2_npvt_small_kernelILi46E19rocblas_complex_numIdEiiPS3_EEvT1_T3_lS5_lPT2_S5_S5_: ; @_ZN9rocsolver6v33100L23getf2_npvt_small_kernelILi46E19rocblas_complex_numIdEiiPS3_EEvT1_T3_lS5_lPT2_S5_S5_
; %bb.0:
	s_load_dword s2, s[0:1], 0x44
	s_load_dwordx2 s[8:9], s[0:1], 0x30
	v_bfe_u32 v2, v0, 10, 10
	s_waitcnt lgkmcnt(0)
	s_lshr_b32 s2, s2, 16
	s_mul_i32 s3, s3, s2
	v_add_u32_e32 v178, s3, v2
	v_cmp_gt_i32_e32 vcc, s8, v178
	s_and_saveexec_b64 s[4:5], vcc
	s_cbranch_execz .LBB91_417
; %bb.1:
	s_load_dwordx4 s[12:15], s[0:1], 0x8
	s_load_dword s10, s[0:1], 0x18
	s_load_dwordx4 s[4:7], s[0:1], 0x20
	v_ashrrev_i32_e32 v179, 31, v178
	v_and_b32_e32 v226, 0x3ff, v0
	s_waitcnt lgkmcnt(0)
	v_mov_b32_e32 v0, s12
	v_mov_b32_e32 v1, s13
	v_mul_lo_u32 v3, s5, v178
	v_mul_lo_u32 v6, s4, v179
	v_mad_u64_u32 v[4:5], s[0:1], s4, v178, 0
	v_add3_u32 v5, v5, v6, v3
	v_lshl_add_u64 v[0:1], v[4:5], 4, v[0:1]
	v_lshl_add_u64 v[0:1], s[14:15], 4, v[0:1]
	v_lshlrev_b32_e32 v4, 4, v226
	v_mov_b32_e32 v5, 0
	s_add_i32 s0, s10, s10
	v_lshl_add_u64 v[232:233], v[0:1], 0, v[4:5]
	v_add_u32_e32 v4, s0, v226
	v_ashrrev_i32_e32 v5, 31, v4
	v_lshl_add_u64 v[36:37], v[4:5], 4, v[0:1]
	v_add_u32_e32 v4, s10, v4
	v_ashrrev_i32_e32 v5, 31, v4
	;; [unrolled: 3-line block ×43, first 2 shown]
	v_lshl_add_u64 v[192:193], v[4:5], 4, v[0:1]
	v_add_u32_e32 v4, s10, v4
	s_mulk_i32 s2, 0x2e0
	v_ashrrev_i32_e32 v5, 31, v4
	s_movk_i32 s0, 0x2e0
	s_add_i32 s1, s2, 0
	v_lshl_add_u64 v[194:195], v[4:5], 4, v[0:1]
	v_mad_u32_u24 v225, v2, s0, 0
	v_lshl_add_u32 v224, v2, 4, s1
	global_load_dwordx4 v[2:5], v[232:233], off
	s_ashr_i32 s11, s10, 31
	v_lshl_add_u64 v[0:1], s[10:11], 4, v[232:233]
	v_cmp_ne_u32_e64 s[2:3], 0, v226
	v_cmp_eq_u32_e64 s[0:1], 0, v226
	s_waitcnt vmcnt(0)
	scratch_store_dwordx4 off, v[2:5], off offset:64 ; 16-byte Folded Spill
	scratch_store_dwordx2 off, v[0:1], off offset:272 ; 8-byte Folded Spill
	global_load_dwordx4 v[0:3], v[0:1], off
	s_waitcnt vmcnt(0)
	scratch_store_dwordx4 off, v[0:3], off offset:48 ; 16-byte Folded Spill
	scratch_store_dwordx2 off, v[36:37], off offset:864 ; 8-byte Folded Spill
	global_load_dwordx4 v[0:3], v[36:37], off
	;; [unrolled: 4-line block ×4, first 2 shown]
	s_waitcnt vmcnt(0)
	scratch_store_dwordx4 off, v[0:3], off  ; 16-byte Folded Spill
	scratch_store_dwordx2 off, v[42:43], off offset:872 ; 8-byte Folded Spill
	global_load_dwordx4 v[156:159], v[42:43], off
	global_load_dwordx4 v[152:155], v[244:245], off
	;; [unrolled: 1-line block ×32, first 2 shown]
	s_nop 0
	scratch_store_dwordx2 off, v[6:7], off offset:80 ; 8-byte Folded Spill
	scratch_store_dwordx2 off, v[8:9], off offset:88 ; 8-byte Folded Spill
	;; [unrolled: 1-line block ×15, first 2 shown]
	global_load_dwordx4 v[32:35], v[34:35], off
	s_nop 0
	global_load_dwordx4 v[28:31], v[172:173], off
	global_load_dwordx4 v[24:27], v[180:181], off
	;; [unrolled: 1-line block ×7, first 2 shown]
	s_nop 0
	scratch_store_dwordx2 off, v[180:181], off offset:208 ; 8-byte Folded Spill
	scratch_store_dwordx2 off, v[182:183], off offset:216 ; 8-byte Folded Spill
	global_load_dwordx4 v[180:183], v[194:195], off
	s_nop 0
	scratch_store_dwordx2 off, v[172:173], off offset:200 ; 8-byte Folded Spill
	scratch_store_dwordx2 off, v[184:185], off offset:224 ; 8-byte Folded Spill
	;; [unrolled: 1-line block ×7, first 2 shown]
	s_and_saveexec_b64 s[10:11], s[0:1]
	s_cbranch_execz .LBB91_8
; %bb.2:
	scratch_load_dwordx4 v[184:187], off, off offset:64 ; 16-byte Folded Reload
	s_waitcnt vmcnt(0)
	ds_write2_b64 v224, v[184:185], v[186:187] offset1:1
	scratch_load_dwordx4 v[184:187], off, off offset:48 ; 16-byte Folded Reload
	s_waitcnt vmcnt(0)
	ds_write2_b64 v225, v[184:185], v[186:187] offset0:2 offset1:3
	scratch_load_dwordx4 v[184:187], off, off offset:32 ; 16-byte Folded Reload
	s_waitcnt vmcnt(0)
	ds_write2_b64 v225, v[184:185], v[186:187] offset0:4 offset1:5
	;; [unrolled: 3-line block ×3, first 2 shown]
	scratch_load_dwordx4 v[184:187], off, off ; 16-byte Folded Reload
	s_waitcnt vmcnt(0)
	ds_write2_b64 v225, v[184:185], v[186:187] offset0:8 offset1:9
	ds_write2_b64 v225, v[156:157], v[158:159] offset0:10 offset1:11
	;; [unrolled: 1-line block ×42, first 2 shown]
	ds_read2_b64 v[184:187], v224 offset1:1
	s_waitcnt lgkmcnt(0)
	v_cmp_neq_f64_e32 vcc, 0, v[184:185]
	v_cmp_neq_f64_e64 s[4:5], 0, v[186:187]
	s_or_b64 s[4:5], vcc, s[4:5]
	s_and_b64 exec, exec, s[4:5]
	s_cbranch_execz .LBB91_8
; %bb.3:
	v_cmp_ngt_f64_e64 s[4:5], |v[184:185]|, |v[186:187]|
                                        ; implicit-def: $vgpr188_vgpr189
	s_and_saveexec_b64 s[12:13], s[4:5]
	s_xor_b64 s[4:5], exec, s[12:13]
                                        ; implicit-def: $vgpr190_vgpr191
	s_cbranch_execz .LBB91_5
; %bb.4:
	v_div_scale_f64 v[188:189], s[12:13], v[186:187], v[186:187], v[184:185]
	v_rcp_f64_e32 v[190:191], v[188:189]
	v_div_scale_f64 v[192:193], vcc, v[184:185], v[186:187], v[184:185]
	v_fma_f64 v[194:195], -v[188:189], v[190:191], 1.0
	v_fmac_f64_e32 v[190:191], v[190:191], v[194:195]
	v_fma_f64 v[194:195], -v[188:189], v[190:191], 1.0
	v_fmac_f64_e32 v[190:191], v[190:191], v[194:195]
	v_mul_f64 v[194:195], v[192:193], v[190:191]
	v_fma_f64 v[188:189], -v[188:189], v[194:195], v[192:193]
	v_div_fmas_f64 v[188:189], v[188:189], v[190:191], v[194:195]
	v_div_fixup_f64 v[188:189], v[188:189], v[186:187], v[184:185]
	v_fmac_f64_e32 v[186:187], v[184:185], v[188:189]
	v_div_scale_f64 v[184:185], s[12:13], v[186:187], v[186:187], 1.0
	v_rcp_f64_e32 v[190:191], v[184:185]
	s_nop 0
	v_fma_f64 v[192:193], -v[184:185], v[190:191], 1.0
	v_fmac_f64_e32 v[190:191], v[190:191], v[192:193]
	v_fma_f64 v[192:193], -v[184:185], v[190:191], 1.0
	v_fmac_f64_e32 v[190:191], v[190:191], v[192:193]
	v_div_scale_f64 v[192:193], vcc, 1.0, v[186:187], 1.0
	v_mul_f64 v[194:195], v[192:193], v[190:191]
	v_fma_f64 v[184:185], -v[184:185], v[194:195], v[192:193]
	s_nop 1
	v_div_fmas_f64 v[184:185], v[184:185], v[190:191], v[194:195]
	v_div_fixup_f64 v[190:191], v[184:185], v[186:187], 1.0
	v_mul_f64 v[188:189], v[188:189], v[190:191]
	v_xor_b32_e32 v191, 0x80000000, v191
                                        ; implicit-def: $vgpr184_vgpr185
.LBB91_5:
	s_andn2_saveexec_b64 s[4:5], s[4:5]
	s_cbranch_execz .LBB91_7
; %bb.6:
	v_div_scale_f64 v[188:189], s[12:13], v[184:185], v[184:185], v[186:187]
	v_rcp_f64_e32 v[190:191], v[188:189]
	v_div_scale_f64 v[192:193], vcc, v[186:187], v[184:185], v[186:187]
	v_fma_f64 v[194:195], -v[188:189], v[190:191], 1.0
	v_fmac_f64_e32 v[190:191], v[190:191], v[194:195]
	v_fma_f64 v[194:195], -v[188:189], v[190:191], 1.0
	v_fmac_f64_e32 v[190:191], v[190:191], v[194:195]
	v_mul_f64 v[194:195], v[192:193], v[190:191]
	v_fma_f64 v[188:189], -v[188:189], v[194:195], v[192:193]
	v_div_fmas_f64 v[188:189], v[188:189], v[190:191], v[194:195]
	v_div_fixup_f64 v[190:191], v[188:189], v[184:185], v[186:187]
	v_fmac_f64_e32 v[184:185], v[186:187], v[190:191]
	v_div_scale_f64 v[186:187], s[12:13], v[184:185], v[184:185], 1.0
	v_rcp_f64_e32 v[188:189], v[186:187]
	s_nop 0
	v_fma_f64 v[192:193], -v[186:187], v[188:189], 1.0
	v_fmac_f64_e32 v[188:189], v[188:189], v[192:193]
	v_fma_f64 v[192:193], -v[186:187], v[188:189], 1.0
	v_fmac_f64_e32 v[188:189], v[188:189], v[192:193]
	v_div_scale_f64 v[192:193], vcc, 1.0, v[184:185], 1.0
	v_mul_f64 v[194:195], v[192:193], v[188:189]
	v_fma_f64 v[186:187], -v[186:187], v[194:195], v[192:193]
	s_nop 1
	v_div_fmas_f64 v[186:187], v[186:187], v[188:189], v[194:195]
	v_div_fixup_f64 v[188:189], v[186:187], v[184:185], 1.0
	v_mul_f64 v[190:191], v[190:191], -v[188:189]
.LBB91_7:
	s_or_b64 exec, exec, s[4:5]
	ds_write2_b64 v224, v[188:189], v[190:191] offset1:1
.LBB91_8:
	s_or_b64 exec, exec, s[10:11]
	s_waitcnt lgkmcnt(0)
	s_barrier
	ds_read2_b64 v[184:187], v224 offset1:1
	s_waitcnt lgkmcnt(0)
	scratch_store_dwordx4 off, v[184:187], off offset:280 ; 16-byte Folded Spill
	s_and_saveexec_b64 s[4:5], s[2:3]
	s_cbranch_execz .LBB91_10
; %bb.9:
	scratch_load_dwordx4 v[190:193], off, off offset:64 ; 16-byte Folded Reload
	scratch_load_dwordx4 v[186:189], off, off offset:280 ; 16-byte Folded Reload
	v_mov_b64_e32 v[172:173], v[176:177]
	s_waitcnt vmcnt(0)
	v_mul_f64 v[184:185], v[188:189], v[192:193]
	v_mul_f64 v[192:193], v[186:187], v[192:193]
	v_fma_f64 v[184:185], v[186:187], v[190:191], -v[184:185]
	v_fmac_f64_e32 v[192:193], v[188:189], v[190:191]
	ds_read2_b64 v[186:189], v225 offset0:2 offset1:3
	s_waitcnt lgkmcnt(0)
	v_mul_f64 v[176:177], v[188:189], v[192:193]
	v_fma_f64 v[176:177], v[186:187], v[184:185], -v[176:177]
	v_mul_f64 v[186:187], v[186:187], v[192:193]
	v_fmac_f64_e32 v[186:187], v[188:189], v[184:185]
	scratch_load_dwordx4 v[188:191], off, off offset:48 ; 16-byte Folded Reload
	s_waitcnt vmcnt(0)
	v_add_f64 v[188:189], v[188:189], -v[176:177]
	v_add_f64 v[190:191], v[190:191], -v[186:187]
	scratch_store_dwordx4 off, v[188:191], off offset:48 ; 16-byte Folded Spill
	ds_read2_b64 v[186:189], v225 offset0:4 offset1:5
	s_waitcnt lgkmcnt(0)
	v_mul_f64 v[176:177], v[188:189], v[192:193]
	v_fma_f64 v[176:177], v[186:187], v[184:185], -v[176:177]
	v_mul_f64 v[186:187], v[186:187], v[192:193]
	v_fmac_f64_e32 v[186:187], v[188:189], v[184:185]
	scratch_load_dwordx4 v[188:191], off, off offset:32 ; 16-byte Folded Reload
	s_waitcnt vmcnt(0)
	v_add_f64 v[188:189], v[188:189], -v[176:177]
	v_add_f64 v[190:191], v[190:191], -v[186:187]
	scratch_store_dwordx4 off, v[188:191], off offset:32 ; 16-byte Folded Spill
	;; [unrolled: 11-line block ×3, first 2 shown]
	ds_read2_b64 v[186:189], v225 offset0:8 offset1:9
	s_waitcnt lgkmcnt(0)
	v_mul_f64 v[176:177], v[188:189], v[192:193]
	v_fma_f64 v[176:177], v[186:187], v[184:185], -v[176:177]
	v_mul_f64 v[186:187], v[186:187], v[192:193]
	v_fmac_f64_e32 v[186:187], v[188:189], v[184:185]
	scratch_load_dwordx4 v[188:191], off, off ; 16-byte Folded Reload
	s_waitcnt vmcnt(0)
	v_add_f64 v[188:189], v[188:189], -v[176:177]
	v_add_f64 v[190:191], v[190:191], -v[186:187]
	scratch_store_dwordx4 off, v[188:191], off ; 16-byte Folded Spill
	ds_read2_b64 v[186:189], v225 offset0:10 offset1:11
	s_waitcnt lgkmcnt(0)
	v_mul_f64 v[176:177], v[188:189], v[192:193]
	v_fma_f64 v[176:177], v[186:187], v[184:185], -v[176:177]
	v_mul_f64 v[186:187], v[186:187], v[192:193]
	v_fmac_f64_e32 v[186:187], v[188:189], v[184:185]
	v_add_f64 v[158:159], v[158:159], -v[186:187]
	ds_read2_b64 v[186:189], v225 offset0:12 offset1:13
	v_add_f64 v[156:157], v[156:157], -v[176:177]
	v_mov_b64_e32 v[190:191], v[184:185]
	scratch_store_dwordx4 off, v[190:193], off offset:64 ; 16-byte Folded Spill
	s_waitcnt lgkmcnt(0)
	v_mul_f64 v[176:177], v[188:189], v[192:193]
	v_fma_f64 v[176:177], v[186:187], v[184:185], -v[176:177]
	v_mul_f64 v[186:187], v[186:187], v[192:193]
	v_fmac_f64_e32 v[186:187], v[188:189], v[184:185]
	v_add_f64 v[154:155], v[154:155], -v[186:187]
	ds_read2_b64 v[186:189], v225 offset0:14 offset1:15
	v_add_f64 v[152:153], v[152:153], -v[176:177]
	s_waitcnt lgkmcnt(0)
	v_mul_f64 v[176:177], v[188:189], v[192:193]
	v_fma_f64 v[176:177], v[186:187], v[184:185], -v[176:177]
	v_mul_f64 v[186:187], v[186:187], v[192:193]
	v_fmac_f64_e32 v[186:187], v[188:189], v[184:185]
	v_add_f64 v[150:151], v[150:151], -v[186:187]
	ds_read2_b64 v[186:189], v225 offset0:16 offset1:17
	v_add_f64 v[148:149], v[148:149], -v[176:177]
	;; [unrolled: 8-line block ×39, first 2 shown]
	s_waitcnt lgkmcnt(0)
	v_mul_f64 v[176:177], v[188:189], v[192:193]
	v_fma_f64 v[176:177], v[186:187], v[184:185], -v[176:177]
	v_mul_f64 v[186:187], v[186:187], v[192:193]
	v_fmac_f64_e32 v[186:187], v[188:189], v[184:185]
	v_add_f64 v[180:181], v[180:181], -v[176:177]
	v_mov_b64_e32 v[176:177], v[172:173]
	v_add_f64 v[182:183], v[182:183], -v[186:187]
.LBB91_10:
	s_or_b64 exec, exec, s[4:5]
	v_cmp_eq_u32_e32 vcc, 1, v226
	s_waitcnt vmcnt(63) expcnt(7) lgkmcnt(15)
	s_barrier
	s_and_saveexec_b64 s[4:5], vcc
	s_cbranch_execz .LBB91_17
; %bb.11:
	scratch_load_dwordx4 v[184:187], off, off offset:48 ; 16-byte Folded Reload
	s_waitcnt vmcnt(0)
	ds_write2_b64 v224, v[184:185], v[186:187] offset1:1
	scratch_load_dwordx4 v[184:187], off, off offset:32 ; 16-byte Folded Reload
	s_waitcnt vmcnt(0)
	ds_write2_b64 v225, v[184:185], v[186:187] offset0:4 offset1:5
	scratch_load_dwordx4 v[184:187], off, off offset:16 ; 16-byte Folded Reload
	s_waitcnt vmcnt(0)
	ds_write2_b64 v225, v[184:185], v[186:187] offset0:6 offset1:7
	scratch_load_dwordx4 v[184:187], off, off ; 16-byte Folded Reload
	s_waitcnt vmcnt(0)
	ds_write2_b64 v225, v[184:185], v[186:187] offset0:8 offset1:9
	ds_write2_b64 v225, v[156:157], v[158:159] offset0:10 offset1:11
	;; [unrolled: 1-line block ×42, first 2 shown]
	ds_read2_b64 v[184:187], v224 offset1:1
	s_waitcnt lgkmcnt(0)
	v_cmp_neq_f64_e32 vcc, 0, v[184:185]
	v_cmp_neq_f64_e64 s[2:3], 0, v[186:187]
	s_or_b64 s[2:3], vcc, s[2:3]
	s_and_b64 exec, exec, s[2:3]
	s_cbranch_execz .LBB91_17
; %bb.12:
	v_cmp_ngt_f64_e64 s[2:3], |v[184:185]|, |v[186:187]|
                                        ; implicit-def: $vgpr188_vgpr189
	s_and_saveexec_b64 s[10:11], s[2:3]
	s_xor_b64 s[2:3], exec, s[10:11]
                                        ; implicit-def: $vgpr190_vgpr191
	s_cbranch_execz .LBB91_14
; %bb.13:
	v_div_scale_f64 v[188:189], s[10:11], v[186:187], v[186:187], v[184:185]
	v_rcp_f64_e32 v[190:191], v[188:189]
	v_div_scale_f64 v[192:193], vcc, v[184:185], v[186:187], v[184:185]
	v_fma_f64 v[194:195], -v[188:189], v[190:191], 1.0
	v_fmac_f64_e32 v[190:191], v[190:191], v[194:195]
	v_fma_f64 v[194:195], -v[188:189], v[190:191], 1.0
	v_fmac_f64_e32 v[190:191], v[190:191], v[194:195]
	v_mul_f64 v[194:195], v[192:193], v[190:191]
	v_fma_f64 v[188:189], -v[188:189], v[194:195], v[192:193]
	v_div_fmas_f64 v[188:189], v[188:189], v[190:191], v[194:195]
	v_div_fixup_f64 v[188:189], v[188:189], v[186:187], v[184:185]
	v_fmac_f64_e32 v[186:187], v[184:185], v[188:189]
	v_div_scale_f64 v[184:185], s[10:11], v[186:187], v[186:187], 1.0
	v_rcp_f64_e32 v[190:191], v[184:185]
	s_nop 0
	v_fma_f64 v[192:193], -v[184:185], v[190:191], 1.0
	v_fmac_f64_e32 v[190:191], v[190:191], v[192:193]
	v_fma_f64 v[192:193], -v[184:185], v[190:191], 1.0
	v_fmac_f64_e32 v[190:191], v[190:191], v[192:193]
	v_div_scale_f64 v[192:193], vcc, 1.0, v[186:187], 1.0
	v_mul_f64 v[194:195], v[192:193], v[190:191]
	v_fma_f64 v[184:185], -v[184:185], v[194:195], v[192:193]
	s_nop 1
	v_div_fmas_f64 v[184:185], v[184:185], v[190:191], v[194:195]
	v_div_fixup_f64 v[190:191], v[184:185], v[186:187], 1.0
	v_mul_f64 v[188:189], v[188:189], v[190:191]
	v_xor_b32_e32 v191, 0x80000000, v191
                                        ; implicit-def: $vgpr184_vgpr185
.LBB91_14:
	s_andn2_saveexec_b64 s[2:3], s[2:3]
	s_cbranch_execz .LBB91_16
; %bb.15:
	v_div_scale_f64 v[188:189], s[10:11], v[184:185], v[184:185], v[186:187]
	v_rcp_f64_e32 v[190:191], v[188:189]
	v_div_scale_f64 v[192:193], vcc, v[186:187], v[184:185], v[186:187]
	v_fma_f64 v[194:195], -v[188:189], v[190:191], 1.0
	v_fmac_f64_e32 v[190:191], v[190:191], v[194:195]
	v_fma_f64 v[194:195], -v[188:189], v[190:191], 1.0
	v_fmac_f64_e32 v[190:191], v[190:191], v[194:195]
	v_mul_f64 v[194:195], v[192:193], v[190:191]
	v_fma_f64 v[188:189], -v[188:189], v[194:195], v[192:193]
	v_div_fmas_f64 v[188:189], v[188:189], v[190:191], v[194:195]
	v_div_fixup_f64 v[190:191], v[188:189], v[184:185], v[186:187]
	v_fmac_f64_e32 v[184:185], v[186:187], v[190:191]
	v_div_scale_f64 v[186:187], s[10:11], v[184:185], v[184:185], 1.0
	v_rcp_f64_e32 v[188:189], v[186:187]
	s_nop 0
	v_fma_f64 v[192:193], -v[186:187], v[188:189], 1.0
	v_fmac_f64_e32 v[188:189], v[188:189], v[192:193]
	v_fma_f64 v[192:193], -v[186:187], v[188:189], 1.0
	v_fmac_f64_e32 v[188:189], v[188:189], v[192:193]
	v_div_scale_f64 v[192:193], vcc, 1.0, v[184:185], 1.0
	v_mul_f64 v[194:195], v[192:193], v[188:189]
	v_fma_f64 v[186:187], -v[186:187], v[194:195], v[192:193]
	s_nop 1
	v_div_fmas_f64 v[186:187], v[186:187], v[188:189], v[194:195]
	v_div_fixup_f64 v[188:189], v[186:187], v[184:185], 1.0
	v_mul_f64 v[190:191], v[190:191], -v[188:189]
.LBB91_16:
	s_or_b64 exec, exec, s[2:3]
	ds_write2_b64 v224, v[188:189], v[190:191] offset1:1
.LBB91_17:
	s_or_b64 exec, exec, s[4:5]
	s_waitcnt lgkmcnt(0)
	s_barrier
	ds_read2_b64 v[184:187], v224 offset1:1
	v_cmp_lt_u32_e32 vcc, 1, v226
	s_waitcnt lgkmcnt(0)
	scratch_store_dwordx4 off, v[184:187], off offset:296 ; 16-byte Folded Spill
	s_and_saveexec_b64 s[2:3], vcc
	s_cbranch_execz .LBB91_19
; %bb.18:
	scratch_load_dwordx4 v[190:193], off, off offset:48 ; 16-byte Folded Reload
	scratch_load_dwordx4 v[186:189], off, off offset:296 ; 16-byte Folded Reload
	s_waitcnt vmcnt(0)
	v_mul_f64 v[184:185], v[188:189], v[192:193]
	v_mul_f64 v[192:193], v[186:187], v[192:193]
	v_fma_f64 v[184:185], v[186:187], v[190:191], -v[184:185]
	v_fmac_f64_e32 v[192:193], v[188:189], v[190:191]
	ds_read2_b64 v[186:189], v225 offset0:4 offset1:5
	s_waitcnt lgkmcnt(0)
	v_mul_f64 v[172:173], v[188:189], v[192:193]
	v_fma_f64 v[172:173], v[186:187], v[184:185], -v[172:173]
	v_mul_f64 v[186:187], v[186:187], v[192:193]
	v_fmac_f64_e32 v[186:187], v[188:189], v[184:185]
	scratch_load_dwordx4 v[188:191], off, off offset:32 ; 16-byte Folded Reload
	s_waitcnt vmcnt(0)
	v_add_f64 v[188:189], v[188:189], -v[172:173]
	v_add_f64 v[190:191], v[190:191], -v[186:187]
	scratch_store_dwordx4 off, v[188:191], off offset:32 ; 16-byte Folded Spill
	ds_read2_b64 v[186:189], v225 offset0:6 offset1:7
	s_waitcnt lgkmcnt(0)
	v_mul_f64 v[172:173], v[188:189], v[192:193]
	v_fma_f64 v[172:173], v[186:187], v[184:185], -v[172:173]
	v_mul_f64 v[186:187], v[186:187], v[192:193]
	v_fmac_f64_e32 v[186:187], v[188:189], v[184:185]
	scratch_load_dwordx4 v[188:191], off, off offset:16 ; 16-byte Folded Reload
	s_waitcnt vmcnt(0)
	v_add_f64 v[188:189], v[188:189], -v[172:173]
	v_add_f64 v[190:191], v[190:191], -v[186:187]
	scratch_store_dwordx4 off, v[188:191], off offset:16 ; 16-byte Folded Spill
	ds_read2_b64 v[186:189], v225 offset0:8 offset1:9
	s_waitcnt lgkmcnt(0)
	v_mul_f64 v[172:173], v[188:189], v[192:193]
	v_fma_f64 v[172:173], v[186:187], v[184:185], -v[172:173]
	v_mul_f64 v[186:187], v[186:187], v[192:193]
	v_fmac_f64_e32 v[186:187], v[188:189], v[184:185]
	scratch_load_dwordx4 v[188:191], off, off ; 16-byte Folded Reload
	s_waitcnt vmcnt(0)
	v_add_f64 v[188:189], v[188:189], -v[172:173]
	v_add_f64 v[190:191], v[190:191], -v[186:187]
	scratch_store_dwordx4 off, v[188:191], off ; 16-byte Folded Spill
	ds_read2_b64 v[186:189], v225 offset0:10 offset1:11
	s_waitcnt lgkmcnt(0)
	v_mul_f64 v[172:173], v[188:189], v[192:193]
	v_fma_f64 v[172:173], v[186:187], v[184:185], -v[172:173]
	v_mul_f64 v[186:187], v[186:187], v[192:193]
	v_fmac_f64_e32 v[186:187], v[188:189], v[184:185]
	v_add_f64 v[158:159], v[158:159], -v[186:187]
	ds_read2_b64 v[186:189], v225 offset0:12 offset1:13
	v_add_f64 v[156:157], v[156:157], -v[172:173]
	v_mov_b64_e32 v[190:191], v[184:185]
	scratch_store_dwordx4 off, v[190:193], off offset:48 ; 16-byte Folded Spill
	s_waitcnt lgkmcnt(0)
	v_mul_f64 v[172:173], v[188:189], v[192:193]
	v_fma_f64 v[172:173], v[186:187], v[184:185], -v[172:173]
	v_mul_f64 v[186:187], v[186:187], v[192:193]
	v_fmac_f64_e32 v[186:187], v[188:189], v[184:185]
	v_add_f64 v[154:155], v[154:155], -v[186:187]
	ds_read2_b64 v[186:189], v225 offset0:14 offset1:15
	v_add_f64 v[152:153], v[152:153], -v[172:173]
	s_waitcnt lgkmcnt(0)
	v_mul_f64 v[172:173], v[188:189], v[192:193]
	v_fma_f64 v[172:173], v[186:187], v[184:185], -v[172:173]
	v_mul_f64 v[186:187], v[186:187], v[192:193]
	v_fmac_f64_e32 v[186:187], v[188:189], v[184:185]
	v_add_f64 v[150:151], v[150:151], -v[186:187]
	ds_read2_b64 v[186:189], v225 offset0:16 offset1:17
	v_add_f64 v[148:149], v[148:149], -v[172:173]
	;; [unrolled: 8-line block ×39, first 2 shown]
	s_waitcnt lgkmcnt(0)
	v_mul_f64 v[172:173], v[188:189], v[192:193]
	v_fma_f64 v[172:173], v[186:187], v[184:185], -v[172:173]
	v_mul_f64 v[186:187], v[186:187], v[192:193]
	v_fmac_f64_e32 v[186:187], v[188:189], v[184:185]
	v_add_f64 v[180:181], v[180:181], -v[172:173]
	v_add_f64 v[182:183], v[182:183], -v[186:187]
.LBB91_19:
	s_or_b64 exec, exec, s[2:3]
	v_cmp_eq_u32_e32 vcc, 2, v226
	s_waitcnt vmcnt(63) expcnt(7) lgkmcnt(15)
	s_barrier
	s_and_saveexec_b64 s[4:5], vcc
	s_cbranch_execz .LBB91_26
; %bb.20:
	scratch_load_dwordx4 v[184:187], off, off offset:32 ; 16-byte Folded Reload
	s_waitcnt vmcnt(0)
	ds_write2_b64 v224, v[184:185], v[186:187] offset1:1
	scratch_load_dwordx4 v[184:187], off, off offset:16 ; 16-byte Folded Reload
	s_waitcnt vmcnt(0)
	ds_write2_b64 v225, v[184:185], v[186:187] offset0:6 offset1:7
	scratch_load_dwordx4 v[184:187], off, off ; 16-byte Folded Reload
	s_waitcnt vmcnt(0)
	ds_write2_b64 v225, v[184:185], v[186:187] offset0:8 offset1:9
	ds_write2_b64 v225, v[156:157], v[158:159] offset0:10 offset1:11
	ds_write2_b64 v225, v[152:153], v[154:155] offset0:12 offset1:13
	ds_write2_b64 v225, v[148:149], v[150:151] offset0:14 offset1:15
	ds_write2_b64 v225, v[144:145], v[146:147] offset0:16 offset1:17
	ds_write2_b64 v225, v[140:141], v[142:143] offset0:18 offset1:19
	ds_write2_b64 v225, v[136:137], v[138:139] offset0:20 offset1:21
	ds_write2_b64 v225, v[132:133], v[134:135] offset0:22 offset1:23
	ds_write2_b64 v225, v[128:129], v[130:131] offset0:24 offset1:25
	ds_write2_b64 v225, v[124:125], v[126:127] offset0:26 offset1:27
	ds_write2_b64 v225, v[120:121], v[122:123] offset0:28 offset1:29
	ds_write2_b64 v225, v[116:117], v[118:119] offset0:30 offset1:31
	ds_write2_b64 v225, v[112:113], v[114:115] offset0:32 offset1:33
	ds_write2_b64 v225, v[108:109], v[110:111] offset0:34 offset1:35
	ds_write2_b64 v225, v[104:105], v[106:107] offset0:36 offset1:37
	ds_write2_b64 v225, v[100:101], v[102:103] offset0:38 offset1:39
	ds_write2_b64 v225, v[96:97], v[98:99] offset0:40 offset1:41
	ds_write2_b64 v225, v[92:93], v[94:95] offset0:42 offset1:43
	ds_write2_b64 v225, v[88:89], v[90:91] offset0:44 offset1:45
	ds_write2_b64 v225, v[84:85], v[86:87] offset0:46 offset1:47
	ds_write2_b64 v225, v[80:81], v[82:83] offset0:48 offset1:49
	ds_write2_b64 v225, v[76:77], v[78:79] offset0:50 offset1:51
	ds_write2_b64 v225, v[72:73], v[74:75] offset0:52 offset1:53
	ds_write2_b64 v225, v[68:69], v[70:71] offset0:54 offset1:55
	ds_write2_b64 v225, v[64:65], v[66:67] offset0:56 offset1:57
	ds_write2_b64 v225, v[60:61], v[62:63] offset0:58 offset1:59
	ds_write2_b64 v225, v[56:57], v[58:59] offset0:60 offset1:61
	ds_write2_b64 v225, v[52:53], v[54:55] offset0:62 offset1:63
	ds_write2_b64 v225, v[48:49], v[50:51] offset0:64 offset1:65
	ds_write2_b64 v225, v[44:45], v[46:47] offset0:66 offset1:67
	ds_write2_b64 v225, v[40:41], v[42:43] offset0:68 offset1:69
	ds_write2_b64 v225, v[36:37], v[38:39] offset0:70 offset1:71
	ds_write2_b64 v225, v[32:33], v[34:35] offset0:72 offset1:73
	ds_write2_b64 v225, v[28:29], v[30:31] offset0:74 offset1:75
	ds_write2_b64 v225, v[24:25], v[26:27] offset0:76 offset1:77
	ds_write2_b64 v225, v[20:21], v[22:23] offset0:78 offset1:79
	ds_write2_b64 v225, v[16:17], v[18:19] offset0:80 offset1:81
	ds_write2_b64 v225, v[12:13], v[14:15] offset0:82 offset1:83
	ds_write2_b64 v225, v[8:9], v[10:11] offset0:84 offset1:85
	ds_write2_b64 v225, v[4:5], v[6:7] offset0:86 offset1:87
	ds_write2_b64 v225, v[0:1], v[2:3] offset0:88 offset1:89
	ds_write2_b64 v225, v[180:181], v[182:183] offset0:90 offset1:91
	ds_read2_b64 v[184:187], v224 offset1:1
	s_waitcnt lgkmcnt(0)
	v_cmp_neq_f64_e32 vcc, 0, v[184:185]
	v_cmp_neq_f64_e64 s[2:3], 0, v[186:187]
	s_or_b64 s[2:3], vcc, s[2:3]
	s_and_b64 exec, exec, s[2:3]
	s_cbranch_execz .LBB91_26
; %bb.21:
	v_cmp_ngt_f64_e64 s[2:3], |v[184:185]|, |v[186:187]|
                                        ; implicit-def: $vgpr188_vgpr189
	s_and_saveexec_b64 s[10:11], s[2:3]
	s_xor_b64 s[2:3], exec, s[10:11]
                                        ; implicit-def: $vgpr190_vgpr191
	s_cbranch_execz .LBB91_23
; %bb.22:
	v_div_scale_f64 v[188:189], s[10:11], v[186:187], v[186:187], v[184:185]
	v_rcp_f64_e32 v[190:191], v[188:189]
	v_div_scale_f64 v[192:193], vcc, v[184:185], v[186:187], v[184:185]
	v_fma_f64 v[194:195], -v[188:189], v[190:191], 1.0
	v_fmac_f64_e32 v[190:191], v[190:191], v[194:195]
	v_fma_f64 v[194:195], -v[188:189], v[190:191], 1.0
	v_fmac_f64_e32 v[190:191], v[190:191], v[194:195]
	v_mul_f64 v[194:195], v[192:193], v[190:191]
	v_fma_f64 v[188:189], -v[188:189], v[194:195], v[192:193]
	v_div_fmas_f64 v[188:189], v[188:189], v[190:191], v[194:195]
	v_div_fixup_f64 v[188:189], v[188:189], v[186:187], v[184:185]
	v_fmac_f64_e32 v[186:187], v[184:185], v[188:189]
	v_div_scale_f64 v[184:185], s[10:11], v[186:187], v[186:187], 1.0
	v_rcp_f64_e32 v[190:191], v[184:185]
	s_nop 0
	v_fma_f64 v[192:193], -v[184:185], v[190:191], 1.0
	v_fmac_f64_e32 v[190:191], v[190:191], v[192:193]
	v_fma_f64 v[192:193], -v[184:185], v[190:191], 1.0
	v_fmac_f64_e32 v[190:191], v[190:191], v[192:193]
	v_div_scale_f64 v[192:193], vcc, 1.0, v[186:187], 1.0
	v_mul_f64 v[194:195], v[192:193], v[190:191]
	v_fma_f64 v[184:185], -v[184:185], v[194:195], v[192:193]
	s_nop 1
	v_div_fmas_f64 v[184:185], v[184:185], v[190:191], v[194:195]
	v_div_fixup_f64 v[190:191], v[184:185], v[186:187], 1.0
	v_mul_f64 v[188:189], v[188:189], v[190:191]
	v_xor_b32_e32 v191, 0x80000000, v191
                                        ; implicit-def: $vgpr184_vgpr185
.LBB91_23:
	s_andn2_saveexec_b64 s[2:3], s[2:3]
	s_cbranch_execz .LBB91_25
; %bb.24:
	v_div_scale_f64 v[188:189], s[10:11], v[184:185], v[184:185], v[186:187]
	v_rcp_f64_e32 v[190:191], v[188:189]
	v_div_scale_f64 v[192:193], vcc, v[186:187], v[184:185], v[186:187]
	v_fma_f64 v[194:195], -v[188:189], v[190:191], 1.0
	v_fmac_f64_e32 v[190:191], v[190:191], v[194:195]
	v_fma_f64 v[194:195], -v[188:189], v[190:191], 1.0
	v_fmac_f64_e32 v[190:191], v[190:191], v[194:195]
	v_mul_f64 v[194:195], v[192:193], v[190:191]
	v_fma_f64 v[188:189], -v[188:189], v[194:195], v[192:193]
	v_div_fmas_f64 v[188:189], v[188:189], v[190:191], v[194:195]
	v_div_fixup_f64 v[190:191], v[188:189], v[184:185], v[186:187]
	v_fmac_f64_e32 v[184:185], v[186:187], v[190:191]
	v_div_scale_f64 v[186:187], s[10:11], v[184:185], v[184:185], 1.0
	v_rcp_f64_e32 v[188:189], v[186:187]
	s_nop 0
	v_fma_f64 v[192:193], -v[186:187], v[188:189], 1.0
	v_fmac_f64_e32 v[188:189], v[188:189], v[192:193]
	v_fma_f64 v[192:193], -v[186:187], v[188:189], 1.0
	v_fmac_f64_e32 v[188:189], v[188:189], v[192:193]
	v_div_scale_f64 v[192:193], vcc, 1.0, v[184:185], 1.0
	v_mul_f64 v[194:195], v[192:193], v[188:189]
	v_fma_f64 v[186:187], -v[186:187], v[194:195], v[192:193]
	s_nop 1
	v_div_fmas_f64 v[186:187], v[186:187], v[188:189], v[194:195]
	v_div_fixup_f64 v[188:189], v[186:187], v[184:185], 1.0
	v_mul_f64 v[190:191], v[190:191], -v[188:189]
.LBB91_25:
	s_or_b64 exec, exec, s[2:3]
	ds_write2_b64 v224, v[188:189], v[190:191] offset1:1
.LBB91_26:
	s_or_b64 exec, exec, s[4:5]
	s_waitcnt lgkmcnt(0)
	s_barrier
	ds_read2_b64 v[184:187], v224 offset1:1
	v_cmp_lt_u32_e32 vcc, 2, v226
	s_waitcnt lgkmcnt(0)
	scratch_store_dwordx4 off, v[184:187], off offset:312 ; 16-byte Folded Spill
	s_and_saveexec_b64 s[2:3], vcc
	s_cbranch_execz .LBB91_28
; %bb.27:
	scratch_load_dwordx4 v[190:193], off, off offset:32 ; 16-byte Folded Reload
	scratch_load_dwordx4 v[186:189], off, off offset:312 ; 16-byte Folded Reload
	v_mov_b64_e32 v[172:173], v[168:169]
	s_waitcnt vmcnt(0)
	v_mul_f64 v[184:185], v[188:189], v[192:193]
	v_mul_f64 v[192:193], v[186:187], v[192:193]
	v_fma_f64 v[184:185], v[186:187], v[190:191], -v[184:185]
	v_fmac_f64_e32 v[192:193], v[188:189], v[190:191]
	ds_read2_b64 v[186:189], v225 offset0:6 offset1:7
	s_waitcnt lgkmcnt(0)
	v_mul_f64 v[168:169], v[188:189], v[192:193]
	v_fma_f64 v[168:169], v[186:187], v[184:185], -v[168:169]
	v_mul_f64 v[186:187], v[186:187], v[192:193]
	v_fmac_f64_e32 v[186:187], v[188:189], v[184:185]
	scratch_load_dwordx4 v[188:191], off, off offset:16 ; 16-byte Folded Reload
	s_waitcnt vmcnt(0)
	v_add_f64 v[188:189], v[188:189], -v[168:169]
	v_add_f64 v[190:191], v[190:191], -v[186:187]
	scratch_store_dwordx4 off, v[188:191], off offset:16 ; 16-byte Folded Spill
	ds_read2_b64 v[186:189], v225 offset0:8 offset1:9
	s_waitcnt lgkmcnt(0)
	v_mul_f64 v[168:169], v[188:189], v[192:193]
	v_fma_f64 v[168:169], v[186:187], v[184:185], -v[168:169]
	v_mul_f64 v[186:187], v[186:187], v[192:193]
	v_fmac_f64_e32 v[186:187], v[188:189], v[184:185]
	scratch_load_dwordx4 v[188:191], off, off ; 16-byte Folded Reload
	s_waitcnt vmcnt(0)
	v_add_f64 v[188:189], v[188:189], -v[168:169]
	v_add_f64 v[190:191], v[190:191], -v[186:187]
	scratch_store_dwordx4 off, v[188:191], off ; 16-byte Folded Spill
	ds_read2_b64 v[186:189], v225 offset0:10 offset1:11
	s_waitcnt lgkmcnt(0)
	v_mul_f64 v[168:169], v[188:189], v[192:193]
	v_fma_f64 v[168:169], v[186:187], v[184:185], -v[168:169]
	v_mul_f64 v[186:187], v[186:187], v[192:193]
	v_fmac_f64_e32 v[186:187], v[188:189], v[184:185]
	v_add_f64 v[158:159], v[158:159], -v[186:187]
	ds_read2_b64 v[186:189], v225 offset0:12 offset1:13
	v_add_f64 v[156:157], v[156:157], -v[168:169]
	v_mov_b64_e32 v[190:191], v[184:185]
	scratch_store_dwordx4 off, v[190:193], off offset:32 ; 16-byte Folded Spill
	s_waitcnt lgkmcnt(0)
	v_mul_f64 v[168:169], v[188:189], v[192:193]
	v_fma_f64 v[168:169], v[186:187], v[184:185], -v[168:169]
	v_mul_f64 v[186:187], v[186:187], v[192:193]
	v_fmac_f64_e32 v[186:187], v[188:189], v[184:185]
	v_add_f64 v[154:155], v[154:155], -v[186:187]
	ds_read2_b64 v[186:189], v225 offset0:14 offset1:15
	v_add_f64 v[152:153], v[152:153], -v[168:169]
	s_waitcnt lgkmcnt(0)
	v_mul_f64 v[168:169], v[188:189], v[192:193]
	v_fma_f64 v[168:169], v[186:187], v[184:185], -v[168:169]
	v_mul_f64 v[186:187], v[186:187], v[192:193]
	v_fmac_f64_e32 v[186:187], v[188:189], v[184:185]
	v_add_f64 v[150:151], v[150:151], -v[186:187]
	ds_read2_b64 v[186:189], v225 offset0:16 offset1:17
	v_add_f64 v[148:149], v[148:149], -v[168:169]
	;; [unrolled: 8-line block ×39, first 2 shown]
	s_waitcnt lgkmcnt(0)
	v_mul_f64 v[168:169], v[188:189], v[192:193]
	v_fma_f64 v[168:169], v[186:187], v[184:185], -v[168:169]
	v_mul_f64 v[186:187], v[186:187], v[192:193]
	v_fmac_f64_e32 v[186:187], v[188:189], v[184:185]
	v_add_f64 v[180:181], v[180:181], -v[168:169]
	v_mov_b64_e32 v[168:169], v[172:173]
	v_add_f64 v[182:183], v[182:183], -v[186:187]
.LBB91_28:
	s_or_b64 exec, exec, s[2:3]
	v_cmp_eq_u32_e32 vcc, 3, v226
	s_waitcnt vmcnt(63) expcnt(7) lgkmcnt(15)
	s_barrier
	s_and_saveexec_b64 s[4:5], vcc
	s_cbranch_execz .LBB91_35
; %bb.29:
	scratch_load_dwordx4 v[184:187], off, off offset:16 ; 16-byte Folded Reload
	s_waitcnt vmcnt(0)
	ds_write2_b64 v224, v[184:185], v[186:187] offset1:1
	scratch_load_dwordx4 v[184:187], off, off ; 16-byte Folded Reload
	s_waitcnt vmcnt(0)
	ds_write2_b64 v225, v[184:185], v[186:187] offset0:8 offset1:9
	ds_write2_b64 v225, v[156:157], v[158:159] offset0:10 offset1:11
	;; [unrolled: 1-line block ×42, first 2 shown]
	ds_read2_b64 v[184:187], v224 offset1:1
	s_waitcnt lgkmcnt(0)
	v_cmp_neq_f64_e32 vcc, 0, v[184:185]
	v_cmp_neq_f64_e64 s[2:3], 0, v[186:187]
	s_or_b64 s[2:3], vcc, s[2:3]
	s_and_b64 exec, exec, s[2:3]
	s_cbranch_execz .LBB91_35
; %bb.30:
	v_cmp_ngt_f64_e64 s[2:3], |v[184:185]|, |v[186:187]|
                                        ; implicit-def: $vgpr188_vgpr189
	s_and_saveexec_b64 s[10:11], s[2:3]
	s_xor_b64 s[2:3], exec, s[10:11]
                                        ; implicit-def: $vgpr190_vgpr191
	s_cbranch_execz .LBB91_32
; %bb.31:
	v_div_scale_f64 v[188:189], s[10:11], v[186:187], v[186:187], v[184:185]
	v_rcp_f64_e32 v[190:191], v[188:189]
	v_div_scale_f64 v[192:193], vcc, v[184:185], v[186:187], v[184:185]
	v_fma_f64 v[194:195], -v[188:189], v[190:191], 1.0
	v_fmac_f64_e32 v[190:191], v[190:191], v[194:195]
	v_fma_f64 v[194:195], -v[188:189], v[190:191], 1.0
	v_fmac_f64_e32 v[190:191], v[190:191], v[194:195]
	v_mul_f64 v[194:195], v[192:193], v[190:191]
	v_fma_f64 v[188:189], -v[188:189], v[194:195], v[192:193]
	v_div_fmas_f64 v[188:189], v[188:189], v[190:191], v[194:195]
	v_div_fixup_f64 v[188:189], v[188:189], v[186:187], v[184:185]
	v_fmac_f64_e32 v[186:187], v[184:185], v[188:189]
	v_div_scale_f64 v[184:185], s[10:11], v[186:187], v[186:187], 1.0
	v_rcp_f64_e32 v[190:191], v[184:185]
	s_nop 0
	v_fma_f64 v[192:193], -v[184:185], v[190:191], 1.0
	v_fmac_f64_e32 v[190:191], v[190:191], v[192:193]
	v_fma_f64 v[192:193], -v[184:185], v[190:191], 1.0
	v_fmac_f64_e32 v[190:191], v[190:191], v[192:193]
	v_div_scale_f64 v[192:193], vcc, 1.0, v[186:187], 1.0
	v_mul_f64 v[194:195], v[192:193], v[190:191]
	v_fma_f64 v[184:185], -v[184:185], v[194:195], v[192:193]
	s_nop 1
	v_div_fmas_f64 v[184:185], v[184:185], v[190:191], v[194:195]
	v_div_fixup_f64 v[190:191], v[184:185], v[186:187], 1.0
	v_mul_f64 v[188:189], v[188:189], v[190:191]
	v_xor_b32_e32 v191, 0x80000000, v191
                                        ; implicit-def: $vgpr184_vgpr185
.LBB91_32:
	s_andn2_saveexec_b64 s[2:3], s[2:3]
	s_cbranch_execz .LBB91_34
; %bb.33:
	v_div_scale_f64 v[188:189], s[10:11], v[184:185], v[184:185], v[186:187]
	v_rcp_f64_e32 v[190:191], v[188:189]
	v_div_scale_f64 v[192:193], vcc, v[186:187], v[184:185], v[186:187]
	v_fma_f64 v[194:195], -v[188:189], v[190:191], 1.0
	v_fmac_f64_e32 v[190:191], v[190:191], v[194:195]
	v_fma_f64 v[194:195], -v[188:189], v[190:191], 1.0
	v_fmac_f64_e32 v[190:191], v[190:191], v[194:195]
	v_mul_f64 v[194:195], v[192:193], v[190:191]
	v_fma_f64 v[188:189], -v[188:189], v[194:195], v[192:193]
	v_div_fmas_f64 v[188:189], v[188:189], v[190:191], v[194:195]
	v_div_fixup_f64 v[190:191], v[188:189], v[184:185], v[186:187]
	v_fmac_f64_e32 v[184:185], v[186:187], v[190:191]
	v_div_scale_f64 v[186:187], s[10:11], v[184:185], v[184:185], 1.0
	v_rcp_f64_e32 v[188:189], v[186:187]
	s_nop 0
	v_fma_f64 v[192:193], -v[186:187], v[188:189], 1.0
	v_fmac_f64_e32 v[188:189], v[188:189], v[192:193]
	v_fma_f64 v[192:193], -v[186:187], v[188:189], 1.0
	v_fmac_f64_e32 v[188:189], v[188:189], v[192:193]
	v_div_scale_f64 v[192:193], vcc, 1.0, v[184:185], 1.0
	v_mul_f64 v[194:195], v[192:193], v[188:189]
	v_fma_f64 v[186:187], -v[186:187], v[194:195], v[192:193]
	s_nop 1
	v_div_fmas_f64 v[186:187], v[186:187], v[188:189], v[194:195]
	v_div_fixup_f64 v[188:189], v[186:187], v[184:185], 1.0
	v_mul_f64 v[190:191], v[190:191], -v[188:189]
.LBB91_34:
	s_or_b64 exec, exec, s[2:3]
	ds_write2_b64 v224, v[188:189], v[190:191] offset1:1
.LBB91_35:
	s_or_b64 exec, exec, s[4:5]
	s_waitcnt lgkmcnt(0)
	s_barrier
	ds_read2_b64 v[184:187], v224 offset1:1
	v_cmp_lt_u32_e32 vcc, 3, v226
	s_waitcnt lgkmcnt(0)
	scratch_store_dwordx4 off, v[184:187], off offset:328 ; 16-byte Folded Spill
	s_and_saveexec_b64 s[2:3], vcc
	s_cbranch_execz .LBB91_37
; %bb.36:
	scratch_load_dwordx4 v[190:193], off, off offset:16 ; 16-byte Folded Reload
	scratch_load_dwordx4 v[186:189], off, off offset:328 ; 16-byte Folded Reload
	v_mov_b64_e32 v[172:173], v[164:165]
	s_waitcnt vmcnt(0)
	v_mul_f64 v[184:185], v[188:189], v[192:193]
	v_mul_f64 v[192:193], v[186:187], v[192:193]
	v_fma_f64 v[184:185], v[186:187], v[190:191], -v[184:185]
	v_fmac_f64_e32 v[192:193], v[188:189], v[190:191]
	ds_read2_b64 v[186:189], v225 offset0:8 offset1:9
	s_waitcnt lgkmcnt(0)
	v_mul_f64 v[164:165], v[188:189], v[192:193]
	v_fma_f64 v[164:165], v[186:187], v[184:185], -v[164:165]
	v_mul_f64 v[186:187], v[186:187], v[192:193]
	v_fmac_f64_e32 v[186:187], v[188:189], v[184:185]
	scratch_load_dwordx4 v[188:191], off, off ; 16-byte Folded Reload
	s_waitcnt vmcnt(0)
	v_add_f64 v[188:189], v[188:189], -v[164:165]
	v_add_f64 v[190:191], v[190:191], -v[186:187]
	scratch_store_dwordx4 off, v[188:191], off ; 16-byte Folded Spill
	ds_read2_b64 v[186:189], v225 offset0:10 offset1:11
	s_waitcnt lgkmcnt(0)
	v_mul_f64 v[164:165], v[188:189], v[192:193]
	v_fma_f64 v[164:165], v[186:187], v[184:185], -v[164:165]
	v_mul_f64 v[186:187], v[186:187], v[192:193]
	v_fmac_f64_e32 v[186:187], v[188:189], v[184:185]
	v_add_f64 v[158:159], v[158:159], -v[186:187]
	ds_read2_b64 v[186:189], v225 offset0:12 offset1:13
	v_add_f64 v[156:157], v[156:157], -v[164:165]
	v_mov_b64_e32 v[190:191], v[184:185]
	scratch_store_dwordx4 off, v[190:193], off offset:16 ; 16-byte Folded Spill
	s_waitcnt lgkmcnt(0)
	v_mul_f64 v[164:165], v[188:189], v[192:193]
	v_fma_f64 v[164:165], v[186:187], v[184:185], -v[164:165]
	v_mul_f64 v[186:187], v[186:187], v[192:193]
	v_fmac_f64_e32 v[186:187], v[188:189], v[184:185]
	v_add_f64 v[154:155], v[154:155], -v[186:187]
	ds_read2_b64 v[186:189], v225 offset0:14 offset1:15
	v_add_f64 v[152:153], v[152:153], -v[164:165]
	s_waitcnt lgkmcnt(0)
	v_mul_f64 v[164:165], v[188:189], v[192:193]
	v_fma_f64 v[164:165], v[186:187], v[184:185], -v[164:165]
	v_mul_f64 v[186:187], v[186:187], v[192:193]
	v_fmac_f64_e32 v[186:187], v[188:189], v[184:185]
	v_add_f64 v[150:151], v[150:151], -v[186:187]
	ds_read2_b64 v[186:189], v225 offset0:16 offset1:17
	v_add_f64 v[148:149], v[148:149], -v[164:165]
	;; [unrolled: 8-line block ×39, first 2 shown]
	s_waitcnt lgkmcnt(0)
	v_mul_f64 v[164:165], v[188:189], v[192:193]
	v_fma_f64 v[164:165], v[186:187], v[184:185], -v[164:165]
	v_mul_f64 v[186:187], v[186:187], v[192:193]
	v_fmac_f64_e32 v[186:187], v[188:189], v[184:185]
	v_add_f64 v[180:181], v[180:181], -v[164:165]
	v_mov_b64_e32 v[164:165], v[172:173]
	v_add_f64 v[182:183], v[182:183], -v[186:187]
.LBB91_37:
	s_or_b64 exec, exec, s[2:3]
	v_cmp_eq_u32_e32 vcc, 4, v226
	s_waitcnt vmcnt(63) expcnt(7) lgkmcnt(15)
	s_barrier
	s_and_saveexec_b64 s[4:5], vcc
	s_cbranch_execz .LBB91_44
; %bb.38:
	scratch_load_dwordx4 v[184:187], off, off ; 16-byte Folded Reload
	s_waitcnt vmcnt(0)
	ds_write2_b64 v224, v[184:185], v[186:187] offset1:1
	ds_write2_b64 v225, v[156:157], v[158:159] offset0:10 offset1:11
	ds_write2_b64 v225, v[152:153], v[154:155] offset0:12 offset1:13
	;; [unrolled: 1-line block ×41, first 2 shown]
	ds_read2_b64 v[184:187], v224 offset1:1
	s_waitcnt lgkmcnt(0)
	v_cmp_neq_f64_e32 vcc, 0, v[184:185]
	v_cmp_neq_f64_e64 s[2:3], 0, v[186:187]
	s_or_b64 s[2:3], vcc, s[2:3]
	s_and_b64 exec, exec, s[2:3]
	s_cbranch_execz .LBB91_44
; %bb.39:
	v_cmp_ngt_f64_e64 s[2:3], |v[184:185]|, |v[186:187]|
                                        ; implicit-def: $vgpr188_vgpr189
	s_and_saveexec_b64 s[10:11], s[2:3]
	s_xor_b64 s[2:3], exec, s[10:11]
                                        ; implicit-def: $vgpr190_vgpr191
	s_cbranch_execz .LBB91_41
; %bb.40:
	v_div_scale_f64 v[188:189], s[10:11], v[186:187], v[186:187], v[184:185]
	v_rcp_f64_e32 v[190:191], v[188:189]
	v_div_scale_f64 v[192:193], vcc, v[184:185], v[186:187], v[184:185]
	v_fma_f64 v[194:195], -v[188:189], v[190:191], 1.0
	v_fmac_f64_e32 v[190:191], v[190:191], v[194:195]
	v_fma_f64 v[194:195], -v[188:189], v[190:191], 1.0
	v_fmac_f64_e32 v[190:191], v[190:191], v[194:195]
	v_mul_f64 v[194:195], v[192:193], v[190:191]
	v_fma_f64 v[188:189], -v[188:189], v[194:195], v[192:193]
	v_div_fmas_f64 v[188:189], v[188:189], v[190:191], v[194:195]
	v_div_fixup_f64 v[188:189], v[188:189], v[186:187], v[184:185]
	v_fmac_f64_e32 v[186:187], v[184:185], v[188:189]
	v_div_scale_f64 v[184:185], s[10:11], v[186:187], v[186:187], 1.0
	v_rcp_f64_e32 v[190:191], v[184:185]
	s_nop 0
	v_fma_f64 v[192:193], -v[184:185], v[190:191], 1.0
	v_fmac_f64_e32 v[190:191], v[190:191], v[192:193]
	v_fma_f64 v[192:193], -v[184:185], v[190:191], 1.0
	v_fmac_f64_e32 v[190:191], v[190:191], v[192:193]
	v_div_scale_f64 v[192:193], vcc, 1.0, v[186:187], 1.0
	v_mul_f64 v[194:195], v[192:193], v[190:191]
	v_fma_f64 v[184:185], -v[184:185], v[194:195], v[192:193]
	s_nop 1
	v_div_fmas_f64 v[184:185], v[184:185], v[190:191], v[194:195]
	v_div_fixup_f64 v[190:191], v[184:185], v[186:187], 1.0
	v_mul_f64 v[188:189], v[188:189], v[190:191]
	v_xor_b32_e32 v191, 0x80000000, v191
                                        ; implicit-def: $vgpr184_vgpr185
.LBB91_41:
	s_andn2_saveexec_b64 s[2:3], s[2:3]
	s_cbranch_execz .LBB91_43
; %bb.42:
	v_div_scale_f64 v[188:189], s[10:11], v[184:185], v[184:185], v[186:187]
	v_rcp_f64_e32 v[190:191], v[188:189]
	v_div_scale_f64 v[192:193], vcc, v[186:187], v[184:185], v[186:187]
	v_fma_f64 v[194:195], -v[188:189], v[190:191], 1.0
	v_fmac_f64_e32 v[190:191], v[190:191], v[194:195]
	v_fma_f64 v[194:195], -v[188:189], v[190:191], 1.0
	v_fmac_f64_e32 v[190:191], v[190:191], v[194:195]
	v_mul_f64 v[194:195], v[192:193], v[190:191]
	v_fma_f64 v[188:189], -v[188:189], v[194:195], v[192:193]
	v_div_fmas_f64 v[188:189], v[188:189], v[190:191], v[194:195]
	v_div_fixup_f64 v[190:191], v[188:189], v[184:185], v[186:187]
	v_fmac_f64_e32 v[184:185], v[186:187], v[190:191]
	v_div_scale_f64 v[186:187], s[10:11], v[184:185], v[184:185], 1.0
	v_rcp_f64_e32 v[188:189], v[186:187]
	s_nop 0
	v_fma_f64 v[192:193], -v[186:187], v[188:189], 1.0
	v_fmac_f64_e32 v[188:189], v[188:189], v[192:193]
	v_fma_f64 v[192:193], -v[186:187], v[188:189], 1.0
	v_fmac_f64_e32 v[188:189], v[188:189], v[192:193]
	v_div_scale_f64 v[192:193], vcc, 1.0, v[184:185], 1.0
	v_mul_f64 v[194:195], v[192:193], v[188:189]
	v_fma_f64 v[186:187], -v[186:187], v[194:195], v[192:193]
	s_nop 1
	v_div_fmas_f64 v[186:187], v[186:187], v[188:189], v[194:195]
	v_div_fixup_f64 v[188:189], v[186:187], v[184:185], 1.0
	v_mul_f64 v[190:191], v[190:191], -v[188:189]
.LBB91_43:
	s_or_b64 exec, exec, s[2:3]
	ds_write2_b64 v224, v[188:189], v[190:191] offset1:1
.LBB91_44:
	s_or_b64 exec, exec, s[4:5]
	s_waitcnt lgkmcnt(0)
	s_barrier
	ds_read2_b64 v[184:187], v224 offset1:1
	v_cmp_lt_u32_e32 vcc, 4, v226
	s_waitcnt lgkmcnt(0)
	scratch_store_dwordx4 off, v[184:187], off offset:344 ; 16-byte Folded Spill
	s_and_saveexec_b64 s[2:3], vcc
	s_cbranch_execz .LBB91_46
; %bb.45:
	scratch_load_dwordx4 v[188:191], off, off ; 16-byte Folded Reload
	scratch_load_dwordx4 v[192:195], off, off offset:344 ; 16-byte Folded Reload
	v_mov_b64_e32 v[172:173], v[160:161]
	s_waitcnt vmcnt(0)
	v_mul_f64 v[184:185], v[194:195], v[190:191]
	v_mul_f64 v[190:191], v[192:193], v[190:191]
	v_fma_f64 v[184:185], v[192:193], v[188:189], -v[184:185]
	v_fmac_f64_e32 v[190:191], v[194:195], v[188:189]
	ds_read2_b64 v[186:189], v225 offset0:10 offset1:11
	s_waitcnt lgkmcnt(0)
	v_mul_f64 v[160:161], v[188:189], v[190:191]
	v_fma_f64 v[160:161], v[186:187], v[184:185], -v[160:161]
	v_mul_f64 v[186:187], v[186:187], v[190:191]
	v_fmac_f64_e32 v[186:187], v[188:189], v[184:185]
	v_add_f64 v[158:159], v[158:159], -v[186:187]
	ds_read2_b64 v[186:189], v225 offset0:12 offset1:13
	v_add_f64 v[156:157], v[156:157], -v[160:161]
	s_waitcnt lgkmcnt(0)
	v_mul_f64 v[160:161], v[188:189], v[190:191]
	v_fma_f64 v[160:161], v[186:187], v[184:185], -v[160:161]
	v_mul_f64 v[186:187], v[186:187], v[190:191]
	v_fmac_f64_e32 v[186:187], v[188:189], v[184:185]
	v_add_f64 v[154:155], v[154:155], -v[186:187]
	ds_read2_b64 v[186:189], v225 offset0:14 offset1:15
	v_add_f64 v[152:153], v[152:153], -v[160:161]
	s_waitcnt lgkmcnt(0)
	v_mul_f64 v[160:161], v[188:189], v[190:191]
	v_fma_f64 v[160:161], v[186:187], v[184:185], -v[160:161]
	v_mul_f64 v[186:187], v[186:187], v[190:191]
	v_fmac_f64_e32 v[186:187], v[188:189], v[184:185]
	v_add_f64 v[150:151], v[150:151], -v[186:187]
	ds_read2_b64 v[186:189], v225 offset0:16 offset1:17
	v_add_f64 v[148:149], v[148:149], -v[160:161]
	s_waitcnt lgkmcnt(0)
	v_mul_f64 v[160:161], v[188:189], v[190:191]
	v_fma_f64 v[160:161], v[186:187], v[184:185], -v[160:161]
	v_mul_f64 v[186:187], v[186:187], v[190:191]
	v_fmac_f64_e32 v[186:187], v[188:189], v[184:185]
	v_add_f64 v[146:147], v[146:147], -v[186:187]
	ds_read2_b64 v[186:189], v225 offset0:18 offset1:19
	v_add_f64 v[144:145], v[144:145], -v[160:161]
	s_waitcnt lgkmcnt(0)
	v_mul_f64 v[160:161], v[188:189], v[190:191]
	v_fma_f64 v[160:161], v[186:187], v[184:185], -v[160:161]
	v_mul_f64 v[186:187], v[186:187], v[190:191]
	v_fmac_f64_e32 v[186:187], v[188:189], v[184:185]
	v_add_f64 v[142:143], v[142:143], -v[186:187]
	ds_read2_b64 v[186:189], v225 offset0:20 offset1:21
	v_add_f64 v[140:141], v[140:141], -v[160:161]
	s_waitcnt lgkmcnt(0)
	v_mul_f64 v[160:161], v[188:189], v[190:191]
	v_fma_f64 v[160:161], v[186:187], v[184:185], -v[160:161]
	v_mul_f64 v[186:187], v[186:187], v[190:191]
	v_fmac_f64_e32 v[186:187], v[188:189], v[184:185]
	v_add_f64 v[138:139], v[138:139], -v[186:187]
	ds_read2_b64 v[186:189], v225 offset0:22 offset1:23
	v_add_f64 v[136:137], v[136:137], -v[160:161]
	s_waitcnt lgkmcnt(0)
	v_mul_f64 v[160:161], v[188:189], v[190:191]
	v_fma_f64 v[160:161], v[186:187], v[184:185], -v[160:161]
	v_mul_f64 v[186:187], v[186:187], v[190:191]
	v_fmac_f64_e32 v[186:187], v[188:189], v[184:185]
	v_add_f64 v[134:135], v[134:135], -v[186:187]
	ds_read2_b64 v[186:189], v225 offset0:24 offset1:25
	v_add_f64 v[132:133], v[132:133], -v[160:161]
	s_waitcnt lgkmcnt(0)
	v_mul_f64 v[160:161], v[188:189], v[190:191]
	v_fma_f64 v[160:161], v[186:187], v[184:185], -v[160:161]
	v_mul_f64 v[186:187], v[186:187], v[190:191]
	v_fmac_f64_e32 v[186:187], v[188:189], v[184:185]
	v_add_f64 v[130:131], v[130:131], -v[186:187]
	ds_read2_b64 v[186:189], v225 offset0:26 offset1:27
	v_add_f64 v[128:129], v[128:129], -v[160:161]
	s_waitcnt lgkmcnt(0)
	v_mul_f64 v[160:161], v[188:189], v[190:191]
	v_fma_f64 v[160:161], v[186:187], v[184:185], -v[160:161]
	v_mul_f64 v[186:187], v[186:187], v[190:191]
	v_fmac_f64_e32 v[186:187], v[188:189], v[184:185]
	v_add_f64 v[126:127], v[126:127], -v[186:187]
	ds_read2_b64 v[186:189], v225 offset0:28 offset1:29
	v_add_f64 v[124:125], v[124:125], -v[160:161]
	s_waitcnt lgkmcnt(0)
	v_mul_f64 v[160:161], v[188:189], v[190:191]
	v_fma_f64 v[160:161], v[186:187], v[184:185], -v[160:161]
	v_mul_f64 v[186:187], v[186:187], v[190:191]
	v_fmac_f64_e32 v[186:187], v[188:189], v[184:185]
	v_add_f64 v[122:123], v[122:123], -v[186:187]
	ds_read2_b64 v[186:189], v225 offset0:30 offset1:31
	v_add_f64 v[120:121], v[120:121], -v[160:161]
	s_waitcnt lgkmcnt(0)
	v_mul_f64 v[160:161], v[188:189], v[190:191]
	v_fma_f64 v[160:161], v[186:187], v[184:185], -v[160:161]
	v_mul_f64 v[186:187], v[186:187], v[190:191]
	v_fmac_f64_e32 v[186:187], v[188:189], v[184:185]
	v_add_f64 v[118:119], v[118:119], -v[186:187]
	ds_read2_b64 v[186:189], v225 offset0:32 offset1:33
	v_add_f64 v[116:117], v[116:117], -v[160:161]
	s_waitcnt lgkmcnt(0)
	v_mul_f64 v[160:161], v[188:189], v[190:191]
	v_fma_f64 v[160:161], v[186:187], v[184:185], -v[160:161]
	v_mul_f64 v[186:187], v[186:187], v[190:191]
	v_fmac_f64_e32 v[186:187], v[188:189], v[184:185]
	v_add_f64 v[114:115], v[114:115], -v[186:187]
	ds_read2_b64 v[186:189], v225 offset0:34 offset1:35
	v_add_f64 v[112:113], v[112:113], -v[160:161]
	s_waitcnt lgkmcnt(0)
	v_mul_f64 v[160:161], v[188:189], v[190:191]
	v_fma_f64 v[160:161], v[186:187], v[184:185], -v[160:161]
	v_mul_f64 v[186:187], v[186:187], v[190:191]
	v_fmac_f64_e32 v[186:187], v[188:189], v[184:185]
	v_add_f64 v[110:111], v[110:111], -v[186:187]
	ds_read2_b64 v[186:189], v225 offset0:36 offset1:37
	v_add_f64 v[108:109], v[108:109], -v[160:161]
	s_waitcnt lgkmcnt(0)
	v_mul_f64 v[160:161], v[188:189], v[190:191]
	v_fma_f64 v[160:161], v[186:187], v[184:185], -v[160:161]
	v_mul_f64 v[186:187], v[186:187], v[190:191]
	v_fmac_f64_e32 v[186:187], v[188:189], v[184:185]
	v_add_f64 v[106:107], v[106:107], -v[186:187]
	ds_read2_b64 v[186:189], v225 offset0:38 offset1:39
	v_add_f64 v[104:105], v[104:105], -v[160:161]
	s_waitcnt lgkmcnt(0)
	v_mul_f64 v[160:161], v[188:189], v[190:191]
	v_fma_f64 v[160:161], v[186:187], v[184:185], -v[160:161]
	v_mul_f64 v[186:187], v[186:187], v[190:191]
	v_fmac_f64_e32 v[186:187], v[188:189], v[184:185]
	v_add_f64 v[102:103], v[102:103], -v[186:187]
	ds_read2_b64 v[186:189], v225 offset0:40 offset1:41
	v_add_f64 v[100:101], v[100:101], -v[160:161]
	s_waitcnt lgkmcnt(0)
	v_mul_f64 v[160:161], v[188:189], v[190:191]
	v_fma_f64 v[160:161], v[186:187], v[184:185], -v[160:161]
	v_mul_f64 v[186:187], v[186:187], v[190:191]
	v_fmac_f64_e32 v[186:187], v[188:189], v[184:185]
	v_add_f64 v[98:99], v[98:99], -v[186:187]
	ds_read2_b64 v[186:189], v225 offset0:42 offset1:43
	v_add_f64 v[96:97], v[96:97], -v[160:161]
	s_waitcnt lgkmcnt(0)
	v_mul_f64 v[160:161], v[188:189], v[190:191]
	v_fma_f64 v[160:161], v[186:187], v[184:185], -v[160:161]
	v_mul_f64 v[186:187], v[186:187], v[190:191]
	v_fmac_f64_e32 v[186:187], v[188:189], v[184:185]
	v_add_f64 v[94:95], v[94:95], -v[186:187]
	ds_read2_b64 v[186:189], v225 offset0:44 offset1:45
	v_add_f64 v[92:93], v[92:93], -v[160:161]
	s_waitcnt lgkmcnt(0)
	v_mul_f64 v[160:161], v[188:189], v[190:191]
	v_fma_f64 v[160:161], v[186:187], v[184:185], -v[160:161]
	v_mul_f64 v[186:187], v[186:187], v[190:191]
	v_fmac_f64_e32 v[186:187], v[188:189], v[184:185]
	v_add_f64 v[90:91], v[90:91], -v[186:187]
	ds_read2_b64 v[186:189], v225 offset0:46 offset1:47
	v_add_f64 v[88:89], v[88:89], -v[160:161]
	s_waitcnt lgkmcnt(0)
	v_mul_f64 v[160:161], v[188:189], v[190:191]
	v_fma_f64 v[160:161], v[186:187], v[184:185], -v[160:161]
	v_mul_f64 v[186:187], v[186:187], v[190:191]
	v_fmac_f64_e32 v[186:187], v[188:189], v[184:185]
	v_add_f64 v[86:87], v[86:87], -v[186:187]
	ds_read2_b64 v[186:189], v225 offset0:48 offset1:49
	v_add_f64 v[84:85], v[84:85], -v[160:161]
	s_waitcnt lgkmcnt(0)
	v_mul_f64 v[160:161], v[188:189], v[190:191]
	v_fma_f64 v[160:161], v[186:187], v[184:185], -v[160:161]
	v_mul_f64 v[186:187], v[186:187], v[190:191]
	v_fmac_f64_e32 v[186:187], v[188:189], v[184:185]
	v_add_f64 v[82:83], v[82:83], -v[186:187]
	ds_read2_b64 v[186:189], v225 offset0:50 offset1:51
	v_add_f64 v[80:81], v[80:81], -v[160:161]
	s_waitcnt lgkmcnt(0)
	v_mul_f64 v[160:161], v[188:189], v[190:191]
	v_fma_f64 v[160:161], v[186:187], v[184:185], -v[160:161]
	v_mul_f64 v[186:187], v[186:187], v[190:191]
	v_fmac_f64_e32 v[186:187], v[188:189], v[184:185]
	v_add_f64 v[78:79], v[78:79], -v[186:187]
	ds_read2_b64 v[186:189], v225 offset0:52 offset1:53
	v_add_f64 v[76:77], v[76:77], -v[160:161]
	s_waitcnt lgkmcnt(0)
	v_mul_f64 v[160:161], v[188:189], v[190:191]
	v_fma_f64 v[160:161], v[186:187], v[184:185], -v[160:161]
	v_mul_f64 v[186:187], v[186:187], v[190:191]
	v_fmac_f64_e32 v[186:187], v[188:189], v[184:185]
	v_add_f64 v[74:75], v[74:75], -v[186:187]
	ds_read2_b64 v[186:189], v225 offset0:54 offset1:55
	v_add_f64 v[72:73], v[72:73], -v[160:161]
	s_waitcnt lgkmcnt(0)
	v_mul_f64 v[160:161], v[188:189], v[190:191]
	v_fma_f64 v[160:161], v[186:187], v[184:185], -v[160:161]
	v_mul_f64 v[186:187], v[186:187], v[190:191]
	v_fmac_f64_e32 v[186:187], v[188:189], v[184:185]
	v_add_f64 v[70:71], v[70:71], -v[186:187]
	ds_read2_b64 v[186:189], v225 offset0:56 offset1:57
	v_add_f64 v[68:69], v[68:69], -v[160:161]
	s_waitcnt lgkmcnt(0)
	v_mul_f64 v[160:161], v[188:189], v[190:191]
	v_fma_f64 v[160:161], v[186:187], v[184:185], -v[160:161]
	v_mul_f64 v[186:187], v[186:187], v[190:191]
	v_fmac_f64_e32 v[186:187], v[188:189], v[184:185]
	v_add_f64 v[66:67], v[66:67], -v[186:187]
	ds_read2_b64 v[186:189], v225 offset0:58 offset1:59
	v_add_f64 v[64:65], v[64:65], -v[160:161]
	s_waitcnt lgkmcnt(0)
	v_mul_f64 v[160:161], v[188:189], v[190:191]
	v_fma_f64 v[160:161], v[186:187], v[184:185], -v[160:161]
	v_mul_f64 v[186:187], v[186:187], v[190:191]
	v_fmac_f64_e32 v[186:187], v[188:189], v[184:185]
	v_add_f64 v[62:63], v[62:63], -v[186:187]
	ds_read2_b64 v[186:189], v225 offset0:60 offset1:61
	v_add_f64 v[60:61], v[60:61], -v[160:161]
	s_waitcnt lgkmcnt(0)
	v_mul_f64 v[160:161], v[188:189], v[190:191]
	v_fma_f64 v[160:161], v[186:187], v[184:185], -v[160:161]
	v_mul_f64 v[186:187], v[186:187], v[190:191]
	v_fmac_f64_e32 v[186:187], v[188:189], v[184:185]
	v_add_f64 v[58:59], v[58:59], -v[186:187]
	ds_read2_b64 v[186:189], v225 offset0:62 offset1:63
	v_add_f64 v[56:57], v[56:57], -v[160:161]
	s_waitcnt lgkmcnt(0)
	v_mul_f64 v[160:161], v[188:189], v[190:191]
	v_fma_f64 v[160:161], v[186:187], v[184:185], -v[160:161]
	v_mul_f64 v[186:187], v[186:187], v[190:191]
	v_fmac_f64_e32 v[186:187], v[188:189], v[184:185]
	v_add_f64 v[54:55], v[54:55], -v[186:187]
	ds_read2_b64 v[186:189], v225 offset0:64 offset1:65
	v_add_f64 v[52:53], v[52:53], -v[160:161]
	s_waitcnt lgkmcnt(0)
	v_mul_f64 v[160:161], v[188:189], v[190:191]
	v_fma_f64 v[160:161], v[186:187], v[184:185], -v[160:161]
	v_mul_f64 v[186:187], v[186:187], v[190:191]
	v_fmac_f64_e32 v[186:187], v[188:189], v[184:185]
	v_add_f64 v[50:51], v[50:51], -v[186:187]
	ds_read2_b64 v[186:189], v225 offset0:66 offset1:67
	v_add_f64 v[48:49], v[48:49], -v[160:161]
	s_waitcnt lgkmcnt(0)
	v_mul_f64 v[160:161], v[188:189], v[190:191]
	v_fma_f64 v[160:161], v[186:187], v[184:185], -v[160:161]
	v_mul_f64 v[186:187], v[186:187], v[190:191]
	v_fmac_f64_e32 v[186:187], v[188:189], v[184:185]
	v_add_f64 v[46:47], v[46:47], -v[186:187]
	ds_read2_b64 v[186:189], v225 offset0:68 offset1:69
	v_add_f64 v[44:45], v[44:45], -v[160:161]
	s_waitcnt lgkmcnt(0)
	v_mul_f64 v[160:161], v[188:189], v[190:191]
	v_fma_f64 v[160:161], v[186:187], v[184:185], -v[160:161]
	v_mul_f64 v[186:187], v[186:187], v[190:191]
	v_fmac_f64_e32 v[186:187], v[188:189], v[184:185]
	v_add_f64 v[42:43], v[42:43], -v[186:187]
	ds_read2_b64 v[186:189], v225 offset0:70 offset1:71
	v_add_f64 v[40:41], v[40:41], -v[160:161]
	s_waitcnt lgkmcnt(0)
	v_mul_f64 v[160:161], v[188:189], v[190:191]
	v_fma_f64 v[160:161], v[186:187], v[184:185], -v[160:161]
	v_mul_f64 v[186:187], v[186:187], v[190:191]
	v_fmac_f64_e32 v[186:187], v[188:189], v[184:185]
	v_add_f64 v[38:39], v[38:39], -v[186:187]
	ds_read2_b64 v[186:189], v225 offset0:72 offset1:73
	v_add_f64 v[36:37], v[36:37], -v[160:161]
	s_waitcnt lgkmcnt(0)
	v_mul_f64 v[160:161], v[188:189], v[190:191]
	v_fma_f64 v[160:161], v[186:187], v[184:185], -v[160:161]
	v_mul_f64 v[186:187], v[186:187], v[190:191]
	v_fmac_f64_e32 v[186:187], v[188:189], v[184:185]
	v_add_f64 v[34:35], v[34:35], -v[186:187]
	ds_read2_b64 v[186:189], v225 offset0:74 offset1:75
	v_add_f64 v[32:33], v[32:33], -v[160:161]
	s_waitcnt lgkmcnt(0)
	v_mul_f64 v[160:161], v[188:189], v[190:191]
	v_fma_f64 v[160:161], v[186:187], v[184:185], -v[160:161]
	v_mul_f64 v[186:187], v[186:187], v[190:191]
	v_fmac_f64_e32 v[186:187], v[188:189], v[184:185]
	v_add_f64 v[30:31], v[30:31], -v[186:187]
	ds_read2_b64 v[186:189], v225 offset0:76 offset1:77
	v_add_f64 v[28:29], v[28:29], -v[160:161]
	s_waitcnt lgkmcnt(0)
	v_mul_f64 v[160:161], v[188:189], v[190:191]
	v_fma_f64 v[160:161], v[186:187], v[184:185], -v[160:161]
	v_mul_f64 v[186:187], v[186:187], v[190:191]
	v_fmac_f64_e32 v[186:187], v[188:189], v[184:185]
	v_add_f64 v[26:27], v[26:27], -v[186:187]
	ds_read2_b64 v[186:189], v225 offset0:78 offset1:79
	v_add_f64 v[24:25], v[24:25], -v[160:161]
	s_waitcnt lgkmcnt(0)
	v_mul_f64 v[160:161], v[188:189], v[190:191]
	v_fma_f64 v[160:161], v[186:187], v[184:185], -v[160:161]
	v_mul_f64 v[186:187], v[186:187], v[190:191]
	v_fmac_f64_e32 v[186:187], v[188:189], v[184:185]
	v_add_f64 v[22:23], v[22:23], -v[186:187]
	ds_read2_b64 v[186:189], v225 offset0:80 offset1:81
	v_add_f64 v[20:21], v[20:21], -v[160:161]
	s_waitcnt lgkmcnt(0)
	v_mul_f64 v[160:161], v[188:189], v[190:191]
	v_fma_f64 v[160:161], v[186:187], v[184:185], -v[160:161]
	v_mul_f64 v[186:187], v[186:187], v[190:191]
	v_fmac_f64_e32 v[186:187], v[188:189], v[184:185]
	v_add_f64 v[18:19], v[18:19], -v[186:187]
	ds_read2_b64 v[186:189], v225 offset0:82 offset1:83
	v_add_f64 v[16:17], v[16:17], -v[160:161]
	s_waitcnt lgkmcnt(0)
	v_mul_f64 v[160:161], v[188:189], v[190:191]
	v_fma_f64 v[160:161], v[186:187], v[184:185], -v[160:161]
	v_mul_f64 v[186:187], v[186:187], v[190:191]
	v_fmac_f64_e32 v[186:187], v[188:189], v[184:185]
	v_add_f64 v[14:15], v[14:15], -v[186:187]
	ds_read2_b64 v[186:189], v225 offset0:84 offset1:85
	v_add_f64 v[12:13], v[12:13], -v[160:161]
	s_waitcnt lgkmcnt(0)
	v_mul_f64 v[160:161], v[188:189], v[190:191]
	v_fma_f64 v[160:161], v[186:187], v[184:185], -v[160:161]
	v_mul_f64 v[186:187], v[186:187], v[190:191]
	v_fmac_f64_e32 v[186:187], v[188:189], v[184:185]
	v_add_f64 v[10:11], v[10:11], -v[186:187]
	ds_read2_b64 v[186:189], v225 offset0:86 offset1:87
	v_add_f64 v[8:9], v[8:9], -v[160:161]
	s_waitcnt lgkmcnt(0)
	v_mul_f64 v[160:161], v[188:189], v[190:191]
	v_fma_f64 v[160:161], v[186:187], v[184:185], -v[160:161]
	v_mul_f64 v[186:187], v[186:187], v[190:191]
	v_fmac_f64_e32 v[186:187], v[188:189], v[184:185]
	v_add_f64 v[6:7], v[6:7], -v[186:187]
	ds_read2_b64 v[186:189], v225 offset0:88 offset1:89
	v_add_f64 v[4:5], v[4:5], -v[160:161]
	s_waitcnt lgkmcnt(0)
	v_mul_f64 v[160:161], v[188:189], v[190:191]
	v_fma_f64 v[160:161], v[186:187], v[184:185], -v[160:161]
	v_mul_f64 v[186:187], v[186:187], v[190:191]
	v_fmac_f64_e32 v[186:187], v[188:189], v[184:185]
	v_add_f64 v[2:3], v[2:3], -v[186:187]
	ds_read2_b64 v[186:189], v225 offset0:90 offset1:91
	v_add_f64 v[0:1], v[0:1], -v[160:161]
	s_waitcnt lgkmcnt(0)
	v_mul_f64 v[160:161], v[188:189], v[190:191]
	v_fma_f64 v[160:161], v[186:187], v[184:185], -v[160:161]
	v_mul_f64 v[186:187], v[186:187], v[190:191]
	v_fmac_f64_e32 v[186:187], v[188:189], v[184:185]
	v_add_f64 v[180:181], v[180:181], -v[160:161]
	v_mov_b64_e32 v[160:161], v[172:173]
	v_add_f64 v[182:183], v[182:183], -v[186:187]
	v_mov_b64_e32 v[188:189], v[184:185]
	scratch_store_dwordx4 off, v[188:191], off ; 16-byte Folded Spill
.LBB91_46:
	s_or_b64 exec, exec, s[2:3]
	v_cmp_eq_u32_e32 vcc, 5, v226
	s_waitcnt vmcnt(63) expcnt(7) lgkmcnt(15)
	s_barrier
	s_and_saveexec_b64 s[4:5], vcc
	s_cbranch_execz .LBB91_53
; %bb.47:
	ds_write2_b64 v224, v[156:157], v[158:159] offset1:1
	ds_write2_b64 v225, v[152:153], v[154:155] offset0:12 offset1:13
	ds_write2_b64 v225, v[148:149], v[150:151] offset0:14 offset1:15
	;; [unrolled: 1-line block ×6, first 2 shown]
	s_waitcnt vmcnt(62)
	ds_write2_b64 v225, v[128:129], v[130:131] offset0:24 offset1:25
	s_waitcnt vmcnt(61)
	ds_write2_b64 v225, v[124:125], v[126:127] offset0:26 offset1:27
	;; [unrolled: 2-line block ×32, first 2 shown]
	ds_write2_b64 v225, v[0:1], v[2:3] offset0:88 offset1:89
	s_waitcnt vmcnt(12)
	ds_write2_b64 v225, v[180:181], v[182:183] offset0:90 offset1:91
	ds_read2_b64 v[184:187], v224 offset1:1
	s_waitcnt lgkmcnt(0)
	v_cmp_neq_f64_e32 vcc, 0, v[184:185]
	v_cmp_neq_f64_e64 s[2:3], 0, v[186:187]
	s_or_b64 s[2:3], vcc, s[2:3]
	s_and_b64 exec, exec, s[2:3]
	s_cbranch_execz .LBB91_53
; %bb.48:
	v_cmp_ngt_f64_e64 s[2:3], |v[184:185]|, |v[186:187]|
                                        ; implicit-def: $vgpr188_vgpr189
	s_and_saveexec_b64 s[10:11], s[2:3]
	s_xor_b64 s[2:3], exec, s[10:11]
                                        ; implicit-def: $vgpr190_vgpr191
	s_cbranch_execz .LBB91_50
; %bb.49:
	v_div_scale_f64 v[188:189], s[10:11], v[186:187], v[186:187], v[184:185]
	v_rcp_f64_e32 v[190:191], v[188:189]
	v_div_scale_f64 v[192:193], vcc, v[184:185], v[186:187], v[184:185]
	v_fma_f64 v[194:195], -v[188:189], v[190:191], 1.0
	v_fmac_f64_e32 v[190:191], v[190:191], v[194:195]
	v_fma_f64 v[194:195], -v[188:189], v[190:191], 1.0
	v_fmac_f64_e32 v[190:191], v[190:191], v[194:195]
	v_mul_f64 v[194:195], v[192:193], v[190:191]
	v_fma_f64 v[188:189], -v[188:189], v[194:195], v[192:193]
	v_div_fmas_f64 v[188:189], v[188:189], v[190:191], v[194:195]
	v_div_fixup_f64 v[188:189], v[188:189], v[186:187], v[184:185]
	v_fmac_f64_e32 v[186:187], v[184:185], v[188:189]
	v_div_scale_f64 v[184:185], s[10:11], v[186:187], v[186:187], 1.0
	v_rcp_f64_e32 v[190:191], v[184:185]
	s_nop 0
	v_fma_f64 v[192:193], -v[184:185], v[190:191], 1.0
	v_fmac_f64_e32 v[190:191], v[190:191], v[192:193]
	v_fma_f64 v[192:193], -v[184:185], v[190:191], 1.0
	v_fmac_f64_e32 v[190:191], v[190:191], v[192:193]
	v_div_scale_f64 v[192:193], vcc, 1.0, v[186:187], 1.0
	v_mul_f64 v[194:195], v[192:193], v[190:191]
	v_fma_f64 v[184:185], -v[184:185], v[194:195], v[192:193]
	s_nop 1
	v_div_fmas_f64 v[184:185], v[184:185], v[190:191], v[194:195]
	v_div_fixup_f64 v[190:191], v[184:185], v[186:187], 1.0
	v_mul_f64 v[188:189], v[188:189], v[190:191]
	v_xor_b32_e32 v191, 0x80000000, v191
                                        ; implicit-def: $vgpr184_vgpr185
.LBB91_50:
	s_andn2_saveexec_b64 s[2:3], s[2:3]
	s_cbranch_execz .LBB91_52
; %bb.51:
	v_div_scale_f64 v[188:189], s[10:11], v[184:185], v[184:185], v[186:187]
	v_rcp_f64_e32 v[190:191], v[188:189]
	v_div_scale_f64 v[192:193], vcc, v[186:187], v[184:185], v[186:187]
	v_fma_f64 v[194:195], -v[188:189], v[190:191], 1.0
	v_fmac_f64_e32 v[190:191], v[190:191], v[194:195]
	v_fma_f64 v[194:195], -v[188:189], v[190:191], 1.0
	v_fmac_f64_e32 v[190:191], v[190:191], v[194:195]
	v_mul_f64 v[194:195], v[192:193], v[190:191]
	v_fma_f64 v[188:189], -v[188:189], v[194:195], v[192:193]
	v_div_fmas_f64 v[188:189], v[188:189], v[190:191], v[194:195]
	v_div_fixup_f64 v[190:191], v[188:189], v[184:185], v[186:187]
	v_fmac_f64_e32 v[184:185], v[186:187], v[190:191]
	v_div_scale_f64 v[186:187], s[10:11], v[184:185], v[184:185], 1.0
	v_rcp_f64_e32 v[188:189], v[186:187]
	s_nop 0
	v_fma_f64 v[192:193], -v[186:187], v[188:189], 1.0
	v_fmac_f64_e32 v[188:189], v[188:189], v[192:193]
	v_fma_f64 v[192:193], -v[186:187], v[188:189], 1.0
	v_fmac_f64_e32 v[188:189], v[188:189], v[192:193]
	v_div_scale_f64 v[192:193], vcc, 1.0, v[184:185], 1.0
	v_mul_f64 v[194:195], v[192:193], v[188:189]
	v_fma_f64 v[186:187], -v[186:187], v[194:195], v[192:193]
	s_nop 1
	v_div_fmas_f64 v[186:187], v[186:187], v[188:189], v[194:195]
	v_div_fixup_f64 v[188:189], v[186:187], v[184:185], 1.0
	v_mul_f64 v[190:191], v[190:191], -v[188:189]
.LBB91_52:
	s_or_b64 exec, exec, s[2:3]
	ds_write2_b64 v224, v[188:189], v[190:191] offset1:1
.LBB91_53:
	s_or_b64 exec, exec, s[4:5]
	s_waitcnt lgkmcnt(0)
	s_barrier
	ds_read2_b64 v[184:187], v224 offset1:1
	v_cmp_lt_u32_e32 vcc, 5, v226
	s_waitcnt lgkmcnt(0)
	scratch_store_dwordx4 off, v[184:187], off offset:360 ; 16-byte Folded Spill
	s_and_saveexec_b64 s[2:3], vcc
	s_cbranch_execz .LBB91_55
; %bb.54:
	scratch_load_dwordx4 v[186:189], off, off offset:360 ; 16-byte Folded Reload
	s_waitcnt vmcnt(0)
	v_mul_f64 v[184:185], v[188:189], v[158:159]
	v_mul_f64 v[158:159], v[186:187], v[158:159]
	v_fma_f64 v[184:185], v[186:187], v[156:157], -v[184:185]
	v_fmac_f64_e32 v[158:159], v[188:189], v[156:157]
	ds_read2_b64 v[186:189], v225 offset0:12 offset1:13
	s_waitcnt lgkmcnt(0)
	v_mul_f64 v[156:157], v[188:189], v[158:159]
	v_fma_f64 v[156:157], v[186:187], v[184:185], -v[156:157]
	v_mul_f64 v[186:187], v[186:187], v[158:159]
	v_fmac_f64_e32 v[186:187], v[188:189], v[184:185]
	v_add_f64 v[154:155], v[154:155], -v[186:187]
	ds_read2_b64 v[186:189], v225 offset0:14 offset1:15
	v_add_f64 v[152:153], v[152:153], -v[156:157]
	s_waitcnt lgkmcnt(0)
	v_mul_f64 v[156:157], v[188:189], v[158:159]
	v_fma_f64 v[156:157], v[186:187], v[184:185], -v[156:157]
	v_mul_f64 v[186:187], v[186:187], v[158:159]
	v_fmac_f64_e32 v[186:187], v[188:189], v[184:185]
	v_add_f64 v[150:151], v[150:151], -v[186:187]
	ds_read2_b64 v[186:189], v225 offset0:16 offset1:17
	v_add_f64 v[148:149], v[148:149], -v[156:157]
	;; [unrolled: 8-line block ×39, first 2 shown]
	s_waitcnt lgkmcnt(0)
	v_mul_f64 v[156:157], v[188:189], v[158:159]
	v_fma_f64 v[156:157], v[186:187], v[184:185], -v[156:157]
	v_mul_f64 v[186:187], v[186:187], v[158:159]
	v_fmac_f64_e32 v[186:187], v[188:189], v[184:185]
	v_add_f64 v[180:181], v[180:181], -v[156:157]
	v_add_f64 v[182:183], v[182:183], -v[186:187]
	v_mov_b64_e32 v[156:157], v[184:185]
.LBB91_55:
	s_or_b64 exec, exec, s[2:3]
	v_cmp_eq_u32_e32 vcc, 6, v226
	s_waitcnt vmcnt(63) expcnt(7) lgkmcnt(15)
	s_barrier
	s_and_saveexec_b64 s[4:5], vcc
	s_cbranch_execz .LBB91_62
; %bb.56:
	ds_write2_b64 v224, v[152:153], v[154:155] offset1:1
	ds_write2_b64 v225, v[148:149], v[150:151] offset0:14 offset1:15
	ds_write2_b64 v225, v[144:145], v[146:147] offset0:16 offset1:17
	;; [unrolled: 1-line block ×6, first 2 shown]
	s_waitcnt vmcnt(62)
	ds_write2_b64 v225, v[124:125], v[126:127] offset0:26 offset1:27
	s_waitcnt vmcnt(61)
	ds_write2_b64 v225, v[120:121], v[122:123] offset0:28 offset1:29
	;; [unrolled: 2-line block ×31, first 2 shown]
	ds_write2_b64 v225, v[0:1], v[2:3] offset0:88 offset1:89
	s_waitcnt vmcnt(13)
	ds_write2_b64 v225, v[180:181], v[182:183] offset0:90 offset1:91
	ds_read2_b64 v[184:187], v224 offset1:1
	s_waitcnt lgkmcnt(0)
	v_cmp_neq_f64_e32 vcc, 0, v[184:185]
	v_cmp_neq_f64_e64 s[2:3], 0, v[186:187]
	s_or_b64 s[2:3], vcc, s[2:3]
	s_and_b64 exec, exec, s[2:3]
	s_cbranch_execz .LBB91_62
; %bb.57:
	v_cmp_ngt_f64_e64 s[2:3], |v[184:185]|, |v[186:187]|
                                        ; implicit-def: $vgpr188_vgpr189
	s_and_saveexec_b64 s[10:11], s[2:3]
	s_xor_b64 s[2:3], exec, s[10:11]
                                        ; implicit-def: $vgpr190_vgpr191
	s_cbranch_execz .LBB91_59
; %bb.58:
	v_div_scale_f64 v[188:189], s[10:11], v[186:187], v[186:187], v[184:185]
	v_rcp_f64_e32 v[190:191], v[188:189]
	v_div_scale_f64 v[192:193], vcc, v[184:185], v[186:187], v[184:185]
	v_fma_f64 v[194:195], -v[188:189], v[190:191], 1.0
	v_fmac_f64_e32 v[190:191], v[190:191], v[194:195]
	v_fma_f64 v[194:195], -v[188:189], v[190:191], 1.0
	v_fmac_f64_e32 v[190:191], v[190:191], v[194:195]
	v_mul_f64 v[194:195], v[192:193], v[190:191]
	v_fma_f64 v[188:189], -v[188:189], v[194:195], v[192:193]
	v_div_fmas_f64 v[188:189], v[188:189], v[190:191], v[194:195]
	v_div_fixup_f64 v[188:189], v[188:189], v[186:187], v[184:185]
	v_fmac_f64_e32 v[186:187], v[184:185], v[188:189]
	v_div_scale_f64 v[184:185], s[10:11], v[186:187], v[186:187], 1.0
	v_rcp_f64_e32 v[190:191], v[184:185]
	s_nop 0
	v_fma_f64 v[192:193], -v[184:185], v[190:191], 1.0
	v_fmac_f64_e32 v[190:191], v[190:191], v[192:193]
	v_fma_f64 v[192:193], -v[184:185], v[190:191], 1.0
	v_fmac_f64_e32 v[190:191], v[190:191], v[192:193]
	v_div_scale_f64 v[192:193], vcc, 1.0, v[186:187], 1.0
	v_mul_f64 v[194:195], v[192:193], v[190:191]
	v_fma_f64 v[184:185], -v[184:185], v[194:195], v[192:193]
	s_nop 1
	v_div_fmas_f64 v[184:185], v[184:185], v[190:191], v[194:195]
	v_div_fixup_f64 v[190:191], v[184:185], v[186:187], 1.0
	v_mul_f64 v[188:189], v[188:189], v[190:191]
	v_xor_b32_e32 v191, 0x80000000, v191
                                        ; implicit-def: $vgpr184_vgpr185
.LBB91_59:
	s_andn2_saveexec_b64 s[2:3], s[2:3]
	s_cbranch_execz .LBB91_61
; %bb.60:
	v_div_scale_f64 v[188:189], s[10:11], v[184:185], v[184:185], v[186:187]
	v_rcp_f64_e32 v[190:191], v[188:189]
	v_div_scale_f64 v[192:193], vcc, v[186:187], v[184:185], v[186:187]
	v_fma_f64 v[194:195], -v[188:189], v[190:191], 1.0
	v_fmac_f64_e32 v[190:191], v[190:191], v[194:195]
	v_fma_f64 v[194:195], -v[188:189], v[190:191], 1.0
	v_fmac_f64_e32 v[190:191], v[190:191], v[194:195]
	v_mul_f64 v[194:195], v[192:193], v[190:191]
	v_fma_f64 v[188:189], -v[188:189], v[194:195], v[192:193]
	v_div_fmas_f64 v[188:189], v[188:189], v[190:191], v[194:195]
	v_div_fixup_f64 v[190:191], v[188:189], v[184:185], v[186:187]
	v_fmac_f64_e32 v[184:185], v[186:187], v[190:191]
	v_div_scale_f64 v[186:187], s[10:11], v[184:185], v[184:185], 1.0
	v_rcp_f64_e32 v[188:189], v[186:187]
	s_nop 0
	v_fma_f64 v[192:193], -v[186:187], v[188:189], 1.0
	v_fmac_f64_e32 v[188:189], v[188:189], v[192:193]
	v_fma_f64 v[192:193], -v[186:187], v[188:189], 1.0
	v_fmac_f64_e32 v[188:189], v[188:189], v[192:193]
	v_div_scale_f64 v[192:193], vcc, 1.0, v[184:185], 1.0
	v_mul_f64 v[194:195], v[192:193], v[188:189]
	v_fma_f64 v[186:187], -v[186:187], v[194:195], v[192:193]
	s_nop 1
	v_div_fmas_f64 v[186:187], v[186:187], v[188:189], v[194:195]
	v_div_fixup_f64 v[188:189], v[186:187], v[184:185], 1.0
	v_mul_f64 v[190:191], v[190:191], -v[188:189]
.LBB91_61:
	s_or_b64 exec, exec, s[2:3]
	ds_write2_b64 v224, v[188:189], v[190:191] offset1:1
.LBB91_62:
	s_or_b64 exec, exec, s[4:5]
	s_waitcnt lgkmcnt(0)
	s_barrier
	ds_read2_b64 v[184:187], v224 offset1:1
	v_cmp_lt_u32_e32 vcc, 6, v226
	s_waitcnt lgkmcnt(0)
	scratch_store_dwordx4 off, v[184:187], off offset:376 ; 16-byte Folded Spill
	s_and_saveexec_b64 s[2:3], vcc
	s_cbranch_execz .LBB91_64
; %bb.63:
	scratch_load_dwordx4 v[186:189], off, off offset:376 ; 16-byte Folded Reload
	s_waitcnt vmcnt(0)
	v_mul_f64 v[184:185], v[188:189], v[154:155]
	v_mul_f64 v[154:155], v[186:187], v[154:155]
	v_fma_f64 v[184:185], v[186:187], v[152:153], -v[184:185]
	v_fmac_f64_e32 v[154:155], v[188:189], v[152:153]
	ds_read2_b64 v[186:189], v225 offset0:14 offset1:15
	s_waitcnt lgkmcnt(0)
	v_mul_f64 v[152:153], v[188:189], v[154:155]
	v_fma_f64 v[152:153], v[186:187], v[184:185], -v[152:153]
	v_mul_f64 v[186:187], v[186:187], v[154:155]
	v_fmac_f64_e32 v[186:187], v[188:189], v[184:185]
	v_add_f64 v[150:151], v[150:151], -v[186:187]
	ds_read2_b64 v[186:189], v225 offset0:16 offset1:17
	v_add_f64 v[148:149], v[148:149], -v[152:153]
	s_waitcnt lgkmcnt(0)
	v_mul_f64 v[152:153], v[188:189], v[154:155]
	v_fma_f64 v[152:153], v[186:187], v[184:185], -v[152:153]
	v_mul_f64 v[186:187], v[186:187], v[154:155]
	v_fmac_f64_e32 v[186:187], v[188:189], v[184:185]
	v_add_f64 v[146:147], v[146:147], -v[186:187]
	ds_read2_b64 v[186:189], v225 offset0:18 offset1:19
	v_add_f64 v[144:145], v[144:145], -v[152:153]
	;; [unrolled: 8-line block ×38, first 2 shown]
	s_waitcnt lgkmcnt(0)
	v_mul_f64 v[152:153], v[188:189], v[154:155]
	v_fma_f64 v[152:153], v[186:187], v[184:185], -v[152:153]
	v_mul_f64 v[186:187], v[186:187], v[154:155]
	v_fmac_f64_e32 v[186:187], v[188:189], v[184:185]
	v_add_f64 v[180:181], v[180:181], -v[152:153]
	v_add_f64 v[182:183], v[182:183], -v[186:187]
	v_mov_b64_e32 v[152:153], v[184:185]
.LBB91_64:
	s_or_b64 exec, exec, s[2:3]
	v_cmp_eq_u32_e32 vcc, 7, v226
	s_waitcnt vmcnt(63) expcnt(7) lgkmcnt(15)
	s_barrier
	s_and_saveexec_b64 s[4:5], vcc
	s_cbranch_execz .LBB91_71
; %bb.65:
	ds_write2_b64 v224, v[148:149], v[150:151] offset1:1
	ds_write2_b64 v225, v[144:145], v[146:147] offset0:16 offset1:17
	ds_write2_b64 v225, v[140:141], v[142:143] offset0:18 offset1:19
	;; [unrolled: 1-line block ×6, first 2 shown]
	s_waitcnt vmcnt(62)
	ds_write2_b64 v225, v[120:121], v[122:123] offset0:28 offset1:29
	s_waitcnt vmcnt(61)
	ds_write2_b64 v225, v[116:117], v[118:119] offset0:30 offset1:31
	;; [unrolled: 2-line block ×30, first 2 shown]
	ds_write2_b64 v225, v[0:1], v[2:3] offset0:88 offset1:89
	s_waitcnt vmcnt(14)
	ds_write2_b64 v225, v[180:181], v[182:183] offset0:90 offset1:91
	ds_read2_b64 v[184:187], v224 offset1:1
	s_waitcnt lgkmcnt(0)
	v_cmp_neq_f64_e32 vcc, 0, v[184:185]
	v_cmp_neq_f64_e64 s[2:3], 0, v[186:187]
	s_or_b64 s[2:3], vcc, s[2:3]
	s_and_b64 exec, exec, s[2:3]
	s_cbranch_execz .LBB91_71
; %bb.66:
	v_cmp_ngt_f64_e64 s[2:3], |v[184:185]|, |v[186:187]|
                                        ; implicit-def: $vgpr188_vgpr189
	s_and_saveexec_b64 s[10:11], s[2:3]
	s_xor_b64 s[2:3], exec, s[10:11]
                                        ; implicit-def: $vgpr190_vgpr191
	s_cbranch_execz .LBB91_68
; %bb.67:
	v_div_scale_f64 v[188:189], s[10:11], v[186:187], v[186:187], v[184:185]
	v_rcp_f64_e32 v[190:191], v[188:189]
	v_div_scale_f64 v[192:193], vcc, v[184:185], v[186:187], v[184:185]
	v_fma_f64 v[194:195], -v[188:189], v[190:191], 1.0
	v_fmac_f64_e32 v[190:191], v[190:191], v[194:195]
	v_fma_f64 v[194:195], -v[188:189], v[190:191], 1.0
	v_fmac_f64_e32 v[190:191], v[190:191], v[194:195]
	v_mul_f64 v[194:195], v[192:193], v[190:191]
	v_fma_f64 v[188:189], -v[188:189], v[194:195], v[192:193]
	v_div_fmas_f64 v[188:189], v[188:189], v[190:191], v[194:195]
	v_div_fixup_f64 v[188:189], v[188:189], v[186:187], v[184:185]
	v_fmac_f64_e32 v[186:187], v[184:185], v[188:189]
	v_div_scale_f64 v[184:185], s[10:11], v[186:187], v[186:187], 1.0
	v_rcp_f64_e32 v[190:191], v[184:185]
	s_nop 0
	v_fma_f64 v[192:193], -v[184:185], v[190:191], 1.0
	v_fmac_f64_e32 v[190:191], v[190:191], v[192:193]
	v_fma_f64 v[192:193], -v[184:185], v[190:191], 1.0
	v_fmac_f64_e32 v[190:191], v[190:191], v[192:193]
	v_div_scale_f64 v[192:193], vcc, 1.0, v[186:187], 1.0
	v_mul_f64 v[194:195], v[192:193], v[190:191]
	v_fma_f64 v[184:185], -v[184:185], v[194:195], v[192:193]
	s_nop 1
	v_div_fmas_f64 v[184:185], v[184:185], v[190:191], v[194:195]
	v_div_fixup_f64 v[190:191], v[184:185], v[186:187], 1.0
	v_mul_f64 v[188:189], v[188:189], v[190:191]
	v_xor_b32_e32 v191, 0x80000000, v191
                                        ; implicit-def: $vgpr184_vgpr185
.LBB91_68:
	s_andn2_saveexec_b64 s[2:3], s[2:3]
	s_cbranch_execz .LBB91_70
; %bb.69:
	v_div_scale_f64 v[188:189], s[10:11], v[184:185], v[184:185], v[186:187]
	v_rcp_f64_e32 v[190:191], v[188:189]
	v_div_scale_f64 v[192:193], vcc, v[186:187], v[184:185], v[186:187]
	v_fma_f64 v[194:195], -v[188:189], v[190:191], 1.0
	v_fmac_f64_e32 v[190:191], v[190:191], v[194:195]
	v_fma_f64 v[194:195], -v[188:189], v[190:191], 1.0
	v_fmac_f64_e32 v[190:191], v[190:191], v[194:195]
	v_mul_f64 v[194:195], v[192:193], v[190:191]
	v_fma_f64 v[188:189], -v[188:189], v[194:195], v[192:193]
	v_div_fmas_f64 v[188:189], v[188:189], v[190:191], v[194:195]
	v_div_fixup_f64 v[190:191], v[188:189], v[184:185], v[186:187]
	v_fmac_f64_e32 v[184:185], v[186:187], v[190:191]
	v_div_scale_f64 v[186:187], s[10:11], v[184:185], v[184:185], 1.0
	v_rcp_f64_e32 v[188:189], v[186:187]
	s_nop 0
	v_fma_f64 v[192:193], -v[186:187], v[188:189], 1.0
	v_fmac_f64_e32 v[188:189], v[188:189], v[192:193]
	v_fma_f64 v[192:193], -v[186:187], v[188:189], 1.0
	v_fmac_f64_e32 v[188:189], v[188:189], v[192:193]
	v_div_scale_f64 v[192:193], vcc, 1.0, v[184:185], 1.0
	v_mul_f64 v[194:195], v[192:193], v[188:189]
	v_fma_f64 v[186:187], -v[186:187], v[194:195], v[192:193]
	s_nop 1
	v_div_fmas_f64 v[186:187], v[186:187], v[188:189], v[194:195]
	v_div_fixup_f64 v[188:189], v[186:187], v[184:185], 1.0
	v_mul_f64 v[190:191], v[190:191], -v[188:189]
.LBB91_70:
	s_or_b64 exec, exec, s[2:3]
	ds_write2_b64 v224, v[188:189], v[190:191] offset1:1
.LBB91_71:
	s_or_b64 exec, exec, s[4:5]
	s_waitcnt lgkmcnt(0)
	s_barrier
	ds_read2_b64 v[184:187], v224 offset1:1
	v_cmp_lt_u32_e32 vcc, 7, v226
	s_waitcnt lgkmcnt(0)
	scratch_store_dwordx4 off, v[184:187], off offset:392 ; 16-byte Folded Spill
	s_and_saveexec_b64 s[2:3], vcc
	s_cbranch_execz .LBB91_73
; %bb.72:
	scratch_load_dwordx4 v[186:189], off, off offset:392 ; 16-byte Folded Reload
	s_waitcnt vmcnt(0)
	v_mul_f64 v[184:185], v[188:189], v[150:151]
	v_mul_f64 v[150:151], v[186:187], v[150:151]
	v_fma_f64 v[184:185], v[186:187], v[148:149], -v[184:185]
	v_fmac_f64_e32 v[150:151], v[188:189], v[148:149]
	ds_read2_b64 v[186:189], v225 offset0:16 offset1:17
	s_waitcnt lgkmcnt(0)
	v_mul_f64 v[148:149], v[188:189], v[150:151]
	v_fma_f64 v[148:149], v[186:187], v[184:185], -v[148:149]
	v_mul_f64 v[186:187], v[186:187], v[150:151]
	v_fmac_f64_e32 v[186:187], v[188:189], v[184:185]
	v_add_f64 v[146:147], v[146:147], -v[186:187]
	ds_read2_b64 v[186:189], v225 offset0:18 offset1:19
	v_add_f64 v[144:145], v[144:145], -v[148:149]
	s_waitcnt lgkmcnt(0)
	v_mul_f64 v[148:149], v[188:189], v[150:151]
	v_fma_f64 v[148:149], v[186:187], v[184:185], -v[148:149]
	v_mul_f64 v[186:187], v[186:187], v[150:151]
	v_fmac_f64_e32 v[186:187], v[188:189], v[184:185]
	v_add_f64 v[142:143], v[142:143], -v[186:187]
	ds_read2_b64 v[186:189], v225 offset0:20 offset1:21
	v_add_f64 v[140:141], v[140:141], -v[148:149]
	s_waitcnt lgkmcnt(0)
	v_mul_f64 v[148:149], v[188:189], v[150:151]
	v_fma_f64 v[148:149], v[186:187], v[184:185], -v[148:149]
	v_mul_f64 v[186:187], v[186:187], v[150:151]
	v_fmac_f64_e32 v[186:187], v[188:189], v[184:185]
	v_add_f64 v[138:139], v[138:139], -v[186:187]
	ds_read2_b64 v[186:189], v225 offset0:22 offset1:23
	v_add_f64 v[136:137], v[136:137], -v[148:149]
	s_waitcnt lgkmcnt(0)
	v_mul_f64 v[148:149], v[188:189], v[150:151]
	v_fma_f64 v[148:149], v[186:187], v[184:185], -v[148:149]
	v_mul_f64 v[186:187], v[186:187], v[150:151]
	v_fmac_f64_e32 v[186:187], v[188:189], v[184:185]
	v_add_f64 v[134:135], v[134:135], -v[186:187]
	ds_read2_b64 v[186:189], v225 offset0:24 offset1:25
	v_add_f64 v[132:133], v[132:133], -v[148:149]
	s_waitcnt lgkmcnt(0)
	v_mul_f64 v[148:149], v[188:189], v[150:151]
	v_fma_f64 v[148:149], v[186:187], v[184:185], -v[148:149]
	v_mul_f64 v[186:187], v[186:187], v[150:151]
	v_fmac_f64_e32 v[186:187], v[188:189], v[184:185]
	v_add_f64 v[130:131], v[130:131], -v[186:187]
	ds_read2_b64 v[186:189], v225 offset0:26 offset1:27
	v_add_f64 v[128:129], v[128:129], -v[148:149]
	s_waitcnt lgkmcnt(0)
	v_mul_f64 v[148:149], v[188:189], v[150:151]
	v_fma_f64 v[148:149], v[186:187], v[184:185], -v[148:149]
	v_mul_f64 v[186:187], v[186:187], v[150:151]
	v_fmac_f64_e32 v[186:187], v[188:189], v[184:185]
	v_add_f64 v[126:127], v[126:127], -v[186:187]
	ds_read2_b64 v[186:189], v225 offset0:28 offset1:29
	v_add_f64 v[124:125], v[124:125], -v[148:149]
	s_waitcnt lgkmcnt(0)
	v_mul_f64 v[148:149], v[188:189], v[150:151]
	v_fma_f64 v[148:149], v[186:187], v[184:185], -v[148:149]
	v_mul_f64 v[186:187], v[186:187], v[150:151]
	v_fmac_f64_e32 v[186:187], v[188:189], v[184:185]
	v_add_f64 v[122:123], v[122:123], -v[186:187]
	ds_read2_b64 v[186:189], v225 offset0:30 offset1:31
	v_add_f64 v[120:121], v[120:121], -v[148:149]
	s_waitcnt lgkmcnt(0)
	v_mul_f64 v[148:149], v[188:189], v[150:151]
	v_fma_f64 v[148:149], v[186:187], v[184:185], -v[148:149]
	v_mul_f64 v[186:187], v[186:187], v[150:151]
	v_fmac_f64_e32 v[186:187], v[188:189], v[184:185]
	v_add_f64 v[118:119], v[118:119], -v[186:187]
	ds_read2_b64 v[186:189], v225 offset0:32 offset1:33
	v_add_f64 v[116:117], v[116:117], -v[148:149]
	s_waitcnt lgkmcnt(0)
	v_mul_f64 v[148:149], v[188:189], v[150:151]
	v_fma_f64 v[148:149], v[186:187], v[184:185], -v[148:149]
	v_mul_f64 v[186:187], v[186:187], v[150:151]
	v_fmac_f64_e32 v[186:187], v[188:189], v[184:185]
	v_add_f64 v[114:115], v[114:115], -v[186:187]
	ds_read2_b64 v[186:189], v225 offset0:34 offset1:35
	v_add_f64 v[112:113], v[112:113], -v[148:149]
	s_waitcnt lgkmcnt(0)
	v_mul_f64 v[148:149], v[188:189], v[150:151]
	v_fma_f64 v[148:149], v[186:187], v[184:185], -v[148:149]
	v_mul_f64 v[186:187], v[186:187], v[150:151]
	v_fmac_f64_e32 v[186:187], v[188:189], v[184:185]
	v_add_f64 v[110:111], v[110:111], -v[186:187]
	ds_read2_b64 v[186:189], v225 offset0:36 offset1:37
	v_add_f64 v[108:109], v[108:109], -v[148:149]
	s_waitcnt lgkmcnt(0)
	v_mul_f64 v[148:149], v[188:189], v[150:151]
	v_fma_f64 v[148:149], v[186:187], v[184:185], -v[148:149]
	v_mul_f64 v[186:187], v[186:187], v[150:151]
	v_fmac_f64_e32 v[186:187], v[188:189], v[184:185]
	v_add_f64 v[106:107], v[106:107], -v[186:187]
	ds_read2_b64 v[186:189], v225 offset0:38 offset1:39
	v_add_f64 v[104:105], v[104:105], -v[148:149]
	s_waitcnt lgkmcnt(0)
	v_mul_f64 v[148:149], v[188:189], v[150:151]
	v_fma_f64 v[148:149], v[186:187], v[184:185], -v[148:149]
	v_mul_f64 v[186:187], v[186:187], v[150:151]
	v_fmac_f64_e32 v[186:187], v[188:189], v[184:185]
	v_add_f64 v[102:103], v[102:103], -v[186:187]
	ds_read2_b64 v[186:189], v225 offset0:40 offset1:41
	v_add_f64 v[100:101], v[100:101], -v[148:149]
	s_waitcnt lgkmcnt(0)
	v_mul_f64 v[148:149], v[188:189], v[150:151]
	v_fma_f64 v[148:149], v[186:187], v[184:185], -v[148:149]
	v_mul_f64 v[186:187], v[186:187], v[150:151]
	v_fmac_f64_e32 v[186:187], v[188:189], v[184:185]
	v_add_f64 v[98:99], v[98:99], -v[186:187]
	ds_read2_b64 v[186:189], v225 offset0:42 offset1:43
	v_add_f64 v[96:97], v[96:97], -v[148:149]
	s_waitcnt lgkmcnt(0)
	v_mul_f64 v[148:149], v[188:189], v[150:151]
	v_fma_f64 v[148:149], v[186:187], v[184:185], -v[148:149]
	v_mul_f64 v[186:187], v[186:187], v[150:151]
	v_fmac_f64_e32 v[186:187], v[188:189], v[184:185]
	v_add_f64 v[94:95], v[94:95], -v[186:187]
	ds_read2_b64 v[186:189], v225 offset0:44 offset1:45
	v_add_f64 v[92:93], v[92:93], -v[148:149]
	s_waitcnt lgkmcnt(0)
	v_mul_f64 v[148:149], v[188:189], v[150:151]
	v_fma_f64 v[148:149], v[186:187], v[184:185], -v[148:149]
	v_mul_f64 v[186:187], v[186:187], v[150:151]
	v_fmac_f64_e32 v[186:187], v[188:189], v[184:185]
	v_add_f64 v[90:91], v[90:91], -v[186:187]
	ds_read2_b64 v[186:189], v225 offset0:46 offset1:47
	v_add_f64 v[88:89], v[88:89], -v[148:149]
	s_waitcnt lgkmcnt(0)
	v_mul_f64 v[148:149], v[188:189], v[150:151]
	v_fma_f64 v[148:149], v[186:187], v[184:185], -v[148:149]
	v_mul_f64 v[186:187], v[186:187], v[150:151]
	v_fmac_f64_e32 v[186:187], v[188:189], v[184:185]
	v_add_f64 v[86:87], v[86:87], -v[186:187]
	ds_read2_b64 v[186:189], v225 offset0:48 offset1:49
	v_add_f64 v[84:85], v[84:85], -v[148:149]
	s_waitcnt lgkmcnt(0)
	v_mul_f64 v[148:149], v[188:189], v[150:151]
	v_fma_f64 v[148:149], v[186:187], v[184:185], -v[148:149]
	v_mul_f64 v[186:187], v[186:187], v[150:151]
	v_fmac_f64_e32 v[186:187], v[188:189], v[184:185]
	v_add_f64 v[82:83], v[82:83], -v[186:187]
	ds_read2_b64 v[186:189], v225 offset0:50 offset1:51
	v_add_f64 v[80:81], v[80:81], -v[148:149]
	s_waitcnt lgkmcnt(0)
	v_mul_f64 v[148:149], v[188:189], v[150:151]
	v_fma_f64 v[148:149], v[186:187], v[184:185], -v[148:149]
	v_mul_f64 v[186:187], v[186:187], v[150:151]
	v_fmac_f64_e32 v[186:187], v[188:189], v[184:185]
	v_add_f64 v[78:79], v[78:79], -v[186:187]
	ds_read2_b64 v[186:189], v225 offset0:52 offset1:53
	v_add_f64 v[76:77], v[76:77], -v[148:149]
	s_waitcnt lgkmcnt(0)
	v_mul_f64 v[148:149], v[188:189], v[150:151]
	v_fma_f64 v[148:149], v[186:187], v[184:185], -v[148:149]
	v_mul_f64 v[186:187], v[186:187], v[150:151]
	v_fmac_f64_e32 v[186:187], v[188:189], v[184:185]
	v_add_f64 v[74:75], v[74:75], -v[186:187]
	ds_read2_b64 v[186:189], v225 offset0:54 offset1:55
	v_add_f64 v[72:73], v[72:73], -v[148:149]
	s_waitcnt lgkmcnt(0)
	v_mul_f64 v[148:149], v[188:189], v[150:151]
	v_fma_f64 v[148:149], v[186:187], v[184:185], -v[148:149]
	v_mul_f64 v[186:187], v[186:187], v[150:151]
	v_fmac_f64_e32 v[186:187], v[188:189], v[184:185]
	v_add_f64 v[70:71], v[70:71], -v[186:187]
	ds_read2_b64 v[186:189], v225 offset0:56 offset1:57
	v_add_f64 v[68:69], v[68:69], -v[148:149]
	s_waitcnt lgkmcnt(0)
	v_mul_f64 v[148:149], v[188:189], v[150:151]
	v_fma_f64 v[148:149], v[186:187], v[184:185], -v[148:149]
	v_mul_f64 v[186:187], v[186:187], v[150:151]
	v_fmac_f64_e32 v[186:187], v[188:189], v[184:185]
	v_add_f64 v[66:67], v[66:67], -v[186:187]
	ds_read2_b64 v[186:189], v225 offset0:58 offset1:59
	v_add_f64 v[64:65], v[64:65], -v[148:149]
	s_waitcnt lgkmcnt(0)
	v_mul_f64 v[148:149], v[188:189], v[150:151]
	v_fma_f64 v[148:149], v[186:187], v[184:185], -v[148:149]
	v_mul_f64 v[186:187], v[186:187], v[150:151]
	v_fmac_f64_e32 v[186:187], v[188:189], v[184:185]
	v_add_f64 v[62:63], v[62:63], -v[186:187]
	ds_read2_b64 v[186:189], v225 offset0:60 offset1:61
	v_add_f64 v[60:61], v[60:61], -v[148:149]
	s_waitcnt lgkmcnt(0)
	v_mul_f64 v[148:149], v[188:189], v[150:151]
	v_fma_f64 v[148:149], v[186:187], v[184:185], -v[148:149]
	v_mul_f64 v[186:187], v[186:187], v[150:151]
	v_fmac_f64_e32 v[186:187], v[188:189], v[184:185]
	v_add_f64 v[58:59], v[58:59], -v[186:187]
	ds_read2_b64 v[186:189], v225 offset0:62 offset1:63
	v_add_f64 v[56:57], v[56:57], -v[148:149]
	s_waitcnt lgkmcnt(0)
	v_mul_f64 v[148:149], v[188:189], v[150:151]
	v_fma_f64 v[148:149], v[186:187], v[184:185], -v[148:149]
	v_mul_f64 v[186:187], v[186:187], v[150:151]
	v_fmac_f64_e32 v[186:187], v[188:189], v[184:185]
	v_add_f64 v[54:55], v[54:55], -v[186:187]
	ds_read2_b64 v[186:189], v225 offset0:64 offset1:65
	v_add_f64 v[52:53], v[52:53], -v[148:149]
	s_waitcnt lgkmcnt(0)
	v_mul_f64 v[148:149], v[188:189], v[150:151]
	v_fma_f64 v[148:149], v[186:187], v[184:185], -v[148:149]
	v_mul_f64 v[186:187], v[186:187], v[150:151]
	v_fmac_f64_e32 v[186:187], v[188:189], v[184:185]
	v_add_f64 v[50:51], v[50:51], -v[186:187]
	ds_read2_b64 v[186:189], v225 offset0:66 offset1:67
	v_add_f64 v[48:49], v[48:49], -v[148:149]
	s_waitcnt lgkmcnt(0)
	v_mul_f64 v[148:149], v[188:189], v[150:151]
	v_fma_f64 v[148:149], v[186:187], v[184:185], -v[148:149]
	v_mul_f64 v[186:187], v[186:187], v[150:151]
	v_fmac_f64_e32 v[186:187], v[188:189], v[184:185]
	v_add_f64 v[46:47], v[46:47], -v[186:187]
	ds_read2_b64 v[186:189], v225 offset0:68 offset1:69
	v_add_f64 v[44:45], v[44:45], -v[148:149]
	s_waitcnt lgkmcnt(0)
	v_mul_f64 v[148:149], v[188:189], v[150:151]
	v_fma_f64 v[148:149], v[186:187], v[184:185], -v[148:149]
	v_mul_f64 v[186:187], v[186:187], v[150:151]
	v_fmac_f64_e32 v[186:187], v[188:189], v[184:185]
	v_add_f64 v[42:43], v[42:43], -v[186:187]
	ds_read2_b64 v[186:189], v225 offset0:70 offset1:71
	v_add_f64 v[40:41], v[40:41], -v[148:149]
	s_waitcnt lgkmcnt(0)
	v_mul_f64 v[148:149], v[188:189], v[150:151]
	v_fma_f64 v[148:149], v[186:187], v[184:185], -v[148:149]
	v_mul_f64 v[186:187], v[186:187], v[150:151]
	v_fmac_f64_e32 v[186:187], v[188:189], v[184:185]
	v_add_f64 v[38:39], v[38:39], -v[186:187]
	ds_read2_b64 v[186:189], v225 offset0:72 offset1:73
	v_add_f64 v[36:37], v[36:37], -v[148:149]
	s_waitcnt lgkmcnt(0)
	v_mul_f64 v[148:149], v[188:189], v[150:151]
	v_fma_f64 v[148:149], v[186:187], v[184:185], -v[148:149]
	v_mul_f64 v[186:187], v[186:187], v[150:151]
	v_fmac_f64_e32 v[186:187], v[188:189], v[184:185]
	v_add_f64 v[34:35], v[34:35], -v[186:187]
	ds_read2_b64 v[186:189], v225 offset0:74 offset1:75
	v_add_f64 v[32:33], v[32:33], -v[148:149]
	s_waitcnt lgkmcnt(0)
	v_mul_f64 v[148:149], v[188:189], v[150:151]
	v_fma_f64 v[148:149], v[186:187], v[184:185], -v[148:149]
	v_mul_f64 v[186:187], v[186:187], v[150:151]
	v_fmac_f64_e32 v[186:187], v[188:189], v[184:185]
	v_add_f64 v[30:31], v[30:31], -v[186:187]
	ds_read2_b64 v[186:189], v225 offset0:76 offset1:77
	v_add_f64 v[28:29], v[28:29], -v[148:149]
	s_waitcnt lgkmcnt(0)
	v_mul_f64 v[148:149], v[188:189], v[150:151]
	v_fma_f64 v[148:149], v[186:187], v[184:185], -v[148:149]
	v_mul_f64 v[186:187], v[186:187], v[150:151]
	v_fmac_f64_e32 v[186:187], v[188:189], v[184:185]
	v_add_f64 v[26:27], v[26:27], -v[186:187]
	ds_read2_b64 v[186:189], v225 offset0:78 offset1:79
	v_add_f64 v[24:25], v[24:25], -v[148:149]
	s_waitcnt lgkmcnt(0)
	v_mul_f64 v[148:149], v[188:189], v[150:151]
	v_fma_f64 v[148:149], v[186:187], v[184:185], -v[148:149]
	v_mul_f64 v[186:187], v[186:187], v[150:151]
	v_fmac_f64_e32 v[186:187], v[188:189], v[184:185]
	v_add_f64 v[22:23], v[22:23], -v[186:187]
	ds_read2_b64 v[186:189], v225 offset0:80 offset1:81
	v_add_f64 v[20:21], v[20:21], -v[148:149]
	s_waitcnt lgkmcnt(0)
	v_mul_f64 v[148:149], v[188:189], v[150:151]
	v_fma_f64 v[148:149], v[186:187], v[184:185], -v[148:149]
	v_mul_f64 v[186:187], v[186:187], v[150:151]
	v_fmac_f64_e32 v[186:187], v[188:189], v[184:185]
	v_add_f64 v[18:19], v[18:19], -v[186:187]
	ds_read2_b64 v[186:189], v225 offset0:82 offset1:83
	v_add_f64 v[16:17], v[16:17], -v[148:149]
	s_waitcnt lgkmcnt(0)
	v_mul_f64 v[148:149], v[188:189], v[150:151]
	v_fma_f64 v[148:149], v[186:187], v[184:185], -v[148:149]
	v_mul_f64 v[186:187], v[186:187], v[150:151]
	v_fmac_f64_e32 v[186:187], v[188:189], v[184:185]
	v_add_f64 v[14:15], v[14:15], -v[186:187]
	ds_read2_b64 v[186:189], v225 offset0:84 offset1:85
	v_add_f64 v[12:13], v[12:13], -v[148:149]
	s_waitcnt lgkmcnt(0)
	v_mul_f64 v[148:149], v[188:189], v[150:151]
	v_fma_f64 v[148:149], v[186:187], v[184:185], -v[148:149]
	v_mul_f64 v[186:187], v[186:187], v[150:151]
	v_fmac_f64_e32 v[186:187], v[188:189], v[184:185]
	v_add_f64 v[10:11], v[10:11], -v[186:187]
	ds_read2_b64 v[186:189], v225 offset0:86 offset1:87
	v_add_f64 v[8:9], v[8:9], -v[148:149]
	s_waitcnt lgkmcnt(0)
	v_mul_f64 v[148:149], v[188:189], v[150:151]
	v_fma_f64 v[148:149], v[186:187], v[184:185], -v[148:149]
	v_mul_f64 v[186:187], v[186:187], v[150:151]
	v_fmac_f64_e32 v[186:187], v[188:189], v[184:185]
	v_add_f64 v[6:7], v[6:7], -v[186:187]
	ds_read2_b64 v[186:189], v225 offset0:88 offset1:89
	v_add_f64 v[4:5], v[4:5], -v[148:149]
	s_waitcnt lgkmcnt(0)
	v_mul_f64 v[148:149], v[188:189], v[150:151]
	v_fma_f64 v[148:149], v[186:187], v[184:185], -v[148:149]
	v_mul_f64 v[186:187], v[186:187], v[150:151]
	v_fmac_f64_e32 v[186:187], v[188:189], v[184:185]
	v_add_f64 v[2:3], v[2:3], -v[186:187]
	ds_read2_b64 v[186:189], v225 offset0:90 offset1:91
	v_add_f64 v[0:1], v[0:1], -v[148:149]
	s_waitcnt lgkmcnt(0)
	v_mul_f64 v[148:149], v[188:189], v[150:151]
	v_fma_f64 v[148:149], v[186:187], v[184:185], -v[148:149]
	v_mul_f64 v[186:187], v[186:187], v[150:151]
	v_fmac_f64_e32 v[186:187], v[188:189], v[184:185]
	v_add_f64 v[180:181], v[180:181], -v[148:149]
	v_add_f64 v[182:183], v[182:183], -v[186:187]
	v_mov_b64_e32 v[148:149], v[184:185]
.LBB91_73:
	s_or_b64 exec, exec, s[2:3]
	v_cmp_eq_u32_e32 vcc, 8, v226
	s_waitcnt vmcnt(63) expcnt(7) lgkmcnt(15)
	s_barrier
	s_and_saveexec_b64 s[4:5], vcc
	s_cbranch_execz .LBB91_80
; %bb.74:
	ds_write2_b64 v224, v[144:145], v[146:147] offset1:1
	ds_write2_b64 v225, v[140:141], v[142:143] offset0:18 offset1:19
	ds_write2_b64 v225, v[136:137], v[138:139] offset0:20 offset1:21
	;; [unrolled: 1-line block ×6, first 2 shown]
	s_waitcnt vmcnt(62)
	ds_write2_b64 v225, v[116:117], v[118:119] offset0:30 offset1:31
	s_waitcnt vmcnt(61)
	ds_write2_b64 v225, v[112:113], v[114:115] offset0:32 offset1:33
	;; [unrolled: 2-line block ×29, first 2 shown]
	ds_write2_b64 v225, v[0:1], v[2:3] offset0:88 offset1:89
	s_waitcnt vmcnt(15)
	ds_write2_b64 v225, v[180:181], v[182:183] offset0:90 offset1:91
	ds_read2_b64 v[184:187], v224 offset1:1
	s_waitcnt lgkmcnt(0)
	v_cmp_neq_f64_e32 vcc, 0, v[184:185]
	v_cmp_neq_f64_e64 s[2:3], 0, v[186:187]
	s_or_b64 s[2:3], vcc, s[2:3]
	s_and_b64 exec, exec, s[2:3]
	s_cbranch_execz .LBB91_80
; %bb.75:
	v_cmp_ngt_f64_e64 s[2:3], |v[184:185]|, |v[186:187]|
                                        ; implicit-def: $vgpr188_vgpr189
	s_and_saveexec_b64 s[10:11], s[2:3]
	s_xor_b64 s[2:3], exec, s[10:11]
                                        ; implicit-def: $vgpr190_vgpr191
	s_cbranch_execz .LBB91_77
; %bb.76:
	v_div_scale_f64 v[188:189], s[10:11], v[186:187], v[186:187], v[184:185]
	v_rcp_f64_e32 v[190:191], v[188:189]
	v_div_scale_f64 v[192:193], vcc, v[184:185], v[186:187], v[184:185]
	v_fma_f64 v[194:195], -v[188:189], v[190:191], 1.0
	v_fmac_f64_e32 v[190:191], v[190:191], v[194:195]
	v_fma_f64 v[194:195], -v[188:189], v[190:191], 1.0
	v_fmac_f64_e32 v[190:191], v[190:191], v[194:195]
	v_mul_f64 v[194:195], v[192:193], v[190:191]
	v_fma_f64 v[188:189], -v[188:189], v[194:195], v[192:193]
	v_div_fmas_f64 v[188:189], v[188:189], v[190:191], v[194:195]
	v_div_fixup_f64 v[188:189], v[188:189], v[186:187], v[184:185]
	v_fmac_f64_e32 v[186:187], v[184:185], v[188:189]
	v_div_scale_f64 v[184:185], s[10:11], v[186:187], v[186:187], 1.0
	v_rcp_f64_e32 v[190:191], v[184:185]
	s_nop 0
	v_fma_f64 v[192:193], -v[184:185], v[190:191], 1.0
	v_fmac_f64_e32 v[190:191], v[190:191], v[192:193]
	v_fma_f64 v[192:193], -v[184:185], v[190:191], 1.0
	v_fmac_f64_e32 v[190:191], v[190:191], v[192:193]
	v_div_scale_f64 v[192:193], vcc, 1.0, v[186:187], 1.0
	v_mul_f64 v[194:195], v[192:193], v[190:191]
	v_fma_f64 v[184:185], -v[184:185], v[194:195], v[192:193]
	s_nop 1
	v_div_fmas_f64 v[184:185], v[184:185], v[190:191], v[194:195]
	v_div_fixup_f64 v[190:191], v[184:185], v[186:187], 1.0
	v_mul_f64 v[188:189], v[188:189], v[190:191]
	v_xor_b32_e32 v191, 0x80000000, v191
                                        ; implicit-def: $vgpr184_vgpr185
.LBB91_77:
	s_andn2_saveexec_b64 s[2:3], s[2:3]
	s_cbranch_execz .LBB91_79
; %bb.78:
	v_div_scale_f64 v[188:189], s[10:11], v[184:185], v[184:185], v[186:187]
	v_rcp_f64_e32 v[190:191], v[188:189]
	v_div_scale_f64 v[192:193], vcc, v[186:187], v[184:185], v[186:187]
	v_fma_f64 v[194:195], -v[188:189], v[190:191], 1.0
	v_fmac_f64_e32 v[190:191], v[190:191], v[194:195]
	v_fma_f64 v[194:195], -v[188:189], v[190:191], 1.0
	v_fmac_f64_e32 v[190:191], v[190:191], v[194:195]
	v_mul_f64 v[194:195], v[192:193], v[190:191]
	v_fma_f64 v[188:189], -v[188:189], v[194:195], v[192:193]
	v_div_fmas_f64 v[188:189], v[188:189], v[190:191], v[194:195]
	v_div_fixup_f64 v[190:191], v[188:189], v[184:185], v[186:187]
	v_fmac_f64_e32 v[184:185], v[186:187], v[190:191]
	v_div_scale_f64 v[186:187], s[10:11], v[184:185], v[184:185], 1.0
	v_rcp_f64_e32 v[188:189], v[186:187]
	s_nop 0
	v_fma_f64 v[192:193], -v[186:187], v[188:189], 1.0
	v_fmac_f64_e32 v[188:189], v[188:189], v[192:193]
	v_fma_f64 v[192:193], -v[186:187], v[188:189], 1.0
	v_fmac_f64_e32 v[188:189], v[188:189], v[192:193]
	v_div_scale_f64 v[192:193], vcc, 1.0, v[184:185], 1.0
	v_mul_f64 v[194:195], v[192:193], v[188:189]
	v_fma_f64 v[186:187], -v[186:187], v[194:195], v[192:193]
	s_nop 1
	v_div_fmas_f64 v[186:187], v[186:187], v[188:189], v[194:195]
	v_div_fixup_f64 v[188:189], v[186:187], v[184:185], 1.0
	v_mul_f64 v[190:191], v[190:191], -v[188:189]
.LBB91_79:
	s_or_b64 exec, exec, s[2:3]
	ds_write2_b64 v224, v[188:189], v[190:191] offset1:1
.LBB91_80:
	s_or_b64 exec, exec, s[4:5]
	s_waitcnt lgkmcnt(0)
	s_barrier
	ds_read2_b64 v[184:187], v224 offset1:1
	v_cmp_lt_u32_e32 vcc, 8, v226
	s_waitcnt lgkmcnt(0)
	scratch_store_dwordx4 off, v[184:187], off offset:408 ; 16-byte Folded Spill
	s_and_saveexec_b64 s[2:3], vcc
	s_cbranch_execz .LBB91_82
; %bb.81:
	scratch_load_dwordx4 v[186:189], off, off offset:408 ; 16-byte Folded Reload
	s_waitcnt vmcnt(0)
	v_mul_f64 v[184:185], v[188:189], v[146:147]
	v_mul_f64 v[146:147], v[186:187], v[146:147]
	v_fma_f64 v[184:185], v[186:187], v[144:145], -v[184:185]
	v_fmac_f64_e32 v[146:147], v[188:189], v[144:145]
	ds_read2_b64 v[186:189], v225 offset0:18 offset1:19
	s_waitcnt lgkmcnt(0)
	v_mul_f64 v[144:145], v[188:189], v[146:147]
	v_fma_f64 v[144:145], v[186:187], v[184:185], -v[144:145]
	v_mul_f64 v[186:187], v[186:187], v[146:147]
	v_fmac_f64_e32 v[186:187], v[188:189], v[184:185]
	v_add_f64 v[142:143], v[142:143], -v[186:187]
	ds_read2_b64 v[186:189], v225 offset0:20 offset1:21
	v_add_f64 v[140:141], v[140:141], -v[144:145]
	s_waitcnt lgkmcnt(0)
	v_mul_f64 v[144:145], v[188:189], v[146:147]
	v_fma_f64 v[144:145], v[186:187], v[184:185], -v[144:145]
	v_mul_f64 v[186:187], v[186:187], v[146:147]
	v_fmac_f64_e32 v[186:187], v[188:189], v[184:185]
	v_add_f64 v[138:139], v[138:139], -v[186:187]
	ds_read2_b64 v[186:189], v225 offset0:22 offset1:23
	v_add_f64 v[136:137], v[136:137], -v[144:145]
	s_waitcnt lgkmcnt(0)
	v_mul_f64 v[144:145], v[188:189], v[146:147]
	v_fma_f64 v[144:145], v[186:187], v[184:185], -v[144:145]
	v_mul_f64 v[186:187], v[186:187], v[146:147]
	v_fmac_f64_e32 v[186:187], v[188:189], v[184:185]
	v_add_f64 v[134:135], v[134:135], -v[186:187]
	ds_read2_b64 v[186:189], v225 offset0:24 offset1:25
	v_add_f64 v[132:133], v[132:133], -v[144:145]
	s_waitcnt lgkmcnt(0)
	v_mul_f64 v[144:145], v[188:189], v[146:147]
	v_fma_f64 v[144:145], v[186:187], v[184:185], -v[144:145]
	v_mul_f64 v[186:187], v[186:187], v[146:147]
	v_fmac_f64_e32 v[186:187], v[188:189], v[184:185]
	v_add_f64 v[130:131], v[130:131], -v[186:187]
	ds_read2_b64 v[186:189], v225 offset0:26 offset1:27
	v_add_f64 v[128:129], v[128:129], -v[144:145]
	s_waitcnt lgkmcnt(0)
	v_mul_f64 v[144:145], v[188:189], v[146:147]
	v_fma_f64 v[144:145], v[186:187], v[184:185], -v[144:145]
	v_mul_f64 v[186:187], v[186:187], v[146:147]
	v_fmac_f64_e32 v[186:187], v[188:189], v[184:185]
	v_add_f64 v[126:127], v[126:127], -v[186:187]
	ds_read2_b64 v[186:189], v225 offset0:28 offset1:29
	v_add_f64 v[124:125], v[124:125], -v[144:145]
	s_waitcnt lgkmcnt(0)
	v_mul_f64 v[144:145], v[188:189], v[146:147]
	v_fma_f64 v[144:145], v[186:187], v[184:185], -v[144:145]
	v_mul_f64 v[186:187], v[186:187], v[146:147]
	v_fmac_f64_e32 v[186:187], v[188:189], v[184:185]
	v_add_f64 v[122:123], v[122:123], -v[186:187]
	ds_read2_b64 v[186:189], v225 offset0:30 offset1:31
	v_add_f64 v[120:121], v[120:121], -v[144:145]
	s_waitcnt lgkmcnt(0)
	v_mul_f64 v[144:145], v[188:189], v[146:147]
	v_fma_f64 v[144:145], v[186:187], v[184:185], -v[144:145]
	v_mul_f64 v[186:187], v[186:187], v[146:147]
	v_fmac_f64_e32 v[186:187], v[188:189], v[184:185]
	v_add_f64 v[118:119], v[118:119], -v[186:187]
	ds_read2_b64 v[186:189], v225 offset0:32 offset1:33
	v_add_f64 v[116:117], v[116:117], -v[144:145]
	s_waitcnt lgkmcnt(0)
	v_mul_f64 v[144:145], v[188:189], v[146:147]
	v_fma_f64 v[144:145], v[186:187], v[184:185], -v[144:145]
	v_mul_f64 v[186:187], v[186:187], v[146:147]
	v_fmac_f64_e32 v[186:187], v[188:189], v[184:185]
	v_add_f64 v[114:115], v[114:115], -v[186:187]
	ds_read2_b64 v[186:189], v225 offset0:34 offset1:35
	v_add_f64 v[112:113], v[112:113], -v[144:145]
	s_waitcnt lgkmcnt(0)
	v_mul_f64 v[144:145], v[188:189], v[146:147]
	v_fma_f64 v[144:145], v[186:187], v[184:185], -v[144:145]
	v_mul_f64 v[186:187], v[186:187], v[146:147]
	v_fmac_f64_e32 v[186:187], v[188:189], v[184:185]
	v_add_f64 v[110:111], v[110:111], -v[186:187]
	ds_read2_b64 v[186:189], v225 offset0:36 offset1:37
	v_add_f64 v[108:109], v[108:109], -v[144:145]
	s_waitcnt lgkmcnt(0)
	v_mul_f64 v[144:145], v[188:189], v[146:147]
	v_fma_f64 v[144:145], v[186:187], v[184:185], -v[144:145]
	v_mul_f64 v[186:187], v[186:187], v[146:147]
	v_fmac_f64_e32 v[186:187], v[188:189], v[184:185]
	v_add_f64 v[106:107], v[106:107], -v[186:187]
	ds_read2_b64 v[186:189], v225 offset0:38 offset1:39
	v_add_f64 v[104:105], v[104:105], -v[144:145]
	s_waitcnt lgkmcnt(0)
	v_mul_f64 v[144:145], v[188:189], v[146:147]
	v_fma_f64 v[144:145], v[186:187], v[184:185], -v[144:145]
	v_mul_f64 v[186:187], v[186:187], v[146:147]
	v_fmac_f64_e32 v[186:187], v[188:189], v[184:185]
	v_add_f64 v[102:103], v[102:103], -v[186:187]
	ds_read2_b64 v[186:189], v225 offset0:40 offset1:41
	v_add_f64 v[100:101], v[100:101], -v[144:145]
	s_waitcnt lgkmcnt(0)
	v_mul_f64 v[144:145], v[188:189], v[146:147]
	v_fma_f64 v[144:145], v[186:187], v[184:185], -v[144:145]
	v_mul_f64 v[186:187], v[186:187], v[146:147]
	v_fmac_f64_e32 v[186:187], v[188:189], v[184:185]
	v_add_f64 v[98:99], v[98:99], -v[186:187]
	ds_read2_b64 v[186:189], v225 offset0:42 offset1:43
	v_add_f64 v[96:97], v[96:97], -v[144:145]
	s_waitcnt lgkmcnt(0)
	v_mul_f64 v[144:145], v[188:189], v[146:147]
	v_fma_f64 v[144:145], v[186:187], v[184:185], -v[144:145]
	v_mul_f64 v[186:187], v[186:187], v[146:147]
	v_fmac_f64_e32 v[186:187], v[188:189], v[184:185]
	v_add_f64 v[94:95], v[94:95], -v[186:187]
	ds_read2_b64 v[186:189], v225 offset0:44 offset1:45
	v_add_f64 v[92:93], v[92:93], -v[144:145]
	s_waitcnt lgkmcnt(0)
	v_mul_f64 v[144:145], v[188:189], v[146:147]
	v_fma_f64 v[144:145], v[186:187], v[184:185], -v[144:145]
	v_mul_f64 v[186:187], v[186:187], v[146:147]
	v_fmac_f64_e32 v[186:187], v[188:189], v[184:185]
	v_add_f64 v[90:91], v[90:91], -v[186:187]
	ds_read2_b64 v[186:189], v225 offset0:46 offset1:47
	v_add_f64 v[88:89], v[88:89], -v[144:145]
	s_waitcnt lgkmcnt(0)
	v_mul_f64 v[144:145], v[188:189], v[146:147]
	v_fma_f64 v[144:145], v[186:187], v[184:185], -v[144:145]
	v_mul_f64 v[186:187], v[186:187], v[146:147]
	v_fmac_f64_e32 v[186:187], v[188:189], v[184:185]
	v_add_f64 v[86:87], v[86:87], -v[186:187]
	ds_read2_b64 v[186:189], v225 offset0:48 offset1:49
	v_add_f64 v[84:85], v[84:85], -v[144:145]
	s_waitcnt lgkmcnt(0)
	v_mul_f64 v[144:145], v[188:189], v[146:147]
	v_fma_f64 v[144:145], v[186:187], v[184:185], -v[144:145]
	v_mul_f64 v[186:187], v[186:187], v[146:147]
	v_fmac_f64_e32 v[186:187], v[188:189], v[184:185]
	v_add_f64 v[82:83], v[82:83], -v[186:187]
	ds_read2_b64 v[186:189], v225 offset0:50 offset1:51
	v_add_f64 v[80:81], v[80:81], -v[144:145]
	s_waitcnt lgkmcnt(0)
	v_mul_f64 v[144:145], v[188:189], v[146:147]
	v_fma_f64 v[144:145], v[186:187], v[184:185], -v[144:145]
	v_mul_f64 v[186:187], v[186:187], v[146:147]
	v_fmac_f64_e32 v[186:187], v[188:189], v[184:185]
	v_add_f64 v[78:79], v[78:79], -v[186:187]
	ds_read2_b64 v[186:189], v225 offset0:52 offset1:53
	v_add_f64 v[76:77], v[76:77], -v[144:145]
	s_waitcnt lgkmcnt(0)
	v_mul_f64 v[144:145], v[188:189], v[146:147]
	v_fma_f64 v[144:145], v[186:187], v[184:185], -v[144:145]
	v_mul_f64 v[186:187], v[186:187], v[146:147]
	v_fmac_f64_e32 v[186:187], v[188:189], v[184:185]
	v_add_f64 v[74:75], v[74:75], -v[186:187]
	ds_read2_b64 v[186:189], v225 offset0:54 offset1:55
	v_add_f64 v[72:73], v[72:73], -v[144:145]
	s_waitcnt lgkmcnt(0)
	v_mul_f64 v[144:145], v[188:189], v[146:147]
	v_fma_f64 v[144:145], v[186:187], v[184:185], -v[144:145]
	v_mul_f64 v[186:187], v[186:187], v[146:147]
	v_fmac_f64_e32 v[186:187], v[188:189], v[184:185]
	v_add_f64 v[70:71], v[70:71], -v[186:187]
	ds_read2_b64 v[186:189], v225 offset0:56 offset1:57
	v_add_f64 v[68:69], v[68:69], -v[144:145]
	s_waitcnt lgkmcnt(0)
	v_mul_f64 v[144:145], v[188:189], v[146:147]
	v_fma_f64 v[144:145], v[186:187], v[184:185], -v[144:145]
	v_mul_f64 v[186:187], v[186:187], v[146:147]
	v_fmac_f64_e32 v[186:187], v[188:189], v[184:185]
	v_add_f64 v[66:67], v[66:67], -v[186:187]
	ds_read2_b64 v[186:189], v225 offset0:58 offset1:59
	v_add_f64 v[64:65], v[64:65], -v[144:145]
	s_waitcnt lgkmcnt(0)
	v_mul_f64 v[144:145], v[188:189], v[146:147]
	v_fma_f64 v[144:145], v[186:187], v[184:185], -v[144:145]
	v_mul_f64 v[186:187], v[186:187], v[146:147]
	v_fmac_f64_e32 v[186:187], v[188:189], v[184:185]
	v_add_f64 v[62:63], v[62:63], -v[186:187]
	ds_read2_b64 v[186:189], v225 offset0:60 offset1:61
	v_add_f64 v[60:61], v[60:61], -v[144:145]
	s_waitcnt lgkmcnt(0)
	v_mul_f64 v[144:145], v[188:189], v[146:147]
	v_fma_f64 v[144:145], v[186:187], v[184:185], -v[144:145]
	v_mul_f64 v[186:187], v[186:187], v[146:147]
	v_fmac_f64_e32 v[186:187], v[188:189], v[184:185]
	v_add_f64 v[58:59], v[58:59], -v[186:187]
	ds_read2_b64 v[186:189], v225 offset0:62 offset1:63
	v_add_f64 v[56:57], v[56:57], -v[144:145]
	s_waitcnt lgkmcnt(0)
	v_mul_f64 v[144:145], v[188:189], v[146:147]
	v_fma_f64 v[144:145], v[186:187], v[184:185], -v[144:145]
	v_mul_f64 v[186:187], v[186:187], v[146:147]
	v_fmac_f64_e32 v[186:187], v[188:189], v[184:185]
	v_add_f64 v[54:55], v[54:55], -v[186:187]
	ds_read2_b64 v[186:189], v225 offset0:64 offset1:65
	v_add_f64 v[52:53], v[52:53], -v[144:145]
	s_waitcnt lgkmcnt(0)
	v_mul_f64 v[144:145], v[188:189], v[146:147]
	v_fma_f64 v[144:145], v[186:187], v[184:185], -v[144:145]
	v_mul_f64 v[186:187], v[186:187], v[146:147]
	v_fmac_f64_e32 v[186:187], v[188:189], v[184:185]
	v_add_f64 v[50:51], v[50:51], -v[186:187]
	ds_read2_b64 v[186:189], v225 offset0:66 offset1:67
	v_add_f64 v[48:49], v[48:49], -v[144:145]
	s_waitcnt lgkmcnt(0)
	v_mul_f64 v[144:145], v[188:189], v[146:147]
	v_fma_f64 v[144:145], v[186:187], v[184:185], -v[144:145]
	v_mul_f64 v[186:187], v[186:187], v[146:147]
	v_fmac_f64_e32 v[186:187], v[188:189], v[184:185]
	v_add_f64 v[46:47], v[46:47], -v[186:187]
	ds_read2_b64 v[186:189], v225 offset0:68 offset1:69
	v_add_f64 v[44:45], v[44:45], -v[144:145]
	s_waitcnt lgkmcnt(0)
	v_mul_f64 v[144:145], v[188:189], v[146:147]
	v_fma_f64 v[144:145], v[186:187], v[184:185], -v[144:145]
	v_mul_f64 v[186:187], v[186:187], v[146:147]
	v_fmac_f64_e32 v[186:187], v[188:189], v[184:185]
	v_add_f64 v[42:43], v[42:43], -v[186:187]
	ds_read2_b64 v[186:189], v225 offset0:70 offset1:71
	v_add_f64 v[40:41], v[40:41], -v[144:145]
	s_waitcnt lgkmcnt(0)
	v_mul_f64 v[144:145], v[188:189], v[146:147]
	v_fma_f64 v[144:145], v[186:187], v[184:185], -v[144:145]
	v_mul_f64 v[186:187], v[186:187], v[146:147]
	v_fmac_f64_e32 v[186:187], v[188:189], v[184:185]
	v_add_f64 v[38:39], v[38:39], -v[186:187]
	ds_read2_b64 v[186:189], v225 offset0:72 offset1:73
	v_add_f64 v[36:37], v[36:37], -v[144:145]
	s_waitcnt lgkmcnt(0)
	v_mul_f64 v[144:145], v[188:189], v[146:147]
	v_fma_f64 v[144:145], v[186:187], v[184:185], -v[144:145]
	v_mul_f64 v[186:187], v[186:187], v[146:147]
	v_fmac_f64_e32 v[186:187], v[188:189], v[184:185]
	v_add_f64 v[34:35], v[34:35], -v[186:187]
	ds_read2_b64 v[186:189], v225 offset0:74 offset1:75
	v_add_f64 v[32:33], v[32:33], -v[144:145]
	s_waitcnt lgkmcnt(0)
	v_mul_f64 v[144:145], v[188:189], v[146:147]
	v_fma_f64 v[144:145], v[186:187], v[184:185], -v[144:145]
	v_mul_f64 v[186:187], v[186:187], v[146:147]
	v_fmac_f64_e32 v[186:187], v[188:189], v[184:185]
	v_add_f64 v[30:31], v[30:31], -v[186:187]
	ds_read2_b64 v[186:189], v225 offset0:76 offset1:77
	v_add_f64 v[28:29], v[28:29], -v[144:145]
	s_waitcnt lgkmcnt(0)
	v_mul_f64 v[144:145], v[188:189], v[146:147]
	v_fma_f64 v[144:145], v[186:187], v[184:185], -v[144:145]
	v_mul_f64 v[186:187], v[186:187], v[146:147]
	v_fmac_f64_e32 v[186:187], v[188:189], v[184:185]
	v_add_f64 v[26:27], v[26:27], -v[186:187]
	ds_read2_b64 v[186:189], v225 offset0:78 offset1:79
	v_add_f64 v[24:25], v[24:25], -v[144:145]
	s_waitcnt lgkmcnt(0)
	v_mul_f64 v[144:145], v[188:189], v[146:147]
	v_fma_f64 v[144:145], v[186:187], v[184:185], -v[144:145]
	v_mul_f64 v[186:187], v[186:187], v[146:147]
	v_fmac_f64_e32 v[186:187], v[188:189], v[184:185]
	v_add_f64 v[22:23], v[22:23], -v[186:187]
	ds_read2_b64 v[186:189], v225 offset0:80 offset1:81
	v_add_f64 v[20:21], v[20:21], -v[144:145]
	s_waitcnt lgkmcnt(0)
	v_mul_f64 v[144:145], v[188:189], v[146:147]
	v_fma_f64 v[144:145], v[186:187], v[184:185], -v[144:145]
	v_mul_f64 v[186:187], v[186:187], v[146:147]
	v_fmac_f64_e32 v[186:187], v[188:189], v[184:185]
	v_add_f64 v[18:19], v[18:19], -v[186:187]
	ds_read2_b64 v[186:189], v225 offset0:82 offset1:83
	v_add_f64 v[16:17], v[16:17], -v[144:145]
	s_waitcnt lgkmcnt(0)
	v_mul_f64 v[144:145], v[188:189], v[146:147]
	v_fma_f64 v[144:145], v[186:187], v[184:185], -v[144:145]
	v_mul_f64 v[186:187], v[186:187], v[146:147]
	v_fmac_f64_e32 v[186:187], v[188:189], v[184:185]
	v_add_f64 v[14:15], v[14:15], -v[186:187]
	ds_read2_b64 v[186:189], v225 offset0:84 offset1:85
	v_add_f64 v[12:13], v[12:13], -v[144:145]
	s_waitcnt lgkmcnt(0)
	v_mul_f64 v[144:145], v[188:189], v[146:147]
	v_fma_f64 v[144:145], v[186:187], v[184:185], -v[144:145]
	v_mul_f64 v[186:187], v[186:187], v[146:147]
	v_fmac_f64_e32 v[186:187], v[188:189], v[184:185]
	v_add_f64 v[10:11], v[10:11], -v[186:187]
	ds_read2_b64 v[186:189], v225 offset0:86 offset1:87
	v_add_f64 v[8:9], v[8:9], -v[144:145]
	s_waitcnt lgkmcnt(0)
	v_mul_f64 v[144:145], v[188:189], v[146:147]
	v_fma_f64 v[144:145], v[186:187], v[184:185], -v[144:145]
	v_mul_f64 v[186:187], v[186:187], v[146:147]
	v_fmac_f64_e32 v[186:187], v[188:189], v[184:185]
	v_add_f64 v[6:7], v[6:7], -v[186:187]
	ds_read2_b64 v[186:189], v225 offset0:88 offset1:89
	v_add_f64 v[4:5], v[4:5], -v[144:145]
	s_waitcnt lgkmcnt(0)
	v_mul_f64 v[144:145], v[188:189], v[146:147]
	v_fma_f64 v[144:145], v[186:187], v[184:185], -v[144:145]
	v_mul_f64 v[186:187], v[186:187], v[146:147]
	v_fmac_f64_e32 v[186:187], v[188:189], v[184:185]
	v_add_f64 v[2:3], v[2:3], -v[186:187]
	ds_read2_b64 v[186:189], v225 offset0:90 offset1:91
	v_add_f64 v[0:1], v[0:1], -v[144:145]
	s_waitcnt lgkmcnt(0)
	v_mul_f64 v[144:145], v[188:189], v[146:147]
	v_fma_f64 v[144:145], v[186:187], v[184:185], -v[144:145]
	v_mul_f64 v[186:187], v[186:187], v[146:147]
	v_fmac_f64_e32 v[186:187], v[188:189], v[184:185]
	v_add_f64 v[180:181], v[180:181], -v[144:145]
	v_add_f64 v[182:183], v[182:183], -v[186:187]
	v_mov_b64_e32 v[144:145], v[184:185]
.LBB91_82:
	s_or_b64 exec, exec, s[2:3]
	v_cmp_eq_u32_e32 vcc, 9, v226
	s_waitcnt vmcnt(63) expcnt(7) lgkmcnt(15)
	s_barrier
	s_and_saveexec_b64 s[4:5], vcc
	s_cbranch_execz .LBB91_89
; %bb.83:
	ds_write2_b64 v224, v[140:141], v[142:143] offset1:1
	ds_write2_b64 v225, v[136:137], v[138:139] offset0:20 offset1:21
	ds_write2_b64 v225, v[132:133], v[134:135] offset0:22 offset1:23
	;; [unrolled: 1-line block ×6, first 2 shown]
	s_waitcnt vmcnt(62)
	ds_write2_b64 v225, v[112:113], v[114:115] offset0:32 offset1:33
	s_waitcnt vmcnt(61)
	ds_write2_b64 v225, v[108:109], v[110:111] offset0:34 offset1:35
	;; [unrolled: 2-line block ×28, first 2 shown]
	ds_write2_b64 v225, v[0:1], v[2:3] offset0:88 offset1:89
	s_waitcnt vmcnt(16)
	ds_write2_b64 v225, v[180:181], v[182:183] offset0:90 offset1:91
	ds_read2_b64 v[184:187], v224 offset1:1
	s_waitcnt lgkmcnt(0)
	v_cmp_neq_f64_e32 vcc, 0, v[184:185]
	v_cmp_neq_f64_e64 s[2:3], 0, v[186:187]
	s_or_b64 s[2:3], vcc, s[2:3]
	s_and_b64 exec, exec, s[2:3]
	s_cbranch_execz .LBB91_89
; %bb.84:
	v_cmp_ngt_f64_e64 s[2:3], |v[184:185]|, |v[186:187]|
                                        ; implicit-def: $vgpr188_vgpr189
	s_and_saveexec_b64 s[10:11], s[2:3]
	s_xor_b64 s[2:3], exec, s[10:11]
                                        ; implicit-def: $vgpr190_vgpr191
	s_cbranch_execz .LBB91_86
; %bb.85:
	v_div_scale_f64 v[188:189], s[10:11], v[186:187], v[186:187], v[184:185]
	v_rcp_f64_e32 v[190:191], v[188:189]
	v_div_scale_f64 v[192:193], vcc, v[184:185], v[186:187], v[184:185]
	v_fma_f64 v[194:195], -v[188:189], v[190:191], 1.0
	v_fmac_f64_e32 v[190:191], v[190:191], v[194:195]
	v_fma_f64 v[194:195], -v[188:189], v[190:191], 1.0
	v_fmac_f64_e32 v[190:191], v[190:191], v[194:195]
	v_mul_f64 v[194:195], v[192:193], v[190:191]
	v_fma_f64 v[188:189], -v[188:189], v[194:195], v[192:193]
	v_div_fmas_f64 v[188:189], v[188:189], v[190:191], v[194:195]
	v_div_fixup_f64 v[188:189], v[188:189], v[186:187], v[184:185]
	v_fmac_f64_e32 v[186:187], v[184:185], v[188:189]
	v_div_scale_f64 v[184:185], s[10:11], v[186:187], v[186:187], 1.0
	v_rcp_f64_e32 v[190:191], v[184:185]
	s_nop 0
	v_fma_f64 v[192:193], -v[184:185], v[190:191], 1.0
	v_fmac_f64_e32 v[190:191], v[190:191], v[192:193]
	v_fma_f64 v[192:193], -v[184:185], v[190:191], 1.0
	v_fmac_f64_e32 v[190:191], v[190:191], v[192:193]
	v_div_scale_f64 v[192:193], vcc, 1.0, v[186:187], 1.0
	v_mul_f64 v[194:195], v[192:193], v[190:191]
	v_fma_f64 v[184:185], -v[184:185], v[194:195], v[192:193]
	s_nop 1
	v_div_fmas_f64 v[184:185], v[184:185], v[190:191], v[194:195]
	v_div_fixup_f64 v[190:191], v[184:185], v[186:187], 1.0
	v_mul_f64 v[188:189], v[188:189], v[190:191]
	v_xor_b32_e32 v191, 0x80000000, v191
                                        ; implicit-def: $vgpr184_vgpr185
.LBB91_86:
	s_andn2_saveexec_b64 s[2:3], s[2:3]
	s_cbranch_execz .LBB91_88
; %bb.87:
	v_div_scale_f64 v[188:189], s[10:11], v[184:185], v[184:185], v[186:187]
	v_rcp_f64_e32 v[190:191], v[188:189]
	v_div_scale_f64 v[192:193], vcc, v[186:187], v[184:185], v[186:187]
	v_fma_f64 v[194:195], -v[188:189], v[190:191], 1.0
	v_fmac_f64_e32 v[190:191], v[190:191], v[194:195]
	v_fma_f64 v[194:195], -v[188:189], v[190:191], 1.0
	v_fmac_f64_e32 v[190:191], v[190:191], v[194:195]
	v_mul_f64 v[194:195], v[192:193], v[190:191]
	v_fma_f64 v[188:189], -v[188:189], v[194:195], v[192:193]
	v_div_fmas_f64 v[188:189], v[188:189], v[190:191], v[194:195]
	v_div_fixup_f64 v[190:191], v[188:189], v[184:185], v[186:187]
	v_fmac_f64_e32 v[184:185], v[186:187], v[190:191]
	v_div_scale_f64 v[186:187], s[10:11], v[184:185], v[184:185], 1.0
	v_rcp_f64_e32 v[188:189], v[186:187]
	s_nop 0
	v_fma_f64 v[192:193], -v[186:187], v[188:189], 1.0
	v_fmac_f64_e32 v[188:189], v[188:189], v[192:193]
	v_fma_f64 v[192:193], -v[186:187], v[188:189], 1.0
	v_fmac_f64_e32 v[188:189], v[188:189], v[192:193]
	v_div_scale_f64 v[192:193], vcc, 1.0, v[184:185], 1.0
	v_mul_f64 v[194:195], v[192:193], v[188:189]
	v_fma_f64 v[186:187], -v[186:187], v[194:195], v[192:193]
	s_nop 1
	v_div_fmas_f64 v[186:187], v[186:187], v[188:189], v[194:195]
	v_div_fixup_f64 v[188:189], v[186:187], v[184:185], 1.0
	v_mul_f64 v[190:191], v[190:191], -v[188:189]
.LBB91_88:
	s_or_b64 exec, exec, s[2:3]
	ds_write2_b64 v224, v[188:189], v[190:191] offset1:1
.LBB91_89:
	s_or_b64 exec, exec, s[4:5]
	s_waitcnt lgkmcnt(0)
	s_barrier
	ds_read2_b64 v[184:187], v224 offset1:1
	v_cmp_lt_u32_e32 vcc, 9, v226
	s_waitcnt lgkmcnt(0)
	scratch_store_dwordx4 off, v[184:187], off offset:424 ; 16-byte Folded Spill
	s_and_saveexec_b64 s[2:3], vcc
	s_cbranch_execz .LBB91_91
; %bb.90:
	scratch_load_dwordx4 v[186:189], off, off offset:424 ; 16-byte Folded Reload
	s_waitcnt vmcnt(0)
	v_mul_f64 v[184:185], v[188:189], v[142:143]
	v_mul_f64 v[142:143], v[186:187], v[142:143]
	v_fma_f64 v[184:185], v[186:187], v[140:141], -v[184:185]
	v_fmac_f64_e32 v[142:143], v[188:189], v[140:141]
	ds_read2_b64 v[186:189], v225 offset0:20 offset1:21
	s_waitcnt lgkmcnt(0)
	v_mul_f64 v[140:141], v[188:189], v[142:143]
	v_fma_f64 v[140:141], v[186:187], v[184:185], -v[140:141]
	v_mul_f64 v[186:187], v[186:187], v[142:143]
	v_fmac_f64_e32 v[186:187], v[188:189], v[184:185]
	v_add_f64 v[138:139], v[138:139], -v[186:187]
	ds_read2_b64 v[186:189], v225 offset0:22 offset1:23
	v_add_f64 v[136:137], v[136:137], -v[140:141]
	s_waitcnt lgkmcnt(0)
	v_mul_f64 v[140:141], v[188:189], v[142:143]
	v_fma_f64 v[140:141], v[186:187], v[184:185], -v[140:141]
	v_mul_f64 v[186:187], v[186:187], v[142:143]
	v_fmac_f64_e32 v[186:187], v[188:189], v[184:185]
	v_add_f64 v[134:135], v[134:135], -v[186:187]
	ds_read2_b64 v[186:189], v225 offset0:24 offset1:25
	v_add_f64 v[132:133], v[132:133], -v[140:141]
	s_waitcnt lgkmcnt(0)
	v_mul_f64 v[140:141], v[188:189], v[142:143]
	v_fma_f64 v[140:141], v[186:187], v[184:185], -v[140:141]
	v_mul_f64 v[186:187], v[186:187], v[142:143]
	v_fmac_f64_e32 v[186:187], v[188:189], v[184:185]
	v_add_f64 v[130:131], v[130:131], -v[186:187]
	ds_read2_b64 v[186:189], v225 offset0:26 offset1:27
	v_add_f64 v[128:129], v[128:129], -v[140:141]
	s_waitcnt lgkmcnt(0)
	v_mul_f64 v[140:141], v[188:189], v[142:143]
	v_fma_f64 v[140:141], v[186:187], v[184:185], -v[140:141]
	v_mul_f64 v[186:187], v[186:187], v[142:143]
	v_fmac_f64_e32 v[186:187], v[188:189], v[184:185]
	v_add_f64 v[126:127], v[126:127], -v[186:187]
	ds_read2_b64 v[186:189], v225 offset0:28 offset1:29
	v_add_f64 v[124:125], v[124:125], -v[140:141]
	s_waitcnt lgkmcnt(0)
	v_mul_f64 v[140:141], v[188:189], v[142:143]
	v_fma_f64 v[140:141], v[186:187], v[184:185], -v[140:141]
	v_mul_f64 v[186:187], v[186:187], v[142:143]
	v_fmac_f64_e32 v[186:187], v[188:189], v[184:185]
	v_add_f64 v[122:123], v[122:123], -v[186:187]
	ds_read2_b64 v[186:189], v225 offset0:30 offset1:31
	v_add_f64 v[120:121], v[120:121], -v[140:141]
	s_waitcnt lgkmcnt(0)
	v_mul_f64 v[140:141], v[188:189], v[142:143]
	v_fma_f64 v[140:141], v[186:187], v[184:185], -v[140:141]
	v_mul_f64 v[186:187], v[186:187], v[142:143]
	v_fmac_f64_e32 v[186:187], v[188:189], v[184:185]
	v_add_f64 v[118:119], v[118:119], -v[186:187]
	ds_read2_b64 v[186:189], v225 offset0:32 offset1:33
	v_add_f64 v[116:117], v[116:117], -v[140:141]
	s_waitcnt lgkmcnt(0)
	v_mul_f64 v[140:141], v[188:189], v[142:143]
	v_fma_f64 v[140:141], v[186:187], v[184:185], -v[140:141]
	v_mul_f64 v[186:187], v[186:187], v[142:143]
	v_fmac_f64_e32 v[186:187], v[188:189], v[184:185]
	v_add_f64 v[114:115], v[114:115], -v[186:187]
	ds_read2_b64 v[186:189], v225 offset0:34 offset1:35
	v_add_f64 v[112:113], v[112:113], -v[140:141]
	s_waitcnt lgkmcnt(0)
	v_mul_f64 v[140:141], v[188:189], v[142:143]
	v_fma_f64 v[140:141], v[186:187], v[184:185], -v[140:141]
	v_mul_f64 v[186:187], v[186:187], v[142:143]
	v_fmac_f64_e32 v[186:187], v[188:189], v[184:185]
	v_add_f64 v[110:111], v[110:111], -v[186:187]
	ds_read2_b64 v[186:189], v225 offset0:36 offset1:37
	v_add_f64 v[108:109], v[108:109], -v[140:141]
	s_waitcnt lgkmcnt(0)
	v_mul_f64 v[140:141], v[188:189], v[142:143]
	v_fma_f64 v[140:141], v[186:187], v[184:185], -v[140:141]
	v_mul_f64 v[186:187], v[186:187], v[142:143]
	v_fmac_f64_e32 v[186:187], v[188:189], v[184:185]
	v_add_f64 v[106:107], v[106:107], -v[186:187]
	ds_read2_b64 v[186:189], v225 offset0:38 offset1:39
	v_add_f64 v[104:105], v[104:105], -v[140:141]
	s_waitcnt lgkmcnt(0)
	v_mul_f64 v[140:141], v[188:189], v[142:143]
	v_fma_f64 v[140:141], v[186:187], v[184:185], -v[140:141]
	v_mul_f64 v[186:187], v[186:187], v[142:143]
	v_fmac_f64_e32 v[186:187], v[188:189], v[184:185]
	v_add_f64 v[102:103], v[102:103], -v[186:187]
	ds_read2_b64 v[186:189], v225 offset0:40 offset1:41
	v_add_f64 v[100:101], v[100:101], -v[140:141]
	s_waitcnt lgkmcnt(0)
	v_mul_f64 v[140:141], v[188:189], v[142:143]
	v_fma_f64 v[140:141], v[186:187], v[184:185], -v[140:141]
	v_mul_f64 v[186:187], v[186:187], v[142:143]
	v_fmac_f64_e32 v[186:187], v[188:189], v[184:185]
	v_add_f64 v[98:99], v[98:99], -v[186:187]
	ds_read2_b64 v[186:189], v225 offset0:42 offset1:43
	v_add_f64 v[96:97], v[96:97], -v[140:141]
	s_waitcnt lgkmcnt(0)
	v_mul_f64 v[140:141], v[188:189], v[142:143]
	v_fma_f64 v[140:141], v[186:187], v[184:185], -v[140:141]
	v_mul_f64 v[186:187], v[186:187], v[142:143]
	v_fmac_f64_e32 v[186:187], v[188:189], v[184:185]
	v_add_f64 v[94:95], v[94:95], -v[186:187]
	ds_read2_b64 v[186:189], v225 offset0:44 offset1:45
	v_add_f64 v[92:93], v[92:93], -v[140:141]
	s_waitcnt lgkmcnt(0)
	v_mul_f64 v[140:141], v[188:189], v[142:143]
	v_fma_f64 v[140:141], v[186:187], v[184:185], -v[140:141]
	v_mul_f64 v[186:187], v[186:187], v[142:143]
	v_fmac_f64_e32 v[186:187], v[188:189], v[184:185]
	v_add_f64 v[90:91], v[90:91], -v[186:187]
	ds_read2_b64 v[186:189], v225 offset0:46 offset1:47
	v_add_f64 v[88:89], v[88:89], -v[140:141]
	s_waitcnt lgkmcnt(0)
	v_mul_f64 v[140:141], v[188:189], v[142:143]
	v_fma_f64 v[140:141], v[186:187], v[184:185], -v[140:141]
	v_mul_f64 v[186:187], v[186:187], v[142:143]
	v_fmac_f64_e32 v[186:187], v[188:189], v[184:185]
	v_add_f64 v[86:87], v[86:87], -v[186:187]
	ds_read2_b64 v[186:189], v225 offset0:48 offset1:49
	v_add_f64 v[84:85], v[84:85], -v[140:141]
	s_waitcnt lgkmcnt(0)
	v_mul_f64 v[140:141], v[188:189], v[142:143]
	v_fma_f64 v[140:141], v[186:187], v[184:185], -v[140:141]
	v_mul_f64 v[186:187], v[186:187], v[142:143]
	v_fmac_f64_e32 v[186:187], v[188:189], v[184:185]
	v_add_f64 v[82:83], v[82:83], -v[186:187]
	ds_read2_b64 v[186:189], v225 offset0:50 offset1:51
	v_add_f64 v[80:81], v[80:81], -v[140:141]
	s_waitcnt lgkmcnt(0)
	v_mul_f64 v[140:141], v[188:189], v[142:143]
	v_fma_f64 v[140:141], v[186:187], v[184:185], -v[140:141]
	v_mul_f64 v[186:187], v[186:187], v[142:143]
	v_fmac_f64_e32 v[186:187], v[188:189], v[184:185]
	v_add_f64 v[78:79], v[78:79], -v[186:187]
	ds_read2_b64 v[186:189], v225 offset0:52 offset1:53
	v_add_f64 v[76:77], v[76:77], -v[140:141]
	s_waitcnt lgkmcnt(0)
	v_mul_f64 v[140:141], v[188:189], v[142:143]
	v_fma_f64 v[140:141], v[186:187], v[184:185], -v[140:141]
	v_mul_f64 v[186:187], v[186:187], v[142:143]
	v_fmac_f64_e32 v[186:187], v[188:189], v[184:185]
	v_add_f64 v[74:75], v[74:75], -v[186:187]
	ds_read2_b64 v[186:189], v225 offset0:54 offset1:55
	v_add_f64 v[72:73], v[72:73], -v[140:141]
	s_waitcnt lgkmcnt(0)
	v_mul_f64 v[140:141], v[188:189], v[142:143]
	v_fma_f64 v[140:141], v[186:187], v[184:185], -v[140:141]
	v_mul_f64 v[186:187], v[186:187], v[142:143]
	v_fmac_f64_e32 v[186:187], v[188:189], v[184:185]
	v_add_f64 v[70:71], v[70:71], -v[186:187]
	ds_read2_b64 v[186:189], v225 offset0:56 offset1:57
	v_add_f64 v[68:69], v[68:69], -v[140:141]
	s_waitcnt lgkmcnt(0)
	v_mul_f64 v[140:141], v[188:189], v[142:143]
	v_fma_f64 v[140:141], v[186:187], v[184:185], -v[140:141]
	v_mul_f64 v[186:187], v[186:187], v[142:143]
	v_fmac_f64_e32 v[186:187], v[188:189], v[184:185]
	v_add_f64 v[66:67], v[66:67], -v[186:187]
	ds_read2_b64 v[186:189], v225 offset0:58 offset1:59
	v_add_f64 v[64:65], v[64:65], -v[140:141]
	s_waitcnt lgkmcnt(0)
	v_mul_f64 v[140:141], v[188:189], v[142:143]
	v_fma_f64 v[140:141], v[186:187], v[184:185], -v[140:141]
	v_mul_f64 v[186:187], v[186:187], v[142:143]
	v_fmac_f64_e32 v[186:187], v[188:189], v[184:185]
	v_add_f64 v[62:63], v[62:63], -v[186:187]
	ds_read2_b64 v[186:189], v225 offset0:60 offset1:61
	v_add_f64 v[60:61], v[60:61], -v[140:141]
	s_waitcnt lgkmcnt(0)
	v_mul_f64 v[140:141], v[188:189], v[142:143]
	v_fma_f64 v[140:141], v[186:187], v[184:185], -v[140:141]
	v_mul_f64 v[186:187], v[186:187], v[142:143]
	v_fmac_f64_e32 v[186:187], v[188:189], v[184:185]
	v_add_f64 v[58:59], v[58:59], -v[186:187]
	ds_read2_b64 v[186:189], v225 offset0:62 offset1:63
	v_add_f64 v[56:57], v[56:57], -v[140:141]
	s_waitcnt lgkmcnt(0)
	v_mul_f64 v[140:141], v[188:189], v[142:143]
	v_fma_f64 v[140:141], v[186:187], v[184:185], -v[140:141]
	v_mul_f64 v[186:187], v[186:187], v[142:143]
	v_fmac_f64_e32 v[186:187], v[188:189], v[184:185]
	v_add_f64 v[54:55], v[54:55], -v[186:187]
	ds_read2_b64 v[186:189], v225 offset0:64 offset1:65
	v_add_f64 v[52:53], v[52:53], -v[140:141]
	s_waitcnt lgkmcnt(0)
	v_mul_f64 v[140:141], v[188:189], v[142:143]
	v_fma_f64 v[140:141], v[186:187], v[184:185], -v[140:141]
	v_mul_f64 v[186:187], v[186:187], v[142:143]
	v_fmac_f64_e32 v[186:187], v[188:189], v[184:185]
	v_add_f64 v[50:51], v[50:51], -v[186:187]
	ds_read2_b64 v[186:189], v225 offset0:66 offset1:67
	v_add_f64 v[48:49], v[48:49], -v[140:141]
	s_waitcnt lgkmcnt(0)
	v_mul_f64 v[140:141], v[188:189], v[142:143]
	v_fma_f64 v[140:141], v[186:187], v[184:185], -v[140:141]
	v_mul_f64 v[186:187], v[186:187], v[142:143]
	v_fmac_f64_e32 v[186:187], v[188:189], v[184:185]
	v_add_f64 v[46:47], v[46:47], -v[186:187]
	ds_read2_b64 v[186:189], v225 offset0:68 offset1:69
	v_add_f64 v[44:45], v[44:45], -v[140:141]
	s_waitcnt lgkmcnt(0)
	v_mul_f64 v[140:141], v[188:189], v[142:143]
	v_fma_f64 v[140:141], v[186:187], v[184:185], -v[140:141]
	v_mul_f64 v[186:187], v[186:187], v[142:143]
	v_fmac_f64_e32 v[186:187], v[188:189], v[184:185]
	v_add_f64 v[42:43], v[42:43], -v[186:187]
	ds_read2_b64 v[186:189], v225 offset0:70 offset1:71
	v_add_f64 v[40:41], v[40:41], -v[140:141]
	s_waitcnt lgkmcnt(0)
	v_mul_f64 v[140:141], v[188:189], v[142:143]
	v_fma_f64 v[140:141], v[186:187], v[184:185], -v[140:141]
	v_mul_f64 v[186:187], v[186:187], v[142:143]
	v_fmac_f64_e32 v[186:187], v[188:189], v[184:185]
	v_add_f64 v[38:39], v[38:39], -v[186:187]
	ds_read2_b64 v[186:189], v225 offset0:72 offset1:73
	v_add_f64 v[36:37], v[36:37], -v[140:141]
	s_waitcnt lgkmcnt(0)
	v_mul_f64 v[140:141], v[188:189], v[142:143]
	v_fma_f64 v[140:141], v[186:187], v[184:185], -v[140:141]
	v_mul_f64 v[186:187], v[186:187], v[142:143]
	v_fmac_f64_e32 v[186:187], v[188:189], v[184:185]
	v_add_f64 v[34:35], v[34:35], -v[186:187]
	ds_read2_b64 v[186:189], v225 offset0:74 offset1:75
	v_add_f64 v[32:33], v[32:33], -v[140:141]
	s_waitcnt lgkmcnt(0)
	v_mul_f64 v[140:141], v[188:189], v[142:143]
	v_fma_f64 v[140:141], v[186:187], v[184:185], -v[140:141]
	v_mul_f64 v[186:187], v[186:187], v[142:143]
	v_fmac_f64_e32 v[186:187], v[188:189], v[184:185]
	v_add_f64 v[30:31], v[30:31], -v[186:187]
	ds_read2_b64 v[186:189], v225 offset0:76 offset1:77
	v_add_f64 v[28:29], v[28:29], -v[140:141]
	s_waitcnt lgkmcnt(0)
	v_mul_f64 v[140:141], v[188:189], v[142:143]
	v_fma_f64 v[140:141], v[186:187], v[184:185], -v[140:141]
	v_mul_f64 v[186:187], v[186:187], v[142:143]
	v_fmac_f64_e32 v[186:187], v[188:189], v[184:185]
	v_add_f64 v[26:27], v[26:27], -v[186:187]
	ds_read2_b64 v[186:189], v225 offset0:78 offset1:79
	v_add_f64 v[24:25], v[24:25], -v[140:141]
	s_waitcnt lgkmcnt(0)
	v_mul_f64 v[140:141], v[188:189], v[142:143]
	v_fma_f64 v[140:141], v[186:187], v[184:185], -v[140:141]
	v_mul_f64 v[186:187], v[186:187], v[142:143]
	v_fmac_f64_e32 v[186:187], v[188:189], v[184:185]
	v_add_f64 v[22:23], v[22:23], -v[186:187]
	ds_read2_b64 v[186:189], v225 offset0:80 offset1:81
	v_add_f64 v[20:21], v[20:21], -v[140:141]
	s_waitcnt lgkmcnt(0)
	v_mul_f64 v[140:141], v[188:189], v[142:143]
	v_fma_f64 v[140:141], v[186:187], v[184:185], -v[140:141]
	v_mul_f64 v[186:187], v[186:187], v[142:143]
	v_fmac_f64_e32 v[186:187], v[188:189], v[184:185]
	v_add_f64 v[18:19], v[18:19], -v[186:187]
	ds_read2_b64 v[186:189], v225 offset0:82 offset1:83
	v_add_f64 v[16:17], v[16:17], -v[140:141]
	s_waitcnt lgkmcnt(0)
	v_mul_f64 v[140:141], v[188:189], v[142:143]
	v_fma_f64 v[140:141], v[186:187], v[184:185], -v[140:141]
	v_mul_f64 v[186:187], v[186:187], v[142:143]
	v_fmac_f64_e32 v[186:187], v[188:189], v[184:185]
	v_add_f64 v[14:15], v[14:15], -v[186:187]
	ds_read2_b64 v[186:189], v225 offset0:84 offset1:85
	v_add_f64 v[12:13], v[12:13], -v[140:141]
	s_waitcnt lgkmcnt(0)
	v_mul_f64 v[140:141], v[188:189], v[142:143]
	v_fma_f64 v[140:141], v[186:187], v[184:185], -v[140:141]
	v_mul_f64 v[186:187], v[186:187], v[142:143]
	v_fmac_f64_e32 v[186:187], v[188:189], v[184:185]
	v_add_f64 v[10:11], v[10:11], -v[186:187]
	ds_read2_b64 v[186:189], v225 offset0:86 offset1:87
	v_add_f64 v[8:9], v[8:9], -v[140:141]
	s_waitcnt lgkmcnt(0)
	v_mul_f64 v[140:141], v[188:189], v[142:143]
	v_fma_f64 v[140:141], v[186:187], v[184:185], -v[140:141]
	v_mul_f64 v[186:187], v[186:187], v[142:143]
	v_fmac_f64_e32 v[186:187], v[188:189], v[184:185]
	v_add_f64 v[6:7], v[6:7], -v[186:187]
	ds_read2_b64 v[186:189], v225 offset0:88 offset1:89
	v_add_f64 v[4:5], v[4:5], -v[140:141]
	s_waitcnt lgkmcnt(0)
	v_mul_f64 v[140:141], v[188:189], v[142:143]
	v_fma_f64 v[140:141], v[186:187], v[184:185], -v[140:141]
	v_mul_f64 v[186:187], v[186:187], v[142:143]
	v_fmac_f64_e32 v[186:187], v[188:189], v[184:185]
	v_add_f64 v[2:3], v[2:3], -v[186:187]
	ds_read2_b64 v[186:189], v225 offset0:90 offset1:91
	v_add_f64 v[0:1], v[0:1], -v[140:141]
	s_waitcnt lgkmcnt(0)
	v_mul_f64 v[140:141], v[188:189], v[142:143]
	v_fma_f64 v[140:141], v[186:187], v[184:185], -v[140:141]
	v_mul_f64 v[186:187], v[186:187], v[142:143]
	v_fmac_f64_e32 v[186:187], v[188:189], v[184:185]
	v_add_f64 v[180:181], v[180:181], -v[140:141]
	v_add_f64 v[182:183], v[182:183], -v[186:187]
	v_mov_b64_e32 v[140:141], v[184:185]
.LBB91_91:
	s_or_b64 exec, exec, s[2:3]
	v_cmp_eq_u32_e32 vcc, 10, v226
	s_waitcnt vmcnt(63) expcnt(7) lgkmcnt(15)
	s_barrier
	s_and_saveexec_b64 s[4:5], vcc
	s_cbranch_execz .LBB91_98
; %bb.92:
	ds_write2_b64 v224, v[136:137], v[138:139] offset1:1
	ds_write2_b64 v225, v[132:133], v[134:135] offset0:22 offset1:23
	ds_write2_b64 v225, v[128:129], v[130:131] offset0:24 offset1:25
	;; [unrolled: 1-line block ×6, first 2 shown]
	s_waitcnt vmcnt(62)
	ds_write2_b64 v225, v[108:109], v[110:111] offset0:34 offset1:35
	s_waitcnt vmcnt(61)
	ds_write2_b64 v225, v[104:105], v[106:107] offset0:36 offset1:37
	;; [unrolled: 2-line block ×27, first 2 shown]
	ds_write2_b64 v225, v[0:1], v[2:3] offset0:88 offset1:89
	s_waitcnt vmcnt(17)
	ds_write2_b64 v225, v[180:181], v[182:183] offset0:90 offset1:91
	ds_read2_b64 v[184:187], v224 offset1:1
	s_waitcnt lgkmcnt(0)
	v_cmp_neq_f64_e32 vcc, 0, v[184:185]
	v_cmp_neq_f64_e64 s[2:3], 0, v[186:187]
	s_or_b64 s[2:3], vcc, s[2:3]
	s_and_b64 exec, exec, s[2:3]
	s_cbranch_execz .LBB91_98
; %bb.93:
	v_cmp_ngt_f64_e64 s[2:3], |v[184:185]|, |v[186:187]|
                                        ; implicit-def: $vgpr188_vgpr189
	s_and_saveexec_b64 s[10:11], s[2:3]
	s_xor_b64 s[2:3], exec, s[10:11]
                                        ; implicit-def: $vgpr190_vgpr191
	s_cbranch_execz .LBB91_95
; %bb.94:
	v_div_scale_f64 v[188:189], s[10:11], v[186:187], v[186:187], v[184:185]
	v_rcp_f64_e32 v[190:191], v[188:189]
	v_div_scale_f64 v[192:193], vcc, v[184:185], v[186:187], v[184:185]
	v_fma_f64 v[194:195], -v[188:189], v[190:191], 1.0
	v_fmac_f64_e32 v[190:191], v[190:191], v[194:195]
	v_fma_f64 v[194:195], -v[188:189], v[190:191], 1.0
	v_fmac_f64_e32 v[190:191], v[190:191], v[194:195]
	v_mul_f64 v[194:195], v[192:193], v[190:191]
	v_fma_f64 v[188:189], -v[188:189], v[194:195], v[192:193]
	v_div_fmas_f64 v[188:189], v[188:189], v[190:191], v[194:195]
	v_div_fixup_f64 v[188:189], v[188:189], v[186:187], v[184:185]
	v_fmac_f64_e32 v[186:187], v[184:185], v[188:189]
	v_div_scale_f64 v[184:185], s[10:11], v[186:187], v[186:187], 1.0
	v_rcp_f64_e32 v[190:191], v[184:185]
	s_nop 0
	v_fma_f64 v[192:193], -v[184:185], v[190:191], 1.0
	v_fmac_f64_e32 v[190:191], v[190:191], v[192:193]
	v_fma_f64 v[192:193], -v[184:185], v[190:191], 1.0
	v_fmac_f64_e32 v[190:191], v[190:191], v[192:193]
	v_div_scale_f64 v[192:193], vcc, 1.0, v[186:187], 1.0
	v_mul_f64 v[194:195], v[192:193], v[190:191]
	v_fma_f64 v[184:185], -v[184:185], v[194:195], v[192:193]
	s_nop 1
	v_div_fmas_f64 v[184:185], v[184:185], v[190:191], v[194:195]
	v_div_fixup_f64 v[190:191], v[184:185], v[186:187], 1.0
	v_mul_f64 v[188:189], v[188:189], v[190:191]
	v_xor_b32_e32 v191, 0x80000000, v191
                                        ; implicit-def: $vgpr184_vgpr185
.LBB91_95:
	s_andn2_saveexec_b64 s[2:3], s[2:3]
	s_cbranch_execz .LBB91_97
; %bb.96:
	v_div_scale_f64 v[188:189], s[10:11], v[184:185], v[184:185], v[186:187]
	v_rcp_f64_e32 v[190:191], v[188:189]
	v_div_scale_f64 v[192:193], vcc, v[186:187], v[184:185], v[186:187]
	v_fma_f64 v[194:195], -v[188:189], v[190:191], 1.0
	v_fmac_f64_e32 v[190:191], v[190:191], v[194:195]
	v_fma_f64 v[194:195], -v[188:189], v[190:191], 1.0
	v_fmac_f64_e32 v[190:191], v[190:191], v[194:195]
	v_mul_f64 v[194:195], v[192:193], v[190:191]
	v_fma_f64 v[188:189], -v[188:189], v[194:195], v[192:193]
	v_div_fmas_f64 v[188:189], v[188:189], v[190:191], v[194:195]
	v_div_fixup_f64 v[190:191], v[188:189], v[184:185], v[186:187]
	v_fmac_f64_e32 v[184:185], v[186:187], v[190:191]
	v_div_scale_f64 v[186:187], s[10:11], v[184:185], v[184:185], 1.0
	v_rcp_f64_e32 v[188:189], v[186:187]
	s_nop 0
	v_fma_f64 v[192:193], -v[186:187], v[188:189], 1.0
	v_fmac_f64_e32 v[188:189], v[188:189], v[192:193]
	v_fma_f64 v[192:193], -v[186:187], v[188:189], 1.0
	v_fmac_f64_e32 v[188:189], v[188:189], v[192:193]
	v_div_scale_f64 v[192:193], vcc, 1.0, v[184:185], 1.0
	v_mul_f64 v[194:195], v[192:193], v[188:189]
	v_fma_f64 v[186:187], -v[186:187], v[194:195], v[192:193]
	s_nop 1
	v_div_fmas_f64 v[186:187], v[186:187], v[188:189], v[194:195]
	v_div_fixup_f64 v[188:189], v[186:187], v[184:185], 1.0
	v_mul_f64 v[190:191], v[190:191], -v[188:189]
.LBB91_97:
	s_or_b64 exec, exec, s[2:3]
	ds_write2_b64 v224, v[188:189], v[190:191] offset1:1
.LBB91_98:
	s_or_b64 exec, exec, s[4:5]
	s_waitcnt lgkmcnt(0)
	s_barrier
	ds_read2_b64 v[184:187], v224 offset1:1
	v_cmp_lt_u32_e32 vcc, 10, v226
	s_waitcnt lgkmcnt(0)
	scratch_store_dwordx4 off, v[184:187], off offset:440 ; 16-byte Folded Spill
	s_and_saveexec_b64 s[2:3], vcc
	s_cbranch_execz .LBB91_100
; %bb.99:
	scratch_load_dwordx4 v[186:189], off, off offset:440 ; 16-byte Folded Reload
	s_waitcnt vmcnt(0)
	v_mul_f64 v[184:185], v[188:189], v[138:139]
	v_mul_f64 v[138:139], v[186:187], v[138:139]
	v_fma_f64 v[184:185], v[186:187], v[136:137], -v[184:185]
	v_fmac_f64_e32 v[138:139], v[188:189], v[136:137]
	ds_read2_b64 v[186:189], v225 offset0:22 offset1:23
	s_waitcnt lgkmcnt(0)
	v_mul_f64 v[136:137], v[188:189], v[138:139]
	v_fma_f64 v[136:137], v[186:187], v[184:185], -v[136:137]
	v_mul_f64 v[186:187], v[186:187], v[138:139]
	v_fmac_f64_e32 v[186:187], v[188:189], v[184:185]
	v_add_f64 v[134:135], v[134:135], -v[186:187]
	ds_read2_b64 v[186:189], v225 offset0:24 offset1:25
	v_add_f64 v[132:133], v[132:133], -v[136:137]
	s_waitcnt lgkmcnt(0)
	v_mul_f64 v[136:137], v[188:189], v[138:139]
	v_fma_f64 v[136:137], v[186:187], v[184:185], -v[136:137]
	v_mul_f64 v[186:187], v[186:187], v[138:139]
	v_fmac_f64_e32 v[186:187], v[188:189], v[184:185]
	v_add_f64 v[130:131], v[130:131], -v[186:187]
	ds_read2_b64 v[186:189], v225 offset0:26 offset1:27
	v_add_f64 v[128:129], v[128:129], -v[136:137]
	;; [unrolled: 8-line block ×34, first 2 shown]
	s_waitcnt lgkmcnt(0)
	v_mul_f64 v[136:137], v[188:189], v[138:139]
	v_fma_f64 v[136:137], v[186:187], v[184:185], -v[136:137]
	v_mul_f64 v[186:187], v[186:187], v[138:139]
	v_fmac_f64_e32 v[186:187], v[188:189], v[184:185]
	v_add_f64 v[180:181], v[180:181], -v[136:137]
	v_add_f64 v[182:183], v[182:183], -v[186:187]
	v_mov_b64_e32 v[136:137], v[184:185]
.LBB91_100:
	s_or_b64 exec, exec, s[2:3]
	v_cmp_eq_u32_e32 vcc, 11, v226
	s_waitcnt vmcnt(63) expcnt(7) lgkmcnt(15)
	s_barrier
	s_and_saveexec_b64 s[4:5], vcc
	s_cbranch_execz .LBB91_107
; %bb.101:
	ds_write2_b64 v224, v[132:133], v[134:135] offset1:1
	ds_write2_b64 v225, v[128:129], v[130:131] offset0:24 offset1:25
	ds_write2_b64 v225, v[124:125], v[126:127] offset0:26 offset1:27
	;; [unrolled: 1-line block ×6, first 2 shown]
	s_waitcnt vmcnt(62)
	ds_write2_b64 v225, v[104:105], v[106:107] offset0:36 offset1:37
	s_waitcnt vmcnt(61)
	ds_write2_b64 v225, v[100:101], v[102:103] offset0:38 offset1:39
	;; [unrolled: 2-line block ×26, first 2 shown]
	ds_write2_b64 v225, v[0:1], v[2:3] offset0:88 offset1:89
	s_waitcnt vmcnt(18)
	ds_write2_b64 v225, v[180:181], v[182:183] offset0:90 offset1:91
	ds_read2_b64 v[184:187], v224 offset1:1
	s_waitcnt lgkmcnt(0)
	v_cmp_neq_f64_e32 vcc, 0, v[184:185]
	v_cmp_neq_f64_e64 s[2:3], 0, v[186:187]
	s_or_b64 s[2:3], vcc, s[2:3]
	s_and_b64 exec, exec, s[2:3]
	s_cbranch_execz .LBB91_107
; %bb.102:
	v_cmp_ngt_f64_e64 s[2:3], |v[184:185]|, |v[186:187]|
                                        ; implicit-def: $vgpr188_vgpr189
	s_and_saveexec_b64 s[10:11], s[2:3]
	s_xor_b64 s[2:3], exec, s[10:11]
                                        ; implicit-def: $vgpr190_vgpr191
	s_cbranch_execz .LBB91_104
; %bb.103:
	v_div_scale_f64 v[188:189], s[10:11], v[186:187], v[186:187], v[184:185]
	v_rcp_f64_e32 v[190:191], v[188:189]
	v_div_scale_f64 v[192:193], vcc, v[184:185], v[186:187], v[184:185]
	v_fma_f64 v[194:195], -v[188:189], v[190:191], 1.0
	v_fmac_f64_e32 v[190:191], v[190:191], v[194:195]
	v_fma_f64 v[194:195], -v[188:189], v[190:191], 1.0
	v_fmac_f64_e32 v[190:191], v[190:191], v[194:195]
	v_mul_f64 v[194:195], v[192:193], v[190:191]
	v_fma_f64 v[188:189], -v[188:189], v[194:195], v[192:193]
	v_div_fmas_f64 v[188:189], v[188:189], v[190:191], v[194:195]
	v_div_fixup_f64 v[188:189], v[188:189], v[186:187], v[184:185]
	v_fmac_f64_e32 v[186:187], v[184:185], v[188:189]
	v_div_scale_f64 v[184:185], s[10:11], v[186:187], v[186:187], 1.0
	v_rcp_f64_e32 v[190:191], v[184:185]
	s_nop 0
	v_fma_f64 v[192:193], -v[184:185], v[190:191], 1.0
	v_fmac_f64_e32 v[190:191], v[190:191], v[192:193]
	v_fma_f64 v[192:193], -v[184:185], v[190:191], 1.0
	v_fmac_f64_e32 v[190:191], v[190:191], v[192:193]
	v_div_scale_f64 v[192:193], vcc, 1.0, v[186:187], 1.0
	v_mul_f64 v[194:195], v[192:193], v[190:191]
	v_fma_f64 v[184:185], -v[184:185], v[194:195], v[192:193]
	s_nop 1
	v_div_fmas_f64 v[184:185], v[184:185], v[190:191], v[194:195]
	v_div_fixup_f64 v[190:191], v[184:185], v[186:187], 1.0
	v_mul_f64 v[188:189], v[188:189], v[190:191]
	v_xor_b32_e32 v191, 0x80000000, v191
                                        ; implicit-def: $vgpr184_vgpr185
.LBB91_104:
	s_andn2_saveexec_b64 s[2:3], s[2:3]
	s_cbranch_execz .LBB91_106
; %bb.105:
	v_div_scale_f64 v[188:189], s[10:11], v[184:185], v[184:185], v[186:187]
	v_rcp_f64_e32 v[190:191], v[188:189]
	v_div_scale_f64 v[192:193], vcc, v[186:187], v[184:185], v[186:187]
	v_fma_f64 v[194:195], -v[188:189], v[190:191], 1.0
	v_fmac_f64_e32 v[190:191], v[190:191], v[194:195]
	v_fma_f64 v[194:195], -v[188:189], v[190:191], 1.0
	v_fmac_f64_e32 v[190:191], v[190:191], v[194:195]
	v_mul_f64 v[194:195], v[192:193], v[190:191]
	v_fma_f64 v[188:189], -v[188:189], v[194:195], v[192:193]
	v_div_fmas_f64 v[188:189], v[188:189], v[190:191], v[194:195]
	v_div_fixup_f64 v[190:191], v[188:189], v[184:185], v[186:187]
	v_fmac_f64_e32 v[184:185], v[186:187], v[190:191]
	v_div_scale_f64 v[186:187], s[10:11], v[184:185], v[184:185], 1.0
	v_rcp_f64_e32 v[188:189], v[186:187]
	s_nop 0
	v_fma_f64 v[192:193], -v[186:187], v[188:189], 1.0
	v_fmac_f64_e32 v[188:189], v[188:189], v[192:193]
	v_fma_f64 v[192:193], -v[186:187], v[188:189], 1.0
	v_fmac_f64_e32 v[188:189], v[188:189], v[192:193]
	v_div_scale_f64 v[192:193], vcc, 1.0, v[184:185], 1.0
	v_mul_f64 v[194:195], v[192:193], v[188:189]
	v_fma_f64 v[186:187], -v[186:187], v[194:195], v[192:193]
	s_nop 1
	v_div_fmas_f64 v[186:187], v[186:187], v[188:189], v[194:195]
	v_div_fixup_f64 v[188:189], v[186:187], v[184:185], 1.0
	v_mul_f64 v[190:191], v[190:191], -v[188:189]
.LBB91_106:
	s_or_b64 exec, exec, s[2:3]
	ds_write2_b64 v224, v[188:189], v[190:191] offset1:1
.LBB91_107:
	s_or_b64 exec, exec, s[4:5]
	s_waitcnt lgkmcnt(0)
	s_barrier
	ds_read2_b64 v[184:187], v224 offset1:1
	v_cmp_lt_u32_e32 vcc, 11, v226
	s_waitcnt lgkmcnt(0)
	scratch_store_dwordx4 off, v[184:187], off offset:456 ; 16-byte Folded Spill
	s_and_saveexec_b64 s[2:3], vcc
	s_cbranch_execz .LBB91_109
; %bb.108:
	scratch_load_dwordx4 v[186:189], off, off offset:456 ; 16-byte Folded Reload
	s_waitcnt vmcnt(0)
	v_mul_f64 v[184:185], v[188:189], v[134:135]
	v_mul_f64 v[134:135], v[186:187], v[134:135]
	v_fma_f64 v[184:185], v[186:187], v[132:133], -v[184:185]
	v_fmac_f64_e32 v[134:135], v[188:189], v[132:133]
	ds_read2_b64 v[186:189], v225 offset0:24 offset1:25
	s_waitcnt lgkmcnt(0)
	v_mul_f64 v[132:133], v[188:189], v[134:135]
	v_fma_f64 v[132:133], v[186:187], v[184:185], -v[132:133]
	v_mul_f64 v[186:187], v[186:187], v[134:135]
	v_fmac_f64_e32 v[186:187], v[188:189], v[184:185]
	v_add_f64 v[130:131], v[130:131], -v[186:187]
	ds_read2_b64 v[186:189], v225 offset0:26 offset1:27
	v_add_f64 v[128:129], v[128:129], -v[132:133]
	s_waitcnt lgkmcnt(0)
	v_mul_f64 v[132:133], v[188:189], v[134:135]
	v_fma_f64 v[132:133], v[186:187], v[184:185], -v[132:133]
	v_mul_f64 v[186:187], v[186:187], v[134:135]
	v_fmac_f64_e32 v[186:187], v[188:189], v[184:185]
	v_add_f64 v[126:127], v[126:127], -v[186:187]
	ds_read2_b64 v[186:189], v225 offset0:28 offset1:29
	v_add_f64 v[124:125], v[124:125], -v[132:133]
	;; [unrolled: 8-line block ×33, first 2 shown]
	s_waitcnt lgkmcnt(0)
	v_mul_f64 v[132:133], v[188:189], v[134:135]
	v_fma_f64 v[132:133], v[186:187], v[184:185], -v[132:133]
	v_mul_f64 v[186:187], v[186:187], v[134:135]
	v_fmac_f64_e32 v[186:187], v[188:189], v[184:185]
	v_add_f64 v[180:181], v[180:181], -v[132:133]
	v_add_f64 v[182:183], v[182:183], -v[186:187]
	v_mov_b64_e32 v[132:133], v[184:185]
.LBB91_109:
	s_or_b64 exec, exec, s[2:3]
	v_cmp_eq_u32_e32 vcc, 12, v226
	s_waitcnt vmcnt(63) expcnt(7) lgkmcnt(15)
	s_barrier
	s_and_saveexec_b64 s[4:5], vcc
	s_cbranch_execz .LBB91_116
; %bb.110:
	ds_write2_b64 v224, v[128:129], v[130:131] offset1:1
	ds_write2_b64 v225, v[124:125], v[126:127] offset0:26 offset1:27
	ds_write2_b64 v225, v[120:121], v[122:123] offset0:28 offset1:29
	;; [unrolled: 1-line block ×6, first 2 shown]
	s_waitcnt vmcnt(62)
	ds_write2_b64 v225, v[100:101], v[102:103] offset0:38 offset1:39
	s_waitcnt vmcnt(61)
	ds_write2_b64 v225, v[96:97], v[98:99] offset0:40 offset1:41
	;; [unrolled: 2-line block ×25, first 2 shown]
	ds_write2_b64 v225, v[0:1], v[2:3] offset0:88 offset1:89
	s_waitcnt vmcnt(19)
	ds_write2_b64 v225, v[180:181], v[182:183] offset0:90 offset1:91
	ds_read2_b64 v[184:187], v224 offset1:1
	s_waitcnt lgkmcnt(0)
	v_cmp_neq_f64_e32 vcc, 0, v[184:185]
	v_cmp_neq_f64_e64 s[2:3], 0, v[186:187]
	s_or_b64 s[2:3], vcc, s[2:3]
	s_and_b64 exec, exec, s[2:3]
	s_cbranch_execz .LBB91_116
; %bb.111:
	v_cmp_ngt_f64_e64 s[2:3], |v[184:185]|, |v[186:187]|
                                        ; implicit-def: $vgpr188_vgpr189
	s_and_saveexec_b64 s[10:11], s[2:3]
	s_xor_b64 s[2:3], exec, s[10:11]
                                        ; implicit-def: $vgpr190_vgpr191
	s_cbranch_execz .LBB91_113
; %bb.112:
	v_div_scale_f64 v[188:189], s[10:11], v[186:187], v[186:187], v[184:185]
	v_rcp_f64_e32 v[190:191], v[188:189]
	v_div_scale_f64 v[192:193], vcc, v[184:185], v[186:187], v[184:185]
	v_fma_f64 v[194:195], -v[188:189], v[190:191], 1.0
	v_fmac_f64_e32 v[190:191], v[190:191], v[194:195]
	v_fma_f64 v[194:195], -v[188:189], v[190:191], 1.0
	v_fmac_f64_e32 v[190:191], v[190:191], v[194:195]
	v_mul_f64 v[194:195], v[192:193], v[190:191]
	v_fma_f64 v[188:189], -v[188:189], v[194:195], v[192:193]
	v_div_fmas_f64 v[188:189], v[188:189], v[190:191], v[194:195]
	v_div_fixup_f64 v[188:189], v[188:189], v[186:187], v[184:185]
	v_fmac_f64_e32 v[186:187], v[184:185], v[188:189]
	v_div_scale_f64 v[184:185], s[10:11], v[186:187], v[186:187], 1.0
	v_rcp_f64_e32 v[190:191], v[184:185]
	s_nop 0
	v_fma_f64 v[192:193], -v[184:185], v[190:191], 1.0
	v_fmac_f64_e32 v[190:191], v[190:191], v[192:193]
	v_fma_f64 v[192:193], -v[184:185], v[190:191], 1.0
	v_fmac_f64_e32 v[190:191], v[190:191], v[192:193]
	v_div_scale_f64 v[192:193], vcc, 1.0, v[186:187], 1.0
	v_mul_f64 v[194:195], v[192:193], v[190:191]
	v_fma_f64 v[184:185], -v[184:185], v[194:195], v[192:193]
	s_nop 1
	v_div_fmas_f64 v[184:185], v[184:185], v[190:191], v[194:195]
	v_div_fixup_f64 v[190:191], v[184:185], v[186:187], 1.0
	v_mul_f64 v[188:189], v[188:189], v[190:191]
	v_xor_b32_e32 v191, 0x80000000, v191
                                        ; implicit-def: $vgpr184_vgpr185
.LBB91_113:
	s_andn2_saveexec_b64 s[2:3], s[2:3]
	s_cbranch_execz .LBB91_115
; %bb.114:
	v_div_scale_f64 v[188:189], s[10:11], v[184:185], v[184:185], v[186:187]
	v_rcp_f64_e32 v[190:191], v[188:189]
	v_div_scale_f64 v[192:193], vcc, v[186:187], v[184:185], v[186:187]
	v_fma_f64 v[194:195], -v[188:189], v[190:191], 1.0
	v_fmac_f64_e32 v[190:191], v[190:191], v[194:195]
	v_fma_f64 v[194:195], -v[188:189], v[190:191], 1.0
	v_fmac_f64_e32 v[190:191], v[190:191], v[194:195]
	v_mul_f64 v[194:195], v[192:193], v[190:191]
	v_fma_f64 v[188:189], -v[188:189], v[194:195], v[192:193]
	v_div_fmas_f64 v[188:189], v[188:189], v[190:191], v[194:195]
	v_div_fixup_f64 v[190:191], v[188:189], v[184:185], v[186:187]
	v_fmac_f64_e32 v[184:185], v[186:187], v[190:191]
	v_div_scale_f64 v[186:187], s[10:11], v[184:185], v[184:185], 1.0
	v_rcp_f64_e32 v[188:189], v[186:187]
	s_nop 0
	v_fma_f64 v[192:193], -v[186:187], v[188:189], 1.0
	v_fmac_f64_e32 v[188:189], v[188:189], v[192:193]
	v_fma_f64 v[192:193], -v[186:187], v[188:189], 1.0
	v_fmac_f64_e32 v[188:189], v[188:189], v[192:193]
	v_div_scale_f64 v[192:193], vcc, 1.0, v[184:185], 1.0
	v_mul_f64 v[194:195], v[192:193], v[188:189]
	v_fma_f64 v[186:187], -v[186:187], v[194:195], v[192:193]
	s_nop 1
	v_div_fmas_f64 v[186:187], v[186:187], v[188:189], v[194:195]
	v_div_fixup_f64 v[188:189], v[186:187], v[184:185], 1.0
	v_mul_f64 v[190:191], v[190:191], -v[188:189]
.LBB91_115:
	s_or_b64 exec, exec, s[2:3]
	ds_write2_b64 v224, v[188:189], v[190:191] offset1:1
.LBB91_116:
	s_or_b64 exec, exec, s[4:5]
	s_waitcnt lgkmcnt(0)
	s_barrier
	ds_read2_b64 v[184:187], v224 offset1:1
	v_cmp_lt_u32_e32 vcc, 12, v226
	s_waitcnt lgkmcnt(0)
	scratch_store_dwordx4 off, v[184:187], off offset:472 ; 16-byte Folded Spill
	s_and_saveexec_b64 s[2:3], vcc
	s_cbranch_execz .LBB91_118
; %bb.117:
	scratch_load_dwordx4 v[186:189], off, off offset:472 ; 16-byte Folded Reload
	s_waitcnt vmcnt(0)
	v_mul_f64 v[184:185], v[188:189], v[130:131]
	v_mul_f64 v[130:131], v[186:187], v[130:131]
	v_fma_f64 v[184:185], v[186:187], v[128:129], -v[184:185]
	v_fmac_f64_e32 v[130:131], v[188:189], v[128:129]
	ds_read2_b64 v[186:189], v225 offset0:26 offset1:27
	s_waitcnt lgkmcnt(0)
	v_mul_f64 v[128:129], v[188:189], v[130:131]
	v_fma_f64 v[128:129], v[186:187], v[184:185], -v[128:129]
	v_mul_f64 v[186:187], v[186:187], v[130:131]
	v_fmac_f64_e32 v[186:187], v[188:189], v[184:185]
	v_add_f64 v[126:127], v[126:127], -v[186:187]
	ds_read2_b64 v[186:189], v225 offset0:28 offset1:29
	v_add_f64 v[124:125], v[124:125], -v[128:129]
	s_waitcnt lgkmcnt(0)
	v_mul_f64 v[128:129], v[188:189], v[130:131]
	v_fma_f64 v[128:129], v[186:187], v[184:185], -v[128:129]
	v_mul_f64 v[186:187], v[186:187], v[130:131]
	v_fmac_f64_e32 v[186:187], v[188:189], v[184:185]
	v_add_f64 v[122:123], v[122:123], -v[186:187]
	ds_read2_b64 v[186:189], v225 offset0:30 offset1:31
	v_add_f64 v[120:121], v[120:121], -v[128:129]
	;; [unrolled: 8-line block ×32, first 2 shown]
	s_waitcnt lgkmcnt(0)
	v_mul_f64 v[128:129], v[188:189], v[130:131]
	v_fma_f64 v[128:129], v[186:187], v[184:185], -v[128:129]
	v_mul_f64 v[186:187], v[186:187], v[130:131]
	v_fmac_f64_e32 v[186:187], v[188:189], v[184:185]
	v_add_f64 v[180:181], v[180:181], -v[128:129]
	v_add_f64 v[182:183], v[182:183], -v[186:187]
	v_mov_b64_e32 v[128:129], v[184:185]
.LBB91_118:
	s_or_b64 exec, exec, s[2:3]
	v_cmp_eq_u32_e32 vcc, 13, v226
	s_waitcnt vmcnt(63) expcnt(7) lgkmcnt(15)
	s_barrier
	s_and_saveexec_b64 s[4:5], vcc
	s_cbranch_execz .LBB91_125
; %bb.119:
	ds_write2_b64 v224, v[124:125], v[126:127] offset1:1
	ds_write2_b64 v225, v[120:121], v[122:123] offset0:28 offset1:29
	ds_write2_b64 v225, v[116:117], v[118:119] offset0:30 offset1:31
	;; [unrolled: 1-line block ×6, first 2 shown]
	s_waitcnt vmcnt(62)
	ds_write2_b64 v225, v[96:97], v[98:99] offset0:40 offset1:41
	s_waitcnt vmcnt(61)
	ds_write2_b64 v225, v[92:93], v[94:95] offset0:42 offset1:43
	;; [unrolled: 2-line block ×24, first 2 shown]
	ds_write2_b64 v225, v[0:1], v[2:3] offset0:88 offset1:89
	s_waitcnt vmcnt(20)
	ds_write2_b64 v225, v[180:181], v[182:183] offset0:90 offset1:91
	ds_read2_b64 v[184:187], v224 offset1:1
	s_waitcnt lgkmcnt(0)
	v_cmp_neq_f64_e32 vcc, 0, v[184:185]
	v_cmp_neq_f64_e64 s[2:3], 0, v[186:187]
	s_or_b64 s[2:3], vcc, s[2:3]
	s_and_b64 exec, exec, s[2:3]
	s_cbranch_execz .LBB91_125
; %bb.120:
	v_cmp_ngt_f64_e64 s[2:3], |v[184:185]|, |v[186:187]|
                                        ; implicit-def: $vgpr188_vgpr189
	s_and_saveexec_b64 s[10:11], s[2:3]
	s_xor_b64 s[2:3], exec, s[10:11]
                                        ; implicit-def: $vgpr190_vgpr191
	s_cbranch_execz .LBB91_122
; %bb.121:
	v_div_scale_f64 v[188:189], s[10:11], v[186:187], v[186:187], v[184:185]
	v_rcp_f64_e32 v[190:191], v[188:189]
	v_div_scale_f64 v[192:193], vcc, v[184:185], v[186:187], v[184:185]
	v_fma_f64 v[194:195], -v[188:189], v[190:191], 1.0
	v_fmac_f64_e32 v[190:191], v[190:191], v[194:195]
	v_fma_f64 v[194:195], -v[188:189], v[190:191], 1.0
	v_fmac_f64_e32 v[190:191], v[190:191], v[194:195]
	v_mul_f64 v[194:195], v[192:193], v[190:191]
	v_fma_f64 v[188:189], -v[188:189], v[194:195], v[192:193]
	v_div_fmas_f64 v[188:189], v[188:189], v[190:191], v[194:195]
	v_div_fixup_f64 v[188:189], v[188:189], v[186:187], v[184:185]
	v_fmac_f64_e32 v[186:187], v[184:185], v[188:189]
	v_div_scale_f64 v[184:185], s[10:11], v[186:187], v[186:187], 1.0
	v_rcp_f64_e32 v[190:191], v[184:185]
	s_nop 0
	v_fma_f64 v[192:193], -v[184:185], v[190:191], 1.0
	v_fmac_f64_e32 v[190:191], v[190:191], v[192:193]
	v_fma_f64 v[192:193], -v[184:185], v[190:191], 1.0
	v_fmac_f64_e32 v[190:191], v[190:191], v[192:193]
	v_div_scale_f64 v[192:193], vcc, 1.0, v[186:187], 1.0
	v_mul_f64 v[194:195], v[192:193], v[190:191]
	v_fma_f64 v[184:185], -v[184:185], v[194:195], v[192:193]
	s_nop 1
	v_div_fmas_f64 v[184:185], v[184:185], v[190:191], v[194:195]
	v_div_fixup_f64 v[190:191], v[184:185], v[186:187], 1.0
	v_mul_f64 v[188:189], v[188:189], v[190:191]
	v_xor_b32_e32 v191, 0x80000000, v191
                                        ; implicit-def: $vgpr184_vgpr185
.LBB91_122:
	s_andn2_saveexec_b64 s[2:3], s[2:3]
	s_cbranch_execz .LBB91_124
; %bb.123:
	v_div_scale_f64 v[188:189], s[10:11], v[184:185], v[184:185], v[186:187]
	v_rcp_f64_e32 v[190:191], v[188:189]
	v_div_scale_f64 v[192:193], vcc, v[186:187], v[184:185], v[186:187]
	v_fma_f64 v[194:195], -v[188:189], v[190:191], 1.0
	v_fmac_f64_e32 v[190:191], v[190:191], v[194:195]
	v_fma_f64 v[194:195], -v[188:189], v[190:191], 1.0
	v_fmac_f64_e32 v[190:191], v[190:191], v[194:195]
	v_mul_f64 v[194:195], v[192:193], v[190:191]
	v_fma_f64 v[188:189], -v[188:189], v[194:195], v[192:193]
	v_div_fmas_f64 v[188:189], v[188:189], v[190:191], v[194:195]
	v_div_fixup_f64 v[190:191], v[188:189], v[184:185], v[186:187]
	v_fmac_f64_e32 v[184:185], v[186:187], v[190:191]
	v_div_scale_f64 v[186:187], s[10:11], v[184:185], v[184:185], 1.0
	v_rcp_f64_e32 v[188:189], v[186:187]
	s_nop 0
	v_fma_f64 v[192:193], -v[186:187], v[188:189], 1.0
	v_fmac_f64_e32 v[188:189], v[188:189], v[192:193]
	v_fma_f64 v[192:193], -v[186:187], v[188:189], 1.0
	v_fmac_f64_e32 v[188:189], v[188:189], v[192:193]
	v_div_scale_f64 v[192:193], vcc, 1.0, v[184:185], 1.0
	v_mul_f64 v[194:195], v[192:193], v[188:189]
	v_fma_f64 v[186:187], -v[186:187], v[194:195], v[192:193]
	s_nop 1
	v_div_fmas_f64 v[186:187], v[186:187], v[188:189], v[194:195]
	v_div_fixup_f64 v[188:189], v[186:187], v[184:185], 1.0
	v_mul_f64 v[190:191], v[190:191], -v[188:189]
.LBB91_124:
	s_or_b64 exec, exec, s[2:3]
	ds_write2_b64 v224, v[188:189], v[190:191] offset1:1
.LBB91_125:
	s_or_b64 exec, exec, s[4:5]
	s_waitcnt lgkmcnt(0)
	s_barrier
	ds_read2_b64 v[184:187], v224 offset1:1
	v_cmp_lt_u32_e32 vcc, 13, v226
	s_waitcnt lgkmcnt(0)
	scratch_store_dwordx4 off, v[184:187], off offset:488 ; 16-byte Folded Spill
	s_and_saveexec_b64 s[2:3], vcc
	s_cbranch_execz .LBB91_127
; %bb.126:
	scratch_load_dwordx4 v[186:189], off, off offset:488 ; 16-byte Folded Reload
	s_waitcnt vmcnt(0)
	v_mul_f64 v[184:185], v[188:189], v[126:127]
	v_mul_f64 v[126:127], v[186:187], v[126:127]
	v_fma_f64 v[184:185], v[186:187], v[124:125], -v[184:185]
	v_fmac_f64_e32 v[126:127], v[188:189], v[124:125]
	ds_read2_b64 v[186:189], v225 offset0:28 offset1:29
	s_waitcnt lgkmcnt(0)
	v_mul_f64 v[124:125], v[188:189], v[126:127]
	v_fma_f64 v[124:125], v[186:187], v[184:185], -v[124:125]
	v_mul_f64 v[186:187], v[186:187], v[126:127]
	v_fmac_f64_e32 v[186:187], v[188:189], v[184:185]
	v_add_f64 v[122:123], v[122:123], -v[186:187]
	ds_read2_b64 v[186:189], v225 offset0:30 offset1:31
	v_add_f64 v[120:121], v[120:121], -v[124:125]
	s_waitcnt lgkmcnt(0)
	v_mul_f64 v[124:125], v[188:189], v[126:127]
	v_fma_f64 v[124:125], v[186:187], v[184:185], -v[124:125]
	v_mul_f64 v[186:187], v[186:187], v[126:127]
	v_fmac_f64_e32 v[186:187], v[188:189], v[184:185]
	v_add_f64 v[118:119], v[118:119], -v[186:187]
	ds_read2_b64 v[186:189], v225 offset0:32 offset1:33
	v_add_f64 v[116:117], v[116:117], -v[124:125]
	;; [unrolled: 8-line block ×31, first 2 shown]
	s_waitcnt lgkmcnt(0)
	v_mul_f64 v[124:125], v[188:189], v[126:127]
	v_fma_f64 v[124:125], v[186:187], v[184:185], -v[124:125]
	v_mul_f64 v[186:187], v[186:187], v[126:127]
	v_fmac_f64_e32 v[186:187], v[188:189], v[184:185]
	v_add_f64 v[180:181], v[180:181], -v[124:125]
	v_add_f64 v[182:183], v[182:183], -v[186:187]
	v_mov_b64_e32 v[124:125], v[184:185]
.LBB91_127:
	s_or_b64 exec, exec, s[2:3]
	v_cmp_eq_u32_e32 vcc, 14, v226
	s_waitcnt vmcnt(63) expcnt(7) lgkmcnt(15)
	s_barrier
	s_and_saveexec_b64 s[4:5], vcc
	s_cbranch_execz .LBB91_134
; %bb.128:
	ds_write2_b64 v224, v[120:121], v[122:123] offset1:1
	ds_write2_b64 v225, v[116:117], v[118:119] offset0:30 offset1:31
	ds_write2_b64 v225, v[112:113], v[114:115] offset0:32 offset1:33
	;; [unrolled: 1-line block ×6, first 2 shown]
	s_waitcnt vmcnt(62)
	ds_write2_b64 v225, v[92:93], v[94:95] offset0:42 offset1:43
	s_waitcnt vmcnt(61)
	ds_write2_b64 v225, v[88:89], v[90:91] offset0:44 offset1:45
	;; [unrolled: 2-line block ×23, first 2 shown]
	ds_write2_b64 v225, v[0:1], v[2:3] offset0:88 offset1:89
	s_waitcnt vmcnt(21)
	ds_write2_b64 v225, v[180:181], v[182:183] offset0:90 offset1:91
	ds_read2_b64 v[184:187], v224 offset1:1
	s_waitcnt lgkmcnt(0)
	v_cmp_neq_f64_e32 vcc, 0, v[184:185]
	v_cmp_neq_f64_e64 s[2:3], 0, v[186:187]
	s_or_b64 s[2:3], vcc, s[2:3]
	s_and_b64 exec, exec, s[2:3]
	s_cbranch_execz .LBB91_134
; %bb.129:
	v_cmp_ngt_f64_e64 s[2:3], |v[184:185]|, |v[186:187]|
                                        ; implicit-def: $vgpr188_vgpr189
	s_and_saveexec_b64 s[10:11], s[2:3]
	s_xor_b64 s[2:3], exec, s[10:11]
                                        ; implicit-def: $vgpr190_vgpr191
	s_cbranch_execz .LBB91_131
; %bb.130:
	v_div_scale_f64 v[188:189], s[10:11], v[186:187], v[186:187], v[184:185]
	v_rcp_f64_e32 v[190:191], v[188:189]
	v_div_scale_f64 v[192:193], vcc, v[184:185], v[186:187], v[184:185]
	v_fma_f64 v[194:195], -v[188:189], v[190:191], 1.0
	v_fmac_f64_e32 v[190:191], v[190:191], v[194:195]
	v_fma_f64 v[194:195], -v[188:189], v[190:191], 1.0
	v_fmac_f64_e32 v[190:191], v[190:191], v[194:195]
	v_mul_f64 v[194:195], v[192:193], v[190:191]
	v_fma_f64 v[188:189], -v[188:189], v[194:195], v[192:193]
	v_div_fmas_f64 v[188:189], v[188:189], v[190:191], v[194:195]
	v_div_fixup_f64 v[188:189], v[188:189], v[186:187], v[184:185]
	v_fmac_f64_e32 v[186:187], v[184:185], v[188:189]
	v_div_scale_f64 v[184:185], s[10:11], v[186:187], v[186:187], 1.0
	v_rcp_f64_e32 v[190:191], v[184:185]
	s_nop 0
	v_fma_f64 v[192:193], -v[184:185], v[190:191], 1.0
	v_fmac_f64_e32 v[190:191], v[190:191], v[192:193]
	v_fma_f64 v[192:193], -v[184:185], v[190:191], 1.0
	v_fmac_f64_e32 v[190:191], v[190:191], v[192:193]
	v_div_scale_f64 v[192:193], vcc, 1.0, v[186:187], 1.0
	v_mul_f64 v[194:195], v[192:193], v[190:191]
	v_fma_f64 v[184:185], -v[184:185], v[194:195], v[192:193]
	s_nop 1
	v_div_fmas_f64 v[184:185], v[184:185], v[190:191], v[194:195]
	v_div_fixup_f64 v[190:191], v[184:185], v[186:187], 1.0
	v_mul_f64 v[188:189], v[188:189], v[190:191]
	v_xor_b32_e32 v191, 0x80000000, v191
                                        ; implicit-def: $vgpr184_vgpr185
.LBB91_131:
	s_andn2_saveexec_b64 s[2:3], s[2:3]
	s_cbranch_execz .LBB91_133
; %bb.132:
	v_div_scale_f64 v[188:189], s[10:11], v[184:185], v[184:185], v[186:187]
	v_rcp_f64_e32 v[190:191], v[188:189]
	v_div_scale_f64 v[192:193], vcc, v[186:187], v[184:185], v[186:187]
	v_fma_f64 v[194:195], -v[188:189], v[190:191], 1.0
	v_fmac_f64_e32 v[190:191], v[190:191], v[194:195]
	v_fma_f64 v[194:195], -v[188:189], v[190:191], 1.0
	v_fmac_f64_e32 v[190:191], v[190:191], v[194:195]
	v_mul_f64 v[194:195], v[192:193], v[190:191]
	v_fma_f64 v[188:189], -v[188:189], v[194:195], v[192:193]
	v_div_fmas_f64 v[188:189], v[188:189], v[190:191], v[194:195]
	v_div_fixup_f64 v[190:191], v[188:189], v[184:185], v[186:187]
	v_fmac_f64_e32 v[184:185], v[186:187], v[190:191]
	v_div_scale_f64 v[186:187], s[10:11], v[184:185], v[184:185], 1.0
	v_rcp_f64_e32 v[188:189], v[186:187]
	s_nop 0
	v_fma_f64 v[192:193], -v[186:187], v[188:189], 1.0
	v_fmac_f64_e32 v[188:189], v[188:189], v[192:193]
	v_fma_f64 v[192:193], -v[186:187], v[188:189], 1.0
	v_fmac_f64_e32 v[188:189], v[188:189], v[192:193]
	v_div_scale_f64 v[192:193], vcc, 1.0, v[184:185], 1.0
	v_mul_f64 v[194:195], v[192:193], v[188:189]
	v_fma_f64 v[186:187], -v[186:187], v[194:195], v[192:193]
	s_nop 1
	v_div_fmas_f64 v[186:187], v[186:187], v[188:189], v[194:195]
	v_div_fixup_f64 v[188:189], v[186:187], v[184:185], 1.0
	v_mul_f64 v[190:191], v[190:191], -v[188:189]
.LBB91_133:
	s_or_b64 exec, exec, s[2:3]
	ds_write2_b64 v224, v[188:189], v[190:191] offset1:1
.LBB91_134:
	s_or_b64 exec, exec, s[4:5]
	s_waitcnt lgkmcnt(0)
	s_barrier
	ds_read2_b64 v[184:187], v224 offset1:1
	v_cmp_lt_u32_e32 vcc, 14, v226
	s_waitcnt lgkmcnt(0)
	scratch_store_dwordx4 off, v[184:187], off offset:504 ; 16-byte Folded Spill
	s_and_saveexec_b64 s[2:3], vcc
	s_cbranch_execz .LBB91_136
; %bb.135:
	scratch_load_dwordx4 v[186:189], off, off offset:504 ; 16-byte Folded Reload
	s_waitcnt vmcnt(0)
	v_mul_f64 v[184:185], v[188:189], v[122:123]
	v_mul_f64 v[122:123], v[186:187], v[122:123]
	v_fma_f64 v[184:185], v[186:187], v[120:121], -v[184:185]
	v_fmac_f64_e32 v[122:123], v[188:189], v[120:121]
	ds_read2_b64 v[186:189], v225 offset0:30 offset1:31
	s_waitcnt lgkmcnt(0)
	v_mul_f64 v[120:121], v[188:189], v[122:123]
	v_fma_f64 v[120:121], v[186:187], v[184:185], -v[120:121]
	v_mul_f64 v[186:187], v[186:187], v[122:123]
	v_fmac_f64_e32 v[186:187], v[188:189], v[184:185]
	v_add_f64 v[118:119], v[118:119], -v[186:187]
	ds_read2_b64 v[186:189], v225 offset0:32 offset1:33
	v_add_f64 v[116:117], v[116:117], -v[120:121]
	s_waitcnt lgkmcnt(0)
	v_mul_f64 v[120:121], v[188:189], v[122:123]
	v_fma_f64 v[120:121], v[186:187], v[184:185], -v[120:121]
	v_mul_f64 v[186:187], v[186:187], v[122:123]
	v_fmac_f64_e32 v[186:187], v[188:189], v[184:185]
	v_add_f64 v[114:115], v[114:115], -v[186:187]
	ds_read2_b64 v[186:189], v225 offset0:34 offset1:35
	v_add_f64 v[112:113], v[112:113], -v[120:121]
	;; [unrolled: 8-line block ×30, first 2 shown]
	s_waitcnt lgkmcnt(0)
	v_mul_f64 v[120:121], v[188:189], v[122:123]
	v_fma_f64 v[120:121], v[186:187], v[184:185], -v[120:121]
	v_mul_f64 v[186:187], v[186:187], v[122:123]
	v_fmac_f64_e32 v[186:187], v[188:189], v[184:185]
	v_add_f64 v[180:181], v[180:181], -v[120:121]
	v_add_f64 v[182:183], v[182:183], -v[186:187]
	v_mov_b64_e32 v[120:121], v[184:185]
.LBB91_136:
	s_or_b64 exec, exec, s[2:3]
	v_cmp_eq_u32_e32 vcc, 15, v226
	s_waitcnt vmcnt(63) expcnt(7) lgkmcnt(15)
	s_barrier
	s_and_saveexec_b64 s[4:5], vcc
	s_cbranch_execz .LBB91_143
; %bb.137:
	ds_write2_b64 v224, v[116:117], v[118:119] offset1:1
	ds_write2_b64 v225, v[112:113], v[114:115] offset0:32 offset1:33
	ds_write2_b64 v225, v[108:109], v[110:111] offset0:34 offset1:35
	;; [unrolled: 1-line block ×6, first 2 shown]
	s_waitcnt vmcnt(62)
	ds_write2_b64 v225, v[88:89], v[90:91] offset0:44 offset1:45
	s_waitcnt vmcnt(61)
	ds_write2_b64 v225, v[84:85], v[86:87] offset0:46 offset1:47
	;; [unrolled: 2-line block ×22, first 2 shown]
	ds_write2_b64 v225, v[0:1], v[2:3] offset0:88 offset1:89
	s_waitcnt vmcnt(22)
	ds_write2_b64 v225, v[180:181], v[182:183] offset0:90 offset1:91
	ds_read2_b64 v[184:187], v224 offset1:1
	s_waitcnt lgkmcnt(0)
	v_cmp_neq_f64_e32 vcc, 0, v[184:185]
	v_cmp_neq_f64_e64 s[2:3], 0, v[186:187]
	s_or_b64 s[2:3], vcc, s[2:3]
	s_and_b64 exec, exec, s[2:3]
	s_cbranch_execz .LBB91_143
; %bb.138:
	v_cmp_ngt_f64_e64 s[2:3], |v[184:185]|, |v[186:187]|
                                        ; implicit-def: $vgpr188_vgpr189
	s_and_saveexec_b64 s[10:11], s[2:3]
	s_xor_b64 s[2:3], exec, s[10:11]
                                        ; implicit-def: $vgpr190_vgpr191
	s_cbranch_execz .LBB91_140
; %bb.139:
	v_div_scale_f64 v[188:189], s[10:11], v[186:187], v[186:187], v[184:185]
	v_rcp_f64_e32 v[190:191], v[188:189]
	v_div_scale_f64 v[192:193], vcc, v[184:185], v[186:187], v[184:185]
	v_fma_f64 v[194:195], -v[188:189], v[190:191], 1.0
	v_fmac_f64_e32 v[190:191], v[190:191], v[194:195]
	v_fma_f64 v[194:195], -v[188:189], v[190:191], 1.0
	v_fmac_f64_e32 v[190:191], v[190:191], v[194:195]
	v_mul_f64 v[194:195], v[192:193], v[190:191]
	v_fma_f64 v[188:189], -v[188:189], v[194:195], v[192:193]
	v_div_fmas_f64 v[188:189], v[188:189], v[190:191], v[194:195]
	v_div_fixup_f64 v[188:189], v[188:189], v[186:187], v[184:185]
	v_fmac_f64_e32 v[186:187], v[184:185], v[188:189]
	v_div_scale_f64 v[184:185], s[10:11], v[186:187], v[186:187], 1.0
	v_rcp_f64_e32 v[190:191], v[184:185]
	s_nop 0
	v_fma_f64 v[192:193], -v[184:185], v[190:191], 1.0
	v_fmac_f64_e32 v[190:191], v[190:191], v[192:193]
	v_fma_f64 v[192:193], -v[184:185], v[190:191], 1.0
	v_fmac_f64_e32 v[190:191], v[190:191], v[192:193]
	v_div_scale_f64 v[192:193], vcc, 1.0, v[186:187], 1.0
	v_mul_f64 v[194:195], v[192:193], v[190:191]
	v_fma_f64 v[184:185], -v[184:185], v[194:195], v[192:193]
	s_nop 1
	v_div_fmas_f64 v[184:185], v[184:185], v[190:191], v[194:195]
	v_div_fixup_f64 v[190:191], v[184:185], v[186:187], 1.0
	v_mul_f64 v[188:189], v[188:189], v[190:191]
	v_xor_b32_e32 v191, 0x80000000, v191
                                        ; implicit-def: $vgpr184_vgpr185
.LBB91_140:
	s_andn2_saveexec_b64 s[2:3], s[2:3]
	s_cbranch_execz .LBB91_142
; %bb.141:
	v_div_scale_f64 v[188:189], s[10:11], v[184:185], v[184:185], v[186:187]
	v_rcp_f64_e32 v[190:191], v[188:189]
	v_div_scale_f64 v[192:193], vcc, v[186:187], v[184:185], v[186:187]
	v_fma_f64 v[194:195], -v[188:189], v[190:191], 1.0
	v_fmac_f64_e32 v[190:191], v[190:191], v[194:195]
	v_fma_f64 v[194:195], -v[188:189], v[190:191], 1.0
	v_fmac_f64_e32 v[190:191], v[190:191], v[194:195]
	v_mul_f64 v[194:195], v[192:193], v[190:191]
	v_fma_f64 v[188:189], -v[188:189], v[194:195], v[192:193]
	v_div_fmas_f64 v[188:189], v[188:189], v[190:191], v[194:195]
	v_div_fixup_f64 v[190:191], v[188:189], v[184:185], v[186:187]
	v_fmac_f64_e32 v[184:185], v[186:187], v[190:191]
	v_div_scale_f64 v[186:187], s[10:11], v[184:185], v[184:185], 1.0
	v_rcp_f64_e32 v[188:189], v[186:187]
	s_nop 0
	v_fma_f64 v[192:193], -v[186:187], v[188:189], 1.0
	v_fmac_f64_e32 v[188:189], v[188:189], v[192:193]
	v_fma_f64 v[192:193], -v[186:187], v[188:189], 1.0
	v_fmac_f64_e32 v[188:189], v[188:189], v[192:193]
	v_div_scale_f64 v[192:193], vcc, 1.0, v[184:185], 1.0
	v_mul_f64 v[194:195], v[192:193], v[188:189]
	v_fma_f64 v[186:187], -v[186:187], v[194:195], v[192:193]
	s_nop 1
	v_div_fmas_f64 v[186:187], v[186:187], v[188:189], v[194:195]
	v_div_fixup_f64 v[188:189], v[186:187], v[184:185], 1.0
	v_mul_f64 v[190:191], v[190:191], -v[188:189]
.LBB91_142:
	s_or_b64 exec, exec, s[2:3]
	ds_write2_b64 v224, v[188:189], v[190:191] offset1:1
.LBB91_143:
	s_or_b64 exec, exec, s[4:5]
	s_waitcnt lgkmcnt(0)
	s_barrier
	ds_read2_b64 v[184:187], v224 offset1:1
	v_cmp_lt_u32_e32 vcc, 15, v226
	s_waitcnt lgkmcnt(0)
	scratch_store_dwordx4 off, v[184:187], off offset:520 ; 16-byte Folded Spill
	s_and_saveexec_b64 s[2:3], vcc
	s_cbranch_execz .LBB91_145
; %bb.144:
	scratch_load_dwordx4 v[186:189], off, off offset:520 ; 16-byte Folded Reload
	s_waitcnt vmcnt(0)
	v_mul_f64 v[184:185], v[188:189], v[118:119]
	v_mul_f64 v[118:119], v[186:187], v[118:119]
	v_fma_f64 v[184:185], v[186:187], v[116:117], -v[184:185]
	v_fmac_f64_e32 v[118:119], v[188:189], v[116:117]
	ds_read2_b64 v[186:189], v225 offset0:32 offset1:33
	s_waitcnt lgkmcnt(0)
	v_mul_f64 v[116:117], v[188:189], v[118:119]
	v_fma_f64 v[116:117], v[186:187], v[184:185], -v[116:117]
	v_mul_f64 v[186:187], v[186:187], v[118:119]
	v_fmac_f64_e32 v[186:187], v[188:189], v[184:185]
	v_add_f64 v[114:115], v[114:115], -v[186:187]
	ds_read2_b64 v[186:189], v225 offset0:34 offset1:35
	v_add_f64 v[112:113], v[112:113], -v[116:117]
	s_waitcnt lgkmcnt(0)
	v_mul_f64 v[116:117], v[188:189], v[118:119]
	v_fma_f64 v[116:117], v[186:187], v[184:185], -v[116:117]
	v_mul_f64 v[186:187], v[186:187], v[118:119]
	v_fmac_f64_e32 v[186:187], v[188:189], v[184:185]
	v_add_f64 v[110:111], v[110:111], -v[186:187]
	ds_read2_b64 v[186:189], v225 offset0:36 offset1:37
	v_add_f64 v[108:109], v[108:109], -v[116:117]
	;; [unrolled: 8-line block ×29, first 2 shown]
	s_waitcnt lgkmcnt(0)
	v_mul_f64 v[116:117], v[188:189], v[118:119]
	v_fma_f64 v[116:117], v[186:187], v[184:185], -v[116:117]
	v_mul_f64 v[186:187], v[186:187], v[118:119]
	v_fmac_f64_e32 v[186:187], v[188:189], v[184:185]
	v_add_f64 v[180:181], v[180:181], -v[116:117]
	v_add_f64 v[182:183], v[182:183], -v[186:187]
	v_mov_b64_e32 v[116:117], v[184:185]
.LBB91_145:
	s_or_b64 exec, exec, s[2:3]
	v_cmp_eq_u32_e32 vcc, 16, v226
	s_waitcnt vmcnt(63) expcnt(7) lgkmcnt(15)
	s_barrier
	s_and_saveexec_b64 s[4:5], vcc
	s_cbranch_execz .LBB91_152
; %bb.146:
	ds_write2_b64 v224, v[112:113], v[114:115] offset1:1
	ds_write2_b64 v225, v[108:109], v[110:111] offset0:34 offset1:35
	ds_write2_b64 v225, v[104:105], v[106:107] offset0:36 offset1:37
	;; [unrolled: 1-line block ×6, first 2 shown]
	s_waitcnt vmcnt(62)
	ds_write2_b64 v225, v[84:85], v[86:87] offset0:46 offset1:47
	s_waitcnt vmcnt(61)
	ds_write2_b64 v225, v[80:81], v[82:83] offset0:48 offset1:49
	s_waitcnt vmcnt(60)
	ds_write2_b64 v225, v[76:77], v[78:79] offset0:50 offset1:51
	s_waitcnt vmcnt(59)
	ds_write2_b64 v225, v[72:73], v[74:75] offset0:52 offset1:53
	s_waitcnt vmcnt(58)
	ds_write2_b64 v225, v[68:69], v[70:71] offset0:54 offset1:55
	s_waitcnt vmcnt(57)
	ds_write2_b64 v225, v[64:65], v[66:67] offset0:56 offset1:57
	s_waitcnt vmcnt(56)
	ds_write2_b64 v225, v[60:61], v[62:63] offset0:58 offset1:59
	s_waitcnt vmcnt(55)
	ds_write2_b64 v225, v[56:57], v[58:59] offset0:60 offset1:61
	s_waitcnt vmcnt(54)
	ds_write2_b64 v225, v[52:53], v[54:55] offset0:62 offset1:63
	s_waitcnt vmcnt(53)
	ds_write2_b64 v225, v[48:49], v[50:51] offset0:64 offset1:65
	s_waitcnt vmcnt(52)
	ds_write2_b64 v225, v[44:45], v[46:47] offset0:66 offset1:67
	s_waitcnt vmcnt(51)
	ds_write2_b64 v225, v[40:41], v[42:43] offset0:68 offset1:69
	s_waitcnt vmcnt(50)
	ds_write2_b64 v225, v[36:37], v[38:39] offset0:70 offset1:71
	s_waitcnt vmcnt(33)
	ds_write2_b64 v225, v[32:33], v[34:35] offset0:72 offset1:73
	s_waitcnt vmcnt(32)
	ds_write2_b64 v225, v[28:29], v[30:31] offset0:74 offset1:75
	s_waitcnt vmcnt(31)
	ds_write2_b64 v225, v[24:25], v[26:27] offset0:76 offset1:77
	s_waitcnt vmcnt(30)
	ds_write2_b64 v225, v[20:21], v[22:23] offset0:78 offset1:79
	s_waitcnt vmcnt(29)
	ds_write2_b64 v225, v[16:17], v[18:19] offset0:80 offset1:81
	s_waitcnt vmcnt(28)
	ds_write2_b64 v225, v[12:13], v[14:15] offset0:82 offset1:83
	s_waitcnt vmcnt(27)
	ds_write2_b64 v225, v[8:9], v[10:11] offset0:84 offset1:85
	s_waitcnt vmcnt(26)
	ds_write2_b64 v225, v[4:5], v[6:7] offset0:86 offset1:87
	ds_write2_b64 v225, v[0:1], v[2:3] offset0:88 offset1:89
	s_waitcnt vmcnt(23)
	ds_write2_b64 v225, v[180:181], v[182:183] offset0:90 offset1:91
	ds_read2_b64 v[184:187], v224 offset1:1
	s_waitcnt lgkmcnt(0)
	v_cmp_neq_f64_e32 vcc, 0, v[184:185]
	v_cmp_neq_f64_e64 s[2:3], 0, v[186:187]
	s_or_b64 s[2:3], vcc, s[2:3]
	s_and_b64 exec, exec, s[2:3]
	s_cbranch_execz .LBB91_152
; %bb.147:
	v_cmp_ngt_f64_e64 s[2:3], |v[184:185]|, |v[186:187]|
                                        ; implicit-def: $vgpr188_vgpr189
	s_and_saveexec_b64 s[10:11], s[2:3]
	s_xor_b64 s[2:3], exec, s[10:11]
                                        ; implicit-def: $vgpr190_vgpr191
	s_cbranch_execz .LBB91_149
; %bb.148:
	v_div_scale_f64 v[188:189], s[10:11], v[186:187], v[186:187], v[184:185]
	v_rcp_f64_e32 v[190:191], v[188:189]
	v_div_scale_f64 v[192:193], vcc, v[184:185], v[186:187], v[184:185]
	v_fma_f64 v[194:195], -v[188:189], v[190:191], 1.0
	v_fmac_f64_e32 v[190:191], v[190:191], v[194:195]
	v_fma_f64 v[194:195], -v[188:189], v[190:191], 1.0
	v_fmac_f64_e32 v[190:191], v[190:191], v[194:195]
	v_mul_f64 v[194:195], v[192:193], v[190:191]
	v_fma_f64 v[188:189], -v[188:189], v[194:195], v[192:193]
	v_div_fmas_f64 v[188:189], v[188:189], v[190:191], v[194:195]
	v_div_fixup_f64 v[188:189], v[188:189], v[186:187], v[184:185]
	v_fmac_f64_e32 v[186:187], v[184:185], v[188:189]
	v_div_scale_f64 v[184:185], s[10:11], v[186:187], v[186:187], 1.0
	v_rcp_f64_e32 v[190:191], v[184:185]
	s_nop 0
	v_fma_f64 v[192:193], -v[184:185], v[190:191], 1.0
	v_fmac_f64_e32 v[190:191], v[190:191], v[192:193]
	v_fma_f64 v[192:193], -v[184:185], v[190:191], 1.0
	v_fmac_f64_e32 v[190:191], v[190:191], v[192:193]
	v_div_scale_f64 v[192:193], vcc, 1.0, v[186:187], 1.0
	v_mul_f64 v[194:195], v[192:193], v[190:191]
	v_fma_f64 v[184:185], -v[184:185], v[194:195], v[192:193]
	s_nop 1
	v_div_fmas_f64 v[184:185], v[184:185], v[190:191], v[194:195]
	v_div_fixup_f64 v[190:191], v[184:185], v[186:187], 1.0
	v_mul_f64 v[188:189], v[188:189], v[190:191]
	v_xor_b32_e32 v191, 0x80000000, v191
                                        ; implicit-def: $vgpr184_vgpr185
.LBB91_149:
	s_andn2_saveexec_b64 s[2:3], s[2:3]
	s_cbranch_execz .LBB91_151
; %bb.150:
	v_div_scale_f64 v[188:189], s[10:11], v[184:185], v[184:185], v[186:187]
	v_rcp_f64_e32 v[190:191], v[188:189]
	v_div_scale_f64 v[192:193], vcc, v[186:187], v[184:185], v[186:187]
	v_fma_f64 v[194:195], -v[188:189], v[190:191], 1.0
	v_fmac_f64_e32 v[190:191], v[190:191], v[194:195]
	v_fma_f64 v[194:195], -v[188:189], v[190:191], 1.0
	v_fmac_f64_e32 v[190:191], v[190:191], v[194:195]
	v_mul_f64 v[194:195], v[192:193], v[190:191]
	v_fma_f64 v[188:189], -v[188:189], v[194:195], v[192:193]
	v_div_fmas_f64 v[188:189], v[188:189], v[190:191], v[194:195]
	v_div_fixup_f64 v[190:191], v[188:189], v[184:185], v[186:187]
	v_fmac_f64_e32 v[184:185], v[186:187], v[190:191]
	v_div_scale_f64 v[186:187], s[10:11], v[184:185], v[184:185], 1.0
	v_rcp_f64_e32 v[188:189], v[186:187]
	s_nop 0
	v_fma_f64 v[192:193], -v[186:187], v[188:189], 1.0
	v_fmac_f64_e32 v[188:189], v[188:189], v[192:193]
	v_fma_f64 v[192:193], -v[186:187], v[188:189], 1.0
	v_fmac_f64_e32 v[188:189], v[188:189], v[192:193]
	v_div_scale_f64 v[192:193], vcc, 1.0, v[184:185], 1.0
	v_mul_f64 v[194:195], v[192:193], v[188:189]
	v_fma_f64 v[186:187], -v[186:187], v[194:195], v[192:193]
	s_nop 1
	v_div_fmas_f64 v[186:187], v[186:187], v[188:189], v[194:195]
	v_div_fixup_f64 v[188:189], v[186:187], v[184:185], 1.0
	v_mul_f64 v[190:191], v[190:191], -v[188:189]
.LBB91_151:
	s_or_b64 exec, exec, s[2:3]
	ds_write2_b64 v224, v[188:189], v[190:191] offset1:1
.LBB91_152:
	s_or_b64 exec, exec, s[4:5]
	s_waitcnt lgkmcnt(0)
	s_barrier
	ds_read2_b64 v[184:187], v224 offset1:1
	v_cmp_lt_u32_e32 vcc, 16, v226
	s_waitcnt lgkmcnt(0)
	scratch_store_dwordx4 off, v[184:187], off offset:536 ; 16-byte Folded Spill
	s_and_saveexec_b64 s[2:3], vcc
	s_cbranch_execz .LBB91_154
; %bb.153:
	scratch_load_dwordx4 v[186:189], off, off offset:536 ; 16-byte Folded Reload
	s_waitcnt vmcnt(0)
	v_mul_f64 v[184:185], v[188:189], v[114:115]
	v_mul_f64 v[114:115], v[186:187], v[114:115]
	v_fma_f64 v[184:185], v[186:187], v[112:113], -v[184:185]
	v_fmac_f64_e32 v[114:115], v[188:189], v[112:113]
	ds_read2_b64 v[186:189], v225 offset0:34 offset1:35
	s_waitcnt lgkmcnt(0)
	v_mul_f64 v[112:113], v[188:189], v[114:115]
	v_fma_f64 v[112:113], v[186:187], v[184:185], -v[112:113]
	v_mul_f64 v[186:187], v[186:187], v[114:115]
	v_fmac_f64_e32 v[186:187], v[188:189], v[184:185]
	v_add_f64 v[110:111], v[110:111], -v[186:187]
	ds_read2_b64 v[186:189], v225 offset0:36 offset1:37
	v_add_f64 v[108:109], v[108:109], -v[112:113]
	s_waitcnt lgkmcnt(0)
	v_mul_f64 v[112:113], v[188:189], v[114:115]
	v_fma_f64 v[112:113], v[186:187], v[184:185], -v[112:113]
	v_mul_f64 v[186:187], v[186:187], v[114:115]
	v_fmac_f64_e32 v[186:187], v[188:189], v[184:185]
	v_add_f64 v[106:107], v[106:107], -v[186:187]
	ds_read2_b64 v[186:189], v225 offset0:38 offset1:39
	v_add_f64 v[104:105], v[104:105], -v[112:113]
	;; [unrolled: 8-line block ×28, first 2 shown]
	s_waitcnt lgkmcnt(0)
	v_mul_f64 v[112:113], v[188:189], v[114:115]
	v_fma_f64 v[112:113], v[186:187], v[184:185], -v[112:113]
	v_mul_f64 v[186:187], v[186:187], v[114:115]
	v_fmac_f64_e32 v[186:187], v[188:189], v[184:185]
	v_add_f64 v[180:181], v[180:181], -v[112:113]
	v_add_f64 v[182:183], v[182:183], -v[186:187]
	v_mov_b64_e32 v[112:113], v[184:185]
.LBB91_154:
	s_or_b64 exec, exec, s[2:3]
	v_cmp_eq_u32_e32 vcc, 17, v226
	s_waitcnt vmcnt(63) expcnt(7) lgkmcnt(15)
	s_barrier
	s_and_saveexec_b64 s[4:5], vcc
	s_cbranch_execz .LBB91_161
; %bb.155:
	ds_write2_b64 v224, v[108:109], v[110:111] offset1:1
	ds_write2_b64 v225, v[104:105], v[106:107] offset0:36 offset1:37
	ds_write2_b64 v225, v[100:101], v[102:103] offset0:38 offset1:39
	;; [unrolled: 1-line block ×6, first 2 shown]
	s_waitcnt vmcnt(62)
	ds_write2_b64 v225, v[80:81], v[82:83] offset0:48 offset1:49
	s_waitcnt vmcnt(61)
	ds_write2_b64 v225, v[76:77], v[78:79] offset0:50 offset1:51
	;; [unrolled: 2-line block ×20, first 2 shown]
	ds_write2_b64 v225, v[0:1], v[2:3] offset0:88 offset1:89
	s_waitcnt vmcnt(24)
	ds_write2_b64 v225, v[180:181], v[182:183] offset0:90 offset1:91
	ds_read2_b64 v[184:187], v224 offset1:1
	s_waitcnt lgkmcnt(0)
	v_cmp_neq_f64_e32 vcc, 0, v[184:185]
	v_cmp_neq_f64_e64 s[2:3], 0, v[186:187]
	s_or_b64 s[2:3], vcc, s[2:3]
	s_and_b64 exec, exec, s[2:3]
	s_cbranch_execz .LBB91_161
; %bb.156:
	v_cmp_ngt_f64_e64 s[2:3], |v[184:185]|, |v[186:187]|
                                        ; implicit-def: $vgpr188_vgpr189
	s_and_saveexec_b64 s[10:11], s[2:3]
	s_xor_b64 s[2:3], exec, s[10:11]
                                        ; implicit-def: $vgpr190_vgpr191
	s_cbranch_execz .LBB91_158
; %bb.157:
	v_div_scale_f64 v[188:189], s[10:11], v[186:187], v[186:187], v[184:185]
	v_rcp_f64_e32 v[190:191], v[188:189]
	v_div_scale_f64 v[192:193], vcc, v[184:185], v[186:187], v[184:185]
	v_fma_f64 v[194:195], -v[188:189], v[190:191], 1.0
	v_fmac_f64_e32 v[190:191], v[190:191], v[194:195]
	v_fma_f64 v[194:195], -v[188:189], v[190:191], 1.0
	v_fmac_f64_e32 v[190:191], v[190:191], v[194:195]
	v_mul_f64 v[194:195], v[192:193], v[190:191]
	v_fma_f64 v[188:189], -v[188:189], v[194:195], v[192:193]
	v_div_fmas_f64 v[188:189], v[188:189], v[190:191], v[194:195]
	v_div_fixup_f64 v[188:189], v[188:189], v[186:187], v[184:185]
	v_fmac_f64_e32 v[186:187], v[184:185], v[188:189]
	v_div_scale_f64 v[184:185], s[10:11], v[186:187], v[186:187], 1.0
	v_rcp_f64_e32 v[190:191], v[184:185]
	s_nop 0
	v_fma_f64 v[192:193], -v[184:185], v[190:191], 1.0
	v_fmac_f64_e32 v[190:191], v[190:191], v[192:193]
	v_fma_f64 v[192:193], -v[184:185], v[190:191], 1.0
	v_fmac_f64_e32 v[190:191], v[190:191], v[192:193]
	v_div_scale_f64 v[192:193], vcc, 1.0, v[186:187], 1.0
	v_mul_f64 v[194:195], v[192:193], v[190:191]
	v_fma_f64 v[184:185], -v[184:185], v[194:195], v[192:193]
	s_nop 1
	v_div_fmas_f64 v[184:185], v[184:185], v[190:191], v[194:195]
	v_div_fixup_f64 v[190:191], v[184:185], v[186:187], 1.0
	v_mul_f64 v[188:189], v[188:189], v[190:191]
	v_xor_b32_e32 v191, 0x80000000, v191
                                        ; implicit-def: $vgpr184_vgpr185
.LBB91_158:
	s_andn2_saveexec_b64 s[2:3], s[2:3]
	s_cbranch_execz .LBB91_160
; %bb.159:
	v_div_scale_f64 v[188:189], s[10:11], v[184:185], v[184:185], v[186:187]
	v_rcp_f64_e32 v[190:191], v[188:189]
	v_div_scale_f64 v[192:193], vcc, v[186:187], v[184:185], v[186:187]
	v_fma_f64 v[194:195], -v[188:189], v[190:191], 1.0
	v_fmac_f64_e32 v[190:191], v[190:191], v[194:195]
	v_fma_f64 v[194:195], -v[188:189], v[190:191], 1.0
	v_fmac_f64_e32 v[190:191], v[190:191], v[194:195]
	v_mul_f64 v[194:195], v[192:193], v[190:191]
	v_fma_f64 v[188:189], -v[188:189], v[194:195], v[192:193]
	v_div_fmas_f64 v[188:189], v[188:189], v[190:191], v[194:195]
	v_div_fixup_f64 v[190:191], v[188:189], v[184:185], v[186:187]
	v_fmac_f64_e32 v[184:185], v[186:187], v[190:191]
	v_div_scale_f64 v[186:187], s[10:11], v[184:185], v[184:185], 1.0
	v_rcp_f64_e32 v[188:189], v[186:187]
	s_nop 0
	v_fma_f64 v[192:193], -v[186:187], v[188:189], 1.0
	v_fmac_f64_e32 v[188:189], v[188:189], v[192:193]
	v_fma_f64 v[192:193], -v[186:187], v[188:189], 1.0
	v_fmac_f64_e32 v[188:189], v[188:189], v[192:193]
	v_div_scale_f64 v[192:193], vcc, 1.0, v[184:185], 1.0
	v_mul_f64 v[194:195], v[192:193], v[188:189]
	v_fma_f64 v[186:187], -v[186:187], v[194:195], v[192:193]
	s_nop 1
	v_div_fmas_f64 v[186:187], v[186:187], v[188:189], v[194:195]
	v_div_fixup_f64 v[188:189], v[186:187], v[184:185], 1.0
	v_mul_f64 v[190:191], v[190:191], -v[188:189]
.LBB91_160:
	s_or_b64 exec, exec, s[2:3]
	ds_write2_b64 v224, v[188:189], v[190:191] offset1:1
.LBB91_161:
	s_or_b64 exec, exec, s[4:5]
	s_waitcnt lgkmcnt(0)
	s_barrier
	ds_read2_b64 v[184:187], v224 offset1:1
	v_cmp_lt_u32_e32 vcc, 17, v226
	s_waitcnt lgkmcnt(0)
	scratch_store_dwordx4 off, v[184:187], off offset:552 ; 16-byte Folded Spill
	s_and_saveexec_b64 s[2:3], vcc
	s_cbranch_execz .LBB91_163
; %bb.162:
	scratch_load_dwordx4 v[186:189], off, off offset:552 ; 16-byte Folded Reload
	s_waitcnt vmcnt(0)
	v_mul_f64 v[184:185], v[188:189], v[110:111]
	v_mul_f64 v[110:111], v[186:187], v[110:111]
	v_fma_f64 v[184:185], v[186:187], v[108:109], -v[184:185]
	v_fmac_f64_e32 v[110:111], v[188:189], v[108:109]
	ds_read2_b64 v[186:189], v225 offset0:36 offset1:37
	s_waitcnt lgkmcnt(0)
	v_mul_f64 v[108:109], v[188:189], v[110:111]
	v_fma_f64 v[108:109], v[186:187], v[184:185], -v[108:109]
	v_mul_f64 v[186:187], v[186:187], v[110:111]
	v_fmac_f64_e32 v[186:187], v[188:189], v[184:185]
	v_add_f64 v[106:107], v[106:107], -v[186:187]
	ds_read2_b64 v[186:189], v225 offset0:38 offset1:39
	v_add_f64 v[104:105], v[104:105], -v[108:109]
	s_waitcnt lgkmcnt(0)
	v_mul_f64 v[108:109], v[188:189], v[110:111]
	v_fma_f64 v[108:109], v[186:187], v[184:185], -v[108:109]
	v_mul_f64 v[186:187], v[186:187], v[110:111]
	v_fmac_f64_e32 v[186:187], v[188:189], v[184:185]
	v_add_f64 v[102:103], v[102:103], -v[186:187]
	ds_read2_b64 v[186:189], v225 offset0:40 offset1:41
	v_add_f64 v[100:101], v[100:101], -v[108:109]
	;; [unrolled: 8-line block ×27, first 2 shown]
	s_waitcnt lgkmcnt(0)
	v_mul_f64 v[108:109], v[188:189], v[110:111]
	v_fma_f64 v[108:109], v[186:187], v[184:185], -v[108:109]
	v_mul_f64 v[186:187], v[186:187], v[110:111]
	v_fmac_f64_e32 v[186:187], v[188:189], v[184:185]
	v_add_f64 v[180:181], v[180:181], -v[108:109]
	v_add_f64 v[182:183], v[182:183], -v[186:187]
	v_mov_b64_e32 v[108:109], v[184:185]
.LBB91_163:
	s_or_b64 exec, exec, s[2:3]
	v_cmp_eq_u32_e32 vcc, 18, v226
	s_waitcnt vmcnt(63) expcnt(7) lgkmcnt(15)
	s_barrier
	s_and_saveexec_b64 s[4:5], vcc
	s_cbranch_execz .LBB91_170
; %bb.164:
	ds_write2_b64 v224, v[104:105], v[106:107] offset1:1
	ds_write2_b64 v225, v[100:101], v[102:103] offset0:38 offset1:39
	ds_write2_b64 v225, v[96:97], v[98:99] offset0:40 offset1:41
	;; [unrolled: 1-line block ×6, first 2 shown]
	s_waitcnt vmcnt(62)
	ds_write2_b64 v225, v[76:77], v[78:79] offset0:50 offset1:51
	s_waitcnt vmcnt(61)
	ds_write2_b64 v225, v[72:73], v[74:75] offset0:52 offset1:53
	;; [unrolled: 2-line block ×19, first 2 shown]
	ds_write2_b64 v225, v[0:1], v[2:3] offset0:88 offset1:89
	s_waitcnt vmcnt(25)
	ds_write2_b64 v225, v[180:181], v[182:183] offset0:90 offset1:91
	ds_read2_b64 v[184:187], v224 offset1:1
	s_waitcnt lgkmcnt(0)
	v_cmp_neq_f64_e32 vcc, 0, v[184:185]
	v_cmp_neq_f64_e64 s[2:3], 0, v[186:187]
	s_or_b64 s[2:3], vcc, s[2:3]
	s_and_b64 exec, exec, s[2:3]
	s_cbranch_execz .LBB91_170
; %bb.165:
	v_cmp_ngt_f64_e64 s[2:3], |v[184:185]|, |v[186:187]|
                                        ; implicit-def: $vgpr188_vgpr189
	s_and_saveexec_b64 s[10:11], s[2:3]
	s_xor_b64 s[2:3], exec, s[10:11]
                                        ; implicit-def: $vgpr190_vgpr191
	s_cbranch_execz .LBB91_167
; %bb.166:
	v_div_scale_f64 v[188:189], s[10:11], v[186:187], v[186:187], v[184:185]
	v_rcp_f64_e32 v[190:191], v[188:189]
	v_div_scale_f64 v[192:193], vcc, v[184:185], v[186:187], v[184:185]
	v_fma_f64 v[194:195], -v[188:189], v[190:191], 1.0
	v_fmac_f64_e32 v[190:191], v[190:191], v[194:195]
	v_fma_f64 v[194:195], -v[188:189], v[190:191], 1.0
	v_fmac_f64_e32 v[190:191], v[190:191], v[194:195]
	v_mul_f64 v[194:195], v[192:193], v[190:191]
	v_fma_f64 v[188:189], -v[188:189], v[194:195], v[192:193]
	v_div_fmas_f64 v[188:189], v[188:189], v[190:191], v[194:195]
	v_div_fixup_f64 v[188:189], v[188:189], v[186:187], v[184:185]
	v_fmac_f64_e32 v[186:187], v[184:185], v[188:189]
	v_div_scale_f64 v[184:185], s[10:11], v[186:187], v[186:187], 1.0
	v_rcp_f64_e32 v[190:191], v[184:185]
	s_nop 0
	v_fma_f64 v[192:193], -v[184:185], v[190:191], 1.0
	v_fmac_f64_e32 v[190:191], v[190:191], v[192:193]
	v_fma_f64 v[192:193], -v[184:185], v[190:191], 1.0
	v_fmac_f64_e32 v[190:191], v[190:191], v[192:193]
	v_div_scale_f64 v[192:193], vcc, 1.0, v[186:187], 1.0
	v_mul_f64 v[194:195], v[192:193], v[190:191]
	v_fma_f64 v[184:185], -v[184:185], v[194:195], v[192:193]
	s_nop 1
	v_div_fmas_f64 v[184:185], v[184:185], v[190:191], v[194:195]
	v_div_fixup_f64 v[190:191], v[184:185], v[186:187], 1.0
	v_mul_f64 v[188:189], v[188:189], v[190:191]
	v_xor_b32_e32 v191, 0x80000000, v191
                                        ; implicit-def: $vgpr184_vgpr185
.LBB91_167:
	s_andn2_saveexec_b64 s[2:3], s[2:3]
	s_cbranch_execz .LBB91_169
; %bb.168:
	v_div_scale_f64 v[188:189], s[10:11], v[184:185], v[184:185], v[186:187]
	v_rcp_f64_e32 v[190:191], v[188:189]
	v_div_scale_f64 v[192:193], vcc, v[186:187], v[184:185], v[186:187]
	v_fma_f64 v[194:195], -v[188:189], v[190:191], 1.0
	v_fmac_f64_e32 v[190:191], v[190:191], v[194:195]
	v_fma_f64 v[194:195], -v[188:189], v[190:191], 1.0
	v_fmac_f64_e32 v[190:191], v[190:191], v[194:195]
	v_mul_f64 v[194:195], v[192:193], v[190:191]
	v_fma_f64 v[188:189], -v[188:189], v[194:195], v[192:193]
	v_div_fmas_f64 v[188:189], v[188:189], v[190:191], v[194:195]
	v_div_fixup_f64 v[190:191], v[188:189], v[184:185], v[186:187]
	v_fmac_f64_e32 v[184:185], v[186:187], v[190:191]
	v_div_scale_f64 v[186:187], s[10:11], v[184:185], v[184:185], 1.0
	v_rcp_f64_e32 v[188:189], v[186:187]
	s_nop 0
	v_fma_f64 v[192:193], -v[186:187], v[188:189], 1.0
	v_fmac_f64_e32 v[188:189], v[188:189], v[192:193]
	v_fma_f64 v[192:193], -v[186:187], v[188:189], 1.0
	v_fmac_f64_e32 v[188:189], v[188:189], v[192:193]
	v_div_scale_f64 v[192:193], vcc, 1.0, v[184:185], 1.0
	v_mul_f64 v[194:195], v[192:193], v[188:189]
	v_fma_f64 v[186:187], -v[186:187], v[194:195], v[192:193]
	s_nop 1
	v_div_fmas_f64 v[186:187], v[186:187], v[188:189], v[194:195]
	v_div_fixup_f64 v[188:189], v[186:187], v[184:185], 1.0
	v_mul_f64 v[190:191], v[190:191], -v[188:189]
.LBB91_169:
	s_or_b64 exec, exec, s[2:3]
	ds_write2_b64 v224, v[188:189], v[190:191] offset1:1
.LBB91_170:
	s_or_b64 exec, exec, s[4:5]
	s_waitcnt lgkmcnt(0)
	s_barrier
	ds_read2_b64 v[184:187], v224 offset1:1
	v_cmp_lt_u32_e32 vcc, 18, v226
	s_waitcnt lgkmcnt(0)
	scratch_store_dwordx4 off, v[184:187], off offset:568 ; 16-byte Folded Spill
	s_and_saveexec_b64 s[2:3], vcc
	s_cbranch_execz .LBB91_172
; %bb.171:
	scratch_load_dwordx4 v[186:189], off, off offset:568 ; 16-byte Folded Reload
	s_waitcnt vmcnt(0)
	v_mul_f64 v[184:185], v[188:189], v[106:107]
	v_mul_f64 v[106:107], v[186:187], v[106:107]
	v_fma_f64 v[184:185], v[186:187], v[104:105], -v[184:185]
	v_fmac_f64_e32 v[106:107], v[188:189], v[104:105]
	ds_read2_b64 v[186:189], v225 offset0:38 offset1:39
	s_waitcnt lgkmcnt(0)
	v_mul_f64 v[104:105], v[188:189], v[106:107]
	v_fma_f64 v[104:105], v[186:187], v[184:185], -v[104:105]
	v_mul_f64 v[186:187], v[186:187], v[106:107]
	v_fmac_f64_e32 v[186:187], v[188:189], v[184:185]
	v_add_f64 v[102:103], v[102:103], -v[186:187]
	ds_read2_b64 v[186:189], v225 offset0:40 offset1:41
	v_add_f64 v[100:101], v[100:101], -v[104:105]
	s_waitcnt lgkmcnt(0)
	v_mul_f64 v[104:105], v[188:189], v[106:107]
	v_fma_f64 v[104:105], v[186:187], v[184:185], -v[104:105]
	v_mul_f64 v[186:187], v[186:187], v[106:107]
	v_fmac_f64_e32 v[186:187], v[188:189], v[184:185]
	v_add_f64 v[98:99], v[98:99], -v[186:187]
	ds_read2_b64 v[186:189], v225 offset0:42 offset1:43
	v_add_f64 v[96:97], v[96:97], -v[104:105]
	;; [unrolled: 8-line block ×26, first 2 shown]
	s_waitcnt lgkmcnt(0)
	v_mul_f64 v[104:105], v[188:189], v[106:107]
	v_fma_f64 v[104:105], v[186:187], v[184:185], -v[104:105]
	v_mul_f64 v[186:187], v[186:187], v[106:107]
	v_fmac_f64_e32 v[186:187], v[188:189], v[184:185]
	v_add_f64 v[180:181], v[180:181], -v[104:105]
	v_add_f64 v[182:183], v[182:183], -v[186:187]
	v_mov_b64_e32 v[104:105], v[184:185]
.LBB91_172:
	s_or_b64 exec, exec, s[2:3]
	v_cmp_eq_u32_e32 vcc, 19, v226
	s_waitcnt vmcnt(63) expcnt(7) lgkmcnt(15)
	s_barrier
	s_and_saveexec_b64 s[4:5], vcc
	s_cbranch_execz .LBB91_179
; %bb.173:
	ds_write2_b64 v224, v[100:101], v[102:103] offset1:1
	ds_write2_b64 v225, v[96:97], v[98:99] offset0:40 offset1:41
	ds_write2_b64 v225, v[92:93], v[94:95] offset0:42 offset1:43
	;; [unrolled: 1-line block ×6, first 2 shown]
	s_waitcnt vmcnt(62)
	ds_write2_b64 v225, v[72:73], v[74:75] offset0:52 offset1:53
	s_waitcnt vmcnt(61)
	ds_write2_b64 v225, v[68:69], v[70:71] offset0:54 offset1:55
	;; [unrolled: 2-line block ×18, first 2 shown]
	ds_write2_b64 v225, v[0:1], v[2:3] offset0:88 offset1:89
	s_waitcnt vmcnt(26)
	ds_write2_b64 v225, v[180:181], v[182:183] offset0:90 offset1:91
	ds_read2_b64 v[184:187], v224 offset1:1
	s_waitcnt lgkmcnt(0)
	v_cmp_neq_f64_e32 vcc, 0, v[184:185]
	v_cmp_neq_f64_e64 s[2:3], 0, v[186:187]
	s_or_b64 s[2:3], vcc, s[2:3]
	s_and_b64 exec, exec, s[2:3]
	s_cbranch_execz .LBB91_179
; %bb.174:
	v_cmp_ngt_f64_e64 s[2:3], |v[184:185]|, |v[186:187]|
                                        ; implicit-def: $vgpr188_vgpr189
	s_and_saveexec_b64 s[10:11], s[2:3]
	s_xor_b64 s[2:3], exec, s[10:11]
                                        ; implicit-def: $vgpr190_vgpr191
	s_cbranch_execz .LBB91_176
; %bb.175:
	v_div_scale_f64 v[188:189], s[10:11], v[186:187], v[186:187], v[184:185]
	v_rcp_f64_e32 v[190:191], v[188:189]
	v_div_scale_f64 v[192:193], vcc, v[184:185], v[186:187], v[184:185]
	v_fma_f64 v[194:195], -v[188:189], v[190:191], 1.0
	v_fmac_f64_e32 v[190:191], v[190:191], v[194:195]
	v_fma_f64 v[194:195], -v[188:189], v[190:191], 1.0
	v_fmac_f64_e32 v[190:191], v[190:191], v[194:195]
	v_mul_f64 v[194:195], v[192:193], v[190:191]
	v_fma_f64 v[188:189], -v[188:189], v[194:195], v[192:193]
	v_div_fmas_f64 v[188:189], v[188:189], v[190:191], v[194:195]
	v_div_fixup_f64 v[188:189], v[188:189], v[186:187], v[184:185]
	v_fmac_f64_e32 v[186:187], v[184:185], v[188:189]
	v_div_scale_f64 v[184:185], s[10:11], v[186:187], v[186:187], 1.0
	v_rcp_f64_e32 v[190:191], v[184:185]
	s_nop 0
	v_fma_f64 v[192:193], -v[184:185], v[190:191], 1.0
	v_fmac_f64_e32 v[190:191], v[190:191], v[192:193]
	v_fma_f64 v[192:193], -v[184:185], v[190:191], 1.0
	v_fmac_f64_e32 v[190:191], v[190:191], v[192:193]
	v_div_scale_f64 v[192:193], vcc, 1.0, v[186:187], 1.0
	v_mul_f64 v[194:195], v[192:193], v[190:191]
	v_fma_f64 v[184:185], -v[184:185], v[194:195], v[192:193]
	s_nop 1
	v_div_fmas_f64 v[184:185], v[184:185], v[190:191], v[194:195]
	v_div_fixup_f64 v[190:191], v[184:185], v[186:187], 1.0
	v_mul_f64 v[188:189], v[188:189], v[190:191]
	v_xor_b32_e32 v191, 0x80000000, v191
                                        ; implicit-def: $vgpr184_vgpr185
.LBB91_176:
	s_andn2_saveexec_b64 s[2:3], s[2:3]
	s_cbranch_execz .LBB91_178
; %bb.177:
	v_div_scale_f64 v[188:189], s[10:11], v[184:185], v[184:185], v[186:187]
	v_rcp_f64_e32 v[190:191], v[188:189]
	v_div_scale_f64 v[192:193], vcc, v[186:187], v[184:185], v[186:187]
	v_fma_f64 v[194:195], -v[188:189], v[190:191], 1.0
	v_fmac_f64_e32 v[190:191], v[190:191], v[194:195]
	v_fma_f64 v[194:195], -v[188:189], v[190:191], 1.0
	v_fmac_f64_e32 v[190:191], v[190:191], v[194:195]
	v_mul_f64 v[194:195], v[192:193], v[190:191]
	v_fma_f64 v[188:189], -v[188:189], v[194:195], v[192:193]
	v_div_fmas_f64 v[188:189], v[188:189], v[190:191], v[194:195]
	v_div_fixup_f64 v[190:191], v[188:189], v[184:185], v[186:187]
	v_fmac_f64_e32 v[184:185], v[186:187], v[190:191]
	v_div_scale_f64 v[186:187], s[10:11], v[184:185], v[184:185], 1.0
	v_rcp_f64_e32 v[188:189], v[186:187]
	s_nop 0
	v_fma_f64 v[192:193], -v[186:187], v[188:189], 1.0
	v_fmac_f64_e32 v[188:189], v[188:189], v[192:193]
	v_fma_f64 v[192:193], -v[186:187], v[188:189], 1.0
	v_fmac_f64_e32 v[188:189], v[188:189], v[192:193]
	v_div_scale_f64 v[192:193], vcc, 1.0, v[184:185], 1.0
	v_mul_f64 v[194:195], v[192:193], v[188:189]
	v_fma_f64 v[186:187], -v[186:187], v[194:195], v[192:193]
	s_nop 1
	v_div_fmas_f64 v[186:187], v[186:187], v[188:189], v[194:195]
	v_div_fixup_f64 v[188:189], v[186:187], v[184:185], 1.0
	v_mul_f64 v[190:191], v[190:191], -v[188:189]
.LBB91_178:
	s_or_b64 exec, exec, s[2:3]
	ds_write2_b64 v224, v[188:189], v[190:191] offset1:1
.LBB91_179:
	s_or_b64 exec, exec, s[4:5]
	s_waitcnt lgkmcnt(0)
	s_barrier
	ds_read2_b64 v[184:187], v224 offset1:1
	v_cmp_lt_u32_e32 vcc, 19, v226
	s_waitcnt lgkmcnt(0)
	scratch_store_dwordx4 off, v[184:187], off offset:584 ; 16-byte Folded Spill
	s_and_saveexec_b64 s[2:3], vcc
	s_cbranch_execz .LBB91_181
; %bb.180:
	scratch_load_dwordx4 v[186:189], off, off offset:584 ; 16-byte Folded Reload
	s_waitcnt vmcnt(0)
	v_mul_f64 v[184:185], v[188:189], v[102:103]
	v_mul_f64 v[102:103], v[186:187], v[102:103]
	v_fma_f64 v[184:185], v[186:187], v[100:101], -v[184:185]
	v_fmac_f64_e32 v[102:103], v[188:189], v[100:101]
	ds_read2_b64 v[186:189], v225 offset0:40 offset1:41
	s_waitcnt lgkmcnt(0)
	v_mul_f64 v[100:101], v[188:189], v[102:103]
	v_fma_f64 v[100:101], v[186:187], v[184:185], -v[100:101]
	v_mul_f64 v[186:187], v[186:187], v[102:103]
	v_fmac_f64_e32 v[186:187], v[188:189], v[184:185]
	v_add_f64 v[98:99], v[98:99], -v[186:187]
	ds_read2_b64 v[186:189], v225 offset0:42 offset1:43
	v_add_f64 v[96:97], v[96:97], -v[100:101]
	s_waitcnt lgkmcnt(0)
	v_mul_f64 v[100:101], v[188:189], v[102:103]
	v_fma_f64 v[100:101], v[186:187], v[184:185], -v[100:101]
	v_mul_f64 v[186:187], v[186:187], v[102:103]
	v_fmac_f64_e32 v[186:187], v[188:189], v[184:185]
	v_add_f64 v[94:95], v[94:95], -v[186:187]
	ds_read2_b64 v[186:189], v225 offset0:44 offset1:45
	v_add_f64 v[92:93], v[92:93], -v[100:101]
	;; [unrolled: 8-line block ×25, first 2 shown]
	s_waitcnt lgkmcnt(0)
	v_mul_f64 v[100:101], v[188:189], v[102:103]
	v_fma_f64 v[100:101], v[186:187], v[184:185], -v[100:101]
	v_mul_f64 v[186:187], v[186:187], v[102:103]
	v_fmac_f64_e32 v[186:187], v[188:189], v[184:185]
	v_add_f64 v[180:181], v[180:181], -v[100:101]
	v_add_f64 v[182:183], v[182:183], -v[186:187]
	v_mov_b64_e32 v[100:101], v[184:185]
.LBB91_181:
	s_or_b64 exec, exec, s[2:3]
	v_cmp_eq_u32_e32 vcc, 20, v226
	s_waitcnt vmcnt(63) expcnt(7) lgkmcnt(15)
	s_barrier
	s_and_saveexec_b64 s[4:5], vcc
	s_cbranch_execz .LBB91_188
; %bb.182:
	ds_write2_b64 v224, v[96:97], v[98:99] offset1:1
	ds_write2_b64 v225, v[92:93], v[94:95] offset0:42 offset1:43
	ds_write2_b64 v225, v[88:89], v[90:91] offset0:44 offset1:45
	;; [unrolled: 1-line block ×6, first 2 shown]
	s_waitcnt vmcnt(62)
	ds_write2_b64 v225, v[68:69], v[70:71] offset0:54 offset1:55
	s_waitcnt vmcnt(61)
	ds_write2_b64 v225, v[64:65], v[66:67] offset0:56 offset1:57
	;; [unrolled: 2-line block ×17, first 2 shown]
	ds_write2_b64 v225, v[0:1], v[2:3] offset0:88 offset1:89
	s_waitcnt vmcnt(27)
	ds_write2_b64 v225, v[180:181], v[182:183] offset0:90 offset1:91
	ds_read2_b64 v[184:187], v224 offset1:1
	s_waitcnt lgkmcnt(0)
	v_cmp_neq_f64_e32 vcc, 0, v[184:185]
	v_cmp_neq_f64_e64 s[2:3], 0, v[186:187]
	s_or_b64 s[2:3], vcc, s[2:3]
	s_and_b64 exec, exec, s[2:3]
	s_cbranch_execz .LBB91_188
; %bb.183:
	v_cmp_ngt_f64_e64 s[2:3], |v[184:185]|, |v[186:187]|
                                        ; implicit-def: $vgpr188_vgpr189
	s_and_saveexec_b64 s[10:11], s[2:3]
	s_xor_b64 s[2:3], exec, s[10:11]
                                        ; implicit-def: $vgpr190_vgpr191
	s_cbranch_execz .LBB91_185
; %bb.184:
	v_div_scale_f64 v[188:189], s[10:11], v[186:187], v[186:187], v[184:185]
	v_rcp_f64_e32 v[190:191], v[188:189]
	v_div_scale_f64 v[192:193], vcc, v[184:185], v[186:187], v[184:185]
	v_fma_f64 v[194:195], -v[188:189], v[190:191], 1.0
	v_fmac_f64_e32 v[190:191], v[190:191], v[194:195]
	v_fma_f64 v[194:195], -v[188:189], v[190:191], 1.0
	v_fmac_f64_e32 v[190:191], v[190:191], v[194:195]
	v_mul_f64 v[194:195], v[192:193], v[190:191]
	v_fma_f64 v[188:189], -v[188:189], v[194:195], v[192:193]
	v_div_fmas_f64 v[188:189], v[188:189], v[190:191], v[194:195]
	v_div_fixup_f64 v[188:189], v[188:189], v[186:187], v[184:185]
	v_fmac_f64_e32 v[186:187], v[184:185], v[188:189]
	v_div_scale_f64 v[184:185], s[10:11], v[186:187], v[186:187], 1.0
	v_rcp_f64_e32 v[190:191], v[184:185]
	s_nop 0
	v_fma_f64 v[192:193], -v[184:185], v[190:191], 1.0
	v_fmac_f64_e32 v[190:191], v[190:191], v[192:193]
	v_fma_f64 v[192:193], -v[184:185], v[190:191], 1.0
	v_fmac_f64_e32 v[190:191], v[190:191], v[192:193]
	v_div_scale_f64 v[192:193], vcc, 1.0, v[186:187], 1.0
	v_mul_f64 v[194:195], v[192:193], v[190:191]
	v_fma_f64 v[184:185], -v[184:185], v[194:195], v[192:193]
	s_nop 1
	v_div_fmas_f64 v[184:185], v[184:185], v[190:191], v[194:195]
	v_div_fixup_f64 v[190:191], v[184:185], v[186:187], 1.0
	v_mul_f64 v[188:189], v[188:189], v[190:191]
	v_xor_b32_e32 v191, 0x80000000, v191
                                        ; implicit-def: $vgpr184_vgpr185
.LBB91_185:
	s_andn2_saveexec_b64 s[2:3], s[2:3]
	s_cbranch_execz .LBB91_187
; %bb.186:
	v_div_scale_f64 v[188:189], s[10:11], v[184:185], v[184:185], v[186:187]
	v_rcp_f64_e32 v[190:191], v[188:189]
	v_div_scale_f64 v[192:193], vcc, v[186:187], v[184:185], v[186:187]
	v_fma_f64 v[194:195], -v[188:189], v[190:191], 1.0
	v_fmac_f64_e32 v[190:191], v[190:191], v[194:195]
	v_fma_f64 v[194:195], -v[188:189], v[190:191], 1.0
	v_fmac_f64_e32 v[190:191], v[190:191], v[194:195]
	v_mul_f64 v[194:195], v[192:193], v[190:191]
	v_fma_f64 v[188:189], -v[188:189], v[194:195], v[192:193]
	v_div_fmas_f64 v[188:189], v[188:189], v[190:191], v[194:195]
	v_div_fixup_f64 v[190:191], v[188:189], v[184:185], v[186:187]
	v_fmac_f64_e32 v[184:185], v[186:187], v[190:191]
	v_div_scale_f64 v[186:187], s[10:11], v[184:185], v[184:185], 1.0
	v_rcp_f64_e32 v[188:189], v[186:187]
	s_nop 0
	v_fma_f64 v[192:193], -v[186:187], v[188:189], 1.0
	v_fmac_f64_e32 v[188:189], v[188:189], v[192:193]
	v_fma_f64 v[192:193], -v[186:187], v[188:189], 1.0
	v_fmac_f64_e32 v[188:189], v[188:189], v[192:193]
	v_div_scale_f64 v[192:193], vcc, 1.0, v[184:185], 1.0
	v_mul_f64 v[194:195], v[192:193], v[188:189]
	v_fma_f64 v[186:187], -v[186:187], v[194:195], v[192:193]
	s_nop 1
	v_div_fmas_f64 v[186:187], v[186:187], v[188:189], v[194:195]
	v_div_fixup_f64 v[188:189], v[186:187], v[184:185], 1.0
	v_mul_f64 v[190:191], v[190:191], -v[188:189]
.LBB91_187:
	s_or_b64 exec, exec, s[2:3]
	ds_write2_b64 v224, v[188:189], v[190:191] offset1:1
.LBB91_188:
	s_or_b64 exec, exec, s[4:5]
	s_waitcnt lgkmcnt(0)
	s_barrier
	ds_read2_b64 v[184:187], v224 offset1:1
	v_cmp_lt_u32_e32 vcc, 20, v226
	s_waitcnt lgkmcnt(0)
	scratch_store_dwordx4 off, v[184:187], off offset:600 ; 16-byte Folded Spill
	s_and_saveexec_b64 s[2:3], vcc
	s_cbranch_execz .LBB91_190
; %bb.189:
	scratch_load_dwordx4 v[186:189], off, off offset:600 ; 16-byte Folded Reload
	s_waitcnt vmcnt(0)
	v_mul_f64 v[184:185], v[188:189], v[98:99]
	v_mul_f64 v[98:99], v[186:187], v[98:99]
	v_fma_f64 v[184:185], v[186:187], v[96:97], -v[184:185]
	v_fmac_f64_e32 v[98:99], v[188:189], v[96:97]
	ds_read2_b64 v[186:189], v225 offset0:42 offset1:43
	s_waitcnt lgkmcnt(0)
	v_mul_f64 v[96:97], v[188:189], v[98:99]
	v_fma_f64 v[96:97], v[186:187], v[184:185], -v[96:97]
	v_mul_f64 v[186:187], v[186:187], v[98:99]
	v_fmac_f64_e32 v[186:187], v[188:189], v[184:185]
	v_add_f64 v[94:95], v[94:95], -v[186:187]
	ds_read2_b64 v[186:189], v225 offset0:44 offset1:45
	v_add_f64 v[92:93], v[92:93], -v[96:97]
	s_waitcnt lgkmcnt(0)
	v_mul_f64 v[96:97], v[188:189], v[98:99]
	v_fma_f64 v[96:97], v[186:187], v[184:185], -v[96:97]
	v_mul_f64 v[186:187], v[186:187], v[98:99]
	v_fmac_f64_e32 v[186:187], v[188:189], v[184:185]
	v_add_f64 v[90:91], v[90:91], -v[186:187]
	ds_read2_b64 v[186:189], v225 offset0:46 offset1:47
	v_add_f64 v[88:89], v[88:89], -v[96:97]
	;; [unrolled: 8-line block ×24, first 2 shown]
	s_waitcnt lgkmcnt(0)
	v_mul_f64 v[96:97], v[188:189], v[98:99]
	v_fma_f64 v[96:97], v[186:187], v[184:185], -v[96:97]
	v_mul_f64 v[186:187], v[186:187], v[98:99]
	v_fmac_f64_e32 v[186:187], v[188:189], v[184:185]
	v_add_f64 v[180:181], v[180:181], -v[96:97]
	v_add_f64 v[182:183], v[182:183], -v[186:187]
	v_mov_b64_e32 v[96:97], v[184:185]
.LBB91_190:
	s_or_b64 exec, exec, s[2:3]
	v_cmp_eq_u32_e32 vcc, 21, v226
	s_waitcnt vmcnt(63) expcnt(7) lgkmcnt(15)
	s_barrier
	s_and_saveexec_b64 s[4:5], vcc
	s_cbranch_execz .LBB91_197
; %bb.191:
	ds_write2_b64 v224, v[92:93], v[94:95] offset1:1
	ds_write2_b64 v225, v[88:89], v[90:91] offset0:44 offset1:45
	ds_write2_b64 v225, v[84:85], v[86:87] offset0:46 offset1:47
	;; [unrolled: 1-line block ×6, first 2 shown]
	s_waitcnt vmcnt(62)
	ds_write2_b64 v225, v[64:65], v[66:67] offset0:56 offset1:57
	s_waitcnt vmcnt(61)
	ds_write2_b64 v225, v[60:61], v[62:63] offset0:58 offset1:59
	;; [unrolled: 2-line block ×16, first 2 shown]
	ds_write2_b64 v225, v[0:1], v[2:3] offset0:88 offset1:89
	s_waitcnt vmcnt(28)
	ds_write2_b64 v225, v[180:181], v[182:183] offset0:90 offset1:91
	ds_read2_b64 v[184:187], v224 offset1:1
	s_waitcnt lgkmcnt(0)
	v_cmp_neq_f64_e32 vcc, 0, v[184:185]
	v_cmp_neq_f64_e64 s[2:3], 0, v[186:187]
	s_or_b64 s[2:3], vcc, s[2:3]
	s_and_b64 exec, exec, s[2:3]
	s_cbranch_execz .LBB91_197
; %bb.192:
	v_cmp_ngt_f64_e64 s[2:3], |v[184:185]|, |v[186:187]|
                                        ; implicit-def: $vgpr188_vgpr189
	s_and_saveexec_b64 s[10:11], s[2:3]
	s_xor_b64 s[2:3], exec, s[10:11]
                                        ; implicit-def: $vgpr190_vgpr191
	s_cbranch_execz .LBB91_194
; %bb.193:
	v_div_scale_f64 v[188:189], s[10:11], v[186:187], v[186:187], v[184:185]
	v_rcp_f64_e32 v[190:191], v[188:189]
	v_div_scale_f64 v[192:193], vcc, v[184:185], v[186:187], v[184:185]
	v_fma_f64 v[194:195], -v[188:189], v[190:191], 1.0
	v_fmac_f64_e32 v[190:191], v[190:191], v[194:195]
	v_fma_f64 v[194:195], -v[188:189], v[190:191], 1.0
	v_fmac_f64_e32 v[190:191], v[190:191], v[194:195]
	v_mul_f64 v[194:195], v[192:193], v[190:191]
	v_fma_f64 v[188:189], -v[188:189], v[194:195], v[192:193]
	v_div_fmas_f64 v[188:189], v[188:189], v[190:191], v[194:195]
	v_div_fixup_f64 v[188:189], v[188:189], v[186:187], v[184:185]
	v_fmac_f64_e32 v[186:187], v[184:185], v[188:189]
	v_div_scale_f64 v[184:185], s[10:11], v[186:187], v[186:187], 1.0
	v_rcp_f64_e32 v[190:191], v[184:185]
	s_nop 0
	v_fma_f64 v[192:193], -v[184:185], v[190:191], 1.0
	v_fmac_f64_e32 v[190:191], v[190:191], v[192:193]
	v_fma_f64 v[192:193], -v[184:185], v[190:191], 1.0
	v_fmac_f64_e32 v[190:191], v[190:191], v[192:193]
	v_div_scale_f64 v[192:193], vcc, 1.0, v[186:187], 1.0
	v_mul_f64 v[194:195], v[192:193], v[190:191]
	v_fma_f64 v[184:185], -v[184:185], v[194:195], v[192:193]
	s_nop 1
	v_div_fmas_f64 v[184:185], v[184:185], v[190:191], v[194:195]
	v_div_fixup_f64 v[190:191], v[184:185], v[186:187], 1.0
	v_mul_f64 v[188:189], v[188:189], v[190:191]
	v_xor_b32_e32 v191, 0x80000000, v191
                                        ; implicit-def: $vgpr184_vgpr185
.LBB91_194:
	s_andn2_saveexec_b64 s[2:3], s[2:3]
	s_cbranch_execz .LBB91_196
; %bb.195:
	v_div_scale_f64 v[188:189], s[10:11], v[184:185], v[184:185], v[186:187]
	v_rcp_f64_e32 v[190:191], v[188:189]
	v_div_scale_f64 v[192:193], vcc, v[186:187], v[184:185], v[186:187]
	v_fma_f64 v[194:195], -v[188:189], v[190:191], 1.0
	v_fmac_f64_e32 v[190:191], v[190:191], v[194:195]
	v_fma_f64 v[194:195], -v[188:189], v[190:191], 1.0
	v_fmac_f64_e32 v[190:191], v[190:191], v[194:195]
	v_mul_f64 v[194:195], v[192:193], v[190:191]
	v_fma_f64 v[188:189], -v[188:189], v[194:195], v[192:193]
	v_div_fmas_f64 v[188:189], v[188:189], v[190:191], v[194:195]
	v_div_fixup_f64 v[190:191], v[188:189], v[184:185], v[186:187]
	v_fmac_f64_e32 v[184:185], v[186:187], v[190:191]
	v_div_scale_f64 v[186:187], s[10:11], v[184:185], v[184:185], 1.0
	v_rcp_f64_e32 v[188:189], v[186:187]
	s_nop 0
	v_fma_f64 v[192:193], -v[186:187], v[188:189], 1.0
	v_fmac_f64_e32 v[188:189], v[188:189], v[192:193]
	v_fma_f64 v[192:193], -v[186:187], v[188:189], 1.0
	v_fmac_f64_e32 v[188:189], v[188:189], v[192:193]
	v_div_scale_f64 v[192:193], vcc, 1.0, v[184:185], 1.0
	v_mul_f64 v[194:195], v[192:193], v[188:189]
	v_fma_f64 v[186:187], -v[186:187], v[194:195], v[192:193]
	s_nop 1
	v_div_fmas_f64 v[186:187], v[186:187], v[188:189], v[194:195]
	v_div_fixup_f64 v[188:189], v[186:187], v[184:185], 1.0
	v_mul_f64 v[190:191], v[190:191], -v[188:189]
.LBB91_196:
	s_or_b64 exec, exec, s[2:3]
	ds_write2_b64 v224, v[188:189], v[190:191] offset1:1
.LBB91_197:
	s_or_b64 exec, exec, s[4:5]
	s_waitcnt lgkmcnt(0)
	s_barrier
	ds_read2_b64 v[184:187], v224 offset1:1
	v_cmp_lt_u32_e32 vcc, 21, v226
	s_waitcnt lgkmcnt(0)
	scratch_store_dwordx4 off, v[184:187], off offset:616 ; 16-byte Folded Spill
	s_and_saveexec_b64 s[2:3], vcc
	s_cbranch_execz .LBB91_199
; %bb.198:
	scratch_load_dwordx4 v[186:189], off, off offset:616 ; 16-byte Folded Reload
	s_waitcnt vmcnt(0)
	v_mul_f64 v[184:185], v[188:189], v[94:95]
	v_mul_f64 v[94:95], v[186:187], v[94:95]
	v_fma_f64 v[184:185], v[186:187], v[92:93], -v[184:185]
	v_fmac_f64_e32 v[94:95], v[188:189], v[92:93]
	ds_read2_b64 v[186:189], v225 offset0:44 offset1:45
	s_waitcnt lgkmcnt(0)
	v_mul_f64 v[92:93], v[188:189], v[94:95]
	v_fma_f64 v[92:93], v[186:187], v[184:185], -v[92:93]
	v_mul_f64 v[186:187], v[186:187], v[94:95]
	v_fmac_f64_e32 v[186:187], v[188:189], v[184:185]
	v_add_f64 v[90:91], v[90:91], -v[186:187]
	ds_read2_b64 v[186:189], v225 offset0:46 offset1:47
	v_add_f64 v[88:89], v[88:89], -v[92:93]
	s_waitcnt lgkmcnt(0)
	v_mul_f64 v[92:93], v[188:189], v[94:95]
	v_fma_f64 v[92:93], v[186:187], v[184:185], -v[92:93]
	v_mul_f64 v[186:187], v[186:187], v[94:95]
	v_fmac_f64_e32 v[186:187], v[188:189], v[184:185]
	v_add_f64 v[86:87], v[86:87], -v[186:187]
	ds_read2_b64 v[186:189], v225 offset0:48 offset1:49
	v_add_f64 v[84:85], v[84:85], -v[92:93]
	s_waitcnt lgkmcnt(0)
	v_mul_f64 v[92:93], v[188:189], v[94:95]
	v_fma_f64 v[92:93], v[186:187], v[184:185], -v[92:93]
	v_mul_f64 v[186:187], v[186:187], v[94:95]
	v_fmac_f64_e32 v[186:187], v[188:189], v[184:185]
	v_add_f64 v[82:83], v[82:83], -v[186:187]
	ds_read2_b64 v[186:189], v225 offset0:50 offset1:51
	v_add_f64 v[80:81], v[80:81], -v[92:93]
	s_waitcnt lgkmcnt(0)
	v_mul_f64 v[92:93], v[188:189], v[94:95]
	v_fma_f64 v[92:93], v[186:187], v[184:185], -v[92:93]
	v_mul_f64 v[186:187], v[186:187], v[94:95]
	v_fmac_f64_e32 v[186:187], v[188:189], v[184:185]
	v_add_f64 v[78:79], v[78:79], -v[186:187]
	ds_read2_b64 v[186:189], v225 offset0:52 offset1:53
	v_add_f64 v[76:77], v[76:77], -v[92:93]
	s_waitcnt lgkmcnt(0)
	v_mul_f64 v[92:93], v[188:189], v[94:95]
	v_fma_f64 v[92:93], v[186:187], v[184:185], -v[92:93]
	v_mul_f64 v[186:187], v[186:187], v[94:95]
	v_fmac_f64_e32 v[186:187], v[188:189], v[184:185]
	v_add_f64 v[74:75], v[74:75], -v[186:187]
	ds_read2_b64 v[186:189], v225 offset0:54 offset1:55
	v_add_f64 v[72:73], v[72:73], -v[92:93]
	s_waitcnt lgkmcnt(0)
	v_mul_f64 v[92:93], v[188:189], v[94:95]
	v_fma_f64 v[92:93], v[186:187], v[184:185], -v[92:93]
	v_mul_f64 v[186:187], v[186:187], v[94:95]
	v_fmac_f64_e32 v[186:187], v[188:189], v[184:185]
	v_add_f64 v[70:71], v[70:71], -v[186:187]
	ds_read2_b64 v[186:189], v225 offset0:56 offset1:57
	v_add_f64 v[68:69], v[68:69], -v[92:93]
	s_waitcnt lgkmcnt(0)
	v_mul_f64 v[92:93], v[188:189], v[94:95]
	v_fma_f64 v[92:93], v[186:187], v[184:185], -v[92:93]
	v_mul_f64 v[186:187], v[186:187], v[94:95]
	v_fmac_f64_e32 v[186:187], v[188:189], v[184:185]
	v_add_f64 v[66:67], v[66:67], -v[186:187]
	ds_read2_b64 v[186:189], v225 offset0:58 offset1:59
	v_add_f64 v[64:65], v[64:65], -v[92:93]
	s_waitcnt lgkmcnt(0)
	v_mul_f64 v[92:93], v[188:189], v[94:95]
	v_fma_f64 v[92:93], v[186:187], v[184:185], -v[92:93]
	v_mul_f64 v[186:187], v[186:187], v[94:95]
	v_fmac_f64_e32 v[186:187], v[188:189], v[184:185]
	v_add_f64 v[62:63], v[62:63], -v[186:187]
	ds_read2_b64 v[186:189], v225 offset0:60 offset1:61
	v_add_f64 v[60:61], v[60:61], -v[92:93]
	s_waitcnt lgkmcnt(0)
	v_mul_f64 v[92:93], v[188:189], v[94:95]
	v_fma_f64 v[92:93], v[186:187], v[184:185], -v[92:93]
	v_mul_f64 v[186:187], v[186:187], v[94:95]
	v_fmac_f64_e32 v[186:187], v[188:189], v[184:185]
	v_add_f64 v[58:59], v[58:59], -v[186:187]
	ds_read2_b64 v[186:189], v225 offset0:62 offset1:63
	v_add_f64 v[56:57], v[56:57], -v[92:93]
	s_waitcnt lgkmcnt(0)
	v_mul_f64 v[92:93], v[188:189], v[94:95]
	v_fma_f64 v[92:93], v[186:187], v[184:185], -v[92:93]
	v_mul_f64 v[186:187], v[186:187], v[94:95]
	v_fmac_f64_e32 v[186:187], v[188:189], v[184:185]
	v_add_f64 v[54:55], v[54:55], -v[186:187]
	ds_read2_b64 v[186:189], v225 offset0:64 offset1:65
	v_add_f64 v[52:53], v[52:53], -v[92:93]
	s_waitcnt lgkmcnt(0)
	v_mul_f64 v[92:93], v[188:189], v[94:95]
	v_fma_f64 v[92:93], v[186:187], v[184:185], -v[92:93]
	v_mul_f64 v[186:187], v[186:187], v[94:95]
	v_fmac_f64_e32 v[186:187], v[188:189], v[184:185]
	v_add_f64 v[50:51], v[50:51], -v[186:187]
	ds_read2_b64 v[186:189], v225 offset0:66 offset1:67
	v_add_f64 v[48:49], v[48:49], -v[92:93]
	s_waitcnt lgkmcnt(0)
	v_mul_f64 v[92:93], v[188:189], v[94:95]
	v_fma_f64 v[92:93], v[186:187], v[184:185], -v[92:93]
	v_mul_f64 v[186:187], v[186:187], v[94:95]
	v_fmac_f64_e32 v[186:187], v[188:189], v[184:185]
	v_add_f64 v[46:47], v[46:47], -v[186:187]
	ds_read2_b64 v[186:189], v225 offset0:68 offset1:69
	v_add_f64 v[44:45], v[44:45], -v[92:93]
	s_waitcnt lgkmcnt(0)
	v_mul_f64 v[92:93], v[188:189], v[94:95]
	v_fma_f64 v[92:93], v[186:187], v[184:185], -v[92:93]
	v_mul_f64 v[186:187], v[186:187], v[94:95]
	v_fmac_f64_e32 v[186:187], v[188:189], v[184:185]
	v_add_f64 v[42:43], v[42:43], -v[186:187]
	ds_read2_b64 v[186:189], v225 offset0:70 offset1:71
	v_add_f64 v[40:41], v[40:41], -v[92:93]
	s_waitcnt lgkmcnt(0)
	v_mul_f64 v[92:93], v[188:189], v[94:95]
	v_fma_f64 v[92:93], v[186:187], v[184:185], -v[92:93]
	v_mul_f64 v[186:187], v[186:187], v[94:95]
	v_fmac_f64_e32 v[186:187], v[188:189], v[184:185]
	v_add_f64 v[38:39], v[38:39], -v[186:187]
	ds_read2_b64 v[186:189], v225 offset0:72 offset1:73
	v_add_f64 v[36:37], v[36:37], -v[92:93]
	s_waitcnt lgkmcnt(0)
	v_mul_f64 v[92:93], v[188:189], v[94:95]
	v_fma_f64 v[92:93], v[186:187], v[184:185], -v[92:93]
	v_mul_f64 v[186:187], v[186:187], v[94:95]
	v_fmac_f64_e32 v[186:187], v[188:189], v[184:185]
	v_add_f64 v[34:35], v[34:35], -v[186:187]
	ds_read2_b64 v[186:189], v225 offset0:74 offset1:75
	v_add_f64 v[32:33], v[32:33], -v[92:93]
	s_waitcnt lgkmcnt(0)
	v_mul_f64 v[92:93], v[188:189], v[94:95]
	v_fma_f64 v[92:93], v[186:187], v[184:185], -v[92:93]
	v_mul_f64 v[186:187], v[186:187], v[94:95]
	v_fmac_f64_e32 v[186:187], v[188:189], v[184:185]
	v_add_f64 v[30:31], v[30:31], -v[186:187]
	ds_read2_b64 v[186:189], v225 offset0:76 offset1:77
	v_add_f64 v[28:29], v[28:29], -v[92:93]
	s_waitcnt lgkmcnt(0)
	v_mul_f64 v[92:93], v[188:189], v[94:95]
	v_fma_f64 v[92:93], v[186:187], v[184:185], -v[92:93]
	v_mul_f64 v[186:187], v[186:187], v[94:95]
	v_fmac_f64_e32 v[186:187], v[188:189], v[184:185]
	v_add_f64 v[26:27], v[26:27], -v[186:187]
	ds_read2_b64 v[186:189], v225 offset0:78 offset1:79
	v_add_f64 v[24:25], v[24:25], -v[92:93]
	s_waitcnt lgkmcnt(0)
	v_mul_f64 v[92:93], v[188:189], v[94:95]
	v_fma_f64 v[92:93], v[186:187], v[184:185], -v[92:93]
	v_mul_f64 v[186:187], v[186:187], v[94:95]
	v_fmac_f64_e32 v[186:187], v[188:189], v[184:185]
	v_add_f64 v[22:23], v[22:23], -v[186:187]
	ds_read2_b64 v[186:189], v225 offset0:80 offset1:81
	v_add_f64 v[20:21], v[20:21], -v[92:93]
	s_waitcnt lgkmcnt(0)
	v_mul_f64 v[92:93], v[188:189], v[94:95]
	v_fma_f64 v[92:93], v[186:187], v[184:185], -v[92:93]
	v_mul_f64 v[186:187], v[186:187], v[94:95]
	v_fmac_f64_e32 v[186:187], v[188:189], v[184:185]
	v_add_f64 v[18:19], v[18:19], -v[186:187]
	ds_read2_b64 v[186:189], v225 offset0:82 offset1:83
	v_add_f64 v[16:17], v[16:17], -v[92:93]
	s_waitcnt lgkmcnt(0)
	v_mul_f64 v[92:93], v[188:189], v[94:95]
	v_fma_f64 v[92:93], v[186:187], v[184:185], -v[92:93]
	v_mul_f64 v[186:187], v[186:187], v[94:95]
	v_fmac_f64_e32 v[186:187], v[188:189], v[184:185]
	v_add_f64 v[14:15], v[14:15], -v[186:187]
	ds_read2_b64 v[186:189], v225 offset0:84 offset1:85
	v_add_f64 v[12:13], v[12:13], -v[92:93]
	s_waitcnt lgkmcnt(0)
	v_mul_f64 v[92:93], v[188:189], v[94:95]
	v_fma_f64 v[92:93], v[186:187], v[184:185], -v[92:93]
	v_mul_f64 v[186:187], v[186:187], v[94:95]
	v_fmac_f64_e32 v[186:187], v[188:189], v[184:185]
	v_add_f64 v[10:11], v[10:11], -v[186:187]
	ds_read2_b64 v[186:189], v225 offset0:86 offset1:87
	v_add_f64 v[8:9], v[8:9], -v[92:93]
	s_waitcnt lgkmcnt(0)
	v_mul_f64 v[92:93], v[188:189], v[94:95]
	v_fma_f64 v[92:93], v[186:187], v[184:185], -v[92:93]
	v_mul_f64 v[186:187], v[186:187], v[94:95]
	v_fmac_f64_e32 v[186:187], v[188:189], v[184:185]
	v_add_f64 v[6:7], v[6:7], -v[186:187]
	ds_read2_b64 v[186:189], v225 offset0:88 offset1:89
	v_add_f64 v[4:5], v[4:5], -v[92:93]
	s_waitcnt lgkmcnt(0)
	v_mul_f64 v[92:93], v[188:189], v[94:95]
	v_fma_f64 v[92:93], v[186:187], v[184:185], -v[92:93]
	v_mul_f64 v[186:187], v[186:187], v[94:95]
	v_fmac_f64_e32 v[186:187], v[188:189], v[184:185]
	v_add_f64 v[2:3], v[2:3], -v[186:187]
	ds_read2_b64 v[186:189], v225 offset0:90 offset1:91
	v_add_f64 v[0:1], v[0:1], -v[92:93]
	s_waitcnt lgkmcnt(0)
	v_mul_f64 v[92:93], v[188:189], v[94:95]
	v_fma_f64 v[92:93], v[186:187], v[184:185], -v[92:93]
	v_mul_f64 v[186:187], v[186:187], v[94:95]
	v_fmac_f64_e32 v[186:187], v[188:189], v[184:185]
	v_add_f64 v[180:181], v[180:181], -v[92:93]
	v_add_f64 v[182:183], v[182:183], -v[186:187]
	v_mov_b64_e32 v[92:93], v[184:185]
.LBB91_199:
	s_or_b64 exec, exec, s[2:3]
	v_cmp_eq_u32_e32 vcc, 22, v226
	s_waitcnt vmcnt(63) expcnt(7) lgkmcnt(15)
	s_barrier
	s_and_saveexec_b64 s[4:5], vcc
	s_cbranch_execz .LBB91_206
; %bb.200:
	ds_write2_b64 v224, v[88:89], v[90:91] offset1:1
	ds_write2_b64 v225, v[84:85], v[86:87] offset0:46 offset1:47
	ds_write2_b64 v225, v[80:81], v[82:83] offset0:48 offset1:49
	;; [unrolled: 1-line block ×6, first 2 shown]
	s_waitcnt vmcnt(62)
	ds_write2_b64 v225, v[60:61], v[62:63] offset0:58 offset1:59
	s_waitcnt vmcnt(61)
	ds_write2_b64 v225, v[56:57], v[58:59] offset0:60 offset1:61
	;; [unrolled: 2-line block ×15, first 2 shown]
	ds_write2_b64 v225, v[0:1], v[2:3] offset0:88 offset1:89
	s_waitcnt vmcnt(29)
	ds_write2_b64 v225, v[180:181], v[182:183] offset0:90 offset1:91
	ds_read2_b64 v[184:187], v224 offset1:1
	s_waitcnt lgkmcnt(0)
	v_cmp_neq_f64_e32 vcc, 0, v[184:185]
	v_cmp_neq_f64_e64 s[2:3], 0, v[186:187]
	s_or_b64 s[2:3], vcc, s[2:3]
	s_and_b64 exec, exec, s[2:3]
	s_cbranch_execz .LBB91_206
; %bb.201:
	v_cmp_ngt_f64_e64 s[2:3], |v[184:185]|, |v[186:187]|
                                        ; implicit-def: $vgpr188_vgpr189
	s_and_saveexec_b64 s[10:11], s[2:3]
	s_xor_b64 s[2:3], exec, s[10:11]
                                        ; implicit-def: $vgpr190_vgpr191
	s_cbranch_execz .LBB91_203
; %bb.202:
	v_div_scale_f64 v[188:189], s[10:11], v[186:187], v[186:187], v[184:185]
	v_rcp_f64_e32 v[190:191], v[188:189]
	v_div_scale_f64 v[192:193], vcc, v[184:185], v[186:187], v[184:185]
	v_fma_f64 v[194:195], -v[188:189], v[190:191], 1.0
	v_fmac_f64_e32 v[190:191], v[190:191], v[194:195]
	v_fma_f64 v[194:195], -v[188:189], v[190:191], 1.0
	v_fmac_f64_e32 v[190:191], v[190:191], v[194:195]
	v_mul_f64 v[194:195], v[192:193], v[190:191]
	v_fma_f64 v[188:189], -v[188:189], v[194:195], v[192:193]
	v_div_fmas_f64 v[188:189], v[188:189], v[190:191], v[194:195]
	v_div_fixup_f64 v[188:189], v[188:189], v[186:187], v[184:185]
	v_fmac_f64_e32 v[186:187], v[184:185], v[188:189]
	v_div_scale_f64 v[184:185], s[10:11], v[186:187], v[186:187], 1.0
	v_rcp_f64_e32 v[190:191], v[184:185]
	s_nop 0
	v_fma_f64 v[192:193], -v[184:185], v[190:191], 1.0
	v_fmac_f64_e32 v[190:191], v[190:191], v[192:193]
	v_fma_f64 v[192:193], -v[184:185], v[190:191], 1.0
	v_fmac_f64_e32 v[190:191], v[190:191], v[192:193]
	v_div_scale_f64 v[192:193], vcc, 1.0, v[186:187], 1.0
	v_mul_f64 v[194:195], v[192:193], v[190:191]
	v_fma_f64 v[184:185], -v[184:185], v[194:195], v[192:193]
	s_nop 1
	v_div_fmas_f64 v[184:185], v[184:185], v[190:191], v[194:195]
	v_div_fixup_f64 v[190:191], v[184:185], v[186:187], 1.0
	v_mul_f64 v[188:189], v[188:189], v[190:191]
	v_xor_b32_e32 v191, 0x80000000, v191
                                        ; implicit-def: $vgpr184_vgpr185
.LBB91_203:
	s_andn2_saveexec_b64 s[2:3], s[2:3]
	s_cbranch_execz .LBB91_205
; %bb.204:
	v_div_scale_f64 v[188:189], s[10:11], v[184:185], v[184:185], v[186:187]
	v_rcp_f64_e32 v[190:191], v[188:189]
	v_div_scale_f64 v[192:193], vcc, v[186:187], v[184:185], v[186:187]
	v_fma_f64 v[194:195], -v[188:189], v[190:191], 1.0
	v_fmac_f64_e32 v[190:191], v[190:191], v[194:195]
	v_fma_f64 v[194:195], -v[188:189], v[190:191], 1.0
	v_fmac_f64_e32 v[190:191], v[190:191], v[194:195]
	v_mul_f64 v[194:195], v[192:193], v[190:191]
	v_fma_f64 v[188:189], -v[188:189], v[194:195], v[192:193]
	v_div_fmas_f64 v[188:189], v[188:189], v[190:191], v[194:195]
	v_div_fixup_f64 v[190:191], v[188:189], v[184:185], v[186:187]
	v_fmac_f64_e32 v[184:185], v[186:187], v[190:191]
	v_div_scale_f64 v[186:187], s[10:11], v[184:185], v[184:185], 1.0
	v_rcp_f64_e32 v[188:189], v[186:187]
	s_nop 0
	v_fma_f64 v[192:193], -v[186:187], v[188:189], 1.0
	v_fmac_f64_e32 v[188:189], v[188:189], v[192:193]
	v_fma_f64 v[192:193], -v[186:187], v[188:189], 1.0
	v_fmac_f64_e32 v[188:189], v[188:189], v[192:193]
	v_div_scale_f64 v[192:193], vcc, 1.0, v[184:185], 1.0
	v_mul_f64 v[194:195], v[192:193], v[188:189]
	v_fma_f64 v[186:187], -v[186:187], v[194:195], v[192:193]
	s_nop 1
	v_div_fmas_f64 v[186:187], v[186:187], v[188:189], v[194:195]
	v_div_fixup_f64 v[188:189], v[186:187], v[184:185], 1.0
	v_mul_f64 v[190:191], v[190:191], -v[188:189]
.LBB91_205:
	s_or_b64 exec, exec, s[2:3]
	ds_write2_b64 v224, v[188:189], v[190:191] offset1:1
.LBB91_206:
	s_or_b64 exec, exec, s[4:5]
	s_waitcnt lgkmcnt(0)
	s_barrier
	ds_read2_b64 v[184:187], v224 offset1:1
	v_cmp_lt_u32_e32 vcc, 22, v226
	s_waitcnt lgkmcnt(0)
	scratch_store_dwordx4 off, v[184:187], off offset:632 ; 16-byte Folded Spill
	s_and_saveexec_b64 s[2:3], vcc
	s_cbranch_execz .LBB91_208
; %bb.207:
	scratch_load_dwordx4 v[186:189], off, off offset:632 ; 16-byte Folded Reload
	s_waitcnt vmcnt(0)
	v_mul_f64 v[184:185], v[188:189], v[90:91]
	v_mul_f64 v[90:91], v[186:187], v[90:91]
	v_fma_f64 v[184:185], v[186:187], v[88:89], -v[184:185]
	v_fmac_f64_e32 v[90:91], v[188:189], v[88:89]
	ds_read2_b64 v[186:189], v225 offset0:46 offset1:47
	s_waitcnt lgkmcnt(0)
	v_mul_f64 v[88:89], v[188:189], v[90:91]
	v_fma_f64 v[88:89], v[186:187], v[184:185], -v[88:89]
	v_mul_f64 v[186:187], v[186:187], v[90:91]
	v_fmac_f64_e32 v[186:187], v[188:189], v[184:185]
	v_add_f64 v[86:87], v[86:87], -v[186:187]
	ds_read2_b64 v[186:189], v225 offset0:48 offset1:49
	v_add_f64 v[84:85], v[84:85], -v[88:89]
	s_waitcnt lgkmcnt(0)
	v_mul_f64 v[88:89], v[188:189], v[90:91]
	v_fma_f64 v[88:89], v[186:187], v[184:185], -v[88:89]
	v_mul_f64 v[186:187], v[186:187], v[90:91]
	v_fmac_f64_e32 v[186:187], v[188:189], v[184:185]
	v_add_f64 v[82:83], v[82:83], -v[186:187]
	ds_read2_b64 v[186:189], v225 offset0:50 offset1:51
	v_add_f64 v[80:81], v[80:81], -v[88:89]
	;; [unrolled: 8-line block ×22, first 2 shown]
	s_waitcnt lgkmcnt(0)
	v_mul_f64 v[88:89], v[188:189], v[90:91]
	v_fma_f64 v[88:89], v[186:187], v[184:185], -v[88:89]
	v_mul_f64 v[186:187], v[186:187], v[90:91]
	v_fmac_f64_e32 v[186:187], v[188:189], v[184:185]
	v_add_f64 v[180:181], v[180:181], -v[88:89]
	v_add_f64 v[182:183], v[182:183], -v[186:187]
	v_mov_b64_e32 v[88:89], v[184:185]
.LBB91_208:
	s_or_b64 exec, exec, s[2:3]
	v_cmp_eq_u32_e32 vcc, 23, v226
	s_waitcnt vmcnt(63) expcnt(7) lgkmcnt(15)
	s_barrier
	s_and_saveexec_b64 s[4:5], vcc
	s_cbranch_execz .LBB91_215
; %bb.209:
	ds_write2_b64 v224, v[84:85], v[86:87] offset1:1
	ds_write2_b64 v225, v[80:81], v[82:83] offset0:48 offset1:49
	ds_write2_b64 v225, v[76:77], v[78:79] offset0:50 offset1:51
	;; [unrolled: 1-line block ×6, first 2 shown]
	s_waitcnt vmcnt(62)
	ds_write2_b64 v225, v[56:57], v[58:59] offset0:60 offset1:61
	s_waitcnt vmcnt(61)
	ds_write2_b64 v225, v[52:53], v[54:55] offset0:62 offset1:63
	s_waitcnt vmcnt(60)
	ds_write2_b64 v225, v[48:49], v[50:51] offset0:64 offset1:65
	s_waitcnt vmcnt(59)
	ds_write2_b64 v225, v[44:45], v[46:47] offset0:66 offset1:67
	s_waitcnt vmcnt(58)
	ds_write2_b64 v225, v[40:41], v[42:43] offset0:68 offset1:69
	s_waitcnt vmcnt(57)
	ds_write2_b64 v225, v[36:37], v[38:39] offset0:70 offset1:71
	s_waitcnt vmcnt(40)
	ds_write2_b64 v225, v[32:33], v[34:35] offset0:72 offset1:73
	s_waitcnt vmcnt(39)
	ds_write2_b64 v225, v[28:29], v[30:31] offset0:74 offset1:75
	s_waitcnt vmcnt(38)
	ds_write2_b64 v225, v[24:25], v[26:27] offset0:76 offset1:77
	s_waitcnt vmcnt(37)
	ds_write2_b64 v225, v[20:21], v[22:23] offset0:78 offset1:79
	s_waitcnt vmcnt(36)
	ds_write2_b64 v225, v[16:17], v[18:19] offset0:80 offset1:81
	s_waitcnt vmcnt(35)
	ds_write2_b64 v225, v[12:13], v[14:15] offset0:82 offset1:83
	s_waitcnt vmcnt(34)
	ds_write2_b64 v225, v[8:9], v[10:11] offset0:84 offset1:85
	s_waitcnt vmcnt(33)
	ds_write2_b64 v225, v[4:5], v[6:7] offset0:86 offset1:87
	ds_write2_b64 v225, v[0:1], v[2:3] offset0:88 offset1:89
	s_waitcnt vmcnt(30)
	ds_write2_b64 v225, v[180:181], v[182:183] offset0:90 offset1:91
	ds_read2_b64 v[184:187], v224 offset1:1
	s_waitcnt lgkmcnt(0)
	v_cmp_neq_f64_e32 vcc, 0, v[184:185]
	v_cmp_neq_f64_e64 s[2:3], 0, v[186:187]
	s_or_b64 s[2:3], vcc, s[2:3]
	s_and_b64 exec, exec, s[2:3]
	s_cbranch_execz .LBB91_215
; %bb.210:
	v_cmp_ngt_f64_e64 s[2:3], |v[184:185]|, |v[186:187]|
                                        ; implicit-def: $vgpr188_vgpr189
	s_and_saveexec_b64 s[10:11], s[2:3]
	s_xor_b64 s[2:3], exec, s[10:11]
                                        ; implicit-def: $vgpr190_vgpr191
	s_cbranch_execz .LBB91_212
; %bb.211:
	v_div_scale_f64 v[188:189], s[10:11], v[186:187], v[186:187], v[184:185]
	v_rcp_f64_e32 v[190:191], v[188:189]
	v_div_scale_f64 v[192:193], vcc, v[184:185], v[186:187], v[184:185]
	v_fma_f64 v[194:195], -v[188:189], v[190:191], 1.0
	v_fmac_f64_e32 v[190:191], v[190:191], v[194:195]
	v_fma_f64 v[194:195], -v[188:189], v[190:191], 1.0
	v_fmac_f64_e32 v[190:191], v[190:191], v[194:195]
	v_mul_f64 v[194:195], v[192:193], v[190:191]
	v_fma_f64 v[188:189], -v[188:189], v[194:195], v[192:193]
	v_div_fmas_f64 v[188:189], v[188:189], v[190:191], v[194:195]
	v_div_fixup_f64 v[188:189], v[188:189], v[186:187], v[184:185]
	v_fmac_f64_e32 v[186:187], v[184:185], v[188:189]
	v_div_scale_f64 v[184:185], s[10:11], v[186:187], v[186:187], 1.0
	v_rcp_f64_e32 v[190:191], v[184:185]
	s_nop 0
	v_fma_f64 v[192:193], -v[184:185], v[190:191], 1.0
	v_fmac_f64_e32 v[190:191], v[190:191], v[192:193]
	v_fma_f64 v[192:193], -v[184:185], v[190:191], 1.0
	v_fmac_f64_e32 v[190:191], v[190:191], v[192:193]
	v_div_scale_f64 v[192:193], vcc, 1.0, v[186:187], 1.0
	v_mul_f64 v[194:195], v[192:193], v[190:191]
	v_fma_f64 v[184:185], -v[184:185], v[194:195], v[192:193]
	s_nop 1
	v_div_fmas_f64 v[184:185], v[184:185], v[190:191], v[194:195]
	v_div_fixup_f64 v[190:191], v[184:185], v[186:187], 1.0
	v_mul_f64 v[188:189], v[188:189], v[190:191]
	v_xor_b32_e32 v191, 0x80000000, v191
                                        ; implicit-def: $vgpr184_vgpr185
.LBB91_212:
	s_andn2_saveexec_b64 s[2:3], s[2:3]
	s_cbranch_execz .LBB91_214
; %bb.213:
	v_div_scale_f64 v[188:189], s[10:11], v[184:185], v[184:185], v[186:187]
	v_rcp_f64_e32 v[190:191], v[188:189]
	v_div_scale_f64 v[192:193], vcc, v[186:187], v[184:185], v[186:187]
	v_fma_f64 v[194:195], -v[188:189], v[190:191], 1.0
	v_fmac_f64_e32 v[190:191], v[190:191], v[194:195]
	v_fma_f64 v[194:195], -v[188:189], v[190:191], 1.0
	v_fmac_f64_e32 v[190:191], v[190:191], v[194:195]
	v_mul_f64 v[194:195], v[192:193], v[190:191]
	v_fma_f64 v[188:189], -v[188:189], v[194:195], v[192:193]
	v_div_fmas_f64 v[188:189], v[188:189], v[190:191], v[194:195]
	v_div_fixup_f64 v[190:191], v[188:189], v[184:185], v[186:187]
	v_fmac_f64_e32 v[184:185], v[186:187], v[190:191]
	v_div_scale_f64 v[186:187], s[10:11], v[184:185], v[184:185], 1.0
	v_rcp_f64_e32 v[188:189], v[186:187]
	s_nop 0
	v_fma_f64 v[192:193], -v[186:187], v[188:189], 1.0
	v_fmac_f64_e32 v[188:189], v[188:189], v[192:193]
	v_fma_f64 v[192:193], -v[186:187], v[188:189], 1.0
	v_fmac_f64_e32 v[188:189], v[188:189], v[192:193]
	v_div_scale_f64 v[192:193], vcc, 1.0, v[184:185], 1.0
	v_mul_f64 v[194:195], v[192:193], v[188:189]
	v_fma_f64 v[186:187], -v[186:187], v[194:195], v[192:193]
	s_nop 1
	v_div_fmas_f64 v[186:187], v[186:187], v[188:189], v[194:195]
	v_div_fixup_f64 v[188:189], v[186:187], v[184:185], 1.0
	v_mul_f64 v[190:191], v[190:191], -v[188:189]
.LBB91_214:
	s_or_b64 exec, exec, s[2:3]
	ds_write2_b64 v224, v[188:189], v[190:191] offset1:1
.LBB91_215:
	s_or_b64 exec, exec, s[4:5]
	s_waitcnt lgkmcnt(0)
	s_barrier
	ds_read2_b64 v[184:187], v224 offset1:1
	v_cmp_lt_u32_e32 vcc, 23, v226
	s_waitcnt lgkmcnt(0)
	scratch_store_dwordx4 off, v[184:187], off offset:648 ; 16-byte Folded Spill
	s_and_saveexec_b64 s[2:3], vcc
	s_cbranch_execz .LBB91_217
; %bb.216:
	scratch_load_dwordx4 v[186:189], off, off offset:648 ; 16-byte Folded Reload
	s_waitcnt vmcnt(0)
	v_mul_f64 v[184:185], v[188:189], v[86:87]
	v_mul_f64 v[86:87], v[186:187], v[86:87]
	v_fma_f64 v[184:185], v[186:187], v[84:85], -v[184:185]
	v_fmac_f64_e32 v[86:87], v[188:189], v[84:85]
	ds_read2_b64 v[186:189], v225 offset0:48 offset1:49
	s_waitcnt lgkmcnt(0)
	v_mul_f64 v[84:85], v[188:189], v[86:87]
	v_fma_f64 v[84:85], v[186:187], v[184:185], -v[84:85]
	v_mul_f64 v[186:187], v[186:187], v[86:87]
	v_fmac_f64_e32 v[186:187], v[188:189], v[184:185]
	v_add_f64 v[82:83], v[82:83], -v[186:187]
	ds_read2_b64 v[186:189], v225 offset0:50 offset1:51
	v_add_f64 v[80:81], v[80:81], -v[84:85]
	s_waitcnt lgkmcnt(0)
	v_mul_f64 v[84:85], v[188:189], v[86:87]
	v_fma_f64 v[84:85], v[186:187], v[184:185], -v[84:85]
	v_mul_f64 v[186:187], v[186:187], v[86:87]
	v_fmac_f64_e32 v[186:187], v[188:189], v[184:185]
	v_add_f64 v[78:79], v[78:79], -v[186:187]
	ds_read2_b64 v[186:189], v225 offset0:52 offset1:53
	v_add_f64 v[76:77], v[76:77], -v[84:85]
	s_waitcnt lgkmcnt(0)
	v_mul_f64 v[84:85], v[188:189], v[86:87]
	v_fma_f64 v[84:85], v[186:187], v[184:185], -v[84:85]
	v_mul_f64 v[186:187], v[186:187], v[86:87]
	v_fmac_f64_e32 v[186:187], v[188:189], v[184:185]
	v_add_f64 v[74:75], v[74:75], -v[186:187]
	ds_read2_b64 v[186:189], v225 offset0:54 offset1:55
	v_add_f64 v[72:73], v[72:73], -v[84:85]
	s_waitcnt lgkmcnt(0)
	v_mul_f64 v[84:85], v[188:189], v[86:87]
	v_fma_f64 v[84:85], v[186:187], v[184:185], -v[84:85]
	v_mul_f64 v[186:187], v[186:187], v[86:87]
	v_fmac_f64_e32 v[186:187], v[188:189], v[184:185]
	v_add_f64 v[70:71], v[70:71], -v[186:187]
	ds_read2_b64 v[186:189], v225 offset0:56 offset1:57
	v_add_f64 v[68:69], v[68:69], -v[84:85]
	s_waitcnt lgkmcnt(0)
	v_mul_f64 v[84:85], v[188:189], v[86:87]
	v_fma_f64 v[84:85], v[186:187], v[184:185], -v[84:85]
	v_mul_f64 v[186:187], v[186:187], v[86:87]
	v_fmac_f64_e32 v[186:187], v[188:189], v[184:185]
	v_add_f64 v[66:67], v[66:67], -v[186:187]
	ds_read2_b64 v[186:189], v225 offset0:58 offset1:59
	v_add_f64 v[64:65], v[64:65], -v[84:85]
	s_waitcnt lgkmcnt(0)
	v_mul_f64 v[84:85], v[188:189], v[86:87]
	v_fma_f64 v[84:85], v[186:187], v[184:185], -v[84:85]
	v_mul_f64 v[186:187], v[186:187], v[86:87]
	v_fmac_f64_e32 v[186:187], v[188:189], v[184:185]
	v_add_f64 v[62:63], v[62:63], -v[186:187]
	ds_read2_b64 v[186:189], v225 offset0:60 offset1:61
	v_add_f64 v[60:61], v[60:61], -v[84:85]
	s_waitcnt lgkmcnt(0)
	v_mul_f64 v[84:85], v[188:189], v[86:87]
	v_fma_f64 v[84:85], v[186:187], v[184:185], -v[84:85]
	v_mul_f64 v[186:187], v[186:187], v[86:87]
	v_fmac_f64_e32 v[186:187], v[188:189], v[184:185]
	v_add_f64 v[58:59], v[58:59], -v[186:187]
	ds_read2_b64 v[186:189], v225 offset0:62 offset1:63
	v_add_f64 v[56:57], v[56:57], -v[84:85]
	s_waitcnt lgkmcnt(0)
	v_mul_f64 v[84:85], v[188:189], v[86:87]
	v_fma_f64 v[84:85], v[186:187], v[184:185], -v[84:85]
	v_mul_f64 v[186:187], v[186:187], v[86:87]
	v_fmac_f64_e32 v[186:187], v[188:189], v[184:185]
	v_add_f64 v[54:55], v[54:55], -v[186:187]
	ds_read2_b64 v[186:189], v225 offset0:64 offset1:65
	v_add_f64 v[52:53], v[52:53], -v[84:85]
	s_waitcnt lgkmcnt(0)
	v_mul_f64 v[84:85], v[188:189], v[86:87]
	v_fma_f64 v[84:85], v[186:187], v[184:185], -v[84:85]
	v_mul_f64 v[186:187], v[186:187], v[86:87]
	v_fmac_f64_e32 v[186:187], v[188:189], v[184:185]
	v_add_f64 v[50:51], v[50:51], -v[186:187]
	ds_read2_b64 v[186:189], v225 offset0:66 offset1:67
	v_add_f64 v[48:49], v[48:49], -v[84:85]
	s_waitcnt lgkmcnt(0)
	v_mul_f64 v[84:85], v[188:189], v[86:87]
	v_fma_f64 v[84:85], v[186:187], v[184:185], -v[84:85]
	v_mul_f64 v[186:187], v[186:187], v[86:87]
	v_fmac_f64_e32 v[186:187], v[188:189], v[184:185]
	v_add_f64 v[46:47], v[46:47], -v[186:187]
	ds_read2_b64 v[186:189], v225 offset0:68 offset1:69
	v_add_f64 v[44:45], v[44:45], -v[84:85]
	s_waitcnt lgkmcnt(0)
	v_mul_f64 v[84:85], v[188:189], v[86:87]
	v_fma_f64 v[84:85], v[186:187], v[184:185], -v[84:85]
	v_mul_f64 v[186:187], v[186:187], v[86:87]
	v_fmac_f64_e32 v[186:187], v[188:189], v[184:185]
	v_add_f64 v[42:43], v[42:43], -v[186:187]
	ds_read2_b64 v[186:189], v225 offset0:70 offset1:71
	v_add_f64 v[40:41], v[40:41], -v[84:85]
	s_waitcnt lgkmcnt(0)
	v_mul_f64 v[84:85], v[188:189], v[86:87]
	v_fma_f64 v[84:85], v[186:187], v[184:185], -v[84:85]
	v_mul_f64 v[186:187], v[186:187], v[86:87]
	v_fmac_f64_e32 v[186:187], v[188:189], v[184:185]
	v_add_f64 v[38:39], v[38:39], -v[186:187]
	ds_read2_b64 v[186:189], v225 offset0:72 offset1:73
	v_add_f64 v[36:37], v[36:37], -v[84:85]
	s_waitcnt lgkmcnt(0)
	v_mul_f64 v[84:85], v[188:189], v[86:87]
	v_fma_f64 v[84:85], v[186:187], v[184:185], -v[84:85]
	v_mul_f64 v[186:187], v[186:187], v[86:87]
	v_fmac_f64_e32 v[186:187], v[188:189], v[184:185]
	v_add_f64 v[34:35], v[34:35], -v[186:187]
	ds_read2_b64 v[186:189], v225 offset0:74 offset1:75
	v_add_f64 v[32:33], v[32:33], -v[84:85]
	s_waitcnt lgkmcnt(0)
	v_mul_f64 v[84:85], v[188:189], v[86:87]
	v_fma_f64 v[84:85], v[186:187], v[184:185], -v[84:85]
	v_mul_f64 v[186:187], v[186:187], v[86:87]
	v_fmac_f64_e32 v[186:187], v[188:189], v[184:185]
	v_add_f64 v[30:31], v[30:31], -v[186:187]
	ds_read2_b64 v[186:189], v225 offset0:76 offset1:77
	v_add_f64 v[28:29], v[28:29], -v[84:85]
	s_waitcnt lgkmcnt(0)
	v_mul_f64 v[84:85], v[188:189], v[86:87]
	v_fma_f64 v[84:85], v[186:187], v[184:185], -v[84:85]
	v_mul_f64 v[186:187], v[186:187], v[86:87]
	v_fmac_f64_e32 v[186:187], v[188:189], v[184:185]
	v_add_f64 v[26:27], v[26:27], -v[186:187]
	ds_read2_b64 v[186:189], v225 offset0:78 offset1:79
	v_add_f64 v[24:25], v[24:25], -v[84:85]
	s_waitcnt lgkmcnt(0)
	v_mul_f64 v[84:85], v[188:189], v[86:87]
	v_fma_f64 v[84:85], v[186:187], v[184:185], -v[84:85]
	v_mul_f64 v[186:187], v[186:187], v[86:87]
	v_fmac_f64_e32 v[186:187], v[188:189], v[184:185]
	v_add_f64 v[22:23], v[22:23], -v[186:187]
	ds_read2_b64 v[186:189], v225 offset0:80 offset1:81
	v_add_f64 v[20:21], v[20:21], -v[84:85]
	s_waitcnt lgkmcnt(0)
	v_mul_f64 v[84:85], v[188:189], v[86:87]
	v_fma_f64 v[84:85], v[186:187], v[184:185], -v[84:85]
	v_mul_f64 v[186:187], v[186:187], v[86:87]
	v_fmac_f64_e32 v[186:187], v[188:189], v[184:185]
	v_add_f64 v[18:19], v[18:19], -v[186:187]
	ds_read2_b64 v[186:189], v225 offset0:82 offset1:83
	v_add_f64 v[16:17], v[16:17], -v[84:85]
	s_waitcnt lgkmcnt(0)
	v_mul_f64 v[84:85], v[188:189], v[86:87]
	v_fma_f64 v[84:85], v[186:187], v[184:185], -v[84:85]
	v_mul_f64 v[186:187], v[186:187], v[86:87]
	v_fmac_f64_e32 v[186:187], v[188:189], v[184:185]
	v_add_f64 v[14:15], v[14:15], -v[186:187]
	ds_read2_b64 v[186:189], v225 offset0:84 offset1:85
	v_add_f64 v[12:13], v[12:13], -v[84:85]
	s_waitcnt lgkmcnt(0)
	v_mul_f64 v[84:85], v[188:189], v[86:87]
	v_fma_f64 v[84:85], v[186:187], v[184:185], -v[84:85]
	v_mul_f64 v[186:187], v[186:187], v[86:87]
	v_fmac_f64_e32 v[186:187], v[188:189], v[184:185]
	v_add_f64 v[10:11], v[10:11], -v[186:187]
	ds_read2_b64 v[186:189], v225 offset0:86 offset1:87
	v_add_f64 v[8:9], v[8:9], -v[84:85]
	s_waitcnt lgkmcnt(0)
	v_mul_f64 v[84:85], v[188:189], v[86:87]
	v_fma_f64 v[84:85], v[186:187], v[184:185], -v[84:85]
	v_mul_f64 v[186:187], v[186:187], v[86:87]
	v_fmac_f64_e32 v[186:187], v[188:189], v[184:185]
	v_add_f64 v[6:7], v[6:7], -v[186:187]
	ds_read2_b64 v[186:189], v225 offset0:88 offset1:89
	v_add_f64 v[4:5], v[4:5], -v[84:85]
	s_waitcnt lgkmcnt(0)
	v_mul_f64 v[84:85], v[188:189], v[86:87]
	v_fma_f64 v[84:85], v[186:187], v[184:185], -v[84:85]
	v_mul_f64 v[186:187], v[186:187], v[86:87]
	v_fmac_f64_e32 v[186:187], v[188:189], v[184:185]
	v_add_f64 v[2:3], v[2:3], -v[186:187]
	ds_read2_b64 v[186:189], v225 offset0:90 offset1:91
	v_add_f64 v[0:1], v[0:1], -v[84:85]
	s_waitcnt lgkmcnt(0)
	v_mul_f64 v[84:85], v[188:189], v[86:87]
	v_fma_f64 v[84:85], v[186:187], v[184:185], -v[84:85]
	v_mul_f64 v[186:187], v[186:187], v[86:87]
	v_fmac_f64_e32 v[186:187], v[188:189], v[184:185]
	v_add_f64 v[180:181], v[180:181], -v[84:85]
	v_add_f64 v[182:183], v[182:183], -v[186:187]
	v_mov_b64_e32 v[84:85], v[184:185]
.LBB91_217:
	s_or_b64 exec, exec, s[2:3]
	v_cmp_eq_u32_e32 vcc, 24, v226
	s_waitcnt vmcnt(63) expcnt(7) lgkmcnt(15)
	s_barrier
	s_and_saveexec_b64 s[4:5], vcc
	s_cbranch_execz .LBB91_224
; %bb.218:
	ds_write2_b64 v224, v[80:81], v[82:83] offset1:1
	ds_write2_b64 v225, v[76:77], v[78:79] offset0:50 offset1:51
	ds_write2_b64 v225, v[72:73], v[74:75] offset0:52 offset1:53
	;; [unrolled: 1-line block ×6, first 2 shown]
	s_waitcnt vmcnt(62)
	ds_write2_b64 v225, v[52:53], v[54:55] offset0:62 offset1:63
	s_waitcnt vmcnt(61)
	ds_write2_b64 v225, v[48:49], v[50:51] offset0:64 offset1:65
	;; [unrolled: 2-line block ×13, first 2 shown]
	ds_write2_b64 v225, v[0:1], v[2:3] offset0:88 offset1:89
	s_waitcnt vmcnt(31)
	ds_write2_b64 v225, v[180:181], v[182:183] offset0:90 offset1:91
	ds_read2_b64 v[184:187], v224 offset1:1
	s_waitcnt lgkmcnt(0)
	v_cmp_neq_f64_e32 vcc, 0, v[184:185]
	v_cmp_neq_f64_e64 s[2:3], 0, v[186:187]
	s_or_b64 s[2:3], vcc, s[2:3]
	s_and_b64 exec, exec, s[2:3]
	s_cbranch_execz .LBB91_224
; %bb.219:
	v_cmp_ngt_f64_e64 s[2:3], |v[184:185]|, |v[186:187]|
                                        ; implicit-def: $vgpr188_vgpr189
	s_and_saveexec_b64 s[10:11], s[2:3]
	s_xor_b64 s[2:3], exec, s[10:11]
                                        ; implicit-def: $vgpr190_vgpr191
	s_cbranch_execz .LBB91_221
; %bb.220:
	v_div_scale_f64 v[188:189], s[10:11], v[186:187], v[186:187], v[184:185]
	v_rcp_f64_e32 v[190:191], v[188:189]
	v_div_scale_f64 v[192:193], vcc, v[184:185], v[186:187], v[184:185]
	v_fma_f64 v[194:195], -v[188:189], v[190:191], 1.0
	v_fmac_f64_e32 v[190:191], v[190:191], v[194:195]
	v_fma_f64 v[194:195], -v[188:189], v[190:191], 1.0
	v_fmac_f64_e32 v[190:191], v[190:191], v[194:195]
	v_mul_f64 v[194:195], v[192:193], v[190:191]
	v_fma_f64 v[188:189], -v[188:189], v[194:195], v[192:193]
	v_div_fmas_f64 v[188:189], v[188:189], v[190:191], v[194:195]
	v_div_fixup_f64 v[188:189], v[188:189], v[186:187], v[184:185]
	v_fmac_f64_e32 v[186:187], v[184:185], v[188:189]
	v_div_scale_f64 v[184:185], s[10:11], v[186:187], v[186:187], 1.0
	v_rcp_f64_e32 v[190:191], v[184:185]
	s_nop 0
	v_fma_f64 v[192:193], -v[184:185], v[190:191], 1.0
	v_fmac_f64_e32 v[190:191], v[190:191], v[192:193]
	v_fma_f64 v[192:193], -v[184:185], v[190:191], 1.0
	v_fmac_f64_e32 v[190:191], v[190:191], v[192:193]
	v_div_scale_f64 v[192:193], vcc, 1.0, v[186:187], 1.0
	v_mul_f64 v[194:195], v[192:193], v[190:191]
	v_fma_f64 v[184:185], -v[184:185], v[194:195], v[192:193]
	s_nop 1
	v_div_fmas_f64 v[184:185], v[184:185], v[190:191], v[194:195]
	v_div_fixup_f64 v[190:191], v[184:185], v[186:187], 1.0
	v_mul_f64 v[188:189], v[188:189], v[190:191]
	v_xor_b32_e32 v191, 0x80000000, v191
                                        ; implicit-def: $vgpr184_vgpr185
.LBB91_221:
	s_andn2_saveexec_b64 s[2:3], s[2:3]
	s_cbranch_execz .LBB91_223
; %bb.222:
	v_div_scale_f64 v[188:189], s[10:11], v[184:185], v[184:185], v[186:187]
	v_rcp_f64_e32 v[190:191], v[188:189]
	v_div_scale_f64 v[192:193], vcc, v[186:187], v[184:185], v[186:187]
	v_fma_f64 v[194:195], -v[188:189], v[190:191], 1.0
	v_fmac_f64_e32 v[190:191], v[190:191], v[194:195]
	v_fma_f64 v[194:195], -v[188:189], v[190:191], 1.0
	v_fmac_f64_e32 v[190:191], v[190:191], v[194:195]
	v_mul_f64 v[194:195], v[192:193], v[190:191]
	v_fma_f64 v[188:189], -v[188:189], v[194:195], v[192:193]
	v_div_fmas_f64 v[188:189], v[188:189], v[190:191], v[194:195]
	v_div_fixup_f64 v[190:191], v[188:189], v[184:185], v[186:187]
	v_fmac_f64_e32 v[184:185], v[186:187], v[190:191]
	v_div_scale_f64 v[186:187], s[10:11], v[184:185], v[184:185], 1.0
	v_rcp_f64_e32 v[188:189], v[186:187]
	s_nop 0
	v_fma_f64 v[192:193], -v[186:187], v[188:189], 1.0
	v_fmac_f64_e32 v[188:189], v[188:189], v[192:193]
	v_fma_f64 v[192:193], -v[186:187], v[188:189], 1.0
	v_fmac_f64_e32 v[188:189], v[188:189], v[192:193]
	v_div_scale_f64 v[192:193], vcc, 1.0, v[184:185], 1.0
	v_mul_f64 v[194:195], v[192:193], v[188:189]
	v_fma_f64 v[186:187], -v[186:187], v[194:195], v[192:193]
	s_nop 1
	v_div_fmas_f64 v[186:187], v[186:187], v[188:189], v[194:195]
	v_div_fixup_f64 v[188:189], v[186:187], v[184:185], 1.0
	v_mul_f64 v[190:191], v[190:191], -v[188:189]
.LBB91_223:
	s_or_b64 exec, exec, s[2:3]
	ds_write2_b64 v224, v[188:189], v[190:191] offset1:1
.LBB91_224:
	s_or_b64 exec, exec, s[4:5]
	s_waitcnt lgkmcnt(0)
	s_barrier
	ds_read2_b64 v[184:187], v224 offset1:1
	v_cmp_lt_u32_e32 vcc, 24, v226
	s_waitcnt lgkmcnt(0)
	scratch_store_dwordx4 off, v[184:187], off offset:664 ; 16-byte Folded Spill
	s_and_saveexec_b64 s[2:3], vcc
	s_cbranch_execz .LBB91_226
; %bb.225:
	scratch_load_dwordx4 v[186:189], off, off offset:664 ; 16-byte Folded Reload
	s_waitcnt vmcnt(0)
	v_mul_f64 v[184:185], v[188:189], v[82:83]
	v_mul_f64 v[82:83], v[186:187], v[82:83]
	v_fma_f64 v[184:185], v[186:187], v[80:81], -v[184:185]
	v_fmac_f64_e32 v[82:83], v[188:189], v[80:81]
	ds_read2_b64 v[186:189], v225 offset0:50 offset1:51
	s_waitcnt lgkmcnt(0)
	v_mul_f64 v[80:81], v[188:189], v[82:83]
	v_fma_f64 v[80:81], v[186:187], v[184:185], -v[80:81]
	v_mul_f64 v[186:187], v[186:187], v[82:83]
	v_fmac_f64_e32 v[186:187], v[188:189], v[184:185]
	v_add_f64 v[78:79], v[78:79], -v[186:187]
	ds_read2_b64 v[186:189], v225 offset0:52 offset1:53
	v_add_f64 v[76:77], v[76:77], -v[80:81]
	s_waitcnt lgkmcnt(0)
	v_mul_f64 v[80:81], v[188:189], v[82:83]
	v_fma_f64 v[80:81], v[186:187], v[184:185], -v[80:81]
	v_mul_f64 v[186:187], v[186:187], v[82:83]
	v_fmac_f64_e32 v[186:187], v[188:189], v[184:185]
	v_add_f64 v[74:75], v[74:75], -v[186:187]
	ds_read2_b64 v[186:189], v225 offset0:54 offset1:55
	v_add_f64 v[72:73], v[72:73], -v[80:81]
	;; [unrolled: 8-line block ×20, first 2 shown]
	s_waitcnt lgkmcnt(0)
	v_mul_f64 v[80:81], v[188:189], v[82:83]
	v_fma_f64 v[80:81], v[186:187], v[184:185], -v[80:81]
	v_mul_f64 v[186:187], v[186:187], v[82:83]
	v_fmac_f64_e32 v[186:187], v[188:189], v[184:185]
	v_add_f64 v[180:181], v[180:181], -v[80:81]
	v_add_f64 v[182:183], v[182:183], -v[186:187]
	v_mov_b64_e32 v[80:81], v[184:185]
.LBB91_226:
	s_or_b64 exec, exec, s[2:3]
	v_cmp_eq_u32_e32 vcc, 25, v226
	s_waitcnt vmcnt(63) expcnt(7) lgkmcnt(15)
	s_barrier
	s_and_saveexec_b64 s[4:5], vcc
	s_cbranch_execz .LBB91_233
; %bb.227:
	ds_write2_b64 v224, v[76:77], v[78:79] offset1:1
	ds_write2_b64 v225, v[72:73], v[74:75] offset0:52 offset1:53
	ds_write2_b64 v225, v[68:69], v[70:71] offset0:54 offset1:55
	;; [unrolled: 1-line block ×6, first 2 shown]
	s_waitcnt vmcnt(62)
	ds_write2_b64 v225, v[48:49], v[50:51] offset0:64 offset1:65
	s_waitcnt vmcnt(61)
	ds_write2_b64 v225, v[44:45], v[46:47] offset0:66 offset1:67
	;; [unrolled: 2-line block ×12, first 2 shown]
	ds_write2_b64 v225, v[0:1], v[2:3] offset0:88 offset1:89
	s_waitcnt vmcnt(32)
	ds_write2_b64 v225, v[180:181], v[182:183] offset0:90 offset1:91
	ds_read2_b64 v[184:187], v224 offset1:1
	s_waitcnt lgkmcnt(0)
	v_cmp_neq_f64_e32 vcc, 0, v[184:185]
	v_cmp_neq_f64_e64 s[2:3], 0, v[186:187]
	s_or_b64 s[2:3], vcc, s[2:3]
	s_and_b64 exec, exec, s[2:3]
	s_cbranch_execz .LBB91_233
; %bb.228:
	v_cmp_ngt_f64_e64 s[2:3], |v[184:185]|, |v[186:187]|
                                        ; implicit-def: $vgpr188_vgpr189
	s_and_saveexec_b64 s[10:11], s[2:3]
	s_xor_b64 s[2:3], exec, s[10:11]
                                        ; implicit-def: $vgpr190_vgpr191
	s_cbranch_execz .LBB91_230
; %bb.229:
	v_div_scale_f64 v[188:189], s[10:11], v[186:187], v[186:187], v[184:185]
	v_rcp_f64_e32 v[190:191], v[188:189]
	v_div_scale_f64 v[192:193], vcc, v[184:185], v[186:187], v[184:185]
	v_fma_f64 v[194:195], -v[188:189], v[190:191], 1.0
	v_fmac_f64_e32 v[190:191], v[190:191], v[194:195]
	v_fma_f64 v[194:195], -v[188:189], v[190:191], 1.0
	v_fmac_f64_e32 v[190:191], v[190:191], v[194:195]
	v_mul_f64 v[194:195], v[192:193], v[190:191]
	v_fma_f64 v[188:189], -v[188:189], v[194:195], v[192:193]
	v_div_fmas_f64 v[188:189], v[188:189], v[190:191], v[194:195]
	v_div_fixup_f64 v[188:189], v[188:189], v[186:187], v[184:185]
	v_fmac_f64_e32 v[186:187], v[184:185], v[188:189]
	v_div_scale_f64 v[184:185], s[10:11], v[186:187], v[186:187], 1.0
	v_rcp_f64_e32 v[190:191], v[184:185]
	s_nop 0
	v_fma_f64 v[192:193], -v[184:185], v[190:191], 1.0
	v_fmac_f64_e32 v[190:191], v[190:191], v[192:193]
	v_fma_f64 v[192:193], -v[184:185], v[190:191], 1.0
	v_fmac_f64_e32 v[190:191], v[190:191], v[192:193]
	v_div_scale_f64 v[192:193], vcc, 1.0, v[186:187], 1.0
	v_mul_f64 v[194:195], v[192:193], v[190:191]
	v_fma_f64 v[184:185], -v[184:185], v[194:195], v[192:193]
	s_nop 1
	v_div_fmas_f64 v[184:185], v[184:185], v[190:191], v[194:195]
	v_div_fixup_f64 v[190:191], v[184:185], v[186:187], 1.0
	v_mul_f64 v[188:189], v[188:189], v[190:191]
	v_xor_b32_e32 v191, 0x80000000, v191
                                        ; implicit-def: $vgpr184_vgpr185
.LBB91_230:
	s_andn2_saveexec_b64 s[2:3], s[2:3]
	s_cbranch_execz .LBB91_232
; %bb.231:
	v_div_scale_f64 v[188:189], s[10:11], v[184:185], v[184:185], v[186:187]
	v_rcp_f64_e32 v[190:191], v[188:189]
	v_div_scale_f64 v[192:193], vcc, v[186:187], v[184:185], v[186:187]
	v_fma_f64 v[194:195], -v[188:189], v[190:191], 1.0
	v_fmac_f64_e32 v[190:191], v[190:191], v[194:195]
	v_fma_f64 v[194:195], -v[188:189], v[190:191], 1.0
	v_fmac_f64_e32 v[190:191], v[190:191], v[194:195]
	v_mul_f64 v[194:195], v[192:193], v[190:191]
	v_fma_f64 v[188:189], -v[188:189], v[194:195], v[192:193]
	v_div_fmas_f64 v[188:189], v[188:189], v[190:191], v[194:195]
	v_div_fixup_f64 v[190:191], v[188:189], v[184:185], v[186:187]
	v_fmac_f64_e32 v[184:185], v[186:187], v[190:191]
	v_div_scale_f64 v[186:187], s[10:11], v[184:185], v[184:185], 1.0
	v_rcp_f64_e32 v[188:189], v[186:187]
	s_nop 0
	v_fma_f64 v[192:193], -v[186:187], v[188:189], 1.0
	v_fmac_f64_e32 v[188:189], v[188:189], v[192:193]
	v_fma_f64 v[192:193], -v[186:187], v[188:189], 1.0
	v_fmac_f64_e32 v[188:189], v[188:189], v[192:193]
	v_div_scale_f64 v[192:193], vcc, 1.0, v[184:185], 1.0
	v_mul_f64 v[194:195], v[192:193], v[188:189]
	v_fma_f64 v[186:187], -v[186:187], v[194:195], v[192:193]
	s_nop 1
	v_div_fmas_f64 v[186:187], v[186:187], v[188:189], v[194:195]
	v_div_fixup_f64 v[188:189], v[186:187], v[184:185], 1.0
	v_mul_f64 v[190:191], v[190:191], -v[188:189]
.LBB91_232:
	s_or_b64 exec, exec, s[2:3]
	ds_write2_b64 v224, v[188:189], v[190:191] offset1:1
.LBB91_233:
	s_or_b64 exec, exec, s[4:5]
	s_waitcnt lgkmcnt(0)
	s_barrier
	ds_read2_b64 v[184:187], v224 offset1:1
	v_cmp_lt_u32_e32 vcc, 25, v226
	s_waitcnt lgkmcnt(0)
	scratch_store_dwordx4 off, v[184:187], off offset:680 ; 16-byte Folded Spill
	s_and_saveexec_b64 s[2:3], vcc
	s_cbranch_execz .LBB91_235
; %bb.234:
	scratch_load_dwordx4 v[186:189], off, off offset:680 ; 16-byte Folded Reload
	s_waitcnt vmcnt(0)
	v_mul_f64 v[184:185], v[188:189], v[78:79]
	v_mul_f64 v[78:79], v[186:187], v[78:79]
	v_fma_f64 v[184:185], v[186:187], v[76:77], -v[184:185]
	v_fmac_f64_e32 v[78:79], v[188:189], v[76:77]
	ds_read2_b64 v[186:189], v225 offset0:52 offset1:53
	s_waitcnt lgkmcnt(0)
	v_mul_f64 v[76:77], v[188:189], v[78:79]
	v_fma_f64 v[76:77], v[186:187], v[184:185], -v[76:77]
	v_mul_f64 v[186:187], v[186:187], v[78:79]
	v_fmac_f64_e32 v[186:187], v[188:189], v[184:185]
	v_add_f64 v[74:75], v[74:75], -v[186:187]
	ds_read2_b64 v[186:189], v225 offset0:54 offset1:55
	v_add_f64 v[72:73], v[72:73], -v[76:77]
	s_waitcnt lgkmcnt(0)
	v_mul_f64 v[76:77], v[188:189], v[78:79]
	v_fma_f64 v[76:77], v[186:187], v[184:185], -v[76:77]
	v_mul_f64 v[186:187], v[186:187], v[78:79]
	v_fmac_f64_e32 v[186:187], v[188:189], v[184:185]
	v_add_f64 v[70:71], v[70:71], -v[186:187]
	ds_read2_b64 v[186:189], v225 offset0:56 offset1:57
	v_add_f64 v[68:69], v[68:69], -v[76:77]
	;; [unrolled: 8-line block ×19, first 2 shown]
	s_waitcnt lgkmcnt(0)
	v_mul_f64 v[76:77], v[188:189], v[78:79]
	v_fma_f64 v[76:77], v[186:187], v[184:185], -v[76:77]
	v_mul_f64 v[186:187], v[186:187], v[78:79]
	v_fmac_f64_e32 v[186:187], v[188:189], v[184:185]
	v_add_f64 v[180:181], v[180:181], -v[76:77]
	v_add_f64 v[182:183], v[182:183], -v[186:187]
	v_mov_b64_e32 v[76:77], v[184:185]
.LBB91_235:
	s_or_b64 exec, exec, s[2:3]
	v_cmp_eq_u32_e32 vcc, 26, v226
	s_waitcnt vmcnt(63) expcnt(7) lgkmcnt(15)
	s_barrier
	s_and_saveexec_b64 s[4:5], vcc
	s_cbranch_execz .LBB91_242
; %bb.236:
	ds_write2_b64 v224, v[72:73], v[74:75] offset1:1
	ds_write2_b64 v225, v[68:69], v[70:71] offset0:54 offset1:55
	ds_write2_b64 v225, v[64:65], v[66:67] offset0:56 offset1:57
	;; [unrolled: 1-line block ×6, first 2 shown]
	s_waitcnt vmcnt(62)
	ds_write2_b64 v225, v[44:45], v[46:47] offset0:66 offset1:67
	s_waitcnt vmcnt(61)
	ds_write2_b64 v225, v[40:41], v[42:43] offset0:68 offset1:69
	s_waitcnt vmcnt(60)
	ds_write2_b64 v225, v[36:37], v[38:39] offset0:70 offset1:71
	s_waitcnt vmcnt(43)
	ds_write2_b64 v225, v[32:33], v[34:35] offset0:72 offset1:73
	s_waitcnt vmcnt(42)
	ds_write2_b64 v225, v[28:29], v[30:31] offset0:74 offset1:75
	s_waitcnt vmcnt(41)
	ds_write2_b64 v225, v[24:25], v[26:27] offset0:76 offset1:77
	s_waitcnt vmcnt(40)
	ds_write2_b64 v225, v[20:21], v[22:23] offset0:78 offset1:79
	s_waitcnt vmcnt(39)
	ds_write2_b64 v225, v[16:17], v[18:19] offset0:80 offset1:81
	s_waitcnt vmcnt(38)
	ds_write2_b64 v225, v[12:13], v[14:15] offset0:82 offset1:83
	s_waitcnt vmcnt(37)
	ds_write2_b64 v225, v[8:9], v[10:11] offset0:84 offset1:85
	s_waitcnt vmcnt(36)
	ds_write2_b64 v225, v[4:5], v[6:7] offset0:86 offset1:87
	ds_write2_b64 v225, v[0:1], v[2:3] offset0:88 offset1:89
	s_waitcnt vmcnt(33)
	ds_write2_b64 v225, v[180:181], v[182:183] offset0:90 offset1:91
	ds_read2_b64 v[184:187], v224 offset1:1
	s_waitcnt lgkmcnt(0)
	v_cmp_neq_f64_e32 vcc, 0, v[184:185]
	v_cmp_neq_f64_e64 s[2:3], 0, v[186:187]
	s_or_b64 s[2:3], vcc, s[2:3]
	s_and_b64 exec, exec, s[2:3]
	s_cbranch_execz .LBB91_242
; %bb.237:
	v_cmp_ngt_f64_e64 s[2:3], |v[184:185]|, |v[186:187]|
                                        ; implicit-def: $vgpr188_vgpr189
	s_and_saveexec_b64 s[10:11], s[2:3]
	s_xor_b64 s[2:3], exec, s[10:11]
                                        ; implicit-def: $vgpr190_vgpr191
	s_cbranch_execz .LBB91_239
; %bb.238:
	v_div_scale_f64 v[188:189], s[10:11], v[186:187], v[186:187], v[184:185]
	v_rcp_f64_e32 v[190:191], v[188:189]
	v_div_scale_f64 v[192:193], vcc, v[184:185], v[186:187], v[184:185]
	v_fma_f64 v[194:195], -v[188:189], v[190:191], 1.0
	v_fmac_f64_e32 v[190:191], v[190:191], v[194:195]
	v_fma_f64 v[194:195], -v[188:189], v[190:191], 1.0
	v_fmac_f64_e32 v[190:191], v[190:191], v[194:195]
	v_mul_f64 v[194:195], v[192:193], v[190:191]
	v_fma_f64 v[188:189], -v[188:189], v[194:195], v[192:193]
	v_div_fmas_f64 v[188:189], v[188:189], v[190:191], v[194:195]
	v_div_fixup_f64 v[188:189], v[188:189], v[186:187], v[184:185]
	v_fmac_f64_e32 v[186:187], v[184:185], v[188:189]
	v_div_scale_f64 v[184:185], s[10:11], v[186:187], v[186:187], 1.0
	v_rcp_f64_e32 v[190:191], v[184:185]
	s_nop 0
	v_fma_f64 v[192:193], -v[184:185], v[190:191], 1.0
	v_fmac_f64_e32 v[190:191], v[190:191], v[192:193]
	v_fma_f64 v[192:193], -v[184:185], v[190:191], 1.0
	v_fmac_f64_e32 v[190:191], v[190:191], v[192:193]
	v_div_scale_f64 v[192:193], vcc, 1.0, v[186:187], 1.0
	v_mul_f64 v[194:195], v[192:193], v[190:191]
	v_fma_f64 v[184:185], -v[184:185], v[194:195], v[192:193]
	s_nop 1
	v_div_fmas_f64 v[184:185], v[184:185], v[190:191], v[194:195]
	v_div_fixup_f64 v[190:191], v[184:185], v[186:187], 1.0
	v_mul_f64 v[188:189], v[188:189], v[190:191]
	v_xor_b32_e32 v191, 0x80000000, v191
                                        ; implicit-def: $vgpr184_vgpr185
.LBB91_239:
	s_andn2_saveexec_b64 s[2:3], s[2:3]
	s_cbranch_execz .LBB91_241
; %bb.240:
	v_div_scale_f64 v[188:189], s[10:11], v[184:185], v[184:185], v[186:187]
	v_rcp_f64_e32 v[190:191], v[188:189]
	v_div_scale_f64 v[192:193], vcc, v[186:187], v[184:185], v[186:187]
	v_fma_f64 v[194:195], -v[188:189], v[190:191], 1.0
	v_fmac_f64_e32 v[190:191], v[190:191], v[194:195]
	v_fma_f64 v[194:195], -v[188:189], v[190:191], 1.0
	v_fmac_f64_e32 v[190:191], v[190:191], v[194:195]
	v_mul_f64 v[194:195], v[192:193], v[190:191]
	v_fma_f64 v[188:189], -v[188:189], v[194:195], v[192:193]
	v_div_fmas_f64 v[188:189], v[188:189], v[190:191], v[194:195]
	v_div_fixup_f64 v[190:191], v[188:189], v[184:185], v[186:187]
	v_fmac_f64_e32 v[184:185], v[186:187], v[190:191]
	v_div_scale_f64 v[186:187], s[10:11], v[184:185], v[184:185], 1.0
	v_rcp_f64_e32 v[188:189], v[186:187]
	s_nop 0
	v_fma_f64 v[192:193], -v[186:187], v[188:189], 1.0
	v_fmac_f64_e32 v[188:189], v[188:189], v[192:193]
	v_fma_f64 v[192:193], -v[186:187], v[188:189], 1.0
	v_fmac_f64_e32 v[188:189], v[188:189], v[192:193]
	v_div_scale_f64 v[192:193], vcc, 1.0, v[184:185], 1.0
	v_mul_f64 v[194:195], v[192:193], v[188:189]
	v_fma_f64 v[186:187], -v[186:187], v[194:195], v[192:193]
	s_nop 1
	v_div_fmas_f64 v[186:187], v[186:187], v[188:189], v[194:195]
	v_div_fixup_f64 v[188:189], v[186:187], v[184:185], 1.0
	v_mul_f64 v[190:191], v[190:191], -v[188:189]
.LBB91_241:
	s_or_b64 exec, exec, s[2:3]
	ds_write2_b64 v224, v[188:189], v[190:191] offset1:1
.LBB91_242:
	s_or_b64 exec, exec, s[4:5]
	s_waitcnt lgkmcnt(0)
	s_barrier
	ds_read2_b64 v[184:187], v224 offset1:1
	v_cmp_lt_u32_e32 vcc, 26, v226
	s_waitcnt lgkmcnt(0)
	scratch_store_dwordx4 off, v[184:187], off offset:696 ; 16-byte Folded Spill
	s_and_saveexec_b64 s[2:3], vcc
	s_cbranch_execz .LBB91_244
; %bb.243:
	scratch_load_dwordx4 v[186:189], off, off offset:696 ; 16-byte Folded Reload
	s_waitcnt vmcnt(0)
	v_mul_f64 v[184:185], v[188:189], v[74:75]
	v_mul_f64 v[74:75], v[186:187], v[74:75]
	v_fma_f64 v[184:185], v[186:187], v[72:73], -v[184:185]
	v_fmac_f64_e32 v[74:75], v[188:189], v[72:73]
	ds_read2_b64 v[186:189], v225 offset0:54 offset1:55
	s_waitcnt lgkmcnt(0)
	v_mul_f64 v[72:73], v[188:189], v[74:75]
	v_fma_f64 v[72:73], v[186:187], v[184:185], -v[72:73]
	v_mul_f64 v[186:187], v[186:187], v[74:75]
	v_fmac_f64_e32 v[186:187], v[188:189], v[184:185]
	v_add_f64 v[70:71], v[70:71], -v[186:187]
	ds_read2_b64 v[186:189], v225 offset0:56 offset1:57
	v_add_f64 v[68:69], v[68:69], -v[72:73]
	s_waitcnt lgkmcnt(0)
	v_mul_f64 v[72:73], v[188:189], v[74:75]
	v_fma_f64 v[72:73], v[186:187], v[184:185], -v[72:73]
	v_mul_f64 v[186:187], v[186:187], v[74:75]
	v_fmac_f64_e32 v[186:187], v[188:189], v[184:185]
	v_add_f64 v[66:67], v[66:67], -v[186:187]
	ds_read2_b64 v[186:189], v225 offset0:58 offset1:59
	v_add_f64 v[64:65], v[64:65], -v[72:73]
	;; [unrolled: 8-line block ×18, first 2 shown]
	s_waitcnt lgkmcnt(0)
	v_mul_f64 v[72:73], v[188:189], v[74:75]
	v_fma_f64 v[72:73], v[186:187], v[184:185], -v[72:73]
	v_mul_f64 v[186:187], v[186:187], v[74:75]
	v_fmac_f64_e32 v[186:187], v[188:189], v[184:185]
	v_add_f64 v[180:181], v[180:181], -v[72:73]
	v_add_f64 v[182:183], v[182:183], -v[186:187]
	v_mov_b64_e32 v[72:73], v[184:185]
.LBB91_244:
	s_or_b64 exec, exec, s[2:3]
	v_cmp_eq_u32_e32 vcc, 27, v226
	s_waitcnt vmcnt(63) expcnt(7) lgkmcnt(15)
	s_barrier
	s_and_saveexec_b64 s[4:5], vcc
	s_cbranch_execz .LBB91_251
; %bb.245:
	ds_write2_b64 v224, v[68:69], v[70:71] offset1:1
	ds_write2_b64 v225, v[64:65], v[66:67] offset0:56 offset1:57
	ds_write2_b64 v225, v[60:61], v[62:63] offset0:58 offset1:59
	;; [unrolled: 1-line block ×6, first 2 shown]
	s_waitcnt vmcnt(62)
	ds_write2_b64 v225, v[40:41], v[42:43] offset0:68 offset1:69
	s_waitcnt vmcnt(61)
	ds_write2_b64 v225, v[36:37], v[38:39] offset0:70 offset1:71
	;; [unrolled: 2-line block ×10, first 2 shown]
	ds_write2_b64 v225, v[0:1], v[2:3] offset0:88 offset1:89
	s_waitcnt vmcnt(34)
	ds_write2_b64 v225, v[180:181], v[182:183] offset0:90 offset1:91
	ds_read2_b64 v[184:187], v224 offset1:1
	s_waitcnt lgkmcnt(0)
	v_cmp_neq_f64_e32 vcc, 0, v[184:185]
	v_cmp_neq_f64_e64 s[2:3], 0, v[186:187]
	s_or_b64 s[2:3], vcc, s[2:3]
	s_and_b64 exec, exec, s[2:3]
	s_cbranch_execz .LBB91_251
; %bb.246:
	v_cmp_ngt_f64_e64 s[2:3], |v[184:185]|, |v[186:187]|
                                        ; implicit-def: $vgpr188_vgpr189
	s_and_saveexec_b64 s[10:11], s[2:3]
	s_xor_b64 s[2:3], exec, s[10:11]
                                        ; implicit-def: $vgpr190_vgpr191
	s_cbranch_execz .LBB91_248
; %bb.247:
	v_div_scale_f64 v[188:189], s[10:11], v[186:187], v[186:187], v[184:185]
	v_rcp_f64_e32 v[190:191], v[188:189]
	v_div_scale_f64 v[192:193], vcc, v[184:185], v[186:187], v[184:185]
	v_fma_f64 v[194:195], -v[188:189], v[190:191], 1.0
	v_fmac_f64_e32 v[190:191], v[190:191], v[194:195]
	v_fma_f64 v[194:195], -v[188:189], v[190:191], 1.0
	v_fmac_f64_e32 v[190:191], v[190:191], v[194:195]
	v_mul_f64 v[194:195], v[192:193], v[190:191]
	v_fma_f64 v[188:189], -v[188:189], v[194:195], v[192:193]
	v_div_fmas_f64 v[188:189], v[188:189], v[190:191], v[194:195]
	v_div_fixup_f64 v[188:189], v[188:189], v[186:187], v[184:185]
	v_fmac_f64_e32 v[186:187], v[184:185], v[188:189]
	v_div_scale_f64 v[184:185], s[10:11], v[186:187], v[186:187], 1.0
	v_rcp_f64_e32 v[190:191], v[184:185]
	s_nop 0
	v_fma_f64 v[192:193], -v[184:185], v[190:191], 1.0
	v_fmac_f64_e32 v[190:191], v[190:191], v[192:193]
	v_fma_f64 v[192:193], -v[184:185], v[190:191], 1.0
	v_fmac_f64_e32 v[190:191], v[190:191], v[192:193]
	v_div_scale_f64 v[192:193], vcc, 1.0, v[186:187], 1.0
	v_mul_f64 v[194:195], v[192:193], v[190:191]
	v_fma_f64 v[184:185], -v[184:185], v[194:195], v[192:193]
	s_nop 1
	v_div_fmas_f64 v[184:185], v[184:185], v[190:191], v[194:195]
	v_div_fixup_f64 v[190:191], v[184:185], v[186:187], 1.0
	v_mul_f64 v[188:189], v[188:189], v[190:191]
	v_xor_b32_e32 v191, 0x80000000, v191
                                        ; implicit-def: $vgpr184_vgpr185
.LBB91_248:
	s_andn2_saveexec_b64 s[2:3], s[2:3]
	s_cbranch_execz .LBB91_250
; %bb.249:
	v_div_scale_f64 v[188:189], s[10:11], v[184:185], v[184:185], v[186:187]
	v_rcp_f64_e32 v[190:191], v[188:189]
	v_div_scale_f64 v[192:193], vcc, v[186:187], v[184:185], v[186:187]
	v_fma_f64 v[194:195], -v[188:189], v[190:191], 1.0
	v_fmac_f64_e32 v[190:191], v[190:191], v[194:195]
	v_fma_f64 v[194:195], -v[188:189], v[190:191], 1.0
	v_fmac_f64_e32 v[190:191], v[190:191], v[194:195]
	v_mul_f64 v[194:195], v[192:193], v[190:191]
	v_fma_f64 v[188:189], -v[188:189], v[194:195], v[192:193]
	v_div_fmas_f64 v[188:189], v[188:189], v[190:191], v[194:195]
	v_div_fixup_f64 v[190:191], v[188:189], v[184:185], v[186:187]
	v_fmac_f64_e32 v[184:185], v[186:187], v[190:191]
	v_div_scale_f64 v[186:187], s[10:11], v[184:185], v[184:185], 1.0
	v_rcp_f64_e32 v[188:189], v[186:187]
	s_nop 0
	v_fma_f64 v[192:193], -v[186:187], v[188:189], 1.0
	v_fmac_f64_e32 v[188:189], v[188:189], v[192:193]
	v_fma_f64 v[192:193], -v[186:187], v[188:189], 1.0
	v_fmac_f64_e32 v[188:189], v[188:189], v[192:193]
	v_div_scale_f64 v[192:193], vcc, 1.0, v[184:185], 1.0
	v_mul_f64 v[194:195], v[192:193], v[188:189]
	v_fma_f64 v[186:187], -v[186:187], v[194:195], v[192:193]
	s_nop 1
	v_div_fmas_f64 v[186:187], v[186:187], v[188:189], v[194:195]
	v_div_fixup_f64 v[188:189], v[186:187], v[184:185], 1.0
	v_mul_f64 v[190:191], v[190:191], -v[188:189]
.LBB91_250:
	s_or_b64 exec, exec, s[2:3]
	ds_write2_b64 v224, v[188:189], v[190:191] offset1:1
.LBB91_251:
	s_or_b64 exec, exec, s[4:5]
	s_waitcnt lgkmcnt(0)
	s_barrier
	ds_read2_b64 v[184:187], v224 offset1:1
	v_cmp_lt_u32_e32 vcc, 27, v226
	s_waitcnt lgkmcnt(0)
	scratch_store_dwordx4 off, v[184:187], off offset:712 ; 16-byte Folded Spill
	s_and_saveexec_b64 s[2:3], vcc
	s_cbranch_execz .LBB91_253
; %bb.252:
	scratch_load_dwordx4 v[186:189], off, off offset:712 ; 16-byte Folded Reload
	s_waitcnt vmcnt(0)
	v_mul_f64 v[184:185], v[188:189], v[70:71]
	v_mul_f64 v[70:71], v[186:187], v[70:71]
	v_fma_f64 v[184:185], v[186:187], v[68:69], -v[184:185]
	v_fmac_f64_e32 v[70:71], v[188:189], v[68:69]
	ds_read2_b64 v[186:189], v225 offset0:56 offset1:57
	s_waitcnt lgkmcnt(0)
	v_mul_f64 v[68:69], v[188:189], v[70:71]
	v_fma_f64 v[68:69], v[186:187], v[184:185], -v[68:69]
	v_mul_f64 v[186:187], v[186:187], v[70:71]
	v_fmac_f64_e32 v[186:187], v[188:189], v[184:185]
	v_add_f64 v[66:67], v[66:67], -v[186:187]
	ds_read2_b64 v[186:189], v225 offset0:58 offset1:59
	v_add_f64 v[64:65], v[64:65], -v[68:69]
	s_waitcnt lgkmcnt(0)
	v_mul_f64 v[68:69], v[188:189], v[70:71]
	v_fma_f64 v[68:69], v[186:187], v[184:185], -v[68:69]
	v_mul_f64 v[186:187], v[186:187], v[70:71]
	v_fmac_f64_e32 v[186:187], v[188:189], v[184:185]
	v_add_f64 v[62:63], v[62:63], -v[186:187]
	ds_read2_b64 v[186:189], v225 offset0:60 offset1:61
	v_add_f64 v[60:61], v[60:61], -v[68:69]
	s_waitcnt lgkmcnt(0)
	v_mul_f64 v[68:69], v[188:189], v[70:71]
	v_fma_f64 v[68:69], v[186:187], v[184:185], -v[68:69]
	v_mul_f64 v[186:187], v[186:187], v[70:71]
	v_fmac_f64_e32 v[186:187], v[188:189], v[184:185]
	v_add_f64 v[58:59], v[58:59], -v[186:187]
	ds_read2_b64 v[186:189], v225 offset0:62 offset1:63
	v_add_f64 v[56:57], v[56:57], -v[68:69]
	s_waitcnt lgkmcnt(0)
	v_mul_f64 v[68:69], v[188:189], v[70:71]
	v_fma_f64 v[68:69], v[186:187], v[184:185], -v[68:69]
	v_mul_f64 v[186:187], v[186:187], v[70:71]
	v_fmac_f64_e32 v[186:187], v[188:189], v[184:185]
	v_add_f64 v[54:55], v[54:55], -v[186:187]
	ds_read2_b64 v[186:189], v225 offset0:64 offset1:65
	v_add_f64 v[52:53], v[52:53], -v[68:69]
	s_waitcnt lgkmcnt(0)
	v_mul_f64 v[68:69], v[188:189], v[70:71]
	v_fma_f64 v[68:69], v[186:187], v[184:185], -v[68:69]
	v_mul_f64 v[186:187], v[186:187], v[70:71]
	v_fmac_f64_e32 v[186:187], v[188:189], v[184:185]
	v_add_f64 v[50:51], v[50:51], -v[186:187]
	ds_read2_b64 v[186:189], v225 offset0:66 offset1:67
	v_add_f64 v[48:49], v[48:49], -v[68:69]
	s_waitcnt lgkmcnt(0)
	v_mul_f64 v[68:69], v[188:189], v[70:71]
	v_fma_f64 v[68:69], v[186:187], v[184:185], -v[68:69]
	v_mul_f64 v[186:187], v[186:187], v[70:71]
	v_fmac_f64_e32 v[186:187], v[188:189], v[184:185]
	v_add_f64 v[46:47], v[46:47], -v[186:187]
	ds_read2_b64 v[186:189], v225 offset0:68 offset1:69
	v_add_f64 v[44:45], v[44:45], -v[68:69]
	s_waitcnt lgkmcnt(0)
	v_mul_f64 v[68:69], v[188:189], v[70:71]
	v_fma_f64 v[68:69], v[186:187], v[184:185], -v[68:69]
	v_mul_f64 v[186:187], v[186:187], v[70:71]
	v_fmac_f64_e32 v[186:187], v[188:189], v[184:185]
	v_add_f64 v[42:43], v[42:43], -v[186:187]
	ds_read2_b64 v[186:189], v225 offset0:70 offset1:71
	v_add_f64 v[40:41], v[40:41], -v[68:69]
	s_waitcnt lgkmcnt(0)
	v_mul_f64 v[68:69], v[188:189], v[70:71]
	v_fma_f64 v[68:69], v[186:187], v[184:185], -v[68:69]
	v_mul_f64 v[186:187], v[186:187], v[70:71]
	v_fmac_f64_e32 v[186:187], v[188:189], v[184:185]
	v_add_f64 v[38:39], v[38:39], -v[186:187]
	ds_read2_b64 v[186:189], v225 offset0:72 offset1:73
	v_add_f64 v[36:37], v[36:37], -v[68:69]
	s_waitcnt lgkmcnt(0)
	v_mul_f64 v[68:69], v[188:189], v[70:71]
	v_fma_f64 v[68:69], v[186:187], v[184:185], -v[68:69]
	v_mul_f64 v[186:187], v[186:187], v[70:71]
	v_fmac_f64_e32 v[186:187], v[188:189], v[184:185]
	v_add_f64 v[34:35], v[34:35], -v[186:187]
	ds_read2_b64 v[186:189], v225 offset0:74 offset1:75
	v_add_f64 v[32:33], v[32:33], -v[68:69]
	s_waitcnt lgkmcnt(0)
	v_mul_f64 v[68:69], v[188:189], v[70:71]
	v_fma_f64 v[68:69], v[186:187], v[184:185], -v[68:69]
	v_mul_f64 v[186:187], v[186:187], v[70:71]
	v_fmac_f64_e32 v[186:187], v[188:189], v[184:185]
	v_add_f64 v[30:31], v[30:31], -v[186:187]
	ds_read2_b64 v[186:189], v225 offset0:76 offset1:77
	v_add_f64 v[28:29], v[28:29], -v[68:69]
	s_waitcnt lgkmcnt(0)
	v_mul_f64 v[68:69], v[188:189], v[70:71]
	v_fma_f64 v[68:69], v[186:187], v[184:185], -v[68:69]
	v_mul_f64 v[186:187], v[186:187], v[70:71]
	v_fmac_f64_e32 v[186:187], v[188:189], v[184:185]
	v_add_f64 v[26:27], v[26:27], -v[186:187]
	ds_read2_b64 v[186:189], v225 offset0:78 offset1:79
	v_add_f64 v[24:25], v[24:25], -v[68:69]
	s_waitcnt lgkmcnt(0)
	v_mul_f64 v[68:69], v[188:189], v[70:71]
	v_fma_f64 v[68:69], v[186:187], v[184:185], -v[68:69]
	v_mul_f64 v[186:187], v[186:187], v[70:71]
	v_fmac_f64_e32 v[186:187], v[188:189], v[184:185]
	v_add_f64 v[22:23], v[22:23], -v[186:187]
	ds_read2_b64 v[186:189], v225 offset0:80 offset1:81
	v_add_f64 v[20:21], v[20:21], -v[68:69]
	s_waitcnt lgkmcnt(0)
	v_mul_f64 v[68:69], v[188:189], v[70:71]
	v_fma_f64 v[68:69], v[186:187], v[184:185], -v[68:69]
	v_mul_f64 v[186:187], v[186:187], v[70:71]
	v_fmac_f64_e32 v[186:187], v[188:189], v[184:185]
	v_add_f64 v[18:19], v[18:19], -v[186:187]
	ds_read2_b64 v[186:189], v225 offset0:82 offset1:83
	v_add_f64 v[16:17], v[16:17], -v[68:69]
	s_waitcnt lgkmcnt(0)
	v_mul_f64 v[68:69], v[188:189], v[70:71]
	v_fma_f64 v[68:69], v[186:187], v[184:185], -v[68:69]
	v_mul_f64 v[186:187], v[186:187], v[70:71]
	v_fmac_f64_e32 v[186:187], v[188:189], v[184:185]
	v_add_f64 v[14:15], v[14:15], -v[186:187]
	ds_read2_b64 v[186:189], v225 offset0:84 offset1:85
	v_add_f64 v[12:13], v[12:13], -v[68:69]
	s_waitcnt lgkmcnt(0)
	v_mul_f64 v[68:69], v[188:189], v[70:71]
	v_fma_f64 v[68:69], v[186:187], v[184:185], -v[68:69]
	v_mul_f64 v[186:187], v[186:187], v[70:71]
	v_fmac_f64_e32 v[186:187], v[188:189], v[184:185]
	v_add_f64 v[10:11], v[10:11], -v[186:187]
	ds_read2_b64 v[186:189], v225 offset0:86 offset1:87
	v_add_f64 v[8:9], v[8:9], -v[68:69]
	s_waitcnt lgkmcnt(0)
	v_mul_f64 v[68:69], v[188:189], v[70:71]
	v_fma_f64 v[68:69], v[186:187], v[184:185], -v[68:69]
	v_mul_f64 v[186:187], v[186:187], v[70:71]
	v_fmac_f64_e32 v[186:187], v[188:189], v[184:185]
	v_add_f64 v[6:7], v[6:7], -v[186:187]
	ds_read2_b64 v[186:189], v225 offset0:88 offset1:89
	v_add_f64 v[4:5], v[4:5], -v[68:69]
	s_waitcnt lgkmcnt(0)
	v_mul_f64 v[68:69], v[188:189], v[70:71]
	v_fma_f64 v[68:69], v[186:187], v[184:185], -v[68:69]
	v_mul_f64 v[186:187], v[186:187], v[70:71]
	v_fmac_f64_e32 v[186:187], v[188:189], v[184:185]
	v_add_f64 v[2:3], v[2:3], -v[186:187]
	ds_read2_b64 v[186:189], v225 offset0:90 offset1:91
	v_add_f64 v[0:1], v[0:1], -v[68:69]
	s_waitcnt lgkmcnt(0)
	v_mul_f64 v[68:69], v[188:189], v[70:71]
	v_fma_f64 v[68:69], v[186:187], v[184:185], -v[68:69]
	v_mul_f64 v[186:187], v[186:187], v[70:71]
	v_fmac_f64_e32 v[186:187], v[188:189], v[184:185]
	v_add_f64 v[180:181], v[180:181], -v[68:69]
	v_add_f64 v[182:183], v[182:183], -v[186:187]
	v_mov_b64_e32 v[68:69], v[184:185]
.LBB91_253:
	s_or_b64 exec, exec, s[2:3]
	v_cmp_eq_u32_e32 vcc, 28, v226
	s_waitcnt vmcnt(63) expcnt(7) lgkmcnt(15)
	s_barrier
	s_and_saveexec_b64 s[4:5], vcc
	s_cbranch_execz .LBB91_260
; %bb.254:
	ds_write2_b64 v224, v[64:65], v[66:67] offset1:1
	ds_write2_b64 v225, v[60:61], v[62:63] offset0:58 offset1:59
	ds_write2_b64 v225, v[56:57], v[58:59] offset0:60 offset1:61
	;; [unrolled: 1-line block ×6, first 2 shown]
	s_waitcnt vmcnt(62)
	ds_write2_b64 v225, v[36:37], v[38:39] offset0:70 offset1:71
	s_waitcnt vmcnt(45)
	ds_write2_b64 v225, v[32:33], v[34:35] offset0:72 offset1:73
	;; [unrolled: 2-line block ×9, first 2 shown]
	ds_write2_b64 v225, v[0:1], v[2:3] offset0:88 offset1:89
	s_waitcnt vmcnt(35)
	ds_write2_b64 v225, v[180:181], v[182:183] offset0:90 offset1:91
	ds_read2_b64 v[184:187], v224 offset1:1
	s_waitcnt lgkmcnt(0)
	v_cmp_neq_f64_e32 vcc, 0, v[184:185]
	v_cmp_neq_f64_e64 s[2:3], 0, v[186:187]
	s_or_b64 s[2:3], vcc, s[2:3]
	s_and_b64 exec, exec, s[2:3]
	s_cbranch_execz .LBB91_260
; %bb.255:
	v_cmp_ngt_f64_e64 s[2:3], |v[184:185]|, |v[186:187]|
                                        ; implicit-def: $vgpr188_vgpr189
	s_and_saveexec_b64 s[10:11], s[2:3]
	s_xor_b64 s[2:3], exec, s[10:11]
                                        ; implicit-def: $vgpr190_vgpr191
	s_cbranch_execz .LBB91_257
; %bb.256:
	v_div_scale_f64 v[188:189], s[10:11], v[186:187], v[186:187], v[184:185]
	v_rcp_f64_e32 v[190:191], v[188:189]
	v_div_scale_f64 v[192:193], vcc, v[184:185], v[186:187], v[184:185]
	v_fma_f64 v[194:195], -v[188:189], v[190:191], 1.0
	v_fmac_f64_e32 v[190:191], v[190:191], v[194:195]
	v_fma_f64 v[194:195], -v[188:189], v[190:191], 1.0
	v_fmac_f64_e32 v[190:191], v[190:191], v[194:195]
	v_mul_f64 v[194:195], v[192:193], v[190:191]
	v_fma_f64 v[188:189], -v[188:189], v[194:195], v[192:193]
	v_div_fmas_f64 v[188:189], v[188:189], v[190:191], v[194:195]
	v_div_fixup_f64 v[188:189], v[188:189], v[186:187], v[184:185]
	v_fmac_f64_e32 v[186:187], v[184:185], v[188:189]
	v_div_scale_f64 v[184:185], s[10:11], v[186:187], v[186:187], 1.0
	v_rcp_f64_e32 v[190:191], v[184:185]
	s_nop 0
	v_fma_f64 v[192:193], -v[184:185], v[190:191], 1.0
	v_fmac_f64_e32 v[190:191], v[190:191], v[192:193]
	v_fma_f64 v[192:193], -v[184:185], v[190:191], 1.0
	v_fmac_f64_e32 v[190:191], v[190:191], v[192:193]
	v_div_scale_f64 v[192:193], vcc, 1.0, v[186:187], 1.0
	v_mul_f64 v[194:195], v[192:193], v[190:191]
	v_fma_f64 v[184:185], -v[184:185], v[194:195], v[192:193]
	s_nop 1
	v_div_fmas_f64 v[184:185], v[184:185], v[190:191], v[194:195]
	v_div_fixup_f64 v[190:191], v[184:185], v[186:187], 1.0
	v_mul_f64 v[188:189], v[188:189], v[190:191]
	v_xor_b32_e32 v191, 0x80000000, v191
                                        ; implicit-def: $vgpr184_vgpr185
.LBB91_257:
	s_andn2_saveexec_b64 s[2:3], s[2:3]
	s_cbranch_execz .LBB91_259
; %bb.258:
	v_div_scale_f64 v[188:189], s[10:11], v[184:185], v[184:185], v[186:187]
	v_rcp_f64_e32 v[190:191], v[188:189]
	v_div_scale_f64 v[192:193], vcc, v[186:187], v[184:185], v[186:187]
	v_fma_f64 v[194:195], -v[188:189], v[190:191], 1.0
	v_fmac_f64_e32 v[190:191], v[190:191], v[194:195]
	v_fma_f64 v[194:195], -v[188:189], v[190:191], 1.0
	v_fmac_f64_e32 v[190:191], v[190:191], v[194:195]
	v_mul_f64 v[194:195], v[192:193], v[190:191]
	v_fma_f64 v[188:189], -v[188:189], v[194:195], v[192:193]
	v_div_fmas_f64 v[188:189], v[188:189], v[190:191], v[194:195]
	v_div_fixup_f64 v[190:191], v[188:189], v[184:185], v[186:187]
	v_fmac_f64_e32 v[184:185], v[186:187], v[190:191]
	v_div_scale_f64 v[186:187], s[10:11], v[184:185], v[184:185], 1.0
	v_rcp_f64_e32 v[188:189], v[186:187]
	s_nop 0
	v_fma_f64 v[192:193], -v[186:187], v[188:189], 1.0
	v_fmac_f64_e32 v[188:189], v[188:189], v[192:193]
	v_fma_f64 v[192:193], -v[186:187], v[188:189], 1.0
	v_fmac_f64_e32 v[188:189], v[188:189], v[192:193]
	v_div_scale_f64 v[192:193], vcc, 1.0, v[184:185], 1.0
	v_mul_f64 v[194:195], v[192:193], v[188:189]
	v_fma_f64 v[186:187], -v[186:187], v[194:195], v[192:193]
	s_nop 1
	v_div_fmas_f64 v[186:187], v[186:187], v[188:189], v[194:195]
	v_div_fixup_f64 v[188:189], v[186:187], v[184:185], 1.0
	v_mul_f64 v[190:191], v[190:191], -v[188:189]
.LBB91_259:
	s_or_b64 exec, exec, s[2:3]
	ds_write2_b64 v224, v[188:189], v[190:191] offset1:1
.LBB91_260:
	s_or_b64 exec, exec, s[4:5]
	s_waitcnt lgkmcnt(0)
	s_barrier
	ds_read2_b64 v[184:187], v224 offset1:1
	v_cmp_lt_u32_e32 vcc, 28, v226
	s_waitcnt lgkmcnt(0)
	scratch_store_dwordx4 off, v[184:187], off offset:728 ; 16-byte Folded Spill
	s_and_saveexec_b64 s[2:3], vcc
	s_cbranch_execz .LBB91_262
; %bb.261:
	scratch_load_dwordx4 v[186:189], off, off offset:728 ; 16-byte Folded Reload
	s_waitcnt vmcnt(0)
	v_mul_f64 v[184:185], v[188:189], v[66:67]
	v_mul_f64 v[66:67], v[186:187], v[66:67]
	v_fma_f64 v[184:185], v[186:187], v[64:65], -v[184:185]
	v_fmac_f64_e32 v[66:67], v[188:189], v[64:65]
	ds_read2_b64 v[186:189], v225 offset0:58 offset1:59
	s_waitcnt lgkmcnt(0)
	v_mul_f64 v[64:65], v[188:189], v[66:67]
	v_fma_f64 v[64:65], v[186:187], v[184:185], -v[64:65]
	v_mul_f64 v[186:187], v[186:187], v[66:67]
	v_fmac_f64_e32 v[186:187], v[188:189], v[184:185]
	v_add_f64 v[62:63], v[62:63], -v[186:187]
	ds_read2_b64 v[186:189], v225 offset0:60 offset1:61
	v_add_f64 v[60:61], v[60:61], -v[64:65]
	s_waitcnt lgkmcnt(0)
	v_mul_f64 v[64:65], v[188:189], v[66:67]
	v_fma_f64 v[64:65], v[186:187], v[184:185], -v[64:65]
	v_mul_f64 v[186:187], v[186:187], v[66:67]
	v_fmac_f64_e32 v[186:187], v[188:189], v[184:185]
	v_add_f64 v[58:59], v[58:59], -v[186:187]
	ds_read2_b64 v[186:189], v225 offset0:62 offset1:63
	v_add_f64 v[56:57], v[56:57], -v[64:65]
	;; [unrolled: 8-line block ×16, first 2 shown]
	s_waitcnt lgkmcnt(0)
	v_mul_f64 v[64:65], v[188:189], v[66:67]
	v_fma_f64 v[64:65], v[186:187], v[184:185], -v[64:65]
	v_mul_f64 v[186:187], v[186:187], v[66:67]
	v_fmac_f64_e32 v[186:187], v[188:189], v[184:185]
	v_add_f64 v[180:181], v[180:181], -v[64:65]
	v_add_f64 v[182:183], v[182:183], -v[186:187]
	v_mov_b64_e32 v[64:65], v[184:185]
.LBB91_262:
	s_or_b64 exec, exec, s[2:3]
	v_cmp_eq_u32_e32 vcc, 29, v226
	s_waitcnt vmcnt(63) expcnt(7) lgkmcnt(15)
	s_barrier
	s_and_saveexec_b64 s[4:5], vcc
	s_cbranch_execz .LBB91_269
; %bb.263:
	ds_write2_b64 v224, v[60:61], v[62:63] offset1:1
	ds_write2_b64 v225, v[56:57], v[58:59] offset0:60 offset1:61
	ds_write2_b64 v225, v[52:53], v[54:55] offset0:62 offset1:63
	;; [unrolled: 1-line block ×6, first 2 shown]
	s_waitcnt vmcnt(46)
	ds_write2_b64 v225, v[32:33], v[34:35] offset0:72 offset1:73
	s_waitcnt vmcnt(45)
	ds_write2_b64 v225, v[28:29], v[30:31] offset0:74 offset1:75
	;; [unrolled: 2-line block ×8, first 2 shown]
	ds_write2_b64 v225, v[0:1], v[2:3] offset0:88 offset1:89
	s_waitcnt vmcnt(36)
	ds_write2_b64 v225, v[180:181], v[182:183] offset0:90 offset1:91
	ds_read2_b64 v[184:187], v224 offset1:1
	s_waitcnt lgkmcnt(0)
	v_cmp_neq_f64_e32 vcc, 0, v[184:185]
	v_cmp_neq_f64_e64 s[2:3], 0, v[186:187]
	s_or_b64 s[2:3], vcc, s[2:3]
	s_and_b64 exec, exec, s[2:3]
	s_cbranch_execz .LBB91_269
; %bb.264:
	v_cmp_ngt_f64_e64 s[2:3], |v[184:185]|, |v[186:187]|
                                        ; implicit-def: $vgpr188_vgpr189
	s_and_saveexec_b64 s[10:11], s[2:3]
	s_xor_b64 s[2:3], exec, s[10:11]
                                        ; implicit-def: $vgpr190_vgpr191
	s_cbranch_execz .LBB91_266
; %bb.265:
	v_div_scale_f64 v[188:189], s[10:11], v[186:187], v[186:187], v[184:185]
	v_rcp_f64_e32 v[190:191], v[188:189]
	v_div_scale_f64 v[192:193], vcc, v[184:185], v[186:187], v[184:185]
	v_fma_f64 v[194:195], -v[188:189], v[190:191], 1.0
	v_fmac_f64_e32 v[190:191], v[190:191], v[194:195]
	v_fma_f64 v[194:195], -v[188:189], v[190:191], 1.0
	v_fmac_f64_e32 v[190:191], v[190:191], v[194:195]
	v_mul_f64 v[194:195], v[192:193], v[190:191]
	v_fma_f64 v[188:189], -v[188:189], v[194:195], v[192:193]
	v_div_fmas_f64 v[188:189], v[188:189], v[190:191], v[194:195]
	v_div_fixup_f64 v[188:189], v[188:189], v[186:187], v[184:185]
	v_fmac_f64_e32 v[186:187], v[184:185], v[188:189]
	v_div_scale_f64 v[184:185], s[10:11], v[186:187], v[186:187], 1.0
	v_rcp_f64_e32 v[190:191], v[184:185]
	s_nop 0
	v_fma_f64 v[192:193], -v[184:185], v[190:191], 1.0
	v_fmac_f64_e32 v[190:191], v[190:191], v[192:193]
	v_fma_f64 v[192:193], -v[184:185], v[190:191], 1.0
	v_fmac_f64_e32 v[190:191], v[190:191], v[192:193]
	v_div_scale_f64 v[192:193], vcc, 1.0, v[186:187], 1.0
	v_mul_f64 v[194:195], v[192:193], v[190:191]
	v_fma_f64 v[184:185], -v[184:185], v[194:195], v[192:193]
	s_nop 1
	v_div_fmas_f64 v[184:185], v[184:185], v[190:191], v[194:195]
	v_div_fixup_f64 v[190:191], v[184:185], v[186:187], 1.0
	v_mul_f64 v[188:189], v[188:189], v[190:191]
	v_xor_b32_e32 v191, 0x80000000, v191
                                        ; implicit-def: $vgpr184_vgpr185
.LBB91_266:
	s_andn2_saveexec_b64 s[2:3], s[2:3]
	s_cbranch_execz .LBB91_268
; %bb.267:
	v_div_scale_f64 v[188:189], s[10:11], v[184:185], v[184:185], v[186:187]
	v_rcp_f64_e32 v[190:191], v[188:189]
	v_div_scale_f64 v[192:193], vcc, v[186:187], v[184:185], v[186:187]
	v_fma_f64 v[194:195], -v[188:189], v[190:191], 1.0
	v_fmac_f64_e32 v[190:191], v[190:191], v[194:195]
	v_fma_f64 v[194:195], -v[188:189], v[190:191], 1.0
	v_fmac_f64_e32 v[190:191], v[190:191], v[194:195]
	v_mul_f64 v[194:195], v[192:193], v[190:191]
	v_fma_f64 v[188:189], -v[188:189], v[194:195], v[192:193]
	v_div_fmas_f64 v[188:189], v[188:189], v[190:191], v[194:195]
	v_div_fixup_f64 v[190:191], v[188:189], v[184:185], v[186:187]
	v_fmac_f64_e32 v[184:185], v[186:187], v[190:191]
	v_div_scale_f64 v[186:187], s[10:11], v[184:185], v[184:185], 1.0
	v_rcp_f64_e32 v[188:189], v[186:187]
	s_nop 0
	v_fma_f64 v[192:193], -v[186:187], v[188:189], 1.0
	v_fmac_f64_e32 v[188:189], v[188:189], v[192:193]
	v_fma_f64 v[192:193], -v[186:187], v[188:189], 1.0
	v_fmac_f64_e32 v[188:189], v[188:189], v[192:193]
	v_div_scale_f64 v[192:193], vcc, 1.0, v[184:185], 1.0
	v_mul_f64 v[194:195], v[192:193], v[188:189]
	v_fma_f64 v[186:187], -v[186:187], v[194:195], v[192:193]
	s_nop 1
	v_div_fmas_f64 v[186:187], v[186:187], v[188:189], v[194:195]
	v_div_fixup_f64 v[188:189], v[186:187], v[184:185], 1.0
	v_mul_f64 v[190:191], v[190:191], -v[188:189]
.LBB91_268:
	s_or_b64 exec, exec, s[2:3]
	ds_write2_b64 v224, v[188:189], v[190:191] offset1:1
.LBB91_269:
	s_or_b64 exec, exec, s[4:5]
	s_waitcnt lgkmcnt(0)
	s_barrier
	ds_read2_b64 v[184:187], v224 offset1:1
	v_cmp_lt_u32_e32 vcc, 29, v226
	s_waitcnt lgkmcnt(0)
	scratch_store_dwordx4 off, v[184:187], off offset:744 ; 16-byte Folded Spill
	s_and_saveexec_b64 s[2:3], vcc
	s_cbranch_execz .LBB91_271
; %bb.270:
	scratch_load_dwordx4 v[186:189], off, off offset:744 ; 16-byte Folded Reload
	s_waitcnt vmcnt(0)
	v_mul_f64 v[184:185], v[186:187], v[62:63]
	v_mul_f64 v[62:63], v[188:189], v[62:63]
	v_fmac_f64_e32 v[184:185], v[188:189], v[60:61]
	v_fma_f64 v[60:61], v[186:187], v[60:61], -v[62:63]
	ds_read2_b64 v[186:189], v225 offset0:60 offset1:61
	s_waitcnt lgkmcnt(0)
	v_mul_f64 v[62:63], v[188:189], v[184:185]
	v_fma_f64 v[62:63], v[186:187], v[60:61], -v[62:63]
	v_mul_f64 v[186:187], v[186:187], v[184:185]
	v_fmac_f64_e32 v[186:187], v[188:189], v[60:61]
	v_add_f64 v[58:59], v[58:59], -v[186:187]
	ds_read2_b64 v[186:189], v225 offset0:62 offset1:63
	v_add_f64 v[56:57], v[56:57], -v[62:63]
	s_waitcnt lgkmcnt(0)
	v_mul_f64 v[62:63], v[188:189], v[184:185]
	v_fma_f64 v[62:63], v[186:187], v[60:61], -v[62:63]
	v_mul_f64 v[186:187], v[186:187], v[184:185]
	v_fmac_f64_e32 v[186:187], v[188:189], v[60:61]
	v_add_f64 v[54:55], v[54:55], -v[186:187]
	ds_read2_b64 v[186:189], v225 offset0:64 offset1:65
	v_add_f64 v[52:53], v[52:53], -v[62:63]
	;; [unrolled: 8-line block ×15, first 2 shown]
	s_waitcnt lgkmcnt(0)
	v_mul_f64 v[62:63], v[188:189], v[184:185]
	v_fma_f64 v[62:63], v[186:187], v[60:61], -v[62:63]
	v_mul_f64 v[186:187], v[186:187], v[184:185]
	v_fmac_f64_e32 v[186:187], v[188:189], v[60:61]
	v_add_f64 v[180:181], v[180:181], -v[62:63]
	v_add_f64 v[182:183], v[182:183], -v[186:187]
	v_mov_b64_e32 v[62:63], v[184:185]
.LBB91_271:
	s_or_b64 exec, exec, s[2:3]
	v_cmp_eq_u32_e32 vcc, 30, v226
	s_waitcnt vmcnt(63) expcnt(7) lgkmcnt(15)
	s_barrier
	s_and_saveexec_b64 s[4:5], vcc
	s_cbranch_execz .LBB91_278
; %bb.272:
	ds_write2_b64 v224, v[56:57], v[58:59] offset1:1
	ds_write2_b64 v225, v[52:53], v[54:55] offset0:62 offset1:63
	ds_write2_b64 v225, v[48:49], v[50:51] offset0:64 offset1:65
	ds_write2_b64 v225, v[44:45], v[46:47] offset0:66 offset1:67
	ds_write2_b64 v225, v[40:41], v[42:43] offset0:68 offset1:69
	ds_write2_b64 v225, v[36:37], v[38:39] offset0:70 offset1:71
	s_waitcnt vmcnt(47)
	ds_write2_b64 v225, v[32:33], v[34:35] offset0:72 offset1:73
	s_waitcnt vmcnt(46)
	ds_write2_b64 v225, v[28:29], v[30:31] offset0:74 offset1:75
	;; [unrolled: 2-line block ×8, first 2 shown]
	ds_write2_b64 v225, v[0:1], v[2:3] offset0:88 offset1:89
	s_waitcnt vmcnt(37)
	ds_write2_b64 v225, v[180:181], v[182:183] offset0:90 offset1:91
	ds_read2_b64 v[184:187], v224 offset1:1
	s_waitcnt lgkmcnt(0)
	v_cmp_neq_f64_e32 vcc, 0, v[184:185]
	v_cmp_neq_f64_e64 s[2:3], 0, v[186:187]
	s_or_b64 s[2:3], vcc, s[2:3]
	s_and_b64 exec, exec, s[2:3]
	s_cbranch_execz .LBB91_278
; %bb.273:
	v_cmp_ngt_f64_e64 s[2:3], |v[184:185]|, |v[186:187]|
                                        ; implicit-def: $vgpr188_vgpr189
	s_and_saveexec_b64 s[10:11], s[2:3]
	s_xor_b64 s[2:3], exec, s[10:11]
                                        ; implicit-def: $vgpr190_vgpr191
	s_cbranch_execz .LBB91_275
; %bb.274:
	v_div_scale_f64 v[188:189], s[10:11], v[186:187], v[186:187], v[184:185]
	v_rcp_f64_e32 v[190:191], v[188:189]
	v_div_scale_f64 v[192:193], vcc, v[184:185], v[186:187], v[184:185]
	v_fma_f64 v[194:195], -v[188:189], v[190:191], 1.0
	v_fmac_f64_e32 v[190:191], v[190:191], v[194:195]
	v_fma_f64 v[194:195], -v[188:189], v[190:191], 1.0
	v_fmac_f64_e32 v[190:191], v[190:191], v[194:195]
	v_mul_f64 v[194:195], v[192:193], v[190:191]
	v_fma_f64 v[188:189], -v[188:189], v[194:195], v[192:193]
	v_div_fmas_f64 v[188:189], v[188:189], v[190:191], v[194:195]
	v_div_fixup_f64 v[188:189], v[188:189], v[186:187], v[184:185]
	v_fmac_f64_e32 v[186:187], v[184:185], v[188:189]
	v_div_scale_f64 v[184:185], s[10:11], v[186:187], v[186:187], 1.0
	v_rcp_f64_e32 v[190:191], v[184:185]
	s_nop 0
	v_fma_f64 v[192:193], -v[184:185], v[190:191], 1.0
	v_fmac_f64_e32 v[190:191], v[190:191], v[192:193]
	v_fma_f64 v[192:193], -v[184:185], v[190:191], 1.0
	v_fmac_f64_e32 v[190:191], v[190:191], v[192:193]
	v_div_scale_f64 v[192:193], vcc, 1.0, v[186:187], 1.0
	v_mul_f64 v[194:195], v[192:193], v[190:191]
	v_fma_f64 v[184:185], -v[184:185], v[194:195], v[192:193]
	s_nop 1
	v_div_fmas_f64 v[184:185], v[184:185], v[190:191], v[194:195]
	v_div_fixup_f64 v[190:191], v[184:185], v[186:187], 1.0
	v_mul_f64 v[188:189], v[188:189], v[190:191]
	v_xor_b32_e32 v191, 0x80000000, v191
                                        ; implicit-def: $vgpr184_vgpr185
.LBB91_275:
	s_andn2_saveexec_b64 s[2:3], s[2:3]
	s_cbranch_execz .LBB91_277
; %bb.276:
	v_div_scale_f64 v[188:189], s[10:11], v[184:185], v[184:185], v[186:187]
	v_rcp_f64_e32 v[190:191], v[188:189]
	v_div_scale_f64 v[192:193], vcc, v[186:187], v[184:185], v[186:187]
	v_fma_f64 v[194:195], -v[188:189], v[190:191], 1.0
	v_fmac_f64_e32 v[190:191], v[190:191], v[194:195]
	v_fma_f64 v[194:195], -v[188:189], v[190:191], 1.0
	v_fmac_f64_e32 v[190:191], v[190:191], v[194:195]
	v_mul_f64 v[194:195], v[192:193], v[190:191]
	v_fma_f64 v[188:189], -v[188:189], v[194:195], v[192:193]
	v_div_fmas_f64 v[188:189], v[188:189], v[190:191], v[194:195]
	v_div_fixup_f64 v[190:191], v[188:189], v[184:185], v[186:187]
	v_fmac_f64_e32 v[184:185], v[186:187], v[190:191]
	v_div_scale_f64 v[186:187], s[10:11], v[184:185], v[184:185], 1.0
	v_rcp_f64_e32 v[188:189], v[186:187]
	s_nop 0
	v_fma_f64 v[192:193], -v[186:187], v[188:189], 1.0
	v_fmac_f64_e32 v[188:189], v[188:189], v[192:193]
	v_fma_f64 v[192:193], -v[186:187], v[188:189], 1.0
	v_fmac_f64_e32 v[188:189], v[188:189], v[192:193]
	v_div_scale_f64 v[192:193], vcc, 1.0, v[184:185], 1.0
	v_mul_f64 v[194:195], v[192:193], v[188:189]
	v_fma_f64 v[186:187], -v[186:187], v[194:195], v[192:193]
	s_nop 1
	v_div_fmas_f64 v[186:187], v[186:187], v[188:189], v[194:195]
	v_div_fixup_f64 v[188:189], v[186:187], v[184:185], 1.0
	v_mul_f64 v[190:191], v[190:191], -v[188:189]
.LBB91_277:
	s_or_b64 exec, exec, s[2:3]
	ds_write2_b64 v224, v[188:189], v[190:191] offset1:1
.LBB91_278:
	s_or_b64 exec, exec, s[4:5]
	s_waitcnt lgkmcnt(0)
	s_barrier
	ds_read2_b64 v[184:187], v224 offset1:1
	v_cmp_lt_u32_e32 vcc, 30, v226
	s_waitcnt lgkmcnt(0)
	scratch_store_dwordx4 off, v[184:187], off offset:760 ; 16-byte Folded Spill
	s_and_saveexec_b64 s[2:3], vcc
	s_cbranch_execz .LBB91_280
; %bb.279:
	scratch_load_dwordx4 v[186:189], off, off offset:760 ; 16-byte Folded Reload
	s_waitcnt vmcnt(0)
	v_mul_f64 v[184:185], v[186:187], v[58:59]
	v_mul_f64 v[58:59], v[188:189], v[58:59]
	v_fmac_f64_e32 v[184:185], v[188:189], v[56:57]
	v_fma_f64 v[56:57], v[186:187], v[56:57], -v[58:59]
	ds_read2_b64 v[186:189], v225 offset0:62 offset1:63
	s_waitcnt lgkmcnt(0)
	v_mul_f64 v[58:59], v[188:189], v[184:185]
	v_fma_f64 v[58:59], v[186:187], v[56:57], -v[58:59]
	v_mul_f64 v[186:187], v[186:187], v[184:185]
	v_fmac_f64_e32 v[186:187], v[188:189], v[56:57]
	v_add_f64 v[54:55], v[54:55], -v[186:187]
	ds_read2_b64 v[186:189], v225 offset0:64 offset1:65
	v_add_f64 v[52:53], v[52:53], -v[58:59]
	s_waitcnt lgkmcnt(0)
	v_mul_f64 v[58:59], v[188:189], v[184:185]
	v_fma_f64 v[58:59], v[186:187], v[56:57], -v[58:59]
	v_mul_f64 v[186:187], v[186:187], v[184:185]
	v_fmac_f64_e32 v[186:187], v[188:189], v[56:57]
	v_add_f64 v[50:51], v[50:51], -v[186:187]
	ds_read2_b64 v[186:189], v225 offset0:66 offset1:67
	v_add_f64 v[48:49], v[48:49], -v[58:59]
	s_waitcnt lgkmcnt(0)
	v_mul_f64 v[58:59], v[188:189], v[184:185]
	v_fma_f64 v[58:59], v[186:187], v[56:57], -v[58:59]
	v_mul_f64 v[186:187], v[186:187], v[184:185]
	v_fmac_f64_e32 v[186:187], v[188:189], v[56:57]
	v_add_f64 v[46:47], v[46:47], -v[186:187]
	ds_read2_b64 v[186:189], v225 offset0:68 offset1:69
	v_add_f64 v[44:45], v[44:45], -v[58:59]
	s_waitcnt lgkmcnt(0)
	v_mul_f64 v[58:59], v[188:189], v[184:185]
	v_fma_f64 v[58:59], v[186:187], v[56:57], -v[58:59]
	v_mul_f64 v[186:187], v[186:187], v[184:185]
	v_fmac_f64_e32 v[186:187], v[188:189], v[56:57]
	v_add_f64 v[42:43], v[42:43], -v[186:187]
	ds_read2_b64 v[186:189], v225 offset0:70 offset1:71
	v_add_f64 v[40:41], v[40:41], -v[58:59]
	s_waitcnt lgkmcnt(0)
	v_mul_f64 v[58:59], v[188:189], v[184:185]
	v_fma_f64 v[58:59], v[186:187], v[56:57], -v[58:59]
	v_mul_f64 v[186:187], v[186:187], v[184:185]
	v_fmac_f64_e32 v[186:187], v[188:189], v[56:57]
	v_add_f64 v[38:39], v[38:39], -v[186:187]
	ds_read2_b64 v[186:189], v225 offset0:72 offset1:73
	v_add_f64 v[36:37], v[36:37], -v[58:59]
	s_waitcnt lgkmcnt(0)
	v_mul_f64 v[58:59], v[188:189], v[184:185]
	v_fma_f64 v[58:59], v[186:187], v[56:57], -v[58:59]
	v_mul_f64 v[186:187], v[186:187], v[184:185]
	v_fmac_f64_e32 v[186:187], v[188:189], v[56:57]
	v_add_f64 v[34:35], v[34:35], -v[186:187]
	ds_read2_b64 v[186:189], v225 offset0:74 offset1:75
	v_add_f64 v[32:33], v[32:33], -v[58:59]
	s_waitcnt lgkmcnt(0)
	v_mul_f64 v[58:59], v[188:189], v[184:185]
	v_fma_f64 v[58:59], v[186:187], v[56:57], -v[58:59]
	v_mul_f64 v[186:187], v[186:187], v[184:185]
	v_fmac_f64_e32 v[186:187], v[188:189], v[56:57]
	v_add_f64 v[30:31], v[30:31], -v[186:187]
	ds_read2_b64 v[186:189], v225 offset0:76 offset1:77
	v_add_f64 v[28:29], v[28:29], -v[58:59]
	s_waitcnt lgkmcnt(0)
	v_mul_f64 v[58:59], v[188:189], v[184:185]
	v_fma_f64 v[58:59], v[186:187], v[56:57], -v[58:59]
	v_mul_f64 v[186:187], v[186:187], v[184:185]
	v_fmac_f64_e32 v[186:187], v[188:189], v[56:57]
	v_add_f64 v[26:27], v[26:27], -v[186:187]
	ds_read2_b64 v[186:189], v225 offset0:78 offset1:79
	v_add_f64 v[24:25], v[24:25], -v[58:59]
	s_waitcnt lgkmcnt(0)
	v_mul_f64 v[58:59], v[188:189], v[184:185]
	v_fma_f64 v[58:59], v[186:187], v[56:57], -v[58:59]
	v_mul_f64 v[186:187], v[186:187], v[184:185]
	v_fmac_f64_e32 v[186:187], v[188:189], v[56:57]
	v_add_f64 v[22:23], v[22:23], -v[186:187]
	ds_read2_b64 v[186:189], v225 offset0:80 offset1:81
	v_add_f64 v[20:21], v[20:21], -v[58:59]
	s_waitcnt lgkmcnt(0)
	v_mul_f64 v[58:59], v[188:189], v[184:185]
	v_fma_f64 v[58:59], v[186:187], v[56:57], -v[58:59]
	v_mul_f64 v[186:187], v[186:187], v[184:185]
	v_fmac_f64_e32 v[186:187], v[188:189], v[56:57]
	v_add_f64 v[18:19], v[18:19], -v[186:187]
	ds_read2_b64 v[186:189], v225 offset0:82 offset1:83
	v_add_f64 v[16:17], v[16:17], -v[58:59]
	s_waitcnt lgkmcnt(0)
	v_mul_f64 v[58:59], v[188:189], v[184:185]
	v_fma_f64 v[58:59], v[186:187], v[56:57], -v[58:59]
	v_mul_f64 v[186:187], v[186:187], v[184:185]
	v_fmac_f64_e32 v[186:187], v[188:189], v[56:57]
	v_add_f64 v[14:15], v[14:15], -v[186:187]
	ds_read2_b64 v[186:189], v225 offset0:84 offset1:85
	v_add_f64 v[12:13], v[12:13], -v[58:59]
	s_waitcnt lgkmcnt(0)
	v_mul_f64 v[58:59], v[188:189], v[184:185]
	v_fma_f64 v[58:59], v[186:187], v[56:57], -v[58:59]
	v_mul_f64 v[186:187], v[186:187], v[184:185]
	v_fmac_f64_e32 v[186:187], v[188:189], v[56:57]
	v_add_f64 v[10:11], v[10:11], -v[186:187]
	ds_read2_b64 v[186:189], v225 offset0:86 offset1:87
	v_add_f64 v[8:9], v[8:9], -v[58:59]
	s_waitcnt lgkmcnt(0)
	v_mul_f64 v[58:59], v[188:189], v[184:185]
	v_fma_f64 v[58:59], v[186:187], v[56:57], -v[58:59]
	v_mul_f64 v[186:187], v[186:187], v[184:185]
	v_fmac_f64_e32 v[186:187], v[188:189], v[56:57]
	v_add_f64 v[6:7], v[6:7], -v[186:187]
	ds_read2_b64 v[186:189], v225 offset0:88 offset1:89
	v_add_f64 v[4:5], v[4:5], -v[58:59]
	s_waitcnt lgkmcnt(0)
	v_mul_f64 v[58:59], v[188:189], v[184:185]
	v_fma_f64 v[58:59], v[186:187], v[56:57], -v[58:59]
	v_mul_f64 v[186:187], v[186:187], v[184:185]
	v_fmac_f64_e32 v[186:187], v[188:189], v[56:57]
	v_add_f64 v[2:3], v[2:3], -v[186:187]
	ds_read2_b64 v[186:189], v225 offset0:90 offset1:91
	v_add_f64 v[0:1], v[0:1], -v[58:59]
	s_waitcnt lgkmcnt(0)
	v_mul_f64 v[58:59], v[188:189], v[184:185]
	v_fma_f64 v[58:59], v[186:187], v[56:57], -v[58:59]
	v_mul_f64 v[186:187], v[186:187], v[184:185]
	v_fmac_f64_e32 v[186:187], v[188:189], v[56:57]
	v_add_f64 v[180:181], v[180:181], -v[58:59]
	v_add_f64 v[182:183], v[182:183], -v[186:187]
	v_mov_b64_e32 v[58:59], v[184:185]
.LBB91_280:
	s_or_b64 exec, exec, s[2:3]
	v_cmp_eq_u32_e32 vcc, 31, v226
	s_waitcnt vmcnt(63) expcnt(7) lgkmcnt(15)
	s_barrier
	s_and_saveexec_b64 s[4:5], vcc
	s_cbranch_execz .LBB91_287
; %bb.281:
	ds_write2_b64 v224, v[52:53], v[54:55] offset1:1
	ds_write2_b64 v225, v[48:49], v[50:51] offset0:64 offset1:65
	ds_write2_b64 v225, v[44:45], v[46:47] offset0:66 offset1:67
	;; [unrolled: 1-line block ×4, first 2 shown]
	s_waitcnt vmcnt(48)
	ds_write2_b64 v225, v[32:33], v[34:35] offset0:72 offset1:73
	s_waitcnt vmcnt(47)
	ds_write2_b64 v225, v[28:29], v[30:31] offset0:74 offset1:75
	;; [unrolled: 2-line block ×8, first 2 shown]
	ds_write2_b64 v225, v[0:1], v[2:3] offset0:88 offset1:89
	s_waitcnt vmcnt(38)
	ds_write2_b64 v225, v[180:181], v[182:183] offset0:90 offset1:91
	ds_read2_b64 v[184:187], v224 offset1:1
	s_waitcnt lgkmcnt(0)
	v_cmp_neq_f64_e32 vcc, 0, v[184:185]
	v_cmp_neq_f64_e64 s[2:3], 0, v[186:187]
	s_or_b64 s[2:3], vcc, s[2:3]
	s_and_b64 exec, exec, s[2:3]
	s_cbranch_execz .LBB91_287
; %bb.282:
	v_cmp_ngt_f64_e64 s[2:3], |v[184:185]|, |v[186:187]|
                                        ; implicit-def: $vgpr188_vgpr189
	s_and_saveexec_b64 s[10:11], s[2:3]
	s_xor_b64 s[2:3], exec, s[10:11]
                                        ; implicit-def: $vgpr190_vgpr191
	s_cbranch_execz .LBB91_284
; %bb.283:
	v_div_scale_f64 v[188:189], s[10:11], v[186:187], v[186:187], v[184:185]
	v_rcp_f64_e32 v[190:191], v[188:189]
	v_div_scale_f64 v[192:193], vcc, v[184:185], v[186:187], v[184:185]
	v_fma_f64 v[194:195], -v[188:189], v[190:191], 1.0
	v_fmac_f64_e32 v[190:191], v[190:191], v[194:195]
	v_fma_f64 v[194:195], -v[188:189], v[190:191], 1.0
	v_fmac_f64_e32 v[190:191], v[190:191], v[194:195]
	v_mul_f64 v[194:195], v[192:193], v[190:191]
	v_fma_f64 v[188:189], -v[188:189], v[194:195], v[192:193]
	v_div_fmas_f64 v[188:189], v[188:189], v[190:191], v[194:195]
	v_div_fixup_f64 v[188:189], v[188:189], v[186:187], v[184:185]
	v_fmac_f64_e32 v[186:187], v[184:185], v[188:189]
	v_div_scale_f64 v[184:185], s[10:11], v[186:187], v[186:187], 1.0
	v_rcp_f64_e32 v[190:191], v[184:185]
	s_nop 0
	v_fma_f64 v[192:193], -v[184:185], v[190:191], 1.0
	v_fmac_f64_e32 v[190:191], v[190:191], v[192:193]
	v_fma_f64 v[192:193], -v[184:185], v[190:191], 1.0
	v_fmac_f64_e32 v[190:191], v[190:191], v[192:193]
	v_div_scale_f64 v[192:193], vcc, 1.0, v[186:187], 1.0
	v_mul_f64 v[194:195], v[192:193], v[190:191]
	v_fma_f64 v[184:185], -v[184:185], v[194:195], v[192:193]
	s_nop 1
	v_div_fmas_f64 v[184:185], v[184:185], v[190:191], v[194:195]
	v_div_fixup_f64 v[190:191], v[184:185], v[186:187], 1.0
	v_mul_f64 v[188:189], v[188:189], v[190:191]
	v_xor_b32_e32 v191, 0x80000000, v191
                                        ; implicit-def: $vgpr184_vgpr185
.LBB91_284:
	s_andn2_saveexec_b64 s[2:3], s[2:3]
	s_cbranch_execz .LBB91_286
; %bb.285:
	v_div_scale_f64 v[188:189], s[10:11], v[184:185], v[184:185], v[186:187]
	v_rcp_f64_e32 v[190:191], v[188:189]
	v_div_scale_f64 v[192:193], vcc, v[186:187], v[184:185], v[186:187]
	v_fma_f64 v[194:195], -v[188:189], v[190:191], 1.0
	v_fmac_f64_e32 v[190:191], v[190:191], v[194:195]
	v_fma_f64 v[194:195], -v[188:189], v[190:191], 1.0
	v_fmac_f64_e32 v[190:191], v[190:191], v[194:195]
	v_mul_f64 v[194:195], v[192:193], v[190:191]
	v_fma_f64 v[188:189], -v[188:189], v[194:195], v[192:193]
	v_div_fmas_f64 v[188:189], v[188:189], v[190:191], v[194:195]
	v_div_fixup_f64 v[190:191], v[188:189], v[184:185], v[186:187]
	v_fmac_f64_e32 v[184:185], v[186:187], v[190:191]
	v_div_scale_f64 v[186:187], s[10:11], v[184:185], v[184:185], 1.0
	v_rcp_f64_e32 v[188:189], v[186:187]
	s_nop 0
	v_fma_f64 v[192:193], -v[186:187], v[188:189], 1.0
	v_fmac_f64_e32 v[188:189], v[188:189], v[192:193]
	v_fma_f64 v[192:193], -v[186:187], v[188:189], 1.0
	v_fmac_f64_e32 v[188:189], v[188:189], v[192:193]
	v_div_scale_f64 v[192:193], vcc, 1.0, v[184:185], 1.0
	v_mul_f64 v[194:195], v[192:193], v[188:189]
	v_fma_f64 v[186:187], -v[186:187], v[194:195], v[192:193]
	s_nop 1
	v_div_fmas_f64 v[186:187], v[186:187], v[188:189], v[194:195]
	v_div_fixup_f64 v[188:189], v[186:187], v[184:185], 1.0
	v_mul_f64 v[190:191], v[190:191], -v[188:189]
.LBB91_286:
	s_or_b64 exec, exec, s[2:3]
	ds_write2_b64 v224, v[188:189], v[190:191] offset1:1
.LBB91_287:
	s_or_b64 exec, exec, s[4:5]
	s_waitcnt lgkmcnt(0)
	s_barrier
	ds_read2_b64 v[184:187], v224 offset1:1
	v_cmp_lt_u32_e32 vcc, 31, v226
	s_waitcnt lgkmcnt(0)
	scratch_store_dwordx4 off, v[184:187], off offset:776 ; 16-byte Folded Spill
	s_and_saveexec_b64 s[2:3], vcc
	s_cbranch_execz .LBB91_289
; %bb.288:
	scratch_load_dwordx4 v[186:189], off, off offset:776 ; 16-byte Folded Reload
	s_waitcnt vmcnt(0)
	v_mul_f64 v[184:185], v[186:187], v[54:55]
	v_mul_f64 v[54:55], v[188:189], v[54:55]
	v_fmac_f64_e32 v[184:185], v[188:189], v[52:53]
	v_fma_f64 v[52:53], v[186:187], v[52:53], -v[54:55]
	ds_read2_b64 v[186:189], v225 offset0:64 offset1:65
	s_waitcnt lgkmcnt(0)
	v_mul_f64 v[54:55], v[188:189], v[184:185]
	v_fma_f64 v[54:55], v[186:187], v[52:53], -v[54:55]
	v_mul_f64 v[186:187], v[186:187], v[184:185]
	v_fmac_f64_e32 v[186:187], v[188:189], v[52:53]
	v_add_f64 v[50:51], v[50:51], -v[186:187]
	ds_read2_b64 v[186:189], v225 offset0:66 offset1:67
	v_add_f64 v[48:49], v[48:49], -v[54:55]
	s_waitcnt lgkmcnt(0)
	v_mul_f64 v[54:55], v[188:189], v[184:185]
	v_fma_f64 v[54:55], v[186:187], v[52:53], -v[54:55]
	v_mul_f64 v[186:187], v[186:187], v[184:185]
	v_fmac_f64_e32 v[186:187], v[188:189], v[52:53]
	v_add_f64 v[46:47], v[46:47], -v[186:187]
	ds_read2_b64 v[186:189], v225 offset0:68 offset1:69
	v_add_f64 v[44:45], v[44:45], -v[54:55]
	s_waitcnt lgkmcnt(0)
	v_mul_f64 v[54:55], v[188:189], v[184:185]
	v_fma_f64 v[54:55], v[186:187], v[52:53], -v[54:55]
	v_mul_f64 v[186:187], v[186:187], v[184:185]
	v_fmac_f64_e32 v[186:187], v[188:189], v[52:53]
	v_add_f64 v[42:43], v[42:43], -v[186:187]
	ds_read2_b64 v[186:189], v225 offset0:70 offset1:71
	v_add_f64 v[40:41], v[40:41], -v[54:55]
	s_waitcnt lgkmcnt(0)
	v_mul_f64 v[54:55], v[188:189], v[184:185]
	v_fma_f64 v[54:55], v[186:187], v[52:53], -v[54:55]
	v_mul_f64 v[186:187], v[186:187], v[184:185]
	v_fmac_f64_e32 v[186:187], v[188:189], v[52:53]
	v_add_f64 v[38:39], v[38:39], -v[186:187]
	ds_read2_b64 v[186:189], v225 offset0:72 offset1:73
	v_add_f64 v[36:37], v[36:37], -v[54:55]
	s_waitcnt lgkmcnt(0)
	v_mul_f64 v[54:55], v[188:189], v[184:185]
	v_fma_f64 v[54:55], v[186:187], v[52:53], -v[54:55]
	v_mul_f64 v[186:187], v[186:187], v[184:185]
	v_fmac_f64_e32 v[186:187], v[188:189], v[52:53]
	v_add_f64 v[34:35], v[34:35], -v[186:187]
	ds_read2_b64 v[186:189], v225 offset0:74 offset1:75
	v_add_f64 v[32:33], v[32:33], -v[54:55]
	s_waitcnt lgkmcnt(0)
	v_mul_f64 v[54:55], v[188:189], v[184:185]
	v_fma_f64 v[54:55], v[186:187], v[52:53], -v[54:55]
	v_mul_f64 v[186:187], v[186:187], v[184:185]
	v_fmac_f64_e32 v[186:187], v[188:189], v[52:53]
	v_add_f64 v[30:31], v[30:31], -v[186:187]
	ds_read2_b64 v[186:189], v225 offset0:76 offset1:77
	v_add_f64 v[28:29], v[28:29], -v[54:55]
	s_waitcnt lgkmcnt(0)
	v_mul_f64 v[54:55], v[188:189], v[184:185]
	v_fma_f64 v[54:55], v[186:187], v[52:53], -v[54:55]
	v_mul_f64 v[186:187], v[186:187], v[184:185]
	v_fmac_f64_e32 v[186:187], v[188:189], v[52:53]
	v_add_f64 v[26:27], v[26:27], -v[186:187]
	ds_read2_b64 v[186:189], v225 offset0:78 offset1:79
	v_add_f64 v[24:25], v[24:25], -v[54:55]
	s_waitcnt lgkmcnt(0)
	v_mul_f64 v[54:55], v[188:189], v[184:185]
	v_fma_f64 v[54:55], v[186:187], v[52:53], -v[54:55]
	v_mul_f64 v[186:187], v[186:187], v[184:185]
	v_fmac_f64_e32 v[186:187], v[188:189], v[52:53]
	v_add_f64 v[22:23], v[22:23], -v[186:187]
	ds_read2_b64 v[186:189], v225 offset0:80 offset1:81
	v_add_f64 v[20:21], v[20:21], -v[54:55]
	s_waitcnt lgkmcnt(0)
	v_mul_f64 v[54:55], v[188:189], v[184:185]
	v_fma_f64 v[54:55], v[186:187], v[52:53], -v[54:55]
	v_mul_f64 v[186:187], v[186:187], v[184:185]
	v_fmac_f64_e32 v[186:187], v[188:189], v[52:53]
	v_add_f64 v[18:19], v[18:19], -v[186:187]
	ds_read2_b64 v[186:189], v225 offset0:82 offset1:83
	v_add_f64 v[16:17], v[16:17], -v[54:55]
	s_waitcnt lgkmcnt(0)
	v_mul_f64 v[54:55], v[188:189], v[184:185]
	v_fma_f64 v[54:55], v[186:187], v[52:53], -v[54:55]
	v_mul_f64 v[186:187], v[186:187], v[184:185]
	v_fmac_f64_e32 v[186:187], v[188:189], v[52:53]
	v_add_f64 v[14:15], v[14:15], -v[186:187]
	ds_read2_b64 v[186:189], v225 offset0:84 offset1:85
	v_add_f64 v[12:13], v[12:13], -v[54:55]
	s_waitcnt lgkmcnt(0)
	v_mul_f64 v[54:55], v[188:189], v[184:185]
	v_fma_f64 v[54:55], v[186:187], v[52:53], -v[54:55]
	v_mul_f64 v[186:187], v[186:187], v[184:185]
	v_fmac_f64_e32 v[186:187], v[188:189], v[52:53]
	v_add_f64 v[10:11], v[10:11], -v[186:187]
	ds_read2_b64 v[186:189], v225 offset0:86 offset1:87
	v_add_f64 v[8:9], v[8:9], -v[54:55]
	s_waitcnt lgkmcnt(0)
	v_mul_f64 v[54:55], v[188:189], v[184:185]
	v_fma_f64 v[54:55], v[186:187], v[52:53], -v[54:55]
	v_mul_f64 v[186:187], v[186:187], v[184:185]
	v_fmac_f64_e32 v[186:187], v[188:189], v[52:53]
	v_add_f64 v[6:7], v[6:7], -v[186:187]
	ds_read2_b64 v[186:189], v225 offset0:88 offset1:89
	v_add_f64 v[4:5], v[4:5], -v[54:55]
	s_waitcnt lgkmcnt(0)
	v_mul_f64 v[54:55], v[188:189], v[184:185]
	v_fma_f64 v[54:55], v[186:187], v[52:53], -v[54:55]
	v_mul_f64 v[186:187], v[186:187], v[184:185]
	v_fmac_f64_e32 v[186:187], v[188:189], v[52:53]
	v_add_f64 v[2:3], v[2:3], -v[186:187]
	ds_read2_b64 v[186:189], v225 offset0:90 offset1:91
	v_add_f64 v[0:1], v[0:1], -v[54:55]
	s_waitcnt lgkmcnt(0)
	v_mul_f64 v[54:55], v[188:189], v[184:185]
	v_fma_f64 v[54:55], v[186:187], v[52:53], -v[54:55]
	v_mul_f64 v[186:187], v[186:187], v[184:185]
	v_fmac_f64_e32 v[186:187], v[188:189], v[52:53]
	v_add_f64 v[180:181], v[180:181], -v[54:55]
	v_add_f64 v[182:183], v[182:183], -v[186:187]
	v_mov_b64_e32 v[54:55], v[184:185]
.LBB91_289:
	s_or_b64 exec, exec, s[2:3]
	v_cmp_eq_u32_e32 vcc, 32, v226
	s_waitcnt vmcnt(63) expcnt(7) lgkmcnt(15)
	s_barrier
	s_and_saveexec_b64 s[4:5], vcc
	s_cbranch_execz .LBB91_296
; %bb.290:
	ds_write2_b64 v224, v[48:49], v[50:51] offset1:1
	ds_write2_b64 v225, v[44:45], v[46:47] offset0:66 offset1:67
	ds_write2_b64 v225, v[40:41], v[42:43] offset0:68 offset1:69
	;; [unrolled: 1-line block ×3, first 2 shown]
	s_waitcnt vmcnt(49)
	ds_write2_b64 v225, v[32:33], v[34:35] offset0:72 offset1:73
	s_waitcnt vmcnt(48)
	ds_write2_b64 v225, v[28:29], v[30:31] offset0:74 offset1:75
	;; [unrolled: 2-line block ×8, first 2 shown]
	ds_write2_b64 v225, v[0:1], v[2:3] offset0:88 offset1:89
	s_waitcnt vmcnt(39)
	ds_write2_b64 v225, v[180:181], v[182:183] offset0:90 offset1:91
	ds_read2_b64 v[184:187], v224 offset1:1
	s_waitcnt lgkmcnt(0)
	v_cmp_neq_f64_e32 vcc, 0, v[184:185]
	v_cmp_neq_f64_e64 s[2:3], 0, v[186:187]
	s_or_b64 s[2:3], vcc, s[2:3]
	s_and_b64 exec, exec, s[2:3]
	s_cbranch_execz .LBB91_296
; %bb.291:
	v_cmp_ngt_f64_e64 s[2:3], |v[184:185]|, |v[186:187]|
                                        ; implicit-def: $vgpr188_vgpr189
	s_and_saveexec_b64 s[10:11], s[2:3]
	s_xor_b64 s[2:3], exec, s[10:11]
                                        ; implicit-def: $vgpr190_vgpr191
	s_cbranch_execz .LBB91_293
; %bb.292:
	v_div_scale_f64 v[188:189], s[10:11], v[186:187], v[186:187], v[184:185]
	v_rcp_f64_e32 v[190:191], v[188:189]
	v_div_scale_f64 v[192:193], vcc, v[184:185], v[186:187], v[184:185]
	v_fma_f64 v[194:195], -v[188:189], v[190:191], 1.0
	v_fmac_f64_e32 v[190:191], v[190:191], v[194:195]
	v_fma_f64 v[194:195], -v[188:189], v[190:191], 1.0
	v_fmac_f64_e32 v[190:191], v[190:191], v[194:195]
	v_mul_f64 v[194:195], v[192:193], v[190:191]
	v_fma_f64 v[188:189], -v[188:189], v[194:195], v[192:193]
	v_div_fmas_f64 v[188:189], v[188:189], v[190:191], v[194:195]
	v_div_fixup_f64 v[188:189], v[188:189], v[186:187], v[184:185]
	v_fmac_f64_e32 v[186:187], v[184:185], v[188:189]
	v_div_scale_f64 v[184:185], s[10:11], v[186:187], v[186:187], 1.0
	v_rcp_f64_e32 v[190:191], v[184:185]
	s_nop 0
	v_fma_f64 v[192:193], -v[184:185], v[190:191], 1.0
	v_fmac_f64_e32 v[190:191], v[190:191], v[192:193]
	v_fma_f64 v[192:193], -v[184:185], v[190:191], 1.0
	v_fmac_f64_e32 v[190:191], v[190:191], v[192:193]
	v_div_scale_f64 v[192:193], vcc, 1.0, v[186:187], 1.0
	v_mul_f64 v[194:195], v[192:193], v[190:191]
	v_fma_f64 v[184:185], -v[184:185], v[194:195], v[192:193]
	s_nop 1
	v_div_fmas_f64 v[184:185], v[184:185], v[190:191], v[194:195]
	v_div_fixup_f64 v[190:191], v[184:185], v[186:187], 1.0
	v_mul_f64 v[188:189], v[188:189], v[190:191]
	v_xor_b32_e32 v191, 0x80000000, v191
                                        ; implicit-def: $vgpr184_vgpr185
.LBB91_293:
	s_andn2_saveexec_b64 s[2:3], s[2:3]
	s_cbranch_execz .LBB91_295
; %bb.294:
	v_div_scale_f64 v[188:189], s[10:11], v[184:185], v[184:185], v[186:187]
	v_rcp_f64_e32 v[190:191], v[188:189]
	v_div_scale_f64 v[192:193], vcc, v[186:187], v[184:185], v[186:187]
	v_fma_f64 v[194:195], -v[188:189], v[190:191], 1.0
	v_fmac_f64_e32 v[190:191], v[190:191], v[194:195]
	v_fma_f64 v[194:195], -v[188:189], v[190:191], 1.0
	v_fmac_f64_e32 v[190:191], v[190:191], v[194:195]
	v_mul_f64 v[194:195], v[192:193], v[190:191]
	v_fma_f64 v[188:189], -v[188:189], v[194:195], v[192:193]
	v_div_fmas_f64 v[188:189], v[188:189], v[190:191], v[194:195]
	v_div_fixup_f64 v[190:191], v[188:189], v[184:185], v[186:187]
	v_fmac_f64_e32 v[184:185], v[186:187], v[190:191]
	v_div_scale_f64 v[186:187], s[10:11], v[184:185], v[184:185], 1.0
	v_rcp_f64_e32 v[188:189], v[186:187]
	s_nop 0
	v_fma_f64 v[192:193], -v[186:187], v[188:189], 1.0
	v_fmac_f64_e32 v[188:189], v[188:189], v[192:193]
	v_fma_f64 v[192:193], -v[186:187], v[188:189], 1.0
	v_fmac_f64_e32 v[188:189], v[188:189], v[192:193]
	v_div_scale_f64 v[192:193], vcc, 1.0, v[184:185], 1.0
	v_mul_f64 v[194:195], v[192:193], v[188:189]
	v_fma_f64 v[186:187], -v[186:187], v[194:195], v[192:193]
	s_nop 1
	v_div_fmas_f64 v[186:187], v[186:187], v[188:189], v[194:195]
	v_div_fixup_f64 v[188:189], v[186:187], v[184:185], 1.0
	v_mul_f64 v[190:191], v[190:191], -v[188:189]
.LBB91_295:
	s_or_b64 exec, exec, s[2:3]
	ds_write2_b64 v224, v[188:189], v[190:191] offset1:1
.LBB91_296:
	s_or_b64 exec, exec, s[4:5]
	s_waitcnt lgkmcnt(0)
	s_barrier
	ds_read2_b64 v[184:187], v224 offset1:1
	v_cmp_lt_u32_e32 vcc, 32, v226
	s_waitcnt lgkmcnt(0)
	scratch_store_dwordx4 off, v[184:187], off offset:792 ; 16-byte Folded Spill
	s_and_saveexec_b64 s[2:3], vcc
	s_cbranch_execz .LBB91_298
; %bb.297:
	scratch_load_dwordx4 v[186:189], off, off offset:792 ; 16-byte Folded Reload
	s_waitcnt vmcnt(0)
	v_mul_f64 v[184:185], v[186:187], v[50:51]
	v_mul_f64 v[50:51], v[188:189], v[50:51]
	v_fmac_f64_e32 v[184:185], v[188:189], v[48:49]
	v_fma_f64 v[48:49], v[186:187], v[48:49], -v[50:51]
	ds_read2_b64 v[186:189], v225 offset0:66 offset1:67
	s_waitcnt lgkmcnt(0)
	v_mul_f64 v[50:51], v[188:189], v[184:185]
	v_fma_f64 v[50:51], v[186:187], v[48:49], -v[50:51]
	v_mul_f64 v[186:187], v[186:187], v[184:185]
	v_fmac_f64_e32 v[186:187], v[188:189], v[48:49]
	v_add_f64 v[46:47], v[46:47], -v[186:187]
	ds_read2_b64 v[186:189], v225 offset0:68 offset1:69
	v_add_f64 v[44:45], v[44:45], -v[50:51]
	s_waitcnt lgkmcnt(0)
	v_mul_f64 v[50:51], v[188:189], v[184:185]
	v_fma_f64 v[50:51], v[186:187], v[48:49], -v[50:51]
	v_mul_f64 v[186:187], v[186:187], v[184:185]
	v_fmac_f64_e32 v[186:187], v[188:189], v[48:49]
	v_add_f64 v[42:43], v[42:43], -v[186:187]
	ds_read2_b64 v[186:189], v225 offset0:70 offset1:71
	v_add_f64 v[40:41], v[40:41], -v[50:51]
	;; [unrolled: 8-line block ×12, first 2 shown]
	s_waitcnt lgkmcnt(0)
	v_mul_f64 v[50:51], v[188:189], v[184:185]
	v_fma_f64 v[50:51], v[186:187], v[48:49], -v[50:51]
	v_mul_f64 v[186:187], v[186:187], v[184:185]
	v_fmac_f64_e32 v[186:187], v[188:189], v[48:49]
	v_add_f64 v[180:181], v[180:181], -v[50:51]
	v_add_f64 v[182:183], v[182:183], -v[186:187]
	v_mov_b64_e32 v[50:51], v[184:185]
.LBB91_298:
	s_or_b64 exec, exec, s[2:3]
	v_cmp_eq_u32_e32 vcc, 33, v226
	s_waitcnt vmcnt(63) expcnt(7) lgkmcnt(15)
	s_barrier
	s_and_saveexec_b64 s[4:5], vcc
	s_cbranch_execz .LBB91_305
; %bb.299:
	ds_write2_b64 v224, v[44:45], v[46:47] offset1:1
	ds_write2_b64 v225, v[40:41], v[42:43] offset0:68 offset1:69
	ds_write2_b64 v225, v[36:37], v[38:39] offset0:70 offset1:71
	s_waitcnt vmcnt(50)
	ds_write2_b64 v225, v[32:33], v[34:35] offset0:72 offset1:73
	s_waitcnt vmcnt(49)
	;; [unrolled: 2-line block ×8, first 2 shown]
	ds_write2_b64 v225, v[4:5], v[6:7] offset0:86 offset1:87
	ds_write2_b64 v225, v[0:1], v[2:3] offset0:88 offset1:89
	s_waitcnt vmcnt(40)
	ds_write2_b64 v225, v[180:181], v[182:183] offset0:90 offset1:91
	ds_read2_b64 v[184:187], v224 offset1:1
	s_waitcnt lgkmcnt(0)
	v_cmp_neq_f64_e32 vcc, 0, v[184:185]
	v_cmp_neq_f64_e64 s[2:3], 0, v[186:187]
	s_or_b64 s[2:3], vcc, s[2:3]
	s_and_b64 exec, exec, s[2:3]
	s_cbranch_execz .LBB91_305
; %bb.300:
	v_cmp_ngt_f64_e64 s[2:3], |v[184:185]|, |v[186:187]|
                                        ; implicit-def: $vgpr188_vgpr189
	s_and_saveexec_b64 s[10:11], s[2:3]
	s_xor_b64 s[2:3], exec, s[10:11]
                                        ; implicit-def: $vgpr190_vgpr191
	s_cbranch_execz .LBB91_302
; %bb.301:
	v_div_scale_f64 v[188:189], s[10:11], v[186:187], v[186:187], v[184:185]
	v_rcp_f64_e32 v[190:191], v[188:189]
	v_div_scale_f64 v[192:193], vcc, v[184:185], v[186:187], v[184:185]
	v_fma_f64 v[194:195], -v[188:189], v[190:191], 1.0
	v_fmac_f64_e32 v[190:191], v[190:191], v[194:195]
	v_fma_f64 v[194:195], -v[188:189], v[190:191], 1.0
	v_fmac_f64_e32 v[190:191], v[190:191], v[194:195]
	v_mul_f64 v[194:195], v[192:193], v[190:191]
	v_fma_f64 v[188:189], -v[188:189], v[194:195], v[192:193]
	v_div_fmas_f64 v[188:189], v[188:189], v[190:191], v[194:195]
	v_div_fixup_f64 v[188:189], v[188:189], v[186:187], v[184:185]
	v_fmac_f64_e32 v[186:187], v[184:185], v[188:189]
	v_div_scale_f64 v[184:185], s[10:11], v[186:187], v[186:187], 1.0
	v_rcp_f64_e32 v[190:191], v[184:185]
	s_nop 0
	v_fma_f64 v[192:193], -v[184:185], v[190:191], 1.0
	v_fmac_f64_e32 v[190:191], v[190:191], v[192:193]
	v_fma_f64 v[192:193], -v[184:185], v[190:191], 1.0
	v_fmac_f64_e32 v[190:191], v[190:191], v[192:193]
	v_div_scale_f64 v[192:193], vcc, 1.0, v[186:187], 1.0
	v_mul_f64 v[194:195], v[192:193], v[190:191]
	v_fma_f64 v[184:185], -v[184:185], v[194:195], v[192:193]
	s_nop 1
	v_div_fmas_f64 v[184:185], v[184:185], v[190:191], v[194:195]
	v_div_fixup_f64 v[190:191], v[184:185], v[186:187], 1.0
	v_mul_f64 v[188:189], v[188:189], v[190:191]
	v_xor_b32_e32 v191, 0x80000000, v191
                                        ; implicit-def: $vgpr184_vgpr185
.LBB91_302:
	s_andn2_saveexec_b64 s[2:3], s[2:3]
	s_cbranch_execz .LBB91_304
; %bb.303:
	v_div_scale_f64 v[188:189], s[10:11], v[184:185], v[184:185], v[186:187]
	v_rcp_f64_e32 v[190:191], v[188:189]
	v_div_scale_f64 v[192:193], vcc, v[186:187], v[184:185], v[186:187]
	v_fma_f64 v[194:195], -v[188:189], v[190:191], 1.0
	v_fmac_f64_e32 v[190:191], v[190:191], v[194:195]
	v_fma_f64 v[194:195], -v[188:189], v[190:191], 1.0
	v_fmac_f64_e32 v[190:191], v[190:191], v[194:195]
	v_mul_f64 v[194:195], v[192:193], v[190:191]
	v_fma_f64 v[188:189], -v[188:189], v[194:195], v[192:193]
	v_div_fmas_f64 v[188:189], v[188:189], v[190:191], v[194:195]
	v_div_fixup_f64 v[190:191], v[188:189], v[184:185], v[186:187]
	v_fmac_f64_e32 v[184:185], v[186:187], v[190:191]
	v_div_scale_f64 v[186:187], s[10:11], v[184:185], v[184:185], 1.0
	v_rcp_f64_e32 v[188:189], v[186:187]
	s_nop 0
	v_fma_f64 v[192:193], -v[186:187], v[188:189], 1.0
	v_fmac_f64_e32 v[188:189], v[188:189], v[192:193]
	v_fma_f64 v[192:193], -v[186:187], v[188:189], 1.0
	v_fmac_f64_e32 v[188:189], v[188:189], v[192:193]
	v_div_scale_f64 v[192:193], vcc, 1.0, v[184:185], 1.0
	v_mul_f64 v[194:195], v[192:193], v[188:189]
	v_fma_f64 v[186:187], -v[186:187], v[194:195], v[192:193]
	s_nop 1
	v_div_fmas_f64 v[186:187], v[186:187], v[188:189], v[194:195]
	v_div_fixup_f64 v[188:189], v[186:187], v[184:185], 1.0
	v_mul_f64 v[190:191], v[190:191], -v[188:189]
.LBB91_304:
	s_or_b64 exec, exec, s[2:3]
	ds_write2_b64 v224, v[188:189], v[190:191] offset1:1
.LBB91_305:
	s_or_b64 exec, exec, s[4:5]
	s_waitcnt lgkmcnt(0)
	s_barrier
	ds_read2_b64 v[184:187], v224 offset1:1
	v_cmp_lt_u32_e32 vcc, 33, v226
	s_waitcnt lgkmcnt(0)
	scratch_store_dwordx4 off, v[184:187], off offset:808 ; 16-byte Folded Spill
	s_and_saveexec_b64 s[2:3], vcc
	s_cbranch_execz .LBB91_307
; %bb.306:
	scratch_load_dwordx4 v[186:189], off, off offset:808 ; 16-byte Folded Reload
	s_waitcnt vmcnt(0)
	v_mul_f64 v[184:185], v[186:187], v[46:47]
	v_mul_f64 v[46:47], v[188:189], v[46:47]
	v_fmac_f64_e32 v[184:185], v[188:189], v[44:45]
	v_fma_f64 v[44:45], v[186:187], v[44:45], -v[46:47]
	ds_read2_b64 v[186:189], v225 offset0:68 offset1:69
	s_waitcnt lgkmcnt(0)
	v_mul_f64 v[46:47], v[188:189], v[184:185]
	v_fma_f64 v[46:47], v[186:187], v[44:45], -v[46:47]
	v_mul_f64 v[186:187], v[186:187], v[184:185]
	v_fmac_f64_e32 v[186:187], v[188:189], v[44:45]
	v_add_f64 v[42:43], v[42:43], -v[186:187]
	ds_read2_b64 v[186:189], v225 offset0:70 offset1:71
	v_add_f64 v[40:41], v[40:41], -v[46:47]
	s_waitcnt lgkmcnt(0)
	v_mul_f64 v[46:47], v[188:189], v[184:185]
	v_fma_f64 v[46:47], v[186:187], v[44:45], -v[46:47]
	v_mul_f64 v[186:187], v[186:187], v[184:185]
	v_fmac_f64_e32 v[186:187], v[188:189], v[44:45]
	v_add_f64 v[38:39], v[38:39], -v[186:187]
	ds_read2_b64 v[186:189], v225 offset0:72 offset1:73
	v_add_f64 v[36:37], v[36:37], -v[46:47]
	;; [unrolled: 8-line block ×11, first 2 shown]
	s_waitcnt lgkmcnt(0)
	v_mul_f64 v[46:47], v[188:189], v[184:185]
	v_fma_f64 v[46:47], v[186:187], v[44:45], -v[46:47]
	v_mul_f64 v[186:187], v[186:187], v[184:185]
	v_fmac_f64_e32 v[186:187], v[188:189], v[44:45]
	v_add_f64 v[180:181], v[180:181], -v[46:47]
	v_add_f64 v[182:183], v[182:183], -v[186:187]
	v_mov_b64_e32 v[46:47], v[184:185]
.LBB91_307:
	s_or_b64 exec, exec, s[2:3]
	v_cmp_eq_u32_e32 vcc, 34, v226
	s_waitcnt vmcnt(63) expcnt(7) lgkmcnt(15)
	s_barrier
	s_and_saveexec_b64 s[4:5], vcc
	s_cbranch_execz .LBB91_314
; %bb.308:
	ds_write2_b64 v224, v[40:41], v[42:43] offset1:1
	ds_write2_b64 v225, v[36:37], v[38:39] offset0:70 offset1:71
	s_waitcnt vmcnt(51)
	ds_write2_b64 v225, v[32:33], v[34:35] offset0:72 offset1:73
	s_waitcnt vmcnt(50)
	;; [unrolled: 2-line block ×8, first 2 shown]
	ds_write2_b64 v225, v[4:5], v[6:7] offset0:86 offset1:87
	ds_write2_b64 v225, v[0:1], v[2:3] offset0:88 offset1:89
	s_waitcnt vmcnt(41)
	ds_write2_b64 v225, v[180:181], v[182:183] offset0:90 offset1:91
	ds_read2_b64 v[184:187], v224 offset1:1
	s_waitcnt lgkmcnt(0)
	v_cmp_neq_f64_e32 vcc, 0, v[184:185]
	v_cmp_neq_f64_e64 s[2:3], 0, v[186:187]
	s_or_b64 s[2:3], vcc, s[2:3]
	s_and_b64 exec, exec, s[2:3]
	s_cbranch_execz .LBB91_314
; %bb.309:
	v_cmp_ngt_f64_e64 s[2:3], |v[184:185]|, |v[186:187]|
                                        ; implicit-def: $vgpr188_vgpr189
	s_and_saveexec_b64 s[10:11], s[2:3]
	s_xor_b64 s[2:3], exec, s[10:11]
                                        ; implicit-def: $vgpr190_vgpr191
	s_cbranch_execz .LBB91_311
; %bb.310:
	v_div_scale_f64 v[188:189], s[10:11], v[186:187], v[186:187], v[184:185]
	v_rcp_f64_e32 v[190:191], v[188:189]
	v_div_scale_f64 v[192:193], vcc, v[184:185], v[186:187], v[184:185]
	v_fma_f64 v[194:195], -v[188:189], v[190:191], 1.0
	v_fmac_f64_e32 v[190:191], v[190:191], v[194:195]
	v_fma_f64 v[194:195], -v[188:189], v[190:191], 1.0
	v_fmac_f64_e32 v[190:191], v[190:191], v[194:195]
	v_mul_f64 v[194:195], v[192:193], v[190:191]
	v_fma_f64 v[188:189], -v[188:189], v[194:195], v[192:193]
	v_div_fmas_f64 v[188:189], v[188:189], v[190:191], v[194:195]
	v_div_fixup_f64 v[188:189], v[188:189], v[186:187], v[184:185]
	v_fmac_f64_e32 v[186:187], v[184:185], v[188:189]
	v_div_scale_f64 v[184:185], s[10:11], v[186:187], v[186:187], 1.0
	v_rcp_f64_e32 v[190:191], v[184:185]
	s_nop 0
	v_fma_f64 v[192:193], -v[184:185], v[190:191], 1.0
	v_fmac_f64_e32 v[190:191], v[190:191], v[192:193]
	v_fma_f64 v[192:193], -v[184:185], v[190:191], 1.0
	v_fmac_f64_e32 v[190:191], v[190:191], v[192:193]
	v_div_scale_f64 v[192:193], vcc, 1.0, v[186:187], 1.0
	v_mul_f64 v[194:195], v[192:193], v[190:191]
	v_fma_f64 v[184:185], -v[184:185], v[194:195], v[192:193]
	s_nop 1
	v_div_fmas_f64 v[184:185], v[184:185], v[190:191], v[194:195]
	v_div_fixup_f64 v[190:191], v[184:185], v[186:187], 1.0
	v_mul_f64 v[188:189], v[188:189], v[190:191]
	v_xor_b32_e32 v191, 0x80000000, v191
                                        ; implicit-def: $vgpr184_vgpr185
.LBB91_311:
	s_andn2_saveexec_b64 s[2:3], s[2:3]
	s_cbranch_execz .LBB91_313
; %bb.312:
	v_div_scale_f64 v[188:189], s[10:11], v[184:185], v[184:185], v[186:187]
	v_rcp_f64_e32 v[190:191], v[188:189]
	v_div_scale_f64 v[192:193], vcc, v[186:187], v[184:185], v[186:187]
	v_fma_f64 v[194:195], -v[188:189], v[190:191], 1.0
	v_fmac_f64_e32 v[190:191], v[190:191], v[194:195]
	v_fma_f64 v[194:195], -v[188:189], v[190:191], 1.0
	v_fmac_f64_e32 v[190:191], v[190:191], v[194:195]
	v_mul_f64 v[194:195], v[192:193], v[190:191]
	v_fma_f64 v[188:189], -v[188:189], v[194:195], v[192:193]
	v_div_fmas_f64 v[188:189], v[188:189], v[190:191], v[194:195]
	v_div_fixup_f64 v[190:191], v[188:189], v[184:185], v[186:187]
	v_fmac_f64_e32 v[184:185], v[186:187], v[190:191]
	v_div_scale_f64 v[186:187], s[10:11], v[184:185], v[184:185], 1.0
	v_rcp_f64_e32 v[188:189], v[186:187]
	s_nop 0
	v_fma_f64 v[192:193], -v[186:187], v[188:189], 1.0
	v_fmac_f64_e32 v[188:189], v[188:189], v[192:193]
	v_fma_f64 v[192:193], -v[186:187], v[188:189], 1.0
	v_fmac_f64_e32 v[188:189], v[188:189], v[192:193]
	v_div_scale_f64 v[192:193], vcc, 1.0, v[184:185], 1.0
	v_mul_f64 v[194:195], v[192:193], v[188:189]
	v_fma_f64 v[186:187], -v[186:187], v[194:195], v[192:193]
	s_nop 1
	v_div_fmas_f64 v[186:187], v[186:187], v[188:189], v[194:195]
	v_div_fixup_f64 v[188:189], v[186:187], v[184:185], 1.0
	v_mul_f64 v[190:191], v[190:191], -v[188:189]
.LBB91_313:
	s_or_b64 exec, exec, s[2:3]
	ds_write2_b64 v224, v[188:189], v[190:191] offset1:1
.LBB91_314:
	s_or_b64 exec, exec, s[4:5]
	s_waitcnt lgkmcnt(0)
	s_barrier
	ds_read2_b64 v[184:187], v224 offset1:1
	v_cmp_lt_u32_e32 vcc, 34, v226
	s_waitcnt lgkmcnt(0)
	scratch_store_dwordx4 off, v[184:187], off offset:824 ; 16-byte Folded Spill
	s_and_saveexec_b64 s[2:3], vcc
	s_cbranch_execz .LBB91_316
; %bb.315:
	scratch_load_dwordx4 v[186:189], off, off offset:824 ; 16-byte Folded Reload
	s_waitcnt vmcnt(0)
	v_mul_f64 v[184:185], v[186:187], v[42:43]
	v_mul_f64 v[42:43], v[188:189], v[42:43]
	v_fmac_f64_e32 v[184:185], v[188:189], v[40:41]
	v_fma_f64 v[40:41], v[186:187], v[40:41], -v[42:43]
	ds_read2_b64 v[186:189], v225 offset0:70 offset1:71
	s_waitcnt lgkmcnt(0)
	v_mul_f64 v[42:43], v[188:189], v[184:185]
	v_fma_f64 v[42:43], v[186:187], v[40:41], -v[42:43]
	v_mul_f64 v[186:187], v[186:187], v[184:185]
	v_fmac_f64_e32 v[186:187], v[188:189], v[40:41]
	v_add_f64 v[38:39], v[38:39], -v[186:187]
	ds_read2_b64 v[186:189], v225 offset0:72 offset1:73
	v_add_f64 v[36:37], v[36:37], -v[42:43]
	s_waitcnt lgkmcnt(0)
	v_mul_f64 v[42:43], v[188:189], v[184:185]
	v_fma_f64 v[42:43], v[186:187], v[40:41], -v[42:43]
	v_mul_f64 v[186:187], v[186:187], v[184:185]
	v_fmac_f64_e32 v[186:187], v[188:189], v[40:41]
	v_add_f64 v[34:35], v[34:35], -v[186:187]
	ds_read2_b64 v[186:189], v225 offset0:74 offset1:75
	v_add_f64 v[32:33], v[32:33], -v[42:43]
	;; [unrolled: 8-line block ×10, first 2 shown]
	s_waitcnt lgkmcnt(0)
	v_mul_f64 v[42:43], v[188:189], v[184:185]
	v_fma_f64 v[42:43], v[186:187], v[40:41], -v[42:43]
	v_mul_f64 v[186:187], v[186:187], v[184:185]
	v_fmac_f64_e32 v[186:187], v[188:189], v[40:41]
	v_add_f64 v[180:181], v[180:181], -v[42:43]
	v_add_f64 v[182:183], v[182:183], -v[186:187]
	v_mov_b64_e32 v[42:43], v[184:185]
.LBB91_316:
	s_or_b64 exec, exec, s[2:3]
	v_cmp_eq_u32_e32 vcc, 35, v226
	s_waitcnt vmcnt(63) expcnt(7) lgkmcnt(15)
	s_barrier
	s_and_saveexec_b64 s[4:5], vcc
	s_cbranch_execz .LBB91_323
; %bb.317:
	ds_write2_b64 v224, v[36:37], v[38:39] offset1:1
	s_waitcnt vmcnt(52)
	ds_write2_b64 v225, v[32:33], v[34:35] offset0:72 offset1:73
	s_waitcnt vmcnt(51)
	ds_write2_b64 v225, v[28:29], v[30:31] offset0:74 offset1:75
	;; [unrolled: 2-line block ×8, first 2 shown]
	ds_write2_b64 v225, v[0:1], v[2:3] offset0:88 offset1:89
	s_waitcnt vmcnt(42)
	ds_write2_b64 v225, v[180:181], v[182:183] offset0:90 offset1:91
	ds_read2_b64 v[184:187], v224 offset1:1
	s_waitcnt lgkmcnt(0)
	v_cmp_neq_f64_e32 vcc, 0, v[184:185]
	v_cmp_neq_f64_e64 s[2:3], 0, v[186:187]
	s_or_b64 s[2:3], vcc, s[2:3]
	s_and_b64 exec, exec, s[2:3]
	s_cbranch_execz .LBB91_323
; %bb.318:
	v_cmp_ngt_f64_e64 s[2:3], |v[184:185]|, |v[186:187]|
                                        ; implicit-def: $vgpr188_vgpr189
	s_and_saveexec_b64 s[10:11], s[2:3]
	s_xor_b64 s[2:3], exec, s[10:11]
                                        ; implicit-def: $vgpr190_vgpr191
	s_cbranch_execz .LBB91_320
; %bb.319:
	v_div_scale_f64 v[188:189], s[10:11], v[186:187], v[186:187], v[184:185]
	v_rcp_f64_e32 v[190:191], v[188:189]
	v_div_scale_f64 v[192:193], vcc, v[184:185], v[186:187], v[184:185]
	v_fma_f64 v[194:195], -v[188:189], v[190:191], 1.0
	v_fmac_f64_e32 v[190:191], v[190:191], v[194:195]
	v_fma_f64 v[194:195], -v[188:189], v[190:191], 1.0
	v_fmac_f64_e32 v[190:191], v[190:191], v[194:195]
	v_mul_f64 v[194:195], v[192:193], v[190:191]
	v_fma_f64 v[188:189], -v[188:189], v[194:195], v[192:193]
	v_div_fmas_f64 v[188:189], v[188:189], v[190:191], v[194:195]
	v_div_fixup_f64 v[188:189], v[188:189], v[186:187], v[184:185]
	v_fmac_f64_e32 v[186:187], v[184:185], v[188:189]
	v_div_scale_f64 v[184:185], s[10:11], v[186:187], v[186:187], 1.0
	v_rcp_f64_e32 v[190:191], v[184:185]
	s_nop 0
	v_fma_f64 v[192:193], -v[184:185], v[190:191], 1.0
	v_fmac_f64_e32 v[190:191], v[190:191], v[192:193]
	v_fma_f64 v[192:193], -v[184:185], v[190:191], 1.0
	v_fmac_f64_e32 v[190:191], v[190:191], v[192:193]
	v_div_scale_f64 v[192:193], vcc, 1.0, v[186:187], 1.0
	v_mul_f64 v[194:195], v[192:193], v[190:191]
	v_fma_f64 v[184:185], -v[184:185], v[194:195], v[192:193]
	s_nop 1
	v_div_fmas_f64 v[184:185], v[184:185], v[190:191], v[194:195]
	v_div_fixup_f64 v[190:191], v[184:185], v[186:187], 1.0
	v_mul_f64 v[188:189], v[188:189], v[190:191]
	v_xor_b32_e32 v191, 0x80000000, v191
                                        ; implicit-def: $vgpr184_vgpr185
.LBB91_320:
	s_andn2_saveexec_b64 s[2:3], s[2:3]
	s_cbranch_execz .LBB91_322
; %bb.321:
	v_div_scale_f64 v[188:189], s[10:11], v[184:185], v[184:185], v[186:187]
	v_rcp_f64_e32 v[190:191], v[188:189]
	v_div_scale_f64 v[192:193], vcc, v[186:187], v[184:185], v[186:187]
	v_fma_f64 v[194:195], -v[188:189], v[190:191], 1.0
	v_fmac_f64_e32 v[190:191], v[190:191], v[194:195]
	v_fma_f64 v[194:195], -v[188:189], v[190:191], 1.0
	v_fmac_f64_e32 v[190:191], v[190:191], v[194:195]
	v_mul_f64 v[194:195], v[192:193], v[190:191]
	v_fma_f64 v[188:189], -v[188:189], v[194:195], v[192:193]
	v_div_fmas_f64 v[188:189], v[188:189], v[190:191], v[194:195]
	v_div_fixup_f64 v[190:191], v[188:189], v[184:185], v[186:187]
	v_fmac_f64_e32 v[184:185], v[186:187], v[190:191]
	v_div_scale_f64 v[186:187], s[10:11], v[184:185], v[184:185], 1.0
	v_rcp_f64_e32 v[188:189], v[186:187]
	s_nop 0
	v_fma_f64 v[192:193], -v[186:187], v[188:189], 1.0
	v_fmac_f64_e32 v[188:189], v[188:189], v[192:193]
	v_fma_f64 v[192:193], -v[186:187], v[188:189], 1.0
	v_fmac_f64_e32 v[188:189], v[188:189], v[192:193]
	v_div_scale_f64 v[192:193], vcc, 1.0, v[184:185], 1.0
	v_mul_f64 v[194:195], v[192:193], v[188:189]
	v_fma_f64 v[186:187], -v[186:187], v[194:195], v[192:193]
	s_nop 1
	v_div_fmas_f64 v[186:187], v[186:187], v[188:189], v[194:195]
	v_div_fixup_f64 v[188:189], v[186:187], v[184:185], 1.0
	v_mul_f64 v[190:191], v[190:191], -v[188:189]
.LBB91_322:
	s_or_b64 exec, exec, s[2:3]
	ds_write2_b64 v224, v[188:189], v[190:191] offset1:1
.LBB91_323:
	s_or_b64 exec, exec, s[4:5]
	s_waitcnt lgkmcnt(0)
	s_barrier
	ds_read2_b64 v[184:187], v224 offset1:1
	v_cmp_lt_u32_e32 vcc, 35, v226
	s_waitcnt lgkmcnt(0)
	scratch_store_dwordx4 off, v[184:187], off offset:840 ; 16-byte Folded Spill
	s_and_saveexec_b64 s[2:3], vcc
	s_cbranch_execz .LBB91_325
; %bb.324:
	scratch_load_dwordx4 v[186:189], off, off offset:840 ; 16-byte Folded Reload
	s_waitcnt vmcnt(0)
	v_mul_f64 v[184:185], v[186:187], v[38:39]
	v_mul_f64 v[38:39], v[188:189], v[38:39]
	v_fmac_f64_e32 v[184:185], v[188:189], v[36:37]
	v_fma_f64 v[36:37], v[186:187], v[36:37], -v[38:39]
	ds_read2_b64 v[186:189], v225 offset0:72 offset1:73
	s_waitcnt lgkmcnt(0)
	v_mul_f64 v[38:39], v[188:189], v[184:185]
	v_fma_f64 v[38:39], v[186:187], v[36:37], -v[38:39]
	v_mul_f64 v[186:187], v[186:187], v[184:185]
	v_fmac_f64_e32 v[186:187], v[188:189], v[36:37]
	v_add_f64 v[34:35], v[34:35], -v[186:187]
	ds_read2_b64 v[186:189], v225 offset0:74 offset1:75
	v_add_f64 v[32:33], v[32:33], -v[38:39]
	s_waitcnt lgkmcnt(0)
	v_mul_f64 v[38:39], v[188:189], v[184:185]
	v_fma_f64 v[38:39], v[186:187], v[36:37], -v[38:39]
	v_mul_f64 v[186:187], v[186:187], v[184:185]
	v_fmac_f64_e32 v[186:187], v[188:189], v[36:37]
	v_add_f64 v[30:31], v[30:31], -v[186:187]
	ds_read2_b64 v[186:189], v225 offset0:76 offset1:77
	v_add_f64 v[28:29], v[28:29], -v[38:39]
	;; [unrolled: 8-line block ×9, first 2 shown]
	s_waitcnt lgkmcnt(0)
	v_mul_f64 v[38:39], v[188:189], v[184:185]
	v_fma_f64 v[38:39], v[186:187], v[36:37], -v[38:39]
	v_mul_f64 v[186:187], v[186:187], v[184:185]
	v_fmac_f64_e32 v[186:187], v[188:189], v[36:37]
	v_add_f64 v[180:181], v[180:181], -v[38:39]
	v_add_f64 v[182:183], v[182:183], -v[186:187]
	v_mov_b64_e32 v[38:39], v[184:185]
.LBB91_325:
	s_or_b64 exec, exec, s[2:3]
	v_cmp_eq_u32_e32 vcc, 36, v226
	s_waitcnt vmcnt(63) expcnt(7) lgkmcnt(15)
	s_barrier
	s_and_saveexec_b64 s[4:5], vcc
	s_cbranch_execz .LBB91_332
; %bb.326:
	s_waitcnt vmcnt(53)
	ds_write2_b64 v224, v[32:33], v[34:35] offset1:1
	s_waitcnt vmcnt(52)
	ds_write2_b64 v225, v[28:29], v[30:31] offset0:74 offset1:75
	s_waitcnt vmcnt(51)
	ds_write2_b64 v225, v[24:25], v[26:27] offset0:76 offset1:77
	;; [unrolled: 2-line block ×7, first 2 shown]
	ds_write2_b64 v225, v[0:1], v[2:3] offset0:88 offset1:89
	s_waitcnt vmcnt(43)
	ds_write2_b64 v225, v[180:181], v[182:183] offset0:90 offset1:91
	ds_read2_b64 v[184:187], v224 offset1:1
	s_waitcnt lgkmcnt(0)
	v_cmp_neq_f64_e32 vcc, 0, v[184:185]
	v_cmp_neq_f64_e64 s[2:3], 0, v[186:187]
	s_or_b64 s[2:3], vcc, s[2:3]
	s_and_b64 exec, exec, s[2:3]
	s_cbranch_execz .LBB91_332
; %bb.327:
	v_cmp_ngt_f64_e64 s[2:3], |v[184:185]|, |v[186:187]|
                                        ; implicit-def: $vgpr188_vgpr189
	s_and_saveexec_b64 s[10:11], s[2:3]
	s_xor_b64 s[2:3], exec, s[10:11]
                                        ; implicit-def: $vgpr190_vgpr191
	s_cbranch_execz .LBB91_329
; %bb.328:
	v_div_scale_f64 v[188:189], s[10:11], v[186:187], v[186:187], v[184:185]
	v_rcp_f64_e32 v[190:191], v[188:189]
	v_div_scale_f64 v[192:193], vcc, v[184:185], v[186:187], v[184:185]
	v_fma_f64 v[194:195], -v[188:189], v[190:191], 1.0
	v_fmac_f64_e32 v[190:191], v[190:191], v[194:195]
	v_fma_f64 v[194:195], -v[188:189], v[190:191], 1.0
	v_fmac_f64_e32 v[190:191], v[190:191], v[194:195]
	v_mul_f64 v[194:195], v[192:193], v[190:191]
	v_fma_f64 v[188:189], -v[188:189], v[194:195], v[192:193]
	v_div_fmas_f64 v[188:189], v[188:189], v[190:191], v[194:195]
	v_div_fixup_f64 v[188:189], v[188:189], v[186:187], v[184:185]
	v_fmac_f64_e32 v[186:187], v[184:185], v[188:189]
	v_div_scale_f64 v[184:185], s[10:11], v[186:187], v[186:187], 1.0
	v_rcp_f64_e32 v[190:191], v[184:185]
	s_nop 0
	v_fma_f64 v[192:193], -v[184:185], v[190:191], 1.0
	v_fmac_f64_e32 v[190:191], v[190:191], v[192:193]
	v_fma_f64 v[192:193], -v[184:185], v[190:191], 1.0
	v_fmac_f64_e32 v[190:191], v[190:191], v[192:193]
	v_div_scale_f64 v[192:193], vcc, 1.0, v[186:187], 1.0
	v_mul_f64 v[194:195], v[192:193], v[190:191]
	v_fma_f64 v[184:185], -v[184:185], v[194:195], v[192:193]
	s_nop 1
	v_div_fmas_f64 v[184:185], v[184:185], v[190:191], v[194:195]
	v_div_fixup_f64 v[190:191], v[184:185], v[186:187], 1.0
	v_mul_f64 v[188:189], v[188:189], v[190:191]
	v_xor_b32_e32 v191, 0x80000000, v191
                                        ; implicit-def: $vgpr184_vgpr185
.LBB91_329:
	s_andn2_saveexec_b64 s[2:3], s[2:3]
	s_cbranch_execz .LBB91_331
; %bb.330:
	v_div_scale_f64 v[188:189], s[10:11], v[184:185], v[184:185], v[186:187]
	v_rcp_f64_e32 v[190:191], v[188:189]
	v_div_scale_f64 v[192:193], vcc, v[186:187], v[184:185], v[186:187]
	v_fma_f64 v[194:195], -v[188:189], v[190:191], 1.0
	v_fmac_f64_e32 v[190:191], v[190:191], v[194:195]
	v_fma_f64 v[194:195], -v[188:189], v[190:191], 1.0
	v_fmac_f64_e32 v[190:191], v[190:191], v[194:195]
	v_mul_f64 v[194:195], v[192:193], v[190:191]
	v_fma_f64 v[188:189], -v[188:189], v[194:195], v[192:193]
	v_div_fmas_f64 v[188:189], v[188:189], v[190:191], v[194:195]
	v_div_fixup_f64 v[190:191], v[188:189], v[184:185], v[186:187]
	v_fmac_f64_e32 v[184:185], v[186:187], v[190:191]
	v_div_scale_f64 v[186:187], s[10:11], v[184:185], v[184:185], 1.0
	v_rcp_f64_e32 v[188:189], v[186:187]
	s_nop 0
	v_fma_f64 v[192:193], -v[186:187], v[188:189], 1.0
	v_fmac_f64_e32 v[188:189], v[188:189], v[192:193]
	v_fma_f64 v[192:193], -v[186:187], v[188:189], 1.0
	v_fmac_f64_e32 v[188:189], v[188:189], v[192:193]
	v_div_scale_f64 v[192:193], vcc, 1.0, v[184:185], 1.0
	v_mul_f64 v[194:195], v[192:193], v[188:189]
	v_fma_f64 v[186:187], -v[186:187], v[194:195], v[192:193]
	s_nop 1
	v_div_fmas_f64 v[186:187], v[186:187], v[188:189], v[194:195]
	v_div_fixup_f64 v[188:189], v[186:187], v[184:185], 1.0
	v_mul_f64 v[190:191], v[190:191], -v[188:189]
.LBB91_331:
	s_or_b64 exec, exec, s[2:3]
	ds_write2_b64 v224, v[188:189], v[190:191] offset1:1
.LBB91_332:
	s_or_b64 exec, exec, s[4:5]
	s_waitcnt lgkmcnt(0)
	s_barrier
	ds_read2_b64 v[238:241], v224 offset1:1
	v_cmp_lt_u32_e32 vcc, 36, v226
	s_and_saveexec_b64 s[2:3], vcc
	s_cbranch_execz .LBB91_334
; %bb.333:
	ds_read2_b64 v[190:193], v225 offset0:74 offset1:75
	s_waitcnt vmcnt(53) lgkmcnt(1)
	v_mul_f64 v[188:189], v[238:239], v[34:35]
	v_fmac_f64_e32 v[188:189], v[240:241], v[32:33]
	v_mul_f64 v[34:35], v[240:241], v[34:35]
	v_fma_f64 v[32:33], v[238:239], v[32:33], -v[34:35]
	s_waitcnt lgkmcnt(0)
	v_mul_f64 v[34:35], v[192:193], v[188:189]
	v_fma_f64 v[34:35], v[190:191], v[32:33], -v[34:35]
	v_mul_f64 v[190:191], v[190:191], v[188:189]
	v_fmac_f64_e32 v[190:191], v[192:193], v[32:33]
	s_waitcnt vmcnt(52)
	v_add_f64 v[30:31], v[30:31], -v[190:191]
	ds_read2_b64 v[190:193], v225 offset0:76 offset1:77
	v_add_f64 v[28:29], v[28:29], -v[34:35]
	s_waitcnt lgkmcnt(0)
	v_mul_f64 v[34:35], v[192:193], v[188:189]
	v_fma_f64 v[34:35], v[190:191], v[32:33], -v[34:35]
	v_mul_f64 v[190:191], v[190:191], v[188:189]
	v_fmac_f64_e32 v[190:191], v[192:193], v[32:33]
	s_waitcnt vmcnt(51)
	v_add_f64 v[26:27], v[26:27], -v[190:191]
	ds_read2_b64 v[190:193], v225 offset0:78 offset1:79
	v_add_f64 v[24:25], v[24:25], -v[34:35]
	;; [unrolled: 9-line block ×7, first 2 shown]
	s_waitcnt lgkmcnt(0)
	v_mul_f64 v[34:35], v[192:193], v[188:189]
	v_fma_f64 v[34:35], v[190:191], v[32:33], -v[34:35]
	v_mul_f64 v[190:191], v[190:191], v[188:189]
	v_fmac_f64_e32 v[190:191], v[192:193], v[32:33]
	v_add_f64 v[2:3], v[2:3], -v[190:191]
	ds_read2_b64 v[190:193], v225 offset0:90 offset1:91
	v_add_f64 v[0:1], v[0:1], -v[34:35]
	s_waitcnt lgkmcnt(0)
	v_mul_f64 v[34:35], v[192:193], v[188:189]
	v_fma_f64 v[34:35], v[190:191], v[32:33], -v[34:35]
	v_mul_f64 v[190:191], v[190:191], v[188:189]
	v_fmac_f64_e32 v[190:191], v[192:193], v[32:33]
	s_waitcnt vmcnt(43)
	v_add_f64 v[180:181], v[180:181], -v[34:35]
	v_add_f64 v[182:183], v[182:183], -v[190:191]
	v_mov_b64_e32 v[34:35], v[188:189]
.LBB91_334:
	s_or_b64 exec, exec, s[2:3]
	v_cmp_eq_u32_e32 vcc, 37, v226
	s_waitcnt lgkmcnt(0)
	s_barrier
	s_and_saveexec_b64 s[4:5], vcc
	s_cbranch_execz .LBB91_341
; %bb.335:
	s_waitcnt vmcnt(52)
	ds_write2_b64 v224, v[28:29], v[30:31] offset1:1
	s_waitcnt vmcnt(51)
	ds_write2_b64 v225, v[24:25], v[26:27] offset0:76 offset1:77
	s_waitcnt vmcnt(50)
	ds_write2_b64 v225, v[20:21], v[22:23] offset0:78 offset1:79
	s_waitcnt vmcnt(49)
	ds_write2_b64 v225, v[16:17], v[18:19] offset0:80 offset1:81
	s_waitcnt vmcnt(48)
	ds_write2_b64 v225, v[12:13], v[14:15] offset0:82 offset1:83
	s_waitcnt vmcnt(47)
	ds_write2_b64 v225, v[8:9], v[10:11] offset0:84 offset1:85
	s_waitcnt vmcnt(46)
	ds_write2_b64 v225, v[4:5], v[6:7] offset0:86 offset1:87
	ds_write2_b64 v225, v[0:1], v[2:3] offset0:88 offset1:89
	s_waitcnt vmcnt(43)
	ds_write2_b64 v225, v[180:181], v[182:183] offset0:90 offset1:91
	ds_read2_b64 v[188:191], v224 offset1:1
	s_waitcnt lgkmcnt(0)
	v_cmp_neq_f64_e32 vcc, 0, v[188:189]
	v_cmp_neq_f64_e64 s[2:3], 0, v[190:191]
	s_or_b64 s[2:3], vcc, s[2:3]
	s_and_b64 exec, exec, s[2:3]
	s_cbranch_execz .LBB91_341
; %bb.336:
	v_cmp_ngt_f64_e64 s[2:3], |v[188:189]|, |v[190:191]|
                                        ; implicit-def: $vgpr192_vgpr193
	s_and_saveexec_b64 s[10:11], s[2:3]
	s_xor_b64 s[2:3], exec, s[10:11]
                                        ; implicit-def: $vgpr194_vgpr195
	s_cbranch_execz .LBB91_338
; %bb.337:
	v_div_scale_f64 v[192:193], s[10:11], v[190:191], v[190:191], v[188:189]
	v_rcp_f64_e32 v[194:195], v[192:193]
	v_div_scale_f64 v[196:197], vcc, v[188:189], v[190:191], v[188:189]
	v_fma_f64 v[198:199], -v[192:193], v[194:195], 1.0
	v_fmac_f64_e32 v[194:195], v[194:195], v[198:199]
	v_fma_f64 v[198:199], -v[192:193], v[194:195], 1.0
	v_fmac_f64_e32 v[194:195], v[194:195], v[198:199]
	v_mul_f64 v[198:199], v[196:197], v[194:195]
	v_fma_f64 v[192:193], -v[192:193], v[198:199], v[196:197]
	v_div_fmas_f64 v[192:193], v[192:193], v[194:195], v[198:199]
	v_div_fixup_f64 v[192:193], v[192:193], v[190:191], v[188:189]
	v_fmac_f64_e32 v[190:191], v[188:189], v[192:193]
	v_div_scale_f64 v[188:189], s[10:11], v[190:191], v[190:191], 1.0
	v_rcp_f64_e32 v[194:195], v[188:189]
	s_nop 0
	v_fma_f64 v[196:197], -v[188:189], v[194:195], 1.0
	v_fmac_f64_e32 v[194:195], v[194:195], v[196:197]
	v_fma_f64 v[196:197], -v[188:189], v[194:195], 1.0
	v_fmac_f64_e32 v[194:195], v[194:195], v[196:197]
	v_div_scale_f64 v[196:197], vcc, 1.0, v[190:191], 1.0
	v_mul_f64 v[198:199], v[196:197], v[194:195]
	v_fma_f64 v[188:189], -v[188:189], v[198:199], v[196:197]
	s_nop 1
	v_div_fmas_f64 v[188:189], v[188:189], v[194:195], v[198:199]
	v_div_fixup_f64 v[194:195], v[188:189], v[190:191], 1.0
	v_mul_f64 v[192:193], v[192:193], v[194:195]
	v_xor_b32_e32 v195, 0x80000000, v195
                                        ; implicit-def: $vgpr188_vgpr189
.LBB91_338:
	s_andn2_saveexec_b64 s[2:3], s[2:3]
	s_cbranch_execz .LBB91_340
; %bb.339:
	v_div_scale_f64 v[192:193], s[10:11], v[188:189], v[188:189], v[190:191]
	v_rcp_f64_e32 v[194:195], v[192:193]
	v_div_scale_f64 v[196:197], vcc, v[190:191], v[188:189], v[190:191]
	v_fma_f64 v[198:199], -v[192:193], v[194:195], 1.0
	v_fmac_f64_e32 v[194:195], v[194:195], v[198:199]
	v_fma_f64 v[198:199], -v[192:193], v[194:195], 1.0
	v_fmac_f64_e32 v[194:195], v[194:195], v[198:199]
	v_mul_f64 v[198:199], v[196:197], v[194:195]
	v_fma_f64 v[192:193], -v[192:193], v[198:199], v[196:197]
	v_div_fmas_f64 v[192:193], v[192:193], v[194:195], v[198:199]
	v_div_fixup_f64 v[194:195], v[192:193], v[188:189], v[190:191]
	v_fmac_f64_e32 v[188:189], v[190:191], v[194:195]
	v_div_scale_f64 v[190:191], s[10:11], v[188:189], v[188:189], 1.0
	v_rcp_f64_e32 v[192:193], v[190:191]
	s_nop 0
	v_fma_f64 v[196:197], -v[190:191], v[192:193], 1.0
	v_fmac_f64_e32 v[192:193], v[192:193], v[196:197]
	v_fma_f64 v[196:197], -v[190:191], v[192:193], 1.0
	v_fmac_f64_e32 v[192:193], v[192:193], v[196:197]
	v_div_scale_f64 v[196:197], vcc, 1.0, v[188:189], 1.0
	v_mul_f64 v[198:199], v[196:197], v[192:193]
	v_fma_f64 v[190:191], -v[190:191], v[198:199], v[196:197]
	s_nop 1
	v_div_fmas_f64 v[190:191], v[190:191], v[192:193], v[198:199]
	v_div_fixup_f64 v[192:193], v[190:191], v[188:189], 1.0
	v_mul_f64 v[194:195], v[194:195], -v[192:193]
.LBB91_340:
	s_or_b64 exec, exec, s[2:3]
	ds_write2_b64 v224, v[192:193], v[194:195] offset1:1
.LBB91_341:
	s_or_b64 exec, exec, s[4:5]
	s_waitcnt lgkmcnt(0)
	s_barrier
	ds_read2_b64 v[188:191], v224 offset1:1
	v_cmp_lt_u32_e32 vcc, 37, v226
	s_and_saveexec_b64 s[2:3], vcc
	s_cbranch_execz .LBB91_343
; %bb.342:
	ds_read2_b64 v[194:197], v225 offset0:76 offset1:77
	s_waitcnt vmcnt(52) lgkmcnt(1)
	v_mul_f64 v[192:193], v[188:189], v[30:31]
	v_fmac_f64_e32 v[192:193], v[190:191], v[28:29]
	v_mul_f64 v[30:31], v[190:191], v[30:31]
	v_fma_f64 v[28:29], v[188:189], v[28:29], -v[30:31]
	s_waitcnt lgkmcnt(0)
	v_mul_f64 v[30:31], v[196:197], v[192:193]
	v_fma_f64 v[30:31], v[194:195], v[28:29], -v[30:31]
	v_mul_f64 v[194:195], v[194:195], v[192:193]
	v_fmac_f64_e32 v[194:195], v[196:197], v[28:29]
	s_waitcnt vmcnt(51)
	v_add_f64 v[26:27], v[26:27], -v[194:195]
	ds_read2_b64 v[194:197], v225 offset0:78 offset1:79
	v_add_f64 v[24:25], v[24:25], -v[30:31]
	s_waitcnt lgkmcnt(0)
	v_mul_f64 v[30:31], v[196:197], v[192:193]
	v_fma_f64 v[30:31], v[194:195], v[28:29], -v[30:31]
	v_mul_f64 v[194:195], v[194:195], v[192:193]
	v_fmac_f64_e32 v[194:195], v[196:197], v[28:29]
	s_waitcnt vmcnt(50)
	v_add_f64 v[22:23], v[22:23], -v[194:195]
	ds_read2_b64 v[194:197], v225 offset0:80 offset1:81
	v_add_f64 v[20:21], v[20:21], -v[30:31]
	;; [unrolled: 9-line block ×6, first 2 shown]
	s_waitcnt lgkmcnt(0)
	v_mul_f64 v[30:31], v[196:197], v[192:193]
	v_fma_f64 v[30:31], v[194:195], v[28:29], -v[30:31]
	v_mul_f64 v[194:195], v[194:195], v[192:193]
	v_fmac_f64_e32 v[194:195], v[196:197], v[28:29]
	v_add_f64 v[2:3], v[2:3], -v[194:195]
	ds_read2_b64 v[194:197], v225 offset0:90 offset1:91
	v_add_f64 v[0:1], v[0:1], -v[30:31]
	s_waitcnt lgkmcnt(0)
	v_mul_f64 v[30:31], v[196:197], v[192:193]
	v_fma_f64 v[30:31], v[194:195], v[28:29], -v[30:31]
	v_mul_f64 v[194:195], v[194:195], v[192:193]
	v_fmac_f64_e32 v[194:195], v[196:197], v[28:29]
	s_waitcnt vmcnt(43)
	v_add_f64 v[180:181], v[180:181], -v[30:31]
	v_add_f64 v[182:183], v[182:183], -v[194:195]
	v_mov_b64_e32 v[30:31], v[192:193]
.LBB91_343:
	s_or_b64 exec, exec, s[2:3]
	v_cmp_eq_u32_e32 vcc, 38, v226
	s_waitcnt lgkmcnt(0)
	s_barrier
	s_and_saveexec_b64 s[4:5], vcc
	s_cbranch_execz .LBB91_350
; %bb.344:
	s_waitcnt vmcnt(51)
	ds_write2_b64 v224, v[24:25], v[26:27] offset1:1
	s_waitcnt vmcnt(50)
	ds_write2_b64 v225, v[20:21], v[22:23] offset0:78 offset1:79
	s_waitcnt vmcnt(49)
	ds_write2_b64 v225, v[16:17], v[18:19] offset0:80 offset1:81
	;; [unrolled: 2-line block ×5, first 2 shown]
	ds_write2_b64 v225, v[0:1], v[2:3] offset0:88 offset1:89
	s_waitcnt vmcnt(43)
	ds_write2_b64 v225, v[180:181], v[182:183] offset0:90 offset1:91
	ds_read2_b64 v[192:195], v224 offset1:1
	s_waitcnt lgkmcnt(0)
	v_cmp_neq_f64_e32 vcc, 0, v[192:193]
	v_cmp_neq_f64_e64 s[2:3], 0, v[194:195]
	s_or_b64 s[2:3], vcc, s[2:3]
	s_and_b64 exec, exec, s[2:3]
	s_cbranch_execz .LBB91_350
; %bb.345:
	v_cmp_ngt_f64_e64 s[2:3], |v[192:193]|, |v[194:195]|
                                        ; implicit-def: $vgpr196_vgpr197
	s_and_saveexec_b64 s[10:11], s[2:3]
	s_xor_b64 s[2:3], exec, s[10:11]
                                        ; implicit-def: $vgpr198_vgpr199
	s_cbranch_execz .LBB91_347
; %bb.346:
	v_div_scale_f64 v[196:197], s[10:11], v[194:195], v[194:195], v[192:193]
	v_rcp_f64_e32 v[198:199], v[196:197]
	v_div_scale_f64 v[200:201], vcc, v[192:193], v[194:195], v[192:193]
	v_fma_f64 v[202:203], -v[196:197], v[198:199], 1.0
	v_fmac_f64_e32 v[198:199], v[198:199], v[202:203]
	v_fma_f64 v[202:203], -v[196:197], v[198:199], 1.0
	v_fmac_f64_e32 v[198:199], v[198:199], v[202:203]
	v_mul_f64 v[202:203], v[200:201], v[198:199]
	v_fma_f64 v[196:197], -v[196:197], v[202:203], v[200:201]
	v_div_fmas_f64 v[196:197], v[196:197], v[198:199], v[202:203]
	v_div_fixup_f64 v[196:197], v[196:197], v[194:195], v[192:193]
	v_fmac_f64_e32 v[194:195], v[192:193], v[196:197]
	v_div_scale_f64 v[192:193], s[10:11], v[194:195], v[194:195], 1.0
	v_rcp_f64_e32 v[198:199], v[192:193]
	s_nop 0
	v_fma_f64 v[200:201], -v[192:193], v[198:199], 1.0
	v_fmac_f64_e32 v[198:199], v[198:199], v[200:201]
	v_fma_f64 v[200:201], -v[192:193], v[198:199], 1.0
	v_fmac_f64_e32 v[198:199], v[198:199], v[200:201]
	v_div_scale_f64 v[200:201], vcc, 1.0, v[194:195], 1.0
	v_mul_f64 v[202:203], v[200:201], v[198:199]
	v_fma_f64 v[192:193], -v[192:193], v[202:203], v[200:201]
	s_nop 1
	v_div_fmas_f64 v[192:193], v[192:193], v[198:199], v[202:203]
	v_div_fixup_f64 v[198:199], v[192:193], v[194:195], 1.0
	v_mul_f64 v[196:197], v[196:197], v[198:199]
	v_xor_b32_e32 v199, 0x80000000, v199
                                        ; implicit-def: $vgpr192_vgpr193
.LBB91_347:
	s_andn2_saveexec_b64 s[2:3], s[2:3]
	s_cbranch_execz .LBB91_349
; %bb.348:
	v_div_scale_f64 v[196:197], s[10:11], v[192:193], v[192:193], v[194:195]
	v_rcp_f64_e32 v[198:199], v[196:197]
	v_div_scale_f64 v[200:201], vcc, v[194:195], v[192:193], v[194:195]
	v_fma_f64 v[202:203], -v[196:197], v[198:199], 1.0
	v_fmac_f64_e32 v[198:199], v[198:199], v[202:203]
	v_fma_f64 v[202:203], -v[196:197], v[198:199], 1.0
	v_fmac_f64_e32 v[198:199], v[198:199], v[202:203]
	v_mul_f64 v[202:203], v[200:201], v[198:199]
	v_fma_f64 v[196:197], -v[196:197], v[202:203], v[200:201]
	v_div_fmas_f64 v[196:197], v[196:197], v[198:199], v[202:203]
	v_div_fixup_f64 v[198:199], v[196:197], v[192:193], v[194:195]
	v_fmac_f64_e32 v[192:193], v[194:195], v[198:199]
	v_div_scale_f64 v[194:195], s[10:11], v[192:193], v[192:193], 1.0
	v_rcp_f64_e32 v[196:197], v[194:195]
	s_nop 0
	v_fma_f64 v[200:201], -v[194:195], v[196:197], 1.0
	v_fmac_f64_e32 v[196:197], v[196:197], v[200:201]
	v_fma_f64 v[200:201], -v[194:195], v[196:197], 1.0
	v_fmac_f64_e32 v[196:197], v[196:197], v[200:201]
	v_div_scale_f64 v[200:201], vcc, 1.0, v[192:193], 1.0
	v_mul_f64 v[202:203], v[200:201], v[196:197]
	v_fma_f64 v[194:195], -v[194:195], v[202:203], v[200:201]
	s_nop 1
	v_div_fmas_f64 v[194:195], v[194:195], v[196:197], v[202:203]
	v_div_fixup_f64 v[196:197], v[194:195], v[192:193], 1.0
	v_mul_f64 v[198:199], v[198:199], -v[196:197]
.LBB91_349:
	s_or_b64 exec, exec, s[2:3]
	ds_write2_b64 v224, v[196:197], v[198:199] offset1:1
.LBB91_350:
	s_or_b64 exec, exec, s[4:5]
	s_waitcnt lgkmcnt(0)
	s_barrier
	ds_read2_b64 v[192:195], v224 offset1:1
	v_cmp_lt_u32_e32 vcc, 38, v226
	s_and_saveexec_b64 s[2:3], vcc
	s_cbranch_execz .LBB91_352
; %bb.351:
	ds_read2_b64 v[198:201], v225 offset0:78 offset1:79
	s_waitcnt vmcnt(51) lgkmcnt(1)
	v_mul_f64 v[196:197], v[192:193], v[26:27]
	v_fmac_f64_e32 v[196:197], v[194:195], v[24:25]
	v_mul_f64 v[26:27], v[194:195], v[26:27]
	v_fma_f64 v[24:25], v[192:193], v[24:25], -v[26:27]
	s_waitcnt lgkmcnt(0)
	v_mul_f64 v[26:27], v[200:201], v[196:197]
	v_fma_f64 v[26:27], v[198:199], v[24:25], -v[26:27]
	v_mul_f64 v[198:199], v[198:199], v[196:197]
	v_fmac_f64_e32 v[198:199], v[200:201], v[24:25]
	s_waitcnt vmcnt(50)
	v_add_f64 v[22:23], v[22:23], -v[198:199]
	ds_read2_b64 v[198:201], v225 offset0:80 offset1:81
	v_add_f64 v[20:21], v[20:21], -v[26:27]
	s_waitcnt lgkmcnt(0)
	v_mul_f64 v[26:27], v[200:201], v[196:197]
	v_fma_f64 v[26:27], v[198:199], v[24:25], -v[26:27]
	v_mul_f64 v[198:199], v[198:199], v[196:197]
	v_fmac_f64_e32 v[198:199], v[200:201], v[24:25]
	s_waitcnt vmcnt(49)
	v_add_f64 v[18:19], v[18:19], -v[198:199]
	ds_read2_b64 v[198:201], v225 offset0:82 offset1:83
	v_add_f64 v[16:17], v[16:17], -v[26:27]
	;; [unrolled: 9-line block ×5, first 2 shown]
	s_waitcnt lgkmcnt(0)
	v_mul_f64 v[26:27], v[200:201], v[196:197]
	v_fma_f64 v[26:27], v[198:199], v[24:25], -v[26:27]
	v_mul_f64 v[198:199], v[198:199], v[196:197]
	v_fmac_f64_e32 v[198:199], v[200:201], v[24:25]
	v_add_f64 v[2:3], v[2:3], -v[198:199]
	ds_read2_b64 v[198:201], v225 offset0:90 offset1:91
	v_add_f64 v[0:1], v[0:1], -v[26:27]
	s_waitcnt lgkmcnt(0)
	v_mul_f64 v[26:27], v[200:201], v[196:197]
	v_fma_f64 v[26:27], v[198:199], v[24:25], -v[26:27]
	v_mul_f64 v[198:199], v[198:199], v[196:197]
	v_fmac_f64_e32 v[198:199], v[200:201], v[24:25]
	s_waitcnt vmcnt(43)
	v_add_f64 v[180:181], v[180:181], -v[26:27]
	v_add_f64 v[182:183], v[182:183], -v[198:199]
	v_mov_b64_e32 v[26:27], v[196:197]
.LBB91_352:
	s_or_b64 exec, exec, s[2:3]
	v_cmp_eq_u32_e32 vcc, 39, v226
	s_waitcnt lgkmcnt(0)
	s_barrier
	s_and_saveexec_b64 s[4:5], vcc
	s_cbranch_execz .LBB91_359
; %bb.353:
	s_waitcnt vmcnt(50)
	ds_write2_b64 v224, v[20:21], v[22:23] offset1:1
	s_waitcnt vmcnt(49)
	ds_write2_b64 v225, v[16:17], v[18:19] offset0:80 offset1:81
	s_waitcnt vmcnt(48)
	ds_write2_b64 v225, v[12:13], v[14:15] offset0:82 offset1:83
	s_waitcnt vmcnt(47)
	ds_write2_b64 v225, v[8:9], v[10:11] offset0:84 offset1:85
	s_waitcnt vmcnt(46)
	ds_write2_b64 v225, v[4:5], v[6:7] offset0:86 offset1:87
	ds_write2_b64 v225, v[0:1], v[2:3] offset0:88 offset1:89
	s_waitcnt vmcnt(43)
	ds_write2_b64 v225, v[180:181], v[182:183] offset0:90 offset1:91
	ds_read2_b64 v[196:199], v224 offset1:1
	s_waitcnt lgkmcnt(0)
	v_cmp_neq_f64_e32 vcc, 0, v[196:197]
	v_cmp_neq_f64_e64 s[2:3], 0, v[198:199]
	s_or_b64 s[2:3], vcc, s[2:3]
	s_and_b64 exec, exec, s[2:3]
	s_cbranch_execz .LBB91_359
; %bb.354:
	v_cmp_ngt_f64_e64 s[2:3], |v[196:197]|, |v[198:199]|
                                        ; implicit-def: $vgpr200_vgpr201
	s_and_saveexec_b64 s[10:11], s[2:3]
	s_xor_b64 s[2:3], exec, s[10:11]
                                        ; implicit-def: $vgpr202_vgpr203
	s_cbranch_execz .LBB91_356
; %bb.355:
	v_div_scale_f64 v[200:201], s[10:11], v[198:199], v[198:199], v[196:197]
	v_rcp_f64_e32 v[202:203], v[200:201]
	v_div_scale_f64 v[204:205], vcc, v[196:197], v[198:199], v[196:197]
	v_fma_f64 v[206:207], -v[200:201], v[202:203], 1.0
	v_fmac_f64_e32 v[202:203], v[202:203], v[206:207]
	v_fma_f64 v[206:207], -v[200:201], v[202:203], 1.0
	v_fmac_f64_e32 v[202:203], v[202:203], v[206:207]
	v_mul_f64 v[206:207], v[204:205], v[202:203]
	v_fma_f64 v[200:201], -v[200:201], v[206:207], v[204:205]
	v_div_fmas_f64 v[200:201], v[200:201], v[202:203], v[206:207]
	v_div_fixup_f64 v[200:201], v[200:201], v[198:199], v[196:197]
	v_fmac_f64_e32 v[198:199], v[196:197], v[200:201]
	v_div_scale_f64 v[196:197], s[10:11], v[198:199], v[198:199], 1.0
	v_rcp_f64_e32 v[202:203], v[196:197]
	s_nop 0
	v_fma_f64 v[204:205], -v[196:197], v[202:203], 1.0
	v_fmac_f64_e32 v[202:203], v[202:203], v[204:205]
	v_fma_f64 v[204:205], -v[196:197], v[202:203], 1.0
	v_fmac_f64_e32 v[202:203], v[202:203], v[204:205]
	v_div_scale_f64 v[204:205], vcc, 1.0, v[198:199], 1.0
	v_mul_f64 v[206:207], v[204:205], v[202:203]
	v_fma_f64 v[196:197], -v[196:197], v[206:207], v[204:205]
	s_nop 1
	v_div_fmas_f64 v[196:197], v[196:197], v[202:203], v[206:207]
	v_div_fixup_f64 v[202:203], v[196:197], v[198:199], 1.0
	v_mul_f64 v[200:201], v[200:201], v[202:203]
	v_xor_b32_e32 v203, 0x80000000, v203
                                        ; implicit-def: $vgpr196_vgpr197
.LBB91_356:
	s_andn2_saveexec_b64 s[2:3], s[2:3]
	s_cbranch_execz .LBB91_358
; %bb.357:
	v_div_scale_f64 v[200:201], s[10:11], v[196:197], v[196:197], v[198:199]
	v_rcp_f64_e32 v[202:203], v[200:201]
	v_div_scale_f64 v[204:205], vcc, v[198:199], v[196:197], v[198:199]
	v_fma_f64 v[206:207], -v[200:201], v[202:203], 1.0
	v_fmac_f64_e32 v[202:203], v[202:203], v[206:207]
	v_fma_f64 v[206:207], -v[200:201], v[202:203], 1.0
	v_fmac_f64_e32 v[202:203], v[202:203], v[206:207]
	v_mul_f64 v[206:207], v[204:205], v[202:203]
	v_fma_f64 v[200:201], -v[200:201], v[206:207], v[204:205]
	v_div_fmas_f64 v[200:201], v[200:201], v[202:203], v[206:207]
	v_div_fixup_f64 v[202:203], v[200:201], v[196:197], v[198:199]
	v_fmac_f64_e32 v[196:197], v[198:199], v[202:203]
	v_div_scale_f64 v[198:199], s[10:11], v[196:197], v[196:197], 1.0
	v_rcp_f64_e32 v[200:201], v[198:199]
	s_nop 0
	v_fma_f64 v[204:205], -v[198:199], v[200:201], 1.0
	v_fmac_f64_e32 v[200:201], v[200:201], v[204:205]
	v_fma_f64 v[204:205], -v[198:199], v[200:201], 1.0
	v_fmac_f64_e32 v[200:201], v[200:201], v[204:205]
	v_div_scale_f64 v[204:205], vcc, 1.0, v[196:197], 1.0
	v_mul_f64 v[206:207], v[204:205], v[200:201]
	v_fma_f64 v[198:199], -v[198:199], v[206:207], v[204:205]
	s_nop 1
	v_div_fmas_f64 v[198:199], v[198:199], v[200:201], v[206:207]
	v_div_fixup_f64 v[200:201], v[198:199], v[196:197], 1.0
	v_mul_f64 v[202:203], v[202:203], -v[200:201]
.LBB91_358:
	s_or_b64 exec, exec, s[2:3]
	ds_write2_b64 v224, v[200:201], v[202:203] offset1:1
.LBB91_359:
	s_or_b64 exec, exec, s[4:5]
	s_waitcnt lgkmcnt(0)
	s_barrier
	ds_read2_b64 v[196:199], v224 offset1:1
	v_cmp_lt_u32_e32 vcc, 39, v226
	s_and_saveexec_b64 s[2:3], vcc
	s_cbranch_execz .LBB91_361
; %bb.360:
	ds_read2_b64 v[200:203], v225 offset0:80 offset1:81
	s_waitcnt vmcnt(50) lgkmcnt(1)
	v_mul_f64 v[204:205], v[196:197], v[22:23]
	v_fmac_f64_e32 v[204:205], v[198:199], v[20:21]
	v_mul_f64 v[22:23], v[198:199], v[22:23]
	v_fma_f64 v[20:21], v[196:197], v[20:21], -v[22:23]
	s_waitcnt lgkmcnt(0)
	v_mul_f64 v[22:23], v[202:203], v[204:205]
	v_fma_f64 v[22:23], v[200:201], v[20:21], -v[22:23]
	v_mul_f64 v[200:201], v[200:201], v[204:205]
	v_fmac_f64_e32 v[200:201], v[202:203], v[20:21]
	s_waitcnt vmcnt(49)
	v_add_f64 v[18:19], v[18:19], -v[200:201]
	ds_read2_b64 v[200:203], v225 offset0:82 offset1:83
	v_add_f64 v[16:17], v[16:17], -v[22:23]
	s_waitcnt lgkmcnt(0)
	v_mul_f64 v[22:23], v[202:203], v[204:205]
	v_fma_f64 v[22:23], v[200:201], v[20:21], -v[22:23]
	v_mul_f64 v[200:201], v[200:201], v[204:205]
	v_fmac_f64_e32 v[200:201], v[202:203], v[20:21]
	s_waitcnt vmcnt(48)
	v_add_f64 v[14:15], v[14:15], -v[200:201]
	ds_read2_b64 v[200:203], v225 offset0:84 offset1:85
	v_add_f64 v[12:13], v[12:13], -v[22:23]
	;; [unrolled: 9-line block ×4, first 2 shown]
	s_waitcnt lgkmcnt(0)
	v_mul_f64 v[22:23], v[202:203], v[204:205]
	v_fma_f64 v[22:23], v[200:201], v[20:21], -v[22:23]
	v_mul_f64 v[200:201], v[200:201], v[204:205]
	v_fmac_f64_e32 v[200:201], v[202:203], v[20:21]
	v_add_f64 v[2:3], v[2:3], -v[200:201]
	ds_read2_b64 v[200:203], v225 offset0:90 offset1:91
	v_add_f64 v[0:1], v[0:1], -v[22:23]
	s_waitcnt lgkmcnt(0)
	v_mul_f64 v[22:23], v[202:203], v[204:205]
	v_fma_f64 v[22:23], v[200:201], v[20:21], -v[22:23]
	v_mul_f64 v[200:201], v[200:201], v[204:205]
	v_fmac_f64_e32 v[200:201], v[202:203], v[20:21]
	s_waitcnt vmcnt(43)
	v_add_f64 v[180:181], v[180:181], -v[22:23]
	v_add_f64 v[182:183], v[182:183], -v[200:201]
	v_mov_b64_e32 v[22:23], v[204:205]
.LBB91_361:
	s_or_b64 exec, exec, s[2:3]
	v_cmp_eq_u32_e32 vcc, 40, v226
	s_waitcnt lgkmcnt(0)
	s_barrier
	s_and_saveexec_b64 s[4:5], vcc
	s_cbranch_execz .LBB91_368
; %bb.362:
	s_waitcnt vmcnt(49)
	ds_write2_b64 v224, v[16:17], v[18:19] offset1:1
	s_waitcnt vmcnt(48)
	ds_write2_b64 v225, v[12:13], v[14:15] offset0:82 offset1:83
	s_waitcnt vmcnt(47)
	ds_write2_b64 v225, v[8:9], v[10:11] offset0:84 offset1:85
	;; [unrolled: 2-line block ×3, first 2 shown]
	ds_write2_b64 v225, v[0:1], v[2:3] offset0:88 offset1:89
	s_waitcnt vmcnt(43)
	ds_write2_b64 v225, v[180:181], v[182:183] offset0:90 offset1:91
	ds_read2_b64 v[200:203], v224 offset1:1
	s_waitcnt lgkmcnt(0)
	v_cmp_neq_f64_e32 vcc, 0, v[200:201]
	v_cmp_neq_f64_e64 s[2:3], 0, v[202:203]
	s_or_b64 s[2:3], vcc, s[2:3]
	s_and_b64 exec, exec, s[2:3]
	s_cbranch_execz .LBB91_368
; %bb.363:
	v_cmp_ngt_f64_e64 s[2:3], |v[200:201]|, |v[202:203]|
                                        ; implicit-def: $vgpr204_vgpr205
	s_and_saveexec_b64 s[10:11], s[2:3]
	s_xor_b64 s[2:3], exec, s[10:11]
                                        ; implicit-def: $vgpr206_vgpr207
	s_cbranch_execz .LBB91_365
; %bb.364:
	v_div_scale_f64 v[204:205], s[10:11], v[202:203], v[202:203], v[200:201]
	v_rcp_f64_e32 v[206:207], v[204:205]
	v_div_scale_f64 v[208:209], vcc, v[200:201], v[202:203], v[200:201]
	v_fma_f64 v[210:211], -v[204:205], v[206:207], 1.0
	v_fmac_f64_e32 v[206:207], v[206:207], v[210:211]
	v_fma_f64 v[210:211], -v[204:205], v[206:207], 1.0
	v_fmac_f64_e32 v[206:207], v[206:207], v[210:211]
	v_mul_f64 v[210:211], v[208:209], v[206:207]
	v_fma_f64 v[204:205], -v[204:205], v[210:211], v[208:209]
	v_div_fmas_f64 v[204:205], v[204:205], v[206:207], v[210:211]
	v_div_fixup_f64 v[204:205], v[204:205], v[202:203], v[200:201]
	v_fmac_f64_e32 v[202:203], v[200:201], v[204:205]
	v_div_scale_f64 v[200:201], s[10:11], v[202:203], v[202:203], 1.0
	v_rcp_f64_e32 v[206:207], v[200:201]
	s_nop 0
	v_fma_f64 v[208:209], -v[200:201], v[206:207], 1.0
	v_fmac_f64_e32 v[206:207], v[206:207], v[208:209]
	v_fma_f64 v[208:209], -v[200:201], v[206:207], 1.0
	v_fmac_f64_e32 v[206:207], v[206:207], v[208:209]
	v_div_scale_f64 v[208:209], vcc, 1.0, v[202:203], 1.0
	v_mul_f64 v[210:211], v[208:209], v[206:207]
	v_fma_f64 v[200:201], -v[200:201], v[210:211], v[208:209]
	s_nop 1
	v_div_fmas_f64 v[200:201], v[200:201], v[206:207], v[210:211]
	v_div_fixup_f64 v[206:207], v[200:201], v[202:203], 1.0
	v_mul_f64 v[204:205], v[204:205], v[206:207]
	v_xor_b32_e32 v207, 0x80000000, v207
                                        ; implicit-def: $vgpr200_vgpr201
.LBB91_365:
	s_andn2_saveexec_b64 s[2:3], s[2:3]
	s_cbranch_execz .LBB91_367
; %bb.366:
	v_div_scale_f64 v[204:205], s[10:11], v[200:201], v[200:201], v[202:203]
	v_rcp_f64_e32 v[206:207], v[204:205]
	v_div_scale_f64 v[208:209], vcc, v[202:203], v[200:201], v[202:203]
	v_fma_f64 v[210:211], -v[204:205], v[206:207], 1.0
	v_fmac_f64_e32 v[206:207], v[206:207], v[210:211]
	v_fma_f64 v[210:211], -v[204:205], v[206:207], 1.0
	v_fmac_f64_e32 v[206:207], v[206:207], v[210:211]
	v_mul_f64 v[210:211], v[208:209], v[206:207]
	v_fma_f64 v[204:205], -v[204:205], v[210:211], v[208:209]
	v_div_fmas_f64 v[204:205], v[204:205], v[206:207], v[210:211]
	v_div_fixup_f64 v[206:207], v[204:205], v[200:201], v[202:203]
	v_fmac_f64_e32 v[200:201], v[202:203], v[206:207]
	v_div_scale_f64 v[202:203], s[10:11], v[200:201], v[200:201], 1.0
	v_rcp_f64_e32 v[204:205], v[202:203]
	s_nop 0
	v_fma_f64 v[208:209], -v[202:203], v[204:205], 1.0
	v_fmac_f64_e32 v[204:205], v[204:205], v[208:209]
	v_fma_f64 v[208:209], -v[202:203], v[204:205], 1.0
	v_fmac_f64_e32 v[204:205], v[204:205], v[208:209]
	v_div_scale_f64 v[208:209], vcc, 1.0, v[200:201], 1.0
	v_mul_f64 v[210:211], v[208:209], v[204:205]
	v_fma_f64 v[202:203], -v[202:203], v[210:211], v[208:209]
	s_nop 1
	v_div_fmas_f64 v[202:203], v[202:203], v[204:205], v[210:211]
	v_div_fixup_f64 v[204:205], v[202:203], v[200:201], 1.0
	v_mul_f64 v[206:207], v[206:207], -v[204:205]
.LBB91_367:
	s_or_b64 exec, exec, s[2:3]
	ds_write2_b64 v224, v[204:205], v[206:207] offset1:1
.LBB91_368:
	s_or_b64 exec, exec, s[4:5]
	s_waitcnt lgkmcnt(0)
	s_barrier
	ds_read2_b64 v[200:203], v224 offset1:1
	v_cmp_lt_u32_e32 vcc, 40, v226
	s_and_saveexec_b64 s[2:3], vcc
	s_cbranch_execz .LBB91_370
; %bb.369:
	ds_read2_b64 v[204:207], v225 offset0:82 offset1:83
	s_waitcnt vmcnt(49) lgkmcnt(1)
	v_mul_f64 v[208:209], v[200:201], v[18:19]
	v_fmac_f64_e32 v[208:209], v[202:203], v[16:17]
	v_mul_f64 v[18:19], v[202:203], v[18:19]
	v_fma_f64 v[16:17], v[200:201], v[16:17], -v[18:19]
	s_waitcnt lgkmcnt(0)
	v_mul_f64 v[18:19], v[206:207], v[208:209]
	v_fma_f64 v[18:19], v[204:205], v[16:17], -v[18:19]
	v_mul_f64 v[204:205], v[204:205], v[208:209]
	v_fmac_f64_e32 v[204:205], v[206:207], v[16:17]
	s_waitcnt vmcnt(48)
	v_add_f64 v[14:15], v[14:15], -v[204:205]
	ds_read2_b64 v[204:207], v225 offset0:84 offset1:85
	v_add_f64 v[12:13], v[12:13], -v[18:19]
	s_waitcnt lgkmcnt(0)
	v_mul_f64 v[18:19], v[206:207], v[208:209]
	v_fma_f64 v[18:19], v[204:205], v[16:17], -v[18:19]
	v_mul_f64 v[204:205], v[204:205], v[208:209]
	v_fmac_f64_e32 v[204:205], v[206:207], v[16:17]
	s_waitcnt vmcnt(47)
	v_add_f64 v[10:11], v[10:11], -v[204:205]
	ds_read2_b64 v[204:207], v225 offset0:86 offset1:87
	v_add_f64 v[8:9], v[8:9], -v[18:19]
	;; [unrolled: 9-line block ×3, first 2 shown]
	s_waitcnt lgkmcnt(0)
	v_mul_f64 v[18:19], v[206:207], v[208:209]
	v_fma_f64 v[18:19], v[204:205], v[16:17], -v[18:19]
	v_mul_f64 v[204:205], v[204:205], v[208:209]
	v_fmac_f64_e32 v[204:205], v[206:207], v[16:17]
	v_add_f64 v[2:3], v[2:3], -v[204:205]
	ds_read2_b64 v[204:207], v225 offset0:90 offset1:91
	v_add_f64 v[0:1], v[0:1], -v[18:19]
	s_waitcnt lgkmcnt(0)
	v_mul_f64 v[18:19], v[206:207], v[208:209]
	v_fma_f64 v[18:19], v[204:205], v[16:17], -v[18:19]
	v_mul_f64 v[204:205], v[204:205], v[208:209]
	v_fmac_f64_e32 v[204:205], v[206:207], v[16:17]
	s_waitcnt vmcnt(43)
	v_add_f64 v[180:181], v[180:181], -v[18:19]
	v_add_f64 v[182:183], v[182:183], -v[204:205]
	v_mov_b64_e32 v[18:19], v[208:209]
.LBB91_370:
	s_or_b64 exec, exec, s[2:3]
	v_cmp_eq_u32_e32 vcc, 41, v226
	s_waitcnt lgkmcnt(0)
	s_barrier
	s_and_saveexec_b64 s[4:5], vcc
	s_cbranch_execz .LBB91_377
; %bb.371:
	s_waitcnt vmcnt(48)
	ds_write2_b64 v224, v[12:13], v[14:15] offset1:1
	s_waitcnt vmcnt(47)
	ds_write2_b64 v225, v[8:9], v[10:11] offset0:84 offset1:85
	s_waitcnt vmcnt(46)
	ds_write2_b64 v225, v[4:5], v[6:7] offset0:86 offset1:87
	ds_write2_b64 v225, v[0:1], v[2:3] offset0:88 offset1:89
	s_waitcnt vmcnt(43)
	ds_write2_b64 v225, v[180:181], v[182:183] offset0:90 offset1:91
	ds_read2_b64 v[204:207], v224 offset1:1
	s_waitcnt lgkmcnt(0)
	v_cmp_neq_f64_e32 vcc, 0, v[204:205]
	v_cmp_neq_f64_e64 s[2:3], 0, v[206:207]
	s_or_b64 s[2:3], vcc, s[2:3]
	s_and_b64 exec, exec, s[2:3]
	s_cbranch_execz .LBB91_377
; %bb.372:
	v_cmp_ngt_f64_e64 s[2:3], |v[204:205]|, |v[206:207]|
                                        ; implicit-def: $vgpr208_vgpr209
	s_and_saveexec_b64 s[10:11], s[2:3]
	s_xor_b64 s[2:3], exec, s[10:11]
                                        ; implicit-def: $vgpr210_vgpr211
	s_cbranch_execz .LBB91_374
; %bb.373:
	v_div_scale_f64 v[208:209], s[10:11], v[206:207], v[206:207], v[204:205]
	v_rcp_f64_e32 v[210:211], v[208:209]
	v_div_scale_f64 v[212:213], vcc, v[204:205], v[206:207], v[204:205]
	v_fma_f64 v[214:215], -v[208:209], v[210:211], 1.0
	v_fmac_f64_e32 v[210:211], v[210:211], v[214:215]
	v_fma_f64 v[214:215], -v[208:209], v[210:211], 1.0
	v_fmac_f64_e32 v[210:211], v[210:211], v[214:215]
	v_mul_f64 v[214:215], v[212:213], v[210:211]
	v_fma_f64 v[208:209], -v[208:209], v[214:215], v[212:213]
	v_div_fmas_f64 v[208:209], v[208:209], v[210:211], v[214:215]
	v_div_fixup_f64 v[208:209], v[208:209], v[206:207], v[204:205]
	v_fmac_f64_e32 v[206:207], v[204:205], v[208:209]
	v_div_scale_f64 v[204:205], s[10:11], v[206:207], v[206:207], 1.0
	v_rcp_f64_e32 v[210:211], v[204:205]
	s_nop 0
	v_fma_f64 v[212:213], -v[204:205], v[210:211], 1.0
	v_fmac_f64_e32 v[210:211], v[210:211], v[212:213]
	v_fma_f64 v[212:213], -v[204:205], v[210:211], 1.0
	v_fmac_f64_e32 v[210:211], v[210:211], v[212:213]
	v_div_scale_f64 v[212:213], vcc, 1.0, v[206:207], 1.0
	v_mul_f64 v[214:215], v[212:213], v[210:211]
	v_fma_f64 v[204:205], -v[204:205], v[214:215], v[212:213]
	s_nop 1
	v_div_fmas_f64 v[204:205], v[204:205], v[210:211], v[214:215]
	v_div_fixup_f64 v[210:211], v[204:205], v[206:207], 1.0
	v_mul_f64 v[208:209], v[208:209], v[210:211]
	v_xor_b32_e32 v211, 0x80000000, v211
                                        ; implicit-def: $vgpr204_vgpr205
.LBB91_374:
	s_andn2_saveexec_b64 s[2:3], s[2:3]
	s_cbranch_execz .LBB91_376
; %bb.375:
	v_div_scale_f64 v[208:209], s[10:11], v[204:205], v[204:205], v[206:207]
	v_rcp_f64_e32 v[210:211], v[208:209]
	v_div_scale_f64 v[212:213], vcc, v[206:207], v[204:205], v[206:207]
	v_fma_f64 v[214:215], -v[208:209], v[210:211], 1.0
	v_fmac_f64_e32 v[210:211], v[210:211], v[214:215]
	v_fma_f64 v[214:215], -v[208:209], v[210:211], 1.0
	v_fmac_f64_e32 v[210:211], v[210:211], v[214:215]
	v_mul_f64 v[214:215], v[212:213], v[210:211]
	v_fma_f64 v[208:209], -v[208:209], v[214:215], v[212:213]
	v_div_fmas_f64 v[208:209], v[208:209], v[210:211], v[214:215]
	v_div_fixup_f64 v[210:211], v[208:209], v[204:205], v[206:207]
	v_fmac_f64_e32 v[204:205], v[206:207], v[210:211]
	v_div_scale_f64 v[206:207], s[10:11], v[204:205], v[204:205], 1.0
	v_rcp_f64_e32 v[208:209], v[206:207]
	s_nop 0
	v_fma_f64 v[212:213], -v[206:207], v[208:209], 1.0
	v_fmac_f64_e32 v[208:209], v[208:209], v[212:213]
	v_fma_f64 v[212:213], -v[206:207], v[208:209], 1.0
	v_fmac_f64_e32 v[208:209], v[208:209], v[212:213]
	v_div_scale_f64 v[212:213], vcc, 1.0, v[204:205], 1.0
	v_mul_f64 v[214:215], v[212:213], v[208:209]
	v_fma_f64 v[206:207], -v[206:207], v[214:215], v[212:213]
	s_nop 1
	v_div_fmas_f64 v[206:207], v[206:207], v[208:209], v[214:215]
	v_div_fixup_f64 v[208:209], v[206:207], v[204:205], 1.0
	v_mul_f64 v[210:211], v[210:211], -v[208:209]
.LBB91_376:
	s_or_b64 exec, exec, s[2:3]
	ds_write2_b64 v224, v[208:209], v[210:211] offset1:1
.LBB91_377:
	s_or_b64 exec, exec, s[4:5]
	s_waitcnt lgkmcnt(0)
	s_barrier
	ds_read2_b64 v[204:207], v224 offset1:1
	v_cmp_lt_u32_e32 vcc, 41, v226
	s_and_saveexec_b64 s[2:3], vcc
	s_cbranch_execz .LBB91_379
; %bb.378:
	ds_read2_b64 v[208:211], v225 offset0:84 offset1:85
	s_waitcnt vmcnt(48) lgkmcnt(1)
	v_mul_f64 v[212:213], v[204:205], v[14:15]
	v_fmac_f64_e32 v[212:213], v[206:207], v[12:13]
	v_mul_f64 v[14:15], v[206:207], v[14:15]
	v_fma_f64 v[12:13], v[204:205], v[12:13], -v[14:15]
	s_waitcnt lgkmcnt(0)
	v_mul_f64 v[14:15], v[210:211], v[212:213]
	v_fma_f64 v[14:15], v[208:209], v[12:13], -v[14:15]
	v_mul_f64 v[208:209], v[208:209], v[212:213]
	v_fmac_f64_e32 v[208:209], v[210:211], v[12:13]
	s_waitcnt vmcnt(47)
	v_add_f64 v[10:11], v[10:11], -v[208:209]
	ds_read2_b64 v[208:211], v225 offset0:86 offset1:87
	v_add_f64 v[8:9], v[8:9], -v[14:15]
	s_waitcnt lgkmcnt(0)
	v_mul_f64 v[14:15], v[210:211], v[212:213]
	v_fma_f64 v[14:15], v[208:209], v[12:13], -v[14:15]
	v_mul_f64 v[208:209], v[208:209], v[212:213]
	v_fmac_f64_e32 v[208:209], v[210:211], v[12:13]
	s_waitcnt vmcnt(46)
	v_add_f64 v[6:7], v[6:7], -v[208:209]
	ds_read2_b64 v[208:211], v225 offset0:88 offset1:89
	v_add_f64 v[4:5], v[4:5], -v[14:15]
	s_waitcnt lgkmcnt(0)
	v_mul_f64 v[14:15], v[210:211], v[212:213]
	v_fma_f64 v[14:15], v[208:209], v[12:13], -v[14:15]
	v_mul_f64 v[208:209], v[208:209], v[212:213]
	v_fmac_f64_e32 v[208:209], v[210:211], v[12:13]
	v_add_f64 v[2:3], v[2:3], -v[208:209]
	ds_read2_b64 v[208:211], v225 offset0:90 offset1:91
	v_add_f64 v[0:1], v[0:1], -v[14:15]
	s_waitcnt lgkmcnt(0)
	v_mul_f64 v[14:15], v[210:211], v[212:213]
	v_fma_f64 v[14:15], v[208:209], v[12:13], -v[14:15]
	v_mul_f64 v[208:209], v[208:209], v[212:213]
	v_fmac_f64_e32 v[208:209], v[210:211], v[12:13]
	s_waitcnt vmcnt(43)
	v_add_f64 v[180:181], v[180:181], -v[14:15]
	v_add_f64 v[182:183], v[182:183], -v[208:209]
	v_mov_b64_e32 v[14:15], v[212:213]
.LBB91_379:
	s_or_b64 exec, exec, s[2:3]
	v_cmp_eq_u32_e32 vcc, 42, v226
	s_waitcnt lgkmcnt(0)
	s_barrier
	s_and_saveexec_b64 s[4:5], vcc
	s_cbranch_execz .LBB91_386
; %bb.380:
	s_waitcnt vmcnt(47)
	ds_write2_b64 v224, v[8:9], v[10:11] offset1:1
	s_waitcnt vmcnt(46)
	ds_write2_b64 v225, v[4:5], v[6:7] offset0:86 offset1:87
	ds_write2_b64 v225, v[0:1], v[2:3] offset0:88 offset1:89
	s_waitcnt vmcnt(43)
	ds_write2_b64 v225, v[180:181], v[182:183] offset0:90 offset1:91
	ds_read2_b64 v[208:211], v224 offset1:1
	s_waitcnt lgkmcnt(0)
	v_cmp_neq_f64_e32 vcc, 0, v[208:209]
	v_cmp_neq_f64_e64 s[2:3], 0, v[210:211]
	s_or_b64 s[2:3], vcc, s[2:3]
	s_and_b64 exec, exec, s[2:3]
	s_cbranch_execz .LBB91_386
; %bb.381:
	v_cmp_ngt_f64_e64 s[2:3], |v[208:209]|, |v[210:211]|
                                        ; implicit-def: $vgpr212_vgpr213
	s_and_saveexec_b64 s[10:11], s[2:3]
	s_xor_b64 s[2:3], exec, s[10:11]
                                        ; implicit-def: $vgpr214_vgpr215
	s_cbranch_execz .LBB91_383
; %bb.382:
	v_div_scale_f64 v[212:213], s[10:11], v[210:211], v[210:211], v[208:209]
	v_rcp_f64_e32 v[214:215], v[212:213]
	v_div_scale_f64 v[216:217], vcc, v[208:209], v[210:211], v[208:209]
	v_fma_f64 v[218:219], -v[212:213], v[214:215], 1.0
	v_fmac_f64_e32 v[214:215], v[214:215], v[218:219]
	v_fma_f64 v[218:219], -v[212:213], v[214:215], 1.0
	v_fmac_f64_e32 v[214:215], v[214:215], v[218:219]
	v_mul_f64 v[218:219], v[216:217], v[214:215]
	v_fma_f64 v[212:213], -v[212:213], v[218:219], v[216:217]
	v_div_fmas_f64 v[212:213], v[212:213], v[214:215], v[218:219]
	v_div_fixup_f64 v[212:213], v[212:213], v[210:211], v[208:209]
	v_fmac_f64_e32 v[210:211], v[208:209], v[212:213]
	v_div_scale_f64 v[208:209], s[10:11], v[210:211], v[210:211], 1.0
	v_rcp_f64_e32 v[214:215], v[208:209]
	s_nop 0
	v_fma_f64 v[216:217], -v[208:209], v[214:215], 1.0
	v_fmac_f64_e32 v[214:215], v[214:215], v[216:217]
	v_fma_f64 v[216:217], -v[208:209], v[214:215], 1.0
	v_fmac_f64_e32 v[214:215], v[214:215], v[216:217]
	v_div_scale_f64 v[216:217], vcc, 1.0, v[210:211], 1.0
	v_mul_f64 v[218:219], v[216:217], v[214:215]
	v_fma_f64 v[208:209], -v[208:209], v[218:219], v[216:217]
	s_nop 1
	v_div_fmas_f64 v[208:209], v[208:209], v[214:215], v[218:219]
	v_div_fixup_f64 v[214:215], v[208:209], v[210:211], 1.0
	v_mul_f64 v[212:213], v[212:213], v[214:215]
	v_xor_b32_e32 v215, 0x80000000, v215
                                        ; implicit-def: $vgpr208_vgpr209
.LBB91_383:
	s_andn2_saveexec_b64 s[2:3], s[2:3]
	s_cbranch_execz .LBB91_385
; %bb.384:
	v_div_scale_f64 v[212:213], s[10:11], v[208:209], v[208:209], v[210:211]
	v_rcp_f64_e32 v[214:215], v[212:213]
	v_div_scale_f64 v[216:217], vcc, v[210:211], v[208:209], v[210:211]
	v_fma_f64 v[218:219], -v[212:213], v[214:215], 1.0
	v_fmac_f64_e32 v[214:215], v[214:215], v[218:219]
	v_fma_f64 v[218:219], -v[212:213], v[214:215], 1.0
	v_fmac_f64_e32 v[214:215], v[214:215], v[218:219]
	v_mul_f64 v[218:219], v[216:217], v[214:215]
	v_fma_f64 v[212:213], -v[212:213], v[218:219], v[216:217]
	v_div_fmas_f64 v[212:213], v[212:213], v[214:215], v[218:219]
	v_div_fixup_f64 v[214:215], v[212:213], v[208:209], v[210:211]
	v_fmac_f64_e32 v[208:209], v[210:211], v[214:215]
	v_div_scale_f64 v[210:211], s[10:11], v[208:209], v[208:209], 1.0
	v_rcp_f64_e32 v[212:213], v[210:211]
	s_nop 0
	v_fma_f64 v[216:217], -v[210:211], v[212:213], 1.0
	v_fmac_f64_e32 v[212:213], v[212:213], v[216:217]
	v_fma_f64 v[216:217], -v[210:211], v[212:213], 1.0
	v_fmac_f64_e32 v[212:213], v[212:213], v[216:217]
	v_div_scale_f64 v[216:217], vcc, 1.0, v[208:209], 1.0
	v_mul_f64 v[218:219], v[216:217], v[212:213]
	v_fma_f64 v[210:211], -v[210:211], v[218:219], v[216:217]
	s_nop 1
	v_div_fmas_f64 v[210:211], v[210:211], v[212:213], v[218:219]
	v_div_fixup_f64 v[212:213], v[210:211], v[208:209], 1.0
	v_mul_f64 v[214:215], v[214:215], -v[212:213]
.LBB91_385:
	s_or_b64 exec, exec, s[2:3]
	ds_write2_b64 v224, v[212:213], v[214:215] offset1:1
.LBB91_386:
	s_or_b64 exec, exec, s[4:5]
	s_waitcnt lgkmcnt(0)
	s_barrier
	ds_read2_b64 v[208:211], v224 offset1:1
	v_cmp_lt_u32_e32 vcc, 42, v226
	s_and_saveexec_b64 s[2:3], vcc
	s_cbranch_execz .LBB91_388
; %bb.387:
	ds_read2_b64 v[212:215], v225 offset0:86 offset1:87
	s_waitcnt vmcnt(47) lgkmcnt(1)
	v_mul_f64 v[216:217], v[208:209], v[10:11]
	v_fmac_f64_e32 v[216:217], v[210:211], v[8:9]
	v_mul_f64 v[10:11], v[210:211], v[10:11]
	v_fma_f64 v[8:9], v[208:209], v[8:9], -v[10:11]
	s_waitcnt lgkmcnt(0)
	v_mul_f64 v[10:11], v[214:215], v[216:217]
	v_fma_f64 v[10:11], v[212:213], v[8:9], -v[10:11]
	v_mul_f64 v[212:213], v[212:213], v[216:217]
	v_fmac_f64_e32 v[212:213], v[214:215], v[8:9]
	s_waitcnt vmcnt(46)
	v_add_f64 v[6:7], v[6:7], -v[212:213]
	ds_read2_b64 v[212:215], v225 offset0:88 offset1:89
	v_add_f64 v[4:5], v[4:5], -v[10:11]
	s_waitcnt lgkmcnt(0)
	v_mul_f64 v[10:11], v[214:215], v[216:217]
	v_fma_f64 v[10:11], v[212:213], v[8:9], -v[10:11]
	v_mul_f64 v[212:213], v[212:213], v[216:217]
	v_fmac_f64_e32 v[212:213], v[214:215], v[8:9]
	v_add_f64 v[2:3], v[2:3], -v[212:213]
	ds_read2_b64 v[212:215], v225 offset0:90 offset1:91
	v_add_f64 v[0:1], v[0:1], -v[10:11]
	s_waitcnt lgkmcnt(0)
	v_mul_f64 v[10:11], v[214:215], v[216:217]
	v_fma_f64 v[10:11], v[212:213], v[8:9], -v[10:11]
	v_mul_f64 v[212:213], v[212:213], v[216:217]
	v_fmac_f64_e32 v[212:213], v[214:215], v[8:9]
	s_waitcnt vmcnt(43)
	v_add_f64 v[180:181], v[180:181], -v[10:11]
	v_add_f64 v[182:183], v[182:183], -v[212:213]
	v_mov_b64_e32 v[10:11], v[216:217]
.LBB91_388:
	s_or_b64 exec, exec, s[2:3]
	v_cmp_eq_u32_e32 vcc, 43, v226
	s_waitcnt lgkmcnt(0)
	s_barrier
	s_and_saveexec_b64 s[4:5], vcc
	s_cbranch_execz .LBB91_395
; %bb.389:
	s_waitcnt vmcnt(46)
	ds_write2_b64 v224, v[4:5], v[6:7] offset1:1
	ds_write2_b64 v225, v[0:1], v[2:3] offset0:88 offset1:89
	s_waitcnt vmcnt(43)
	ds_write2_b64 v225, v[180:181], v[182:183] offset0:90 offset1:91
	ds_read2_b64 v[212:215], v224 offset1:1
	s_waitcnt lgkmcnt(0)
	v_cmp_neq_f64_e32 vcc, 0, v[212:213]
	v_cmp_neq_f64_e64 s[2:3], 0, v[214:215]
	s_or_b64 s[2:3], vcc, s[2:3]
	s_and_b64 exec, exec, s[2:3]
	s_cbranch_execz .LBB91_395
; %bb.390:
	v_cmp_ngt_f64_e64 s[2:3], |v[212:213]|, |v[214:215]|
                                        ; implicit-def: $vgpr216_vgpr217
	s_and_saveexec_b64 s[10:11], s[2:3]
	s_xor_b64 s[2:3], exec, s[10:11]
                                        ; implicit-def: $vgpr218_vgpr219
	s_cbranch_execz .LBB91_392
; %bb.391:
	v_div_scale_f64 v[216:217], s[10:11], v[214:215], v[214:215], v[212:213]
	v_rcp_f64_e32 v[218:219], v[216:217]
	v_div_scale_f64 v[220:221], vcc, v[212:213], v[214:215], v[212:213]
	v_fma_f64 v[222:223], -v[216:217], v[218:219], 1.0
	v_fmac_f64_e32 v[218:219], v[218:219], v[222:223]
	v_fma_f64 v[222:223], -v[216:217], v[218:219], 1.0
	v_fmac_f64_e32 v[218:219], v[218:219], v[222:223]
	v_mul_f64 v[222:223], v[220:221], v[218:219]
	v_fma_f64 v[216:217], -v[216:217], v[222:223], v[220:221]
	v_div_fmas_f64 v[216:217], v[216:217], v[218:219], v[222:223]
	v_div_fixup_f64 v[216:217], v[216:217], v[214:215], v[212:213]
	v_fmac_f64_e32 v[214:215], v[212:213], v[216:217]
	v_div_scale_f64 v[212:213], s[10:11], v[214:215], v[214:215], 1.0
	v_rcp_f64_e32 v[218:219], v[212:213]
	s_nop 0
	v_fma_f64 v[220:221], -v[212:213], v[218:219], 1.0
	v_fmac_f64_e32 v[218:219], v[218:219], v[220:221]
	v_fma_f64 v[220:221], -v[212:213], v[218:219], 1.0
	v_fmac_f64_e32 v[218:219], v[218:219], v[220:221]
	v_div_scale_f64 v[220:221], vcc, 1.0, v[214:215], 1.0
	v_mul_f64 v[222:223], v[220:221], v[218:219]
	v_fma_f64 v[212:213], -v[212:213], v[222:223], v[220:221]
	s_nop 1
	v_div_fmas_f64 v[212:213], v[212:213], v[218:219], v[222:223]
	v_div_fixup_f64 v[218:219], v[212:213], v[214:215], 1.0
	v_mul_f64 v[216:217], v[216:217], v[218:219]
	v_xor_b32_e32 v219, 0x80000000, v219
                                        ; implicit-def: $vgpr212_vgpr213
.LBB91_392:
	s_andn2_saveexec_b64 s[2:3], s[2:3]
	s_cbranch_execz .LBB91_394
; %bb.393:
	v_div_scale_f64 v[216:217], s[10:11], v[212:213], v[212:213], v[214:215]
	v_rcp_f64_e32 v[218:219], v[216:217]
	v_div_scale_f64 v[220:221], vcc, v[214:215], v[212:213], v[214:215]
	v_fma_f64 v[222:223], -v[216:217], v[218:219], 1.0
	v_fmac_f64_e32 v[218:219], v[218:219], v[222:223]
	v_fma_f64 v[222:223], -v[216:217], v[218:219], 1.0
	v_fmac_f64_e32 v[218:219], v[218:219], v[222:223]
	v_mul_f64 v[222:223], v[220:221], v[218:219]
	v_fma_f64 v[216:217], -v[216:217], v[222:223], v[220:221]
	v_div_fmas_f64 v[216:217], v[216:217], v[218:219], v[222:223]
	v_div_fixup_f64 v[218:219], v[216:217], v[212:213], v[214:215]
	v_fmac_f64_e32 v[212:213], v[214:215], v[218:219]
	v_div_scale_f64 v[214:215], s[10:11], v[212:213], v[212:213], 1.0
	v_rcp_f64_e32 v[216:217], v[214:215]
	s_nop 0
	v_fma_f64 v[220:221], -v[214:215], v[216:217], 1.0
	v_fmac_f64_e32 v[216:217], v[216:217], v[220:221]
	v_fma_f64 v[220:221], -v[214:215], v[216:217], 1.0
	v_fmac_f64_e32 v[216:217], v[216:217], v[220:221]
	v_div_scale_f64 v[220:221], vcc, 1.0, v[212:213], 1.0
	v_mul_f64 v[222:223], v[220:221], v[216:217]
	v_fma_f64 v[214:215], -v[214:215], v[222:223], v[220:221]
	s_nop 1
	v_div_fmas_f64 v[214:215], v[214:215], v[216:217], v[222:223]
	v_div_fixup_f64 v[216:217], v[214:215], v[212:213], 1.0
	v_mul_f64 v[218:219], v[218:219], -v[216:217]
.LBB91_394:
	s_or_b64 exec, exec, s[2:3]
	ds_write2_b64 v224, v[216:217], v[218:219] offset1:1
.LBB91_395:
	s_or_b64 exec, exec, s[4:5]
	s_waitcnt lgkmcnt(0)
	s_barrier
	ds_read2_b64 v[212:215], v224 offset1:1
	v_cmp_lt_u32_e32 vcc, 43, v226
	s_and_saveexec_b64 s[2:3], vcc
	s_cbranch_execz .LBB91_397
; %bb.396:
	ds_read2_b64 v[216:219], v225 offset0:88 offset1:89
	s_waitcnt vmcnt(46) lgkmcnt(1)
	v_mul_f64 v[220:221], v[212:213], v[6:7]
	v_fmac_f64_e32 v[220:221], v[214:215], v[4:5]
	v_mul_f64 v[6:7], v[214:215], v[6:7]
	v_fma_f64 v[4:5], v[212:213], v[4:5], -v[6:7]
	s_waitcnt lgkmcnt(0)
	v_mul_f64 v[6:7], v[218:219], v[220:221]
	v_fma_f64 v[6:7], v[216:217], v[4:5], -v[6:7]
	v_mul_f64 v[216:217], v[216:217], v[220:221]
	v_fmac_f64_e32 v[216:217], v[218:219], v[4:5]
	v_add_f64 v[2:3], v[2:3], -v[216:217]
	ds_read2_b64 v[216:219], v225 offset0:90 offset1:91
	v_add_f64 v[0:1], v[0:1], -v[6:7]
	s_waitcnt lgkmcnt(0)
	v_mul_f64 v[6:7], v[218:219], v[220:221]
	v_fma_f64 v[6:7], v[216:217], v[4:5], -v[6:7]
	v_mul_f64 v[216:217], v[216:217], v[220:221]
	v_fmac_f64_e32 v[216:217], v[218:219], v[4:5]
	s_waitcnt vmcnt(43)
	v_add_f64 v[180:181], v[180:181], -v[6:7]
	v_add_f64 v[182:183], v[182:183], -v[216:217]
	v_mov_b64_e32 v[6:7], v[220:221]
.LBB91_397:
	s_or_b64 exec, exec, s[2:3]
	v_cmp_eq_u32_e32 vcc, 44, v226
	s_waitcnt lgkmcnt(0)
	s_barrier
	s_and_saveexec_b64 s[4:5], vcc
	s_cbranch_execz .LBB91_404
; %bb.398:
	ds_write2_b64 v224, v[0:1], v[2:3] offset1:1
	s_waitcnt vmcnt(43)
	ds_write2_b64 v225, v[180:181], v[182:183] offset0:90 offset1:91
	ds_read2_b64 v[216:219], v224 offset1:1
	s_waitcnt lgkmcnt(0)
	v_cmp_neq_f64_e32 vcc, 0, v[216:217]
	v_cmp_neq_f64_e64 s[2:3], 0, v[218:219]
	s_or_b64 s[2:3], vcc, s[2:3]
	s_and_b64 exec, exec, s[2:3]
	s_cbranch_execz .LBB91_404
; %bb.399:
	v_cmp_ngt_f64_e64 s[2:3], |v[216:217]|, |v[218:219]|
                                        ; implicit-def: $vgpr220_vgpr221
	s_and_saveexec_b64 s[10:11], s[2:3]
	s_xor_b64 s[2:3], exec, s[10:11]
                                        ; implicit-def: $vgpr222_vgpr223
	s_cbranch_execz .LBB91_401
; %bb.400:
	v_div_scale_f64 v[220:221], s[10:11], v[218:219], v[218:219], v[216:217]
	v_rcp_f64_e32 v[222:223], v[220:221]
	v_mov_b64_e32 v[172:173], v[230:231]
	v_div_scale_f64 v[228:229], vcc, v[216:217], v[218:219], v[216:217]
	v_fma_f64 v[230:231], -v[220:221], v[222:223], 1.0
	v_fmac_f64_e32 v[222:223], v[222:223], v[230:231]
	v_fma_f64 v[230:231], -v[220:221], v[222:223], 1.0
	v_fmac_f64_e32 v[222:223], v[222:223], v[230:231]
	v_mul_f64 v[230:231], v[228:229], v[222:223]
	v_fma_f64 v[220:221], -v[220:221], v[230:231], v[228:229]
	v_div_fmas_f64 v[220:221], v[220:221], v[222:223], v[230:231]
	v_div_fixup_f64 v[220:221], v[220:221], v[218:219], v[216:217]
	v_fmac_f64_e32 v[218:219], v[216:217], v[220:221]
	v_div_scale_f64 v[216:217], s[10:11], v[218:219], v[218:219], 1.0
	v_rcp_f64_e32 v[222:223], v[216:217]
	s_nop 0
	v_fma_f64 v[228:229], -v[216:217], v[222:223], 1.0
	v_fmac_f64_e32 v[222:223], v[222:223], v[228:229]
	v_fma_f64 v[228:229], -v[216:217], v[222:223], 1.0
	v_fmac_f64_e32 v[222:223], v[222:223], v[228:229]
	v_div_scale_f64 v[228:229], vcc, 1.0, v[218:219], 1.0
	v_mul_f64 v[230:231], v[228:229], v[222:223]
	v_fma_f64 v[216:217], -v[216:217], v[230:231], v[228:229]
	s_nop 1
	v_div_fmas_f64 v[216:217], v[216:217], v[222:223], v[230:231]
	v_div_fixup_f64 v[222:223], v[216:217], v[218:219], 1.0
	v_mov_b64_e32 v[230:231], v[172:173]
	v_mul_f64 v[220:221], v[220:221], v[222:223]
	v_xor_b32_e32 v223, 0x80000000, v223
                                        ; implicit-def: $vgpr216_vgpr217
.LBB91_401:
	s_andn2_saveexec_b64 s[2:3], s[2:3]
	s_cbranch_execz .LBB91_403
; %bb.402:
	v_div_scale_f64 v[220:221], s[10:11], v[216:217], v[216:217], v[218:219]
	v_rcp_f64_e32 v[222:223], v[220:221]
	v_mov_b64_e32 v[172:173], v[230:231]
	v_div_scale_f64 v[228:229], vcc, v[218:219], v[216:217], v[218:219]
	v_fma_f64 v[230:231], -v[220:221], v[222:223], 1.0
	v_fmac_f64_e32 v[222:223], v[222:223], v[230:231]
	v_fma_f64 v[230:231], -v[220:221], v[222:223], 1.0
	v_fmac_f64_e32 v[222:223], v[222:223], v[230:231]
	v_mul_f64 v[230:231], v[228:229], v[222:223]
	v_fma_f64 v[220:221], -v[220:221], v[230:231], v[228:229]
	v_div_fmas_f64 v[220:221], v[220:221], v[222:223], v[230:231]
	v_div_fixup_f64 v[222:223], v[220:221], v[216:217], v[218:219]
	v_fmac_f64_e32 v[216:217], v[218:219], v[222:223]
	v_div_scale_f64 v[218:219], s[10:11], v[216:217], v[216:217], 1.0
	v_rcp_f64_e32 v[220:221], v[218:219]
	s_nop 0
	v_fma_f64 v[228:229], -v[218:219], v[220:221], 1.0
	v_fmac_f64_e32 v[220:221], v[220:221], v[228:229]
	v_fma_f64 v[228:229], -v[218:219], v[220:221], 1.0
	v_fmac_f64_e32 v[220:221], v[220:221], v[228:229]
	v_div_scale_f64 v[228:229], vcc, 1.0, v[216:217], 1.0
	v_mul_f64 v[230:231], v[228:229], v[220:221]
	v_fma_f64 v[218:219], -v[218:219], v[230:231], v[228:229]
	s_nop 1
	v_div_fmas_f64 v[218:219], v[218:219], v[220:221], v[230:231]
	v_div_fixup_f64 v[220:221], v[218:219], v[216:217], 1.0
	v_mov_b64_e32 v[230:231], v[172:173]
	v_mul_f64 v[222:223], v[222:223], -v[220:221]
.LBB91_403:
	s_or_b64 exec, exec, s[2:3]
	ds_write2_b64 v224, v[220:221], v[222:223] offset1:1
.LBB91_404:
	s_or_b64 exec, exec, s[4:5]
	s_waitcnt lgkmcnt(0)
	s_barrier
	ds_read2_b64 v[216:219], v224 offset1:1
	v_cmp_lt_u32_e32 vcc, 44, v226
	s_and_saveexec_b64 s[2:3], vcc
	s_cbranch_execz .LBB91_406
; %bb.405:
	ds_read2_b64 v[220:223], v225 offset0:90 offset1:91
	s_waitcnt lgkmcnt(1)
	v_mul_f64 v[228:229], v[216:217], v[2:3]
	v_mul_f64 v[2:3], v[218:219], v[2:3]
	v_fmac_f64_e32 v[228:229], v[218:219], v[0:1]
	v_fma_f64 v[0:1], v[216:217], v[0:1], -v[2:3]
	s_waitcnt lgkmcnt(0)
	v_mul_f64 v[2:3], v[222:223], v[228:229]
	v_fma_f64 v[2:3], v[220:221], v[0:1], -v[2:3]
	v_mul_f64 v[220:221], v[220:221], v[228:229]
	v_fmac_f64_e32 v[220:221], v[222:223], v[0:1]
	s_waitcnt vmcnt(43)
	v_add_f64 v[180:181], v[180:181], -v[2:3]
	v_add_f64 v[182:183], v[182:183], -v[220:221]
	v_mov_b64_e32 v[2:3], v[228:229]
.LBB91_406:
	s_or_b64 exec, exec, s[2:3]
	v_cmp_eq_u32_e32 vcc, 45, v226
	s_waitcnt lgkmcnt(0)
	s_barrier
	s_and_saveexec_b64 s[4:5], vcc
	s_cbranch_execz .LBB91_413
; %bb.407:
	s_waitcnt vmcnt(43)
	v_cmp_neq_f64_e32 vcc, 0, v[180:181]
	v_cmp_neq_f64_e64 s[2:3], 0, v[182:183]
	s_or_b64 s[2:3], vcc, s[2:3]
	ds_write2_b64 v224, v[180:181], v[182:183] offset1:1
	s_and_b64 exec, exec, s[2:3]
	s_cbranch_execz .LBB91_413
; %bb.408:
	v_cmp_ngt_f64_e64 s[2:3], |v[180:181]|, |v[182:183]|
                                        ; implicit-def: $vgpr220_vgpr221
	s_and_saveexec_b64 s[10:11], s[2:3]
	s_xor_b64 s[2:3], exec, s[10:11]
                                        ; implicit-def: $vgpr222_vgpr223
	s_cbranch_execz .LBB91_410
; %bb.409:
	v_div_scale_f64 v[220:221], s[10:11], v[182:183], v[182:183], v[180:181]
	v_rcp_f64_e32 v[222:223], v[220:221]
	v_mov_b64_e32 v[184:185], v[162:163]
	v_mov_b64_e32 v[162:163], v[160:161]
	v_mov_b64_e32 v[160:161], v[166:167]
	v_mov_b64_e32 v[166:167], v[164:165]
	v_mov_b64_e32 v[164:165], v[170:171]
	v_mov_b64_e32 v[170:171], v[168:169]
	v_mov_b64_e32 v[168:169], v[174:175]
	v_mov_b64_e32 v[174:175], v[230:231]
	v_fma_f64 v[230:231], -v[220:221], v[222:223], 1.0
	v_fmac_f64_e32 v[222:223], v[222:223], v[230:231]
	v_fma_f64 v[230:231], -v[220:221], v[222:223], 1.0
	v_div_scale_f64 v[228:229], vcc, v[180:181], v[182:183], v[180:181]
	v_fmac_f64_e32 v[222:223], v[222:223], v[230:231]
	v_mul_f64 v[230:231], v[228:229], v[222:223]
	v_fma_f64 v[220:221], -v[220:221], v[230:231], v[228:229]
	s_nop 0
	v_div_fmas_f64 v[220:221], v[220:221], v[222:223], v[230:231]
	v_div_fixup_f64 v[220:221], v[220:221], v[182:183], v[180:181]
	v_fma_f64 v[222:223], v[180:181], v[220:221], v[182:183]
	v_div_scale_f64 v[228:229], s[10:11], v[222:223], v[222:223], 1.0
	v_rcp_f64_e32 v[230:231], v[228:229]
	v_mov_b64_e32 v[236:237], v[232:233]
	v_mov_b64_e32 v[186:187], v[176:177]
	v_mov_b64_e32 v[176:177], v[252:253]
	v_fma_f64 v[232:233], -v[228:229], v[230:231], 1.0
	v_fmac_f64_e32 v[230:231], v[230:231], v[232:233]
	v_fma_f64 v[232:233], -v[228:229], v[230:231], 1.0
	v_fmac_f64_e32 v[230:231], v[230:231], v[232:233]
	v_div_scale_f64 v[232:233], vcc, 1.0, v[222:223], 1.0
	v_mul_f64 v[234:235], v[232:233], v[230:231]
	v_fma_f64 v[228:229], -v[228:229], v[234:235], v[232:233]
	v_mov_b64_e32 v[172:173], v[178:179]
	s_nop 0
	v_div_fmas_f64 v[228:229], v[228:229], v[230:231], v[234:235]
	v_mov_b64_e32 v[178:179], v[254:255]
	v_mov_b64_e32 v[254:255], v[250:251]
	v_div_fixup_f64 v[222:223], v[228:229], v[222:223], 1.0
	v_mov_b64_e32 v[232:233], v[236:237]
	v_mov_b64_e32 v[252:253], v[176:177]
	;; [unrolled: 1-line block ×14, first 2 shown]
	v_mul_f64 v[220:221], v[220:221], v[222:223]
	v_xor_b32_e32 v223, 0x80000000, v223
.LBB91_410:
	s_andn2_saveexec_b64 s[2:3], s[2:3]
	s_cbranch_execz .LBB91_412
; %bb.411:
	v_div_scale_f64 v[220:221], s[10:11], v[180:181], v[180:181], v[182:183]
	v_rcp_f64_e32 v[222:223], v[220:221]
	v_mov_b64_e32 v[184:185], v[162:163]
	v_mov_b64_e32 v[162:163], v[160:161]
	;; [unrolled: 1-line block ×8, first 2 shown]
	v_fma_f64 v[230:231], -v[220:221], v[222:223], 1.0
	v_fmac_f64_e32 v[222:223], v[222:223], v[230:231]
	v_fma_f64 v[230:231], -v[220:221], v[222:223], 1.0
	v_div_scale_f64 v[228:229], vcc, v[182:183], v[180:181], v[182:183]
	v_fmac_f64_e32 v[222:223], v[222:223], v[230:231]
	v_mul_f64 v[230:231], v[228:229], v[222:223]
	v_fma_f64 v[220:221], -v[220:221], v[230:231], v[228:229]
	s_nop 0
	v_div_fmas_f64 v[220:221], v[220:221], v[222:223], v[230:231]
	v_div_fixup_f64 v[222:223], v[220:221], v[180:181], v[182:183]
	v_fma_f64 v[220:221], v[182:183], v[222:223], v[180:181]
	v_div_scale_f64 v[228:229], s[10:11], v[220:221], v[220:221], 1.0
	v_rcp_f64_e32 v[230:231], v[228:229]
	v_mov_b64_e32 v[236:237], v[232:233]
	v_mov_b64_e32 v[186:187], v[176:177]
	;; [unrolled: 1-line block ×3, first 2 shown]
	v_fma_f64 v[232:233], -v[228:229], v[230:231], 1.0
	v_fmac_f64_e32 v[230:231], v[230:231], v[232:233]
	v_fma_f64 v[232:233], -v[228:229], v[230:231], 1.0
	v_fmac_f64_e32 v[230:231], v[230:231], v[232:233]
	v_div_scale_f64 v[232:233], vcc, 1.0, v[220:221], 1.0
	v_mul_f64 v[234:235], v[232:233], v[230:231]
	v_fma_f64 v[228:229], -v[228:229], v[234:235], v[232:233]
	v_mov_b64_e32 v[172:173], v[178:179]
	s_nop 0
	v_div_fmas_f64 v[228:229], v[228:229], v[230:231], v[234:235]
	v_mov_b64_e32 v[178:179], v[254:255]
	v_mov_b64_e32 v[254:255], v[250:251]
	v_div_fixup_f64 v[220:221], v[228:229], v[220:221], 1.0
	v_mov_b64_e32 v[232:233], v[236:237]
	v_mov_b64_e32 v[252:253], v[176:177]
	;; [unrolled: 1-line block ×14, first 2 shown]
	v_mul_f64 v[222:223], v[222:223], -v[220:221]
.LBB91_412:
	s_or_b64 exec, exec, s[2:3]
	ds_write2_b64 v224, v[220:221], v[222:223] offset1:1
.LBB91_413:
	s_or_b64 exec, exec, s[4:5]
	s_waitcnt lgkmcnt(0)
	s_barrier
	ds_read2_b64 v[220:223], v224 offset1:1
	s_waitcnt lgkmcnt(0)
	s_barrier
	s_and_saveexec_b64 s[2:3], s[0:1]
	s_cbranch_execz .LBB91_416
; %bb.414:
	scratch_load_dwordx4 v[184:187], off, off offset:280 ; 16-byte Folded Reload
	v_mov_b32_e32 v225, s7
	s_waitcnt vmcnt(0)
	v_cmp_eq_f64_e32 vcc, 0, v[184:185]
	v_cmp_eq_f64_e64 s[0:1], 0, v[186:187]
	scratch_load_dwordx4 v[184:187], off, off offset:296 ; 16-byte Folded Reload
	s_and_b64 s[4:5], vcc, s[0:1]
	v_cndmask_b32_e64 v224, 0, 1, s[4:5]
	s_waitcnt vmcnt(0)
	v_cmp_neq_f64_e32 vcc, 0, v[184:185]
	v_cmp_neq_f64_e64 s[0:1], 0, v[186:187]
	scratch_load_dwordx4 v[184:187], off, off offset:312 ; 16-byte Folded Reload
	s_or_b64 s[0:1], vcc, s[0:1]
	s_or_b64 vcc, s[0:1], s[4:5]
	v_cndmask_b32_e32 v224, 2, v224, vcc
	s_waitcnt vmcnt(0)
	v_cmp_eq_f64_e32 vcc, 0, v[184:185]
	v_cmp_eq_f64_e64 s[0:1], 0, v[186:187]
	scratch_load_dwordx4 v[184:187], off, off offset:328 ; 16-byte Folded Reload
	s_and_b64 s[0:1], vcc, s[0:1]
	v_cmp_eq_u32_e32 vcc, 0, v224
	s_and_b64 s[0:1], s[0:1], vcc
	v_cndmask_b32_e64 v224, v224, 3, s[0:1]
	s_waitcnt vmcnt(0)
	v_cmp_eq_f64_e32 vcc, 0, v[184:185]
	v_cmp_eq_f64_e64 s[0:1], 0, v[186:187]
	scratch_load_dwordx4 v[184:187], off, off offset:344 ; 16-byte Folded Reload
	s_and_b64 s[0:1], vcc, s[0:1]
	v_cmp_eq_u32_e32 vcc, 0, v224
	s_and_b64 s[0:1], s[0:1], vcc
	v_cndmask_b32_e64 v224, v224, 4, s[0:1]
	;; [unrolled: 8-line block ×30, first 2 shown]
	v_mov_b32_e32 v224, s6
	v_lshl_add_u64 v[224:225], v[178:179], 2, v[224:225]
	global_load_dword v228, v[224:225], off
	s_waitcnt vmcnt(1)
	v_cmp_eq_f64_e32 vcc, 0, v[184:185]
	v_cmp_eq_f64_e64 s[0:1], 0, v[186:187]
	scratch_load_dwordx4 v[184:187], off, off offset:808 ; 16-byte Folded Reload
	s_and_b64 s[0:1], vcc, s[0:1]
	v_cmp_eq_u32_e32 vcc, 0, v227
	s_and_b64 s[0:1], s[0:1], vcc
	v_cndmask_b32_e64 v227, v227, 33, s[0:1]
	s_waitcnt vmcnt(0)
	v_cmp_eq_f64_e32 vcc, 0, v[184:185]
	v_cmp_eq_f64_e64 s[0:1], 0, v[186:187]
	scratch_load_dwordx4 v[184:187], off, off offset:824 ; 16-byte Folded Reload
	s_and_b64 s[0:1], vcc, s[0:1]
	v_cmp_eq_u32_e32 vcc, 0, v227
	s_and_b64 s[0:1], s[0:1], vcc
	v_cndmask_b32_e64 v227, v227, 34, s[0:1]
	;; [unrolled: 8-line block ×3, first 2 shown]
	s_waitcnt vmcnt(0)
	v_cmp_eq_f64_e32 vcc, 0, v[184:185]
	v_cmp_eq_f64_e64 s[0:1], 0, v[186:187]
	s_and_b64 s[0:1], vcc, s[0:1]
	v_cmp_eq_u32_e32 vcc, 0, v227
	s_and_b64 s[0:1], s[0:1], vcc
	v_cndmask_b32_e64 v227, v227, 36, s[0:1]
	v_cmp_eq_f64_e32 vcc, 0, v[238:239]
	v_cmp_eq_f64_e64 s[0:1], 0, v[240:241]
	s_and_b64 s[0:1], vcc, s[0:1]
	v_cmp_eq_u32_e32 vcc, 0, v227
	s_and_b64 s[0:1], s[0:1], vcc
	v_cndmask_b32_e64 v184, v227, 37, s[0:1]
	;; [unrolled: 6-line block ×11, first 2 shown]
	v_cmp_eq_u32_e32 vcc, 0, v228
	v_cmp_ne_u32_e64 s[0:1], 0, v184
	s_and_b64 s[0:1], vcc, s[0:1]
	s_and_b64 exec, exec, s[0:1]
	s_cbranch_execz .LBB91_416
; %bb.415:
	v_add_u32_e32 v184, s9, v184
	global_store_dword v[224:225], v184, off
.LBB91_416:
	s_or_b64 exec, exec, s[2:3]
	s_waitcnt vmcnt(43)
	v_mul_f64 v[184:185], v[222:223], v[182:183]
	v_mul_f64 v[186:187], v[220:221], v[182:183]
	v_cmp_lt_u32_e32 vcc, 45, v226
	v_fma_f64 v[184:185], v[220:221], v[180:181], -v[184:185]
	v_fmac_f64_e32 v[186:187], v[222:223], v[180:181]
	v_cndmask_b32_e32 v183, v183, v187, vcc
	v_cndmask_b32_e32 v182, v182, v186, vcc
	;; [unrolled: 1-line block ×4, first 2 shown]
	scratch_load_dwordx4 v[184:187], off, off offset:64 ; 16-byte Folded Reload
	s_waitcnt vmcnt(0)
	global_store_dwordx4 v[232:233], v[184:187], off
	scratch_load_dwordx2 v[172:173], off, off offset:272 ; 8-byte Folded Reload
	s_nop 0
	scratch_load_dwordx4 v[184:187], off, off offset:48 ; 16-byte Folded Reload
	s_waitcnt vmcnt(0)
	global_store_dwordx4 v[172:173], v[184:187], off
	scratch_load_dwordx4 v[184:187], off, off offset:32 ; 16-byte Folded Reload
	s_nop 0
	scratch_load_dwordx2 v[172:173], off, off offset:864 ; 8-byte Folded Reload
	s_waitcnt vmcnt(0)
	global_store_dwordx4 v[172:173], v[184:187], off
	scratch_load_dwordx4 v[184:187], off, off offset:16 ; 16-byte Folded Reload
	s_nop 0
	scratch_load_dwordx2 v[172:173], off, off offset:856 ; 8-byte Folded Reload
	s_waitcnt vmcnt(0)
	global_store_dwordx4 v[172:173], v[184:187], off
	scratch_load_dwordx4 v[184:187], off, off ; 16-byte Folded Reload
	s_nop 0
	scratch_load_dwordx2 v[172:173], off, off offset:880 ; 8-byte Folded Reload
	s_waitcnt vmcnt(0)
	global_store_dwordx4 v[172:173], v[184:187], off
	scratch_load_dwordx2 v[172:173], off, off offset:872 ; 8-byte Folded Reload
	s_waitcnt vmcnt(0)
	global_store_dwordx4 v[172:173], v[156:159], off
	global_store_dwordx4 v[244:245], v[152:155], off
	;; [unrolled: 1-line block ×17, first 2 shown]
	scratch_load_dwordx2 v[92:93], off, off offset:80 ; 8-byte Folded Reload
	s_waitcnt vmcnt(0)
	global_store_dwordx4 v[92:93], v[88:91], off
	scratch_load_dwordx2 v[88:89], off, off offset:88 ; 8-byte Folded Reload
	s_waitcnt vmcnt(0)
	global_store_dwordx4 v[88:89], v[84:87], off
	;; [unrolled: 3-line block ×24, first 2 shown]
.LBB91_417:
	s_endpgm
	.section	.rodata,"a",@progbits
	.p2align	6, 0x0
	.amdhsa_kernel _ZN9rocsolver6v33100L23getf2_npvt_small_kernelILi46E19rocblas_complex_numIdEiiPS3_EEvT1_T3_lS5_lPT2_S5_S5_
		.amdhsa_group_segment_fixed_size 0
		.amdhsa_private_segment_fixed_size 892
		.amdhsa_kernarg_size 312
		.amdhsa_user_sgpr_count 2
		.amdhsa_user_sgpr_dispatch_ptr 0
		.amdhsa_user_sgpr_queue_ptr 0
		.amdhsa_user_sgpr_kernarg_segment_ptr 1
		.amdhsa_user_sgpr_dispatch_id 0
		.amdhsa_user_sgpr_kernarg_preload_length 0
		.amdhsa_user_sgpr_kernarg_preload_offset 0
		.amdhsa_user_sgpr_private_segment_size 0
		.amdhsa_uses_dynamic_stack 0
		.amdhsa_enable_private_segment 1
		.amdhsa_system_sgpr_workgroup_id_x 1
		.amdhsa_system_sgpr_workgroup_id_y 1
		.amdhsa_system_sgpr_workgroup_id_z 0
		.amdhsa_system_sgpr_workgroup_info 0
		.amdhsa_system_vgpr_workitem_id 1
		.amdhsa_next_free_vgpr 256
		.amdhsa_next_free_sgpr 16
		.amdhsa_accum_offset 256
		.amdhsa_reserve_vcc 1
		.amdhsa_float_round_mode_32 0
		.amdhsa_float_round_mode_16_64 0
		.amdhsa_float_denorm_mode_32 3
		.amdhsa_float_denorm_mode_16_64 3
		.amdhsa_dx10_clamp 1
		.amdhsa_ieee_mode 1
		.amdhsa_fp16_overflow 0
		.amdhsa_tg_split 0
		.amdhsa_exception_fp_ieee_invalid_op 0
		.amdhsa_exception_fp_denorm_src 0
		.amdhsa_exception_fp_ieee_div_zero 0
		.amdhsa_exception_fp_ieee_overflow 0
		.amdhsa_exception_fp_ieee_underflow 0
		.amdhsa_exception_fp_ieee_inexact 0
		.amdhsa_exception_int_div_zero 0
	.end_amdhsa_kernel
	.section	.text._ZN9rocsolver6v33100L23getf2_npvt_small_kernelILi46E19rocblas_complex_numIdEiiPS3_EEvT1_T3_lS5_lPT2_S5_S5_,"axG",@progbits,_ZN9rocsolver6v33100L23getf2_npvt_small_kernelILi46E19rocblas_complex_numIdEiiPS3_EEvT1_T3_lS5_lPT2_S5_S5_,comdat
.Lfunc_end91:
	.size	_ZN9rocsolver6v33100L23getf2_npvt_small_kernelILi46E19rocblas_complex_numIdEiiPS3_EEvT1_T3_lS5_lPT2_S5_S5_, .Lfunc_end91-_ZN9rocsolver6v33100L23getf2_npvt_small_kernelILi46E19rocblas_complex_numIdEiiPS3_EEvT1_T3_lS5_lPT2_S5_S5_
                                        ; -- End function
	.set _ZN9rocsolver6v33100L23getf2_npvt_small_kernelILi46E19rocblas_complex_numIdEiiPS3_EEvT1_T3_lS5_lPT2_S5_S5_.num_vgpr, 256
	.set _ZN9rocsolver6v33100L23getf2_npvt_small_kernelILi46E19rocblas_complex_numIdEiiPS3_EEvT1_T3_lS5_lPT2_S5_S5_.num_agpr, 0
	.set _ZN9rocsolver6v33100L23getf2_npvt_small_kernelILi46E19rocblas_complex_numIdEiiPS3_EEvT1_T3_lS5_lPT2_S5_S5_.numbered_sgpr, 16
	.set _ZN9rocsolver6v33100L23getf2_npvt_small_kernelILi46E19rocblas_complex_numIdEiiPS3_EEvT1_T3_lS5_lPT2_S5_S5_.num_named_barrier, 0
	.set _ZN9rocsolver6v33100L23getf2_npvt_small_kernelILi46E19rocblas_complex_numIdEiiPS3_EEvT1_T3_lS5_lPT2_S5_S5_.private_seg_size, 892
	.set _ZN9rocsolver6v33100L23getf2_npvt_small_kernelILi46E19rocblas_complex_numIdEiiPS3_EEvT1_T3_lS5_lPT2_S5_S5_.uses_vcc, 1
	.set _ZN9rocsolver6v33100L23getf2_npvt_small_kernelILi46E19rocblas_complex_numIdEiiPS3_EEvT1_T3_lS5_lPT2_S5_S5_.uses_flat_scratch, 0
	.set _ZN9rocsolver6v33100L23getf2_npvt_small_kernelILi46E19rocblas_complex_numIdEiiPS3_EEvT1_T3_lS5_lPT2_S5_S5_.has_dyn_sized_stack, 0
	.set _ZN9rocsolver6v33100L23getf2_npvt_small_kernelILi46E19rocblas_complex_numIdEiiPS3_EEvT1_T3_lS5_lPT2_S5_S5_.has_recursion, 0
	.set _ZN9rocsolver6v33100L23getf2_npvt_small_kernelILi46E19rocblas_complex_numIdEiiPS3_EEvT1_T3_lS5_lPT2_S5_S5_.has_indirect_call, 0
	.section	.AMDGPU.csdata,"",@progbits
; Kernel info:
; codeLenInByte = 98960
; TotalNumSgprs: 22
; NumVgprs: 256
; NumAgprs: 0
; TotalNumVgprs: 256
; ScratchSize: 892
; MemoryBound: 1
; FloatMode: 240
; IeeeMode: 1
; LDSByteSize: 0 bytes/workgroup (compile time only)
; SGPRBlocks: 2
; VGPRBlocks: 31
; NumSGPRsForWavesPerEU: 22
; NumVGPRsForWavesPerEU: 256
; AccumOffset: 256
; Occupancy: 2
; WaveLimiterHint : 0
; COMPUTE_PGM_RSRC2:SCRATCH_EN: 1
; COMPUTE_PGM_RSRC2:USER_SGPR: 2
; COMPUTE_PGM_RSRC2:TRAP_HANDLER: 0
; COMPUTE_PGM_RSRC2:TGID_X_EN: 1
; COMPUTE_PGM_RSRC2:TGID_Y_EN: 1
; COMPUTE_PGM_RSRC2:TGID_Z_EN: 0
; COMPUTE_PGM_RSRC2:TIDIG_COMP_CNT: 1
; COMPUTE_PGM_RSRC3_GFX90A:ACCUM_OFFSET: 63
; COMPUTE_PGM_RSRC3_GFX90A:TG_SPLIT: 0
	.section	.text._ZN9rocsolver6v33100L18getf2_small_kernelILi47E19rocblas_complex_numIdEiiPS3_EEvT1_T3_lS5_lPS5_llPT2_S5_S5_S7_l,"axG",@progbits,_ZN9rocsolver6v33100L18getf2_small_kernelILi47E19rocblas_complex_numIdEiiPS3_EEvT1_T3_lS5_lPS5_llPT2_S5_S5_S7_l,comdat
	.globl	_ZN9rocsolver6v33100L18getf2_small_kernelILi47E19rocblas_complex_numIdEiiPS3_EEvT1_T3_lS5_lPS5_llPT2_S5_S5_S7_l ; -- Begin function _ZN9rocsolver6v33100L18getf2_small_kernelILi47E19rocblas_complex_numIdEiiPS3_EEvT1_T3_lS5_lPS5_llPT2_S5_S5_S7_l
	.p2align	8
	.type	_ZN9rocsolver6v33100L18getf2_small_kernelILi47E19rocblas_complex_numIdEiiPS3_EEvT1_T3_lS5_lPS5_llPT2_S5_S5_S7_l,@function
_ZN9rocsolver6v33100L18getf2_small_kernelILi47E19rocblas_complex_numIdEiiPS3_EEvT1_T3_lS5_lPS5_llPT2_S5_S5_S7_l: ; @_ZN9rocsolver6v33100L18getf2_small_kernelILi47E19rocblas_complex_numIdEiiPS3_EEvT1_T3_lS5_lPS5_llPT2_S5_S5_S7_l
; %bb.0:
	s_load_dword s2, s[0:1], 0x6c
	s_load_dwordx2 s[12:13], s[0:1], 0x48
	v_bfe_u32 v188, v0, 10, 10
	s_waitcnt lgkmcnt(0)
	s_lshr_b32 s2, s2, 16
	s_mul_i32 s3, s3, s2
	v_add_u32_e32 v194, s3, v188
	v_cmp_gt_i32_e32 vcc, s12, v194
	s_and_saveexec_b64 s[2:3], vcc
	s_cbranch_execz .LBB92_988
; %bb.1:
	s_load_dwordx4 s[4:7], s[0:1], 0x50
	v_ashrrev_i32_e32 v195, 31, v194
	v_mov_b64_e32 v[196:197], 0
	s_waitcnt lgkmcnt(0)
	s_cmp_eq_u64 s[4:5], 0
	s_cselect_b64 s[14:15], -1, 0
	s_and_b64 vcc, exec, s[14:15]
	s_cbranch_vccnz .LBB92_3
; %bb.2:
	v_mul_lo_u32 v1, s7, v194
	v_mul_lo_u32 v4, s6, v195
	v_mad_u64_u32 v[2:3], s[2:3], s6, v194, 0
	v_add3_u32 v3, v3, v4, v1
	v_lshl_add_u64 v[196:197], v[2:3], 2, s[4:5]
.LBB92_3:
	s_load_dwordx4 s[16:19], s[0:1], 0x8
	s_load_dwordx8 s[4:11], s[0:1], 0x20
	s_load_dword s2, s[0:1], 0x18
	s_load_dword s20, s[0:1], 0x0
	v_and_b32_e32 v203, 0x3ff, v0
	s_waitcnt lgkmcnt(0)
	v_mov_b32_e32 v2, s16
	v_mul_lo_u32 v1, s5, v194
	v_mul_lo_u32 v6, s4, v195
	v_mad_u64_u32 v[4:5], s[4:5], s4, v194, 0
	v_mov_b32_e32 v3, s17
	v_add3_u32 v5, v5, v6, v1
	v_lshl_add_u64 v[2:3], v[4:5], 4, v[2:3]
	s_add_i32 s12, s2, s2
	v_lshl_add_u64 v[192:193], s[18:19], 4, v[2:3]
	v_add_u32_e32 v2, s12, v203
	v_add_u32_e32 v4, s2, v2
	;; [unrolled: 1-line block ×3, first 2 shown]
	v_lshlrev_b32_e32 v198, 4, v203
	v_mov_b32_e32 v199, 0
	v_add_u32_e32 v8, s2, v6
	v_lshl_add_u64 v[0:1], v[192:193], 0, v[198:199]
	s_ashr_i32 s3, s2, 31
	v_ashrrev_i32_e32 v9, 31, v8
	v_add_u32_e32 v12, s2, v8
	v_lshl_add_u64 v[10:11], s[2:3], 4, v[0:1]
	global_load_dwordx4 v[124:127], v[0:1], off
	global_load_dwordx4 v[120:123], v[10:11], off
	v_lshl_add_u64 v[0:1], v[8:9], 4, v[192:193]
	v_ashrrev_i32_e32 v13, 31, v12
	v_add_u32_e32 v8, s2, v12
	v_lshl_add_u64 v[10:11], v[12:13], 4, v[192:193]
	v_add_u32_e32 v12, s2, v8
	v_add_u32_e32 v14, s2, v12
	v_add_u32_e32 v16, s2, v14
	v_add_u32_e32 v18, s2, v16
	v_add_u32_e32 v20, s2, v18
	v_add_u32_e32 v22, s2, v20
	v_add_u32_e32 v24, s2, v22
	v_add_u32_e32 v26, s2, v24
	v_add_u32_e32 v28, s2, v26
	v_add_u32_e32 v30, s2, v28
	v_add_u32_e32 v32, s2, v30
	v_add_u32_e32 v34, s2, v32
	v_add_u32_e32 v36, s2, v34
	v_add_u32_e32 v38, s2, v36
	v_add_u32_e32 v40, s2, v38
	v_ashrrev_i32_e32 v41, 31, v40
	v_lshl_add_u64 v[42:43], v[40:41], 4, v[192:193]
	v_add_u32_e32 v40, s2, v40
	v_ashrrev_i32_e32 v41, 31, v40
	v_lshl_add_u64 v[44:45], v[40:41], 4, v[192:193]
	v_add_u32_e32 v40, s2, v40
	;; [unrolled: 3-line block ×23, first 2 shown]
	v_ashrrev_i32_e32 v41, 31, v40
	v_ashrrev_i32_e32 v3, 31, v2
	;; [unrolled: 1-line block ×19, first 2 shown]
	v_lshl_add_u64 v[224:225], v[40:41], 4, v[192:193]
	v_add_u32_e32 v40, s2, v40
	v_lshl_add_u64 v[2:3], v[2:3], 4, v[192:193]
	v_lshl_add_u64 v[4:5], v[4:5], 4, v[192:193]
	;; [unrolled: 1-line block ×18, first 2 shown]
	v_ashrrev_i32_e32 v41, 31, v40
	v_lshl_add_u64 v[226:227], v[40:41], 4, v[192:193]
	global_load_dwordx4 v[180:183], v[2:3], off
	global_load_dwordx4 v[176:179], v[4:5], off
	;; [unrolled: 1-line block ×5, first 2 shown]
                                        ; kill: killed $vgpr2_vgpr3
                                        ; kill: killed $vgpr4_vgpr5
                                        ; kill: killed $vgpr6_vgpr7
                                        ; kill: killed $vgpr0_vgpr1
                                        ; kill: killed $vgpr10_vgpr11
	global_load_dwordx4 v[160:163], v[8:9], off
	global_load_dwordx4 v[156:159], v[12:13], off
                                        ; kill: killed $vgpr8_vgpr9
                                        ; kill: killed $vgpr12_vgpr13
	global_load_dwordx4 v[152:155], v[14:15], off
	global_load_dwordx4 v[148:151], v[16:17], off
	;; [unrolled: 1-line block ×22, first 2 shown]
	s_nop 0
	global_load_dwordx4 v[56:59], v[184:185], off
	global_load_dwordx4 v[52:55], v[186:187], off
	;; [unrolled: 1-line block ×16, first 2 shown]
	s_load_dwordx2 s[4:5], s[0:1], 0x40
	s_max_i32 s0, s20, 47
	v_mul_lo_u32 v201, s0, v188
	v_lshl_add_u32 v200, v201, 4, 0
	v_add_u32_e32 v188, v200, v198
	s_waitcnt vmcnt(46)
	ds_write2_b64 v188, v[124:125], v[126:127] offset1:1
	s_waitcnt lgkmcnt(0)
	s_barrier
	ds_read2_b64 v[188:191], v200 offset1:1
	s_cmp_lt_i32 s20, 2
	v_lshlrev_b32_e32 v204, 4, v201
	s_cbranch_scc1 .LBB92_6
; %bb.4:
	v_add3_u32 v198, v204, 0, 16
	s_mov_b32 s16, 1
	v_mov_b32_e32 v199, 0
.LBB92_5:                               ; =>This Inner Loop Header: Depth=1
	ds_read2_b64 v[206:209], v198 offset1:1
	s_waitcnt lgkmcnt(1)
	v_xor_b32_e32 v201, 0x80000000, v189
	v_xor_b32_e32 v202, 0x80000000, v191
	v_cmp_gt_f64_e32 vcc, 0, v[190:191]
	v_cmp_gt_f64_e64 s[0:1], 0, v[188:189]
	v_mov_b32_e32 v210, v188
	v_mov_b32_e32 v212, v190
	v_cndmask_b32_e64 v211, v189, v201, s[0:1]
	v_cndmask_b32_e32 v213, v191, v202, vcc
	s_waitcnt lgkmcnt(0)
	v_xor_b32_e32 v201, 0x80000000, v207
	v_xor_b32_e32 v202, 0x80000000, v209
	v_cmp_gt_f64_e32 vcc, 0, v[208:209]
	v_cmp_gt_f64_e64 s[0:1], 0, v[206:207]
	v_add_f64 v[210:211], v[210:211], v[212:213]
	v_mov_b32_e32 v212, v206
	v_mov_b32_e32 v214, v208
	v_cndmask_b32_e64 v213, v207, v201, s[0:1]
	v_cndmask_b32_e32 v215, v209, v202, vcc
	v_add_f64 v[212:213], v[212:213], v[214:215]
	v_mov_b32_e32 v205, s16
	s_add_i32 s16, s16, 1
	v_cmp_lt_f64_e32 vcc, v[210:211], v[212:213]
	v_add_u32_e32 v198, 16, v198
	s_cmp_eq_u32 s20, s16
	v_cndmask_b32_e32 v189, v189, v207, vcc
	v_cndmask_b32_e32 v188, v188, v206, vcc
	;; [unrolled: 1-line block ×5, first 2 shown]
	s_cbranch_scc0 .LBB92_5
.LBB92_6:
	s_waitcnt lgkmcnt(0)
	v_cmp_neq_f64_e32 vcc, 0, v[188:189]
	v_cmp_neq_f64_e64 s[0:1], 0, v[190:191]
	s_or_b64 s[16:17], vcc, s[0:1]
	v_mov_b32_e32 v202, 1
	v_mov_b32_e32 v205, 1
	s_and_saveexec_b64 s[0:1], s[16:17]
	s_cbranch_execz .LBB92_12
; %bb.7:
	v_cmp_ngt_f64_e64 s[16:17], |v[188:189]|, |v[190:191]|
	s_and_saveexec_b64 s[18:19], s[16:17]
	s_xor_b64 s[16:17], exec, s[18:19]
	s_cbranch_execz .LBB92_9
; %bb.8:
	v_div_scale_f64 v[206:207], s[18:19], v[190:191], v[190:191], v[188:189]
	v_rcp_f64_e32 v[208:209], v[206:207]
	v_div_scale_f64 v[210:211], vcc, v[188:189], v[190:191], v[188:189]
	v_fma_f64 v[212:213], -v[206:207], v[208:209], 1.0
	v_fmac_f64_e32 v[208:209], v[208:209], v[212:213]
	v_fma_f64 v[212:213], -v[206:207], v[208:209], 1.0
	v_fmac_f64_e32 v[208:209], v[208:209], v[212:213]
	v_mul_f64 v[212:213], v[210:211], v[208:209]
	v_fma_f64 v[206:207], -v[206:207], v[212:213], v[210:211]
	v_div_fmas_f64 v[206:207], v[206:207], v[208:209], v[212:213]
	v_div_fixup_f64 v[206:207], v[206:207], v[190:191], v[188:189]
	v_fmac_f64_e32 v[190:191], v[188:189], v[206:207]
	v_div_scale_f64 v[188:189], s[18:19], v[190:191], v[190:191], 1.0
	v_rcp_f64_e32 v[208:209], v[188:189]
	s_nop 0
	v_fma_f64 v[210:211], -v[188:189], v[208:209], 1.0
	v_fmac_f64_e32 v[208:209], v[208:209], v[210:211]
	v_fma_f64 v[210:211], -v[188:189], v[208:209], 1.0
	v_fmac_f64_e32 v[208:209], v[208:209], v[210:211]
	v_div_scale_f64 v[210:211], vcc, 1.0, v[190:191], 1.0
	v_mul_f64 v[212:213], v[210:211], v[208:209]
	v_fma_f64 v[188:189], -v[188:189], v[212:213], v[210:211]
	s_nop 1
	v_div_fmas_f64 v[188:189], v[188:189], v[208:209], v[212:213]
	v_div_fixup_f64 v[190:191], v[188:189], v[190:191], 1.0
	v_mul_f64 v[188:189], v[206:207], v[190:191]
	v_xor_b32_e32 v191, 0x80000000, v191
.LBB92_9:
	s_andn2_saveexec_b64 s[16:17], s[16:17]
	s_cbranch_execz .LBB92_11
; %bb.10:
	v_div_scale_f64 v[206:207], s[18:19], v[188:189], v[188:189], v[190:191]
	v_rcp_f64_e32 v[208:209], v[206:207]
	v_div_scale_f64 v[210:211], vcc, v[190:191], v[188:189], v[190:191]
	v_fma_f64 v[212:213], -v[206:207], v[208:209], 1.0
	v_fmac_f64_e32 v[208:209], v[208:209], v[212:213]
	v_fma_f64 v[212:213], -v[206:207], v[208:209], 1.0
	v_fmac_f64_e32 v[208:209], v[208:209], v[212:213]
	v_mul_f64 v[212:213], v[210:211], v[208:209]
	v_fma_f64 v[206:207], -v[206:207], v[212:213], v[210:211]
	v_div_fmas_f64 v[206:207], v[206:207], v[208:209], v[212:213]
	v_div_fixup_f64 v[206:207], v[206:207], v[188:189], v[190:191]
	v_fmac_f64_e32 v[188:189], v[190:191], v[206:207]
	v_div_scale_f64 v[190:191], s[18:19], v[188:189], v[188:189], 1.0
	v_rcp_f64_e32 v[208:209], v[190:191]
	s_nop 0
	v_fma_f64 v[210:211], -v[190:191], v[208:209], 1.0
	v_fmac_f64_e32 v[208:209], v[208:209], v[210:211]
	v_fma_f64 v[210:211], -v[190:191], v[208:209], 1.0
	v_fmac_f64_e32 v[208:209], v[208:209], v[210:211]
	v_div_scale_f64 v[210:211], vcc, 1.0, v[188:189], 1.0
	v_mul_f64 v[212:213], v[210:211], v[208:209]
	v_fma_f64 v[190:191], -v[190:191], v[212:213], v[210:211]
	s_nop 1
	v_div_fmas_f64 v[190:191], v[190:191], v[208:209], v[212:213]
	v_div_fixup_f64 v[188:189], v[190:191], v[188:189], 1.0
	v_mul_f64 v[190:191], v[206:207], -v[188:189]
.LBB92_11:
	s_or_b64 exec, exec, s[16:17]
	v_mov_b32_e32 v205, 0
	v_mov_b32_e32 v202, 2
.LBB92_12:
	s_or_b64 exec, exec, s[0:1]
	v_cmp_ne_u32_e32 vcc, v203, v199
	s_and_saveexec_b64 s[0:1], vcc
	s_xor_b64 s[0:1], exec, s[0:1]
	s_cbranch_execz .LBB92_18
; %bb.13:
	v_cmp_eq_u32_e32 vcc, 0, v203
	s_and_saveexec_b64 s[16:17], vcc
	s_cbranch_execz .LBB92_17
; %bb.14:
	v_cmp_ne_u32_e32 vcc, 0, v199
	s_xor_b64 s[18:19], s[14:15], -1
	s_and_b64 s[22:23], s[18:19], vcc
	s_and_saveexec_b64 s[18:19], s[22:23]
	s_cbranch_execz .LBB92_16
; %bb.15:
	v_ashrrev_i32_e32 v207, 31, v199
	v_mov_b32_e32 v206, v199
	v_lshl_add_u64 v[206:207], v[206:207], 2, v[196:197]
	global_load_dword v198, v[206:207], off
	global_load_dword v201, v[196:197], off
	s_waitcnt vmcnt(1)
	global_store_dword v[196:197], v198, off
	s_waitcnt vmcnt(1)
	global_store_dword v[206:207], v201, off
.LBB92_16:
	s_or_b64 exec, exec, s[18:19]
	v_mov_b32_e32 v203, v199
.LBB92_17:
	s_or_b64 exec, exec, s[16:17]
.LBB92_18:
	s_or_saveexec_b64 s[0:1], s[0:1]
	v_mov_b32_e32 v201, v203
	s_xor_b64 exec, exec, s[0:1]
	s_cbranch_execz .LBB92_20
; %bb.19:
	v_mov_b32_e32 v201, 0
	s_waitcnt vmcnt(45)
	ds_write2_b64 v200, v[120:121], v[122:123] offset0:2 offset1:3
	s_waitcnt vmcnt(44)
	ds_write2_b64 v200, v[180:181], v[182:183] offset0:4 offset1:5
	;; [unrolled: 2-line block ×46, first 2 shown]
.LBB92_20:
	s_or_b64 exec, exec, s[0:1]
	v_cmp_lt_i32_e32 vcc, 0, v201
	s_waitcnt lgkmcnt(0)
	s_barrier
	s_and_saveexec_b64 s[0:1], vcc
	s_cbranch_execz .LBB92_22
; %bb.21:
	ds_read2_b64 v[206:209], v200 offset0:2 offset1:3
	v_mul_f64 v[198:199], v[190:191], v[126:127]
	v_mul_f64 v[126:127], v[188:189], v[126:127]
	v_fma_f64 v[198:199], v[188:189], v[124:125], -v[198:199]
	v_fmac_f64_e32 v[126:127], v[190:191], v[124:125]
	ds_read2_b64 v[188:191], v200 offset0:4 offset1:5
	s_waitcnt lgkmcnt(1)
	v_mul_f64 v[124:125], v[208:209], v[126:127]
	v_fma_f64 v[124:125], v[206:207], v[198:199], -v[124:125]
	v_mul_f64 v[206:207], v[206:207], v[126:127]
	v_fmac_f64_e32 v[206:207], v[208:209], v[198:199]
	s_waitcnt vmcnt(45)
	v_add_f64 v[120:121], v[120:121], -v[124:125]
	s_waitcnt lgkmcnt(0)
	v_mul_f64 v[124:125], v[190:191], v[126:127]
	v_add_f64 v[122:123], v[122:123], -v[206:207]
	v_fma_f64 v[124:125], v[188:189], v[198:199], -v[124:125]
	v_mul_f64 v[188:189], v[188:189], v[126:127]
	ds_read2_b64 v[206:209], v200 offset0:6 offset1:7
	v_fmac_f64_e32 v[188:189], v[190:191], v[198:199]
	s_waitcnt vmcnt(44)
	v_add_f64 v[182:183], v[182:183], -v[188:189]
	ds_read2_b64 v[188:191], v200 offset0:8 offset1:9
	v_add_f64 v[180:181], v[180:181], -v[124:125]
	s_waitcnt lgkmcnt(1)
	v_mul_f64 v[124:125], v[208:209], v[126:127]
	v_fma_f64 v[124:125], v[206:207], v[198:199], -v[124:125]
	v_mul_f64 v[206:207], v[206:207], v[126:127]
	v_fmac_f64_e32 v[206:207], v[208:209], v[198:199]
	s_waitcnt vmcnt(43)
	v_add_f64 v[176:177], v[176:177], -v[124:125]
	s_waitcnt lgkmcnt(0)
	v_mul_f64 v[124:125], v[190:191], v[126:127]
	v_add_f64 v[178:179], v[178:179], -v[206:207]
	v_fma_f64 v[124:125], v[188:189], v[198:199], -v[124:125]
	v_mul_f64 v[188:189], v[188:189], v[126:127]
	ds_read2_b64 v[206:209], v200 offset0:10 offset1:11
	v_fmac_f64_e32 v[188:189], v[190:191], v[198:199]
	s_waitcnt vmcnt(42)
	v_add_f64 v[174:175], v[174:175], -v[188:189]
	ds_read2_b64 v[188:191], v200 offset0:12 offset1:13
	v_add_f64 v[172:173], v[172:173], -v[124:125]
	;; [unrolled: 18-line block ×22, first 2 shown]
	s_waitcnt lgkmcnt(1)
	v_mul_f64 v[124:125], v[208:209], v[126:127]
	v_fma_f64 v[124:125], v[206:207], v[198:199], -v[124:125]
	s_waitcnt vmcnt(1)
	v_add_f64 v[0:1], v[0:1], -v[124:125]
	s_waitcnt lgkmcnt(0)
	v_mul_f64 v[124:125], v[190:191], v[126:127]
	v_mul_f64 v[206:207], v[206:207], v[126:127]
	v_fma_f64 v[124:125], v[188:189], v[198:199], -v[124:125]
	v_mul_f64 v[188:189], v[188:189], v[126:127]
	v_fmac_f64_e32 v[206:207], v[208:209], v[198:199]
	v_fmac_f64_e32 v[188:189], v[190:191], v[198:199]
	v_add_f64 v[2:3], v[2:3], -v[206:207]
	s_waitcnt vmcnt(0)
	v_add_f64 v[184:185], v[184:185], -v[124:125]
	v_add_f64 v[186:187], v[186:187], -v[188:189]
	v_mov_b64_e32 v[124:125], v[198:199]
.LBB92_22:
	s_or_b64 exec, exec, s[0:1]
	v_lshl_add_u32 v188, v201, 4, v200
	s_barrier
	s_waitcnt vmcnt(45)
	ds_write2_b64 v188, v[120:121], v[122:123] offset1:1
	s_waitcnt lgkmcnt(0)
	s_barrier
	ds_read2_b64 v[188:191], v200 offset0:2 offset1:3
	s_cmp_lt_i32 s20, 3
	v_mov_b32_e32 v198, 1
	s_cbranch_scc1 .LBB92_25
; %bb.23:
	v_add3_u32 v199, v204, 0, 32
	s_mov_b32 s16, 2
	v_mov_b32_e32 v198, 1
.LBB92_24:                              ; =>This Inner Loop Header: Depth=1
	ds_read2_b64 v[206:209], v199 offset1:1
	s_waitcnt lgkmcnt(1)
	v_xor_b32_e32 v211, 0x80000000, v189
	v_xor_b32_e32 v213, 0x80000000, v191
	v_cmp_gt_f64_e32 vcc, 0, v[190:191]
	v_cmp_gt_f64_e64 s[0:1], 0, v[188:189]
	v_mov_b32_e32 v210, v188
	v_mov_b32_e32 v212, v190
	v_cndmask_b32_e64 v211, v189, v211, s[0:1]
	v_cndmask_b32_e32 v213, v191, v213, vcc
	v_add_f64 v[210:211], v[210:211], v[212:213]
	s_waitcnt lgkmcnt(0)
	v_xor_b32_e32 v213, 0x80000000, v207
	v_xor_b32_e32 v215, 0x80000000, v209
	v_cmp_gt_f64_e32 vcc, 0, v[208:209]
	v_cmp_gt_f64_e64 s[0:1], 0, v[206:207]
	v_mov_b32_e32 v212, v206
	v_mov_b32_e32 v214, v208
	v_cndmask_b32_e64 v213, v207, v213, s[0:1]
	v_cndmask_b32_e32 v215, v209, v215, vcc
	v_add_f64 v[212:213], v[212:213], v[214:215]
	v_mov_b32_e32 v216, s16
	s_add_i32 s16, s16, 1
	v_cmp_lt_f64_e32 vcc, v[210:211], v[212:213]
	v_add_u32_e32 v199, 16, v199
	s_cmp_lg_u32 s20, s16
	v_cndmask_b32_e32 v189, v189, v207, vcc
	v_cndmask_b32_e32 v188, v188, v206, vcc
	;; [unrolled: 1-line block ×5, first 2 shown]
	s_cbranch_scc1 .LBB92_24
.LBB92_25:
	s_waitcnt lgkmcnt(0)
	v_cmp_neq_f64_e32 vcc, 0, v[188:189]
	v_cmp_neq_f64_e64 s[0:1], 0, v[190:191]
	s_or_b64 s[16:17], vcc, s[0:1]
	s_and_saveexec_b64 s[0:1], s[16:17]
	s_cbranch_execz .LBB92_31
; %bb.26:
	v_cmp_ngt_f64_e64 s[16:17], |v[188:189]|, |v[190:191]|
	s_and_saveexec_b64 s[18:19], s[16:17]
	s_xor_b64 s[16:17], exec, s[18:19]
	s_cbranch_execz .LBB92_28
; %bb.27:
	v_div_scale_f64 v[206:207], s[18:19], v[190:191], v[190:191], v[188:189]
	v_rcp_f64_e32 v[208:209], v[206:207]
	v_div_scale_f64 v[210:211], vcc, v[188:189], v[190:191], v[188:189]
	v_fma_f64 v[212:213], -v[206:207], v[208:209], 1.0
	v_fmac_f64_e32 v[208:209], v[208:209], v[212:213]
	v_fma_f64 v[212:213], -v[206:207], v[208:209], 1.0
	v_fmac_f64_e32 v[208:209], v[208:209], v[212:213]
	v_mul_f64 v[212:213], v[210:211], v[208:209]
	v_fma_f64 v[206:207], -v[206:207], v[212:213], v[210:211]
	v_div_fmas_f64 v[206:207], v[206:207], v[208:209], v[212:213]
	v_div_fixup_f64 v[206:207], v[206:207], v[190:191], v[188:189]
	v_fmac_f64_e32 v[190:191], v[188:189], v[206:207]
	v_div_scale_f64 v[188:189], s[18:19], v[190:191], v[190:191], 1.0
	v_rcp_f64_e32 v[208:209], v[188:189]
	s_nop 0
	v_fma_f64 v[210:211], -v[188:189], v[208:209], 1.0
	v_fmac_f64_e32 v[208:209], v[208:209], v[210:211]
	v_fma_f64 v[210:211], -v[188:189], v[208:209], 1.0
	v_fmac_f64_e32 v[208:209], v[208:209], v[210:211]
	v_div_scale_f64 v[210:211], vcc, 1.0, v[190:191], 1.0
	v_mul_f64 v[212:213], v[210:211], v[208:209]
	v_fma_f64 v[188:189], -v[188:189], v[212:213], v[210:211]
	s_nop 1
	v_div_fmas_f64 v[188:189], v[188:189], v[208:209], v[212:213]
	v_div_fixup_f64 v[190:191], v[188:189], v[190:191], 1.0
	v_mul_f64 v[188:189], v[206:207], v[190:191]
	v_xor_b32_e32 v191, 0x80000000, v191
.LBB92_28:
	s_andn2_saveexec_b64 s[16:17], s[16:17]
	s_cbranch_execz .LBB92_30
; %bb.29:
	v_div_scale_f64 v[206:207], s[18:19], v[188:189], v[188:189], v[190:191]
	v_rcp_f64_e32 v[208:209], v[206:207]
	v_div_scale_f64 v[210:211], vcc, v[190:191], v[188:189], v[190:191]
	v_fma_f64 v[212:213], -v[206:207], v[208:209], 1.0
	v_fmac_f64_e32 v[208:209], v[208:209], v[212:213]
	v_fma_f64 v[212:213], -v[206:207], v[208:209], 1.0
	v_fmac_f64_e32 v[208:209], v[208:209], v[212:213]
	v_mul_f64 v[212:213], v[210:211], v[208:209]
	v_fma_f64 v[206:207], -v[206:207], v[212:213], v[210:211]
	v_div_fmas_f64 v[206:207], v[206:207], v[208:209], v[212:213]
	v_div_fixup_f64 v[206:207], v[206:207], v[188:189], v[190:191]
	v_fmac_f64_e32 v[188:189], v[190:191], v[206:207]
	v_div_scale_f64 v[190:191], s[18:19], v[188:189], v[188:189], 1.0
	v_rcp_f64_e32 v[208:209], v[190:191]
	s_nop 0
	v_fma_f64 v[210:211], -v[190:191], v[208:209], 1.0
	v_fmac_f64_e32 v[208:209], v[208:209], v[210:211]
	v_fma_f64 v[210:211], -v[190:191], v[208:209], 1.0
	v_fmac_f64_e32 v[208:209], v[208:209], v[210:211]
	v_div_scale_f64 v[210:211], vcc, 1.0, v[188:189], 1.0
	v_mul_f64 v[212:213], v[210:211], v[208:209]
	v_fma_f64 v[190:191], -v[190:191], v[212:213], v[210:211]
	s_nop 1
	v_div_fmas_f64 v[190:191], v[190:191], v[208:209], v[212:213]
	v_div_fixup_f64 v[188:189], v[190:191], v[188:189], 1.0
	v_mul_f64 v[190:191], v[206:207], -v[188:189]
.LBB92_30:
	s_or_b64 exec, exec, s[16:17]
	v_mov_b32_e32 v202, v205
.LBB92_31:
	s_or_b64 exec, exec, s[0:1]
	v_cmp_ne_u32_e32 vcc, v201, v198
	s_and_saveexec_b64 s[0:1], vcc
	s_xor_b64 s[0:1], exec, s[0:1]
	s_cbranch_execz .LBB92_37
; %bb.32:
	v_cmp_eq_u32_e32 vcc, 1, v201
	s_and_saveexec_b64 s[16:17], vcc
	s_cbranch_execz .LBB92_36
; %bb.33:
	v_cmp_ne_u32_e32 vcc, 1, v198
	s_xor_b64 s[18:19], s[14:15], -1
	s_and_b64 s[22:23], s[18:19], vcc
	s_and_saveexec_b64 s[18:19], s[22:23]
	s_cbranch_execz .LBB92_35
; %bb.34:
	v_ashrrev_i32_e32 v199, 31, v198
	v_lshl_add_u64 v[206:207], v[198:199], 2, v[196:197]
	global_load_dword v199, v[206:207], off
	global_load_dword v201, v[196:197], off offset:4
	s_waitcnt vmcnt(1)
	global_store_dword v[196:197], v199, off offset:4
	s_waitcnt vmcnt(1)
	global_store_dword v[206:207], v201, off
.LBB92_35:
	s_or_b64 exec, exec, s[18:19]
	v_mov_b32_e32 v201, v198
	v_mov_b32_e32 v203, v198
.LBB92_36:
	s_or_b64 exec, exec, s[16:17]
.LBB92_37:
	s_andn2_saveexec_b64 s[0:1], s[0:1]
	s_cbranch_execz .LBB92_39
; %bb.38:
	v_mov_b32_e32 v201, 1
	s_waitcnt vmcnt(44)
	ds_write2_b64 v200, v[180:181], v[182:183] offset0:4 offset1:5
	s_waitcnt vmcnt(43)
	ds_write2_b64 v200, v[176:177], v[178:179] offset0:6 offset1:7
	;; [unrolled: 2-line block ×45, first 2 shown]
.LBB92_39:
	s_or_b64 exec, exec, s[0:1]
	v_cmp_lt_i32_e32 vcc, 1, v201
	s_waitcnt lgkmcnt(0)
	s_barrier
	s_and_saveexec_b64 s[0:1], vcc
	s_cbranch_execz .LBB92_41
; %bb.40:
	ds_read2_b64 v[206:209], v200 offset0:4 offset1:5
	v_mul_f64 v[198:199], v[190:191], v[122:123]
	v_mul_f64 v[122:123], v[188:189], v[122:123]
	v_fmac_f64_e32 v[122:123], v[190:191], v[120:121]
	v_fma_f64 v[198:199], v[188:189], v[120:121], -v[198:199]
	ds_read2_b64 v[188:191], v200 offset0:6 offset1:7
	s_waitcnt lgkmcnt(1)
	v_mul_f64 v[120:121], v[208:209], v[122:123]
	v_fma_f64 v[120:121], v[206:207], v[198:199], -v[120:121]
	v_mul_f64 v[206:207], v[206:207], v[122:123]
	v_fmac_f64_e32 v[206:207], v[208:209], v[198:199]
	s_waitcnt vmcnt(44)
	v_add_f64 v[182:183], v[182:183], -v[206:207]
	ds_read2_b64 v[206:209], v200 offset0:8 offset1:9
	v_add_f64 v[180:181], v[180:181], -v[120:121]
	s_waitcnt lgkmcnt(1)
	v_mul_f64 v[120:121], v[190:191], v[122:123]
	v_fma_f64 v[120:121], v[188:189], v[198:199], -v[120:121]
	v_mul_f64 v[188:189], v[188:189], v[122:123]
	v_fmac_f64_e32 v[188:189], v[190:191], v[198:199]
	s_waitcnt vmcnt(43)
	v_add_f64 v[176:177], v[176:177], -v[120:121]
	v_add_f64 v[178:179], v[178:179], -v[188:189]
	ds_read2_b64 v[188:191], v200 offset0:10 offset1:11
	s_waitcnt lgkmcnt(1)
	v_mul_f64 v[120:121], v[208:209], v[122:123]
	v_fma_f64 v[120:121], v[206:207], v[198:199], -v[120:121]
	v_mul_f64 v[206:207], v[206:207], v[122:123]
	v_fmac_f64_e32 v[206:207], v[208:209], v[198:199]
	s_waitcnt vmcnt(42)
	v_add_f64 v[174:175], v[174:175], -v[206:207]
	ds_read2_b64 v[206:209], v200 offset0:12 offset1:13
	v_add_f64 v[172:173], v[172:173], -v[120:121]
	s_waitcnt lgkmcnt(1)
	v_mul_f64 v[120:121], v[190:191], v[122:123]
	v_fma_f64 v[120:121], v[188:189], v[198:199], -v[120:121]
	v_mul_f64 v[188:189], v[188:189], v[122:123]
	v_fmac_f64_e32 v[188:189], v[190:191], v[198:199]
	s_waitcnt vmcnt(41)
	v_add_f64 v[168:169], v[168:169], -v[120:121]
	v_add_f64 v[170:171], v[170:171], -v[188:189]
	;; [unrolled: 18-line block ×22, first 2 shown]
	s_waitcnt lgkmcnt(0)
	v_mul_f64 v[120:121], v[208:209], v[122:123]
	v_mul_f64 v[188:189], v[206:207], v[122:123]
	v_fma_f64 v[120:121], v[206:207], v[198:199], -v[120:121]
	v_fmac_f64_e32 v[188:189], v[208:209], v[198:199]
	s_waitcnt vmcnt(0)
	v_add_f64 v[184:185], v[184:185], -v[120:121]
	v_add_f64 v[186:187], v[186:187], -v[188:189]
	v_mov_b64_e32 v[120:121], v[198:199]
.LBB92_41:
	s_or_b64 exec, exec, s[0:1]
	v_lshl_add_u32 v188, v201, 4, v200
	s_barrier
	s_waitcnt vmcnt(44)
	ds_write2_b64 v188, v[180:181], v[182:183] offset1:1
	s_waitcnt lgkmcnt(0)
	s_barrier
	ds_read2_b64 v[188:191], v200 offset0:4 offset1:5
	s_cmp_lt_i32 s20, 4
	v_mov_b32_e32 v198, 2
	s_cbranch_scc1 .LBB92_44
; %bb.42:
	v_add3_u32 v199, v204, 0, 48
	s_mov_b32 s16, 3
	v_mov_b32_e32 v198, 2
.LBB92_43:                              ; =>This Inner Loop Header: Depth=1
	ds_read2_b64 v[206:209], v199 offset1:1
	s_waitcnt lgkmcnt(1)
	v_xor_b32_e32 v205, 0x80000000, v189
	v_xor_b32_e32 v213, 0x80000000, v191
	v_cmp_gt_f64_e32 vcc, 0, v[190:191]
	v_cmp_gt_f64_e64 s[0:1], 0, v[188:189]
	v_mov_b32_e32 v210, v188
	v_mov_b32_e32 v212, v190
	v_cndmask_b32_e64 v211, v189, v205, s[0:1]
	v_cndmask_b32_e32 v213, v191, v213, vcc
	s_waitcnt lgkmcnt(0)
	v_xor_b32_e32 v205, 0x80000000, v207
	v_xor_b32_e32 v215, 0x80000000, v209
	v_cmp_gt_f64_e32 vcc, 0, v[208:209]
	v_cmp_gt_f64_e64 s[0:1], 0, v[206:207]
	v_add_f64 v[210:211], v[210:211], v[212:213]
	v_mov_b32_e32 v212, v206
	v_mov_b32_e32 v214, v208
	v_cndmask_b32_e64 v213, v207, v205, s[0:1]
	v_cndmask_b32_e32 v215, v209, v215, vcc
	v_add_f64 v[212:213], v[212:213], v[214:215]
	v_mov_b32_e32 v216, s16
	s_add_i32 s16, s16, 1
	v_cmp_lt_f64_e32 vcc, v[210:211], v[212:213]
	v_add_u32_e32 v199, 16, v199
	s_cmp_lg_u32 s20, s16
	v_cndmask_b32_e32 v189, v189, v207, vcc
	v_cndmask_b32_e32 v188, v188, v206, vcc
	;; [unrolled: 1-line block ×5, first 2 shown]
	s_cbranch_scc1 .LBB92_43
.LBB92_44:
	s_waitcnt lgkmcnt(0)
	v_cmp_eq_f64_e32 vcc, 0, v[188:189]
	v_cmp_eq_f64_e64 s[0:1], 0, v[190:191]
	s_and_b64 s[0:1], vcc, s[0:1]
	s_and_saveexec_b64 s[16:17], s[0:1]
	s_xor_b64 s[0:1], exec, s[16:17]
; %bb.45:
	v_cmp_ne_u32_e32 vcc, 0, v202
	s_nop 1
	v_cndmask_b32_e32 v202, 3, v202, vcc
; %bb.46:
	s_andn2_saveexec_b64 s[0:1], s[0:1]
	s_cbranch_execz .LBB92_52
; %bb.47:
	v_cmp_ngt_f64_e64 s[16:17], |v[188:189]|, |v[190:191]|
	s_and_saveexec_b64 s[18:19], s[16:17]
	s_xor_b64 s[16:17], exec, s[18:19]
	s_cbranch_execz .LBB92_49
; %bb.48:
	v_div_scale_f64 v[206:207], s[18:19], v[190:191], v[190:191], v[188:189]
	v_rcp_f64_e32 v[208:209], v[206:207]
	v_div_scale_f64 v[210:211], vcc, v[188:189], v[190:191], v[188:189]
	v_fma_f64 v[212:213], -v[206:207], v[208:209], 1.0
	v_fmac_f64_e32 v[208:209], v[208:209], v[212:213]
	v_fma_f64 v[212:213], -v[206:207], v[208:209], 1.0
	v_fmac_f64_e32 v[208:209], v[208:209], v[212:213]
	v_mul_f64 v[212:213], v[210:211], v[208:209]
	v_fma_f64 v[206:207], -v[206:207], v[212:213], v[210:211]
	v_div_fmas_f64 v[206:207], v[206:207], v[208:209], v[212:213]
	v_div_fixup_f64 v[206:207], v[206:207], v[190:191], v[188:189]
	v_fmac_f64_e32 v[190:191], v[188:189], v[206:207]
	v_div_scale_f64 v[188:189], s[18:19], v[190:191], v[190:191], 1.0
	v_rcp_f64_e32 v[208:209], v[188:189]
	s_nop 0
	v_fma_f64 v[210:211], -v[188:189], v[208:209], 1.0
	v_fmac_f64_e32 v[208:209], v[208:209], v[210:211]
	v_fma_f64 v[210:211], -v[188:189], v[208:209], 1.0
	v_fmac_f64_e32 v[208:209], v[208:209], v[210:211]
	v_div_scale_f64 v[210:211], vcc, 1.0, v[190:191], 1.0
	v_mul_f64 v[212:213], v[210:211], v[208:209]
	v_fma_f64 v[188:189], -v[188:189], v[212:213], v[210:211]
	s_nop 1
	v_div_fmas_f64 v[188:189], v[188:189], v[208:209], v[212:213]
	v_div_fixup_f64 v[190:191], v[188:189], v[190:191], 1.0
	v_mul_f64 v[188:189], v[206:207], v[190:191]
	v_xor_b32_e32 v191, 0x80000000, v191
.LBB92_49:
	s_andn2_saveexec_b64 s[16:17], s[16:17]
	s_cbranch_execz .LBB92_51
; %bb.50:
	v_div_scale_f64 v[206:207], s[18:19], v[188:189], v[188:189], v[190:191]
	v_rcp_f64_e32 v[208:209], v[206:207]
	v_div_scale_f64 v[210:211], vcc, v[190:191], v[188:189], v[190:191]
	v_fma_f64 v[212:213], -v[206:207], v[208:209], 1.0
	v_fmac_f64_e32 v[208:209], v[208:209], v[212:213]
	v_fma_f64 v[212:213], -v[206:207], v[208:209], 1.0
	v_fmac_f64_e32 v[208:209], v[208:209], v[212:213]
	v_mul_f64 v[212:213], v[210:211], v[208:209]
	v_fma_f64 v[206:207], -v[206:207], v[212:213], v[210:211]
	v_div_fmas_f64 v[206:207], v[206:207], v[208:209], v[212:213]
	v_div_fixup_f64 v[206:207], v[206:207], v[188:189], v[190:191]
	v_fmac_f64_e32 v[188:189], v[190:191], v[206:207]
	v_div_scale_f64 v[190:191], s[18:19], v[188:189], v[188:189], 1.0
	v_rcp_f64_e32 v[208:209], v[190:191]
	s_nop 0
	v_fma_f64 v[210:211], -v[190:191], v[208:209], 1.0
	v_fmac_f64_e32 v[208:209], v[208:209], v[210:211]
	v_fma_f64 v[210:211], -v[190:191], v[208:209], 1.0
	v_fmac_f64_e32 v[208:209], v[208:209], v[210:211]
	v_div_scale_f64 v[210:211], vcc, 1.0, v[188:189], 1.0
	v_mul_f64 v[212:213], v[210:211], v[208:209]
	v_fma_f64 v[190:191], -v[190:191], v[212:213], v[210:211]
	s_nop 1
	v_div_fmas_f64 v[190:191], v[190:191], v[208:209], v[212:213]
	v_div_fixup_f64 v[188:189], v[190:191], v[188:189], 1.0
	v_mul_f64 v[190:191], v[206:207], -v[188:189]
.LBB92_51:
	s_or_b64 exec, exec, s[16:17]
.LBB92_52:
	s_or_b64 exec, exec, s[0:1]
	v_cmp_ne_u32_e32 vcc, v201, v198
	s_and_saveexec_b64 s[0:1], vcc
	s_xor_b64 s[0:1], exec, s[0:1]
	s_cbranch_execz .LBB92_58
; %bb.53:
	v_cmp_eq_u32_e32 vcc, 2, v201
	s_and_saveexec_b64 s[16:17], vcc
	s_cbranch_execz .LBB92_57
; %bb.54:
	v_cmp_ne_u32_e32 vcc, 2, v198
	s_xor_b64 s[18:19], s[14:15], -1
	s_and_b64 s[22:23], s[18:19], vcc
	s_and_saveexec_b64 s[18:19], s[22:23]
	s_cbranch_execz .LBB92_56
; %bb.55:
	v_ashrrev_i32_e32 v199, 31, v198
	v_lshl_add_u64 v[206:207], v[198:199], 2, v[196:197]
	global_load_dword v199, v[206:207], off
	global_load_dword v201, v[196:197], off offset:8
	s_waitcnt vmcnt(1)
	global_store_dword v[196:197], v199, off offset:8
	s_waitcnt vmcnt(1)
	global_store_dword v[206:207], v201, off
.LBB92_56:
	s_or_b64 exec, exec, s[18:19]
	v_mov_b32_e32 v201, v198
	v_mov_b32_e32 v203, v198
.LBB92_57:
	s_or_b64 exec, exec, s[16:17]
.LBB92_58:
	s_andn2_saveexec_b64 s[0:1], s[0:1]
	s_cbranch_execz .LBB92_60
; %bb.59:
	v_mov_b32_e32 v201, 2
	s_waitcnt vmcnt(43)
	ds_write2_b64 v200, v[176:177], v[178:179] offset0:6 offset1:7
	s_waitcnt vmcnt(42)
	ds_write2_b64 v200, v[172:173], v[174:175] offset0:8 offset1:9
	;; [unrolled: 2-line block ×44, first 2 shown]
.LBB92_60:
	s_or_b64 exec, exec, s[0:1]
	v_cmp_lt_i32_e32 vcc, 2, v201
	s_waitcnt lgkmcnt(0)
	s_barrier
	s_and_saveexec_b64 s[0:1], vcc
	s_cbranch_execz .LBB92_62
; %bb.61:
	ds_read2_b64 v[206:209], v200 offset0:6 offset1:7
	v_mul_f64 v[198:199], v[190:191], v[182:183]
	v_mul_f64 v[182:183], v[188:189], v[182:183]
	v_fma_f64 v[198:199], v[188:189], v[180:181], -v[198:199]
	v_fmac_f64_e32 v[182:183], v[190:191], v[180:181]
	ds_read2_b64 v[188:191], v200 offset0:8 offset1:9
	s_waitcnt lgkmcnt(1)
	v_mul_f64 v[180:181], v[208:209], v[182:183]
	v_fma_f64 v[180:181], v[206:207], v[198:199], -v[180:181]
	v_mul_f64 v[206:207], v[206:207], v[182:183]
	v_fmac_f64_e32 v[206:207], v[208:209], v[198:199]
	s_waitcnt vmcnt(43)
	v_add_f64 v[176:177], v[176:177], -v[180:181]
	s_waitcnt lgkmcnt(0)
	v_mul_f64 v[180:181], v[190:191], v[182:183]
	v_add_f64 v[178:179], v[178:179], -v[206:207]
	v_fma_f64 v[180:181], v[188:189], v[198:199], -v[180:181]
	v_mul_f64 v[188:189], v[188:189], v[182:183]
	ds_read2_b64 v[206:209], v200 offset0:10 offset1:11
	v_fmac_f64_e32 v[188:189], v[190:191], v[198:199]
	s_waitcnt vmcnt(42)
	v_add_f64 v[174:175], v[174:175], -v[188:189]
	ds_read2_b64 v[188:191], v200 offset0:12 offset1:13
	v_add_f64 v[172:173], v[172:173], -v[180:181]
	s_waitcnt lgkmcnt(1)
	v_mul_f64 v[180:181], v[208:209], v[182:183]
	v_fma_f64 v[180:181], v[206:207], v[198:199], -v[180:181]
	v_mul_f64 v[206:207], v[206:207], v[182:183]
	v_fmac_f64_e32 v[206:207], v[208:209], v[198:199]
	s_waitcnt vmcnt(41)
	v_add_f64 v[168:169], v[168:169], -v[180:181]
	s_waitcnt lgkmcnt(0)
	v_mul_f64 v[180:181], v[190:191], v[182:183]
	v_add_f64 v[170:171], v[170:171], -v[206:207]
	v_fma_f64 v[180:181], v[188:189], v[198:199], -v[180:181]
	v_mul_f64 v[188:189], v[188:189], v[182:183]
	ds_read2_b64 v[206:209], v200 offset0:14 offset1:15
	v_fmac_f64_e32 v[188:189], v[190:191], v[198:199]
	s_waitcnt vmcnt(40)
	v_add_f64 v[166:167], v[166:167], -v[188:189]
	ds_read2_b64 v[188:191], v200 offset0:16 offset1:17
	v_add_f64 v[164:165], v[164:165], -v[180:181]
	s_waitcnt lgkmcnt(1)
	v_mul_f64 v[180:181], v[208:209], v[182:183]
	v_fma_f64 v[180:181], v[206:207], v[198:199], -v[180:181]
	v_mul_f64 v[206:207], v[206:207], v[182:183]
	v_fmac_f64_e32 v[206:207], v[208:209], v[198:199]
	s_waitcnt vmcnt(39)
	v_add_f64 v[160:161], v[160:161], -v[180:181]
	s_waitcnt lgkmcnt(0)
	v_mul_f64 v[180:181], v[190:191], v[182:183]
	v_add_f64 v[162:163], v[162:163], -v[206:207]
	v_fma_f64 v[180:181], v[188:189], v[198:199], -v[180:181]
	v_mul_f64 v[188:189], v[188:189], v[182:183]
	ds_read2_b64 v[206:209], v200 offset0:18 offset1:19
	v_fmac_f64_e32 v[188:189], v[190:191], v[198:199]
	s_waitcnt vmcnt(38)
	v_add_f64 v[158:159], v[158:159], -v[188:189]
	ds_read2_b64 v[188:191], v200 offset0:20 offset1:21
	v_add_f64 v[156:157], v[156:157], -v[180:181]
	s_waitcnt lgkmcnt(1)
	v_mul_f64 v[180:181], v[208:209], v[182:183]
	v_fma_f64 v[180:181], v[206:207], v[198:199], -v[180:181]
	v_mul_f64 v[206:207], v[206:207], v[182:183]
	v_fmac_f64_e32 v[206:207], v[208:209], v[198:199]
	s_waitcnt vmcnt(37)
	v_add_f64 v[152:153], v[152:153], -v[180:181]
	s_waitcnt lgkmcnt(0)
	v_mul_f64 v[180:181], v[190:191], v[182:183]
	v_add_f64 v[154:155], v[154:155], -v[206:207]
	v_fma_f64 v[180:181], v[188:189], v[198:199], -v[180:181]
	v_mul_f64 v[188:189], v[188:189], v[182:183]
	ds_read2_b64 v[206:209], v200 offset0:22 offset1:23
	v_fmac_f64_e32 v[188:189], v[190:191], v[198:199]
	s_waitcnt vmcnt(36)
	v_add_f64 v[150:151], v[150:151], -v[188:189]
	ds_read2_b64 v[188:191], v200 offset0:24 offset1:25
	v_add_f64 v[148:149], v[148:149], -v[180:181]
	s_waitcnt lgkmcnt(1)
	v_mul_f64 v[180:181], v[208:209], v[182:183]
	v_fma_f64 v[180:181], v[206:207], v[198:199], -v[180:181]
	v_mul_f64 v[206:207], v[206:207], v[182:183]
	v_fmac_f64_e32 v[206:207], v[208:209], v[198:199]
	s_waitcnt vmcnt(35)
	v_add_f64 v[144:145], v[144:145], -v[180:181]
	s_waitcnt lgkmcnt(0)
	v_mul_f64 v[180:181], v[190:191], v[182:183]
	v_add_f64 v[146:147], v[146:147], -v[206:207]
	v_fma_f64 v[180:181], v[188:189], v[198:199], -v[180:181]
	v_mul_f64 v[188:189], v[188:189], v[182:183]
	ds_read2_b64 v[206:209], v200 offset0:26 offset1:27
	v_fmac_f64_e32 v[188:189], v[190:191], v[198:199]
	s_waitcnt vmcnt(34)
	v_add_f64 v[142:143], v[142:143], -v[188:189]
	ds_read2_b64 v[188:191], v200 offset0:28 offset1:29
	v_add_f64 v[140:141], v[140:141], -v[180:181]
	s_waitcnt lgkmcnt(1)
	v_mul_f64 v[180:181], v[208:209], v[182:183]
	v_fma_f64 v[180:181], v[206:207], v[198:199], -v[180:181]
	v_mul_f64 v[206:207], v[206:207], v[182:183]
	v_fmac_f64_e32 v[206:207], v[208:209], v[198:199]
	s_waitcnt vmcnt(33)
	v_add_f64 v[136:137], v[136:137], -v[180:181]
	s_waitcnt lgkmcnt(0)
	v_mul_f64 v[180:181], v[190:191], v[182:183]
	v_add_f64 v[138:139], v[138:139], -v[206:207]
	v_fma_f64 v[180:181], v[188:189], v[198:199], -v[180:181]
	v_mul_f64 v[188:189], v[188:189], v[182:183]
	ds_read2_b64 v[206:209], v200 offset0:30 offset1:31
	v_fmac_f64_e32 v[188:189], v[190:191], v[198:199]
	s_waitcnt vmcnt(32)
	v_add_f64 v[134:135], v[134:135], -v[188:189]
	ds_read2_b64 v[188:191], v200 offset0:32 offset1:33
	v_add_f64 v[132:133], v[132:133], -v[180:181]
	s_waitcnt lgkmcnt(1)
	v_mul_f64 v[180:181], v[208:209], v[182:183]
	v_fma_f64 v[180:181], v[206:207], v[198:199], -v[180:181]
	v_mul_f64 v[206:207], v[206:207], v[182:183]
	v_fmac_f64_e32 v[206:207], v[208:209], v[198:199]
	s_waitcnt vmcnt(31)
	v_add_f64 v[128:129], v[128:129], -v[180:181]
	s_waitcnt lgkmcnt(0)
	v_mul_f64 v[180:181], v[190:191], v[182:183]
	v_add_f64 v[130:131], v[130:131], -v[206:207]
	v_fma_f64 v[180:181], v[188:189], v[198:199], -v[180:181]
	v_mul_f64 v[188:189], v[188:189], v[182:183]
	ds_read2_b64 v[206:209], v200 offset0:34 offset1:35
	v_fmac_f64_e32 v[188:189], v[190:191], v[198:199]
	s_waitcnt vmcnt(30)
	v_add_f64 v[118:119], v[118:119], -v[188:189]
	ds_read2_b64 v[188:191], v200 offset0:36 offset1:37
	v_add_f64 v[116:117], v[116:117], -v[180:181]
	s_waitcnt lgkmcnt(1)
	v_mul_f64 v[180:181], v[208:209], v[182:183]
	v_fma_f64 v[180:181], v[206:207], v[198:199], -v[180:181]
	v_mul_f64 v[206:207], v[206:207], v[182:183]
	v_fmac_f64_e32 v[206:207], v[208:209], v[198:199]
	s_waitcnt vmcnt(29)
	v_add_f64 v[112:113], v[112:113], -v[180:181]
	s_waitcnt lgkmcnt(0)
	v_mul_f64 v[180:181], v[190:191], v[182:183]
	v_add_f64 v[114:115], v[114:115], -v[206:207]
	v_fma_f64 v[180:181], v[188:189], v[198:199], -v[180:181]
	v_mul_f64 v[188:189], v[188:189], v[182:183]
	ds_read2_b64 v[206:209], v200 offset0:38 offset1:39
	v_fmac_f64_e32 v[188:189], v[190:191], v[198:199]
	s_waitcnt vmcnt(28)
	v_add_f64 v[110:111], v[110:111], -v[188:189]
	ds_read2_b64 v[188:191], v200 offset0:40 offset1:41
	v_add_f64 v[108:109], v[108:109], -v[180:181]
	s_waitcnt lgkmcnt(1)
	v_mul_f64 v[180:181], v[208:209], v[182:183]
	v_fma_f64 v[180:181], v[206:207], v[198:199], -v[180:181]
	v_mul_f64 v[206:207], v[206:207], v[182:183]
	v_fmac_f64_e32 v[206:207], v[208:209], v[198:199]
	s_waitcnt vmcnt(27)
	v_add_f64 v[104:105], v[104:105], -v[180:181]
	s_waitcnt lgkmcnt(0)
	v_mul_f64 v[180:181], v[190:191], v[182:183]
	v_add_f64 v[106:107], v[106:107], -v[206:207]
	v_fma_f64 v[180:181], v[188:189], v[198:199], -v[180:181]
	v_mul_f64 v[188:189], v[188:189], v[182:183]
	ds_read2_b64 v[206:209], v200 offset0:42 offset1:43
	v_fmac_f64_e32 v[188:189], v[190:191], v[198:199]
	s_waitcnt vmcnt(26)
	v_add_f64 v[102:103], v[102:103], -v[188:189]
	ds_read2_b64 v[188:191], v200 offset0:44 offset1:45
	v_add_f64 v[100:101], v[100:101], -v[180:181]
	s_waitcnt lgkmcnt(1)
	v_mul_f64 v[180:181], v[208:209], v[182:183]
	v_fma_f64 v[180:181], v[206:207], v[198:199], -v[180:181]
	v_mul_f64 v[206:207], v[206:207], v[182:183]
	v_fmac_f64_e32 v[206:207], v[208:209], v[198:199]
	s_waitcnt vmcnt(25)
	v_add_f64 v[96:97], v[96:97], -v[180:181]
	s_waitcnt lgkmcnt(0)
	v_mul_f64 v[180:181], v[190:191], v[182:183]
	v_add_f64 v[98:99], v[98:99], -v[206:207]
	v_fma_f64 v[180:181], v[188:189], v[198:199], -v[180:181]
	v_mul_f64 v[188:189], v[188:189], v[182:183]
	ds_read2_b64 v[206:209], v200 offset0:46 offset1:47
	v_fmac_f64_e32 v[188:189], v[190:191], v[198:199]
	s_waitcnt vmcnt(24)
	v_add_f64 v[94:95], v[94:95], -v[188:189]
	ds_read2_b64 v[188:191], v200 offset0:48 offset1:49
	v_add_f64 v[92:93], v[92:93], -v[180:181]
	s_waitcnt lgkmcnt(1)
	v_mul_f64 v[180:181], v[208:209], v[182:183]
	v_fma_f64 v[180:181], v[206:207], v[198:199], -v[180:181]
	v_mul_f64 v[206:207], v[206:207], v[182:183]
	v_fmac_f64_e32 v[206:207], v[208:209], v[198:199]
	s_waitcnt vmcnt(23)
	v_add_f64 v[88:89], v[88:89], -v[180:181]
	s_waitcnt lgkmcnt(0)
	v_mul_f64 v[180:181], v[190:191], v[182:183]
	v_add_f64 v[90:91], v[90:91], -v[206:207]
	v_fma_f64 v[180:181], v[188:189], v[198:199], -v[180:181]
	v_mul_f64 v[188:189], v[188:189], v[182:183]
	ds_read2_b64 v[206:209], v200 offset0:50 offset1:51
	v_fmac_f64_e32 v[188:189], v[190:191], v[198:199]
	s_waitcnt vmcnt(22)
	v_add_f64 v[86:87], v[86:87], -v[188:189]
	ds_read2_b64 v[188:191], v200 offset0:52 offset1:53
	v_add_f64 v[84:85], v[84:85], -v[180:181]
	s_waitcnt lgkmcnt(1)
	v_mul_f64 v[180:181], v[208:209], v[182:183]
	v_fma_f64 v[180:181], v[206:207], v[198:199], -v[180:181]
	v_mul_f64 v[206:207], v[206:207], v[182:183]
	v_fmac_f64_e32 v[206:207], v[208:209], v[198:199]
	s_waitcnt vmcnt(21)
	v_add_f64 v[80:81], v[80:81], -v[180:181]
	s_waitcnt lgkmcnt(0)
	v_mul_f64 v[180:181], v[190:191], v[182:183]
	v_add_f64 v[82:83], v[82:83], -v[206:207]
	v_fma_f64 v[180:181], v[188:189], v[198:199], -v[180:181]
	v_mul_f64 v[188:189], v[188:189], v[182:183]
	ds_read2_b64 v[206:209], v200 offset0:54 offset1:55
	v_fmac_f64_e32 v[188:189], v[190:191], v[198:199]
	s_waitcnt vmcnt(20)
	v_add_f64 v[78:79], v[78:79], -v[188:189]
	ds_read2_b64 v[188:191], v200 offset0:56 offset1:57
	v_add_f64 v[76:77], v[76:77], -v[180:181]
	s_waitcnt lgkmcnt(1)
	v_mul_f64 v[180:181], v[208:209], v[182:183]
	v_fma_f64 v[180:181], v[206:207], v[198:199], -v[180:181]
	v_mul_f64 v[206:207], v[206:207], v[182:183]
	v_fmac_f64_e32 v[206:207], v[208:209], v[198:199]
	s_waitcnt vmcnt(19)
	v_add_f64 v[72:73], v[72:73], -v[180:181]
	s_waitcnt lgkmcnt(0)
	v_mul_f64 v[180:181], v[190:191], v[182:183]
	v_add_f64 v[74:75], v[74:75], -v[206:207]
	v_fma_f64 v[180:181], v[188:189], v[198:199], -v[180:181]
	v_mul_f64 v[188:189], v[188:189], v[182:183]
	ds_read2_b64 v[206:209], v200 offset0:58 offset1:59
	v_fmac_f64_e32 v[188:189], v[190:191], v[198:199]
	s_waitcnt vmcnt(18)
	v_add_f64 v[70:71], v[70:71], -v[188:189]
	ds_read2_b64 v[188:191], v200 offset0:60 offset1:61
	v_add_f64 v[68:69], v[68:69], -v[180:181]
	s_waitcnt lgkmcnt(1)
	v_mul_f64 v[180:181], v[208:209], v[182:183]
	v_fma_f64 v[180:181], v[206:207], v[198:199], -v[180:181]
	v_mul_f64 v[206:207], v[206:207], v[182:183]
	v_fmac_f64_e32 v[206:207], v[208:209], v[198:199]
	s_waitcnt vmcnt(17)
	v_add_f64 v[64:65], v[64:65], -v[180:181]
	s_waitcnt lgkmcnt(0)
	v_mul_f64 v[180:181], v[190:191], v[182:183]
	v_add_f64 v[66:67], v[66:67], -v[206:207]
	v_fma_f64 v[180:181], v[188:189], v[198:199], -v[180:181]
	v_mul_f64 v[188:189], v[188:189], v[182:183]
	ds_read2_b64 v[206:209], v200 offset0:62 offset1:63
	v_fmac_f64_e32 v[188:189], v[190:191], v[198:199]
	s_waitcnt vmcnt(16)
	v_add_f64 v[62:63], v[62:63], -v[188:189]
	ds_read2_b64 v[188:191], v200 offset0:64 offset1:65
	v_add_f64 v[60:61], v[60:61], -v[180:181]
	s_waitcnt lgkmcnt(1)
	v_mul_f64 v[180:181], v[208:209], v[182:183]
	v_fma_f64 v[180:181], v[206:207], v[198:199], -v[180:181]
	v_mul_f64 v[206:207], v[206:207], v[182:183]
	v_fmac_f64_e32 v[206:207], v[208:209], v[198:199]
	s_waitcnt vmcnt(15)
	v_add_f64 v[56:57], v[56:57], -v[180:181]
	s_waitcnt lgkmcnt(0)
	v_mul_f64 v[180:181], v[190:191], v[182:183]
	v_add_f64 v[58:59], v[58:59], -v[206:207]
	v_fma_f64 v[180:181], v[188:189], v[198:199], -v[180:181]
	v_mul_f64 v[188:189], v[188:189], v[182:183]
	ds_read2_b64 v[206:209], v200 offset0:66 offset1:67
	v_fmac_f64_e32 v[188:189], v[190:191], v[198:199]
	s_waitcnt vmcnt(14)
	v_add_f64 v[54:55], v[54:55], -v[188:189]
	ds_read2_b64 v[188:191], v200 offset0:68 offset1:69
	v_add_f64 v[52:53], v[52:53], -v[180:181]
	s_waitcnt lgkmcnt(1)
	v_mul_f64 v[180:181], v[208:209], v[182:183]
	v_fma_f64 v[180:181], v[206:207], v[198:199], -v[180:181]
	v_mul_f64 v[206:207], v[206:207], v[182:183]
	v_fmac_f64_e32 v[206:207], v[208:209], v[198:199]
	s_waitcnt vmcnt(13)
	v_add_f64 v[48:49], v[48:49], -v[180:181]
	s_waitcnt lgkmcnt(0)
	v_mul_f64 v[180:181], v[190:191], v[182:183]
	v_add_f64 v[50:51], v[50:51], -v[206:207]
	v_fma_f64 v[180:181], v[188:189], v[198:199], -v[180:181]
	v_mul_f64 v[188:189], v[188:189], v[182:183]
	ds_read2_b64 v[206:209], v200 offset0:70 offset1:71
	v_fmac_f64_e32 v[188:189], v[190:191], v[198:199]
	s_waitcnt vmcnt(12)
	v_add_f64 v[46:47], v[46:47], -v[188:189]
	ds_read2_b64 v[188:191], v200 offset0:72 offset1:73
	v_add_f64 v[44:45], v[44:45], -v[180:181]
	s_waitcnt lgkmcnt(1)
	v_mul_f64 v[180:181], v[208:209], v[182:183]
	v_fma_f64 v[180:181], v[206:207], v[198:199], -v[180:181]
	v_mul_f64 v[206:207], v[206:207], v[182:183]
	v_fmac_f64_e32 v[206:207], v[208:209], v[198:199]
	s_waitcnt vmcnt(11)
	v_add_f64 v[40:41], v[40:41], -v[180:181]
	s_waitcnt lgkmcnt(0)
	v_mul_f64 v[180:181], v[190:191], v[182:183]
	v_add_f64 v[42:43], v[42:43], -v[206:207]
	v_fma_f64 v[180:181], v[188:189], v[198:199], -v[180:181]
	v_mul_f64 v[188:189], v[188:189], v[182:183]
	ds_read2_b64 v[206:209], v200 offset0:74 offset1:75
	v_fmac_f64_e32 v[188:189], v[190:191], v[198:199]
	s_waitcnt vmcnt(10)
	v_add_f64 v[38:39], v[38:39], -v[188:189]
	ds_read2_b64 v[188:191], v200 offset0:76 offset1:77
	v_add_f64 v[36:37], v[36:37], -v[180:181]
	s_waitcnt lgkmcnt(1)
	v_mul_f64 v[180:181], v[208:209], v[182:183]
	v_fma_f64 v[180:181], v[206:207], v[198:199], -v[180:181]
	v_mul_f64 v[206:207], v[206:207], v[182:183]
	v_fmac_f64_e32 v[206:207], v[208:209], v[198:199]
	s_waitcnt vmcnt(9)
	v_add_f64 v[32:33], v[32:33], -v[180:181]
	s_waitcnt lgkmcnt(0)
	v_mul_f64 v[180:181], v[190:191], v[182:183]
	v_add_f64 v[34:35], v[34:35], -v[206:207]
	v_fma_f64 v[180:181], v[188:189], v[198:199], -v[180:181]
	v_mul_f64 v[188:189], v[188:189], v[182:183]
	ds_read2_b64 v[206:209], v200 offset0:78 offset1:79
	v_fmac_f64_e32 v[188:189], v[190:191], v[198:199]
	s_waitcnt vmcnt(8)
	v_add_f64 v[30:31], v[30:31], -v[188:189]
	ds_read2_b64 v[188:191], v200 offset0:80 offset1:81
	v_add_f64 v[28:29], v[28:29], -v[180:181]
	s_waitcnt lgkmcnt(1)
	v_mul_f64 v[180:181], v[208:209], v[182:183]
	v_fma_f64 v[180:181], v[206:207], v[198:199], -v[180:181]
	v_mul_f64 v[206:207], v[206:207], v[182:183]
	v_fmac_f64_e32 v[206:207], v[208:209], v[198:199]
	s_waitcnt vmcnt(7)
	v_add_f64 v[24:25], v[24:25], -v[180:181]
	s_waitcnt lgkmcnt(0)
	v_mul_f64 v[180:181], v[190:191], v[182:183]
	v_add_f64 v[26:27], v[26:27], -v[206:207]
	v_fma_f64 v[180:181], v[188:189], v[198:199], -v[180:181]
	v_mul_f64 v[188:189], v[188:189], v[182:183]
	ds_read2_b64 v[206:209], v200 offset0:82 offset1:83
	v_fmac_f64_e32 v[188:189], v[190:191], v[198:199]
	s_waitcnt vmcnt(6)
	v_add_f64 v[22:23], v[22:23], -v[188:189]
	ds_read2_b64 v[188:191], v200 offset0:84 offset1:85
	v_add_f64 v[20:21], v[20:21], -v[180:181]
	s_waitcnt lgkmcnt(1)
	v_mul_f64 v[180:181], v[208:209], v[182:183]
	v_fma_f64 v[180:181], v[206:207], v[198:199], -v[180:181]
	v_mul_f64 v[206:207], v[206:207], v[182:183]
	v_fmac_f64_e32 v[206:207], v[208:209], v[198:199]
	s_waitcnt vmcnt(5)
	v_add_f64 v[16:17], v[16:17], -v[180:181]
	s_waitcnt lgkmcnt(0)
	v_mul_f64 v[180:181], v[190:191], v[182:183]
	v_add_f64 v[18:19], v[18:19], -v[206:207]
	v_fma_f64 v[180:181], v[188:189], v[198:199], -v[180:181]
	v_mul_f64 v[188:189], v[188:189], v[182:183]
	ds_read2_b64 v[206:209], v200 offset0:86 offset1:87
	v_fmac_f64_e32 v[188:189], v[190:191], v[198:199]
	s_waitcnt vmcnt(4)
	v_add_f64 v[14:15], v[14:15], -v[188:189]
	ds_read2_b64 v[188:191], v200 offset0:88 offset1:89
	v_add_f64 v[12:13], v[12:13], -v[180:181]
	s_waitcnt lgkmcnt(1)
	v_mul_f64 v[180:181], v[208:209], v[182:183]
	v_fma_f64 v[180:181], v[206:207], v[198:199], -v[180:181]
	v_mul_f64 v[206:207], v[206:207], v[182:183]
	v_fmac_f64_e32 v[206:207], v[208:209], v[198:199]
	s_waitcnt vmcnt(3)
	v_add_f64 v[8:9], v[8:9], -v[180:181]
	s_waitcnt lgkmcnt(0)
	v_mul_f64 v[180:181], v[190:191], v[182:183]
	v_add_f64 v[10:11], v[10:11], -v[206:207]
	v_fma_f64 v[180:181], v[188:189], v[198:199], -v[180:181]
	v_mul_f64 v[188:189], v[188:189], v[182:183]
	ds_read2_b64 v[206:209], v200 offset0:90 offset1:91
	v_fmac_f64_e32 v[188:189], v[190:191], v[198:199]
	s_waitcnt vmcnt(2)
	v_add_f64 v[6:7], v[6:7], -v[188:189]
	ds_read2_b64 v[188:191], v200 offset0:92 offset1:93
	v_add_f64 v[4:5], v[4:5], -v[180:181]
	s_waitcnt lgkmcnt(1)
	v_mul_f64 v[180:181], v[208:209], v[182:183]
	v_fma_f64 v[180:181], v[206:207], v[198:199], -v[180:181]
	s_waitcnt vmcnt(1)
	v_add_f64 v[0:1], v[0:1], -v[180:181]
	s_waitcnt lgkmcnt(0)
	v_mul_f64 v[180:181], v[190:191], v[182:183]
	v_mul_f64 v[206:207], v[206:207], v[182:183]
	v_fma_f64 v[180:181], v[188:189], v[198:199], -v[180:181]
	v_mul_f64 v[188:189], v[188:189], v[182:183]
	v_fmac_f64_e32 v[206:207], v[208:209], v[198:199]
	v_fmac_f64_e32 v[188:189], v[190:191], v[198:199]
	v_add_f64 v[2:3], v[2:3], -v[206:207]
	s_waitcnt vmcnt(0)
	v_add_f64 v[184:185], v[184:185], -v[180:181]
	v_add_f64 v[186:187], v[186:187], -v[188:189]
	v_mov_b64_e32 v[180:181], v[198:199]
.LBB92_62:
	s_or_b64 exec, exec, s[0:1]
	v_lshl_add_u32 v188, v201, 4, v200
	s_barrier
	s_waitcnt vmcnt(43)
	ds_write2_b64 v188, v[176:177], v[178:179] offset1:1
	s_waitcnt lgkmcnt(0)
	s_barrier
	ds_read2_b64 v[188:191], v200 offset0:6 offset1:7
	s_mov_b32 s16, 4
	s_cmp_lt_i32 s20, 5
	v_mov_b32_e32 v198, 3
	s_cbranch_scc1 .LBB92_65
; %bb.63:
	v_add3_u32 v199, v204, 0, 64
	v_mov_b32_e32 v198, 3
.LBB92_64:                              ; =>This Inner Loop Header: Depth=1
	ds_read2_b64 v[204:207], v199 offset1:1
	s_waitcnt lgkmcnt(1)
	v_xor_b32_e32 v209, 0x80000000, v189
	v_xor_b32_e32 v211, 0x80000000, v191
	v_cmp_gt_f64_e32 vcc, 0, v[190:191]
	v_cmp_gt_f64_e64 s[0:1], 0, v[188:189]
	v_mov_b32_e32 v208, v188
	v_mov_b32_e32 v210, v190
	v_cndmask_b32_e64 v209, v189, v209, s[0:1]
	v_cndmask_b32_e32 v211, v191, v211, vcc
	v_add_f64 v[208:209], v[208:209], v[210:211]
	s_waitcnt lgkmcnt(0)
	v_xor_b32_e32 v211, 0x80000000, v205
	v_xor_b32_e32 v213, 0x80000000, v207
	v_cmp_gt_f64_e32 vcc, 0, v[206:207]
	v_cmp_gt_f64_e64 s[0:1], 0, v[204:205]
	v_mov_b32_e32 v210, v204
	v_mov_b32_e32 v212, v206
	v_cndmask_b32_e64 v211, v205, v211, s[0:1]
	v_cndmask_b32_e32 v213, v207, v213, vcc
	v_add_f64 v[210:211], v[210:211], v[212:213]
	v_mov_b32_e32 v214, s16
	s_add_i32 s16, s16, 1
	v_cmp_lt_f64_e32 vcc, v[208:209], v[210:211]
	v_add_u32_e32 v199, 16, v199
	s_cmp_lg_u32 s20, s16
	v_cndmask_b32_e32 v189, v189, v205, vcc
	v_cndmask_b32_e32 v188, v188, v204, vcc
	;; [unrolled: 1-line block ×5, first 2 shown]
	s_cbranch_scc1 .LBB92_64
.LBB92_65:
	s_waitcnt lgkmcnt(0)
	v_cmp_eq_f64_e32 vcc, 0, v[188:189]
	v_cmp_eq_f64_e64 s[0:1], 0, v[190:191]
	s_and_b64 s[0:1], vcc, s[0:1]
	s_and_saveexec_b64 s[16:17], s[0:1]
	s_xor_b64 s[0:1], exec, s[16:17]
; %bb.66:
	v_cmp_ne_u32_e32 vcc, 0, v202
	s_nop 1
	v_cndmask_b32_e32 v202, 4, v202, vcc
; %bb.67:
	s_andn2_saveexec_b64 s[0:1], s[0:1]
	s_cbranch_execz .LBB92_73
; %bb.68:
	v_cmp_ngt_f64_e64 s[16:17], |v[188:189]|, |v[190:191]|
	s_and_saveexec_b64 s[18:19], s[16:17]
	s_xor_b64 s[16:17], exec, s[18:19]
	s_cbranch_execz .LBB92_70
; %bb.69:
	v_div_scale_f64 v[204:205], s[18:19], v[190:191], v[190:191], v[188:189]
	v_rcp_f64_e32 v[206:207], v[204:205]
	v_div_scale_f64 v[208:209], vcc, v[188:189], v[190:191], v[188:189]
	v_fma_f64 v[210:211], -v[204:205], v[206:207], 1.0
	v_fmac_f64_e32 v[206:207], v[206:207], v[210:211]
	v_fma_f64 v[210:211], -v[204:205], v[206:207], 1.0
	v_fmac_f64_e32 v[206:207], v[206:207], v[210:211]
	v_mul_f64 v[210:211], v[208:209], v[206:207]
	v_fma_f64 v[204:205], -v[204:205], v[210:211], v[208:209]
	v_div_fmas_f64 v[204:205], v[204:205], v[206:207], v[210:211]
	v_div_fixup_f64 v[204:205], v[204:205], v[190:191], v[188:189]
	v_fmac_f64_e32 v[190:191], v[188:189], v[204:205]
	v_div_scale_f64 v[188:189], s[18:19], v[190:191], v[190:191], 1.0
	v_rcp_f64_e32 v[206:207], v[188:189]
	s_nop 0
	v_fma_f64 v[208:209], -v[188:189], v[206:207], 1.0
	v_fmac_f64_e32 v[206:207], v[206:207], v[208:209]
	v_fma_f64 v[208:209], -v[188:189], v[206:207], 1.0
	v_fmac_f64_e32 v[206:207], v[206:207], v[208:209]
	v_div_scale_f64 v[208:209], vcc, 1.0, v[190:191], 1.0
	v_mul_f64 v[210:211], v[208:209], v[206:207]
	v_fma_f64 v[188:189], -v[188:189], v[210:211], v[208:209]
	s_nop 1
	v_div_fmas_f64 v[188:189], v[188:189], v[206:207], v[210:211]
	v_div_fixup_f64 v[190:191], v[188:189], v[190:191], 1.0
	v_mul_f64 v[188:189], v[204:205], v[190:191]
	v_xor_b32_e32 v191, 0x80000000, v191
.LBB92_70:
	s_andn2_saveexec_b64 s[16:17], s[16:17]
	s_cbranch_execz .LBB92_72
; %bb.71:
	v_div_scale_f64 v[204:205], s[18:19], v[188:189], v[188:189], v[190:191]
	v_rcp_f64_e32 v[206:207], v[204:205]
	v_div_scale_f64 v[208:209], vcc, v[190:191], v[188:189], v[190:191]
	v_fma_f64 v[210:211], -v[204:205], v[206:207], 1.0
	v_fmac_f64_e32 v[206:207], v[206:207], v[210:211]
	v_fma_f64 v[210:211], -v[204:205], v[206:207], 1.0
	v_fmac_f64_e32 v[206:207], v[206:207], v[210:211]
	v_mul_f64 v[210:211], v[208:209], v[206:207]
	v_fma_f64 v[204:205], -v[204:205], v[210:211], v[208:209]
	v_div_fmas_f64 v[204:205], v[204:205], v[206:207], v[210:211]
	v_div_fixup_f64 v[204:205], v[204:205], v[188:189], v[190:191]
	v_fmac_f64_e32 v[188:189], v[190:191], v[204:205]
	v_div_scale_f64 v[190:191], s[18:19], v[188:189], v[188:189], 1.0
	v_rcp_f64_e32 v[206:207], v[190:191]
	s_nop 0
	v_fma_f64 v[208:209], -v[190:191], v[206:207], 1.0
	v_fmac_f64_e32 v[206:207], v[206:207], v[208:209]
	v_fma_f64 v[208:209], -v[190:191], v[206:207], 1.0
	v_fmac_f64_e32 v[206:207], v[206:207], v[208:209]
	v_div_scale_f64 v[208:209], vcc, 1.0, v[188:189], 1.0
	v_mul_f64 v[210:211], v[208:209], v[206:207]
	v_fma_f64 v[190:191], -v[190:191], v[210:211], v[208:209]
	s_nop 1
	v_div_fmas_f64 v[190:191], v[190:191], v[206:207], v[210:211]
	v_div_fixup_f64 v[188:189], v[190:191], v[188:189], 1.0
	v_mul_f64 v[190:191], v[204:205], -v[188:189]
.LBB92_72:
	s_or_b64 exec, exec, s[16:17]
.LBB92_73:
	s_or_b64 exec, exec, s[0:1]
	v_cmp_ne_u32_e32 vcc, v201, v198
	s_and_saveexec_b64 s[0:1], vcc
	s_xor_b64 s[0:1], exec, s[0:1]
	s_cbranch_execz .LBB92_79
; %bb.74:
	v_cmp_eq_u32_e32 vcc, 3, v201
	s_and_saveexec_b64 s[16:17], vcc
	s_cbranch_execz .LBB92_78
; %bb.75:
	v_cmp_ne_u32_e32 vcc, 3, v198
	s_xor_b64 s[18:19], s[14:15], -1
	s_and_b64 s[22:23], s[18:19], vcc
	s_and_saveexec_b64 s[18:19], s[22:23]
	s_cbranch_execz .LBB92_77
; %bb.76:
	v_ashrrev_i32_e32 v199, 31, v198
	v_lshl_add_u64 v[204:205], v[198:199], 2, v[196:197]
	global_load_dword v199, v[204:205], off
	global_load_dword v201, v[196:197], off offset:12
	s_waitcnt vmcnt(1)
	global_store_dword v[196:197], v199, off offset:12
	s_waitcnt vmcnt(1)
	global_store_dword v[204:205], v201, off
.LBB92_77:
	s_or_b64 exec, exec, s[18:19]
	v_mov_b32_e32 v201, v198
	v_mov_b32_e32 v203, v198
.LBB92_78:
	s_or_b64 exec, exec, s[16:17]
.LBB92_79:
	s_andn2_saveexec_b64 s[0:1], s[0:1]
	s_cbranch_execz .LBB92_81
; %bb.80:
	v_mov_b32_e32 v201, 3
	s_waitcnt vmcnt(42)
	ds_write2_b64 v200, v[172:173], v[174:175] offset0:8 offset1:9
	s_waitcnt vmcnt(41)
	ds_write2_b64 v200, v[168:169], v[170:171] offset0:10 offset1:11
	;; [unrolled: 2-line block ×43, first 2 shown]
.LBB92_81:
	s_or_b64 exec, exec, s[0:1]
	v_cmp_lt_i32_e32 vcc, 3, v201
	s_waitcnt lgkmcnt(0)
	s_barrier
	s_and_saveexec_b64 s[0:1], vcc
	s_cbranch_execz .LBB92_83
; %bb.82:
	ds_read2_b64 v[204:207], v200 offset0:8 offset1:9
	v_mul_f64 v[198:199], v[190:191], v[178:179]
	v_mul_f64 v[178:179], v[188:189], v[178:179]
	v_fmac_f64_e32 v[178:179], v[190:191], v[176:177]
	v_fma_f64 v[198:199], v[188:189], v[176:177], -v[198:199]
	ds_read2_b64 v[188:191], v200 offset0:10 offset1:11
	s_waitcnt lgkmcnt(1)
	v_mul_f64 v[176:177], v[206:207], v[178:179]
	v_fma_f64 v[176:177], v[204:205], v[198:199], -v[176:177]
	v_mul_f64 v[204:205], v[204:205], v[178:179]
	v_fmac_f64_e32 v[204:205], v[206:207], v[198:199]
	s_waitcnt vmcnt(42)
	v_add_f64 v[174:175], v[174:175], -v[204:205]
	ds_read2_b64 v[204:207], v200 offset0:12 offset1:13
	v_add_f64 v[172:173], v[172:173], -v[176:177]
	s_waitcnt lgkmcnt(1)
	v_mul_f64 v[176:177], v[190:191], v[178:179]
	v_fma_f64 v[176:177], v[188:189], v[198:199], -v[176:177]
	v_mul_f64 v[188:189], v[188:189], v[178:179]
	v_fmac_f64_e32 v[188:189], v[190:191], v[198:199]
	s_waitcnt vmcnt(41)
	v_add_f64 v[168:169], v[168:169], -v[176:177]
	v_add_f64 v[170:171], v[170:171], -v[188:189]
	ds_read2_b64 v[188:191], v200 offset0:14 offset1:15
	s_waitcnt lgkmcnt(1)
	v_mul_f64 v[176:177], v[206:207], v[178:179]
	v_fma_f64 v[176:177], v[204:205], v[198:199], -v[176:177]
	v_mul_f64 v[204:205], v[204:205], v[178:179]
	v_fmac_f64_e32 v[204:205], v[206:207], v[198:199]
	s_waitcnt vmcnt(40)
	v_add_f64 v[166:167], v[166:167], -v[204:205]
	ds_read2_b64 v[204:207], v200 offset0:16 offset1:17
	v_add_f64 v[164:165], v[164:165], -v[176:177]
	s_waitcnt lgkmcnt(1)
	v_mul_f64 v[176:177], v[190:191], v[178:179]
	v_fma_f64 v[176:177], v[188:189], v[198:199], -v[176:177]
	v_mul_f64 v[188:189], v[188:189], v[178:179]
	v_fmac_f64_e32 v[188:189], v[190:191], v[198:199]
	s_waitcnt vmcnt(39)
	v_add_f64 v[160:161], v[160:161], -v[176:177]
	v_add_f64 v[162:163], v[162:163], -v[188:189]
	;; [unrolled: 18-line block ×21, first 2 shown]
	s_waitcnt lgkmcnt(0)
	v_mul_f64 v[176:177], v[206:207], v[178:179]
	v_mul_f64 v[188:189], v[204:205], v[178:179]
	v_fma_f64 v[176:177], v[204:205], v[198:199], -v[176:177]
	v_fmac_f64_e32 v[188:189], v[206:207], v[198:199]
	s_waitcnt vmcnt(0)
	v_add_f64 v[184:185], v[184:185], -v[176:177]
	v_add_f64 v[186:187], v[186:187], -v[188:189]
	v_mov_b64_e32 v[176:177], v[198:199]
.LBB92_83:
	s_or_b64 exec, exec, s[0:1]
	v_lshl_add_u32 v188, v201, 4, v200
	s_barrier
	s_waitcnt vmcnt(42)
	ds_write2_b64 v188, v[172:173], v[174:175] offset1:1
	s_waitcnt lgkmcnt(0)
	s_barrier
	ds_read2_b64 v[188:191], v200 offset0:8 offset1:9
	s_cmp_lt_i32 s20, 6
	v_mov_b32_e32 v198, 4
	s_cbranch_scc1 .LBB92_86
; %bb.84:
	v_mov_b32_e32 v198, 4
	v_add_u32_e32 v199, 0x50, v200
	s_mov_b32 s16, 5
.LBB92_85:                              ; =>This Inner Loop Header: Depth=1
	ds_read2_b64 v[204:207], v199 offset1:1
	s_waitcnt lgkmcnt(1)
	v_xor_b32_e32 v209, 0x80000000, v189
	v_xor_b32_e32 v211, 0x80000000, v191
	v_cmp_gt_f64_e32 vcc, 0, v[190:191]
	v_cmp_gt_f64_e64 s[0:1], 0, v[188:189]
	v_mov_b32_e32 v208, v188
	v_mov_b32_e32 v210, v190
	v_cndmask_b32_e64 v209, v189, v209, s[0:1]
	v_cndmask_b32_e32 v211, v191, v211, vcc
	v_add_f64 v[208:209], v[208:209], v[210:211]
	s_waitcnt lgkmcnt(0)
	v_xor_b32_e32 v211, 0x80000000, v205
	v_xor_b32_e32 v213, 0x80000000, v207
	v_cmp_gt_f64_e32 vcc, 0, v[206:207]
	v_cmp_gt_f64_e64 s[0:1], 0, v[204:205]
	v_mov_b32_e32 v210, v204
	v_mov_b32_e32 v212, v206
	v_cndmask_b32_e64 v211, v205, v211, s[0:1]
	v_cndmask_b32_e32 v213, v207, v213, vcc
	v_add_f64 v[210:211], v[210:211], v[212:213]
	v_mov_b32_e32 v214, s16
	s_add_i32 s16, s16, 1
	v_cmp_lt_f64_e32 vcc, v[208:209], v[210:211]
	v_add_u32_e32 v199, 16, v199
	s_cmp_lg_u32 s20, s16
	v_cndmask_b32_e32 v189, v189, v205, vcc
	v_cndmask_b32_e32 v188, v188, v204, vcc
	;; [unrolled: 1-line block ×5, first 2 shown]
	s_cbranch_scc1 .LBB92_85
.LBB92_86:
	s_waitcnt lgkmcnt(0)
	v_cmp_eq_f64_e32 vcc, 0, v[188:189]
	v_cmp_eq_f64_e64 s[0:1], 0, v[190:191]
	s_and_b64 s[0:1], vcc, s[0:1]
	s_and_saveexec_b64 s[16:17], s[0:1]
	s_xor_b64 s[0:1], exec, s[16:17]
; %bb.87:
	v_cmp_ne_u32_e32 vcc, 0, v202
	s_nop 1
	v_cndmask_b32_e32 v202, 5, v202, vcc
; %bb.88:
	s_andn2_saveexec_b64 s[0:1], s[0:1]
	s_cbranch_execz .LBB92_94
; %bb.89:
	v_cmp_ngt_f64_e64 s[16:17], |v[188:189]|, |v[190:191]|
	s_and_saveexec_b64 s[18:19], s[16:17]
	s_xor_b64 s[16:17], exec, s[18:19]
	s_cbranch_execz .LBB92_91
; %bb.90:
	v_div_scale_f64 v[204:205], s[18:19], v[190:191], v[190:191], v[188:189]
	v_rcp_f64_e32 v[206:207], v[204:205]
	v_div_scale_f64 v[208:209], vcc, v[188:189], v[190:191], v[188:189]
	v_fma_f64 v[210:211], -v[204:205], v[206:207], 1.0
	v_fmac_f64_e32 v[206:207], v[206:207], v[210:211]
	v_fma_f64 v[210:211], -v[204:205], v[206:207], 1.0
	v_fmac_f64_e32 v[206:207], v[206:207], v[210:211]
	v_mul_f64 v[210:211], v[208:209], v[206:207]
	v_fma_f64 v[204:205], -v[204:205], v[210:211], v[208:209]
	v_div_fmas_f64 v[204:205], v[204:205], v[206:207], v[210:211]
	v_div_fixup_f64 v[204:205], v[204:205], v[190:191], v[188:189]
	v_fmac_f64_e32 v[190:191], v[188:189], v[204:205]
	v_div_scale_f64 v[188:189], s[18:19], v[190:191], v[190:191], 1.0
	v_rcp_f64_e32 v[206:207], v[188:189]
	s_nop 0
	v_fma_f64 v[208:209], -v[188:189], v[206:207], 1.0
	v_fmac_f64_e32 v[206:207], v[206:207], v[208:209]
	v_fma_f64 v[208:209], -v[188:189], v[206:207], 1.0
	v_fmac_f64_e32 v[206:207], v[206:207], v[208:209]
	v_div_scale_f64 v[208:209], vcc, 1.0, v[190:191], 1.0
	v_mul_f64 v[210:211], v[208:209], v[206:207]
	v_fma_f64 v[188:189], -v[188:189], v[210:211], v[208:209]
	s_nop 1
	v_div_fmas_f64 v[188:189], v[188:189], v[206:207], v[210:211]
	v_div_fixup_f64 v[190:191], v[188:189], v[190:191], 1.0
	v_mul_f64 v[188:189], v[204:205], v[190:191]
	v_xor_b32_e32 v191, 0x80000000, v191
.LBB92_91:
	s_andn2_saveexec_b64 s[16:17], s[16:17]
	s_cbranch_execz .LBB92_93
; %bb.92:
	v_div_scale_f64 v[204:205], s[18:19], v[188:189], v[188:189], v[190:191]
	v_rcp_f64_e32 v[206:207], v[204:205]
	v_div_scale_f64 v[208:209], vcc, v[190:191], v[188:189], v[190:191]
	v_fma_f64 v[210:211], -v[204:205], v[206:207], 1.0
	v_fmac_f64_e32 v[206:207], v[206:207], v[210:211]
	v_fma_f64 v[210:211], -v[204:205], v[206:207], 1.0
	v_fmac_f64_e32 v[206:207], v[206:207], v[210:211]
	v_mul_f64 v[210:211], v[208:209], v[206:207]
	v_fma_f64 v[204:205], -v[204:205], v[210:211], v[208:209]
	v_div_fmas_f64 v[204:205], v[204:205], v[206:207], v[210:211]
	v_div_fixup_f64 v[204:205], v[204:205], v[188:189], v[190:191]
	v_fmac_f64_e32 v[188:189], v[190:191], v[204:205]
	v_div_scale_f64 v[190:191], s[18:19], v[188:189], v[188:189], 1.0
	v_rcp_f64_e32 v[206:207], v[190:191]
	s_nop 0
	v_fma_f64 v[208:209], -v[190:191], v[206:207], 1.0
	v_fmac_f64_e32 v[206:207], v[206:207], v[208:209]
	v_fma_f64 v[208:209], -v[190:191], v[206:207], 1.0
	v_fmac_f64_e32 v[206:207], v[206:207], v[208:209]
	v_div_scale_f64 v[208:209], vcc, 1.0, v[188:189], 1.0
	v_mul_f64 v[210:211], v[208:209], v[206:207]
	v_fma_f64 v[190:191], -v[190:191], v[210:211], v[208:209]
	s_nop 1
	v_div_fmas_f64 v[190:191], v[190:191], v[206:207], v[210:211]
	v_div_fixup_f64 v[188:189], v[190:191], v[188:189], 1.0
	v_mul_f64 v[190:191], v[204:205], -v[188:189]
.LBB92_93:
	s_or_b64 exec, exec, s[16:17]
.LBB92_94:
	s_or_b64 exec, exec, s[0:1]
	v_cmp_ne_u32_e32 vcc, v201, v198
	s_and_saveexec_b64 s[0:1], vcc
	s_xor_b64 s[0:1], exec, s[0:1]
	s_cbranch_execz .LBB92_100
; %bb.95:
	v_cmp_eq_u32_e32 vcc, 4, v201
	s_and_saveexec_b64 s[16:17], vcc
	s_cbranch_execz .LBB92_99
; %bb.96:
	v_cmp_ne_u32_e32 vcc, 4, v198
	s_xor_b64 s[18:19], s[14:15], -1
	s_and_b64 s[22:23], s[18:19], vcc
	s_and_saveexec_b64 s[18:19], s[22:23]
	s_cbranch_execz .LBB92_98
; %bb.97:
	v_ashrrev_i32_e32 v199, 31, v198
	v_lshl_add_u64 v[204:205], v[198:199], 2, v[196:197]
	global_load_dword v199, v[204:205], off
	global_load_dword v201, v[196:197], off offset:16
	s_waitcnt vmcnt(1)
	global_store_dword v[196:197], v199, off offset:16
	s_waitcnt vmcnt(1)
	global_store_dword v[204:205], v201, off
.LBB92_98:
	s_or_b64 exec, exec, s[18:19]
	v_mov_b32_e32 v201, v198
	v_mov_b32_e32 v203, v198
.LBB92_99:
	s_or_b64 exec, exec, s[16:17]
.LBB92_100:
	s_andn2_saveexec_b64 s[0:1], s[0:1]
	s_cbranch_execz .LBB92_102
; %bb.101:
	v_mov_b32_e32 v201, 4
	s_waitcnt vmcnt(41)
	ds_write2_b64 v200, v[168:169], v[170:171] offset0:10 offset1:11
	s_waitcnt vmcnt(40)
	ds_write2_b64 v200, v[164:165], v[166:167] offset0:12 offset1:13
	;; [unrolled: 2-line block ×42, first 2 shown]
.LBB92_102:
	s_or_b64 exec, exec, s[0:1]
	v_cmp_lt_i32_e32 vcc, 4, v201
	s_waitcnt lgkmcnt(0)
	s_barrier
	s_and_saveexec_b64 s[0:1], vcc
	s_cbranch_execz .LBB92_104
; %bb.103:
	ds_read2_b64 v[204:207], v200 offset0:10 offset1:11
	v_mul_f64 v[198:199], v[190:191], v[174:175]
	v_mul_f64 v[174:175], v[188:189], v[174:175]
	v_fma_f64 v[198:199], v[188:189], v[172:173], -v[198:199]
	v_fmac_f64_e32 v[174:175], v[190:191], v[172:173]
	ds_read2_b64 v[188:191], v200 offset0:12 offset1:13
	s_waitcnt lgkmcnt(1)
	v_mul_f64 v[172:173], v[206:207], v[174:175]
	v_fma_f64 v[172:173], v[204:205], v[198:199], -v[172:173]
	v_mul_f64 v[204:205], v[204:205], v[174:175]
	v_fmac_f64_e32 v[204:205], v[206:207], v[198:199]
	s_waitcnt vmcnt(41)
	v_add_f64 v[168:169], v[168:169], -v[172:173]
	s_waitcnt lgkmcnt(0)
	v_mul_f64 v[172:173], v[190:191], v[174:175]
	v_add_f64 v[170:171], v[170:171], -v[204:205]
	v_fma_f64 v[172:173], v[188:189], v[198:199], -v[172:173]
	v_mul_f64 v[188:189], v[188:189], v[174:175]
	ds_read2_b64 v[204:207], v200 offset0:14 offset1:15
	v_fmac_f64_e32 v[188:189], v[190:191], v[198:199]
	s_waitcnt vmcnt(40)
	v_add_f64 v[166:167], v[166:167], -v[188:189]
	ds_read2_b64 v[188:191], v200 offset0:16 offset1:17
	v_add_f64 v[164:165], v[164:165], -v[172:173]
	s_waitcnt lgkmcnt(1)
	v_mul_f64 v[172:173], v[206:207], v[174:175]
	v_fma_f64 v[172:173], v[204:205], v[198:199], -v[172:173]
	v_mul_f64 v[204:205], v[204:205], v[174:175]
	v_fmac_f64_e32 v[204:205], v[206:207], v[198:199]
	s_waitcnt vmcnt(39)
	v_add_f64 v[160:161], v[160:161], -v[172:173]
	s_waitcnt lgkmcnt(0)
	v_mul_f64 v[172:173], v[190:191], v[174:175]
	v_add_f64 v[162:163], v[162:163], -v[204:205]
	v_fma_f64 v[172:173], v[188:189], v[198:199], -v[172:173]
	v_mul_f64 v[188:189], v[188:189], v[174:175]
	ds_read2_b64 v[204:207], v200 offset0:18 offset1:19
	v_fmac_f64_e32 v[188:189], v[190:191], v[198:199]
	s_waitcnt vmcnt(38)
	v_add_f64 v[158:159], v[158:159], -v[188:189]
	ds_read2_b64 v[188:191], v200 offset0:20 offset1:21
	v_add_f64 v[156:157], v[156:157], -v[172:173]
	;; [unrolled: 18-line block ×20, first 2 shown]
	s_waitcnt lgkmcnt(1)
	v_mul_f64 v[172:173], v[206:207], v[174:175]
	v_fma_f64 v[172:173], v[204:205], v[198:199], -v[172:173]
	s_waitcnt vmcnt(1)
	v_add_f64 v[0:1], v[0:1], -v[172:173]
	s_waitcnt lgkmcnt(0)
	v_mul_f64 v[172:173], v[190:191], v[174:175]
	v_mul_f64 v[204:205], v[204:205], v[174:175]
	v_fma_f64 v[172:173], v[188:189], v[198:199], -v[172:173]
	v_mul_f64 v[188:189], v[188:189], v[174:175]
	v_fmac_f64_e32 v[204:205], v[206:207], v[198:199]
	v_fmac_f64_e32 v[188:189], v[190:191], v[198:199]
	v_add_f64 v[2:3], v[2:3], -v[204:205]
	s_waitcnt vmcnt(0)
	v_add_f64 v[184:185], v[184:185], -v[172:173]
	v_add_f64 v[186:187], v[186:187], -v[188:189]
	v_mov_b64_e32 v[172:173], v[198:199]
.LBB92_104:
	s_or_b64 exec, exec, s[0:1]
	v_lshl_add_u32 v188, v201, 4, v200
	s_barrier
	s_waitcnt vmcnt(41)
	ds_write2_b64 v188, v[168:169], v[170:171] offset1:1
	s_waitcnt lgkmcnt(0)
	s_barrier
	ds_read2_b64 v[188:191], v200 offset0:10 offset1:11
	s_cmp_lt_i32 s20, 7
	v_mov_b32_e32 v198, 5
	s_cbranch_scc1 .LBB92_107
; %bb.105:
	v_add_u32_e32 v199, 0x60, v200
	s_mov_b32 s16, 6
	v_mov_b32_e32 v198, 5
.LBB92_106:                             ; =>This Inner Loop Header: Depth=1
	ds_read2_b64 v[204:207], v199 offset1:1
	s_waitcnt lgkmcnt(1)
	v_xor_b32_e32 v209, 0x80000000, v189
	v_xor_b32_e32 v211, 0x80000000, v191
	v_cmp_gt_f64_e32 vcc, 0, v[190:191]
	v_cmp_gt_f64_e64 s[0:1], 0, v[188:189]
	v_mov_b32_e32 v208, v188
	v_mov_b32_e32 v210, v190
	v_cndmask_b32_e64 v209, v189, v209, s[0:1]
	v_cndmask_b32_e32 v211, v191, v211, vcc
	v_add_f64 v[208:209], v[208:209], v[210:211]
	s_waitcnt lgkmcnt(0)
	v_xor_b32_e32 v211, 0x80000000, v205
	v_xor_b32_e32 v213, 0x80000000, v207
	v_cmp_gt_f64_e32 vcc, 0, v[206:207]
	v_cmp_gt_f64_e64 s[0:1], 0, v[204:205]
	v_mov_b32_e32 v210, v204
	v_mov_b32_e32 v212, v206
	v_cndmask_b32_e64 v211, v205, v211, s[0:1]
	v_cndmask_b32_e32 v213, v207, v213, vcc
	v_add_f64 v[210:211], v[210:211], v[212:213]
	v_mov_b32_e32 v214, s16
	s_add_i32 s16, s16, 1
	v_cmp_lt_f64_e32 vcc, v[208:209], v[210:211]
	v_add_u32_e32 v199, 16, v199
	s_cmp_lg_u32 s20, s16
	v_cndmask_b32_e32 v189, v189, v205, vcc
	v_cndmask_b32_e32 v188, v188, v204, vcc
	;; [unrolled: 1-line block ×5, first 2 shown]
	s_cbranch_scc1 .LBB92_106
.LBB92_107:
	s_waitcnt lgkmcnt(0)
	v_cmp_eq_f64_e32 vcc, 0, v[188:189]
	v_cmp_eq_f64_e64 s[0:1], 0, v[190:191]
	s_and_b64 s[0:1], vcc, s[0:1]
	s_and_saveexec_b64 s[16:17], s[0:1]
	s_xor_b64 s[0:1], exec, s[16:17]
; %bb.108:
	v_cmp_ne_u32_e32 vcc, 0, v202
	s_nop 1
	v_cndmask_b32_e32 v202, 6, v202, vcc
; %bb.109:
	s_andn2_saveexec_b64 s[0:1], s[0:1]
	s_cbranch_execz .LBB92_115
; %bb.110:
	v_cmp_ngt_f64_e64 s[16:17], |v[188:189]|, |v[190:191]|
	s_and_saveexec_b64 s[18:19], s[16:17]
	s_xor_b64 s[16:17], exec, s[18:19]
	s_cbranch_execz .LBB92_112
; %bb.111:
	v_div_scale_f64 v[204:205], s[18:19], v[190:191], v[190:191], v[188:189]
	v_rcp_f64_e32 v[206:207], v[204:205]
	v_div_scale_f64 v[208:209], vcc, v[188:189], v[190:191], v[188:189]
	v_fma_f64 v[210:211], -v[204:205], v[206:207], 1.0
	v_fmac_f64_e32 v[206:207], v[206:207], v[210:211]
	v_fma_f64 v[210:211], -v[204:205], v[206:207], 1.0
	v_fmac_f64_e32 v[206:207], v[206:207], v[210:211]
	v_mul_f64 v[210:211], v[208:209], v[206:207]
	v_fma_f64 v[204:205], -v[204:205], v[210:211], v[208:209]
	v_div_fmas_f64 v[204:205], v[204:205], v[206:207], v[210:211]
	v_div_fixup_f64 v[204:205], v[204:205], v[190:191], v[188:189]
	v_fmac_f64_e32 v[190:191], v[188:189], v[204:205]
	v_div_scale_f64 v[188:189], s[18:19], v[190:191], v[190:191], 1.0
	v_rcp_f64_e32 v[206:207], v[188:189]
	s_nop 0
	v_fma_f64 v[208:209], -v[188:189], v[206:207], 1.0
	v_fmac_f64_e32 v[206:207], v[206:207], v[208:209]
	v_fma_f64 v[208:209], -v[188:189], v[206:207], 1.0
	v_fmac_f64_e32 v[206:207], v[206:207], v[208:209]
	v_div_scale_f64 v[208:209], vcc, 1.0, v[190:191], 1.0
	v_mul_f64 v[210:211], v[208:209], v[206:207]
	v_fma_f64 v[188:189], -v[188:189], v[210:211], v[208:209]
	s_nop 1
	v_div_fmas_f64 v[188:189], v[188:189], v[206:207], v[210:211]
	v_div_fixup_f64 v[190:191], v[188:189], v[190:191], 1.0
	v_mul_f64 v[188:189], v[204:205], v[190:191]
	v_xor_b32_e32 v191, 0x80000000, v191
.LBB92_112:
	s_andn2_saveexec_b64 s[16:17], s[16:17]
	s_cbranch_execz .LBB92_114
; %bb.113:
	v_div_scale_f64 v[204:205], s[18:19], v[188:189], v[188:189], v[190:191]
	v_rcp_f64_e32 v[206:207], v[204:205]
	v_div_scale_f64 v[208:209], vcc, v[190:191], v[188:189], v[190:191]
	v_fma_f64 v[210:211], -v[204:205], v[206:207], 1.0
	v_fmac_f64_e32 v[206:207], v[206:207], v[210:211]
	v_fma_f64 v[210:211], -v[204:205], v[206:207], 1.0
	v_fmac_f64_e32 v[206:207], v[206:207], v[210:211]
	v_mul_f64 v[210:211], v[208:209], v[206:207]
	v_fma_f64 v[204:205], -v[204:205], v[210:211], v[208:209]
	v_div_fmas_f64 v[204:205], v[204:205], v[206:207], v[210:211]
	v_div_fixup_f64 v[204:205], v[204:205], v[188:189], v[190:191]
	v_fmac_f64_e32 v[188:189], v[190:191], v[204:205]
	v_div_scale_f64 v[190:191], s[18:19], v[188:189], v[188:189], 1.0
	v_rcp_f64_e32 v[206:207], v[190:191]
	s_nop 0
	v_fma_f64 v[208:209], -v[190:191], v[206:207], 1.0
	v_fmac_f64_e32 v[206:207], v[206:207], v[208:209]
	v_fma_f64 v[208:209], -v[190:191], v[206:207], 1.0
	v_fmac_f64_e32 v[206:207], v[206:207], v[208:209]
	v_div_scale_f64 v[208:209], vcc, 1.0, v[188:189], 1.0
	v_mul_f64 v[210:211], v[208:209], v[206:207]
	v_fma_f64 v[190:191], -v[190:191], v[210:211], v[208:209]
	s_nop 1
	v_div_fmas_f64 v[190:191], v[190:191], v[206:207], v[210:211]
	v_div_fixup_f64 v[188:189], v[190:191], v[188:189], 1.0
	v_mul_f64 v[190:191], v[204:205], -v[188:189]
.LBB92_114:
	s_or_b64 exec, exec, s[16:17]
.LBB92_115:
	s_or_b64 exec, exec, s[0:1]
	v_cmp_ne_u32_e32 vcc, v201, v198
	s_and_saveexec_b64 s[0:1], vcc
	s_xor_b64 s[0:1], exec, s[0:1]
	s_cbranch_execz .LBB92_121
; %bb.116:
	v_cmp_eq_u32_e32 vcc, 5, v201
	s_and_saveexec_b64 s[16:17], vcc
	s_cbranch_execz .LBB92_120
; %bb.117:
	v_cmp_ne_u32_e32 vcc, 5, v198
	s_xor_b64 s[18:19], s[14:15], -1
	s_and_b64 s[22:23], s[18:19], vcc
	s_and_saveexec_b64 s[18:19], s[22:23]
	s_cbranch_execz .LBB92_119
; %bb.118:
	v_ashrrev_i32_e32 v199, 31, v198
	v_lshl_add_u64 v[204:205], v[198:199], 2, v[196:197]
	global_load_dword v199, v[204:205], off
	global_load_dword v201, v[196:197], off offset:20
	s_waitcnt vmcnt(1)
	global_store_dword v[196:197], v199, off offset:20
	s_waitcnt vmcnt(1)
	global_store_dword v[204:205], v201, off
.LBB92_119:
	s_or_b64 exec, exec, s[18:19]
	v_mov_b32_e32 v201, v198
	v_mov_b32_e32 v203, v198
.LBB92_120:
	s_or_b64 exec, exec, s[16:17]
.LBB92_121:
	s_andn2_saveexec_b64 s[0:1], s[0:1]
	s_cbranch_execz .LBB92_123
; %bb.122:
	v_mov_b32_e32 v201, 5
	s_waitcnt vmcnt(40)
	ds_write2_b64 v200, v[164:165], v[166:167] offset0:12 offset1:13
	s_waitcnt vmcnt(39)
	ds_write2_b64 v200, v[160:161], v[162:163] offset0:14 offset1:15
	;; [unrolled: 2-line block ×41, first 2 shown]
.LBB92_123:
	s_or_b64 exec, exec, s[0:1]
	v_cmp_lt_i32_e32 vcc, 5, v201
	s_waitcnt lgkmcnt(0)
	s_barrier
	s_and_saveexec_b64 s[0:1], vcc
	s_cbranch_execz .LBB92_125
; %bb.124:
	ds_read2_b64 v[204:207], v200 offset0:12 offset1:13
	v_mul_f64 v[198:199], v[190:191], v[170:171]
	v_mul_f64 v[170:171], v[188:189], v[170:171]
	v_fmac_f64_e32 v[170:171], v[190:191], v[168:169]
	v_fma_f64 v[198:199], v[188:189], v[168:169], -v[198:199]
	ds_read2_b64 v[188:191], v200 offset0:14 offset1:15
	s_waitcnt lgkmcnt(1)
	v_mul_f64 v[168:169], v[206:207], v[170:171]
	v_fma_f64 v[168:169], v[204:205], v[198:199], -v[168:169]
	v_mul_f64 v[204:205], v[204:205], v[170:171]
	v_fmac_f64_e32 v[204:205], v[206:207], v[198:199]
	s_waitcnt vmcnt(40)
	v_add_f64 v[166:167], v[166:167], -v[204:205]
	ds_read2_b64 v[204:207], v200 offset0:16 offset1:17
	v_add_f64 v[164:165], v[164:165], -v[168:169]
	s_waitcnt lgkmcnt(1)
	v_mul_f64 v[168:169], v[190:191], v[170:171]
	v_fma_f64 v[168:169], v[188:189], v[198:199], -v[168:169]
	v_mul_f64 v[188:189], v[188:189], v[170:171]
	v_fmac_f64_e32 v[188:189], v[190:191], v[198:199]
	s_waitcnt vmcnt(39)
	v_add_f64 v[160:161], v[160:161], -v[168:169]
	v_add_f64 v[162:163], v[162:163], -v[188:189]
	ds_read2_b64 v[188:191], v200 offset0:18 offset1:19
	s_waitcnt lgkmcnt(1)
	v_mul_f64 v[168:169], v[206:207], v[170:171]
	v_fma_f64 v[168:169], v[204:205], v[198:199], -v[168:169]
	v_mul_f64 v[204:205], v[204:205], v[170:171]
	v_fmac_f64_e32 v[204:205], v[206:207], v[198:199]
	s_waitcnt vmcnt(38)
	v_add_f64 v[158:159], v[158:159], -v[204:205]
	ds_read2_b64 v[204:207], v200 offset0:20 offset1:21
	v_add_f64 v[156:157], v[156:157], -v[168:169]
	s_waitcnt lgkmcnt(1)
	v_mul_f64 v[168:169], v[190:191], v[170:171]
	v_fma_f64 v[168:169], v[188:189], v[198:199], -v[168:169]
	v_mul_f64 v[188:189], v[188:189], v[170:171]
	v_fmac_f64_e32 v[188:189], v[190:191], v[198:199]
	s_waitcnt vmcnt(37)
	v_add_f64 v[152:153], v[152:153], -v[168:169]
	v_add_f64 v[154:155], v[154:155], -v[188:189]
	;; [unrolled: 18-line block ×20, first 2 shown]
	s_waitcnt lgkmcnt(0)
	v_mul_f64 v[168:169], v[206:207], v[170:171]
	v_mul_f64 v[188:189], v[204:205], v[170:171]
	v_fma_f64 v[168:169], v[204:205], v[198:199], -v[168:169]
	v_fmac_f64_e32 v[188:189], v[206:207], v[198:199]
	s_waitcnt vmcnt(0)
	v_add_f64 v[184:185], v[184:185], -v[168:169]
	v_add_f64 v[186:187], v[186:187], -v[188:189]
	v_mov_b64_e32 v[168:169], v[198:199]
.LBB92_125:
	s_or_b64 exec, exec, s[0:1]
	v_lshl_add_u32 v188, v201, 4, v200
	s_barrier
	s_waitcnt vmcnt(40)
	ds_write2_b64 v188, v[164:165], v[166:167] offset1:1
	s_waitcnt lgkmcnt(0)
	s_barrier
	ds_read2_b64 v[188:191], v200 offset0:12 offset1:13
	s_cmp_lt_i32 s20, 8
	v_mov_b32_e32 v198, 6
	s_cbranch_scc1 .LBB92_128
; %bb.126:
	v_add_u32_e32 v199, 0x70, v200
	s_mov_b32 s16, 7
	v_mov_b32_e32 v198, 6
.LBB92_127:                             ; =>This Inner Loop Header: Depth=1
	ds_read2_b64 v[204:207], v199 offset1:1
	s_waitcnt lgkmcnt(1)
	v_xor_b32_e32 v209, 0x80000000, v189
	v_xor_b32_e32 v211, 0x80000000, v191
	v_cmp_gt_f64_e32 vcc, 0, v[190:191]
	v_cmp_gt_f64_e64 s[0:1], 0, v[188:189]
	v_mov_b32_e32 v208, v188
	v_mov_b32_e32 v210, v190
	v_cndmask_b32_e64 v209, v189, v209, s[0:1]
	v_cndmask_b32_e32 v211, v191, v211, vcc
	v_add_f64 v[208:209], v[208:209], v[210:211]
	s_waitcnt lgkmcnt(0)
	v_xor_b32_e32 v211, 0x80000000, v205
	v_xor_b32_e32 v213, 0x80000000, v207
	v_cmp_gt_f64_e32 vcc, 0, v[206:207]
	v_cmp_gt_f64_e64 s[0:1], 0, v[204:205]
	v_mov_b32_e32 v210, v204
	v_mov_b32_e32 v212, v206
	v_cndmask_b32_e64 v211, v205, v211, s[0:1]
	v_cndmask_b32_e32 v213, v207, v213, vcc
	v_add_f64 v[210:211], v[210:211], v[212:213]
	v_mov_b32_e32 v214, s16
	s_add_i32 s16, s16, 1
	v_cmp_lt_f64_e32 vcc, v[208:209], v[210:211]
	v_add_u32_e32 v199, 16, v199
	s_cmp_lg_u32 s20, s16
	v_cndmask_b32_e32 v189, v189, v205, vcc
	v_cndmask_b32_e32 v188, v188, v204, vcc
	;; [unrolled: 1-line block ×5, first 2 shown]
	s_cbranch_scc1 .LBB92_127
.LBB92_128:
	s_waitcnt lgkmcnt(0)
	v_cmp_eq_f64_e32 vcc, 0, v[188:189]
	v_cmp_eq_f64_e64 s[0:1], 0, v[190:191]
	s_and_b64 s[0:1], vcc, s[0:1]
	s_and_saveexec_b64 s[16:17], s[0:1]
	s_xor_b64 s[0:1], exec, s[16:17]
; %bb.129:
	v_cmp_ne_u32_e32 vcc, 0, v202
	s_nop 1
	v_cndmask_b32_e32 v202, 7, v202, vcc
; %bb.130:
	s_andn2_saveexec_b64 s[0:1], s[0:1]
	s_cbranch_execz .LBB92_136
; %bb.131:
	v_cmp_ngt_f64_e64 s[16:17], |v[188:189]|, |v[190:191]|
	s_and_saveexec_b64 s[18:19], s[16:17]
	s_xor_b64 s[16:17], exec, s[18:19]
	s_cbranch_execz .LBB92_133
; %bb.132:
	v_div_scale_f64 v[204:205], s[18:19], v[190:191], v[190:191], v[188:189]
	v_rcp_f64_e32 v[206:207], v[204:205]
	v_div_scale_f64 v[208:209], vcc, v[188:189], v[190:191], v[188:189]
	v_fma_f64 v[210:211], -v[204:205], v[206:207], 1.0
	v_fmac_f64_e32 v[206:207], v[206:207], v[210:211]
	v_fma_f64 v[210:211], -v[204:205], v[206:207], 1.0
	v_fmac_f64_e32 v[206:207], v[206:207], v[210:211]
	v_mul_f64 v[210:211], v[208:209], v[206:207]
	v_fma_f64 v[204:205], -v[204:205], v[210:211], v[208:209]
	v_div_fmas_f64 v[204:205], v[204:205], v[206:207], v[210:211]
	v_div_fixup_f64 v[204:205], v[204:205], v[190:191], v[188:189]
	v_fmac_f64_e32 v[190:191], v[188:189], v[204:205]
	v_div_scale_f64 v[188:189], s[18:19], v[190:191], v[190:191], 1.0
	v_rcp_f64_e32 v[206:207], v[188:189]
	s_nop 0
	v_fma_f64 v[208:209], -v[188:189], v[206:207], 1.0
	v_fmac_f64_e32 v[206:207], v[206:207], v[208:209]
	v_fma_f64 v[208:209], -v[188:189], v[206:207], 1.0
	v_fmac_f64_e32 v[206:207], v[206:207], v[208:209]
	v_div_scale_f64 v[208:209], vcc, 1.0, v[190:191], 1.0
	v_mul_f64 v[210:211], v[208:209], v[206:207]
	v_fma_f64 v[188:189], -v[188:189], v[210:211], v[208:209]
	s_nop 1
	v_div_fmas_f64 v[188:189], v[188:189], v[206:207], v[210:211]
	v_div_fixup_f64 v[190:191], v[188:189], v[190:191], 1.0
	v_mul_f64 v[188:189], v[204:205], v[190:191]
	v_xor_b32_e32 v191, 0x80000000, v191
.LBB92_133:
	s_andn2_saveexec_b64 s[16:17], s[16:17]
	s_cbranch_execz .LBB92_135
; %bb.134:
	v_div_scale_f64 v[204:205], s[18:19], v[188:189], v[188:189], v[190:191]
	v_rcp_f64_e32 v[206:207], v[204:205]
	v_div_scale_f64 v[208:209], vcc, v[190:191], v[188:189], v[190:191]
	v_fma_f64 v[210:211], -v[204:205], v[206:207], 1.0
	v_fmac_f64_e32 v[206:207], v[206:207], v[210:211]
	v_fma_f64 v[210:211], -v[204:205], v[206:207], 1.0
	v_fmac_f64_e32 v[206:207], v[206:207], v[210:211]
	v_mul_f64 v[210:211], v[208:209], v[206:207]
	v_fma_f64 v[204:205], -v[204:205], v[210:211], v[208:209]
	v_div_fmas_f64 v[204:205], v[204:205], v[206:207], v[210:211]
	v_div_fixup_f64 v[204:205], v[204:205], v[188:189], v[190:191]
	v_fmac_f64_e32 v[188:189], v[190:191], v[204:205]
	v_div_scale_f64 v[190:191], s[18:19], v[188:189], v[188:189], 1.0
	v_rcp_f64_e32 v[206:207], v[190:191]
	s_nop 0
	v_fma_f64 v[208:209], -v[190:191], v[206:207], 1.0
	v_fmac_f64_e32 v[206:207], v[206:207], v[208:209]
	v_fma_f64 v[208:209], -v[190:191], v[206:207], 1.0
	v_fmac_f64_e32 v[206:207], v[206:207], v[208:209]
	v_div_scale_f64 v[208:209], vcc, 1.0, v[188:189], 1.0
	v_mul_f64 v[210:211], v[208:209], v[206:207]
	v_fma_f64 v[190:191], -v[190:191], v[210:211], v[208:209]
	s_nop 1
	v_div_fmas_f64 v[190:191], v[190:191], v[206:207], v[210:211]
	v_div_fixup_f64 v[188:189], v[190:191], v[188:189], 1.0
	v_mul_f64 v[190:191], v[204:205], -v[188:189]
.LBB92_135:
	s_or_b64 exec, exec, s[16:17]
.LBB92_136:
	s_or_b64 exec, exec, s[0:1]
	v_cmp_ne_u32_e32 vcc, v201, v198
	s_and_saveexec_b64 s[0:1], vcc
	s_xor_b64 s[0:1], exec, s[0:1]
	s_cbranch_execz .LBB92_142
; %bb.137:
	v_cmp_eq_u32_e32 vcc, 6, v201
	s_and_saveexec_b64 s[16:17], vcc
	s_cbranch_execz .LBB92_141
; %bb.138:
	v_cmp_ne_u32_e32 vcc, 6, v198
	s_xor_b64 s[18:19], s[14:15], -1
	s_and_b64 s[22:23], s[18:19], vcc
	s_and_saveexec_b64 s[18:19], s[22:23]
	s_cbranch_execz .LBB92_140
; %bb.139:
	v_ashrrev_i32_e32 v199, 31, v198
	v_lshl_add_u64 v[204:205], v[198:199], 2, v[196:197]
	global_load_dword v199, v[204:205], off
	global_load_dword v201, v[196:197], off offset:24
	s_waitcnt vmcnt(1)
	global_store_dword v[196:197], v199, off offset:24
	s_waitcnt vmcnt(1)
	global_store_dword v[204:205], v201, off
.LBB92_140:
	s_or_b64 exec, exec, s[18:19]
	v_mov_b32_e32 v201, v198
	v_mov_b32_e32 v203, v198
.LBB92_141:
	s_or_b64 exec, exec, s[16:17]
.LBB92_142:
	s_andn2_saveexec_b64 s[0:1], s[0:1]
	s_cbranch_execz .LBB92_144
; %bb.143:
	v_mov_b32_e32 v201, 6
	s_waitcnt vmcnt(39)
	ds_write2_b64 v200, v[160:161], v[162:163] offset0:14 offset1:15
	s_waitcnt vmcnt(38)
	ds_write2_b64 v200, v[156:157], v[158:159] offset0:16 offset1:17
	s_waitcnt vmcnt(37)
	ds_write2_b64 v200, v[152:153], v[154:155] offset0:18 offset1:19
	s_waitcnt vmcnt(36)
	ds_write2_b64 v200, v[148:149], v[150:151] offset0:20 offset1:21
	s_waitcnt vmcnt(35)
	ds_write2_b64 v200, v[144:145], v[146:147] offset0:22 offset1:23
	s_waitcnt vmcnt(34)
	ds_write2_b64 v200, v[140:141], v[142:143] offset0:24 offset1:25
	s_waitcnt vmcnt(33)
	ds_write2_b64 v200, v[136:137], v[138:139] offset0:26 offset1:27
	s_waitcnt vmcnt(32)
	ds_write2_b64 v200, v[132:133], v[134:135] offset0:28 offset1:29
	s_waitcnt vmcnt(31)
	ds_write2_b64 v200, v[128:129], v[130:131] offset0:30 offset1:31
	s_waitcnt vmcnt(30)
	ds_write2_b64 v200, v[116:117], v[118:119] offset0:32 offset1:33
	s_waitcnt vmcnt(29)
	ds_write2_b64 v200, v[112:113], v[114:115] offset0:34 offset1:35
	s_waitcnt vmcnt(28)
	ds_write2_b64 v200, v[108:109], v[110:111] offset0:36 offset1:37
	s_waitcnt vmcnt(27)
	ds_write2_b64 v200, v[104:105], v[106:107] offset0:38 offset1:39
	s_waitcnt vmcnt(26)
	ds_write2_b64 v200, v[100:101], v[102:103] offset0:40 offset1:41
	s_waitcnt vmcnt(25)
	ds_write2_b64 v200, v[96:97], v[98:99] offset0:42 offset1:43
	s_waitcnt vmcnt(24)
	ds_write2_b64 v200, v[92:93], v[94:95] offset0:44 offset1:45
	s_waitcnt vmcnt(23)
	ds_write2_b64 v200, v[88:89], v[90:91] offset0:46 offset1:47
	s_waitcnt vmcnt(22)
	ds_write2_b64 v200, v[84:85], v[86:87] offset0:48 offset1:49
	s_waitcnt vmcnt(21)
	ds_write2_b64 v200, v[80:81], v[82:83] offset0:50 offset1:51
	s_waitcnt vmcnt(20)
	ds_write2_b64 v200, v[76:77], v[78:79] offset0:52 offset1:53
	s_waitcnt vmcnt(19)
	ds_write2_b64 v200, v[72:73], v[74:75] offset0:54 offset1:55
	s_waitcnt vmcnt(18)
	ds_write2_b64 v200, v[68:69], v[70:71] offset0:56 offset1:57
	s_waitcnt vmcnt(17)
	ds_write2_b64 v200, v[64:65], v[66:67] offset0:58 offset1:59
	s_waitcnt vmcnt(16)
	ds_write2_b64 v200, v[60:61], v[62:63] offset0:60 offset1:61
	s_waitcnt vmcnt(15)
	ds_write2_b64 v200, v[56:57], v[58:59] offset0:62 offset1:63
	s_waitcnt vmcnt(14)
	ds_write2_b64 v200, v[52:53], v[54:55] offset0:64 offset1:65
	s_waitcnt vmcnt(13)
	ds_write2_b64 v200, v[48:49], v[50:51] offset0:66 offset1:67
	s_waitcnt vmcnt(12)
	ds_write2_b64 v200, v[44:45], v[46:47] offset0:68 offset1:69
	s_waitcnt vmcnt(11)
	ds_write2_b64 v200, v[40:41], v[42:43] offset0:70 offset1:71
	s_waitcnt vmcnt(10)
	ds_write2_b64 v200, v[36:37], v[38:39] offset0:72 offset1:73
	s_waitcnt vmcnt(9)
	ds_write2_b64 v200, v[32:33], v[34:35] offset0:74 offset1:75
	s_waitcnt vmcnt(8)
	ds_write2_b64 v200, v[28:29], v[30:31] offset0:76 offset1:77
	s_waitcnt vmcnt(7)
	ds_write2_b64 v200, v[24:25], v[26:27] offset0:78 offset1:79
	s_waitcnt vmcnt(6)
	ds_write2_b64 v200, v[20:21], v[22:23] offset0:80 offset1:81
	s_waitcnt vmcnt(5)
	ds_write2_b64 v200, v[16:17], v[18:19] offset0:82 offset1:83
	s_waitcnt vmcnt(4)
	ds_write2_b64 v200, v[12:13], v[14:15] offset0:84 offset1:85
	s_waitcnt vmcnt(3)
	ds_write2_b64 v200, v[8:9], v[10:11] offset0:86 offset1:87
	s_waitcnt vmcnt(2)
	ds_write2_b64 v200, v[4:5], v[6:7] offset0:88 offset1:89
	s_waitcnt vmcnt(1)
	ds_write2_b64 v200, v[0:1], v[2:3] offset0:90 offset1:91
	s_waitcnt vmcnt(0)
	ds_write2_b64 v200, v[184:185], v[186:187] offset0:92 offset1:93
.LBB92_144:
	s_or_b64 exec, exec, s[0:1]
	v_cmp_lt_i32_e32 vcc, 6, v201
	s_waitcnt lgkmcnt(0)
	s_barrier
	s_and_saveexec_b64 s[0:1], vcc
	s_cbranch_execz .LBB92_146
; %bb.145:
	ds_read2_b64 v[204:207], v200 offset0:14 offset1:15
	v_mul_f64 v[198:199], v[190:191], v[166:167]
	v_mul_f64 v[166:167], v[188:189], v[166:167]
	v_fma_f64 v[198:199], v[188:189], v[164:165], -v[198:199]
	v_fmac_f64_e32 v[166:167], v[190:191], v[164:165]
	ds_read2_b64 v[188:191], v200 offset0:16 offset1:17
	s_waitcnt lgkmcnt(1)
	v_mul_f64 v[164:165], v[206:207], v[166:167]
	v_fma_f64 v[164:165], v[204:205], v[198:199], -v[164:165]
	v_mul_f64 v[204:205], v[204:205], v[166:167]
	v_fmac_f64_e32 v[204:205], v[206:207], v[198:199]
	s_waitcnt vmcnt(39)
	v_add_f64 v[160:161], v[160:161], -v[164:165]
	s_waitcnt lgkmcnt(0)
	v_mul_f64 v[164:165], v[190:191], v[166:167]
	v_add_f64 v[162:163], v[162:163], -v[204:205]
	v_fma_f64 v[164:165], v[188:189], v[198:199], -v[164:165]
	v_mul_f64 v[188:189], v[188:189], v[166:167]
	ds_read2_b64 v[204:207], v200 offset0:18 offset1:19
	v_fmac_f64_e32 v[188:189], v[190:191], v[198:199]
	s_waitcnt vmcnt(38)
	v_add_f64 v[158:159], v[158:159], -v[188:189]
	ds_read2_b64 v[188:191], v200 offset0:20 offset1:21
	v_add_f64 v[156:157], v[156:157], -v[164:165]
	s_waitcnt lgkmcnt(1)
	v_mul_f64 v[164:165], v[206:207], v[166:167]
	v_fma_f64 v[164:165], v[204:205], v[198:199], -v[164:165]
	v_mul_f64 v[204:205], v[204:205], v[166:167]
	v_fmac_f64_e32 v[204:205], v[206:207], v[198:199]
	s_waitcnt vmcnt(37)
	v_add_f64 v[152:153], v[152:153], -v[164:165]
	s_waitcnt lgkmcnt(0)
	v_mul_f64 v[164:165], v[190:191], v[166:167]
	v_add_f64 v[154:155], v[154:155], -v[204:205]
	v_fma_f64 v[164:165], v[188:189], v[198:199], -v[164:165]
	v_mul_f64 v[188:189], v[188:189], v[166:167]
	ds_read2_b64 v[204:207], v200 offset0:22 offset1:23
	v_fmac_f64_e32 v[188:189], v[190:191], v[198:199]
	s_waitcnt vmcnt(36)
	v_add_f64 v[150:151], v[150:151], -v[188:189]
	ds_read2_b64 v[188:191], v200 offset0:24 offset1:25
	v_add_f64 v[148:149], v[148:149], -v[164:165]
	;; [unrolled: 18-line block ×19, first 2 shown]
	s_waitcnt lgkmcnt(1)
	v_mul_f64 v[164:165], v[206:207], v[166:167]
	v_fma_f64 v[164:165], v[204:205], v[198:199], -v[164:165]
	s_waitcnt vmcnt(1)
	v_add_f64 v[0:1], v[0:1], -v[164:165]
	s_waitcnt lgkmcnt(0)
	v_mul_f64 v[164:165], v[190:191], v[166:167]
	v_mul_f64 v[204:205], v[204:205], v[166:167]
	v_fma_f64 v[164:165], v[188:189], v[198:199], -v[164:165]
	v_mul_f64 v[188:189], v[188:189], v[166:167]
	v_fmac_f64_e32 v[204:205], v[206:207], v[198:199]
	v_fmac_f64_e32 v[188:189], v[190:191], v[198:199]
	v_add_f64 v[2:3], v[2:3], -v[204:205]
	s_waitcnt vmcnt(0)
	v_add_f64 v[184:185], v[184:185], -v[164:165]
	v_add_f64 v[186:187], v[186:187], -v[188:189]
	v_mov_b64_e32 v[164:165], v[198:199]
.LBB92_146:
	s_or_b64 exec, exec, s[0:1]
	v_lshl_add_u32 v188, v201, 4, v200
	s_barrier
	s_waitcnt vmcnt(39)
	ds_write2_b64 v188, v[160:161], v[162:163] offset1:1
	s_waitcnt lgkmcnt(0)
	s_barrier
	ds_read2_b64 v[188:191], v200 offset0:14 offset1:15
	s_cmp_lt_i32 s20, 9
	v_mov_b32_e32 v198, 7
	s_cbranch_scc1 .LBB92_149
; %bb.147:
	v_add_u32_e32 v199, 0x80, v200
	s_mov_b32 s16, 8
	v_mov_b32_e32 v198, 7
.LBB92_148:                             ; =>This Inner Loop Header: Depth=1
	ds_read2_b64 v[204:207], v199 offset1:1
	s_waitcnt lgkmcnt(1)
	v_xor_b32_e32 v209, 0x80000000, v189
	v_xor_b32_e32 v211, 0x80000000, v191
	v_cmp_gt_f64_e32 vcc, 0, v[190:191]
	v_cmp_gt_f64_e64 s[0:1], 0, v[188:189]
	v_mov_b32_e32 v208, v188
	v_mov_b32_e32 v210, v190
	v_cndmask_b32_e64 v209, v189, v209, s[0:1]
	v_cndmask_b32_e32 v211, v191, v211, vcc
	v_add_f64 v[208:209], v[208:209], v[210:211]
	s_waitcnt lgkmcnt(0)
	v_xor_b32_e32 v211, 0x80000000, v205
	v_xor_b32_e32 v213, 0x80000000, v207
	v_cmp_gt_f64_e32 vcc, 0, v[206:207]
	v_cmp_gt_f64_e64 s[0:1], 0, v[204:205]
	v_mov_b32_e32 v210, v204
	v_mov_b32_e32 v212, v206
	v_cndmask_b32_e64 v211, v205, v211, s[0:1]
	v_cndmask_b32_e32 v213, v207, v213, vcc
	v_add_f64 v[210:211], v[210:211], v[212:213]
	v_mov_b32_e32 v214, s16
	s_add_i32 s16, s16, 1
	v_cmp_lt_f64_e32 vcc, v[208:209], v[210:211]
	v_add_u32_e32 v199, 16, v199
	s_cmp_lg_u32 s20, s16
	v_cndmask_b32_e32 v189, v189, v205, vcc
	v_cndmask_b32_e32 v188, v188, v204, vcc
	;; [unrolled: 1-line block ×5, first 2 shown]
	s_cbranch_scc1 .LBB92_148
.LBB92_149:
	s_waitcnt lgkmcnt(0)
	v_cmp_eq_f64_e32 vcc, 0, v[188:189]
	v_cmp_eq_f64_e64 s[0:1], 0, v[190:191]
	s_and_b64 s[0:1], vcc, s[0:1]
	s_and_saveexec_b64 s[16:17], s[0:1]
	s_xor_b64 s[0:1], exec, s[16:17]
; %bb.150:
	v_cmp_ne_u32_e32 vcc, 0, v202
	s_nop 1
	v_cndmask_b32_e32 v202, 8, v202, vcc
; %bb.151:
	s_andn2_saveexec_b64 s[0:1], s[0:1]
	s_cbranch_execz .LBB92_157
; %bb.152:
	v_cmp_ngt_f64_e64 s[16:17], |v[188:189]|, |v[190:191]|
	s_and_saveexec_b64 s[18:19], s[16:17]
	s_xor_b64 s[16:17], exec, s[18:19]
	s_cbranch_execz .LBB92_154
; %bb.153:
	v_div_scale_f64 v[204:205], s[18:19], v[190:191], v[190:191], v[188:189]
	v_rcp_f64_e32 v[206:207], v[204:205]
	v_div_scale_f64 v[208:209], vcc, v[188:189], v[190:191], v[188:189]
	v_fma_f64 v[210:211], -v[204:205], v[206:207], 1.0
	v_fmac_f64_e32 v[206:207], v[206:207], v[210:211]
	v_fma_f64 v[210:211], -v[204:205], v[206:207], 1.0
	v_fmac_f64_e32 v[206:207], v[206:207], v[210:211]
	v_mul_f64 v[210:211], v[208:209], v[206:207]
	v_fma_f64 v[204:205], -v[204:205], v[210:211], v[208:209]
	v_div_fmas_f64 v[204:205], v[204:205], v[206:207], v[210:211]
	v_div_fixup_f64 v[204:205], v[204:205], v[190:191], v[188:189]
	v_fmac_f64_e32 v[190:191], v[188:189], v[204:205]
	v_div_scale_f64 v[188:189], s[18:19], v[190:191], v[190:191], 1.0
	v_rcp_f64_e32 v[206:207], v[188:189]
	s_nop 0
	v_fma_f64 v[208:209], -v[188:189], v[206:207], 1.0
	v_fmac_f64_e32 v[206:207], v[206:207], v[208:209]
	v_fma_f64 v[208:209], -v[188:189], v[206:207], 1.0
	v_fmac_f64_e32 v[206:207], v[206:207], v[208:209]
	v_div_scale_f64 v[208:209], vcc, 1.0, v[190:191], 1.0
	v_mul_f64 v[210:211], v[208:209], v[206:207]
	v_fma_f64 v[188:189], -v[188:189], v[210:211], v[208:209]
	s_nop 1
	v_div_fmas_f64 v[188:189], v[188:189], v[206:207], v[210:211]
	v_div_fixup_f64 v[190:191], v[188:189], v[190:191], 1.0
	v_mul_f64 v[188:189], v[204:205], v[190:191]
	v_xor_b32_e32 v191, 0x80000000, v191
.LBB92_154:
	s_andn2_saveexec_b64 s[16:17], s[16:17]
	s_cbranch_execz .LBB92_156
; %bb.155:
	v_div_scale_f64 v[204:205], s[18:19], v[188:189], v[188:189], v[190:191]
	v_rcp_f64_e32 v[206:207], v[204:205]
	v_div_scale_f64 v[208:209], vcc, v[190:191], v[188:189], v[190:191]
	v_fma_f64 v[210:211], -v[204:205], v[206:207], 1.0
	v_fmac_f64_e32 v[206:207], v[206:207], v[210:211]
	v_fma_f64 v[210:211], -v[204:205], v[206:207], 1.0
	v_fmac_f64_e32 v[206:207], v[206:207], v[210:211]
	v_mul_f64 v[210:211], v[208:209], v[206:207]
	v_fma_f64 v[204:205], -v[204:205], v[210:211], v[208:209]
	v_div_fmas_f64 v[204:205], v[204:205], v[206:207], v[210:211]
	v_div_fixup_f64 v[204:205], v[204:205], v[188:189], v[190:191]
	v_fmac_f64_e32 v[188:189], v[190:191], v[204:205]
	v_div_scale_f64 v[190:191], s[18:19], v[188:189], v[188:189], 1.0
	v_rcp_f64_e32 v[206:207], v[190:191]
	s_nop 0
	v_fma_f64 v[208:209], -v[190:191], v[206:207], 1.0
	v_fmac_f64_e32 v[206:207], v[206:207], v[208:209]
	v_fma_f64 v[208:209], -v[190:191], v[206:207], 1.0
	v_fmac_f64_e32 v[206:207], v[206:207], v[208:209]
	v_div_scale_f64 v[208:209], vcc, 1.0, v[188:189], 1.0
	v_mul_f64 v[210:211], v[208:209], v[206:207]
	v_fma_f64 v[190:191], -v[190:191], v[210:211], v[208:209]
	s_nop 1
	v_div_fmas_f64 v[190:191], v[190:191], v[206:207], v[210:211]
	v_div_fixup_f64 v[188:189], v[190:191], v[188:189], 1.0
	v_mul_f64 v[190:191], v[204:205], -v[188:189]
.LBB92_156:
	s_or_b64 exec, exec, s[16:17]
.LBB92_157:
	s_or_b64 exec, exec, s[0:1]
	v_cmp_ne_u32_e32 vcc, v201, v198
	s_and_saveexec_b64 s[0:1], vcc
	s_xor_b64 s[0:1], exec, s[0:1]
	s_cbranch_execz .LBB92_163
; %bb.158:
	v_cmp_eq_u32_e32 vcc, 7, v201
	s_and_saveexec_b64 s[16:17], vcc
	s_cbranch_execz .LBB92_162
; %bb.159:
	v_cmp_ne_u32_e32 vcc, 7, v198
	s_xor_b64 s[18:19], s[14:15], -1
	s_and_b64 s[22:23], s[18:19], vcc
	s_and_saveexec_b64 s[18:19], s[22:23]
	s_cbranch_execz .LBB92_161
; %bb.160:
	v_ashrrev_i32_e32 v199, 31, v198
	v_lshl_add_u64 v[204:205], v[198:199], 2, v[196:197]
	global_load_dword v199, v[204:205], off
	global_load_dword v201, v[196:197], off offset:28
	s_waitcnt vmcnt(1)
	global_store_dword v[196:197], v199, off offset:28
	s_waitcnt vmcnt(1)
	global_store_dword v[204:205], v201, off
.LBB92_161:
	s_or_b64 exec, exec, s[18:19]
	v_mov_b32_e32 v201, v198
	v_mov_b32_e32 v203, v198
.LBB92_162:
	s_or_b64 exec, exec, s[16:17]
.LBB92_163:
	s_andn2_saveexec_b64 s[0:1], s[0:1]
	s_cbranch_execz .LBB92_165
; %bb.164:
	v_mov_b32_e32 v201, 7
	s_waitcnt vmcnt(38)
	ds_write2_b64 v200, v[156:157], v[158:159] offset0:16 offset1:17
	s_waitcnt vmcnt(37)
	ds_write2_b64 v200, v[152:153], v[154:155] offset0:18 offset1:19
	;; [unrolled: 2-line block ×39, first 2 shown]
.LBB92_165:
	s_or_b64 exec, exec, s[0:1]
	v_cmp_lt_i32_e32 vcc, 7, v201
	s_waitcnt lgkmcnt(0)
	s_barrier
	s_and_saveexec_b64 s[0:1], vcc
	s_cbranch_execz .LBB92_167
; %bb.166:
	ds_read2_b64 v[204:207], v200 offset0:16 offset1:17
	v_mul_f64 v[198:199], v[190:191], v[162:163]
	v_mul_f64 v[162:163], v[188:189], v[162:163]
	v_fmac_f64_e32 v[162:163], v[190:191], v[160:161]
	v_fma_f64 v[198:199], v[188:189], v[160:161], -v[198:199]
	ds_read2_b64 v[188:191], v200 offset0:18 offset1:19
	s_waitcnt lgkmcnt(1)
	v_mul_f64 v[160:161], v[206:207], v[162:163]
	v_fma_f64 v[160:161], v[204:205], v[198:199], -v[160:161]
	v_mul_f64 v[204:205], v[204:205], v[162:163]
	v_fmac_f64_e32 v[204:205], v[206:207], v[198:199]
	s_waitcnt vmcnt(38)
	v_add_f64 v[158:159], v[158:159], -v[204:205]
	ds_read2_b64 v[204:207], v200 offset0:20 offset1:21
	v_add_f64 v[156:157], v[156:157], -v[160:161]
	s_waitcnt lgkmcnt(1)
	v_mul_f64 v[160:161], v[190:191], v[162:163]
	v_fma_f64 v[160:161], v[188:189], v[198:199], -v[160:161]
	v_mul_f64 v[188:189], v[188:189], v[162:163]
	v_fmac_f64_e32 v[188:189], v[190:191], v[198:199]
	s_waitcnt vmcnt(37)
	v_add_f64 v[152:153], v[152:153], -v[160:161]
	v_add_f64 v[154:155], v[154:155], -v[188:189]
	ds_read2_b64 v[188:191], v200 offset0:22 offset1:23
	s_waitcnt lgkmcnt(1)
	v_mul_f64 v[160:161], v[206:207], v[162:163]
	v_fma_f64 v[160:161], v[204:205], v[198:199], -v[160:161]
	v_mul_f64 v[204:205], v[204:205], v[162:163]
	v_fmac_f64_e32 v[204:205], v[206:207], v[198:199]
	s_waitcnt vmcnt(36)
	v_add_f64 v[150:151], v[150:151], -v[204:205]
	ds_read2_b64 v[204:207], v200 offset0:24 offset1:25
	v_add_f64 v[148:149], v[148:149], -v[160:161]
	s_waitcnt lgkmcnt(1)
	v_mul_f64 v[160:161], v[190:191], v[162:163]
	v_fma_f64 v[160:161], v[188:189], v[198:199], -v[160:161]
	v_mul_f64 v[188:189], v[188:189], v[162:163]
	v_fmac_f64_e32 v[188:189], v[190:191], v[198:199]
	s_waitcnt vmcnt(35)
	v_add_f64 v[144:145], v[144:145], -v[160:161]
	v_add_f64 v[146:147], v[146:147], -v[188:189]
	;; [unrolled: 18-line block ×19, first 2 shown]
	s_waitcnt lgkmcnt(0)
	v_mul_f64 v[160:161], v[206:207], v[162:163]
	v_mul_f64 v[188:189], v[204:205], v[162:163]
	v_fma_f64 v[160:161], v[204:205], v[198:199], -v[160:161]
	v_fmac_f64_e32 v[188:189], v[206:207], v[198:199]
	s_waitcnt vmcnt(0)
	v_add_f64 v[184:185], v[184:185], -v[160:161]
	v_add_f64 v[186:187], v[186:187], -v[188:189]
	v_mov_b64_e32 v[160:161], v[198:199]
.LBB92_167:
	s_or_b64 exec, exec, s[0:1]
	v_lshl_add_u32 v188, v201, 4, v200
	s_barrier
	s_waitcnt vmcnt(38)
	ds_write2_b64 v188, v[156:157], v[158:159] offset1:1
	s_waitcnt lgkmcnt(0)
	s_barrier
	ds_read2_b64 v[188:191], v200 offset0:16 offset1:17
	s_cmp_lt_i32 s20, 10
	v_mov_b32_e32 v198, 8
	s_cbranch_scc1 .LBB92_170
; %bb.168:
	v_add_u32_e32 v199, 0x90, v200
	s_mov_b32 s16, 9
	v_mov_b32_e32 v198, 8
.LBB92_169:                             ; =>This Inner Loop Header: Depth=1
	ds_read2_b64 v[204:207], v199 offset1:1
	s_waitcnt lgkmcnt(1)
	v_xor_b32_e32 v209, 0x80000000, v189
	v_xor_b32_e32 v211, 0x80000000, v191
	v_cmp_gt_f64_e32 vcc, 0, v[190:191]
	v_cmp_gt_f64_e64 s[0:1], 0, v[188:189]
	v_mov_b32_e32 v208, v188
	v_mov_b32_e32 v210, v190
	v_cndmask_b32_e64 v209, v189, v209, s[0:1]
	v_cndmask_b32_e32 v211, v191, v211, vcc
	v_add_f64 v[208:209], v[208:209], v[210:211]
	s_waitcnt lgkmcnt(0)
	v_xor_b32_e32 v211, 0x80000000, v205
	v_xor_b32_e32 v213, 0x80000000, v207
	v_cmp_gt_f64_e32 vcc, 0, v[206:207]
	v_cmp_gt_f64_e64 s[0:1], 0, v[204:205]
	v_mov_b32_e32 v210, v204
	v_mov_b32_e32 v212, v206
	v_cndmask_b32_e64 v211, v205, v211, s[0:1]
	v_cndmask_b32_e32 v213, v207, v213, vcc
	v_add_f64 v[210:211], v[210:211], v[212:213]
	v_mov_b32_e32 v214, s16
	s_add_i32 s16, s16, 1
	v_cmp_lt_f64_e32 vcc, v[208:209], v[210:211]
	v_add_u32_e32 v199, 16, v199
	s_cmp_lg_u32 s20, s16
	v_cndmask_b32_e32 v189, v189, v205, vcc
	v_cndmask_b32_e32 v188, v188, v204, vcc
	;; [unrolled: 1-line block ×5, first 2 shown]
	s_cbranch_scc1 .LBB92_169
.LBB92_170:
	s_waitcnt lgkmcnt(0)
	v_cmp_eq_f64_e32 vcc, 0, v[188:189]
	v_cmp_eq_f64_e64 s[0:1], 0, v[190:191]
	s_and_b64 s[0:1], vcc, s[0:1]
	s_and_saveexec_b64 s[16:17], s[0:1]
	s_xor_b64 s[0:1], exec, s[16:17]
; %bb.171:
	v_cmp_ne_u32_e32 vcc, 0, v202
	s_nop 1
	v_cndmask_b32_e32 v202, 9, v202, vcc
; %bb.172:
	s_andn2_saveexec_b64 s[0:1], s[0:1]
	s_cbranch_execz .LBB92_178
; %bb.173:
	v_cmp_ngt_f64_e64 s[16:17], |v[188:189]|, |v[190:191]|
	s_and_saveexec_b64 s[18:19], s[16:17]
	s_xor_b64 s[16:17], exec, s[18:19]
	s_cbranch_execz .LBB92_175
; %bb.174:
	v_div_scale_f64 v[204:205], s[18:19], v[190:191], v[190:191], v[188:189]
	v_rcp_f64_e32 v[206:207], v[204:205]
	v_div_scale_f64 v[208:209], vcc, v[188:189], v[190:191], v[188:189]
	v_fma_f64 v[210:211], -v[204:205], v[206:207], 1.0
	v_fmac_f64_e32 v[206:207], v[206:207], v[210:211]
	v_fma_f64 v[210:211], -v[204:205], v[206:207], 1.0
	v_fmac_f64_e32 v[206:207], v[206:207], v[210:211]
	v_mul_f64 v[210:211], v[208:209], v[206:207]
	v_fma_f64 v[204:205], -v[204:205], v[210:211], v[208:209]
	v_div_fmas_f64 v[204:205], v[204:205], v[206:207], v[210:211]
	v_div_fixup_f64 v[204:205], v[204:205], v[190:191], v[188:189]
	v_fmac_f64_e32 v[190:191], v[188:189], v[204:205]
	v_div_scale_f64 v[188:189], s[18:19], v[190:191], v[190:191], 1.0
	v_rcp_f64_e32 v[206:207], v[188:189]
	s_nop 0
	v_fma_f64 v[208:209], -v[188:189], v[206:207], 1.0
	v_fmac_f64_e32 v[206:207], v[206:207], v[208:209]
	v_fma_f64 v[208:209], -v[188:189], v[206:207], 1.0
	v_fmac_f64_e32 v[206:207], v[206:207], v[208:209]
	v_div_scale_f64 v[208:209], vcc, 1.0, v[190:191], 1.0
	v_mul_f64 v[210:211], v[208:209], v[206:207]
	v_fma_f64 v[188:189], -v[188:189], v[210:211], v[208:209]
	s_nop 1
	v_div_fmas_f64 v[188:189], v[188:189], v[206:207], v[210:211]
	v_div_fixup_f64 v[190:191], v[188:189], v[190:191], 1.0
	v_mul_f64 v[188:189], v[204:205], v[190:191]
	v_xor_b32_e32 v191, 0x80000000, v191
.LBB92_175:
	s_andn2_saveexec_b64 s[16:17], s[16:17]
	s_cbranch_execz .LBB92_177
; %bb.176:
	v_div_scale_f64 v[204:205], s[18:19], v[188:189], v[188:189], v[190:191]
	v_rcp_f64_e32 v[206:207], v[204:205]
	v_div_scale_f64 v[208:209], vcc, v[190:191], v[188:189], v[190:191]
	v_fma_f64 v[210:211], -v[204:205], v[206:207], 1.0
	v_fmac_f64_e32 v[206:207], v[206:207], v[210:211]
	v_fma_f64 v[210:211], -v[204:205], v[206:207], 1.0
	v_fmac_f64_e32 v[206:207], v[206:207], v[210:211]
	v_mul_f64 v[210:211], v[208:209], v[206:207]
	v_fma_f64 v[204:205], -v[204:205], v[210:211], v[208:209]
	v_div_fmas_f64 v[204:205], v[204:205], v[206:207], v[210:211]
	v_div_fixup_f64 v[204:205], v[204:205], v[188:189], v[190:191]
	v_fmac_f64_e32 v[188:189], v[190:191], v[204:205]
	v_div_scale_f64 v[190:191], s[18:19], v[188:189], v[188:189], 1.0
	v_rcp_f64_e32 v[206:207], v[190:191]
	s_nop 0
	v_fma_f64 v[208:209], -v[190:191], v[206:207], 1.0
	v_fmac_f64_e32 v[206:207], v[206:207], v[208:209]
	v_fma_f64 v[208:209], -v[190:191], v[206:207], 1.0
	v_fmac_f64_e32 v[206:207], v[206:207], v[208:209]
	v_div_scale_f64 v[208:209], vcc, 1.0, v[188:189], 1.0
	v_mul_f64 v[210:211], v[208:209], v[206:207]
	v_fma_f64 v[190:191], -v[190:191], v[210:211], v[208:209]
	s_nop 1
	v_div_fmas_f64 v[190:191], v[190:191], v[206:207], v[210:211]
	v_div_fixup_f64 v[188:189], v[190:191], v[188:189], 1.0
	v_mul_f64 v[190:191], v[204:205], -v[188:189]
.LBB92_177:
	s_or_b64 exec, exec, s[16:17]
.LBB92_178:
	s_or_b64 exec, exec, s[0:1]
	v_cmp_ne_u32_e32 vcc, v201, v198
	s_and_saveexec_b64 s[0:1], vcc
	s_xor_b64 s[0:1], exec, s[0:1]
	s_cbranch_execz .LBB92_184
; %bb.179:
	v_cmp_eq_u32_e32 vcc, 8, v201
	s_and_saveexec_b64 s[16:17], vcc
	s_cbranch_execz .LBB92_183
; %bb.180:
	v_cmp_ne_u32_e32 vcc, 8, v198
	s_xor_b64 s[18:19], s[14:15], -1
	s_and_b64 s[22:23], s[18:19], vcc
	s_and_saveexec_b64 s[18:19], s[22:23]
	s_cbranch_execz .LBB92_182
; %bb.181:
	v_ashrrev_i32_e32 v199, 31, v198
	v_lshl_add_u64 v[204:205], v[198:199], 2, v[196:197]
	global_load_dword v199, v[204:205], off
	global_load_dword v201, v[196:197], off offset:32
	s_waitcnt vmcnt(1)
	global_store_dword v[196:197], v199, off offset:32
	s_waitcnt vmcnt(1)
	global_store_dword v[204:205], v201, off
.LBB92_182:
	s_or_b64 exec, exec, s[18:19]
	v_mov_b32_e32 v201, v198
	v_mov_b32_e32 v203, v198
.LBB92_183:
	s_or_b64 exec, exec, s[16:17]
.LBB92_184:
	s_andn2_saveexec_b64 s[0:1], s[0:1]
	s_cbranch_execz .LBB92_186
; %bb.185:
	v_mov_b32_e32 v201, 8
	s_waitcnt vmcnt(37)
	ds_write2_b64 v200, v[152:153], v[154:155] offset0:18 offset1:19
	s_waitcnt vmcnt(36)
	ds_write2_b64 v200, v[148:149], v[150:151] offset0:20 offset1:21
	;; [unrolled: 2-line block ×38, first 2 shown]
.LBB92_186:
	s_or_b64 exec, exec, s[0:1]
	v_cmp_lt_i32_e32 vcc, 8, v201
	s_waitcnt lgkmcnt(0)
	s_barrier
	s_and_saveexec_b64 s[0:1], vcc
	s_cbranch_execz .LBB92_188
; %bb.187:
	ds_read2_b64 v[204:207], v200 offset0:18 offset1:19
	v_mul_f64 v[198:199], v[190:191], v[158:159]
	v_mul_f64 v[158:159], v[188:189], v[158:159]
	v_fma_f64 v[198:199], v[188:189], v[156:157], -v[198:199]
	v_fmac_f64_e32 v[158:159], v[190:191], v[156:157]
	ds_read2_b64 v[188:191], v200 offset0:20 offset1:21
	s_waitcnt lgkmcnt(1)
	v_mul_f64 v[156:157], v[206:207], v[158:159]
	v_fma_f64 v[156:157], v[204:205], v[198:199], -v[156:157]
	v_mul_f64 v[204:205], v[204:205], v[158:159]
	v_fmac_f64_e32 v[204:205], v[206:207], v[198:199]
	s_waitcnt vmcnt(37)
	v_add_f64 v[152:153], v[152:153], -v[156:157]
	s_waitcnt lgkmcnt(0)
	v_mul_f64 v[156:157], v[190:191], v[158:159]
	v_add_f64 v[154:155], v[154:155], -v[204:205]
	v_fma_f64 v[156:157], v[188:189], v[198:199], -v[156:157]
	v_mul_f64 v[188:189], v[188:189], v[158:159]
	ds_read2_b64 v[204:207], v200 offset0:22 offset1:23
	v_fmac_f64_e32 v[188:189], v[190:191], v[198:199]
	s_waitcnt vmcnt(36)
	v_add_f64 v[150:151], v[150:151], -v[188:189]
	ds_read2_b64 v[188:191], v200 offset0:24 offset1:25
	v_add_f64 v[148:149], v[148:149], -v[156:157]
	s_waitcnt lgkmcnt(1)
	v_mul_f64 v[156:157], v[206:207], v[158:159]
	v_fma_f64 v[156:157], v[204:205], v[198:199], -v[156:157]
	v_mul_f64 v[204:205], v[204:205], v[158:159]
	v_fmac_f64_e32 v[204:205], v[206:207], v[198:199]
	s_waitcnt vmcnt(35)
	v_add_f64 v[144:145], v[144:145], -v[156:157]
	s_waitcnt lgkmcnt(0)
	v_mul_f64 v[156:157], v[190:191], v[158:159]
	v_add_f64 v[146:147], v[146:147], -v[204:205]
	v_fma_f64 v[156:157], v[188:189], v[198:199], -v[156:157]
	v_mul_f64 v[188:189], v[188:189], v[158:159]
	ds_read2_b64 v[204:207], v200 offset0:26 offset1:27
	v_fmac_f64_e32 v[188:189], v[190:191], v[198:199]
	s_waitcnt vmcnt(34)
	v_add_f64 v[142:143], v[142:143], -v[188:189]
	ds_read2_b64 v[188:191], v200 offset0:28 offset1:29
	v_add_f64 v[140:141], v[140:141], -v[156:157]
	;; [unrolled: 18-line block ×18, first 2 shown]
	s_waitcnt lgkmcnt(1)
	v_mul_f64 v[156:157], v[206:207], v[158:159]
	v_fma_f64 v[156:157], v[204:205], v[198:199], -v[156:157]
	s_waitcnt vmcnt(1)
	v_add_f64 v[0:1], v[0:1], -v[156:157]
	s_waitcnt lgkmcnt(0)
	v_mul_f64 v[156:157], v[190:191], v[158:159]
	v_mul_f64 v[204:205], v[204:205], v[158:159]
	v_fma_f64 v[156:157], v[188:189], v[198:199], -v[156:157]
	v_mul_f64 v[188:189], v[188:189], v[158:159]
	v_fmac_f64_e32 v[204:205], v[206:207], v[198:199]
	v_fmac_f64_e32 v[188:189], v[190:191], v[198:199]
	v_add_f64 v[2:3], v[2:3], -v[204:205]
	s_waitcnt vmcnt(0)
	v_add_f64 v[184:185], v[184:185], -v[156:157]
	v_add_f64 v[186:187], v[186:187], -v[188:189]
	v_mov_b64_e32 v[156:157], v[198:199]
.LBB92_188:
	s_or_b64 exec, exec, s[0:1]
	v_lshl_add_u32 v188, v201, 4, v200
	s_barrier
	s_waitcnt vmcnt(37)
	ds_write2_b64 v188, v[152:153], v[154:155] offset1:1
	s_waitcnt lgkmcnt(0)
	s_barrier
	ds_read2_b64 v[188:191], v200 offset0:18 offset1:19
	s_cmp_lt_i32 s20, 11
	v_mov_b32_e32 v198, 9
	s_cbranch_scc1 .LBB92_191
; %bb.189:
	v_add_u32_e32 v199, 0xa0, v200
	s_mov_b32 s16, 10
	v_mov_b32_e32 v198, 9
.LBB92_190:                             ; =>This Inner Loop Header: Depth=1
	ds_read2_b64 v[204:207], v199 offset1:1
	s_waitcnt lgkmcnt(1)
	v_xor_b32_e32 v209, 0x80000000, v189
	v_xor_b32_e32 v211, 0x80000000, v191
	v_cmp_gt_f64_e32 vcc, 0, v[190:191]
	v_cmp_gt_f64_e64 s[0:1], 0, v[188:189]
	v_mov_b32_e32 v208, v188
	v_mov_b32_e32 v210, v190
	v_cndmask_b32_e64 v209, v189, v209, s[0:1]
	v_cndmask_b32_e32 v211, v191, v211, vcc
	v_add_f64 v[208:209], v[208:209], v[210:211]
	s_waitcnt lgkmcnt(0)
	v_xor_b32_e32 v211, 0x80000000, v205
	v_xor_b32_e32 v213, 0x80000000, v207
	v_cmp_gt_f64_e32 vcc, 0, v[206:207]
	v_cmp_gt_f64_e64 s[0:1], 0, v[204:205]
	v_mov_b32_e32 v210, v204
	v_mov_b32_e32 v212, v206
	v_cndmask_b32_e64 v211, v205, v211, s[0:1]
	v_cndmask_b32_e32 v213, v207, v213, vcc
	v_add_f64 v[210:211], v[210:211], v[212:213]
	v_mov_b32_e32 v214, s16
	s_add_i32 s16, s16, 1
	v_cmp_lt_f64_e32 vcc, v[208:209], v[210:211]
	v_add_u32_e32 v199, 16, v199
	s_cmp_lg_u32 s20, s16
	v_cndmask_b32_e32 v189, v189, v205, vcc
	v_cndmask_b32_e32 v188, v188, v204, vcc
	;; [unrolled: 1-line block ×5, first 2 shown]
	s_cbranch_scc1 .LBB92_190
.LBB92_191:
	s_waitcnt lgkmcnt(0)
	v_cmp_eq_f64_e32 vcc, 0, v[188:189]
	v_cmp_eq_f64_e64 s[0:1], 0, v[190:191]
	s_and_b64 s[0:1], vcc, s[0:1]
	s_and_saveexec_b64 s[16:17], s[0:1]
	s_xor_b64 s[0:1], exec, s[16:17]
; %bb.192:
	v_cmp_ne_u32_e32 vcc, 0, v202
	s_nop 1
	v_cndmask_b32_e32 v202, 10, v202, vcc
; %bb.193:
	s_andn2_saveexec_b64 s[0:1], s[0:1]
	s_cbranch_execz .LBB92_199
; %bb.194:
	v_cmp_ngt_f64_e64 s[16:17], |v[188:189]|, |v[190:191]|
	s_and_saveexec_b64 s[18:19], s[16:17]
	s_xor_b64 s[16:17], exec, s[18:19]
	s_cbranch_execz .LBB92_196
; %bb.195:
	v_div_scale_f64 v[204:205], s[18:19], v[190:191], v[190:191], v[188:189]
	v_rcp_f64_e32 v[206:207], v[204:205]
	v_div_scale_f64 v[208:209], vcc, v[188:189], v[190:191], v[188:189]
	v_fma_f64 v[210:211], -v[204:205], v[206:207], 1.0
	v_fmac_f64_e32 v[206:207], v[206:207], v[210:211]
	v_fma_f64 v[210:211], -v[204:205], v[206:207], 1.0
	v_fmac_f64_e32 v[206:207], v[206:207], v[210:211]
	v_mul_f64 v[210:211], v[208:209], v[206:207]
	v_fma_f64 v[204:205], -v[204:205], v[210:211], v[208:209]
	v_div_fmas_f64 v[204:205], v[204:205], v[206:207], v[210:211]
	v_div_fixup_f64 v[204:205], v[204:205], v[190:191], v[188:189]
	v_fmac_f64_e32 v[190:191], v[188:189], v[204:205]
	v_div_scale_f64 v[188:189], s[18:19], v[190:191], v[190:191], 1.0
	v_rcp_f64_e32 v[206:207], v[188:189]
	s_nop 0
	v_fma_f64 v[208:209], -v[188:189], v[206:207], 1.0
	v_fmac_f64_e32 v[206:207], v[206:207], v[208:209]
	v_fma_f64 v[208:209], -v[188:189], v[206:207], 1.0
	v_fmac_f64_e32 v[206:207], v[206:207], v[208:209]
	v_div_scale_f64 v[208:209], vcc, 1.0, v[190:191], 1.0
	v_mul_f64 v[210:211], v[208:209], v[206:207]
	v_fma_f64 v[188:189], -v[188:189], v[210:211], v[208:209]
	s_nop 1
	v_div_fmas_f64 v[188:189], v[188:189], v[206:207], v[210:211]
	v_div_fixup_f64 v[190:191], v[188:189], v[190:191], 1.0
	v_mul_f64 v[188:189], v[204:205], v[190:191]
	v_xor_b32_e32 v191, 0x80000000, v191
.LBB92_196:
	s_andn2_saveexec_b64 s[16:17], s[16:17]
	s_cbranch_execz .LBB92_198
; %bb.197:
	v_div_scale_f64 v[204:205], s[18:19], v[188:189], v[188:189], v[190:191]
	v_rcp_f64_e32 v[206:207], v[204:205]
	v_div_scale_f64 v[208:209], vcc, v[190:191], v[188:189], v[190:191]
	v_fma_f64 v[210:211], -v[204:205], v[206:207], 1.0
	v_fmac_f64_e32 v[206:207], v[206:207], v[210:211]
	v_fma_f64 v[210:211], -v[204:205], v[206:207], 1.0
	v_fmac_f64_e32 v[206:207], v[206:207], v[210:211]
	v_mul_f64 v[210:211], v[208:209], v[206:207]
	v_fma_f64 v[204:205], -v[204:205], v[210:211], v[208:209]
	v_div_fmas_f64 v[204:205], v[204:205], v[206:207], v[210:211]
	v_div_fixup_f64 v[204:205], v[204:205], v[188:189], v[190:191]
	v_fmac_f64_e32 v[188:189], v[190:191], v[204:205]
	v_div_scale_f64 v[190:191], s[18:19], v[188:189], v[188:189], 1.0
	v_rcp_f64_e32 v[206:207], v[190:191]
	s_nop 0
	v_fma_f64 v[208:209], -v[190:191], v[206:207], 1.0
	v_fmac_f64_e32 v[206:207], v[206:207], v[208:209]
	v_fma_f64 v[208:209], -v[190:191], v[206:207], 1.0
	v_fmac_f64_e32 v[206:207], v[206:207], v[208:209]
	v_div_scale_f64 v[208:209], vcc, 1.0, v[188:189], 1.0
	v_mul_f64 v[210:211], v[208:209], v[206:207]
	v_fma_f64 v[190:191], -v[190:191], v[210:211], v[208:209]
	s_nop 1
	v_div_fmas_f64 v[190:191], v[190:191], v[206:207], v[210:211]
	v_div_fixup_f64 v[188:189], v[190:191], v[188:189], 1.0
	v_mul_f64 v[190:191], v[204:205], -v[188:189]
.LBB92_198:
	s_or_b64 exec, exec, s[16:17]
.LBB92_199:
	s_or_b64 exec, exec, s[0:1]
	v_cmp_ne_u32_e32 vcc, v201, v198
	s_and_saveexec_b64 s[0:1], vcc
	s_xor_b64 s[0:1], exec, s[0:1]
	s_cbranch_execz .LBB92_205
; %bb.200:
	v_cmp_eq_u32_e32 vcc, 9, v201
	s_and_saveexec_b64 s[16:17], vcc
	s_cbranch_execz .LBB92_204
; %bb.201:
	v_cmp_ne_u32_e32 vcc, 9, v198
	s_xor_b64 s[18:19], s[14:15], -1
	s_and_b64 s[22:23], s[18:19], vcc
	s_and_saveexec_b64 s[18:19], s[22:23]
	s_cbranch_execz .LBB92_203
; %bb.202:
	v_ashrrev_i32_e32 v199, 31, v198
	v_lshl_add_u64 v[204:205], v[198:199], 2, v[196:197]
	global_load_dword v199, v[204:205], off
	global_load_dword v201, v[196:197], off offset:36
	s_waitcnt vmcnt(1)
	global_store_dword v[196:197], v199, off offset:36
	s_waitcnt vmcnt(1)
	global_store_dword v[204:205], v201, off
.LBB92_203:
	s_or_b64 exec, exec, s[18:19]
	v_mov_b32_e32 v201, v198
	v_mov_b32_e32 v203, v198
.LBB92_204:
	s_or_b64 exec, exec, s[16:17]
.LBB92_205:
	s_andn2_saveexec_b64 s[0:1], s[0:1]
	s_cbranch_execz .LBB92_207
; %bb.206:
	v_mov_b32_e32 v201, 9
	s_waitcnt vmcnt(36)
	ds_write2_b64 v200, v[148:149], v[150:151] offset0:20 offset1:21
	s_waitcnt vmcnt(35)
	ds_write2_b64 v200, v[144:145], v[146:147] offset0:22 offset1:23
	;; [unrolled: 2-line block ×37, first 2 shown]
.LBB92_207:
	s_or_b64 exec, exec, s[0:1]
	v_cmp_lt_i32_e32 vcc, 9, v201
	s_waitcnt lgkmcnt(0)
	s_barrier
	s_and_saveexec_b64 s[0:1], vcc
	s_cbranch_execz .LBB92_209
; %bb.208:
	ds_read2_b64 v[204:207], v200 offset0:20 offset1:21
	v_mul_f64 v[198:199], v[190:191], v[154:155]
	v_mul_f64 v[154:155], v[188:189], v[154:155]
	v_fmac_f64_e32 v[154:155], v[190:191], v[152:153]
	v_fma_f64 v[198:199], v[188:189], v[152:153], -v[198:199]
	ds_read2_b64 v[188:191], v200 offset0:22 offset1:23
	s_waitcnt lgkmcnt(1)
	v_mul_f64 v[152:153], v[206:207], v[154:155]
	v_fma_f64 v[152:153], v[204:205], v[198:199], -v[152:153]
	v_mul_f64 v[204:205], v[204:205], v[154:155]
	v_fmac_f64_e32 v[204:205], v[206:207], v[198:199]
	s_waitcnt vmcnt(36)
	v_add_f64 v[150:151], v[150:151], -v[204:205]
	ds_read2_b64 v[204:207], v200 offset0:24 offset1:25
	v_add_f64 v[148:149], v[148:149], -v[152:153]
	s_waitcnt lgkmcnt(1)
	v_mul_f64 v[152:153], v[190:191], v[154:155]
	v_fma_f64 v[152:153], v[188:189], v[198:199], -v[152:153]
	v_mul_f64 v[188:189], v[188:189], v[154:155]
	v_fmac_f64_e32 v[188:189], v[190:191], v[198:199]
	s_waitcnt vmcnt(35)
	v_add_f64 v[144:145], v[144:145], -v[152:153]
	v_add_f64 v[146:147], v[146:147], -v[188:189]
	ds_read2_b64 v[188:191], v200 offset0:26 offset1:27
	s_waitcnt lgkmcnt(1)
	v_mul_f64 v[152:153], v[206:207], v[154:155]
	v_fma_f64 v[152:153], v[204:205], v[198:199], -v[152:153]
	v_mul_f64 v[204:205], v[204:205], v[154:155]
	v_fmac_f64_e32 v[204:205], v[206:207], v[198:199]
	s_waitcnt vmcnt(34)
	v_add_f64 v[142:143], v[142:143], -v[204:205]
	ds_read2_b64 v[204:207], v200 offset0:28 offset1:29
	v_add_f64 v[140:141], v[140:141], -v[152:153]
	s_waitcnt lgkmcnt(1)
	v_mul_f64 v[152:153], v[190:191], v[154:155]
	v_fma_f64 v[152:153], v[188:189], v[198:199], -v[152:153]
	v_mul_f64 v[188:189], v[188:189], v[154:155]
	v_fmac_f64_e32 v[188:189], v[190:191], v[198:199]
	s_waitcnt vmcnt(33)
	v_add_f64 v[136:137], v[136:137], -v[152:153]
	v_add_f64 v[138:139], v[138:139], -v[188:189]
	;; [unrolled: 18-line block ×18, first 2 shown]
	s_waitcnt lgkmcnt(0)
	v_mul_f64 v[152:153], v[206:207], v[154:155]
	v_mul_f64 v[188:189], v[204:205], v[154:155]
	v_fma_f64 v[152:153], v[204:205], v[198:199], -v[152:153]
	v_fmac_f64_e32 v[188:189], v[206:207], v[198:199]
	s_waitcnt vmcnt(0)
	v_add_f64 v[184:185], v[184:185], -v[152:153]
	v_add_f64 v[186:187], v[186:187], -v[188:189]
	v_mov_b64_e32 v[152:153], v[198:199]
.LBB92_209:
	s_or_b64 exec, exec, s[0:1]
	v_lshl_add_u32 v188, v201, 4, v200
	s_barrier
	s_waitcnt vmcnt(36)
	ds_write2_b64 v188, v[148:149], v[150:151] offset1:1
	s_waitcnt lgkmcnt(0)
	s_barrier
	ds_read2_b64 v[188:191], v200 offset0:20 offset1:21
	s_cmp_lt_i32 s20, 12
	v_mov_b32_e32 v198, 10
	s_cbranch_scc1 .LBB92_212
; %bb.210:
	v_add_u32_e32 v199, 0xb0, v200
	s_mov_b32 s16, 11
	v_mov_b32_e32 v198, 10
.LBB92_211:                             ; =>This Inner Loop Header: Depth=1
	ds_read2_b64 v[204:207], v199 offset1:1
	s_waitcnt lgkmcnt(1)
	v_xor_b32_e32 v209, 0x80000000, v189
	v_xor_b32_e32 v211, 0x80000000, v191
	v_cmp_gt_f64_e32 vcc, 0, v[190:191]
	v_cmp_gt_f64_e64 s[0:1], 0, v[188:189]
	v_mov_b32_e32 v208, v188
	v_mov_b32_e32 v210, v190
	v_cndmask_b32_e64 v209, v189, v209, s[0:1]
	v_cndmask_b32_e32 v211, v191, v211, vcc
	v_add_f64 v[208:209], v[208:209], v[210:211]
	s_waitcnt lgkmcnt(0)
	v_xor_b32_e32 v211, 0x80000000, v205
	v_xor_b32_e32 v213, 0x80000000, v207
	v_cmp_gt_f64_e32 vcc, 0, v[206:207]
	v_cmp_gt_f64_e64 s[0:1], 0, v[204:205]
	v_mov_b32_e32 v210, v204
	v_mov_b32_e32 v212, v206
	v_cndmask_b32_e64 v211, v205, v211, s[0:1]
	v_cndmask_b32_e32 v213, v207, v213, vcc
	v_add_f64 v[210:211], v[210:211], v[212:213]
	v_mov_b32_e32 v214, s16
	s_add_i32 s16, s16, 1
	v_cmp_lt_f64_e32 vcc, v[208:209], v[210:211]
	v_add_u32_e32 v199, 16, v199
	s_cmp_lg_u32 s20, s16
	v_cndmask_b32_e32 v189, v189, v205, vcc
	v_cndmask_b32_e32 v188, v188, v204, vcc
	;; [unrolled: 1-line block ×5, first 2 shown]
	s_cbranch_scc1 .LBB92_211
.LBB92_212:
	s_waitcnt lgkmcnt(0)
	v_cmp_eq_f64_e32 vcc, 0, v[188:189]
	v_cmp_eq_f64_e64 s[0:1], 0, v[190:191]
	s_and_b64 s[0:1], vcc, s[0:1]
	s_and_saveexec_b64 s[16:17], s[0:1]
	s_xor_b64 s[0:1], exec, s[16:17]
; %bb.213:
	v_cmp_ne_u32_e32 vcc, 0, v202
	s_nop 1
	v_cndmask_b32_e32 v202, 11, v202, vcc
; %bb.214:
	s_andn2_saveexec_b64 s[0:1], s[0:1]
	s_cbranch_execz .LBB92_220
; %bb.215:
	v_cmp_ngt_f64_e64 s[16:17], |v[188:189]|, |v[190:191]|
	s_and_saveexec_b64 s[18:19], s[16:17]
	s_xor_b64 s[16:17], exec, s[18:19]
	s_cbranch_execz .LBB92_217
; %bb.216:
	v_div_scale_f64 v[204:205], s[18:19], v[190:191], v[190:191], v[188:189]
	v_rcp_f64_e32 v[206:207], v[204:205]
	v_div_scale_f64 v[208:209], vcc, v[188:189], v[190:191], v[188:189]
	v_fma_f64 v[210:211], -v[204:205], v[206:207], 1.0
	v_fmac_f64_e32 v[206:207], v[206:207], v[210:211]
	v_fma_f64 v[210:211], -v[204:205], v[206:207], 1.0
	v_fmac_f64_e32 v[206:207], v[206:207], v[210:211]
	v_mul_f64 v[210:211], v[208:209], v[206:207]
	v_fma_f64 v[204:205], -v[204:205], v[210:211], v[208:209]
	v_div_fmas_f64 v[204:205], v[204:205], v[206:207], v[210:211]
	v_div_fixup_f64 v[204:205], v[204:205], v[190:191], v[188:189]
	v_fmac_f64_e32 v[190:191], v[188:189], v[204:205]
	v_div_scale_f64 v[188:189], s[18:19], v[190:191], v[190:191], 1.0
	v_rcp_f64_e32 v[206:207], v[188:189]
	s_nop 0
	v_fma_f64 v[208:209], -v[188:189], v[206:207], 1.0
	v_fmac_f64_e32 v[206:207], v[206:207], v[208:209]
	v_fma_f64 v[208:209], -v[188:189], v[206:207], 1.0
	v_fmac_f64_e32 v[206:207], v[206:207], v[208:209]
	v_div_scale_f64 v[208:209], vcc, 1.0, v[190:191], 1.0
	v_mul_f64 v[210:211], v[208:209], v[206:207]
	v_fma_f64 v[188:189], -v[188:189], v[210:211], v[208:209]
	s_nop 1
	v_div_fmas_f64 v[188:189], v[188:189], v[206:207], v[210:211]
	v_div_fixup_f64 v[190:191], v[188:189], v[190:191], 1.0
	v_mul_f64 v[188:189], v[204:205], v[190:191]
	v_xor_b32_e32 v191, 0x80000000, v191
.LBB92_217:
	s_andn2_saveexec_b64 s[16:17], s[16:17]
	s_cbranch_execz .LBB92_219
; %bb.218:
	v_div_scale_f64 v[204:205], s[18:19], v[188:189], v[188:189], v[190:191]
	v_rcp_f64_e32 v[206:207], v[204:205]
	v_div_scale_f64 v[208:209], vcc, v[190:191], v[188:189], v[190:191]
	v_fma_f64 v[210:211], -v[204:205], v[206:207], 1.0
	v_fmac_f64_e32 v[206:207], v[206:207], v[210:211]
	v_fma_f64 v[210:211], -v[204:205], v[206:207], 1.0
	v_fmac_f64_e32 v[206:207], v[206:207], v[210:211]
	v_mul_f64 v[210:211], v[208:209], v[206:207]
	v_fma_f64 v[204:205], -v[204:205], v[210:211], v[208:209]
	v_div_fmas_f64 v[204:205], v[204:205], v[206:207], v[210:211]
	v_div_fixup_f64 v[204:205], v[204:205], v[188:189], v[190:191]
	v_fmac_f64_e32 v[188:189], v[190:191], v[204:205]
	v_div_scale_f64 v[190:191], s[18:19], v[188:189], v[188:189], 1.0
	v_rcp_f64_e32 v[206:207], v[190:191]
	s_nop 0
	v_fma_f64 v[208:209], -v[190:191], v[206:207], 1.0
	v_fmac_f64_e32 v[206:207], v[206:207], v[208:209]
	v_fma_f64 v[208:209], -v[190:191], v[206:207], 1.0
	v_fmac_f64_e32 v[206:207], v[206:207], v[208:209]
	v_div_scale_f64 v[208:209], vcc, 1.0, v[188:189], 1.0
	v_mul_f64 v[210:211], v[208:209], v[206:207]
	v_fma_f64 v[190:191], -v[190:191], v[210:211], v[208:209]
	s_nop 1
	v_div_fmas_f64 v[190:191], v[190:191], v[206:207], v[210:211]
	v_div_fixup_f64 v[188:189], v[190:191], v[188:189], 1.0
	v_mul_f64 v[190:191], v[204:205], -v[188:189]
.LBB92_219:
	s_or_b64 exec, exec, s[16:17]
.LBB92_220:
	s_or_b64 exec, exec, s[0:1]
	v_cmp_ne_u32_e32 vcc, v201, v198
	s_and_saveexec_b64 s[0:1], vcc
	s_xor_b64 s[0:1], exec, s[0:1]
	s_cbranch_execz .LBB92_226
; %bb.221:
	v_cmp_eq_u32_e32 vcc, 10, v201
	s_and_saveexec_b64 s[16:17], vcc
	s_cbranch_execz .LBB92_225
; %bb.222:
	v_cmp_ne_u32_e32 vcc, 10, v198
	s_xor_b64 s[18:19], s[14:15], -1
	s_and_b64 s[22:23], s[18:19], vcc
	s_and_saveexec_b64 s[18:19], s[22:23]
	s_cbranch_execz .LBB92_224
; %bb.223:
	v_ashrrev_i32_e32 v199, 31, v198
	v_lshl_add_u64 v[204:205], v[198:199], 2, v[196:197]
	global_load_dword v199, v[204:205], off
	global_load_dword v201, v[196:197], off offset:40
	s_waitcnt vmcnt(1)
	global_store_dword v[196:197], v199, off offset:40
	s_waitcnt vmcnt(1)
	global_store_dword v[204:205], v201, off
.LBB92_224:
	s_or_b64 exec, exec, s[18:19]
	v_mov_b32_e32 v201, v198
	v_mov_b32_e32 v203, v198
.LBB92_225:
	s_or_b64 exec, exec, s[16:17]
.LBB92_226:
	s_andn2_saveexec_b64 s[0:1], s[0:1]
	s_cbranch_execz .LBB92_228
; %bb.227:
	v_mov_b32_e32 v201, 10
	s_waitcnt vmcnt(35)
	ds_write2_b64 v200, v[144:145], v[146:147] offset0:22 offset1:23
	s_waitcnt vmcnt(34)
	ds_write2_b64 v200, v[140:141], v[142:143] offset0:24 offset1:25
	;; [unrolled: 2-line block ×36, first 2 shown]
.LBB92_228:
	s_or_b64 exec, exec, s[0:1]
	v_cmp_lt_i32_e32 vcc, 10, v201
	s_waitcnt lgkmcnt(0)
	s_barrier
	s_and_saveexec_b64 s[0:1], vcc
	s_cbranch_execz .LBB92_230
; %bb.229:
	ds_read2_b64 v[204:207], v200 offset0:22 offset1:23
	v_mul_f64 v[198:199], v[190:191], v[150:151]
	v_mul_f64 v[150:151], v[188:189], v[150:151]
	v_fma_f64 v[198:199], v[188:189], v[148:149], -v[198:199]
	v_fmac_f64_e32 v[150:151], v[190:191], v[148:149]
	ds_read2_b64 v[188:191], v200 offset0:24 offset1:25
	s_waitcnt lgkmcnt(1)
	v_mul_f64 v[148:149], v[206:207], v[150:151]
	v_fma_f64 v[148:149], v[204:205], v[198:199], -v[148:149]
	v_mul_f64 v[204:205], v[204:205], v[150:151]
	v_fmac_f64_e32 v[204:205], v[206:207], v[198:199]
	s_waitcnt vmcnt(35)
	v_add_f64 v[144:145], v[144:145], -v[148:149]
	s_waitcnt lgkmcnt(0)
	v_mul_f64 v[148:149], v[190:191], v[150:151]
	v_add_f64 v[146:147], v[146:147], -v[204:205]
	v_fma_f64 v[148:149], v[188:189], v[198:199], -v[148:149]
	v_mul_f64 v[188:189], v[188:189], v[150:151]
	ds_read2_b64 v[204:207], v200 offset0:26 offset1:27
	v_fmac_f64_e32 v[188:189], v[190:191], v[198:199]
	s_waitcnt vmcnt(34)
	v_add_f64 v[142:143], v[142:143], -v[188:189]
	ds_read2_b64 v[188:191], v200 offset0:28 offset1:29
	v_add_f64 v[140:141], v[140:141], -v[148:149]
	s_waitcnt lgkmcnt(1)
	v_mul_f64 v[148:149], v[206:207], v[150:151]
	v_fma_f64 v[148:149], v[204:205], v[198:199], -v[148:149]
	v_mul_f64 v[204:205], v[204:205], v[150:151]
	v_fmac_f64_e32 v[204:205], v[206:207], v[198:199]
	s_waitcnt vmcnt(33)
	v_add_f64 v[136:137], v[136:137], -v[148:149]
	s_waitcnt lgkmcnt(0)
	v_mul_f64 v[148:149], v[190:191], v[150:151]
	v_add_f64 v[138:139], v[138:139], -v[204:205]
	v_fma_f64 v[148:149], v[188:189], v[198:199], -v[148:149]
	v_mul_f64 v[188:189], v[188:189], v[150:151]
	ds_read2_b64 v[204:207], v200 offset0:30 offset1:31
	v_fmac_f64_e32 v[188:189], v[190:191], v[198:199]
	s_waitcnt vmcnt(32)
	v_add_f64 v[134:135], v[134:135], -v[188:189]
	ds_read2_b64 v[188:191], v200 offset0:32 offset1:33
	v_add_f64 v[132:133], v[132:133], -v[148:149]
	;; [unrolled: 18-line block ×17, first 2 shown]
	s_waitcnt lgkmcnt(1)
	v_mul_f64 v[148:149], v[206:207], v[150:151]
	v_fma_f64 v[148:149], v[204:205], v[198:199], -v[148:149]
	s_waitcnt vmcnt(1)
	v_add_f64 v[0:1], v[0:1], -v[148:149]
	s_waitcnt lgkmcnt(0)
	v_mul_f64 v[148:149], v[190:191], v[150:151]
	v_mul_f64 v[204:205], v[204:205], v[150:151]
	v_fma_f64 v[148:149], v[188:189], v[198:199], -v[148:149]
	v_mul_f64 v[188:189], v[188:189], v[150:151]
	v_fmac_f64_e32 v[204:205], v[206:207], v[198:199]
	v_fmac_f64_e32 v[188:189], v[190:191], v[198:199]
	v_add_f64 v[2:3], v[2:3], -v[204:205]
	s_waitcnt vmcnt(0)
	v_add_f64 v[184:185], v[184:185], -v[148:149]
	v_add_f64 v[186:187], v[186:187], -v[188:189]
	v_mov_b64_e32 v[148:149], v[198:199]
.LBB92_230:
	s_or_b64 exec, exec, s[0:1]
	v_lshl_add_u32 v188, v201, 4, v200
	s_barrier
	s_waitcnt vmcnt(35)
	ds_write2_b64 v188, v[144:145], v[146:147] offset1:1
	s_waitcnt lgkmcnt(0)
	s_barrier
	ds_read2_b64 v[188:191], v200 offset0:22 offset1:23
	s_cmp_lt_i32 s20, 13
	v_mov_b32_e32 v198, 11
	s_cbranch_scc1 .LBB92_233
; %bb.231:
	v_add_u32_e32 v199, 0xc0, v200
	s_mov_b32 s16, 12
	v_mov_b32_e32 v198, 11
.LBB92_232:                             ; =>This Inner Loop Header: Depth=1
	ds_read2_b64 v[204:207], v199 offset1:1
	s_waitcnt lgkmcnt(1)
	v_xor_b32_e32 v209, 0x80000000, v189
	v_xor_b32_e32 v211, 0x80000000, v191
	v_cmp_gt_f64_e32 vcc, 0, v[190:191]
	v_cmp_gt_f64_e64 s[0:1], 0, v[188:189]
	v_mov_b32_e32 v208, v188
	v_mov_b32_e32 v210, v190
	v_cndmask_b32_e64 v209, v189, v209, s[0:1]
	v_cndmask_b32_e32 v211, v191, v211, vcc
	v_add_f64 v[208:209], v[208:209], v[210:211]
	s_waitcnt lgkmcnt(0)
	v_xor_b32_e32 v211, 0x80000000, v205
	v_xor_b32_e32 v213, 0x80000000, v207
	v_cmp_gt_f64_e32 vcc, 0, v[206:207]
	v_cmp_gt_f64_e64 s[0:1], 0, v[204:205]
	v_mov_b32_e32 v210, v204
	v_mov_b32_e32 v212, v206
	v_cndmask_b32_e64 v211, v205, v211, s[0:1]
	v_cndmask_b32_e32 v213, v207, v213, vcc
	v_add_f64 v[210:211], v[210:211], v[212:213]
	v_mov_b32_e32 v214, s16
	s_add_i32 s16, s16, 1
	v_cmp_lt_f64_e32 vcc, v[208:209], v[210:211]
	v_add_u32_e32 v199, 16, v199
	s_cmp_lg_u32 s20, s16
	v_cndmask_b32_e32 v189, v189, v205, vcc
	v_cndmask_b32_e32 v188, v188, v204, vcc
	;; [unrolled: 1-line block ×5, first 2 shown]
	s_cbranch_scc1 .LBB92_232
.LBB92_233:
	s_waitcnt lgkmcnt(0)
	v_cmp_eq_f64_e32 vcc, 0, v[188:189]
	v_cmp_eq_f64_e64 s[0:1], 0, v[190:191]
	s_and_b64 s[0:1], vcc, s[0:1]
	s_and_saveexec_b64 s[16:17], s[0:1]
	s_xor_b64 s[0:1], exec, s[16:17]
; %bb.234:
	v_cmp_ne_u32_e32 vcc, 0, v202
	s_nop 1
	v_cndmask_b32_e32 v202, 12, v202, vcc
; %bb.235:
	s_andn2_saveexec_b64 s[0:1], s[0:1]
	s_cbranch_execz .LBB92_241
; %bb.236:
	v_cmp_ngt_f64_e64 s[16:17], |v[188:189]|, |v[190:191]|
	s_and_saveexec_b64 s[18:19], s[16:17]
	s_xor_b64 s[16:17], exec, s[18:19]
	s_cbranch_execz .LBB92_238
; %bb.237:
	v_div_scale_f64 v[204:205], s[18:19], v[190:191], v[190:191], v[188:189]
	v_rcp_f64_e32 v[206:207], v[204:205]
	v_div_scale_f64 v[208:209], vcc, v[188:189], v[190:191], v[188:189]
	v_fma_f64 v[210:211], -v[204:205], v[206:207], 1.0
	v_fmac_f64_e32 v[206:207], v[206:207], v[210:211]
	v_fma_f64 v[210:211], -v[204:205], v[206:207], 1.0
	v_fmac_f64_e32 v[206:207], v[206:207], v[210:211]
	v_mul_f64 v[210:211], v[208:209], v[206:207]
	v_fma_f64 v[204:205], -v[204:205], v[210:211], v[208:209]
	v_div_fmas_f64 v[204:205], v[204:205], v[206:207], v[210:211]
	v_div_fixup_f64 v[204:205], v[204:205], v[190:191], v[188:189]
	v_fmac_f64_e32 v[190:191], v[188:189], v[204:205]
	v_div_scale_f64 v[188:189], s[18:19], v[190:191], v[190:191], 1.0
	v_rcp_f64_e32 v[206:207], v[188:189]
	s_nop 0
	v_fma_f64 v[208:209], -v[188:189], v[206:207], 1.0
	v_fmac_f64_e32 v[206:207], v[206:207], v[208:209]
	v_fma_f64 v[208:209], -v[188:189], v[206:207], 1.0
	v_fmac_f64_e32 v[206:207], v[206:207], v[208:209]
	v_div_scale_f64 v[208:209], vcc, 1.0, v[190:191], 1.0
	v_mul_f64 v[210:211], v[208:209], v[206:207]
	v_fma_f64 v[188:189], -v[188:189], v[210:211], v[208:209]
	s_nop 1
	v_div_fmas_f64 v[188:189], v[188:189], v[206:207], v[210:211]
	v_div_fixup_f64 v[190:191], v[188:189], v[190:191], 1.0
	v_mul_f64 v[188:189], v[204:205], v[190:191]
	v_xor_b32_e32 v191, 0x80000000, v191
.LBB92_238:
	s_andn2_saveexec_b64 s[16:17], s[16:17]
	s_cbranch_execz .LBB92_240
; %bb.239:
	v_div_scale_f64 v[204:205], s[18:19], v[188:189], v[188:189], v[190:191]
	v_rcp_f64_e32 v[206:207], v[204:205]
	v_div_scale_f64 v[208:209], vcc, v[190:191], v[188:189], v[190:191]
	v_fma_f64 v[210:211], -v[204:205], v[206:207], 1.0
	v_fmac_f64_e32 v[206:207], v[206:207], v[210:211]
	v_fma_f64 v[210:211], -v[204:205], v[206:207], 1.0
	v_fmac_f64_e32 v[206:207], v[206:207], v[210:211]
	v_mul_f64 v[210:211], v[208:209], v[206:207]
	v_fma_f64 v[204:205], -v[204:205], v[210:211], v[208:209]
	v_div_fmas_f64 v[204:205], v[204:205], v[206:207], v[210:211]
	v_div_fixup_f64 v[204:205], v[204:205], v[188:189], v[190:191]
	v_fmac_f64_e32 v[188:189], v[190:191], v[204:205]
	v_div_scale_f64 v[190:191], s[18:19], v[188:189], v[188:189], 1.0
	v_rcp_f64_e32 v[206:207], v[190:191]
	s_nop 0
	v_fma_f64 v[208:209], -v[190:191], v[206:207], 1.0
	v_fmac_f64_e32 v[206:207], v[206:207], v[208:209]
	v_fma_f64 v[208:209], -v[190:191], v[206:207], 1.0
	v_fmac_f64_e32 v[206:207], v[206:207], v[208:209]
	v_div_scale_f64 v[208:209], vcc, 1.0, v[188:189], 1.0
	v_mul_f64 v[210:211], v[208:209], v[206:207]
	v_fma_f64 v[190:191], -v[190:191], v[210:211], v[208:209]
	s_nop 1
	v_div_fmas_f64 v[190:191], v[190:191], v[206:207], v[210:211]
	v_div_fixup_f64 v[188:189], v[190:191], v[188:189], 1.0
	v_mul_f64 v[190:191], v[204:205], -v[188:189]
.LBB92_240:
	s_or_b64 exec, exec, s[16:17]
.LBB92_241:
	s_or_b64 exec, exec, s[0:1]
	v_cmp_ne_u32_e32 vcc, v201, v198
	s_and_saveexec_b64 s[0:1], vcc
	s_xor_b64 s[0:1], exec, s[0:1]
	s_cbranch_execz .LBB92_247
; %bb.242:
	v_cmp_eq_u32_e32 vcc, 11, v201
	s_and_saveexec_b64 s[16:17], vcc
	s_cbranch_execz .LBB92_246
; %bb.243:
	v_cmp_ne_u32_e32 vcc, 11, v198
	s_xor_b64 s[18:19], s[14:15], -1
	s_and_b64 s[22:23], s[18:19], vcc
	s_and_saveexec_b64 s[18:19], s[22:23]
	s_cbranch_execz .LBB92_245
; %bb.244:
	v_ashrrev_i32_e32 v199, 31, v198
	v_lshl_add_u64 v[204:205], v[198:199], 2, v[196:197]
	global_load_dword v199, v[204:205], off
	global_load_dword v201, v[196:197], off offset:44
	s_waitcnt vmcnt(1)
	global_store_dword v[196:197], v199, off offset:44
	s_waitcnt vmcnt(1)
	global_store_dword v[204:205], v201, off
.LBB92_245:
	s_or_b64 exec, exec, s[18:19]
	v_mov_b32_e32 v201, v198
	v_mov_b32_e32 v203, v198
.LBB92_246:
	s_or_b64 exec, exec, s[16:17]
.LBB92_247:
	s_andn2_saveexec_b64 s[0:1], s[0:1]
	s_cbranch_execz .LBB92_249
; %bb.248:
	v_mov_b32_e32 v201, 11
	s_waitcnt vmcnt(34)
	ds_write2_b64 v200, v[140:141], v[142:143] offset0:24 offset1:25
	s_waitcnt vmcnt(33)
	ds_write2_b64 v200, v[136:137], v[138:139] offset0:26 offset1:27
	;; [unrolled: 2-line block ×35, first 2 shown]
.LBB92_249:
	s_or_b64 exec, exec, s[0:1]
	v_cmp_lt_i32_e32 vcc, 11, v201
	s_waitcnt lgkmcnt(0)
	s_barrier
	s_and_saveexec_b64 s[0:1], vcc
	s_cbranch_execz .LBB92_251
; %bb.250:
	ds_read2_b64 v[204:207], v200 offset0:24 offset1:25
	v_mul_f64 v[198:199], v[190:191], v[146:147]
	v_mul_f64 v[146:147], v[188:189], v[146:147]
	v_fmac_f64_e32 v[146:147], v[190:191], v[144:145]
	v_fma_f64 v[198:199], v[188:189], v[144:145], -v[198:199]
	ds_read2_b64 v[188:191], v200 offset0:26 offset1:27
	s_waitcnt lgkmcnt(1)
	v_mul_f64 v[144:145], v[206:207], v[146:147]
	v_fma_f64 v[144:145], v[204:205], v[198:199], -v[144:145]
	v_mul_f64 v[204:205], v[204:205], v[146:147]
	v_fmac_f64_e32 v[204:205], v[206:207], v[198:199]
	s_waitcnt vmcnt(34)
	v_add_f64 v[142:143], v[142:143], -v[204:205]
	ds_read2_b64 v[204:207], v200 offset0:28 offset1:29
	v_add_f64 v[140:141], v[140:141], -v[144:145]
	s_waitcnt lgkmcnt(1)
	v_mul_f64 v[144:145], v[190:191], v[146:147]
	v_fma_f64 v[144:145], v[188:189], v[198:199], -v[144:145]
	v_mul_f64 v[188:189], v[188:189], v[146:147]
	v_fmac_f64_e32 v[188:189], v[190:191], v[198:199]
	s_waitcnt vmcnt(33)
	v_add_f64 v[136:137], v[136:137], -v[144:145]
	v_add_f64 v[138:139], v[138:139], -v[188:189]
	ds_read2_b64 v[188:191], v200 offset0:30 offset1:31
	s_waitcnt lgkmcnt(1)
	v_mul_f64 v[144:145], v[206:207], v[146:147]
	v_fma_f64 v[144:145], v[204:205], v[198:199], -v[144:145]
	v_mul_f64 v[204:205], v[204:205], v[146:147]
	v_fmac_f64_e32 v[204:205], v[206:207], v[198:199]
	s_waitcnt vmcnt(32)
	v_add_f64 v[134:135], v[134:135], -v[204:205]
	ds_read2_b64 v[204:207], v200 offset0:32 offset1:33
	v_add_f64 v[132:133], v[132:133], -v[144:145]
	s_waitcnt lgkmcnt(1)
	v_mul_f64 v[144:145], v[190:191], v[146:147]
	v_fma_f64 v[144:145], v[188:189], v[198:199], -v[144:145]
	v_mul_f64 v[188:189], v[188:189], v[146:147]
	v_fmac_f64_e32 v[188:189], v[190:191], v[198:199]
	s_waitcnt vmcnt(31)
	v_add_f64 v[128:129], v[128:129], -v[144:145]
	v_add_f64 v[130:131], v[130:131], -v[188:189]
	;; [unrolled: 18-line block ×17, first 2 shown]
	s_waitcnt lgkmcnt(0)
	v_mul_f64 v[144:145], v[206:207], v[146:147]
	v_mul_f64 v[188:189], v[204:205], v[146:147]
	v_fma_f64 v[144:145], v[204:205], v[198:199], -v[144:145]
	v_fmac_f64_e32 v[188:189], v[206:207], v[198:199]
	s_waitcnt vmcnt(0)
	v_add_f64 v[184:185], v[184:185], -v[144:145]
	v_add_f64 v[186:187], v[186:187], -v[188:189]
	v_mov_b64_e32 v[144:145], v[198:199]
.LBB92_251:
	s_or_b64 exec, exec, s[0:1]
	v_lshl_add_u32 v188, v201, 4, v200
	s_barrier
	s_waitcnt vmcnt(34)
	ds_write2_b64 v188, v[140:141], v[142:143] offset1:1
	s_waitcnt lgkmcnt(0)
	s_barrier
	ds_read2_b64 v[188:191], v200 offset0:24 offset1:25
	s_cmp_lt_i32 s20, 14
	v_mov_b32_e32 v198, 12
	s_cbranch_scc1 .LBB92_254
; %bb.252:
	v_add_u32_e32 v199, 0xd0, v200
	s_mov_b32 s16, 13
	v_mov_b32_e32 v198, 12
.LBB92_253:                             ; =>This Inner Loop Header: Depth=1
	ds_read2_b64 v[204:207], v199 offset1:1
	s_waitcnt lgkmcnt(1)
	v_xor_b32_e32 v209, 0x80000000, v189
	v_xor_b32_e32 v211, 0x80000000, v191
	v_cmp_gt_f64_e32 vcc, 0, v[190:191]
	v_cmp_gt_f64_e64 s[0:1], 0, v[188:189]
	v_mov_b32_e32 v208, v188
	v_mov_b32_e32 v210, v190
	v_cndmask_b32_e64 v209, v189, v209, s[0:1]
	v_cndmask_b32_e32 v211, v191, v211, vcc
	v_add_f64 v[208:209], v[208:209], v[210:211]
	s_waitcnt lgkmcnt(0)
	v_xor_b32_e32 v211, 0x80000000, v205
	v_xor_b32_e32 v213, 0x80000000, v207
	v_cmp_gt_f64_e32 vcc, 0, v[206:207]
	v_cmp_gt_f64_e64 s[0:1], 0, v[204:205]
	v_mov_b32_e32 v210, v204
	v_mov_b32_e32 v212, v206
	v_cndmask_b32_e64 v211, v205, v211, s[0:1]
	v_cndmask_b32_e32 v213, v207, v213, vcc
	v_add_f64 v[210:211], v[210:211], v[212:213]
	v_mov_b32_e32 v214, s16
	s_add_i32 s16, s16, 1
	v_cmp_lt_f64_e32 vcc, v[208:209], v[210:211]
	v_add_u32_e32 v199, 16, v199
	s_cmp_lg_u32 s20, s16
	v_cndmask_b32_e32 v189, v189, v205, vcc
	v_cndmask_b32_e32 v188, v188, v204, vcc
	v_cndmask_b32_e32 v191, v191, v207, vcc
	v_cndmask_b32_e32 v190, v190, v206, vcc
	v_cndmask_b32_e32 v198, v198, v214, vcc
	s_cbranch_scc1 .LBB92_253
.LBB92_254:
	s_waitcnt lgkmcnt(0)
	v_cmp_eq_f64_e32 vcc, 0, v[188:189]
	v_cmp_eq_f64_e64 s[0:1], 0, v[190:191]
	s_and_b64 s[0:1], vcc, s[0:1]
	s_and_saveexec_b64 s[16:17], s[0:1]
	s_xor_b64 s[0:1], exec, s[16:17]
; %bb.255:
	v_cmp_ne_u32_e32 vcc, 0, v202
	s_nop 1
	v_cndmask_b32_e32 v202, 13, v202, vcc
; %bb.256:
	s_andn2_saveexec_b64 s[0:1], s[0:1]
	s_cbranch_execz .LBB92_262
; %bb.257:
	v_cmp_ngt_f64_e64 s[16:17], |v[188:189]|, |v[190:191]|
	s_and_saveexec_b64 s[18:19], s[16:17]
	s_xor_b64 s[16:17], exec, s[18:19]
	s_cbranch_execz .LBB92_259
; %bb.258:
	v_div_scale_f64 v[204:205], s[18:19], v[190:191], v[190:191], v[188:189]
	v_rcp_f64_e32 v[206:207], v[204:205]
	v_div_scale_f64 v[208:209], vcc, v[188:189], v[190:191], v[188:189]
	v_fma_f64 v[210:211], -v[204:205], v[206:207], 1.0
	v_fmac_f64_e32 v[206:207], v[206:207], v[210:211]
	v_fma_f64 v[210:211], -v[204:205], v[206:207], 1.0
	v_fmac_f64_e32 v[206:207], v[206:207], v[210:211]
	v_mul_f64 v[210:211], v[208:209], v[206:207]
	v_fma_f64 v[204:205], -v[204:205], v[210:211], v[208:209]
	v_div_fmas_f64 v[204:205], v[204:205], v[206:207], v[210:211]
	v_div_fixup_f64 v[204:205], v[204:205], v[190:191], v[188:189]
	v_fmac_f64_e32 v[190:191], v[188:189], v[204:205]
	v_div_scale_f64 v[188:189], s[18:19], v[190:191], v[190:191], 1.0
	v_rcp_f64_e32 v[206:207], v[188:189]
	s_nop 0
	v_fma_f64 v[208:209], -v[188:189], v[206:207], 1.0
	v_fmac_f64_e32 v[206:207], v[206:207], v[208:209]
	v_fma_f64 v[208:209], -v[188:189], v[206:207], 1.0
	v_fmac_f64_e32 v[206:207], v[206:207], v[208:209]
	v_div_scale_f64 v[208:209], vcc, 1.0, v[190:191], 1.0
	v_mul_f64 v[210:211], v[208:209], v[206:207]
	v_fma_f64 v[188:189], -v[188:189], v[210:211], v[208:209]
	s_nop 1
	v_div_fmas_f64 v[188:189], v[188:189], v[206:207], v[210:211]
	v_div_fixup_f64 v[190:191], v[188:189], v[190:191], 1.0
	v_mul_f64 v[188:189], v[204:205], v[190:191]
	v_xor_b32_e32 v191, 0x80000000, v191
.LBB92_259:
	s_andn2_saveexec_b64 s[16:17], s[16:17]
	s_cbranch_execz .LBB92_261
; %bb.260:
	v_div_scale_f64 v[204:205], s[18:19], v[188:189], v[188:189], v[190:191]
	v_rcp_f64_e32 v[206:207], v[204:205]
	v_div_scale_f64 v[208:209], vcc, v[190:191], v[188:189], v[190:191]
	v_fma_f64 v[210:211], -v[204:205], v[206:207], 1.0
	v_fmac_f64_e32 v[206:207], v[206:207], v[210:211]
	v_fma_f64 v[210:211], -v[204:205], v[206:207], 1.0
	v_fmac_f64_e32 v[206:207], v[206:207], v[210:211]
	v_mul_f64 v[210:211], v[208:209], v[206:207]
	v_fma_f64 v[204:205], -v[204:205], v[210:211], v[208:209]
	v_div_fmas_f64 v[204:205], v[204:205], v[206:207], v[210:211]
	v_div_fixup_f64 v[204:205], v[204:205], v[188:189], v[190:191]
	v_fmac_f64_e32 v[188:189], v[190:191], v[204:205]
	v_div_scale_f64 v[190:191], s[18:19], v[188:189], v[188:189], 1.0
	v_rcp_f64_e32 v[206:207], v[190:191]
	s_nop 0
	v_fma_f64 v[208:209], -v[190:191], v[206:207], 1.0
	v_fmac_f64_e32 v[206:207], v[206:207], v[208:209]
	v_fma_f64 v[208:209], -v[190:191], v[206:207], 1.0
	v_fmac_f64_e32 v[206:207], v[206:207], v[208:209]
	v_div_scale_f64 v[208:209], vcc, 1.0, v[188:189], 1.0
	v_mul_f64 v[210:211], v[208:209], v[206:207]
	v_fma_f64 v[190:191], -v[190:191], v[210:211], v[208:209]
	s_nop 1
	v_div_fmas_f64 v[190:191], v[190:191], v[206:207], v[210:211]
	v_div_fixup_f64 v[188:189], v[190:191], v[188:189], 1.0
	v_mul_f64 v[190:191], v[204:205], -v[188:189]
.LBB92_261:
	s_or_b64 exec, exec, s[16:17]
.LBB92_262:
	s_or_b64 exec, exec, s[0:1]
	v_cmp_ne_u32_e32 vcc, v201, v198
	s_and_saveexec_b64 s[0:1], vcc
	s_xor_b64 s[0:1], exec, s[0:1]
	s_cbranch_execz .LBB92_268
; %bb.263:
	v_cmp_eq_u32_e32 vcc, 12, v201
	s_and_saveexec_b64 s[16:17], vcc
	s_cbranch_execz .LBB92_267
; %bb.264:
	v_cmp_ne_u32_e32 vcc, 12, v198
	s_xor_b64 s[18:19], s[14:15], -1
	s_and_b64 s[22:23], s[18:19], vcc
	s_and_saveexec_b64 s[18:19], s[22:23]
	s_cbranch_execz .LBB92_266
; %bb.265:
	v_ashrrev_i32_e32 v199, 31, v198
	v_lshl_add_u64 v[204:205], v[198:199], 2, v[196:197]
	global_load_dword v199, v[204:205], off
	global_load_dword v201, v[196:197], off offset:48
	s_waitcnt vmcnt(1)
	global_store_dword v[196:197], v199, off offset:48
	s_waitcnt vmcnt(1)
	global_store_dword v[204:205], v201, off
.LBB92_266:
	s_or_b64 exec, exec, s[18:19]
	v_mov_b32_e32 v201, v198
	v_mov_b32_e32 v203, v198
.LBB92_267:
	s_or_b64 exec, exec, s[16:17]
.LBB92_268:
	s_andn2_saveexec_b64 s[0:1], s[0:1]
	s_cbranch_execz .LBB92_270
; %bb.269:
	v_mov_b32_e32 v201, 12
	s_waitcnt vmcnt(33)
	ds_write2_b64 v200, v[136:137], v[138:139] offset0:26 offset1:27
	s_waitcnt vmcnt(32)
	ds_write2_b64 v200, v[132:133], v[134:135] offset0:28 offset1:29
	;; [unrolled: 2-line block ×34, first 2 shown]
.LBB92_270:
	s_or_b64 exec, exec, s[0:1]
	v_cmp_lt_i32_e32 vcc, 12, v201
	s_waitcnt lgkmcnt(0)
	s_barrier
	s_and_saveexec_b64 s[0:1], vcc
	s_cbranch_execz .LBB92_272
; %bb.271:
	ds_read2_b64 v[204:207], v200 offset0:26 offset1:27
	v_mul_f64 v[198:199], v[190:191], v[142:143]
	v_mul_f64 v[142:143], v[188:189], v[142:143]
	v_fma_f64 v[198:199], v[188:189], v[140:141], -v[198:199]
	v_fmac_f64_e32 v[142:143], v[190:191], v[140:141]
	ds_read2_b64 v[188:191], v200 offset0:28 offset1:29
	s_waitcnt lgkmcnt(1)
	v_mul_f64 v[140:141], v[206:207], v[142:143]
	v_fma_f64 v[140:141], v[204:205], v[198:199], -v[140:141]
	v_mul_f64 v[204:205], v[204:205], v[142:143]
	v_fmac_f64_e32 v[204:205], v[206:207], v[198:199]
	s_waitcnt vmcnt(33)
	v_add_f64 v[136:137], v[136:137], -v[140:141]
	s_waitcnt lgkmcnt(0)
	v_mul_f64 v[140:141], v[190:191], v[142:143]
	v_add_f64 v[138:139], v[138:139], -v[204:205]
	v_fma_f64 v[140:141], v[188:189], v[198:199], -v[140:141]
	v_mul_f64 v[188:189], v[188:189], v[142:143]
	ds_read2_b64 v[204:207], v200 offset0:30 offset1:31
	v_fmac_f64_e32 v[188:189], v[190:191], v[198:199]
	s_waitcnt vmcnt(32)
	v_add_f64 v[134:135], v[134:135], -v[188:189]
	ds_read2_b64 v[188:191], v200 offset0:32 offset1:33
	v_add_f64 v[132:133], v[132:133], -v[140:141]
	s_waitcnt lgkmcnt(1)
	v_mul_f64 v[140:141], v[206:207], v[142:143]
	v_fma_f64 v[140:141], v[204:205], v[198:199], -v[140:141]
	v_mul_f64 v[204:205], v[204:205], v[142:143]
	v_fmac_f64_e32 v[204:205], v[206:207], v[198:199]
	s_waitcnt vmcnt(31)
	v_add_f64 v[128:129], v[128:129], -v[140:141]
	s_waitcnt lgkmcnt(0)
	v_mul_f64 v[140:141], v[190:191], v[142:143]
	v_add_f64 v[130:131], v[130:131], -v[204:205]
	v_fma_f64 v[140:141], v[188:189], v[198:199], -v[140:141]
	v_mul_f64 v[188:189], v[188:189], v[142:143]
	ds_read2_b64 v[204:207], v200 offset0:34 offset1:35
	v_fmac_f64_e32 v[188:189], v[190:191], v[198:199]
	s_waitcnt vmcnt(30)
	v_add_f64 v[118:119], v[118:119], -v[188:189]
	ds_read2_b64 v[188:191], v200 offset0:36 offset1:37
	v_add_f64 v[116:117], v[116:117], -v[140:141]
	;; [unrolled: 18-line block ×16, first 2 shown]
	s_waitcnt lgkmcnt(1)
	v_mul_f64 v[140:141], v[206:207], v[142:143]
	v_fma_f64 v[140:141], v[204:205], v[198:199], -v[140:141]
	s_waitcnt vmcnt(1)
	v_add_f64 v[0:1], v[0:1], -v[140:141]
	s_waitcnt lgkmcnt(0)
	v_mul_f64 v[140:141], v[190:191], v[142:143]
	v_mul_f64 v[204:205], v[204:205], v[142:143]
	v_fma_f64 v[140:141], v[188:189], v[198:199], -v[140:141]
	v_mul_f64 v[188:189], v[188:189], v[142:143]
	v_fmac_f64_e32 v[204:205], v[206:207], v[198:199]
	v_fmac_f64_e32 v[188:189], v[190:191], v[198:199]
	v_add_f64 v[2:3], v[2:3], -v[204:205]
	s_waitcnt vmcnt(0)
	v_add_f64 v[184:185], v[184:185], -v[140:141]
	v_add_f64 v[186:187], v[186:187], -v[188:189]
	v_mov_b64_e32 v[140:141], v[198:199]
.LBB92_272:
	s_or_b64 exec, exec, s[0:1]
	v_lshl_add_u32 v188, v201, 4, v200
	s_barrier
	s_waitcnt vmcnt(33)
	ds_write2_b64 v188, v[136:137], v[138:139] offset1:1
	s_waitcnt lgkmcnt(0)
	s_barrier
	ds_read2_b64 v[188:191], v200 offset0:26 offset1:27
	s_cmp_lt_i32 s20, 15
	v_mov_b32_e32 v198, 13
	s_cbranch_scc1 .LBB92_275
; %bb.273:
	v_add_u32_e32 v199, 0xe0, v200
	s_mov_b32 s16, 14
	v_mov_b32_e32 v198, 13
.LBB92_274:                             ; =>This Inner Loop Header: Depth=1
	ds_read2_b64 v[204:207], v199 offset1:1
	s_waitcnt lgkmcnt(1)
	v_xor_b32_e32 v209, 0x80000000, v189
	v_xor_b32_e32 v211, 0x80000000, v191
	v_cmp_gt_f64_e32 vcc, 0, v[190:191]
	v_cmp_gt_f64_e64 s[0:1], 0, v[188:189]
	v_mov_b32_e32 v208, v188
	v_mov_b32_e32 v210, v190
	v_cndmask_b32_e64 v209, v189, v209, s[0:1]
	v_cndmask_b32_e32 v211, v191, v211, vcc
	v_add_f64 v[208:209], v[208:209], v[210:211]
	s_waitcnt lgkmcnt(0)
	v_xor_b32_e32 v211, 0x80000000, v205
	v_xor_b32_e32 v213, 0x80000000, v207
	v_cmp_gt_f64_e32 vcc, 0, v[206:207]
	v_cmp_gt_f64_e64 s[0:1], 0, v[204:205]
	v_mov_b32_e32 v210, v204
	v_mov_b32_e32 v212, v206
	v_cndmask_b32_e64 v211, v205, v211, s[0:1]
	v_cndmask_b32_e32 v213, v207, v213, vcc
	v_add_f64 v[210:211], v[210:211], v[212:213]
	v_mov_b32_e32 v214, s16
	s_add_i32 s16, s16, 1
	v_cmp_lt_f64_e32 vcc, v[208:209], v[210:211]
	v_add_u32_e32 v199, 16, v199
	s_cmp_lg_u32 s20, s16
	v_cndmask_b32_e32 v189, v189, v205, vcc
	v_cndmask_b32_e32 v188, v188, v204, vcc
	;; [unrolled: 1-line block ×5, first 2 shown]
	s_cbranch_scc1 .LBB92_274
.LBB92_275:
	s_waitcnt lgkmcnt(0)
	v_cmp_eq_f64_e32 vcc, 0, v[188:189]
	v_cmp_eq_f64_e64 s[0:1], 0, v[190:191]
	s_and_b64 s[0:1], vcc, s[0:1]
	s_and_saveexec_b64 s[16:17], s[0:1]
	s_xor_b64 s[0:1], exec, s[16:17]
; %bb.276:
	v_cmp_ne_u32_e32 vcc, 0, v202
	s_nop 1
	v_cndmask_b32_e32 v202, 14, v202, vcc
; %bb.277:
	s_andn2_saveexec_b64 s[0:1], s[0:1]
	s_cbranch_execz .LBB92_283
; %bb.278:
	v_cmp_ngt_f64_e64 s[16:17], |v[188:189]|, |v[190:191]|
	s_and_saveexec_b64 s[18:19], s[16:17]
	s_xor_b64 s[16:17], exec, s[18:19]
	s_cbranch_execz .LBB92_280
; %bb.279:
	v_div_scale_f64 v[204:205], s[18:19], v[190:191], v[190:191], v[188:189]
	v_rcp_f64_e32 v[206:207], v[204:205]
	v_div_scale_f64 v[208:209], vcc, v[188:189], v[190:191], v[188:189]
	v_fma_f64 v[210:211], -v[204:205], v[206:207], 1.0
	v_fmac_f64_e32 v[206:207], v[206:207], v[210:211]
	v_fma_f64 v[210:211], -v[204:205], v[206:207], 1.0
	v_fmac_f64_e32 v[206:207], v[206:207], v[210:211]
	v_mul_f64 v[210:211], v[208:209], v[206:207]
	v_fma_f64 v[204:205], -v[204:205], v[210:211], v[208:209]
	v_div_fmas_f64 v[204:205], v[204:205], v[206:207], v[210:211]
	v_div_fixup_f64 v[204:205], v[204:205], v[190:191], v[188:189]
	v_fmac_f64_e32 v[190:191], v[188:189], v[204:205]
	v_div_scale_f64 v[188:189], s[18:19], v[190:191], v[190:191], 1.0
	v_rcp_f64_e32 v[206:207], v[188:189]
	s_nop 0
	v_fma_f64 v[208:209], -v[188:189], v[206:207], 1.0
	v_fmac_f64_e32 v[206:207], v[206:207], v[208:209]
	v_fma_f64 v[208:209], -v[188:189], v[206:207], 1.0
	v_fmac_f64_e32 v[206:207], v[206:207], v[208:209]
	v_div_scale_f64 v[208:209], vcc, 1.0, v[190:191], 1.0
	v_mul_f64 v[210:211], v[208:209], v[206:207]
	v_fma_f64 v[188:189], -v[188:189], v[210:211], v[208:209]
	s_nop 1
	v_div_fmas_f64 v[188:189], v[188:189], v[206:207], v[210:211]
	v_div_fixup_f64 v[190:191], v[188:189], v[190:191], 1.0
	v_mul_f64 v[188:189], v[204:205], v[190:191]
	v_xor_b32_e32 v191, 0x80000000, v191
.LBB92_280:
	s_andn2_saveexec_b64 s[16:17], s[16:17]
	s_cbranch_execz .LBB92_282
; %bb.281:
	v_div_scale_f64 v[204:205], s[18:19], v[188:189], v[188:189], v[190:191]
	v_rcp_f64_e32 v[206:207], v[204:205]
	v_div_scale_f64 v[208:209], vcc, v[190:191], v[188:189], v[190:191]
	v_fma_f64 v[210:211], -v[204:205], v[206:207], 1.0
	v_fmac_f64_e32 v[206:207], v[206:207], v[210:211]
	v_fma_f64 v[210:211], -v[204:205], v[206:207], 1.0
	v_fmac_f64_e32 v[206:207], v[206:207], v[210:211]
	v_mul_f64 v[210:211], v[208:209], v[206:207]
	v_fma_f64 v[204:205], -v[204:205], v[210:211], v[208:209]
	v_div_fmas_f64 v[204:205], v[204:205], v[206:207], v[210:211]
	v_div_fixup_f64 v[204:205], v[204:205], v[188:189], v[190:191]
	v_fmac_f64_e32 v[188:189], v[190:191], v[204:205]
	v_div_scale_f64 v[190:191], s[18:19], v[188:189], v[188:189], 1.0
	v_rcp_f64_e32 v[206:207], v[190:191]
	s_nop 0
	v_fma_f64 v[208:209], -v[190:191], v[206:207], 1.0
	v_fmac_f64_e32 v[206:207], v[206:207], v[208:209]
	v_fma_f64 v[208:209], -v[190:191], v[206:207], 1.0
	v_fmac_f64_e32 v[206:207], v[206:207], v[208:209]
	v_div_scale_f64 v[208:209], vcc, 1.0, v[188:189], 1.0
	v_mul_f64 v[210:211], v[208:209], v[206:207]
	v_fma_f64 v[190:191], -v[190:191], v[210:211], v[208:209]
	s_nop 1
	v_div_fmas_f64 v[190:191], v[190:191], v[206:207], v[210:211]
	v_div_fixup_f64 v[188:189], v[190:191], v[188:189], 1.0
	v_mul_f64 v[190:191], v[204:205], -v[188:189]
.LBB92_282:
	s_or_b64 exec, exec, s[16:17]
.LBB92_283:
	s_or_b64 exec, exec, s[0:1]
	v_cmp_ne_u32_e32 vcc, v201, v198
	s_and_saveexec_b64 s[0:1], vcc
	s_xor_b64 s[0:1], exec, s[0:1]
	s_cbranch_execz .LBB92_289
; %bb.284:
	v_cmp_eq_u32_e32 vcc, 13, v201
	s_and_saveexec_b64 s[16:17], vcc
	s_cbranch_execz .LBB92_288
; %bb.285:
	v_cmp_ne_u32_e32 vcc, 13, v198
	s_xor_b64 s[18:19], s[14:15], -1
	s_and_b64 s[22:23], s[18:19], vcc
	s_and_saveexec_b64 s[18:19], s[22:23]
	s_cbranch_execz .LBB92_287
; %bb.286:
	v_ashrrev_i32_e32 v199, 31, v198
	v_lshl_add_u64 v[204:205], v[198:199], 2, v[196:197]
	global_load_dword v199, v[204:205], off
	global_load_dword v201, v[196:197], off offset:52
	s_waitcnt vmcnt(1)
	global_store_dword v[196:197], v199, off offset:52
	s_waitcnt vmcnt(1)
	global_store_dword v[204:205], v201, off
.LBB92_287:
	s_or_b64 exec, exec, s[18:19]
	v_mov_b32_e32 v201, v198
	v_mov_b32_e32 v203, v198
.LBB92_288:
	s_or_b64 exec, exec, s[16:17]
.LBB92_289:
	s_andn2_saveexec_b64 s[0:1], s[0:1]
	s_cbranch_execz .LBB92_291
; %bb.290:
	v_mov_b32_e32 v201, 13
	s_waitcnt vmcnt(32)
	ds_write2_b64 v200, v[132:133], v[134:135] offset0:28 offset1:29
	s_waitcnt vmcnt(31)
	ds_write2_b64 v200, v[128:129], v[130:131] offset0:30 offset1:31
	;; [unrolled: 2-line block ×33, first 2 shown]
.LBB92_291:
	s_or_b64 exec, exec, s[0:1]
	v_cmp_lt_i32_e32 vcc, 13, v201
	s_waitcnt lgkmcnt(0)
	s_barrier
	s_and_saveexec_b64 s[0:1], vcc
	s_cbranch_execz .LBB92_293
; %bb.292:
	ds_read2_b64 v[204:207], v200 offset0:28 offset1:29
	v_mul_f64 v[198:199], v[190:191], v[138:139]
	v_mul_f64 v[138:139], v[188:189], v[138:139]
	v_fmac_f64_e32 v[138:139], v[190:191], v[136:137]
	v_fma_f64 v[198:199], v[188:189], v[136:137], -v[198:199]
	ds_read2_b64 v[188:191], v200 offset0:30 offset1:31
	s_waitcnt lgkmcnt(1)
	v_mul_f64 v[136:137], v[206:207], v[138:139]
	v_fma_f64 v[136:137], v[204:205], v[198:199], -v[136:137]
	v_mul_f64 v[204:205], v[204:205], v[138:139]
	v_fmac_f64_e32 v[204:205], v[206:207], v[198:199]
	s_waitcnt vmcnt(32)
	v_add_f64 v[134:135], v[134:135], -v[204:205]
	ds_read2_b64 v[204:207], v200 offset0:32 offset1:33
	v_add_f64 v[132:133], v[132:133], -v[136:137]
	s_waitcnt lgkmcnt(1)
	v_mul_f64 v[136:137], v[190:191], v[138:139]
	v_fma_f64 v[136:137], v[188:189], v[198:199], -v[136:137]
	v_mul_f64 v[188:189], v[188:189], v[138:139]
	v_fmac_f64_e32 v[188:189], v[190:191], v[198:199]
	s_waitcnt vmcnt(31)
	v_add_f64 v[128:129], v[128:129], -v[136:137]
	v_add_f64 v[130:131], v[130:131], -v[188:189]
	ds_read2_b64 v[188:191], v200 offset0:34 offset1:35
	s_waitcnt lgkmcnt(1)
	v_mul_f64 v[136:137], v[206:207], v[138:139]
	v_fma_f64 v[136:137], v[204:205], v[198:199], -v[136:137]
	v_mul_f64 v[204:205], v[204:205], v[138:139]
	v_fmac_f64_e32 v[204:205], v[206:207], v[198:199]
	s_waitcnt vmcnt(30)
	v_add_f64 v[118:119], v[118:119], -v[204:205]
	ds_read2_b64 v[204:207], v200 offset0:36 offset1:37
	v_add_f64 v[116:117], v[116:117], -v[136:137]
	s_waitcnt lgkmcnt(1)
	v_mul_f64 v[136:137], v[190:191], v[138:139]
	v_fma_f64 v[136:137], v[188:189], v[198:199], -v[136:137]
	v_mul_f64 v[188:189], v[188:189], v[138:139]
	v_fmac_f64_e32 v[188:189], v[190:191], v[198:199]
	s_waitcnt vmcnt(29)
	v_add_f64 v[112:113], v[112:113], -v[136:137]
	v_add_f64 v[114:115], v[114:115], -v[188:189]
	;; [unrolled: 18-line block ×16, first 2 shown]
	s_waitcnt lgkmcnt(0)
	v_mul_f64 v[136:137], v[206:207], v[138:139]
	v_mul_f64 v[188:189], v[204:205], v[138:139]
	v_fma_f64 v[136:137], v[204:205], v[198:199], -v[136:137]
	v_fmac_f64_e32 v[188:189], v[206:207], v[198:199]
	s_waitcnt vmcnt(0)
	v_add_f64 v[184:185], v[184:185], -v[136:137]
	v_add_f64 v[186:187], v[186:187], -v[188:189]
	v_mov_b64_e32 v[136:137], v[198:199]
.LBB92_293:
	s_or_b64 exec, exec, s[0:1]
	v_lshl_add_u32 v188, v201, 4, v200
	s_barrier
	s_waitcnt vmcnt(32)
	ds_write2_b64 v188, v[132:133], v[134:135] offset1:1
	s_waitcnt lgkmcnt(0)
	s_barrier
	ds_read2_b64 v[188:191], v200 offset0:28 offset1:29
	s_cmp_lt_i32 s20, 16
	v_mov_b32_e32 v198, 14
	s_cbranch_scc1 .LBB92_296
; %bb.294:
	v_add_u32_e32 v199, 0xf0, v200
	s_mov_b32 s16, 15
	v_mov_b32_e32 v198, 14
.LBB92_295:                             ; =>This Inner Loop Header: Depth=1
	ds_read2_b64 v[204:207], v199 offset1:1
	s_waitcnt lgkmcnt(1)
	v_xor_b32_e32 v209, 0x80000000, v189
	v_xor_b32_e32 v211, 0x80000000, v191
	v_cmp_gt_f64_e32 vcc, 0, v[190:191]
	v_cmp_gt_f64_e64 s[0:1], 0, v[188:189]
	v_mov_b32_e32 v208, v188
	v_mov_b32_e32 v210, v190
	v_cndmask_b32_e64 v209, v189, v209, s[0:1]
	v_cndmask_b32_e32 v211, v191, v211, vcc
	v_add_f64 v[208:209], v[208:209], v[210:211]
	s_waitcnt lgkmcnt(0)
	v_xor_b32_e32 v211, 0x80000000, v205
	v_xor_b32_e32 v213, 0x80000000, v207
	v_cmp_gt_f64_e32 vcc, 0, v[206:207]
	v_cmp_gt_f64_e64 s[0:1], 0, v[204:205]
	v_mov_b32_e32 v210, v204
	v_mov_b32_e32 v212, v206
	v_cndmask_b32_e64 v211, v205, v211, s[0:1]
	v_cndmask_b32_e32 v213, v207, v213, vcc
	v_add_f64 v[210:211], v[210:211], v[212:213]
	v_mov_b32_e32 v214, s16
	s_add_i32 s16, s16, 1
	v_cmp_lt_f64_e32 vcc, v[208:209], v[210:211]
	v_add_u32_e32 v199, 16, v199
	s_cmp_lg_u32 s20, s16
	v_cndmask_b32_e32 v189, v189, v205, vcc
	v_cndmask_b32_e32 v188, v188, v204, vcc
	;; [unrolled: 1-line block ×5, first 2 shown]
	s_cbranch_scc1 .LBB92_295
.LBB92_296:
	s_waitcnt lgkmcnt(0)
	v_cmp_eq_f64_e32 vcc, 0, v[188:189]
	v_cmp_eq_f64_e64 s[0:1], 0, v[190:191]
	s_and_b64 s[0:1], vcc, s[0:1]
	s_and_saveexec_b64 s[16:17], s[0:1]
	s_xor_b64 s[0:1], exec, s[16:17]
; %bb.297:
	v_cmp_ne_u32_e32 vcc, 0, v202
	s_nop 1
	v_cndmask_b32_e32 v202, 15, v202, vcc
; %bb.298:
	s_andn2_saveexec_b64 s[0:1], s[0:1]
	s_cbranch_execz .LBB92_304
; %bb.299:
	v_cmp_ngt_f64_e64 s[16:17], |v[188:189]|, |v[190:191]|
	s_and_saveexec_b64 s[18:19], s[16:17]
	s_xor_b64 s[16:17], exec, s[18:19]
	s_cbranch_execz .LBB92_301
; %bb.300:
	v_div_scale_f64 v[204:205], s[18:19], v[190:191], v[190:191], v[188:189]
	v_rcp_f64_e32 v[206:207], v[204:205]
	v_div_scale_f64 v[208:209], vcc, v[188:189], v[190:191], v[188:189]
	v_fma_f64 v[210:211], -v[204:205], v[206:207], 1.0
	v_fmac_f64_e32 v[206:207], v[206:207], v[210:211]
	v_fma_f64 v[210:211], -v[204:205], v[206:207], 1.0
	v_fmac_f64_e32 v[206:207], v[206:207], v[210:211]
	v_mul_f64 v[210:211], v[208:209], v[206:207]
	v_fma_f64 v[204:205], -v[204:205], v[210:211], v[208:209]
	v_div_fmas_f64 v[204:205], v[204:205], v[206:207], v[210:211]
	v_div_fixup_f64 v[204:205], v[204:205], v[190:191], v[188:189]
	v_fmac_f64_e32 v[190:191], v[188:189], v[204:205]
	v_div_scale_f64 v[188:189], s[18:19], v[190:191], v[190:191], 1.0
	v_rcp_f64_e32 v[206:207], v[188:189]
	s_nop 0
	v_fma_f64 v[208:209], -v[188:189], v[206:207], 1.0
	v_fmac_f64_e32 v[206:207], v[206:207], v[208:209]
	v_fma_f64 v[208:209], -v[188:189], v[206:207], 1.0
	v_fmac_f64_e32 v[206:207], v[206:207], v[208:209]
	v_div_scale_f64 v[208:209], vcc, 1.0, v[190:191], 1.0
	v_mul_f64 v[210:211], v[208:209], v[206:207]
	v_fma_f64 v[188:189], -v[188:189], v[210:211], v[208:209]
	s_nop 1
	v_div_fmas_f64 v[188:189], v[188:189], v[206:207], v[210:211]
	v_div_fixup_f64 v[190:191], v[188:189], v[190:191], 1.0
	v_mul_f64 v[188:189], v[204:205], v[190:191]
	v_xor_b32_e32 v191, 0x80000000, v191
.LBB92_301:
	s_andn2_saveexec_b64 s[16:17], s[16:17]
	s_cbranch_execz .LBB92_303
; %bb.302:
	v_div_scale_f64 v[204:205], s[18:19], v[188:189], v[188:189], v[190:191]
	v_rcp_f64_e32 v[206:207], v[204:205]
	v_div_scale_f64 v[208:209], vcc, v[190:191], v[188:189], v[190:191]
	v_fma_f64 v[210:211], -v[204:205], v[206:207], 1.0
	v_fmac_f64_e32 v[206:207], v[206:207], v[210:211]
	v_fma_f64 v[210:211], -v[204:205], v[206:207], 1.0
	v_fmac_f64_e32 v[206:207], v[206:207], v[210:211]
	v_mul_f64 v[210:211], v[208:209], v[206:207]
	v_fma_f64 v[204:205], -v[204:205], v[210:211], v[208:209]
	v_div_fmas_f64 v[204:205], v[204:205], v[206:207], v[210:211]
	v_div_fixup_f64 v[204:205], v[204:205], v[188:189], v[190:191]
	v_fmac_f64_e32 v[188:189], v[190:191], v[204:205]
	v_div_scale_f64 v[190:191], s[18:19], v[188:189], v[188:189], 1.0
	v_rcp_f64_e32 v[206:207], v[190:191]
	s_nop 0
	v_fma_f64 v[208:209], -v[190:191], v[206:207], 1.0
	v_fmac_f64_e32 v[206:207], v[206:207], v[208:209]
	v_fma_f64 v[208:209], -v[190:191], v[206:207], 1.0
	v_fmac_f64_e32 v[206:207], v[206:207], v[208:209]
	v_div_scale_f64 v[208:209], vcc, 1.0, v[188:189], 1.0
	v_mul_f64 v[210:211], v[208:209], v[206:207]
	v_fma_f64 v[190:191], -v[190:191], v[210:211], v[208:209]
	s_nop 1
	v_div_fmas_f64 v[190:191], v[190:191], v[206:207], v[210:211]
	v_div_fixup_f64 v[188:189], v[190:191], v[188:189], 1.0
	v_mul_f64 v[190:191], v[204:205], -v[188:189]
.LBB92_303:
	s_or_b64 exec, exec, s[16:17]
.LBB92_304:
	s_or_b64 exec, exec, s[0:1]
	v_cmp_ne_u32_e32 vcc, v201, v198
	s_and_saveexec_b64 s[0:1], vcc
	s_xor_b64 s[0:1], exec, s[0:1]
	s_cbranch_execz .LBB92_310
; %bb.305:
	v_cmp_eq_u32_e32 vcc, 14, v201
	s_and_saveexec_b64 s[16:17], vcc
	s_cbranch_execz .LBB92_309
; %bb.306:
	v_cmp_ne_u32_e32 vcc, 14, v198
	s_xor_b64 s[18:19], s[14:15], -1
	s_and_b64 s[22:23], s[18:19], vcc
	s_and_saveexec_b64 s[18:19], s[22:23]
	s_cbranch_execz .LBB92_308
; %bb.307:
	v_ashrrev_i32_e32 v199, 31, v198
	v_lshl_add_u64 v[204:205], v[198:199], 2, v[196:197]
	global_load_dword v199, v[204:205], off
	global_load_dword v201, v[196:197], off offset:56
	s_waitcnt vmcnt(1)
	global_store_dword v[196:197], v199, off offset:56
	s_waitcnt vmcnt(1)
	global_store_dword v[204:205], v201, off
.LBB92_308:
	s_or_b64 exec, exec, s[18:19]
	v_mov_b32_e32 v201, v198
	v_mov_b32_e32 v203, v198
.LBB92_309:
	s_or_b64 exec, exec, s[16:17]
.LBB92_310:
	s_andn2_saveexec_b64 s[0:1], s[0:1]
	s_cbranch_execz .LBB92_312
; %bb.311:
	v_mov_b32_e32 v201, 14
	s_waitcnt vmcnt(31)
	ds_write2_b64 v200, v[128:129], v[130:131] offset0:30 offset1:31
	s_waitcnt vmcnt(30)
	ds_write2_b64 v200, v[116:117], v[118:119] offset0:32 offset1:33
	;; [unrolled: 2-line block ×32, first 2 shown]
.LBB92_312:
	s_or_b64 exec, exec, s[0:1]
	v_cmp_lt_i32_e32 vcc, 14, v201
	s_waitcnt lgkmcnt(0)
	s_barrier
	s_and_saveexec_b64 s[0:1], vcc
	s_cbranch_execz .LBB92_314
; %bb.313:
	ds_read2_b64 v[204:207], v200 offset0:30 offset1:31
	v_mul_f64 v[198:199], v[190:191], v[134:135]
	v_mul_f64 v[134:135], v[188:189], v[134:135]
	v_fma_f64 v[198:199], v[188:189], v[132:133], -v[198:199]
	v_fmac_f64_e32 v[134:135], v[190:191], v[132:133]
	ds_read2_b64 v[188:191], v200 offset0:32 offset1:33
	s_waitcnt lgkmcnt(1)
	v_mul_f64 v[132:133], v[206:207], v[134:135]
	v_fma_f64 v[132:133], v[204:205], v[198:199], -v[132:133]
	v_mul_f64 v[204:205], v[204:205], v[134:135]
	v_fmac_f64_e32 v[204:205], v[206:207], v[198:199]
	s_waitcnt vmcnt(31)
	v_add_f64 v[128:129], v[128:129], -v[132:133]
	s_waitcnt lgkmcnt(0)
	v_mul_f64 v[132:133], v[190:191], v[134:135]
	v_add_f64 v[130:131], v[130:131], -v[204:205]
	v_fma_f64 v[132:133], v[188:189], v[198:199], -v[132:133]
	v_mul_f64 v[188:189], v[188:189], v[134:135]
	ds_read2_b64 v[204:207], v200 offset0:34 offset1:35
	v_fmac_f64_e32 v[188:189], v[190:191], v[198:199]
	s_waitcnt vmcnt(30)
	v_add_f64 v[118:119], v[118:119], -v[188:189]
	ds_read2_b64 v[188:191], v200 offset0:36 offset1:37
	v_add_f64 v[116:117], v[116:117], -v[132:133]
	s_waitcnt lgkmcnt(1)
	v_mul_f64 v[132:133], v[206:207], v[134:135]
	v_fma_f64 v[132:133], v[204:205], v[198:199], -v[132:133]
	v_mul_f64 v[204:205], v[204:205], v[134:135]
	v_fmac_f64_e32 v[204:205], v[206:207], v[198:199]
	s_waitcnt vmcnt(29)
	v_add_f64 v[112:113], v[112:113], -v[132:133]
	s_waitcnt lgkmcnt(0)
	v_mul_f64 v[132:133], v[190:191], v[134:135]
	v_add_f64 v[114:115], v[114:115], -v[204:205]
	v_fma_f64 v[132:133], v[188:189], v[198:199], -v[132:133]
	v_mul_f64 v[188:189], v[188:189], v[134:135]
	ds_read2_b64 v[204:207], v200 offset0:38 offset1:39
	v_fmac_f64_e32 v[188:189], v[190:191], v[198:199]
	s_waitcnt vmcnt(28)
	v_add_f64 v[110:111], v[110:111], -v[188:189]
	ds_read2_b64 v[188:191], v200 offset0:40 offset1:41
	v_add_f64 v[108:109], v[108:109], -v[132:133]
	;; [unrolled: 18-line block ×15, first 2 shown]
	s_waitcnt lgkmcnt(1)
	v_mul_f64 v[132:133], v[206:207], v[134:135]
	v_fma_f64 v[132:133], v[204:205], v[198:199], -v[132:133]
	s_waitcnt vmcnt(1)
	v_add_f64 v[0:1], v[0:1], -v[132:133]
	s_waitcnt lgkmcnt(0)
	v_mul_f64 v[132:133], v[190:191], v[134:135]
	v_mul_f64 v[204:205], v[204:205], v[134:135]
	v_fma_f64 v[132:133], v[188:189], v[198:199], -v[132:133]
	v_mul_f64 v[188:189], v[188:189], v[134:135]
	v_fmac_f64_e32 v[204:205], v[206:207], v[198:199]
	v_fmac_f64_e32 v[188:189], v[190:191], v[198:199]
	v_add_f64 v[2:3], v[2:3], -v[204:205]
	s_waitcnt vmcnt(0)
	v_add_f64 v[184:185], v[184:185], -v[132:133]
	v_add_f64 v[186:187], v[186:187], -v[188:189]
	v_mov_b64_e32 v[132:133], v[198:199]
.LBB92_314:
	s_or_b64 exec, exec, s[0:1]
	v_lshl_add_u32 v188, v201, 4, v200
	s_barrier
	s_waitcnt vmcnt(31)
	ds_write2_b64 v188, v[128:129], v[130:131] offset1:1
	s_waitcnt lgkmcnt(0)
	s_barrier
	ds_read2_b64 v[188:191], v200 offset0:30 offset1:31
	s_cmp_lt_i32 s20, 17
	v_mov_b32_e32 v198, 15
	s_cbranch_scc1 .LBB92_317
; %bb.315:
	v_add_u32_e32 v199, 0x100, v200
	s_mov_b32 s16, 16
	v_mov_b32_e32 v198, 15
.LBB92_316:                             ; =>This Inner Loop Header: Depth=1
	ds_read2_b64 v[204:207], v199 offset1:1
	s_waitcnt lgkmcnt(1)
	v_xor_b32_e32 v209, 0x80000000, v189
	v_xor_b32_e32 v211, 0x80000000, v191
	v_cmp_gt_f64_e32 vcc, 0, v[190:191]
	v_cmp_gt_f64_e64 s[0:1], 0, v[188:189]
	v_mov_b32_e32 v208, v188
	v_mov_b32_e32 v210, v190
	v_cndmask_b32_e64 v209, v189, v209, s[0:1]
	v_cndmask_b32_e32 v211, v191, v211, vcc
	v_add_f64 v[208:209], v[208:209], v[210:211]
	s_waitcnt lgkmcnt(0)
	v_xor_b32_e32 v211, 0x80000000, v205
	v_xor_b32_e32 v213, 0x80000000, v207
	v_cmp_gt_f64_e32 vcc, 0, v[206:207]
	v_cmp_gt_f64_e64 s[0:1], 0, v[204:205]
	v_mov_b32_e32 v210, v204
	v_mov_b32_e32 v212, v206
	v_cndmask_b32_e64 v211, v205, v211, s[0:1]
	v_cndmask_b32_e32 v213, v207, v213, vcc
	v_add_f64 v[210:211], v[210:211], v[212:213]
	v_mov_b32_e32 v214, s16
	s_add_i32 s16, s16, 1
	v_cmp_lt_f64_e32 vcc, v[208:209], v[210:211]
	v_add_u32_e32 v199, 16, v199
	s_cmp_lg_u32 s20, s16
	v_cndmask_b32_e32 v189, v189, v205, vcc
	v_cndmask_b32_e32 v188, v188, v204, vcc
	;; [unrolled: 1-line block ×5, first 2 shown]
	s_cbranch_scc1 .LBB92_316
.LBB92_317:
	s_waitcnt lgkmcnt(0)
	v_cmp_eq_f64_e32 vcc, 0, v[188:189]
	v_cmp_eq_f64_e64 s[0:1], 0, v[190:191]
	s_and_b64 s[0:1], vcc, s[0:1]
	s_and_saveexec_b64 s[16:17], s[0:1]
	s_xor_b64 s[0:1], exec, s[16:17]
; %bb.318:
	v_cmp_ne_u32_e32 vcc, 0, v202
	s_nop 1
	v_cndmask_b32_e32 v202, 16, v202, vcc
; %bb.319:
	s_andn2_saveexec_b64 s[0:1], s[0:1]
	s_cbranch_execz .LBB92_325
; %bb.320:
	v_cmp_ngt_f64_e64 s[16:17], |v[188:189]|, |v[190:191]|
	s_and_saveexec_b64 s[18:19], s[16:17]
	s_xor_b64 s[16:17], exec, s[18:19]
	s_cbranch_execz .LBB92_322
; %bb.321:
	v_div_scale_f64 v[204:205], s[18:19], v[190:191], v[190:191], v[188:189]
	v_rcp_f64_e32 v[206:207], v[204:205]
	v_div_scale_f64 v[208:209], vcc, v[188:189], v[190:191], v[188:189]
	v_fma_f64 v[210:211], -v[204:205], v[206:207], 1.0
	v_fmac_f64_e32 v[206:207], v[206:207], v[210:211]
	v_fma_f64 v[210:211], -v[204:205], v[206:207], 1.0
	v_fmac_f64_e32 v[206:207], v[206:207], v[210:211]
	v_mul_f64 v[210:211], v[208:209], v[206:207]
	v_fma_f64 v[204:205], -v[204:205], v[210:211], v[208:209]
	v_div_fmas_f64 v[204:205], v[204:205], v[206:207], v[210:211]
	v_div_fixup_f64 v[204:205], v[204:205], v[190:191], v[188:189]
	v_fmac_f64_e32 v[190:191], v[188:189], v[204:205]
	v_div_scale_f64 v[188:189], s[18:19], v[190:191], v[190:191], 1.0
	v_rcp_f64_e32 v[206:207], v[188:189]
	s_nop 0
	v_fma_f64 v[208:209], -v[188:189], v[206:207], 1.0
	v_fmac_f64_e32 v[206:207], v[206:207], v[208:209]
	v_fma_f64 v[208:209], -v[188:189], v[206:207], 1.0
	v_fmac_f64_e32 v[206:207], v[206:207], v[208:209]
	v_div_scale_f64 v[208:209], vcc, 1.0, v[190:191], 1.0
	v_mul_f64 v[210:211], v[208:209], v[206:207]
	v_fma_f64 v[188:189], -v[188:189], v[210:211], v[208:209]
	s_nop 1
	v_div_fmas_f64 v[188:189], v[188:189], v[206:207], v[210:211]
	v_div_fixup_f64 v[190:191], v[188:189], v[190:191], 1.0
	v_mul_f64 v[188:189], v[204:205], v[190:191]
	v_xor_b32_e32 v191, 0x80000000, v191
.LBB92_322:
	s_andn2_saveexec_b64 s[16:17], s[16:17]
	s_cbranch_execz .LBB92_324
; %bb.323:
	v_div_scale_f64 v[204:205], s[18:19], v[188:189], v[188:189], v[190:191]
	v_rcp_f64_e32 v[206:207], v[204:205]
	v_div_scale_f64 v[208:209], vcc, v[190:191], v[188:189], v[190:191]
	v_fma_f64 v[210:211], -v[204:205], v[206:207], 1.0
	v_fmac_f64_e32 v[206:207], v[206:207], v[210:211]
	v_fma_f64 v[210:211], -v[204:205], v[206:207], 1.0
	v_fmac_f64_e32 v[206:207], v[206:207], v[210:211]
	v_mul_f64 v[210:211], v[208:209], v[206:207]
	v_fma_f64 v[204:205], -v[204:205], v[210:211], v[208:209]
	v_div_fmas_f64 v[204:205], v[204:205], v[206:207], v[210:211]
	v_div_fixup_f64 v[204:205], v[204:205], v[188:189], v[190:191]
	v_fmac_f64_e32 v[188:189], v[190:191], v[204:205]
	v_div_scale_f64 v[190:191], s[18:19], v[188:189], v[188:189], 1.0
	v_rcp_f64_e32 v[206:207], v[190:191]
	s_nop 0
	v_fma_f64 v[208:209], -v[190:191], v[206:207], 1.0
	v_fmac_f64_e32 v[206:207], v[206:207], v[208:209]
	v_fma_f64 v[208:209], -v[190:191], v[206:207], 1.0
	v_fmac_f64_e32 v[206:207], v[206:207], v[208:209]
	v_div_scale_f64 v[208:209], vcc, 1.0, v[188:189], 1.0
	v_mul_f64 v[210:211], v[208:209], v[206:207]
	v_fma_f64 v[190:191], -v[190:191], v[210:211], v[208:209]
	s_nop 1
	v_div_fmas_f64 v[190:191], v[190:191], v[206:207], v[210:211]
	v_div_fixup_f64 v[188:189], v[190:191], v[188:189], 1.0
	v_mul_f64 v[190:191], v[204:205], -v[188:189]
.LBB92_324:
	s_or_b64 exec, exec, s[16:17]
.LBB92_325:
	s_or_b64 exec, exec, s[0:1]
	v_cmp_ne_u32_e32 vcc, v201, v198
	s_and_saveexec_b64 s[0:1], vcc
	s_xor_b64 s[0:1], exec, s[0:1]
	s_cbranch_execz .LBB92_331
; %bb.326:
	v_cmp_eq_u32_e32 vcc, 15, v201
	s_and_saveexec_b64 s[16:17], vcc
	s_cbranch_execz .LBB92_330
; %bb.327:
	v_cmp_ne_u32_e32 vcc, 15, v198
	s_xor_b64 s[18:19], s[14:15], -1
	s_and_b64 s[22:23], s[18:19], vcc
	s_and_saveexec_b64 s[18:19], s[22:23]
	s_cbranch_execz .LBB92_329
; %bb.328:
	v_ashrrev_i32_e32 v199, 31, v198
	v_lshl_add_u64 v[204:205], v[198:199], 2, v[196:197]
	global_load_dword v199, v[204:205], off
	global_load_dword v201, v[196:197], off offset:60
	s_waitcnt vmcnt(1)
	global_store_dword v[196:197], v199, off offset:60
	s_waitcnt vmcnt(1)
	global_store_dword v[204:205], v201, off
.LBB92_329:
	s_or_b64 exec, exec, s[18:19]
	v_mov_b32_e32 v201, v198
	v_mov_b32_e32 v203, v198
.LBB92_330:
	s_or_b64 exec, exec, s[16:17]
.LBB92_331:
	s_andn2_saveexec_b64 s[0:1], s[0:1]
	s_cbranch_execz .LBB92_333
; %bb.332:
	v_mov_b32_e32 v201, 15
	s_waitcnt vmcnt(30)
	ds_write2_b64 v200, v[116:117], v[118:119] offset0:32 offset1:33
	s_waitcnt vmcnt(29)
	ds_write2_b64 v200, v[112:113], v[114:115] offset0:34 offset1:35
	;; [unrolled: 2-line block ×31, first 2 shown]
.LBB92_333:
	s_or_b64 exec, exec, s[0:1]
	v_cmp_lt_i32_e32 vcc, 15, v201
	s_waitcnt lgkmcnt(0)
	s_barrier
	s_and_saveexec_b64 s[0:1], vcc
	s_cbranch_execz .LBB92_335
; %bb.334:
	ds_read2_b64 v[204:207], v200 offset0:32 offset1:33
	v_mul_f64 v[198:199], v[190:191], v[130:131]
	v_mul_f64 v[130:131], v[188:189], v[130:131]
	v_fmac_f64_e32 v[130:131], v[190:191], v[128:129]
	v_fma_f64 v[198:199], v[188:189], v[128:129], -v[198:199]
	ds_read2_b64 v[188:191], v200 offset0:34 offset1:35
	s_waitcnt lgkmcnt(1)
	v_mul_f64 v[128:129], v[206:207], v[130:131]
	v_fma_f64 v[128:129], v[204:205], v[198:199], -v[128:129]
	v_mul_f64 v[204:205], v[204:205], v[130:131]
	v_fmac_f64_e32 v[204:205], v[206:207], v[198:199]
	s_waitcnt vmcnt(30)
	v_add_f64 v[118:119], v[118:119], -v[204:205]
	ds_read2_b64 v[204:207], v200 offset0:36 offset1:37
	v_add_f64 v[116:117], v[116:117], -v[128:129]
	s_waitcnt lgkmcnt(1)
	v_mul_f64 v[128:129], v[190:191], v[130:131]
	v_fma_f64 v[128:129], v[188:189], v[198:199], -v[128:129]
	v_mul_f64 v[188:189], v[188:189], v[130:131]
	v_fmac_f64_e32 v[188:189], v[190:191], v[198:199]
	s_waitcnt vmcnt(29)
	v_add_f64 v[112:113], v[112:113], -v[128:129]
	v_add_f64 v[114:115], v[114:115], -v[188:189]
	ds_read2_b64 v[188:191], v200 offset0:38 offset1:39
	s_waitcnt lgkmcnt(1)
	v_mul_f64 v[128:129], v[206:207], v[130:131]
	v_fma_f64 v[128:129], v[204:205], v[198:199], -v[128:129]
	v_mul_f64 v[204:205], v[204:205], v[130:131]
	v_fmac_f64_e32 v[204:205], v[206:207], v[198:199]
	s_waitcnt vmcnt(28)
	v_add_f64 v[110:111], v[110:111], -v[204:205]
	ds_read2_b64 v[204:207], v200 offset0:40 offset1:41
	v_add_f64 v[108:109], v[108:109], -v[128:129]
	s_waitcnt lgkmcnt(1)
	v_mul_f64 v[128:129], v[190:191], v[130:131]
	v_fma_f64 v[128:129], v[188:189], v[198:199], -v[128:129]
	v_mul_f64 v[188:189], v[188:189], v[130:131]
	v_fmac_f64_e32 v[188:189], v[190:191], v[198:199]
	s_waitcnt vmcnt(27)
	v_add_f64 v[104:105], v[104:105], -v[128:129]
	v_add_f64 v[106:107], v[106:107], -v[188:189]
	;; [unrolled: 18-line block ×15, first 2 shown]
	s_waitcnt lgkmcnt(0)
	v_mul_f64 v[128:129], v[206:207], v[130:131]
	v_mul_f64 v[188:189], v[204:205], v[130:131]
	v_fma_f64 v[128:129], v[204:205], v[198:199], -v[128:129]
	v_fmac_f64_e32 v[188:189], v[206:207], v[198:199]
	s_waitcnt vmcnt(0)
	v_add_f64 v[184:185], v[184:185], -v[128:129]
	v_add_f64 v[186:187], v[186:187], -v[188:189]
	v_mov_b64_e32 v[128:129], v[198:199]
.LBB92_335:
	s_or_b64 exec, exec, s[0:1]
	v_lshl_add_u32 v188, v201, 4, v200
	s_barrier
	s_waitcnt vmcnt(30)
	ds_write2_b64 v188, v[116:117], v[118:119] offset1:1
	s_waitcnt lgkmcnt(0)
	s_barrier
	ds_read2_b64 v[188:191], v200 offset0:32 offset1:33
	s_cmp_lt_i32 s20, 18
	v_mov_b32_e32 v198, 16
	s_cbranch_scc1 .LBB92_338
; %bb.336:
	v_add_u32_e32 v199, 0x110, v200
	s_mov_b32 s16, 17
	v_mov_b32_e32 v198, 16
.LBB92_337:                             ; =>This Inner Loop Header: Depth=1
	ds_read2_b64 v[204:207], v199 offset1:1
	s_waitcnt lgkmcnt(1)
	v_xor_b32_e32 v209, 0x80000000, v189
	v_xor_b32_e32 v211, 0x80000000, v191
	v_cmp_gt_f64_e32 vcc, 0, v[190:191]
	v_cmp_gt_f64_e64 s[0:1], 0, v[188:189]
	v_mov_b32_e32 v208, v188
	v_mov_b32_e32 v210, v190
	v_cndmask_b32_e64 v209, v189, v209, s[0:1]
	v_cndmask_b32_e32 v211, v191, v211, vcc
	v_add_f64 v[208:209], v[208:209], v[210:211]
	s_waitcnt lgkmcnt(0)
	v_xor_b32_e32 v211, 0x80000000, v205
	v_xor_b32_e32 v213, 0x80000000, v207
	v_cmp_gt_f64_e32 vcc, 0, v[206:207]
	v_cmp_gt_f64_e64 s[0:1], 0, v[204:205]
	v_mov_b32_e32 v210, v204
	v_mov_b32_e32 v212, v206
	v_cndmask_b32_e64 v211, v205, v211, s[0:1]
	v_cndmask_b32_e32 v213, v207, v213, vcc
	v_add_f64 v[210:211], v[210:211], v[212:213]
	v_mov_b32_e32 v214, s16
	s_add_i32 s16, s16, 1
	v_cmp_lt_f64_e32 vcc, v[208:209], v[210:211]
	v_add_u32_e32 v199, 16, v199
	s_cmp_lg_u32 s20, s16
	v_cndmask_b32_e32 v189, v189, v205, vcc
	v_cndmask_b32_e32 v188, v188, v204, vcc
	;; [unrolled: 1-line block ×5, first 2 shown]
	s_cbranch_scc1 .LBB92_337
.LBB92_338:
	s_waitcnt lgkmcnt(0)
	v_cmp_eq_f64_e32 vcc, 0, v[188:189]
	v_cmp_eq_f64_e64 s[0:1], 0, v[190:191]
	s_and_b64 s[0:1], vcc, s[0:1]
	s_and_saveexec_b64 s[16:17], s[0:1]
	s_xor_b64 s[0:1], exec, s[16:17]
; %bb.339:
	v_cmp_ne_u32_e32 vcc, 0, v202
	s_nop 1
	v_cndmask_b32_e32 v202, 17, v202, vcc
; %bb.340:
	s_andn2_saveexec_b64 s[0:1], s[0:1]
	s_cbranch_execz .LBB92_346
; %bb.341:
	v_cmp_ngt_f64_e64 s[16:17], |v[188:189]|, |v[190:191]|
	s_and_saveexec_b64 s[18:19], s[16:17]
	s_xor_b64 s[16:17], exec, s[18:19]
	s_cbranch_execz .LBB92_343
; %bb.342:
	v_div_scale_f64 v[204:205], s[18:19], v[190:191], v[190:191], v[188:189]
	v_rcp_f64_e32 v[206:207], v[204:205]
	v_div_scale_f64 v[208:209], vcc, v[188:189], v[190:191], v[188:189]
	v_fma_f64 v[210:211], -v[204:205], v[206:207], 1.0
	v_fmac_f64_e32 v[206:207], v[206:207], v[210:211]
	v_fma_f64 v[210:211], -v[204:205], v[206:207], 1.0
	v_fmac_f64_e32 v[206:207], v[206:207], v[210:211]
	v_mul_f64 v[210:211], v[208:209], v[206:207]
	v_fma_f64 v[204:205], -v[204:205], v[210:211], v[208:209]
	v_div_fmas_f64 v[204:205], v[204:205], v[206:207], v[210:211]
	v_div_fixup_f64 v[204:205], v[204:205], v[190:191], v[188:189]
	v_fmac_f64_e32 v[190:191], v[188:189], v[204:205]
	v_div_scale_f64 v[188:189], s[18:19], v[190:191], v[190:191], 1.0
	v_rcp_f64_e32 v[206:207], v[188:189]
	s_nop 0
	v_fma_f64 v[208:209], -v[188:189], v[206:207], 1.0
	v_fmac_f64_e32 v[206:207], v[206:207], v[208:209]
	v_fma_f64 v[208:209], -v[188:189], v[206:207], 1.0
	v_fmac_f64_e32 v[206:207], v[206:207], v[208:209]
	v_div_scale_f64 v[208:209], vcc, 1.0, v[190:191], 1.0
	v_mul_f64 v[210:211], v[208:209], v[206:207]
	v_fma_f64 v[188:189], -v[188:189], v[210:211], v[208:209]
	s_nop 1
	v_div_fmas_f64 v[188:189], v[188:189], v[206:207], v[210:211]
	v_div_fixup_f64 v[190:191], v[188:189], v[190:191], 1.0
	v_mul_f64 v[188:189], v[204:205], v[190:191]
	v_xor_b32_e32 v191, 0x80000000, v191
.LBB92_343:
	s_andn2_saveexec_b64 s[16:17], s[16:17]
	s_cbranch_execz .LBB92_345
; %bb.344:
	v_div_scale_f64 v[204:205], s[18:19], v[188:189], v[188:189], v[190:191]
	v_rcp_f64_e32 v[206:207], v[204:205]
	v_div_scale_f64 v[208:209], vcc, v[190:191], v[188:189], v[190:191]
	v_fma_f64 v[210:211], -v[204:205], v[206:207], 1.0
	v_fmac_f64_e32 v[206:207], v[206:207], v[210:211]
	v_fma_f64 v[210:211], -v[204:205], v[206:207], 1.0
	v_fmac_f64_e32 v[206:207], v[206:207], v[210:211]
	v_mul_f64 v[210:211], v[208:209], v[206:207]
	v_fma_f64 v[204:205], -v[204:205], v[210:211], v[208:209]
	v_div_fmas_f64 v[204:205], v[204:205], v[206:207], v[210:211]
	v_div_fixup_f64 v[204:205], v[204:205], v[188:189], v[190:191]
	v_fmac_f64_e32 v[188:189], v[190:191], v[204:205]
	v_div_scale_f64 v[190:191], s[18:19], v[188:189], v[188:189], 1.0
	v_rcp_f64_e32 v[206:207], v[190:191]
	s_nop 0
	v_fma_f64 v[208:209], -v[190:191], v[206:207], 1.0
	v_fmac_f64_e32 v[206:207], v[206:207], v[208:209]
	v_fma_f64 v[208:209], -v[190:191], v[206:207], 1.0
	v_fmac_f64_e32 v[206:207], v[206:207], v[208:209]
	v_div_scale_f64 v[208:209], vcc, 1.0, v[188:189], 1.0
	v_mul_f64 v[210:211], v[208:209], v[206:207]
	v_fma_f64 v[190:191], -v[190:191], v[210:211], v[208:209]
	s_nop 1
	v_div_fmas_f64 v[190:191], v[190:191], v[206:207], v[210:211]
	v_div_fixup_f64 v[188:189], v[190:191], v[188:189], 1.0
	v_mul_f64 v[190:191], v[204:205], -v[188:189]
.LBB92_345:
	s_or_b64 exec, exec, s[16:17]
.LBB92_346:
	s_or_b64 exec, exec, s[0:1]
	v_cmp_ne_u32_e32 vcc, v201, v198
	s_and_saveexec_b64 s[0:1], vcc
	s_xor_b64 s[0:1], exec, s[0:1]
	s_cbranch_execz .LBB92_352
; %bb.347:
	v_cmp_eq_u32_e32 vcc, 16, v201
	s_and_saveexec_b64 s[16:17], vcc
	s_cbranch_execz .LBB92_351
; %bb.348:
	v_cmp_ne_u32_e32 vcc, 16, v198
	s_xor_b64 s[18:19], s[14:15], -1
	s_and_b64 s[22:23], s[18:19], vcc
	s_and_saveexec_b64 s[18:19], s[22:23]
	s_cbranch_execz .LBB92_350
; %bb.349:
	v_ashrrev_i32_e32 v199, 31, v198
	v_lshl_add_u64 v[204:205], v[198:199], 2, v[196:197]
	global_load_dword v199, v[204:205], off
	global_load_dword v201, v[196:197], off offset:64
	s_waitcnt vmcnt(1)
	global_store_dword v[196:197], v199, off offset:64
	s_waitcnt vmcnt(1)
	global_store_dword v[204:205], v201, off
.LBB92_350:
	s_or_b64 exec, exec, s[18:19]
	v_mov_b32_e32 v201, v198
	v_mov_b32_e32 v203, v198
.LBB92_351:
	s_or_b64 exec, exec, s[16:17]
.LBB92_352:
	s_andn2_saveexec_b64 s[0:1], s[0:1]
	s_cbranch_execz .LBB92_354
; %bb.353:
	v_mov_b32_e32 v201, 16
	s_waitcnt vmcnt(29)
	ds_write2_b64 v200, v[112:113], v[114:115] offset0:34 offset1:35
	s_waitcnt vmcnt(28)
	ds_write2_b64 v200, v[108:109], v[110:111] offset0:36 offset1:37
	;; [unrolled: 2-line block ×30, first 2 shown]
.LBB92_354:
	s_or_b64 exec, exec, s[0:1]
	v_cmp_lt_i32_e32 vcc, 16, v201
	s_waitcnt lgkmcnt(0)
	s_barrier
	s_and_saveexec_b64 s[0:1], vcc
	s_cbranch_execz .LBB92_356
; %bb.355:
	ds_read2_b64 v[204:207], v200 offset0:34 offset1:35
	v_mul_f64 v[198:199], v[190:191], v[118:119]
	v_mul_f64 v[118:119], v[188:189], v[118:119]
	v_fma_f64 v[198:199], v[188:189], v[116:117], -v[198:199]
	v_fmac_f64_e32 v[118:119], v[190:191], v[116:117]
	ds_read2_b64 v[188:191], v200 offset0:36 offset1:37
	s_waitcnt lgkmcnt(1)
	v_mul_f64 v[116:117], v[206:207], v[118:119]
	v_fma_f64 v[116:117], v[204:205], v[198:199], -v[116:117]
	v_mul_f64 v[204:205], v[204:205], v[118:119]
	v_fmac_f64_e32 v[204:205], v[206:207], v[198:199]
	s_waitcnt vmcnt(29)
	v_add_f64 v[112:113], v[112:113], -v[116:117]
	s_waitcnt lgkmcnt(0)
	v_mul_f64 v[116:117], v[190:191], v[118:119]
	v_add_f64 v[114:115], v[114:115], -v[204:205]
	v_fma_f64 v[116:117], v[188:189], v[198:199], -v[116:117]
	v_mul_f64 v[188:189], v[188:189], v[118:119]
	ds_read2_b64 v[204:207], v200 offset0:38 offset1:39
	v_fmac_f64_e32 v[188:189], v[190:191], v[198:199]
	s_waitcnt vmcnt(28)
	v_add_f64 v[110:111], v[110:111], -v[188:189]
	ds_read2_b64 v[188:191], v200 offset0:40 offset1:41
	v_add_f64 v[108:109], v[108:109], -v[116:117]
	s_waitcnt lgkmcnt(1)
	v_mul_f64 v[116:117], v[206:207], v[118:119]
	v_fma_f64 v[116:117], v[204:205], v[198:199], -v[116:117]
	v_mul_f64 v[204:205], v[204:205], v[118:119]
	v_fmac_f64_e32 v[204:205], v[206:207], v[198:199]
	s_waitcnt vmcnt(27)
	v_add_f64 v[104:105], v[104:105], -v[116:117]
	s_waitcnt lgkmcnt(0)
	v_mul_f64 v[116:117], v[190:191], v[118:119]
	v_add_f64 v[106:107], v[106:107], -v[204:205]
	v_fma_f64 v[116:117], v[188:189], v[198:199], -v[116:117]
	v_mul_f64 v[188:189], v[188:189], v[118:119]
	ds_read2_b64 v[204:207], v200 offset0:42 offset1:43
	v_fmac_f64_e32 v[188:189], v[190:191], v[198:199]
	s_waitcnt vmcnt(26)
	v_add_f64 v[102:103], v[102:103], -v[188:189]
	ds_read2_b64 v[188:191], v200 offset0:44 offset1:45
	v_add_f64 v[100:101], v[100:101], -v[116:117]
	;; [unrolled: 18-line block ×14, first 2 shown]
	s_waitcnt lgkmcnt(1)
	v_mul_f64 v[116:117], v[206:207], v[118:119]
	v_fma_f64 v[116:117], v[204:205], v[198:199], -v[116:117]
	s_waitcnt vmcnt(1)
	v_add_f64 v[0:1], v[0:1], -v[116:117]
	s_waitcnt lgkmcnt(0)
	v_mul_f64 v[116:117], v[190:191], v[118:119]
	v_mul_f64 v[204:205], v[204:205], v[118:119]
	v_fma_f64 v[116:117], v[188:189], v[198:199], -v[116:117]
	v_mul_f64 v[188:189], v[188:189], v[118:119]
	v_fmac_f64_e32 v[204:205], v[206:207], v[198:199]
	v_fmac_f64_e32 v[188:189], v[190:191], v[198:199]
	v_add_f64 v[2:3], v[2:3], -v[204:205]
	s_waitcnt vmcnt(0)
	v_add_f64 v[184:185], v[184:185], -v[116:117]
	v_add_f64 v[186:187], v[186:187], -v[188:189]
	v_mov_b64_e32 v[116:117], v[198:199]
.LBB92_356:
	s_or_b64 exec, exec, s[0:1]
	v_lshl_add_u32 v188, v201, 4, v200
	s_barrier
	s_waitcnt vmcnt(29)
	ds_write2_b64 v188, v[112:113], v[114:115] offset1:1
	s_waitcnt lgkmcnt(0)
	s_barrier
	ds_read2_b64 v[188:191], v200 offset0:34 offset1:35
	s_cmp_lt_i32 s20, 19
	v_mov_b32_e32 v198, 17
	s_cbranch_scc1 .LBB92_359
; %bb.357:
	v_add_u32_e32 v199, 0x120, v200
	s_mov_b32 s16, 18
	v_mov_b32_e32 v198, 17
.LBB92_358:                             ; =>This Inner Loop Header: Depth=1
	ds_read2_b64 v[204:207], v199 offset1:1
	s_waitcnt lgkmcnt(1)
	v_xor_b32_e32 v209, 0x80000000, v189
	v_xor_b32_e32 v211, 0x80000000, v191
	v_cmp_gt_f64_e32 vcc, 0, v[190:191]
	v_cmp_gt_f64_e64 s[0:1], 0, v[188:189]
	v_mov_b32_e32 v208, v188
	v_mov_b32_e32 v210, v190
	v_cndmask_b32_e64 v209, v189, v209, s[0:1]
	v_cndmask_b32_e32 v211, v191, v211, vcc
	v_add_f64 v[208:209], v[208:209], v[210:211]
	s_waitcnt lgkmcnt(0)
	v_xor_b32_e32 v211, 0x80000000, v205
	v_xor_b32_e32 v213, 0x80000000, v207
	v_cmp_gt_f64_e32 vcc, 0, v[206:207]
	v_cmp_gt_f64_e64 s[0:1], 0, v[204:205]
	v_mov_b32_e32 v210, v204
	v_mov_b32_e32 v212, v206
	v_cndmask_b32_e64 v211, v205, v211, s[0:1]
	v_cndmask_b32_e32 v213, v207, v213, vcc
	v_add_f64 v[210:211], v[210:211], v[212:213]
	v_mov_b32_e32 v214, s16
	s_add_i32 s16, s16, 1
	v_cmp_lt_f64_e32 vcc, v[208:209], v[210:211]
	v_add_u32_e32 v199, 16, v199
	s_cmp_lg_u32 s20, s16
	v_cndmask_b32_e32 v189, v189, v205, vcc
	v_cndmask_b32_e32 v188, v188, v204, vcc
	;; [unrolled: 1-line block ×5, first 2 shown]
	s_cbranch_scc1 .LBB92_358
.LBB92_359:
	s_waitcnt lgkmcnt(0)
	v_cmp_eq_f64_e32 vcc, 0, v[188:189]
	v_cmp_eq_f64_e64 s[0:1], 0, v[190:191]
	s_and_b64 s[0:1], vcc, s[0:1]
	s_and_saveexec_b64 s[16:17], s[0:1]
	s_xor_b64 s[0:1], exec, s[16:17]
; %bb.360:
	v_cmp_ne_u32_e32 vcc, 0, v202
	s_nop 1
	v_cndmask_b32_e32 v202, 18, v202, vcc
; %bb.361:
	s_andn2_saveexec_b64 s[0:1], s[0:1]
	s_cbranch_execz .LBB92_367
; %bb.362:
	v_cmp_ngt_f64_e64 s[16:17], |v[188:189]|, |v[190:191]|
	s_and_saveexec_b64 s[18:19], s[16:17]
	s_xor_b64 s[16:17], exec, s[18:19]
	s_cbranch_execz .LBB92_364
; %bb.363:
	v_div_scale_f64 v[204:205], s[18:19], v[190:191], v[190:191], v[188:189]
	v_rcp_f64_e32 v[206:207], v[204:205]
	v_div_scale_f64 v[208:209], vcc, v[188:189], v[190:191], v[188:189]
	v_fma_f64 v[210:211], -v[204:205], v[206:207], 1.0
	v_fmac_f64_e32 v[206:207], v[206:207], v[210:211]
	v_fma_f64 v[210:211], -v[204:205], v[206:207], 1.0
	v_fmac_f64_e32 v[206:207], v[206:207], v[210:211]
	v_mul_f64 v[210:211], v[208:209], v[206:207]
	v_fma_f64 v[204:205], -v[204:205], v[210:211], v[208:209]
	v_div_fmas_f64 v[204:205], v[204:205], v[206:207], v[210:211]
	v_div_fixup_f64 v[204:205], v[204:205], v[190:191], v[188:189]
	v_fmac_f64_e32 v[190:191], v[188:189], v[204:205]
	v_div_scale_f64 v[188:189], s[18:19], v[190:191], v[190:191], 1.0
	v_rcp_f64_e32 v[206:207], v[188:189]
	s_nop 0
	v_fma_f64 v[208:209], -v[188:189], v[206:207], 1.0
	v_fmac_f64_e32 v[206:207], v[206:207], v[208:209]
	v_fma_f64 v[208:209], -v[188:189], v[206:207], 1.0
	v_fmac_f64_e32 v[206:207], v[206:207], v[208:209]
	v_div_scale_f64 v[208:209], vcc, 1.0, v[190:191], 1.0
	v_mul_f64 v[210:211], v[208:209], v[206:207]
	v_fma_f64 v[188:189], -v[188:189], v[210:211], v[208:209]
	s_nop 1
	v_div_fmas_f64 v[188:189], v[188:189], v[206:207], v[210:211]
	v_div_fixup_f64 v[190:191], v[188:189], v[190:191], 1.0
	v_mul_f64 v[188:189], v[204:205], v[190:191]
	v_xor_b32_e32 v191, 0x80000000, v191
.LBB92_364:
	s_andn2_saveexec_b64 s[16:17], s[16:17]
	s_cbranch_execz .LBB92_366
; %bb.365:
	v_div_scale_f64 v[204:205], s[18:19], v[188:189], v[188:189], v[190:191]
	v_rcp_f64_e32 v[206:207], v[204:205]
	v_div_scale_f64 v[208:209], vcc, v[190:191], v[188:189], v[190:191]
	v_fma_f64 v[210:211], -v[204:205], v[206:207], 1.0
	v_fmac_f64_e32 v[206:207], v[206:207], v[210:211]
	v_fma_f64 v[210:211], -v[204:205], v[206:207], 1.0
	v_fmac_f64_e32 v[206:207], v[206:207], v[210:211]
	v_mul_f64 v[210:211], v[208:209], v[206:207]
	v_fma_f64 v[204:205], -v[204:205], v[210:211], v[208:209]
	v_div_fmas_f64 v[204:205], v[204:205], v[206:207], v[210:211]
	v_div_fixup_f64 v[204:205], v[204:205], v[188:189], v[190:191]
	v_fmac_f64_e32 v[188:189], v[190:191], v[204:205]
	v_div_scale_f64 v[190:191], s[18:19], v[188:189], v[188:189], 1.0
	v_rcp_f64_e32 v[206:207], v[190:191]
	s_nop 0
	v_fma_f64 v[208:209], -v[190:191], v[206:207], 1.0
	v_fmac_f64_e32 v[206:207], v[206:207], v[208:209]
	v_fma_f64 v[208:209], -v[190:191], v[206:207], 1.0
	v_fmac_f64_e32 v[206:207], v[206:207], v[208:209]
	v_div_scale_f64 v[208:209], vcc, 1.0, v[188:189], 1.0
	v_mul_f64 v[210:211], v[208:209], v[206:207]
	v_fma_f64 v[190:191], -v[190:191], v[210:211], v[208:209]
	s_nop 1
	v_div_fmas_f64 v[190:191], v[190:191], v[206:207], v[210:211]
	v_div_fixup_f64 v[188:189], v[190:191], v[188:189], 1.0
	v_mul_f64 v[190:191], v[204:205], -v[188:189]
.LBB92_366:
	s_or_b64 exec, exec, s[16:17]
.LBB92_367:
	s_or_b64 exec, exec, s[0:1]
	v_cmp_ne_u32_e32 vcc, v201, v198
	s_and_saveexec_b64 s[0:1], vcc
	s_xor_b64 s[0:1], exec, s[0:1]
	s_cbranch_execz .LBB92_373
; %bb.368:
	v_cmp_eq_u32_e32 vcc, 17, v201
	s_and_saveexec_b64 s[16:17], vcc
	s_cbranch_execz .LBB92_372
; %bb.369:
	v_cmp_ne_u32_e32 vcc, 17, v198
	s_xor_b64 s[18:19], s[14:15], -1
	s_and_b64 s[22:23], s[18:19], vcc
	s_and_saveexec_b64 s[18:19], s[22:23]
	s_cbranch_execz .LBB92_371
; %bb.370:
	v_ashrrev_i32_e32 v199, 31, v198
	v_lshl_add_u64 v[204:205], v[198:199], 2, v[196:197]
	global_load_dword v199, v[204:205], off
	global_load_dword v201, v[196:197], off offset:68
	s_waitcnt vmcnt(1)
	global_store_dword v[196:197], v199, off offset:68
	s_waitcnt vmcnt(1)
	global_store_dword v[204:205], v201, off
.LBB92_371:
	s_or_b64 exec, exec, s[18:19]
	v_mov_b32_e32 v201, v198
	v_mov_b32_e32 v203, v198
.LBB92_372:
	s_or_b64 exec, exec, s[16:17]
.LBB92_373:
	s_andn2_saveexec_b64 s[0:1], s[0:1]
	s_cbranch_execz .LBB92_375
; %bb.374:
	v_mov_b32_e32 v201, 17
	s_waitcnt vmcnt(28)
	ds_write2_b64 v200, v[108:109], v[110:111] offset0:36 offset1:37
	s_waitcnt vmcnt(27)
	ds_write2_b64 v200, v[104:105], v[106:107] offset0:38 offset1:39
	;; [unrolled: 2-line block ×29, first 2 shown]
.LBB92_375:
	s_or_b64 exec, exec, s[0:1]
	v_cmp_lt_i32_e32 vcc, 17, v201
	s_waitcnt lgkmcnt(0)
	s_barrier
	s_and_saveexec_b64 s[0:1], vcc
	s_cbranch_execz .LBB92_377
; %bb.376:
	ds_read2_b64 v[204:207], v200 offset0:36 offset1:37
	v_mul_f64 v[198:199], v[190:191], v[114:115]
	v_mul_f64 v[114:115], v[188:189], v[114:115]
	v_fmac_f64_e32 v[114:115], v[190:191], v[112:113]
	v_fma_f64 v[198:199], v[188:189], v[112:113], -v[198:199]
	ds_read2_b64 v[188:191], v200 offset0:38 offset1:39
	s_waitcnt lgkmcnt(1)
	v_mul_f64 v[112:113], v[206:207], v[114:115]
	v_fma_f64 v[112:113], v[204:205], v[198:199], -v[112:113]
	v_mul_f64 v[204:205], v[204:205], v[114:115]
	v_fmac_f64_e32 v[204:205], v[206:207], v[198:199]
	s_waitcnt vmcnt(28)
	v_add_f64 v[110:111], v[110:111], -v[204:205]
	ds_read2_b64 v[204:207], v200 offset0:40 offset1:41
	v_add_f64 v[108:109], v[108:109], -v[112:113]
	s_waitcnt lgkmcnt(1)
	v_mul_f64 v[112:113], v[190:191], v[114:115]
	v_fma_f64 v[112:113], v[188:189], v[198:199], -v[112:113]
	v_mul_f64 v[188:189], v[188:189], v[114:115]
	v_fmac_f64_e32 v[188:189], v[190:191], v[198:199]
	s_waitcnt vmcnt(27)
	v_add_f64 v[104:105], v[104:105], -v[112:113]
	v_add_f64 v[106:107], v[106:107], -v[188:189]
	ds_read2_b64 v[188:191], v200 offset0:42 offset1:43
	s_waitcnt lgkmcnt(1)
	v_mul_f64 v[112:113], v[206:207], v[114:115]
	v_fma_f64 v[112:113], v[204:205], v[198:199], -v[112:113]
	v_mul_f64 v[204:205], v[204:205], v[114:115]
	v_fmac_f64_e32 v[204:205], v[206:207], v[198:199]
	s_waitcnt vmcnt(26)
	v_add_f64 v[102:103], v[102:103], -v[204:205]
	ds_read2_b64 v[204:207], v200 offset0:44 offset1:45
	v_add_f64 v[100:101], v[100:101], -v[112:113]
	s_waitcnt lgkmcnt(1)
	v_mul_f64 v[112:113], v[190:191], v[114:115]
	v_fma_f64 v[112:113], v[188:189], v[198:199], -v[112:113]
	v_mul_f64 v[188:189], v[188:189], v[114:115]
	v_fmac_f64_e32 v[188:189], v[190:191], v[198:199]
	s_waitcnt vmcnt(25)
	v_add_f64 v[96:97], v[96:97], -v[112:113]
	v_add_f64 v[98:99], v[98:99], -v[188:189]
	ds_read2_b64 v[188:191], v200 offset0:46 offset1:47
	s_waitcnt lgkmcnt(1)
	v_mul_f64 v[112:113], v[206:207], v[114:115]
	v_fma_f64 v[112:113], v[204:205], v[198:199], -v[112:113]
	v_mul_f64 v[204:205], v[204:205], v[114:115]
	v_fmac_f64_e32 v[204:205], v[206:207], v[198:199]
	s_waitcnt vmcnt(24)
	v_add_f64 v[94:95], v[94:95], -v[204:205]
	ds_read2_b64 v[204:207], v200 offset0:48 offset1:49
	v_add_f64 v[92:93], v[92:93], -v[112:113]
	s_waitcnt lgkmcnt(1)
	v_mul_f64 v[112:113], v[190:191], v[114:115]
	v_fma_f64 v[112:113], v[188:189], v[198:199], -v[112:113]
	v_mul_f64 v[188:189], v[188:189], v[114:115]
	v_fmac_f64_e32 v[188:189], v[190:191], v[198:199]
	s_waitcnt vmcnt(23)
	v_add_f64 v[88:89], v[88:89], -v[112:113]
	v_add_f64 v[90:91], v[90:91], -v[188:189]
	ds_read2_b64 v[188:191], v200 offset0:50 offset1:51
	s_waitcnt lgkmcnt(1)
	v_mul_f64 v[112:113], v[206:207], v[114:115]
	v_fma_f64 v[112:113], v[204:205], v[198:199], -v[112:113]
	v_mul_f64 v[204:205], v[204:205], v[114:115]
	v_fmac_f64_e32 v[204:205], v[206:207], v[198:199]
	s_waitcnt vmcnt(22)
	v_add_f64 v[86:87], v[86:87], -v[204:205]
	ds_read2_b64 v[204:207], v200 offset0:52 offset1:53
	v_add_f64 v[84:85], v[84:85], -v[112:113]
	s_waitcnt lgkmcnt(1)
	v_mul_f64 v[112:113], v[190:191], v[114:115]
	v_fma_f64 v[112:113], v[188:189], v[198:199], -v[112:113]
	v_mul_f64 v[188:189], v[188:189], v[114:115]
	v_fmac_f64_e32 v[188:189], v[190:191], v[198:199]
	s_waitcnt vmcnt(21)
	v_add_f64 v[80:81], v[80:81], -v[112:113]
	v_add_f64 v[82:83], v[82:83], -v[188:189]
	ds_read2_b64 v[188:191], v200 offset0:54 offset1:55
	s_waitcnt lgkmcnt(1)
	v_mul_f64 v[112:113], v[206:207], v[114:115]
	v_fma_f64 v[112:113], v[204:205], v[198:199], -v[112:113]
	v_mul_f64 v[204:205], v[204:205], v[114:115]
	v_fmac_f64_e32 v[204:205], v[206:207], v[198:199]
	s_waitcnt vmcnt(20)
	v_add_f64 v[78:79], v[78:79], -v[204:205]
	ds_read2_b64 v[204:207], v200 offset0:56 offset1:57
	v_add_f64 v[76:77], v[76:77], -v[112:113]
	s_waitcnt lgkmcnt(1)
	v_mul_f64 v[112:113], v[190:191], v[114:115]
	v_fma_f64 v[112:113], v[188:189], v[198:199], -v[112:113]
	v_mul_f64 v[188:189], v[188:189], v[114:115]
	v_fmac_f64_e32 v[188:189], v[190:191], v[198:199]
	s_waitcnt vmcnt(19)
	v_add_f64 v[72:73], v[72:73], -v[112:113]
	v_add_f64 v[74:75], v[74:75], -v[188:189]
	ds_read2_b64 v[188:191], v200 offset0:58 offset1:59
	s_waitcnt lgkmcnt(1)
	v_mul_f64 v[112:113], v[206:207], v[114:115]
	v_fma_f64 v[112:113], v[204:205], v[198:199], -v[112:113]
	v_mul_f64 v[204:205], v[204:205], v[114:115]
	v_fmac_f64_e32 v[204:205], v[206:207], v[198:199]
	s_waitcnt vmcnt(18)
	v_add_f64 v[70:71], v[70:71], -v[204:205]
	ds_read2_b64 v[204:207], v200 offset0:60 offset1:61
	v_add_f64 v[68:69], v[68:69], -v[112:113]
	s_waitcnt lgkmcnt(1)
	v_mul_f64 v[112:113], v[190:191], v[114:115]
	v_fma_f64 v[112:113], v[188:189], v[198:199], -v[112:113]
	v_mul_f64 v[188:189], v[188:189], v[114:115]
	v_fmac_f64_e32 v[188:189], v[190:191], v[198:199]
	s_waitcnt vmcnt(17)
	v_add_f64 v[64:65], v[64:65], -v[112:113]
	v_add_f64 v[66:67], v[66:67], -v[188:189]
	ds_read2_b64 v[188:191], v200 offset0:62 offset1:63
	s_waitcnt lgkmcnt(1)
	v_mul_f64 v[112:113], v[206:207], v[114:115]
	v_fma_f64 v[112:113], v[204:205], v[198:199], -v[112:113]
	v_mul_f64 v[204:205], v[204:205], v[114:115]
	v_fmac_f64_e32 v[204:205], v[206:207], v[198:199]
	s_waitcnt vmcnt(16)
	v_add_f64 v[62:63], v[62:63], -v[204:205]
	ds_read2_b64 v[204:207], v200 offset0:64 offset1:65
	v_add_f64 v[60:61], v[60:61], -v[112:113]
	s_waitcnt lgkmcnt(1)
	v_mul_f64 v[112:113], v[190:191], v[114:115]
	v_fma_f64 v[112:113], v[188:189], v[198:199], -v[112:113]
	v_mul_f64 v[188:189], v[188:189], v[114:115]
	v_fmac_f64_e32 v[188:189], v[190:191], v[198:199]
	s_waitcnt vmcnt(15)
	v_add_f64 v[56:57], v[56:57], -v[112:113]
	v_add_f64 v[58:59], v[58:59], -v[188:189]
	ds_read2_b64 v[188:191], v200 offset0:66 offset1:67
	s_waitcnt lgkmcnt(1)
	v_mul_f64 v[112:113], v[206:207], v[114:115]
	v_fma_f64 v[112:113], v[204:205], v[198:199], -v[112:113]
	v_mul_f64 v[204:205], v[204:205], v[114:115]
	v_fmac_f64_e32 v[204:205], v[206:207], v[198:199]
	s_waitcnt vmcnt(14)
	v_add_f64 v[54:55], v[54:55], -v[204:205]
	ds_read2_b64 v[204:207], v200 offset0:68 offset1:69
	v_add_f64 v[52:53], v[52:53], -v[112:113]
	s_waitcnt lgkmcnt(1)
	v_mul_f64 v[112:113], v[190:191], v[114:115]
	v_fma_f64 v[112:113], v[188:189], v[198:199], -v[112:113]
	v_mul_f64 v[188:189], v[188:189], v[114:115]
	v_fmac_f64_e32 v[188:189], v[190:191], v[198:199]
	s_waitcnt vmcnt(13)
	v_add_f64 v[48:49], v[48:49], -v[112:113]
	v_add_f64 v[50:51], v[50:51], -v[188:189]
	ds_read2_b64 v[188:191], v200 offset0:70 offset1:71
	s_waitcnt lgkmcnt(1)
	v_mul_f64 v[112:113], v[206:207], v[114:115]
	v_fma_f64 v[112:113], v[204:205], v[198:199], -v[112:113]
	v_mul_f64 v[204:205], v[204:205], v[114:115]
	v_fmac_f64_e32 v[204:205], v[206:207], v[198:199]
	s_waitcnt vmcnt(12)
	v_add_f64 v[46:47], v[46:47], -v[204:205]
	ds_read2_b64 v[204:207], v200 offset0:72 offset1:73
	v_add_f64 v[44:45], v[44:45], -v[112:113]
	s_waitcnt lgkmcnt(1)
	v_mul_f64 v[112:113], v[190:191], v[114:115]
	v_fma_f64 v[112:113], v[188:189], v[198:199], -v[112:113]
	v_mul_f64 v[188:189], v[188:189], v[114:115]
	v_fmac_f64_e32 v[188:189], v[190:191], v[198:199]
	s_waitcnt vmcnt(11)
	v_add_f64 v[40:41], v[40:41], -v[112:113]
	v_add_f64 v[42:43], v[42:43], -v[188:189]
	ds_read2_b64 v[188:191], v200 offset0:74 offset1:75
	s_waitcnt lgkmcnt(1)
	v_mul_f64 v[112:113], v[206:207], v[114:115]
	v_fma_f64 v[112:113], v[204:205], v[198:199], -v[112:113]
	v_mul_f64 v[204:205], v[204:205], v[114:115]
	v_fmac_f64_e32 v[204:205], v[206:207], v[198:199]
	s_waitcnt vmcnt(10)
	v_add_f64 v[38:39], v[38:39], -v[204:205]
	ds_read2_b64 v[204:207], v200 offset0:76 offset1:77
	v_add_f64 v[36:37], v[36:37], -v[112:113]
	s_waitcnt lgkmcnt(1)
	v_mul_f64 v[112:113], v[190:191], v[114:115]
	v_fma_f64 v[112:113], v[188:189], v[198:199], -v[112:113]
	v_mul_f64 v[188:189], v[188:189], v[114:115]
	v_fmac_f64_e32 v[188:189], v[190:191], v[198:199]
	s_waitcnt vmcnt(9)
	v_add_f64 v[32:33], v[32:33], -v[112:113]
	v_add_f64 v[34:35], v[34:35], -v[188:189]
	ds_read2_b64 v[188:191], v200 offset0:78 offset1:79
	s_waitcnt lgkmcnt(1)
	v_mul_f64 v[112:113], v[206:207], v[114:115]
	v_fma_f64 v[112:113], v[204:205], v[198:199], -v[112:113]
	v_mul_f64 v[204:205], v[204:205], v[114:115]
	v_fmac_f64_e32 v[204:205], v[206:207], v[198:199]
	s_waitcnt vmcnt(8)
	v_add_f64 v[30:31], v[30:31], -v[204:205]
	ds_read2_b64 v[204:207], v200 offset0:80 offset1:81
	v_add_f64 v[28:29], v[28:29], -v[112:113]
	s_waitcnt lgkmcnt(1)
	v_mul_f64 v[112:113], v[190:191], v[114:115]
	v_fma_f64 v[112:113], v[188:189], v[198:199], -v[112:113]
	v_mul_f64 v[188:189], v[188:189], v[114:115]
	v_fmac_f64_e32 v[188:189], v[190:191], v[198:199]
	s_waitcnt vmcnt(7)
	v_add_f64 v[24:25], v[24:25], -v[112:113]
	v_add_f64 v[26:27], v[26:27], -v[188:189]
	ds_read2_b64 v[188:191], v200 offset0:82 offset1:83
	s_waitcnt lgkmcnt(1)
	v_mul_f64 v[112:113], v[206:207], v[114:115]
	v_fma_f64 v[112:113], v[204:205], v[198:199], -v[112:113]
	v_mul_f64 v[204:205], v[204:205], v[114:115]
	v_fmac_f64_e32 v[204:205], v[206:207], v[198:199]
	s_waitcnt vmcnt(6)
	v_add_f64 v[22:23], v[22:23], -v[204:205]
	ds_read2_b64 v[204:207], v200 offset0:84 offset1:85
	v_add_f64 v[20:21], v[20:21], -v[112:113]
	s_waitcnt lgkmcnt(1)
	v_mul_f64 v[112:113], v[190:191], v[114:115]
	v_fma_f64 v[112:113], v[188:189], v[198:199], -v[112:113]
	v_mul_f64 v[188:189], v[188:189], v[114:115]
	v_fmac_f64_e32 v[188:189], v[190:191], v[198:199]
	s_waitcnt vmcnt(5)
	v_add_f64 v[16:17], v[16:17], -v[112:113]
	v_add_f64 v[18:19], v[18:19], -v[188:189]
	ds_read2_b64 v[188:191], v200 offset0:86 offset1:87
	s_waitcnt lgkmcnt(1)
	v_mul_f64 v[112:113], v[206:207], v[114:115]
	v_fma_f64 v[112:113], v[204:205], v[198:199], -v[112:113]
	v_mul_f64 v[204:205], v[204:205], v[114:115]
	v_fmac_f64_e32 v[204:205], v[206:207], v[198:199]
	s_waitcnt vmcnt(4)
	v_add_f64 v[14:15], v[14:15], -v[204:205]
	ds_read2_b64 v[204:207], v200 offset0:88 offset1:89
	v_add_f64 v[12:13], v[12:13], -v[112:113]
	s_waitcnt lgkmcnt(1)
	v_mul_f64 v[112:113], v[190:191], v[114:115]
	v_fma_f64 v[112:113], v[188:189], v[198:199], -v[112:113]
	v_mul_f64 v[188:189], v[188:189], v[114:115]
	v_fmac_f64_e32 v[188:189], v[190:191], v[198:199]
	s_waitcnt vmcnt(3)
	v_add_f64 v[8:9], v[8:9], -v[112:113]
	v_add_f64 v[10:11], v[10:11], -v[188:189]
	ds_read2_b64 v[188:191], v200 offset0:90 offset1:91
	s_waitcnt lgkmcnt(1)
	v_mul_f64 v[112:113], v[206:207], v[114:115]
	v_fma_f64 v[112:113], v[204:205], v[198:199], -v[112:113]
	v_mul_f64 v[204:205], v[204:205], v[114:115]
	v_fmac_f64_e32 v[204:205], v[206:207], v[198:199]
	s_waitcnt vmcnt(2)
	v_add_f64 v[6:7], v[6:7], -v[204:205]
	ds_read2_b64 v[204:207], v200 offset0:92 offset1:93
	v_add_f64 v[4:5], v[4:5], -v[112:113]
	s_waitcnt lgkmcnt(1)
	v_mul_f64 v[112:113], v[190:191], v[114:115]
	v_fma_f64 v[112:113], v[188:189], v[198:199], -v[112:113]
	v_mul_f64 v[188:189], v[188:189], v[114:115]
	v_fmac_f64_e32 v[188:189], v[190:191], v[198:199]
	s_waitcnt vmcnt(1)
	v_add_f64 v[0:1], v[0:1], -v[112:113]
	v_add_f64 v[2:3], v[2:3], -v[188:189]
	s_waitcnt lgkmcnt(0)
	v_mul_f64 v[112:113], v[206:207], v[114:115]
	v_mul_f64 v[188:189], v[204:205], v[114:115]
	v_fma_f64 v[112:113], v[204:205], v[198:199], -v[112:113]
	v_fmac_f64_e32 v[188:189], v[206:207], v[198:199]
	s_waitcnt vmcnt(0)
	v_add_f64 v[184:185], v[184:185], -v[112:113]
	v_add_f64 v[186:187], v[186:187], -v[188:189]
	v_mov_b64_e32 v[112:113], v[198:199]
.LBB92_377:
	s_or_b64 exec, exec, s[0:1]
	v_lshl_add_u32 v188, v201, 4, v200
	s_barrier
	s_waitcnt vmcnt(28)
	ds_write2_b64 v188, v[108:109], v[110:111] offset1:1
	s_waitcnt lgkmcnt(0)
	s_barrier
	ds_read2_b64 v[188:191], v200 offset0:36 offset1:37
	s_cmp_lt_i32 s20, 20
	v_mov_b32_e32 v198, 18
	s_cbranch_scc1 .LBB92_380
; %bb.378:
	v_add_u32_e32 v199, 0x130, v200
	s_mov_b32 s16, 19
	v_mov_b32_e32 v198, 18
.LBB92_379:                             ; =>This Inner Loop Header: Depth=1
	ds_read2_b64 v[204:207], v199 offset1:1
	s_waitcnt lgkmcnt(1)
	v_xor_b32_e32 v209, 0x80000000, v189
	v_xor_b32_e32 v211, 0x80000000, v191
	v_cmp_gt_f64_e32 vcc, 0, v[190:191]
	v_cmp_gt_f64_e64 s[0:1], 0, v[188:189]
	v_mov_b32_e32 v208, v188
	v_mov_b32_e32 v210, v190
	v_cndmask_b32_e64 v209, v189, v209, s[0:1]
	v_cndmask_b32_e32 v211, v191, v211, vcc
	v_add_f64 v[208:209], v[208:209], v[210:211]
	s_waitcnt lgkmcnt(0)
	v_xor_b32_e32 v211, 0x80000000, v205
	v_xor_b32_e32 v213, 0x80000000, v207
	v_cmp_gt_f64_e32 vcc, 0, v[206:207]
	v_cmp_gt_f64_e64 s[0:1], 0, v[204:205]
	v_mov_b32_e32 v210, v204
	v_mov_b32_e32 v212, v206
	v_cndmask_b32_e64 v211, v205, v211, s[0:1]
	v_cndmask_b32_e32 v213, v207, v213, vcc
	v_add_f64 v[210:211], v[210:211], v[212:213]
	v_mov_b32_e32 v214, s16
	s_add_i32 s16, s16, 1
	v_cmp_lt_f64_e32 vcc, v[208:209], v[210:211]
	v_add_u32_e32 v199, 16, v199
	s_cmp_lg_u32 s20, s16
	v_cndmask_b32_e32 v189, v189, v205, vcc
	v_cndmask_b32_e32 v188, v188, v204, vcc
	;; [unrolled: 1-line block ×5, first 2 shown]
	s_cbranch_scc1 .LBB92_379
.LBB92_380:
	s_waitcnt lgkmcnt(0)
	v_cmp_eq_f64_e32 vcc, 0, v[188:189]
	v_cmp_eq_f64_e64 s[0:1], 0, v[190:191]
	s_and_b64 s[0:1], vcc, s[0:1]
	s_and_saveexec_b64 s[16:17], s[0:1]
	s_xor_b64 s[0:1], exec, s[16:17]
; %bb.381:
	v_cmp_ne_u32_e32 vcc, 0, v202
	s_nop 1
	v_cndmask_b32_e32 v202, 19, v202, vcc
; %bb.382:
	s_andn2_saveexec_b64 s[0:1], s[0:1]
	s_cbranch_execz .LBB92_388
; %bb.383:
	v_cmp_ngt_f64_e64 s[16:17], |v[188:189]|, |v[190:191]|
	s_and_saveexec_b64 s[18:19], s[16:17]
	s_xor_b64 s[16:17], exec, s[18:19]
	s_cbranch_execz .LBB92_385
; %bb.384:
	v_div_scale_f64 v[204:205], s[18:19], v[190:191], v[190:191], v[188:189]
	v_rcp_f64_e32 v[206:207], v[204:205]
	v_div_scale_f64 v[208:209], vcc, v[188:189], v[190:191], v[188:189]
	v_fma_f64 v[210:211], -v[204:205], v[206:207], 1.0
	v_fmac_f64_e32 v[206:207], v[206:207], v[210:211]
	v_fma_f64 v[210:211], -v[204:205], v[206:207], 1.0
	v_fmac_f64_e32 v[206:207], v[206:207], v[210:211]
	v_mul_f64 v[210:211], v[208:209], v[206:207]
	v_fma_f64 v[204:205], -v[204:205], v[210:211], v[208:209]
	v_div_fmas_f64 v[204:205], v[204:205], v[206:207], v[210:211]
	v_div_fixup_f64 v[204:205], v[204:205], v[190:191], v[188:189]
	v_fmac_f64_e32 v[190:191], v[188:189], v[204:205]
	v_div_scale_f64 v[188:189], s[18:19], v[190:191], v[190:191], 1.0
	v_rcp_f64_e32 v[206:207], v[188:189]
	s_nop 0
	v_fma_f64 v[208:209], -v[188:189], v[206:207], 1.0
	v_fmac_f64_e32 v[206:207], v[206:207], v[208:209]
	v_fma_f64 v[208:209], -v[188:189], v[206:207], 1.0
	v_fmac_f64_e32 v[206:207], v[206:207], v[208:209]
	v_div_scale_f64 v[208:209], vcc, 1.0, v[190:191], 1.0
	v_mul_f64 v[210:211], v[208:209], v[206:207]
	v_fma_f64 v[188:189], -v[188:189], v[210:211], v[208:209]
	s_nop 1
	v_div_fmas_f64 v[188:189], v[188:189], v[206:207], v[210:211]
	v_div_fixup_f64 v[190:191], v[188:189], v[190:191], 1.0
	v_mul_f64 v[188:189], v[204:205], v[190:191]
	v_xor_b32_e32 v191, 0x80000000, v191
.LBB92_385:
	s_andn2_saveexec_b64 s[16:17], s[16:17]
	s_cbranch_execz .LBB92_387
; %bb.386:
	v_div_scale_f64 v[204:205], s[18:19], v[188:189], v[188:189], v[190:191]
	v_rcp_f64_e32 v[206:207], v[204:205]
	v_div_scale_f64 v[208:209], vcc, v[190:191], v[188:189], v[190:191]
	v_fma_f64 v[210:211], -v[204:205], v[206:207], 1.0
	v_fmac_f64_e32 v[206:207], v[206:207], v[210:211]
	v_fma_f64 v[210:211], -v[204:205], v[206:207], 1.0
	v_fmac_f64_e32 v[206:207], v[206:207], v[210:211]
	v_mul_f64 v[210:211], v[208:209], v[206:207]
	v_fma_f64 v[204:205], -v[204:205], v[210:211], v[208:209]
	v_div_fmas_f64 v[204:205], v[204:205], v[206:207], v[210:211]
	v_div_fixup_f64 v[204:205], v[204:205], v[188:189], v[190:191]
	v_fmac_f64_e32 v[188:189], v[190:191], v[204:205]
	v_div_scale_f64 v[190:191], s[18:19], v[188:189], v[188:189], 1.0
	v_rcp_f64_e32 v[206:207], v[190:191]
	s_nop 0
	v_fma_f64 v[208:209], -v[190:191], v[206:207], 1.0
	v_fmac_f64_e32 v[206:207], v[206:207], v[208:209]
	v_fma_f64 v[208:209], -v[190:191], v[206:207], 1.0
	v_fmac_f64_e32 v[206:207], v[206:207], v[208:209]
	v_div_scale_f64 v[208:209], vcc, 1.0, v[188:189], 1.0
	v_mul_f64 v[210:211], v[208:209], v[206:207]
	v_fma_f64 v[190:191], -v[190:191], v[210:211], v[208:209]
	s_nop 1
	v_div_fmas_f64 v[190:191], v[190:191], v[206:207], v[210:211]
	v_div_fixup_f64 v[188:189], v[190:191], v[188:189], 1.0
	v_mul_f64 v[190:191], v[204:205], -v[188:189]
.LBB92_387:
	s_or_b64 exec, exec, s[16:17]
.LBB92_388:
	s_or_b64 exec, exec, s[0:1]
	v_cmp_ne_u32_e32 vcc, v201, v198
	s_and_saveexec_b64 s[0:1], vcc
	s_xor_b64 s[0:1], exec, s[0:1]
	s_cbranch_execz .LBB92_394
; %bb.389:
	v_cmp_eq_u32_e32 vcc, 18, v201
	s_and_saveexec_b64 s[16:17], vcc
	s_cbranch_execz .LBB92_393
; %bb.390:
	v_cmp_ne_u32_e32 vcc, 18, v198
	s_xor_b64 s[18:19], s[14:15], -1
	s_and_b64 s[22:23], s[18:19], vcc
	s_and_saveexec_b64 s[18:19], s[22:23]
	s_cbranch_execz .LBB92_392
; %bb.391:
	v_ashrrev_i32_e32 v199, 31, v198
	v_lshl_add_u64 v[204:205], v[198:199], 2, v[196:197]
	global_load_dword v199, v[204:205], off
	global_load_dword v201, v[196:197], off offset:72
	s_waitcnt vmcnt(1)
	global_store_dword v[196:197], v199, off offset:72
	s_waitcnt vmcnt(1)
	global_store_dword v[204:205], v201, off
.LBB92_392:
	s_or_b64 exec, exec, s[18:19]
	v_mov_b32_e32 v201, v198
	v_mov_b32_e32 v203, v198
.LBB92_393:
	s_or_b64 exec, exec, s[16:17]
.LBB92_394:
	s_andn2_saveexec_b64 s[0:1], s[0:1]
	s_cbranch_execz .LBB92_396
; %bb.395:
	v_mov_b32_e32 v201, 18
	s_waitcnt vmcnt(27)
	ds_write2_b64 v200, v[104:105], v[106:107] offset0:38 offset1:39
	s_waitcnt vmcnt(26)
	ds_write2_b64 v200, v[100:101], v[102:103] offset0:40 offset1:41
	;; [unrolled: 2-line block ×28, first 2 shown]
.LBB92_396:
	s_or_b64 exec, exec, s[0:1]
	v_cmp_lt_i32_e32 vcc, 18, v201
	s_waitcnt lgkmcnt(0)
	s_barrier
	s_and_saveexec_b64 s[0:1], vcc
	s_cbranch_execz .LBB92_398
; %bb.397:
	ds_read2_b64 v[204:207], v200 offset0:38 offset1:39
	v_mul_f64 v[198:199], v[190:191], v[110:111]
	v_mul_f64 v[110:111], v[188:189], v[110:111]
	v_fma_f64 v[198:199], v[188:189], v[108:109], -v[198:199]
	v_fmac_f64_e32 v[110:111], v[190:191], v[108:109]
	ds_read2_b64 v[188:191], v200 offset0:40 offset1:41
	s_waitcnt lgkmcnt(1)
	v_mul_f64 v[108:109], v[206:207], v[110:111]
	v_fma_f64 v[108:109], v[204:205], v[198:199], -v[108:109]
	v_mul_f64 v[204:205], v[204:205], v[110:111]
	v_fmac_f64_e32 v[204:205], v[206:207], v[198:199]
	s_waitcnt vmcnt(27)
	v_add_f64 v[104:105], v[104:105], -v[108:109]
	s_waitcnt lgkmcnt(0)
	v_mul_f64 v[108:109], v[190:191], v[110:111]
	v_add_f64 v[106:107], v[106:107], -v[204:205]
	v_fma_f64 v[108:109], v[188:189], v[198:199], -v[108:109]
	v_mul_f64 v[188:189], v[188:189], v[110:111]
	ds_read2_b64 v[204:207], v200 offset0:42 offset1:43
	v_fmac_f64_e32 v[188:189], v[190:191], v[198:199]
	s_waitcnt vmcnt(26)
	v_add_f64 v[102:103], v[102:103], -v[188:189]
	ds_read2_b64 v[188:191], v200 offset0:44 offset1:45
	v_add_f64 v[100:101], v[100:101], -v[108:109]
	s_waitcnt lgkmcnt(1)
	v_mul_f64 v[108:109], v[206:207], v[110:111]
	v_fma_f64 v[108:109], v[204:205], v[198:199], -v[108:109]
	v_mul_f64 v[204:205], v[204:205], v[110:111]
	v_fmac_f64_e32 v[204:205], v[206:207], v[198:199]
	s_waitcnt vmcnt(25)
	v_add_f64 v[96:97], v[96:97], -v[108:109]
	s_waitcnt lgkmcnt(0)
	v_mul_f64 v[108:109], v[190:191], v[110:111]
	v_add_f64 v[98:99], v[98:99], -v[204:205]
	v_fma_f64 v[108:109], v[188:189], v[198:199], -v[108:109]
	v_mul_f64 v[188:189], v[188:189], v[110:111]
	ds_read2_b64 v[204:207], v200 offset0:46 offset1:47
	v_fmac_f64_e32 v[188:189], v[190:191], v[198:199]
	s_waitcnt vmcnt(24)
	v_add_f64 v[94:95], v[94:95], -v[188:189]
	ds_read2_b64 v[188:191], v200 offset0:48 offset1:49
	v_add_f64 v[92:93], v[92:93], -v[108:109]
	;; [unrolled: 18-line block ×13, first 2 shown]
	s_waitcnt lgkmcnt(1)
	v_mul_f64 v[108:109], v[206:207], v[110:111]
	v_fma_f64 v[108:109], v[204:205], v[198:199], -v[108:109]
	s_waitcnt vmcnt(1)
	v_add_f64 v[0:1], v[0:1], -v[108:109]
	s_waitcnt lgkmcnt(0)
	v_mul_f64 v[108:109], v[190:191], v[110:111]
	v_mul_f64 v[204:205], v[204:205], v[110:111]
	v_fma_f64 v[108:109], v[188:189], v[198:199], -v[108:109]
	v_mul_f64 v[188:189], v[188:189], v[110:111]
	v_fmac_f64_e32 v[204:205], v[206:207], v[198:199]
	v_fmac_f64_e32 v[188:189], v[190:191], v[198:199]
	v_add_f64 v[2:3], v[2:3], -v[204:205]
	s_waitcnt vmcnt(0)
	v_add_f64 v[184:185], v[184:185], -v[108:109]
	v_add_f64 v[186:187], v[186:187], -v[188:189]
	v_mov_b64_e32 v[108:109], v[198:199]
.LBB92_398:
	s_or_b64 exec, exec, s[0:1]
	v_lshl_add_u32 v188, v201, 4, v200
	s_barrier
	s_waitcnt vmcnt(27)
	ds_write2_b64 v188, v[104:105], v[106:107] offset1:1
	s_waitcnt lgkmcnt(0)
	s_barrier
	ds_read2_b64 v[188:191], v200 offset0:38 offset1:39
	s_cmp_lt_i32 s20, 21
	v_mov_b32_e32 v198, 19
	s_cbranch_scc1 .LBB92_401
; %bb.399:
	v_add_u32_e32 v199, 0x140, v200
	s_mov_b32 s16, 20
	v_mov_b32_e32 v198, 19
.LBB92_400:                             ; =>This Inner Loop Header: Depth=1
	ds_read2_b64 v[204:207], v199 offset1:1
	s_waitcnt lgkmcnt(1)
	v_xor_b32_e32 v209, 0x80000000, v189
	v_xor_b32_e32 v211, 0x80000000, v191
	v_cmp_gt_f64_e32 vcc, 0, v[190:191]
	v_cmp_gt_f64_e64 s[0:1], 0, v[188:189]
	v_mov_b32_e32 v208, v188
	v_mov_b32_e32 v210, v190
	v_cndmask_b32_e64 v209, v189, v209, s[0:1]
	v_cndmask_b32_e32 v211, v191, v211, vcc
	v_add_f64 v[208:209], v[208:209], v[210:211]
	s_waitcnt lgkmcnt(0)
	v_xor_b32_e32 v211, 0x80000000, v205
	v_xor_b32_e32 v213, 0x80000000, v207
	v_cmp_gt_f64_e32 vcc, 0, v[206:207]
	v_cmp_gt_f64_e64 s[0:1], 0, v[204:205]
	v_mov_b32_e32 v210, v204
	v_mov_b32_e32 v212, v206
	v_cndmask_b32_e64 v211, v205, v211, s[0:1]
	v_cndmask_b32_e32 v213, v207, v213, vcc
	v_add_f64 v[210:211], v[210:211], v[212:213]
	v_mov_b32_e32 v214, s16
	s_add_i32 s16, s16, 1
	v_cmp_lt_f64_e32 vcc, v[208:209], v[210:211]
	v_add_u32_e32 v199, 16, v199
	s_cmp_lg_u32 s20, s16
	v_cndmask_b32_e32 v189, v189, v205, vcc
	v_cndmask_b32_e32 v188, v188, v204, vcc
	;; [unrolled: 1-line block ×5, first 2 shown]
	s_cbranch_scc1 .LBB92_400
.LBB92_401:
	s_waitcnt lgkmcnt(0)
	v_cmp_eq_f64_e32 vcc, 0, v[188:189]
	v_cmp_eq_f64_e64 s[0:1], 0, v[190:191]
	s_and_b64 s[0:1], vcc, s[0:1]
	s_and_saveexec_b64 s[16:17], s[0:1]
	s_xor_b64 s[0:1], exec, s[16:17]
; %bb.402:
	v_cmp_ne_u32_e32 vcc, 0, v202
	s_nop 1
	v_cndmask_b32_e32 v202, 20, v202, vcc
; %bb.403:
	s_andn2_saveexec_b64 s[0:1], s[0:1]
	s_cbranch_execz .LBB92_409
; %bb.404:
	v_cmp_ngt_f64_e64 s[16:17], |v[188:189]|, |v[190:191]|
	s_and_saveexec_b64 s[18:19], s[16:17]
	s_xor_b64 s[16:17], exec, s[18:19]
	s_cbranch_execz .LBB92_406
; %bb.405:
	v_div_scale_f64 v[204:205], s[18:19], v[190:191], v[190:191], v[188:189]
	v_rcp_f64_e32 v[206:207], v[204:205]
	v_div_scale_f64 v[208:209], vcc, v[188:189], v[190:191], v[188:189]
	v_fma_f64 v[210:211], -v[204:205], v[206:207], 1.0
	v_fmac_f64_e32 v[206:207], v[206:207], v[210:211]
	v_fma_f64 v[210:211], -v[204:205], v[206:207], 1.0
	v_fmac_f64_e32 v[206:207], v[206:207], v[210:211]
	v_mul_f64 v[210:211], v[208:209], v[206:207]
	v_fma_f64 v[204:205], -v[204:205], v[210:211], v[208:209]
	v_div_fmas_f64 v[204:205], v[204:205], v[206:207], v[210:211]
	v_div_fixup_f64 v[204:205], v[204:205], v[190:191], v[188:189]
	v_fmac_f64_e32 v[190:191], v[188:189], v[204:205]
	v_div_scale_f64 v[188:189], s[18:19], v[190:191], v[190:191], 1.0
	v_rcp_f64_e32 v[206:207], v[188:189]
	s_nop 0
	v_fma_f64 v[208:209], -v[188:189], v[206:207], 1.0
	v_fmac_f64_e32 v[206:207], v[206:207], v[208:209]
	v_fma_f64 v[208:209], -v[188:189], v[206:207], 1.0
	v_fmac_f64_e32 v[206:207], v[206:207], v[208:209]
	v_div_scale_f64 v[208:209], vcc, 1.0, v[190:191], 1.0
	v_mul_f64 v[210:211], v[208:209], v[206:207]
	v_fma_f64 v[188:189], -v[188:189], v[210:211], v[208:209]
	s_nop 1
	v_div_fmas_f64 v[188:189], v[188:189], v[206:207], v[210:211]
	v_div_fixup_f64 v[190:191], v[188:189], v[190:191], 1.0
	v_mul_f64 v[188:189], v[204:205], v[190:191]
	v_xor_b32_e32 v191, 0x80000000, v191
.LBB92_406:
	s_andn2_saveexec_b64 s[16:17], s[16:17]
	s_cbranch_execz .LBB92_408
; %bb.407:
	v_div_scale_f64 v[204:205], s[18:19], v[188:189], v[188:189], v[190:191]
	v_rcp_f64_e32 v[206:207], v[204:205]
	v_div_scale_f64 v[208:209], vcc, v[190:191], v[188:189], v[190:191]
	v_fma_f64 v[210:211], -v[204:205], v[206:207], 1.0
	v_fmac_f64_e32 v[206:207], v[206:207], v[210:211]
	v_fma_f64 v[210:211], -v[204:205], v[206:207], 1.0
	v_fmac_f64_e32 v[206:207], v[206:207], v[210:211]
	v_mul_f64 v[210:211], v[208:209], v[206:207]
	v_fma_f64 v[204:205], -v[204:205], v[210:211], v[208:209]
	v_div_fmas_f64 v[204:205], v[204:205], v[206:207], v[210:211]
	v_div_fixup_f64 v[204:205], v[204:205], v[188:189], v[190:191]
	v_fmac_f64_e32 v[188:189], v[190:191], v[204:205]
	v_div_scale_f64 v[190:191], s[18:19], v[188:189], v[188:189], 1.0
	v_rcp_f64_e32 v[206:207], v[190:191]
	s_nop 0
	v_fma_f64 v[208:209], -v[190:191], v[206:207], 1.0
	v_fmac_f64_e32 v[206:207], v[206:207], v[208:209]
	v_fma_f64 v[208:209], -v[190:191], v[206:207], 1.0
	v_fmac_f64_e32 v[206:207], v[206:207], v[208:209]
	v_div_scale_f64 v[208:209], vcc, 1.0, v[188:189], 1.0
	v_mul_f64 v[210:211], v[208:209], v[206:207]
	v_fma_f64 v[190:191], -v[190:191], v[210:211], v[208:209]
	s_nop 1
	v_div_fmas_f64 v[190:191], v[190:191], v[206:207], v[210:211]
	v_div_fixup_f64 v[188:189], v[190:191], v[188:189], 1.0
	v_mul_f64 v[190:191], v[204:205], -v[188:189]
.LBB92_408:
	s_or_b64 exec, exec, s[16:17]
.LBB92_409:
	s_or_b64 exec, exec, s[0:1]
	v_cmp_ne_u32_e32 vcc, v201, v198
	s_and_saveexec_b64 s[0:1], vcc
	s_xor_b64 s[0:1], exec, s[0:1]
	s_cbranch_execz .LBB92_415
; %bb.410:
	v_cmp_eq_u32_e32 vcc, 19, v201
	s_and_saveexec_b64 s[16:17], vcc
	s_cbranch_execz .LBB92_414
; %bb.411:
	v_cmp_ne_u32_e32 vcc, 19, v198
	s_xor_b64 s[18:19], s[14:15], -1
	s_and_b64 s[22:23], s[18:19], vcc
	s_and_saveexec_b64 s[18:19], s[22:23]
	s_cbranch_execz .LBB92_413
; %bb.412:
	v_ashrrev_i32_e32 v199, 31, v198
	v_lshl_add_u64 v[204:205], v[198:199], 2, v[196:197]
	global_load_dword v199, v[204:205], off
	global_load_dword v201, v[196:197], off offset:76
	s_waitcnt vmcnt(1)
	global_store_dword v[196:197], v199, off offset:76
	s_waitcnt vmcnt(1)
	global_store_dword v[204:205], v201, off
.LBB92_413:
	s_or_b64 exec, exec, s[18:19]
	v_mov_b32_e32 v201, v198
	v_mov_b32_e32 v203, v198
.LBB92_414:
	s_or_b64 exec, exec, s[16:17]
.LBB92_415:
	s_andn2_saveexec_b64 s[0:1], s[0:1]
	s_cbranch_execz .LBB92_417
; %bb.416:
	v_mov_b32_e32 v201, 19
	s_waitcnt vmcnt(26)
	ds_write2_b64 v200, v[100:101], v[102:103] offset0:40 offset1:41
	s_waitcnt vmcnt(25)
	ds_write2_b64 v200, v[96:97], v[98:99] offset0:42 offset1:43
	;; [unrolled: 2-line block ×27, first 2 shown]
.LBB92_417:
	s_or_b64 exec, exec, s[0:1]
	v_cmp_lt_i32_e32 vcc, 19, v201
	s_waitcnt lgkmcnt(0)
	s_barrier
	s_and_saveexec_b64 s[0:1], vcc
	s_cbranch_execz .LBB92_419
; %bb.418:
	ds_read2_b64 v[204:207], v200 offset0:40 offset1:41
	v_mul_f64 v[198:199], v[190:191], v[106:107]
	v_mul_f64 v[106:107], v[188:189], v[106:107]
	v_fmac_f64_e32 v[106:107], v[190:191], v[104:105]
	v_fma_f64 v[198:199], v[188:189], v[104:105], -v[198:199]
	ds_read2_b64 v[188:191], v200 offset0:42 offset1:43
	s_waitcnt lgkmcnt(1)
	v_mul_f64 v[104:105], v[206:207], v[106:107]
	v_fma_f64 v[104:105], v[204:205], v[198:199], -v[104:105]
	v_mul_f64 v[204:205], v[204:205], v[106:107]
	v_fmac_f64_e32 v[204:205], v[206:207], v[198:199]
	s_waitcnt vmcnt(26)
	v_add_f64 v[102:103], v[102:103], -v[204:205]
	ds_read2_b64 v[204:207], v200 offset0:44 offset1:45
	v_add_f64 v[100:101], v[100:101], -v[104:105]
	s_waitcnt lgkmcnt(1)
	v_mul_f64 v[104:105], v[190:191], v[106:107]
	v_fma_f64 v[104:105], v[188:189], v[198:199], -v[104:105]
	v_mul_f64 v[188:189], v[188:189], v[106:107]
	v_fmac_f64_e32 v[188:189], v[190:191], v[198:199]
	s_waitcnt vmcnt(25)
	v_add_f64 v[96:97], v[96:97], -v[104:105]
	v_add_f64 v[98:99], v[98:99], -v[188:189]
	ds_read2_b64 v[188:191], v200 offset0:46 offset1:47
	s_waitcnt lgkmcnt(1)
	v_mul_f64 v[104:105], v[206:207], v[106:107]
	v_fma_f64 v[104:105], v[204:205], v[198:199], -v[104:105]
	v_mul_f64 v[204:205], v[204:205], v[106:107]
	v_fmac_f64_e32 v[204:205], v[206:207], v[198:199]
	s_waitcnt vmcnt(24)
	v_add_f64 v[94:95], v[94:95], -v[204:205]
	ds_read2_b64 v[204:207], v200 offset0:48 offset1:49
	v_add_f64 v[92:93], v[92:93], -v[104:105]
	s_waitcnt lgkmcnt(1)
	v_mul_f64 v[104:105], v[190:191], v[106:107]
	v_fma_f64 v[104:105], v[188:189], v[198:199], -v[104:105]
	v_mul_f64 v[188:189], v[188:189], v[106:107]
	v_fmac_f64_e32 v[188:189], v[190:191], v[198:199]
	s_waitcnt vmcnt(23)
	v_add_f64 v[88:89], v[88:89], -v[104:105]
	v_add_f64 v[90:91], v[90:91], -v[188:189]
	;; [unrolled: 18-line block ×13, first 2 shown]
	s_waitcnt lgkmcnt(0)
	v_mul_f64 v[104:105], v[206:207], v[106:107]
	v_mul_f64 v[188:189], v[204:205], v[106:107]
	v_fma_f64 v[104:105], v[204:205], v[198:199], -v[104:105]
	v_fmac_f64_e32 v[188:189], v[206:207], v[198:199]
	s_waitcnt vmcnt(0)
	v_add_f64 v[184:185], v[184:185], -v[104:105]
	v_add_f64 v[186:187], v[186:187], -v[188:189]
	v_mov_b64_e32 v[104:105], v[198:199]
.LBB92_419:
	s_or_b64 exec, exec, s[0:1]
	v_lshl_add_u32 v188, v201, 4, v200
	s_barrier
	s_waitcnt vmcnt(26)
	ds_write2_b64 v188, v[100:101], v[102:103] offset1:1
	s_waitcnt lgkmcnt(0)
	s_barrier
	ds_read2_b64 v[188:191], v200 offset0:40 offset1:41
	s_cmp_lt_i32 s20, 22
	v_mov_b32_e32 v198, 20
	s_cbranch_scc1 .LBB92_422
; %bb.420:
	v_add_u32_e32 v199, 0x150, v200
	s_mov_b32 s16, 21
	v_mov_b32_e32 v198, 20
.LBB92_421:                             ; =>This Inner Loop Header: Depth=1
	ds_read2_b64 v[204:207], v199 offset1:1
	s_waitcnt lgkmcnt(1)
	v_xor_b32_e32 v209, 0x80000000, v189
	v_xor_b32_e32 v211, 0x80000000, v191
	v_cmp_gt_f64_e32 vcc, 0, v[190:191]
	v_cmp_gt_f64_e64 s[0:1], 0, v[188:189]
	v_mov_b32_e32 v208, v188
	v_mov_b32_e32 v210, v190
	v_cndmask_b32_e64 v209, v189, v209, s[0:1]
	v_cndmask_b32_e32 v211, v191, v211, vcc
	v_add_f64 v[208:209], v[208:209], v[210:211]
	s_waitcnt lgkmcnt(0)
	v_xor_b32_e32 v211, 0x80000000, v205
	v_xor_b32_e32 v213, 0x80000000, v207
	v_cmp_gt_f64_e32 vcc, 0, v[206:207]
	v_cmp_gt_f64_e64 s[0:1], 0, v[204:205]
	v_mov_b32_e32 v210, v204
	v_mov_b32_e32 v212, v206
	v_cndmask_b32_e64 v211, v205, v211, s[0:1]
	v_cndmask_b32_e32 v213, v207, v213, vcc
	v_add_f64 v[210:211], v[210:211], v[212:213]
	v_mov_b32_e32 v214, s16
	s_add_i32 s16, s16, 1
	v_cmp_lt_f64_e32 vcc, v[208:209], v[210:211]
	v_add_u32_e32 v199, 16, v199
	s_cmp_lg_u32 s20, s16
	v_cndmask_b32_e32 v189, v189, v205, vcc
	v_cndmask_b32_e32 v188, v188, v204, vcc
	;; [unrolled: 1-line block ×5, first 2 shown]
	s_cbranch_scc1 .LBB92_421
.LBB92_422:
	s_waitcnt lgkmcnt(0)
	v_cmp_eq_f64_e32 vcc, 0, v[188:189]
	v_cmp_eq_f64_e64 s[0:1], 0, v[190:191]
	s_and_b64 s[0:1], vcc, s[0:1]
	s_and_saveexec_b64 s[16:17], s[0:1]
	s_xor_b64 s[0:1], exec, s[16:17]
; %bb.423:
	v_cmp_ne_u32_e32 vcc, 0, v202
	s_nop 1
	v_cndmask_b32_e32 v202, 21, v202, vcc
; %bb.424:
	s_andn2_saveexec_b64 s[0:1], s[0:1]
	s_cbranch_execz .LBB92_430
; %bb.425:
	v_cmp_ngt_f64_e64 s[16:17], |v[188:189]|, |v[190:191]|
	s_and_saveexec_b64 s[18:19], s[16:17]
	s_xor_b64 s[16:17], exec, s[18:19]
	s_cbranch_execz .LBB92_427
; %bb.426:
	v_div_scale_f64 v[204:205], s[18:19], v[190:191], v[190:191], v[188:189]
	v_rcp_f64_e32 v[206:207], v[204:205]
	v_div_scale_f64 v[208:209], vcc, v[188:189], v[190:191], v[188:189]
	v_fma_f64 v[210:211], -v[204:205], v[206:207], 1.0
	v_fmac_f64_e32 v[206:207], v[206:207], v[210:211]
	v_fma_f64 v[210:211], -v[204:205], v[206:207], 1.0
	v_fmac_f64_e32 v[206:207], v[206:207], v[210:211]
	v_mul_f64 v[210:211], v[208:209], v[206:207]
	v_fma_f64 v[204:205], -v[204:205], v[210:211], v[208:209]
	v_div_fmas_f64 v[204:205], v[204:205], v[206:207], v[210:211]
	v_div_fixup_f64 v[204:205], v[204:205], v[190:191], v[188:189]
	v_fmac_f64_e32 v[190:191], v[188:189], v[204:205]
	v_div_scale_f64 v[188:189], s[18:19], v[190:191], v[190:191], 1.0
	v_rcp_f64_e32 v[206:207], v[188:189]
	s_nop 0
	v_fma_f64 v[208:209], -v[188:189], v[206:207], 1.0
	v_fmac_f64_e32 v[206:207], v[206:207], v[208:209]
	v_fma_f64 v[208:209], -v[188:189], v[206:207], 1.0
	v_fmac_f64_e32 v[206:207], v[206:207], v[208:209]
	v_div_scale_f64 v[208:209], vcc, 1.0, v[190:191], 1.0
	v_mul_f64 v[210:211], v[208:209], v[206:207]
	v_fma_f64 v[188:189], -v[188:189], v[210:211], v[208:209]
	s_nop 1
	v_div_fmas_f64 v[188:189], v[188:189], v[206:207], v[210:211]
	v_div_fixup_f64 v[190:191], v[188:189], v[190:191], 1.0
	v_mul_f64 v[188:189], v[204:205], v[190:191]
	v_xor_b32_e32 v191, 0x80000000, v191
.LBB92_427:
	s_andn2_saveexec_b64 s[16:17], s[16:17]
	s_cbranch_execz .LBB92_429
; %bb.428:
	v_div_scale_f64 v[204:205], s[18:19], v[188:189], v[188:189], v[190:191]
	v_rcp_f64_e32 v[206:207], v[204:205]
	v_div_scale_f64 v[208:209], vcc, v[190:191], v[188:189], v[190:191]
	v_fma_f64 v[210:211], -v[204:205], v[206:207], 1.0
	v_fmac_f64_e32 v[206:207], v[206:207], v[210:211]
	v_fma_f64 v[210:211], -v[204:205], v[206:207], 1.0
	v_fmac_f64_e32 v[206:207], v[206:207], v[210:211]
	v_mul_f64 v[210:211], v[208:209], v[206:207]
	v_fma_f64 v[204:205], -v[204:205], v[210:211], v[208:209]
	v_div_fmas_f64 v[204:205], v[204:205], v[206:207], v[210:211]
	v_div_fixup_f64 v[204:205], v[204:205], v[188:189], v[190:191]
	v_fmac_f64_e32 v[188:189], v[190:191], v[204:205]
	v_div_scale_f64 v[190:191], s[18:19], v[188:189], v[188:189], 1.0
	v_rcp_f64_e32 v[206:207], v[190:191]
	s_nop 0
	v_fma_f64 v[208:209], -v[190:191], v[206:207], 1.0
	v_fmac_f64_e32 v[206:207], v[206:207], v[208:209]
	v_fma_f64 v[208:209], -v[190:191], v[206:207], 1.0
	v_fmac_f64_e32 v[206:207], v[206:207], v[208:209]
	v_div_scale_f64 v[208:209], vcc, 1.0, v[188:189], 1.0
	v_mul_f64 v[210:211], v[208:209], v[206:207]
	v_fma_f64 v[190:191], -v[190:191], v[210:211], v[208:209]
	s_nop 1
	v_div_fmas_f64 v[190:191], v[190:191], v[206:207], v[210:211]
	v_div_fixup_f64 v[188:189], v[190:191], v[188:189], 1.0
	v_mul_f64 v[190:191], v[204:205], -v[188:189]
.LBB92_429:
	s_or_b64 exec, exec, s[16:17]
.LBB92_430:
	s_or_b64 exec, exec, s[0:1]
	v_cmp_ne_u32_e32 vcc, v201, v198
	s_and_saveexec_b64 s[0:1], vcc
	s_xor_b64 s[0:1], exec, s[0:1]
	s_cbranch_execz .LBB92_436
; %bb.431:
	v_cmp_eq_u32_e32 vcc, 20, v201
	s_and_saveexec_b64 s[16:17], vcc
	s_cbranch_execz .LBB92_435
; %bb.432:
	v_cmp_ne_u32_e32 vcc, 20, v198
	s_xor_b64 s[18:19], s[14:15], -1
	s_and_b64 s[22:23], s[18:19], vcc
	s_and_saveexec_b64 s[18:19], s[22:23]
	s_cbranch_execz .LBB92_434
; %bb.433:
	v_ashrrev_i32_e32 v199, 31, v198
	v_lshl_add_u64 v[204:205], v[198:199], 2, v[196:197]
	global_load_dword v199, v[204:205], off
	global_load_dword v201, v[196:197], off offset:80
	s_waitcnt vmcnt(1)
	global_store_dword v[196:197], v199, off offset:80
	s_waitcnt vmcnt(1)
	global_store_dword v[204:205], v201, off
.LBB92_434:
	s_or_b64 exec, exec, s[18:19]
	v_mov_b32_e32 v201, v198
	v_mov_b32_e32 v203, v198
.LBB92_435:
	s_or_b64 exec, exec, s[16:17]
.LBB92_436:
	s_andn2_saveexec_b64 s[0:1], s[0:1]
	s_cbranch_execz .LBB92_438
; %bb.437:
	v_mov_b32_e32 v201, 20
	s_waitcnt vmcnt(25)
	ds_write2_b64 v200, v[96:97], v[98:99] offset0:42 offset1:43
	s_waitcnt vmcnt(24)
	ds_write2_b64 v200, v[92:93], v[94:95] offset0:44 offset1:45
	;; [unrolled: 2-line block ×26, first 2 shown]
.LBB92_438:
	s_or_b64 exec, exec, s[0:1]
	v_cmp_lt_i32_e32 vcc, 20, v201
	s_waitcnt lgkmcnt(0)
	s_barrier
	s_and_saveexec_b64 s[0:1], vcc
	s_cbranch_execz .LBB92_440
; %bb.439:
	ds_read2_b64 v[204:207], v200 offset0:42 offset1:43
	v_mul_f64 v[198:199], v[190:191], v[102:103]
	v_mul_f64 v[102:103], v[188:189], v[102:103]
	v_fma_f64 v[198:199], v[188:189], v[100:101], -v[198:199]
	v_fmac_f64_e32 v[102:103], v[190:191], v[100:101]
	ds_read2_b64 v[188:191], v200 offset0:44 offset1:45
	s_waitcnt lgkmcnt(1)
	v_mul_f64 v[100:101], v[206:207], v[102:103]
	v_fma_f64 v[100:101], v[204:205], v[198:199], -v[100:101]
	v_mul_f64 v[204:205], v[204:205], v[102:103]
	v_fmac_f64_e32 v[204:205], v[206:207], v[198:199]
	s_waitcnt vmcnt(25)
	v_add_f64 v[96:97], v[96:97], -v[100:101]
	s_waitcnt lgkmcnt(0)
	v_mul_f64 v[100:101], v[190:191], v[102:103]
	v_add_f64 v[98:99], v[98:99], -v[204:205]
	v_fma_f64 v[100:101], v[188:189], v[198:199], -v[100:101]
	v_mul_f64 v[188:189], v[188:189], v[102:103]
	ds_read2_b64 v[204:207], v200 offset0:46 offset1:47
	v_fmac_f64_e32 v[188:189], v[190:191], v[198:199]
	s_waitcnt vmcnt(24)
	v_add_f64 v[94:95], v[94:95], -v[188:189]
	ds_read2_b64 v[188:191], v200 offset0:48 offset1:49
	v_add_f64 v[92:93], v[92:93], -v[100:101]
	s_waitcnt lgkmcnt(1)
	v_mul_f64 v[100:101], v[206:207], v[102:103]
	v_fma_f64 v[100:101], v[204:205], v[198:199], -v[100:101]
	v_mul_f64 v[204:205], v[204:205], v[102:103]
	v_fmac_f64_e32 v[204:205], v[206:207], v[198:199]
	s_waitcnt vmcnt(23)
	v_add_f64 v[88:89], v[88:89], -v[100:101]
	s_waitcnt lgkmcnt(0)
	v_mul_f64 v[100:101], v[190:191], v[102:103]
	v_add_f64 v[90:91], v[90:91], -v[204:205]
	v_fma_f64 v[100:101], v[188:189], v[198:199], -v[100:101]
	v_mul_f64 v[188:189], v[188:189], v[102:103]
	ds_read2_b64 v[204:207], v200 offset0:50 offset1:51
	v_fmac_f64_e32 v[188:189], v[190:191], v[198:199]
	s_waitcnt vmcnt(22)
	v_add_f64 v[86:87], v[86:87], -v[188:189]
	ds_read2_b64 v[188:191], v200 offset0:52 offset1:53
	v_add_f64 v[84:85], v[84:85], -v[100:101]
	;; [unrolled: 18-line block ×12, first 2 shown]
	s_waitcnt lgkmcnt(1)
	v_mul_f64 v[100:101], v[206:207], v[102:103]
	v_fma_f64 v[100:101], v[204:205], v[198:199], -v[100:101]
	s_waitcnt vmcnt(1)
	v_add_f64 v[0:1], v[0:1], -v[100:101]
	s_waitcnt lgkmcnt(0)
	v_mul_f64 v[100:101], v[190:191], v[102:103]
	v_mul_f64 v[204:205], v[204:205], v[102:103]
	v_fma_f64 v[100:101], v[188:189], v[198:199], -v[100:101]
	v_mul_f64 v[188:189], v[188:189], v[102:103]
	v_fmac_f64_e32 v[204:205], v[206:207], v[198:199]
	v_fmac_f64_e32 v[188:189], v[190:191], v[198:199]
	v_add_f64 v[2:3], v[2:3], -v[204:205]
	s_waitcnt vmcnt(0)
	v_add_f64 v[184:185], v[184:185], -v[100:101]
	v_add_f64 v[186:187], v[186:187], -v[188:189]
	v_mov_b64_e32 v[100:101], v[198:199]
.LBB92_440:
	s_or_b64 exec, exec, s[0:1]
	v_lshl_add_u32 v188, v201, 4, v200
	s_barrier
	s_waitcnt vmcnt(25)
	ds_write2_b64 v188, v[96:97], v[98:99] offset1:1
	s_waitcnt lgkmcnt(0)
	s_barrier
	ds_read2_b64 v[188:191], v200 offset0:42 offset1:43
	s_cmp_lt_i32 s20, 23
	v_mov_b32_e32 v198, 21
	s_cbranch_scc1 .LBB92_443
; %bb.441:
	v_add_u32_e32 v199, 0x160, v200
	s_mov_b32 s16, 22
	v_mov_b32_e32 v198, 21
.LBB92_442:                             ; =>This Inner Loop Header: Depth=1
	ds_read2_b64 v[204:207], v199 offset1:1
	s_waitcnt lgkmcnt(1)
	v_xor_b32_e32 v209, 0x80000000, v189
	v_xor_b32_e32 v211, 0x80000000, v191
	v_cmp_gt_f64_e32 vcc, 0, v[190:191]
	v_cmp_gt_f64_e64 s[0:1], 0, v[188:189]
	v_mov_b32_e32 v208, v188
	v_mov_b32_e32 v210, v190
	v_cndmask_b32_e64 v209, v189, v209, s[0:1]
	v_cndmask_b32_e32 v211, v191, v211, vcc
	v_add_f64 v[208:209], v[208:209], v[210:211]
	s_waitcnt lgkmcnt(0)
	v_xor_b32_e32 v211, 0x80000000, v205
	v_xor_b32_e32 v213, 0x80000000, v207
	v_cmp_gt_f64_e32 vcc, 0, v[206:207]
	v_cmp_gt_f64_e64 s[0:1], 0, v[204:205]
	v_mov_b32_e32 v210, v204
	v_mov_b32_e32 v212, v206
	v_cndmask_b32_e64 v211, v205, v211, s[0:1]
	v_cndmask_b32_e32 v213, v207, v213, vcc
	v_add_f64 v[210:211], v[210:211], v[212:213]
	v_mov_b32_e32 v214, s16
	s_add_i32 s16, s16, 1
	v_cmp_lt_f64_e32 vcc, v[208:209], v[210:211]
	v_add_u32_e32 v199, 16, v199
	s_cmp_lg_u32 s20, s16
	v_cndmask_b32_e32 v189, v189, v205, vcc
	v_cndmask_b32_e32 v188, v188, v204, vcc
	;; [unrolled: 1-line block ×5, first 2 shown]
	s_cbranch_scc1 .LBB92_442
.LBB92_443:
	s_waitcnt lgkmcnt(0)
	v_cmp_eq_f64_e32 vcc, 0, v[188:189]
	v_cmp_eq_f64_e64 s[0:1], 0, v[190:191]
	s_and_b64 s[0:1], vcc, s[0:1]
	s_and_saveexec_b64 s[16:17], s[0:1]
	s_xor_b64 s[0:1], exec, s[16:17]
; %bb.444:
	v_cmp_ne_u32_e32 vcc, 0, v202
	s_nop 1
	v_cndmask_b32_e32 v202, 22, v202, vcc
; %bb.445:
	s_andn2_saveexec_b64 s[0:1], s[0:1]
	s_cbranch_execz .LBB92_451
; %bb.446:
	v_cmp_ngt_f64_e64 s[16:17], |v[188:189]|, |v[190:191]|
	s_and_saveexec_b64 s[18:19], s[16:17]
	s_xor_b64 s[16:17], exec, s[18:19]
	s_cbranch_execz .LBB92_448
; %bb.447:
	v_div_scale_f64 v[204:205], s[18:19], v[190:191], v[190:191], v[188:189]
	v_rcp_f64_e32 v[206:207], v[204:205]
	v_div_scale_f64 v[208:209], vcc, v[188:189], v[190:191], v[188:189]
	v_fma_f64 v[210:211], -v[204:205], v[206:207], 1.0
	v_fmac_f64_e32 v[206:207], v[206:207], v[210:211]
	v_fma_f64 v[210:211], -v[204:205], v[206:207], 1.0
	v_fmac_f64_e32 v[206:207], v[206:207], v[210:211]
	v_mul_f64 v[210:211], v[208:209], v[206:207]
	v_fma_f64 v[204:205], -v[204:205], v[210:211], v[208:209]
	v_div_fmas_f64 v[204:205], v[204:205], v[206:207], v[210:211]
	v_div_fixup_f64 v[204:205], v[204:205], v[190:191], v[188:189]
	v_fmac_f64_e32 v[190:191], v[188:189], v[204:205]
	v_div_scale_f64 v[188:189], s[18:19], v[190:191], v[190:191], 1.0
	v_rcp_f64_e32 v[206:207], v[188:189]
	s_nop 0
	v_fma_f64 v[208:209], -v[188:189], v[206:207], 1.0
	v_fmac_f64_e32 v[206:207], v[206:207], v[208:209]
	v_fma_f64 v[208:209], -v[188:189], v[206:207], 1.0
	v_fmac_f64_e32 v[206:207], v[206:207], v[208:209]
	v_div_scale_f64 v[208:209], vcc, 1.0, v[190:191], 1.0
	v_mul_f64 v[210:211], v[208:209], v[206:207]
	v_fma_f64 v[188:189], -v[188:189], v[210:211], v[208:209]
	s_nop 1
	v_div_fmas_f64 v[188:189], v[188:189], v[206:207], v[210:211]
	v_div_fixup_f64 v[190:191], v[188:189], v[190:191], 1.0
	v_mul_f64 v[188:189], v[204:205], v[190:191]
	v_xor_b32_e32 v191, 0x80000000, v191
.LBB92_448:
	s_andn2_saveexec_b64 s[16:17], s[16:17]
	s_cbranch_execz .LBB92_450
; %bb.449:
	v_div_scale_f64 v[204:205], s[18:19], v[188:189], v[188:189], v[190:191]
	v_rcp_f64_e32 v[206:207], v[204:205]
	v_div_scale_f64 v[208:209], vcc, v[190:191], v[188:189], v[190:191]
	v_fma_f64 v[210:211], -v[204:205], v[206:207], 1.0
	v_fmac_f64_e32 v[206:207], v[206:207], v[210:211]
	v_fma_f64 v[210:211], -v[204:205], v[206:207], 1.0
	v_fmac_f64_e32 v[206:207], v[206:207], v[210:211]
	v_mul_f64 v[210:211], v[208:209], v[206:207]
	v_fma_f64 v[204:205], -v[204:205], v[210:211], v[208:209]
	v_div_fmas_f64 v[204:205], v[204:205], v[206:207], v[210:211]
	v_div_fixup_f64 v[204:205], v[204:205], v[188:189], v[190:191]
	v_fmac_f64_e32 v[188:189], v[190:191], v[204:205]
	v_div_scale_f64 v[190:191], s[18:19], v[188:189], v[188:189], 1.0
	v_rcp_f64_e32 v[206:207], v[190:191]
	s_nop 0
	v_fma_f64 v[208:209], -v[190:191], v[206:207], 1.0
	v_fmac_f64_e32 v[206:207], v[206:207], v[208:209]
	v_fma_f64 v[208:209], -v[190:191], v[206:207], 1.0
	v_fmac_f64_e32 v[206:207], v[206:207], v[208:209]
	v_div_scale_f64 v[208:209], vcc, 1.0, v[188:189], 1.0
	v_mul_f64 v[210:211], v[208:209], v[206:207]
	v_fma_f64 v[190:191], -v[190:191], v[210:211], v[208:209]
	s_nop 1
	v_div_fmas_f64 v[190:191], v[190:191], v[206:207], v[210:211]
	v_div_fixup_f64 v[188:189], v[190:191], v[188:189], 1.0
	v_mul_f64 v[190:191], v[204:205], -v[188:189]
.LBB92_450:
	s_or_b64 exec, exec, s[16:17]
.LBB92_451:
	s_or_b64 exec, exec, s[0:1]
	v_cmp_ne_u32_e32 vcc, v201, v198
	s_and_saveexec_b64 s[0:1], vcc
	s_xor_b64 s[0:1], exec, s[0:1]
	s_cbranch_execz .LBB92_457
; %bb.452:
	v_cmp_eq_u32_e32 vcc, 21, v201
	s_and_saveexec_b64 s[16:17], vcc
	s_cbranch_execz .LBB92_456
; %bb.453:
	v_cmp_ne_u32_e32 vcc, 21, v198
	s_xor_b64 s[18:19], s[14:15], -1
	s_and_b64 s[22:23], s[18:19], vcc
	s_and_saveexec_b64 s[18:19], s[22:23]
	s_cbranch_execz .LBB92_455
; %bb.454:
	v_ashrrev_i32_e32 v199, 31, v198
	v_lshl_add_u64 v[204:205], v[198:199], 2, v[196:197]
	global_load_dword v199, v[204:205], off
	global_load_dword v201, v[196:197], off offset:84
	s_waitcnt vmcnt(1)
	global_store_dword v[196:197], v199, off offset:84
	s_waitcnt vmcnt(1)
	global_store_dword v[204:205], v201, off
.LBB92_455:
	s_or_b64 exec, exec, s[18:19]
	v_mov_b32_e32 v201, v198
	v_mov_b32_e32 v203, v198
.LBB92_456:
	s_or_b64 exec, exec, s[16:17]
.LBB92_457:
	s_andn2_saveexec_b64 s[0:1], s[0:1]
	s_cbranch_execz .LBB92_459
; %bb.458:
	v_mov_b32_e32 v201, 21
	s_waitcnt vmcnt(24)
	ds_write2_b64 v200, v[92:93], v[94:95] offset0:44 offset1:45
	s_waitcnt vmcnt(23)
	ds_write2_b64 v200, v[88:89], v[90:91] offset0:46 offset1:47
	;; [unrolled: 2-line block ×25, first 2 shown]
.LBB92_459:
	s_or_b64 exec, exec, s[0:1]
	v_cmp_lt_i32_e32 vcc, 21, v201
	s_waitcnt lgkmcnt(0)
	s_barrier
	s_and_saveexec_b64 s[0:1], vcc
	s_cbranch_execz .LBB92_461
; %bb.460:
	ds_read2_b64 v[204:207], v200 offset0:44 offset1:45
	v_mul_f64 v[198:199], v[190:191], v[98:99]
	v_mul_f64 v[98:99], v[188:189], v[98:99]
	v_fmac_f64_e32 v[98:99], v[190:191], v[96:97]
	v_fma_f64 v[198:199], v[188:189], v[96:97], -v[198:199]
	ds_read2_b64 v[188:191], v200 offset0:46 offset1:47
	s_waitcnt lgkmcnt(1)
	v_mul_f64 v[96:97], v[206:207], v[98:99]
	v_fma_f64 v[96:97], v[204:205], v[198:199], -v[96:97]
	v_mul_f64 v[204:205], v[204:205], v[98:99]
	v_fmac_f64_e32 v[204:205], v[206:207], v[198:199]
	s_waitcnt vmcnt(24)
	v_add_f64 v[94:95], v[94:95], -v[204:205]
	ds_read2_b64 v[204:207], v200 offset0:48 offset1:49
	v_add_f64 v[92:93], v[92:93], -v[96:97]
	s_waitcnt lgkmcnt(1)
	v_mul_f64 v[96:97], v[190:191], v[98:99]
	v_fma_f64 v[96:97], v[188:189], v[198:199], -v[96:97]
	v_mul_f64 v[188:189], v[188:189], v[98:99]
	v_fmac_f64_e32 v[188:189], v[190:191], v[198:199]
	s_waitcnt vmcnt(23)
	v_add_f64 v[88:89], v[88:89], -v[96:97]
	v_add_f64 v[90:91], v[90:91], -v[188:189]
	ds_read2_b64 v[188:191], v200 offset0:50 offset1:51
	s_waitcnt lgkmcnt(1)
	v_mul_f64 v[96:97], v[206:207], v[98:99]
	v_fma_f64 v[96:97], v[204:205], v[198:199], -v[96:97]
	v_mul_f64 v[204:205], v[204:205], v[98:99]
	v_fmac_f64_e32 v[204:205], v[206:207], v[198:199]
	s_waitcnt vmcnt(22)
	v_add_f64 v[86:87], v[86:87], -v[204:205]
	ds_read2_b64 v[204:207], v200 offset0:52 offset1:53
	v_add_f64 v[84:85], v[84:85], -v[96:97]
	s_waitcnt lgkmcnt(1)
	v_mul_f64 v[96:97], v[190:191], v[98:99]
	v_fma_f64 v[96:97], v[188:189], v[198:199], -v[96:97]
	v_mul_f64 v[188:189], v[188:189], v[98:99]
	v_fmac_f64_e32 v[188:189], v[190:191], v[198:199]
	s_waitcnt vmcnt(21)
	v_add_f64 v[80:81], v[80:81], -v[96:97]
	v_add_f64 v[82:83], v[82:83], -v[188:189]
	;; [unrolled: 18-line block ×12, first 2 shown]
	s_waitcnt lgkmcnt(0)
	v_mul_f64 v[96:97], v[206:207], v[98:99]
	v_mul_f64 v[188:189], v[204:205], v[98:99]
	v_fma_f64 v[96:97], v[204:205], v[198:199], -v[96:97]
	v_fmac_f64_e32 v[188:189], v[206:207], v[198:199]
	s_waitcnt vmcnt(0)
	v_add_f64 v[184:185], v[184:185], -v[96:97]
	v_add_f64 v[186:187], v[186:187], -v[188:189]
	v_mov_b64_e32 v[96:97], v[198:199]
.LBB92_461:
	s_or_b64 exec, exec, s[0:1]
	v_lshl_add_u32 v188, v201, 4, v200
	s_barrier
	s_waitcnt vmcnt(24)
	ds_write2_b64 v188, v[92:93], v[94:95] offset1:1
	s_waitcnt lgkmcnt(0)
	s_barrier
	ds_read2_b64 v[188:191], v200 offset0:44 offset1:45
	s_cmp_lt_i32 s20, 24
	v_mov_b32_e32 v198, 22
	s_cbranch_scc1 .LBB92_464
; %bb.462:
	v_add_u32_e32 v199, 0x170, v200
	s_mov_b32 s16, 23
	v_mov_b32_e32 v198, 22
.LBB92_463:                             ; =>This Inner Loop Header: Depth=1
	ds_read2_b64 v[204:207], v199 offset1:1
	s_waitcnt lgkmcnt(1)
	v_xor_b32_e32 v209, 0x80000000, v189
	v_xor_b32_e32 v211, 0x80000000, v191
	v_cmp_gt_f64_e32 vcc, 0, v[190:191]
	v_cmp_gt_f64_e64 s[0:1], 0, v[188:189]
	v_mov_b32_e32 v208, v188
	v_mov_b32_e32 v210, v190
	v_cndmask_b32_e64 v209, v189, v209, s[0:1]
	v_cndmask_b32_e32 v211, v191, v211, vcc
	v_add_f64 v[208:209], v[208:209], v[210:211]
	s_waitcnt lgkmcnt(0)
	v_xor_b32_e32 v211, 0x80000000, v205
	v_xor_b32_e32 v213, 0x80000000, v207
	v_cmp_gt_f64_e32 vcc, 0, v[206:207]
	v_cmp_gt_f64_e64 s[0:1], 0, v[204:205]
	v_mov_b32_e32 v210, v204
	v_mov_b32_e32 v212, v206
	v_cndmask_b32_e64 v211, v205, v211, s[0:1]
	v_cndmask_b32_e32 v213, v207, v213, vcc
	v_add_f64 v[210:211], v[210:211], v[212:213]
	v_mov_b32_e32 v214, s16
	s_add_i32 s16, s16, 1
	v_cmp_lt_f64_e32 vcc, v[208:209], v[210:211]
	v_add_u32_e32 v199, 16, v199
	s_cmp_lg_u32 s20, s16
	v_cndmask_b32_e32 v189, v189, v205, vcc
	v_cndmask_b32_e32 v188, v188, v204, vcc
	;; [unrolled: 1-line block ×5, first 2 shown]
	s_cbranch_scc1 .LBB92_463
.LBB92_464:
	s_waitcnt lgkmcnt(0)
	v_cmp_eq_f64_e32 vcc, 0, v[188:189]
	v_cmp_eq_f64_e64 s[0:1], 0, v[190:191]
	s_and_b64 s[0:1], vcc, s[0:1]
	s_and_saveexec_b64 s[16:17], s[0:1]
	s_xor_b64 s[0:1], exec, s[16:17]
; %bb.465:
	v_cmp_ne_u32_e32 vcc, 0, v202
	s_nop 1
	v_cndmask_b32_e32 v202, 23, v202, vcc
; %bb.466:
	s_andn2_saveexec_b64 s[0:1], s[0:1]
	s_cbranch_execz .LBB92_472
; %bb.467:
	v_cmp_ngt_f64_e64 s[16:17], |v[188:189]|, |v[190:191]|
	s_and_saveexec_b64 s[18:19], s[16:17]
	s_xor_b64 s[16:17], exec, s[18:19]
	s_cbranch_execz .LBB92_469
; %bb.468:
	v_div_scale_f64 v[204:205], s[18:19], v[190:191], v[190:191], v[188:189]
	v_rcp_f64_e32 v[206:207], v[204:205]
	v_div_scale_f64 v[208:209], vcc, v[188:189], v[190:191], v[188:189]
	v_fma_f64 v[210:211], -v[204:205], v[206:207], 1.0
	v_fmac_f64_e32 v[206:207], v[206:207], v[210:211]
	v_fma_f64 v[210:211], -v[204:205], v[206:207], 1.0
	v_fmac_f64_e32 v[206:207], v[206:207], v[210:211]
	v_mul_f64 v[210:211], v[208:209], v[206:207]
	v_fma_f64 v[204:205], -v[204:205], v[210:211], v[208:209]
	v_div_fmas_f64 v[204:205], v[204:205], v[206:207], v[210:211]
	v_div_fixup_f64 v[204:205], v[204:205], v[190:191], v[188:189]
	v_fmac_f64_e32 v[190:191], v[188:189], v[204:205]
	v_div_scale_f64 v[188:189], s[18:19], v[190:191], v[190:191], 1.0
	v_rcp_f64_e32 v[206:207], v[188:189]
	s_nop 0
	v_fma_f64 v[208:209], -v[188:189], v[206:207], 1.0
	v_fmac_f64_e32 v[206:207], v[206:207], v[208:209]
	v_fma_f64 v[208:209], -v[188:189], v[206:207], 1.0
	v_fmac_f64_e32 v[206:207], v[206:207], v[208:209]
	v_div_scale_f64 v[208:209], vcc, 1.0, v[190:191], 1.0
	v_mul_f64 v[210:211], v[208:209], v[206:207]
	v_fma_f64 v[188:189], -v[188:189], v[210:211], v[208:209]
	s_nop 1
	v_div_fmas_f64 v[188:189], v[188:189], v[206:207], v[210:211]
	v_div_fixup_f64 v[190:191], v[188:189], v[190:191], 1.0
	v_mul_f64 v[188:189], v[204:205], v[190:191]
	v_xor_b32_e32 v191, 0x80000000, v191
.LBB92_469:
	s_andn2_saveexec_b64 s[16:17], s[16:17]
	s_cbranch_execz .LBB92_471
; %bb.470:
	v_div_scale_f64 v[204:205], s[18:19], v[188:189], v[188:189], v[190:191]
	v_rcp_f64_e32 v[206:207], v[204:205]
	v_div_scale_f64 v[208:209], vcc, v[190:191], v[188:189], v[190:191]
	v_fma_f64 v[210:211], -v[204:205], v[206:207], 1.0
	v_fmac_f64_e32 v[206:207], v[206:207], v[210:211]
	v_fma_f64 v[210:211], -v[204:205], v[206:207], 1.0
	v_fmac_f64_e32 v[206:207], v[206:207], v[210:211]
	v_mul_f64 v[210:211], v[208:209], v[206:207]
	v_fma_f64 v[204:205], -v[204:205], v[210:211], v[208:209]
	v_div_fmas_f64 v[204:205], v[204:205], v[206:207], v[210:211]
	v_div_fixup_f64 v[204:205], v[204:205], v[188:189], v[190:191]
	v_fmac_f64_e32 v[188:189], v[190:191], v[204:205]
	v_div_scale_f64 v[190:191], s[18:19], v[188:189], v[188:189], 1.0
	v_rcp_f64_e32 v[206:207], v[190:191]
	s_nop 0
	v_fma_f64 v[208:209], -v[190:191], v[206:207], 1.0
	v_fmac_f64_e32 v[206:207], v[206:207], v[208:209]
	v_fma_f64 v[208:209], -v[190:191], v[206:207], 1.0
	v_fmac_f64_e32 v[206:207], v[206:207], v[208:209]
	v_div_scale_f64 v[208:209], vcc, 1.0, v[188:189], 1.0
	v_mul_f64 v[210:211], v[208:209], v[206:207]
	v_fma_f64 v[190:191], -v[190:191], v[210:211], v[208:209]
	s_nop 1
	v_div_fmas_f64 v[190:191], v[190:191], v[206:207], v[210:211]
	v_div_fixup_f64 v[188:189], v[190:191], v[188:189], 1.0
	v_mul_f64 v[190:191], v[204:205], -v[188:189]
.LBB92_471:
	s_or_b64 exec, exec, s[16:17]
.LBB92_472:
	s_or_b64 exec, exec, s[0:1]
	v_cmp_ne_u32_e32 vcc, v201, v198
	s_and_saveexec_b64 s[0:1], vcc
	s_xor_b64 s[0:1], exec, s[0:1]
	s_cbranch_execz .LBB92_478
; %bb.473:
	v_cmp_eq_u32_e32 vcc, 22, v201
	s_and_saveexec_b64 s[16:17], vcc
	s_cbranch_execz .LBB92_477
; %bb.474:
	v_cmp_ne_u32_e32 vcc, 22, v198
	s_xor_b64 s[18:19], s[14:15], -1
	s_and_b64 s[22:23], s[18:19], vcc
	s_and_saveexec_b64 s[18:19], s[22:23]
	s_cbranch_execz .LBB92_476
; %bb.475:
	v_ashrrev_i32_e32 v199, 31, v198
	v_lshl_add_u64 v[204:205], v[198:199], 2, v[196:197]
	global_load_dword v199, v[204:205], off
	global_load_dword v201, v[196:197], off offset:88
	s_waitcnt vmcnt(1)
	global_store_dword v[196:197], v199, off offset:88
	s_waitcnt vmcnt(1)
	global_store_dword v[204:205], v201, off
.LBB92_476:
	s_or_b64 exec, exec, s[18:19]
	v_mov_b32_e32 v201, v198
	v_mov_b32_e32 v203, v198
.LBB92_477:
	s_or_b64 exec, exec, s[16:17]
.LBB92_478:
	s_andn2_saveexec_b64 s[0:1], s[0:1]
	s_cbranch_execz .LBB92_480
; %bb.479:
	v_mov_b32_e32 v201, 22
	s_waitcnt vmcnt(23)
	ds_write2_b64 v200, v[88:89], v[90:91] offset0:46 offset1:47
	s_waitcnt vmcnt(22)
	ds_write2_b64 v200, v[84:85], v[86:87] offset0:48 offset1:49
	;; [unrolled: 2-line block ×24, first 2 shown]
.LBB92_480:
	s_or_b64 exec, exec, s[0:1]
	v_cmp_lt_i32_e32 vcc, 22, v201
	s_waitcnt lgkmcnt(0)
	s_barrier
	s_and_saveexec_b64 s[0:1], vcc
	s_cbranch_execz .LBB92_482
; %bb.481:
	ds_read2_b64 v[204:207], v200 offset0:46 offset1:47
	v_mul_f64 v[198:199], v[190:191], v[94:95]
	v_mul_f64 v[94:95], v[188:189], v[94:95]
	v_fma_f64 v[198:199], v[188:189], v[92:93], -v[198:199]
	v_fmac_f64_e32 v[94:95], v[190:191], v[92:93]
	ds_read2_b64 v[188:191], v200 offset0:48 offset1:49
	s_waitcnt lgkmcnt(1)
	v_mul_f64 v[92:93], v[206:207], v[94:95]
	v_fma_f64 v[92:93], v[204:205], v[198:199], -v[92:93]
	v_mul_f64 v[204:205], v[204:205], v[94:95]
	v_fmac_f64_e32 v[204:205], v[206:207], v[198:199]
	s_waitcnt vmcnt(23)
	v_add_f64 v[88:89], v[88:89], -v[92:93]
	s_waitcnt lgkmcnt(0)
	v_mul_f64 v[92:93], v[190:191], v[94:95]
	v_add_f64 v[90:91], v[90:91], -v[204:205]
	v_fma_f64 v[92:93], v[188:189], v[198:199], -v[92:93]
	v_mul_f64 v[188:189], v[188:189], v[94:95]
	ds_read2_b64 v[204:207], v200 offset0:50 offset1:51
	v_fmac_f64_e32 v[188:189], v[190:191], v[198:199]
	s_waitcnt vmcnt(22)
	v_add_f64 v[86:87], v[86:87], -v[188:189]
	ds_read2_b64 v[188:191], v200 offset0:52 offset1:53
	v_add_f64 v[84:85], v[84:85], -v[92:93]
	s_waitcnt lgkmcnt(1)
	v_mul_f64 v[92:93], v[206:207], v[94:95]
	v_fma_f64 v[92:93], v[204:205], v[198:199], -v[92:93]
	v_mul_f64 v[204:205], v[204:205], v[94:95]
	v_fmac_f64_e32 v[204:205], v[206:207], v[198:199]
	s_waitcnt vmcnt(21)
	v_add_f64 v[80:81], v[80:81], -v[92:93]
	s_waitcnt lgkmcnt(0)
	v_mul_f64 v[92:93], v[190:191], v[94:95]
	v_add_f64 v[82:83], v[82:83], -v[204:205]
	v_fma_f64 v[92:93], v[188:189], v[198:199], -v[92:93]
	v_mul_f64 v[188:189], v[188:189], v[94:95]
	ds_read2_b64 v[204:207], v200 offset0:54 offset1:55
	v_fmac_f64_e32 v[188:189], v[190:191], v[198:199]
	s_waitcnt vmcnt(20)
	v_add_f64 v[78:79], v[78:79], -v[188:189]
	ds_read2_b64 v[188:191], v200 offset0:56 offset1:57
	v_add_f64 v[76:77], v[76:77], -v[92:93]
	;; [unrolled: 18-line block ×11, first 2 shown]
	s_waitcnt lgkmcnt(1)
	v_mul_f64 v[92:93], v[206:207], v[94:95]
	v_fma_f64 v[92:93], v[204:205], v[198:199], -v[92:93]
	s_waitcnt vmcnt(1)
	v_add_f64 v[0:1], v[0:1], -v[92:93]
	s_waitcnt lgkmcnt(0)
	v_mul_f64 v[92:93], v[190:191], v[94:95]
	v_mul_f64 v[204:205], v[204:205], v[94:95]
	v_fma_f64 v[92:93], v[188:189], v[198:199], -v[92:93]
	v_mul_f64 v[188:189], v[188:189], v[94:95]
	v_fmac_f64_e32 v[204:205], v[206:207], v[198:199]
	v_fmac_f64_e32 v[188:189], v[190:191], v[198:199]
	v_add_f64 v[2:3], v[2:3], -v[204:205]
	s_waitcnt vmcnt(0)
	v_add_f64 v[184:185], v[184:185], -v[92:93]
	v_add_f64 v[186:187], v[186:187], -v[188:189]
	v_mov_b64_e32 v[92:93], v[198:199]
.LBB92_482:
	s_or_b64 exec, exec, s[0:1]
	v_lshl_add_u32 v188, v201, 4, v200
	s_barrier
	s_waitcnt vmcnt(23)
	ds_write2_b64 v188, v[88:89], v[90:91] offset1:1
	s_waitcnt lgkmcnt(0)
	s_barrier
	ds_read2_b64 v[188:191], v200 offset0:46 offset1:47
	s_cmp_lt_i32 s20, 25
	v_mov_b32_e32 v198, 23
	s_cbranch_scc1 .LBB92_485
; %bb.483:
	v_add_u32_e32 v199, 0x180, v200
	s_mov_b32 s16, 24
	v_mov_b32_e32 v198, 23
.LBB92_484:                             ; =>This Inner Loop Header: Depth=1
	ds_read2_b64 v[204:207], v199 offset1:1
	s_waitcnt lgkmcnt(1)
	v_xor_b32_e32 v209, 0x80000000, v189
	v_xor_b32_e32 v211, 0x80000000, v191
	v_cmp_gt_f64_e32 vcc, 0, v[190:191]
	v_cmp_gt_f64_e64 s[0:1], 0, v[188:189]
	v_mov_b32_e32 v208, v188
	v_mov_b32_e32 v210, v190
	v_cndmask_b32_e64 v209, v189, v209, s[0:1]
	v_cndmask_b32_e32 v211, v191, v211, vcc
	v_add_f64 v[208:209], v[208:209], v[210:211]
	s_waitcnt lgkmcnt(0)
	v_xor_b32_e32 v211, 0x80000000, v205
	v_xor_b32_e32 v213, 0x80000000, v207
	v_cmp_gt_f64_e32 vcc, 0, v[206:207]
	v_cmp_gt_f64_e64 s[0:1], 0, v[204:205]
	v_mov_b32_e32 v210, v204
	v_mov_b32_e32 v212, v206
	v_cndmask_b32_e64 v211, v205, v211, s[0:1]
	v_cndmask_b32_e32 v213, v207, v213, vcc
	v_add_f64 v[210:211], v[210:211], v[212:213]
	v_mov_b32_e32 v214, s16
	s_add_i32 s16, s16, 1
	v_cmp_lt_f64_e32 vcc, v[208:209], v[210:211]
	v_add_u32_e32 v199, 16, v199
	s_cmp_lg_u32 s20, s16
	v_cndmask_b32_e32 v189, v189, v205, vcc
	v_cndmask_b32_e32 v188, v188, v204, vcc
	;; [unrolled: 1-line block ×5, first 2 shown]
	s_cbranch_scc1 .LBB92_484
.LBB92_485:
	s_waitcnt lgkmcnt(0)
	v_cmp_eq_f64_e32 vcc, 0, v[188:189]
	v_cmp_eq_f64_e64 s[0:1], 0, v[190:191]
	s_and_b64 s[0:1], vcc, s[0:1]
	s_and_saveexec_b64 s[16:17], s[0:1]
	s_xor_b64 s[0:1], exec, s[16:17]
; %bb.486:
	v_cmp_ne_u32_e32 vcc, 0, v202
	s_nop 1
	v_cndmask_b32_e32 v202, 24, v202, vcc
; %bb.487:
	s_andn2_saveexec_b64 s[0:1], s[0:1]
	s_cbranch_execz .LBB92_493
; %bb.488:
	v_cmp_ngt_f64_e64 s[16:17], |v[188:189]|, |v[190:191]|
	s_and_saveexec_b64 s[18:19], s[16:17]
	s_xor_b64 s[16:17], exec, s[18:19]
	s_cbranch_execz .LBB92_490
; %bb.489:
	v_div_scale_f64 v[204:205], s[18:19], v[190:191], v[190:191], v[188:189]
	v_rcp_f64_e32 v[206:207], v[204:205]
	v_div_scale_f64 v[208:209], vcc, v[188:189], v[190:191], v[188:189]
	v_fma_f64 v[210:211], -v[204:205], v[206:207], 1.0
	v_fmac_f64_e32 v[206:207], v[206:207], v[210:211]
	v_fma_f64 v[210:211], -v[204:205], v[206:207], 1.0
	v_fmac_f64_e32 v[206:207], v[206:207], v[210:211]
	v_mul_f64 v[210:211], v[208:209], v[206:207]
	v_fma_f64 v[204:205], -v[204:205], v[210:211], v[208:209]
	v_div_fmas_f64 v[204:205], v[204:205], v[206:207], v[210:211]
	v_div_fixup_f64 v[204:205], v[204:205], v[190:191], v[188:189]
	v_fmac_f64_e32 v[190:191], v[188:189], v[204:205]
	v_div_scale_f64 v[188:189], s[18:19], v[190:191], v[190:191], 1.0
	v_rcp_f64_e32 v[206:207], v[188:189]
	s_nop 0
	v_fma_f64 v[208:209], -v[188:189], v[206:207], 1.0
	v_fmac_f64_e32 v[206:207], v[206:207], v[208:209]
	v_fma_f64 v[208:209], -v[188:189], v[206:207], 1.0
	v_fmac_f64_e32 v[206:207], v[206:207], v[208:209]
	v_div_scale_f64 v[208:209], vcc, 1.0, v[190:191], 1.0
	v_mul_f64 v[210:211], v[208:209], v[206:207]
	v_fma_f64 v[188:189], -v[188:189], v[210:211], v[208:209]
	s_nop 1
	v_div_fmas_f64 v[188:189], v[188:189], v[206:207], v[210:211]
	v_div_fixup_f64 v[190:191], v[188:189], v[190:191], 1.0
	v_mul_f64 v[188:189], v[204:205], v[190:191]
	v_xor_b32_e32 v191, 0x80000000, v191
.LBB92_490:
	s_andn2_saveexec_b64 s[16:17], s[16:17]
	s_cbranch_execz .LBB92_492
; %bb.491:
	v_div_scale_f64 v[204:205], s[18:19], v[188:189], v[188:189], v[190:191]
	v_rcp_f64_e32 v[206:207], v[204:205]
	v_div_scale_f64 v[208:209], vcc, v[190:191], v[188:189], v[190:191]
	v_fma_f64 v[210:211], -v[204:205], v[206:207], 1.0
	v_fmac_f64_e32 v[206:207], v[206:207], v[210:211]
	v_fma_f64 v[210:211], -v[204:205], v[206:207], 1.0
	v_fmac_f64_e32 v[206:207], v[206:207], v[210:211]
	v_mul_f64 v[210:211], v[208:209], v[206:207]
	v_fma_f64 v[204:205], -v[204:205], v[210:211], v[208:209]
	v_div_fmas_f64 v[204:205], v[204:205], v[206:207], v[210:211]
	v_div_fixup_f64 v[204:205], v[204:205], v[188:189], v[190:191]
	v_fmac_f64_e32 v[188:189], v[190:191], v[204:205]
	v_div_scale_f64 v[190:191], s[18:19], v[188:189], v[188:189], 1.0
	v_rcp_f64_e32 v[206:207], v[190:191]
	s_nop 0
	v_fma_f64 v[208:209], -v[190:191], v[206:207], 1.0
	v_fmac_f64_e32 v[206:207], v[206:207], v[208:209]
	v_fma_f64 v[208:209], -v[190:191], v[206:207], 1.0
	v_fmac_f64_e32 v[206:207], v[206:207], v[208:209]
	v_div_scale_f64 v[208:209], vcc, 1.0, v[188:189], 1.0
	v_mul_f64 v[210:211], v[208:209], v[206:207]
	v_fma_f64 v[190:191], -v[190:191], v[210:211], v[208:209]
	s_nop 1
	v_div_fmas_f64 v[190:191], v[190:191], v[206:207], v[210:211]
	v_div_fixup_f64 v[188:189], v[190:191], v[188:189], 1.0
	v_mul_f64 v[190:191], v[204:205], -v[188:189]
.LBB92_492:
	s_or_b64 exec, exec, s[16:17]
.LBB92_493:
	s_or_b64 exec, exec, s[0:1]
	v_cmp_ne_u32_e32 vcc, v201, v198
	s_and_saveexec_b64 s[0:1], vcc
	s_xor_b64 s[0:1], exec, s[0:1]
	s_cbranch_execz .LBB92_499
; %bb.494:
	v_cmp_eq_u32_e32 vcc, 23, v201
	s_and_saveexec_b64 s[16:17], vcc
	s_cbranch_execz .LBB92_498
; %bb.495:
	v_cmp_ne_u32_e32 vcc, 23, v198
	s_xor_b64 s[18:19], s[14:15], -1
	s_and_b64 s[22:23], s[18:19], vcc
	s_and_saveexec_b64 s[18:19], s[22:23]
	s_cbranch_execz .LBB92_497
; %bb.496:
	v_ashrrev_i32_e32 v199, 31, v198
	v_lshl_add_u64 v[204:205], v[198:199], 2, v[196:197]
	global_load_dword v199, v[204:205], off
	global_load_dword v201, v[196:197], off offset:92
	s_waitcnt vmcnt(1)
	global_store_dword v[196:197], v199, off offset:92
	s_waitcnt vmcnt(1)
	global_store_dword v[204:205], v201, off
.LBB92_497:
	s_or_b64 exec, exec, s[18:19]
	v_mov_b32_e32 v201, v198
	v_mov_b32_e32 v203, v198
.LBB92_498:
	s_or_b64 exec, exec, s[16:17]
.LBB92_499:
	s_andn2_saveexec_b64 s[0:1], s[0:1]
	s_cbranch_execz .LBB92_501
; %bb.500:
	v_mov_b32_e32 v201, 23
	s_waitcnt vmcnt(22)
	ds_write2_b64 v200, v[84:85], v[86:87] offset0:48 offset1:49
	s_waitcnt vmcnt(21)
	ds_write2_b64 v200, v[80:81], v[82:83] offset0:50 offset1:51
	;; [unrolled: 2-line block ×23, first 2 shown]
.LBB92_501:
	s_or_b64 exec, exec, s[0:1]
	v_cmp_lt_i32_e32 vcc, 23, v201
	s_waitcnt lgkmcnt(0)
	s_barrier
	s_and_saveexec_b64 s[0:1], vcc
	s_cbranch_execz .LBB92_503
; %bb.502:
	ds_read2_b64 v[204:207], v200 offset0:48 offset1:49
	v_mul_f64 v[198:199], v[190:191], v[90:91]
	v_mul_f64 v[90:91], v[188:189], v[90:91]
	v_fmac_f64_e32 v[90:91], v[190:191], v[88:89]
	v_fma_f64 v[198:199], v[188:189], v[88:89], -v[198:199]
	ds_read2_b64 v[188:191], v200 offset0:50 offset1:51
	s_waitcnt lgkmcnt(1)
	v_mul_f64 v[88:89], v[206:207], v[90:91]
	v_fma_f64 v[88:89], v[204:205], v[198:199], -v[88:89]
	v_mul_f64 v[204:205], v[204:205], v[90:91]
	v_fmac_f64_e32 v[204:205], v[206:207], v[198:199]
	s_waitcnt vmcnt(22)
	v_add_f64 v[86:87], v[86:87], -v[204:205]
	ds_read2_b64 v[204:207], v200 offset0:52 offset1:53
	v_add_f64 v[84:85], v[84:85], -v[88:89]
	s_waitcnt lgkmcnt(1)
	v_mul_f64 v[88:89], v[190:191], v[90:91]
	v_fma_f64 v[88:89], v[188:189], v[198:199], -v[88:89]
	v_mul_f64 v[188:189], v[188:189], v[90:91]
	v_fmac_f64_e32 v[188:189], v[190:191], v[198:199]
	s_waitcnt vmcnt(21)
	v_add_f64 v[80:81], v[80:81], -v[88:89]
	v_add_f64 v[82:83], v[82:83], -v[188:189]
	ds_read2_b64 v[188:191], v200 offset0:54 offset1:55
	s_waitcnt lgkmcnt(1)
	v_mul_f64 v[88:89], v[206:207], v[90:91]
	v_fma_f64 v[88:89], v[204:205], v[198:199], -v[88:89]
	v_mul_f64 v[204:205], v[204:205], v[90:91]
	v_fmac_f64_e32 v[204:205], v[206:207], v[198:199]
	s_waitcnt vmcnt(20)
	v_add_f64 v[78:79], v[78:79], -v[204:205]
	ds_read2_b64 v[204:207], v200 offset0:56 offset1:57
	v_add_f64 v[76:77], v[76:77], -v[88:89]
	s_waitcnt lgkmcnt(1)
	v_mul_f64 v[88:89], v[190:191], v[90:91]
	v_fma_f64 v[88:89], v[188:189], v[198:199], -v[88:89]
	v_mul_f64 v[188:189], v[188:189], v[90:91]
	v_fmac_f64_e32 v[188:189], v[190:191], v[198:199]
	s_waitcnt vmcnt(19)
	v_add_f64 v[72:73], v[72:73], -v[88:89]
	v_add_f64 v[74:75], v[74:75], -v[188:189]
	;; [unrolled: 18-line block ×11, first 2 shown]
	s_waitcnt lgkmcnt(0)
	v_mul_f64 v[88:89], v[206:207], v[90:91]
	v_mul_f64 v[188:189], v[204:205], v[90:91]
	v_fma_f64 v[88:89], v[204:205], v[198:199], -v[88:89]
	v_fmac_f64_e32 v[188:189], v[206:207], v[198:199]
	s_waitcnt vmcnt(0)
	v_add_f64 v[184:185], v[184:185], -v[88:89]
	v_add_f64 v[186:187], v[186:187], -v[188:189]
	v_mov_b64_e32 v[88:89], v[198:199]
.LBB92_503:
	s_or_b64 exec, exec, s[0:1]
	v_lshl_add_u32 v188, v201, 4, v200
	s_barrier
	s_waitcnt vmcnt(22)
	ds_write2_b64 v188, v[84:85], v[86:87] offset1:1
	s_waitcnt lgkmcnt(0)
	s_barrier
	ds_read2_b64 v[188:191], v200 offset0:48 offset1:49
	s_cmp_lt_i32 s20, 26
	v_mov_b32_e32 v198, 24
	s_cbranch_scc1 .LBB92_506
; %bb.504:
	v_add_u32_e32 v199, 0x190, v200
	s_mov_b32 s16, 25
	v_mov_b32_e32 v198, 24
.LBB92_505:                             ; =>This Inner Loop Header: Depth=1
	ds_read2_b64 v[204:207], v199 offset1:1
	s_waitcnt lgkmcnt(1)
	v_xor_b32_e32 v209, 0x80000000, v189
	v_xor_b32_e32 v211, 0x80000000, v191
	v_cmp_gt_f64_e32 vcc, 0, v[190:191]
	v_cmp_gt_f64_e64 s[0:1], 0, v[188:189]
	v_mov_b32_e32 v208, v188
	v_mov_b32_e32 v210, v190
	v_cndmask_b32_e64 v209, v189, v209, s[0:1]
	v_cndmask_b32_e32 v211, v191, v211, vcc
	v_add_f64 v[208:209], v[208:209], v[210:211]
	s_waitcnt lgkmcnt(0)
	v_xor_b32_e32 v211, 0x80000000, v205
	v_xor_b32_e32 v213, 0x80000000, v207
	v_cmp_gt_f64_e32 vcc, 0, v[206:207]
	v_cmp_gt_f64_e64 s[0:1], 0, v[204:205]
	v_mov_b32_e32 v210, v204
	v_mov_b32_e32 v212, v206
	v_cndmask_b32_e64 v211, v205, v211, s[0:1]
	v_cndmask_b32_e32 v213, v207, v213, vcc
	v_add_f64 v[210:211], v[210:211], v[212:213]
	v_mov_b32_e32 v214, s16
	s_add_i32 s16, s16, 1
	v_cmp_lt_f64_e32 vcc, v[208:209], v[210:211]
	v_add_u32_e32 v199, 16, v199
	s_cmp_lg_u32 s20, s16
	v_cndmask_b32_e32 v189, v189, v205, vcc
	v_cndmask_b32_e32 v188, v188, v204, vcc
	;; [unrolled: 1-line block ×5, first 2 shown]
	s_cbranch_scc1 .LBB92_505
.LBB92_506:
	s_waitcnt lgkmcnt(0)
	v_cmp_eq_f64_e32 vcc, 0, v[188:189]
	v_cmp_eq_f64_e64 s[0:1], 0, v[190:191]
	s_and_b64 s[0:1], vcc, s[0:1]
	s_and_saveexec_b64 s[16:17], s[0:1]
	s_xor_b64 s[0:1], exec, s[16:17]
; %bb.507:
	v_cmp_ne_u32_e32 vcc, 0, v202
	s_nop 1
	v_cndmask_b32_e32 v202, 25, v202, vcc
; %bb.508:
	s_andn2_saveexec_b64 s[0:1], s[0:1]
	s_cbranch_execz .LBB92_514
; %bb.509:
	v_cmp_ngt_f64_e64 s[16:17], |v[188:189]|, |v[190:191]|
	s_and_saveexec_b64 s[18:19], s[16:17]
	s_xor_b64 s[16:17], exec, s[18:19]
	s_cbranch_execz .LBB92_511
; %bb.510:
	v_div_scale_f64 v[204:205], s[18:19], v[190:191], v[190:191], v[188:189]
	v_rcp_f64_e32 v[206:207], v[204:205]
	v_div_scale_f64 v[208:209], vcc, v[188:189], v[190:191], v[188:189]
	v_fma_f64 v[210:211], -v[204:205], v[206:207], 1.0
	v_fmac_f64_e32 v[206:207], v[206:207], v[210:211]
	v_fma_f64 v[210:211], -v[204:205], v[206:207], 1.0
	v_fmac_f64_e32 v[206:207], v[206:207], v[210:211]
	v_mul_f64 v[210:211], v[208:209], v[206:207]
	v_fma_f64 v[204:205], -v[204:205], v[210:211], v[208:209]
	v_div_fmas_f64 v[204:205], v[204:205], v[206:207], v[210:211]
	v_div_fixup_f64 v[204:205], v[204:205], v[190:191], v[188:189]
	v_fmac_f64_e32 v[190:191], v[188:189], v[204:205]
	v_div_scale_f64 v[188:189], s[18:19], v[190:191], v[190:191], 1.0
	v_rcp_f64_e32 v[206:207], v[188:189]
	s_nop 0
	v_fma_f64 v[208:209], -v[188:189], v[206:207], 1.0
	v_fmac_f64_e32 v[206:207], v[206:207], v[208:209]
	v_fma_f64 v[208:209], -v[188:189], v[206:207], 1.0
	v_fmac_f64_e32 v[206:207], v[206:207], v[208:209]
	v_div_scale_f64 v[208:209], vcc, 1.0, v[190:191], 1.0
	v_mul_f64 v[210:211], v[208:209], v[206:207]
	v_fma_f64 v[188:189], -v[188:189], v[210:211], v[208:209]
	s_nop 1
	v_div_fmas_f64 v[188:189], v[188:189], v[206:207], v[210:211]
	v_div_fixup_f64 v[190:191], v[188:189], v[190:191], 1.0
	v_mul_f64 v[188:189], v[204:205], v[190:191]
	v_xor_b32_e32 v191, 0x80000000, v191
.LBB92_511:
	s_andn2_saveexec_b64 s[16:17], s[16:17]
	s_cbranch_execz .LBB92_513
; %bb.512:
	v_div_scale_f64 v[204:205], s[18:19], v[188:189], v[188:189], v[190:191]
	v_rcp_f64_e32 v[206:207], v[204:205]
	v_div_scale_f64 v[208:209], vcc, v[190:191], v[188:189], v[190:191]
	v_fma_f64 v[210:211], -v[204:205], v[206:207], 1.0
	v_fmac_f64_e32 v[206:207], v[206:207], v[210:211]
	v_fma_f64 v[210:211], -v[204:205], v[206:207], 1.0
	v_fmac_f64_e32 v[206:207], v[206:207], v[210:211]
	v_mul_f64 v[210:211], v[208:209], v[206:207]
	v_fma_f64 v[204:205], -v[204:205], v[210:211], v[208:209]
	v_div_fmas_f64 v[204:205], v[204:205], v[206:207], v[210:211]
	v_div_fixup_f64 v[204:205], v[204:205], v[188:189], v[190:191]
	v_fmac_f64_e32 v[188:189], v[190:191], v[204:205]
	v_div_scale_f64 v[190:191], s[18:19], v[188:189], v[188:189], 1.0
	v_rcp_f64_e32 v[206:207], v[190:191]
	s_nop 0
	v_fma_f64 v[208:209], -v[190:191], v[206:207], 1.0
	v_fmac_f64_e32 v[206:207], v[206:207], v[208:209]
	v_fma_f64 v[208:209], -v[190:191], v[206:207], 1.0
	v_fmac_f64_e32 v[206:207], v[206:207], v[208:209]
	v_div_scale_f64 v[208:209], vcc, 1.0, v[188:189], 1.0
	v_mul_f64 v[210:211], v[208:209], v[206:207]
	v_fma_f64 v[190:191], -v[190:191], v[210:211], v[208:209]
	s_nop 1
	v_div_fmas_f64 v[190:191], v[190:191], v[206:207], v[210:211]
	v_div_fixup_f64 v[188:189], v[190:191], v[188:189], 1.0
	v_mul_f64 v[190:191], v[204:205], -v[188:189]
.LBB92_513:
	s_or_b64 exec, exec, s[16:17]
.LBB92_514:
	s_or_b64 exec, exec, s[0:1]
	v_cmp_ne_u32_e32 vcc, v201, v198
	s_and_saveexec_b64 s[0:1], vcc
	s_xor_b64 s[0:1], exec, s[0:1]
	s_cbranch_execz .LBB92_520
; %bb.515:
	v_cmp_eq_u32_e32 vcc, 24, v201
	s_and_saveexec_b64 s[16:17], vcc
	s_cbranch_execz .LBB92_519
; %bb.516:
	v_cmp_ne_u32_e32 vcc, 24, v198
	s_xor_b64 s[18:19], s[14:15], -1
	s_and_b64 s[22:23], s[18:19], vcc
	s_and_saveexec_b64 s[18:19], s[22:23]
	s_cbranch_execz .LBB92_518
; %bb.517:
	v_ashrrev_i32_e32 v199, 31, v198
	v_lshl_add_u64 v[204:205], v[198:199], 2, v[196:197]
	global_load_dword v199, v[204:205], off
	global_load_dword v201, v[196:197], off offset:96
	s_waitcnt vmcnt(1)
	global_store_dword v[196:197], v199, off offset:96
	s_waitcnt vmcnt(1)
	global_store_dword v[204:205], v201, off
.LBB92_518:
	s_or_b64 exec, exec, s[18:19]
	v_mov_b32_e32 v201, v198
	v_mov_b32_e32 v203, v198
.LBB92_519:
	s_or_b64 exec, exec, s[16:17]
.LBB92_520:
	s_andn2_saveexec_b64 s[0:1], s[0:1]
	s_cbranch_execz .LBB92_522
; %bb.521:
	v_mov_b32_e32 v201, 24
	s_waitcnt vmcnt(21)
	ds_write2_b64 v200, v[80:81], v[82:83] offset0:50 offset1:51
	s_waitcnt vmcnt(20)
	ds_write2_b64 v200, v[76:77], v[78:79] offset0:52 offset1:53
	;; [unrolled: 2-line block ×22, first 2 shown]
.LBB92_522:
	s_or_b64 exec, exec, s[0:1]
	v_cmp_lt_i32_e32 vcc, 24, v201
	s_waitcnt lgkmcnt(0)
	s_barrier
	s_and_saveexec_b64 s[0:1], vcc
	s_cbranch_execz .LBB92_524
; %bb.523:
	ds_read2_b64 v[204:207], v200 offset0:50 offset1:51
	v_mul_f64 v[198:199], v[190:191], v[86:87]
	v_mul_f64 v[86:87], v[188:189], v[86:87]
	v_fma_f64 v[198:199], v[188:189], v[84:85], -v[198:199]
	v_fmac_f64_e32 v[86:87], v[190:191], v[84:85]
	ds_read2_b64 v[188:191], v200 offset0:52 offset1:53
	s_waitcnt lgkmcnt(1)
	v_mul_f64 v[84:85], v[206:207], v[86:87]
	v_fma_f64 v[84:85], v[204:205], v[198:199], -v[84:85]
	v_mul_f64 v[204:205], v[204:205], v[86:87]
	v_fmac_f64_e32 v[204:205], v[206:207], v[198:199]
	s_waitcnt vmcnt(21)
	v_add_f64 v[80:81], v[80:81], -v[84:85]
	s_waitcnt lgkmcnt(0)
	v_mul_f64 v[84:85], v[190:191], v[86:87]
	v_add_f64 v[82:83], v[82:83], -v[204:205]
	v_fma_f64 v[84:85], v[188:189], v[198:199], -v[84:85]
	v_mul_f64 v[188:189], v[188:189], v[86:87]
	ds_read2_b64 v[204:207], v200 offset0:54 offset1:55
	v_fmac_f64_e32 v[188:189], v[190:191], v[198:199]
	s_waitcnt vmcnt(20)
	v_add_f64 v[78:79], v[78:79], -v[188:189]
	ds_read2_b64 v[188:191], v200 offset0:56 offset1:57
	v_add_f64 v[76:77], v[76:77], -v[84:85]
	s_waitcnt lgkmcnt(1)
	v_mul_f64 v[84:85], v[206:207], v[86:87]
	v_fma_f64 v[84:85], v[204:205], v[198:199], -v[84:85]
	v_mul_f64 v[204:205], v[204:205], v[86:87]
	v_fmac_f64_e32 v[204:205], v[206:207], v[198:199]
	s_waitcnt vmcnt(19)
	v_add_f64 v[72:73], v[72:73], -v[84:85]
	s_waitcnt lgkmcnt(0)
	v_mul_f64 v[84:85], v[190:191], v[86:87]
	v_add_f64 v[74:75], v[74:75], -v[204:205]
	v_fma_f64 v[84:85], v[188:189], v[198:199], -v[84:85]
	v_mul_f64 v[188:189], v[188:189], v[86:87]
	ds_read2_b64 v[204:207], v200 offset0:58 offset1:59
	v_fmac_f64_e32 v[188:189], v[190:191], v[198:199]
	s_waitcnt vmcnt(18)
	v_add_f64 v[70:71], v[70:71], -v[188:189]
	ds_read2_b64 v[188:191], v200 offset0:60 offset1:61
	v_add_f64 v[68:69], v[68:69], -v[84:85]
	;; [unrolled: 18-line block ×10, first 2 shown]
	s_waitcnt lgkmcnt(1)
	v_mul_f64 v[84:85], v[206:207], v[86:87]
	v_fma_f64 v[84:85], v[204:205], v[198:199], -v[84:85]
	s_waitcnt vmcnt(1)
	v_add_f64 v[0:1], v[0:1], -v[84:85]
	s_waitcnt lgkmcnt(0)
	v_mul_f64 v[84:85], v[190:191], v[86:87]
	v_mul_f64 v[204:205], v[204:205], v[86:87]
	v_fma_f64 v[84:85], v[188:189], v[198:199], -v[84:85]
	v_mul_f64 v[188:189], v[188:189], v[86:87]
	v_fmac_f64_e32 v[204:205], v[206:207], v[198:199]
	v_fmac_f64_e32 v[188:189], v[190:191], v[198:199]
	v_add_f64 v[2:3], v[2:3], -v[204:205]
	s_waitcnt vmcnt(0)
	v_add_f64 v[184:185], v[184:185], -v[84:85]
	v_add_f64 v[186:187], v[186:187], -v[188:189]
	v_mov_b64_e32 v[84:85], v[198:199]
.LBB92_524:
	s_or_b64 exec, exec, s[0:1]
	v_lshl_add_u32 v188, v201, 4, v200
	s_barrier
	s_waitcnt vmcnt(21)
	ds_write2_b64 v188, v[80:81], v[82:83] offset1:1
	s_waitcnt lgkmcnt(0)
	s_barrier
	ds_read2_b64 v[188:191], v200 offset0:50 offset1:51
	s_cmp_lt_i32 s20, 27
	v_mov_b32_e32 v198, 25
	s_cbranch_scc1 .LBB92_527
; %bb.525:
	v_add_u32_e32 v199, 0x1a0, v200
	s_mov_b32 s16, 26
	v_mov_b32_e32 v198, 25
.LBB92_526:                             ; =>This Inner Loop Header: Depth=1
	ds_read2_b64 v[204:207], v199 offset1:1
	s_waitcnt lgkmcnt(1)
	v_xor_b32_e32 v209, 0x80000000, v189
	v_xor_b32_e32 v211, 0x80000000, v191
	v_cmp_gt_f64_e32 vcc, 0, v[190:191]
	v_cmp_gt_f64_e64 s[0:1], 0, v[188:189]
	v_mov_b32_e32 v208, v188
	v_mov_b32_e32 v210, v190
	v_cndmask_b32_e64 v209, v189, v209, s[0:1]
	v_cndmask_b32_e32 v211, v191, v211, vcc
	v_add_f64 v[208:209], v[208:209], v[210:211]
	s_waitcnt lgkmcnt(0)
	v_xor_b32_e32 v211, 0x80000000, v205
	v_xor_b32_e32 v213, 0x80000000, v207
	v_cmp_gt_f64_e32 vcc, 0, v[206:207]
	v_cmp_gt_f64_e64 s[0:1], 0, v[204:205]
	v_mov_b32_e32 v210, v204
	v_mov_b32_e32 v212, v206
	v_cndmask_b32_e64 v211, v205, v211, s[0:1]
	v_cndmask_b32_e32 v213, v207, v213, vcc
	v_add_f64 v[210:211], v[210:211], v[212:213]
	v_mov_b32_e32 v214, s16
	s_add_i32 s16, s16, 1
	v_cmp_lt_f64_e32 vcc, v[208:209], v[210:211]
	v_add_u32_e32 v199, 16, v199
	s_cmp_lg_u32 s20, s16
	v_cndmask_b32_e32 v189, v189, v205, vcc
	v_cndmask_b32_e32 v188, v188, v204, vcc
	;; [unrolled: 1-line block ×5, first 2 shown]
	s_cbranch_scc1 .LBB92_526
.LBB92_527:
	s_waitcnt lgkmcnt(0)
	v_cmp_eq_f64_e32 vcc, 0, v[188:189]
	v_cmp_eq_f64_e64 s[0:1], 0, v[190:191]
	s_and_b64 s[0:1], vcc, s[0:1]
	s_and_saveexec_b64 s[16:17], s[0:1]
	s_xor_b64 s[0:1], exec, s[16:17]
; %bb.528:
	v_cmp_ne_u32_e32 vcc, 0, v202
	s_nop 1
	v_cndmask_b32_e32 v202, 26, v202, vcc
; %bb.529:
	s_andn2_saveexec_b64 s[0:1], s[0:1]
	s_cbranch_execz .LBB92_535
; %bb.530:
	v_cmp_ngt_f64_e64 s[16:17], |v[188:189]|, |v[190:191]|
	s_and_saveexec_b64 s[18:19], s[16:17]
	s_xor_b64 s[16:17], exec, s[18:19]
	s_cbranch_execz .LBB92_532
; %bb.531:
	v_div_scale_f64 v[204:205], s[18:19], v[190:191], v[190:191], v[188:189]
	v_rcp_f64_e32 v[206:207], v[204:205]
	v_div_scale_f64 v[208:209], vcc, v[188:189], v[190:191], v[188:189]
	v_fma_f64 v[210:211], -v[204:205], v[206:207], 1.0
	v_fmac_f64_e32 v[206:207], v[206:207], v[210:211]
	v_fma_f64 v[210:211], -v[204:205], v[206:207], 1.0
	v_fmac_f64_e32 v[206:207], v[206:207], v[210:211]
	v_mul_f64 v[210:211], v[208:209], v[206:207]
	v_fma_f64 v[204:205], -v[204:205], v[210:211], v[208:209]
	v_div_fmas_f64 v[204:205], v[204:205], v[206:207], v[210:211]
	v_div_fixup_f64 v[204:205], v[204:205], v[190:191], v[188:189]
	v_fmac_f64_e32 v[190:191], v[188:189], v[204:205]
	v_div_scale_f64 v[188:189], s[18:19], v[190:191], v[190:191], 1.0
	v_rcp_f64_e32 v[206:207], v[188:189]
	s_nop 0
	v_fma_f64 v[208:209], -v[188:189], v[206:207], 1.0
	v_fmac_f64_e32 v[206:207], v[206:207], v[208:209]
	v_fma_f64 v[208:209], -v[188:189], v[206:207], 1.0
	v_fmac_f64_e32 v[206:207], v[206:207], v[208:209]
	v_div_scale_f64 v[208:209], vcc, 1.0, v[190:191], 1.0
	v_mul_f64 v[210:211], v[208:209], v[206:207]
	v_fma_f64 v[188:189], -v[188:189], v[210:211], v[208:209]
	s_nop 1
	v_div_fmas_f64 v[188:189], v[188:189], v[206:207], v[210:211]
	v_div_fixup_f64 v[190:191], v[188:189], v[190:191], 1.0
	v_mul_f64 v[188:189], v[204:205], v[190:191]
	v_xor_b32_e32 v191, 0x80000000, v191
.LBB92_532:
	s_andn2_saveexec_b64 s[16:17], s[16:17]
	s_cbranch_execz .LBB92_534
; %bb.533:
	v_div_scale_f64 v[204:205], s[18:19], v[188:189], v[188:189], v[190:191]
	v_rcp_f64_e32 v[206:207], v[204:205]
	v_div_scale_f64 v[208:209], vcc, v[190:191], v[188:189], v[190:191]
	v_fma_f64 v[210:211], -v[204:205], v[206:207], 1.0
	v_fmac_f64_e32 v[206:207], v[206:207], v[210:211]
	v_fma_f64 v[210:211], -v[204:205], v[206:207], 1.0
	v_fmac_f64_e32 v[206:207], v[206:207], v[210:211]
	v_mul_f64 v[210:211], v[208:209], v[206:207]
	v_fma_f64 v[204:205], -v[204:205], v[210:211], v[208:209]
	v_div_fmas_f64 v[204:205], v[204:205], v[206:207], v[210:211]
	v_div_fixup_f64 v[204:205], v[204:205], v[188:189], v[190:191]
	v_fmac_f64_e32 v[188:189], v[190:191], v[204:205]
	v_div_scale_f64 v[190:191], s[18:19], v[188:189], v[188:189], 1.0
	v_rcp_f64_e32 v[206:207], v[190:191]
	s_nop 0
	v_fma_f64 v[208:209], -v[190:191], v[206:207], 1.0
	v_fmac_f64_e32 v[206:207], v[206:207], v[208:209]
	v_fma_f64 v[208:209], -v[190:191], v[206:207], 1.0
	v_fmac_f64_e32 v[206:207], v[206:207], v[208:209]
	v_div_scale_f64 v[208:209], vcc, 1.0, v[188:189], 1.0
	v_mul_f64 v[210:211], v[208:209], v[206:207]
	v_fma_f64 v[190:191], -v[190:191], v[210:211], v[208:209]
	s_nop 1
	v_div_fmas_f64 v[190:191], v[190:191], v[206:207], v[210:211]
	v_div_fixup_f64 v[188:189], v[190:191], v[188:189], 1.0
	v_mul_f64 v[190:191], v[204:205], -v[188:189]
.LBB92_534:
	s_or_b64 exec, exec, s[16:17]
.LBB92_535:
	s_or_b64 exec, exec, s[0:1]
	v_cmp_ne_u32_e32 vcc, v201, v198
	s_and_saveexec_b64 s[0:1], vcc
	s_xor_b64 s[0:1], exec, s[0:1]
	s_cbranch_execz .LBB92_541
; %bb.536:
	v_cmp_eq_u32_e32 vcc, 25, v201
	s_and_saveexec_b64 s[16:17], vcc
	s_cbranch_execz .LBB92_540
; %bb.537:
	v_cmp_ne_u32_e32 vcc, 25, v198
	s_xor_b64 s[18:19], s[14:15], -1
	s_and_b64 s[22:23], s[18:19], vcc
	s_and_saveexec_b64 s[18:19], s[22:23]
	s_cbranch_execz .LBB92_539
; %bb.538:
	v_ashrrev_i32_e32 v199, 31, v198
	v_lshl_add_u64 v[204:205], v[198:199], 2, v[196:197]
	global_load_dword v199, v[204:205], off
	global_load_dword v201, v[196:197], off offset:100
	s_waitcnt vmcnt(1)
	global_store_dword v[196:197], v199, off offset:100
	s_waitcnt vmcnt(1)
	global_store_dword v[204:205], v201, off
.LBB92_539:
	s_or_b64 exec, exec, s[18:19]
	v_mov_b32_e32 v201, v198
	v_mov_b32_e32 v203, v198
.LBB92_540:
	s_or_b64 exec, exec, s[16:17]
.LBB92_541:
	s_andn2_saveexec_b64 s[0:1], s[0:1]
	s_cbranch_execz .LBB92_543
; %bb.542:
	v_mov_b32_e32 v201, 25
	s_waitcnt vmcnt(20)
	ds_write2_b64 v200, v[76:77], v[78:79] offset0:52 offset1:53
	s_waitcnt vmcnt(19)
	ds_write2_b64 v200, v[72:73], v[74:75] offset0:54 offset1:55
	;; [unrolled: 2-line block ×21, first 2 shown]
.LBB92_543:
	s_or_b64 exec, exec, s[0:1]
	v_cmp_lt_i32_e32 vcc, 25, v201
	s_waitcnt lgkmcnt(0)
	s_barrier
	s_and_saveexec_b64 s[0:1], vcc
	s_cbranch_execz .LBB92_545
; %bb.544:
	ds_read2_b64 v[204:207], v200 offset0:52 offset1:53
	v_mul_f64 v[198:199], v[190:191], v[82:83]
	v_mul_f64 v[82:83], v[188:189], v[82:83]
	v_fmac_f64_e32 v[82:83], v[190:191], v[80:81]
	v_fma_f64 v[198:199], v[188:189], v[80:81], -v[198:199]
	ds_read2_b64 v[188:191], v200 offset0:54 offset1:55
	s_waitcnt lgkmcnt(1)
	v_mul_f64 v[80:81], v[206:207], v[82:83]
	v_fma_f64 v[80:81], v[204:205], v[198:199], -v[80:81]
	v_mul_f64 v[204:205], v[204:205], v[82:83]
	v_fmac_f64_e32 v[204:205], v[206:207], v[198:199]
	s_waitcnt vmcnt(20)
	v_add_f64 v[78:79], v[78:79], -v[204:205]
	ds_read2_b64 v[204:207], v200 offset0:56 offset1:57
	v_add_f64 v[76:77], v[76:77], -v[80:81]
	s_waitcnt lgkmcnt(1)
	v_mul_f64 v[80:81], v[190:191], v[82:83]
	v_fma_f64 v[80:81], v[188:189], v[198:199], -v[80:81]
	v_mul_f64 v[188:189], v[188:189], v[82:83]
	v_fmac_f64_e32 v[188:189], v[190:191], v[198:199]
	s_waitcnt vmcnt(19)
	v_add_f64 v[72:73], v[72:73], -v[80:81]
	v_add_f64 v[74:75], v[74:75], -v[188:189]
	ds_read2_b64 v[188:191], v200 offset0:58 offset1:59
	s_waitcnt lgkmcnt(1)
	v_mul_f64 v[80:81], v[206:207], v[82:83]
	v_fma_f64 v[80:81], v[204:205], v[198:199], -v[80:81]
	v_mul_f64 v[204:205], v[204:205], v[82:83]
	v_fmac_f64_e32 v[204:205], v[206:207], v[198:199]
	s_waitcnt vmcnt(18)
	v_add_f64 v[70:71], v[70:71], -v[204:205]
	ds_read2_b64 v[204:207], v200 offset0:60 offset1:61
	v_add_f64 v[68:69], v[68:69], -v[80:81]
	s_waitcnt lgkmcnt(1)
	v_mul_f64 v[80:81], v[190:191], v[82:83]
	v_fma_f64 v[80:81], v[188:189], v[198:199], -v[80:81]
	v_mul_f64 v[188:189], v[188:189], v[82:83]
	v_fmac_f64_e32 v[188:189], v[190:191], v[198:199]
	s_waitcnt vmcnt(17)
	v_add_f64 v[64:65], v[64:65], -v[80:81]
	v_add_f64 v[66:67], v[66:67], -v[188:189]
	;; [unrolled: 18-line block ×10, first 2 shown]
	s_waitcnt lgkmcnt(0)
	v_mul_f64 v[80:81], v[206:207], v[82:83]
	v_mul_f64 v[188:189], v[204:205], v[82:83]
	v_fma_f64 v[80:81], v[204:205], v[198:199], -v[80:81]
	v_fmac_f64_e32 v[188:189], v[206:207], v[198:199]
	s_waitcnt vmcnt(0)
	v_add_f64 v[184:185], v[184:185], -v[80:81]
	v_add_f64 v[186:187], v[186:187], -v[188:189]
	v_mov_b64_e32 v[80:81], v[198:199]
.LBB92_545:
	s_or_b64 exec, exec, s[0:1]
	v_lshl_add_u32 v188, v201, 4, v200
	s_barrier
	s_waitcnt vmcnt(20)
	ds_write2_b64 v188, v[76:77], v[78:79] offset1:1
	s_waitcnt lgkmcnt(0)
	s_barrier
	ds_read2_b64 v[188:191], v200 offset0:52 offset1:53
	s_cmp_lt_i32 s20, 28
	v_mov_b32_e32 v198, 26
	s_cbranch_scc1 .LBB92_548
; %bb.546:
	v_add_u32_e32 v199, 0x1b0, v200
	s_mov_b32 s16, 27
	v_mov_b32_e32 v198, 26
.LBB92_547:                             ; =>This Inner Loop Header: Depth=1
	ds_read2_b64 v[204:207], v199 offset1:1
	s_waitcnt lgkmcnt(1)
	v_xor_b32_e32 v209, 0x80000000, v189
	v_xor_b32_e32 v211, 0x80000000, v191
	v_cmp_gt_f64_e32 vcc, 0, v[190:191]
	v_cmp_gt_f64_e64 s[0:1], 0, v[188:189]
	v_mov_b32_e32 v208, v188
	v_mov_b32_e32 v210, v190
	v_cndmask_b32_e64 v209, v189, v209, s[0:1]
	v_cndmask_b32_e32 v211, v191, v211, vcc
	v_add_f64 v[208:209], v[208:209], v[210:211]
	s_waitcnt lgkmcnt(0)
	v_xor_b32_e32 v211, 0x80000000, v205
	v_xor_b32_e32 v213, 0x80000000, v207
	v_cmp_gt_f64_e32 vcc, 0, v[206:207]
	v_cmp_gt_f64_e64 s[0:1], 0, v[204:205]
	v_mov_b32_e32 v210, v204
	v_mov_b32_e32 v212, v206
	v_cndmask_b32_e64 v211, v205, v211, s[0:1]
	v_cndmask_b32_e32 v213, v207, v213, vcc
	v_add_f64 v[210:211], v[210:211], v[212:213]
	v_mov_b32_e32 v214, s16
	s_add_i32 s16, s16, 1
	v_cmp_lt_f64_e32 vcc, v[208:209], v[210:211]
	v_add_u32_e32 v199, 16, v199
	s_cmp_lg_u32 s20, s16
	v_cndmask_b32_e32 v189, v189, v205, vcc
	v_cndmask_b32_e32 v188, v188, v204, vcc
	v_cndmask_b32_e32 v191, v191, v207, vcc
	v_cndmask_b32_e32 v190, v190, v206, vcc
	v_cndmask_b32_e32 v198, v198, v214, vcc
	s_cbranch_scc1 .LBB92_547
.LBB92_548:
	s_waitcnt lgkmcnt(0)
	v_cmp_eq_f64_e32 vcc, 0, v[188:189]
	v_cmp_eq_f64_e64 s[0:1], 0, v[190:191]
	s_and_b64 s[0:1], vcc, s[0:1]
	s_and_saveexec_b64 s[16:17], s[0:1]
	s_xor_b64 s[0:1], exec, s[16:17]
; %bb.549:
	v_cmp_ne_u32_e32 vcc, 0, v202
	s_nop 1
	v_cndmask_b32_e32 v202, 27, v202, vcc
; %bb.550:
	s_andn2_saveexec_b64 s[0:1], s[0:1]
	s_cbranch_execz .LBB92_556
; %bb.551:
	v_cmp_ngt_f64_e64 s[16:17], |v[188:189]|, |v[190:191]|
	s_and_saveexec_b64 s[18:19], s[16:17]
	s_xor_b64 s[16:17], exec, s[18:19]
	s_cbranch_execz .LBB92_553
; %bb.552:
	v_div_scale_f64 v[204:205], s[18:19], v[190:191], v[190:191], v[188:189]
	v_rcp_f64_e32 v[206:207], v[204:205]
	v_div_scale_f64 v[208:209], vcc, v[188:189], v[190:191], v[188:189]
	v_fma_f64 v[210:211], -v[204:205], v[206:207], 1.0
	v_fmac_f64_e32 v[206:207], v[206:207], v[210:211]
	v_fma_f64 v[210:211], -v[204:205], v[206:207], 1.0
	v_fmac_f64_e32 v[206:207], v[206:207], v[210:211]
	v_mul_f64 v[210:211], v[208:209], v[206:207]
	v_fma_f64 v[204:205], -v[204:205], v[210:211], v[208:209]
	v_div_fmas_f64 v[204:205], v[204:205], v[206:207], v[210:211]
	v_div_fixup_f64 v[204:205], v[204:205], v[190:191], v[188:189]
	v_fmac_f64_e32 v[190:191], v[188:189], v[204:205]
	v_div_scale_f64 v[188:189], s[18:19], v[190:191], v[190:191], 1.0
	v_rcp_f64_e32 v[206:207], v[188:189]
	s_nop 0
	v_fma_f64 v[208:209], -v[188:189], v[206:207], 1.0
	v_fmac_f64_e32 v[206:207], v[206:207], v[208:209]
	v_fma_f64 v[208:209], -v[188:189], v[206:207], 1.0
	v_fmac_f64_e32 v[206:207], v[206:207], v[208:209]
	v_div_scale_f64 v[208:209], vcc, 1.0, v[190:191], 1.0
	v_mul_f64 v[210:211], v[208:209], v[206:207]
	v_fma_f64 v[188:189], -v[188:189], v[210:211], v[208:209]
	s_nop 1
	v_div_fmas_f64 v[188:189], v[188:189], v[206:207], v[210:211]
	v_div_fixup_f64 v[190:191], v[188:189], v[190:191], 1.0
	v_mul_f64 v[188:189], v[204:205], v[190:191]
	v_xor_b32_e32 v191, 0x80000000, v191
.LBB92_553:
	s_andn2_saveexec_b64 s[16:17], s[16:17]
	s_cbranch_execz .LBB92_555
; %bb.554:
	v_div_scale_f64 v[204:205], s[18:19], v[188:189], v[188:189], v[190:191]
	v_rcp_f64_e32 v[206:207], v[204:205]
	v_div_scale_f64 v[208:209], vcc, v[190:191], v[188:189], v[190:191]
	v_fma_f64 v[210:211], -v[204:205], v[206:207], 1.0
	v_fmac_f64_e32 v[206:207], v[206:207], v[210:211]
	v_fma_f64 v[210:211], -v[204:205], v[206:207], 1.0
	v_fmac_f64_e32 v[206:207], v[206:207], v[210:211]
	v_mul_f64 v[210:211], v[208:209], v[206:207]
	v_fma_f64 v[204:205], -v[204:205], v[210:211], v[208:209]
	v_div_fmas_f64 v[204:205], v[204:205], v[206:207], v[210:211]
	v_div_fixup_f64 v[204:205], v[204:205], v[188:189], v[190:191]
	v_fmac_f64_e32 v[188:189], v[190:191], v[204:205]
	v_div_scale_f64 v[190:191], s[18:19], v[188:189], v[188:189], 1.0
	v_rcp_f64_e32 v[206:207], v[190:191]
	s_nop 0
	v_fma_f64 v[208:209], -v[190:191], v[206:207], 1.0
	v_fmac_f64_e32 v[206:207], v[206:207], v[208:209]
	v_fma_f64 v[208:209], -v[190:191], v[206:207], 1.0
	v_fmac_f64_e32 v[206:207], v[206:207], v[208:209]
	v_div_scale_f64 v[208:209], vcc, 1.0, v[188:189], 1.0
	v_mul_f64 v[210:211], v[208:209], v[206:207]
	v_fma_f64 v[190:191], -v[190:191], v[210:211], v[208:209]
	s_nop 1
	v_div_fmas_f64 v[190:191], v[190:191], v[206:207], v[210:211]
	v_div_fixup_f64 v[188:189], v[190:191], v[188:189], 1.0
	v_mul_f64 v[190:191], v[204:205], -v[188:189]
.LBB92_555:
	s_or_b64 exec, exec, s[16:17]
.LBB92_556:
	s_or_b64 exec, exec, s[0:1]
	v_cmp_ne_u32_e32 vcc, v201, v198
	s_and_saveexec_b64 s[0:1], vcc
	s_xor_b64 s[0:1], exec, s[0:1]
	s_cbranch_execz .LBB92_562
; %bb.557:
	v_cmp_eq_u32_e32 vcc, 26, v201
	s_and_saveexec_b64 s[16:17], vcc
	s_cbranch_execz .LBB92_561
; %bb.558:
	v_cmp_ne_u32_e32 vcc, 26, v198
	s_xor_b64 s[18:19], s[14:15], -1
	s_and_b64 s[22:23], s[18:19], vcc
	s_and_saveexec_b64 s[18:19], s[22:23]
	s_cbranch_execz .LBB92_560
; %bb.559:
	v_ashrrev_i32_e32 v199, 31, v198
	v_lshl_add_u64 v[204:205], v[198:199], 2, v[196:197]
	global_load_dword v199, v[204:205], off
	global_load_dword v201, v[196:197], off offset:104
	s_waitcnt vmcnt(1)
	global_store_dword v[196:197], v199, off offset:104
	s_waitcnt vmcnt(1)
	global_store_dword v[204:205], v201, off
.LBB92_560:
	s_or_b64 exec, exec, s[18:19]
	v_mov_b32_e32 v201, v198
	v_mov_b32_e32 v203, v198
.LBB92_561:
	s_or_b64 exec, exec, s[16:17]
.LBB92_562:
	s_andn2_saveexec_b64 s[0:1], s[0:1]
	s_cbranch_execz .LBB92_564
; %bb.563:
	v_mov_b32_e32 v201, 26
	s_waitcnt vmcnt(19)
	ds_write2_b64 v200, v[72:73], v[74:75] offset0:54 offset1:55
	s_waitcnt vmcnt(18)
	ds_write2_b64 v200, v[68:69], v[70:71] offset0:56 offset1:57
	;; [unrolled: 2-line block ×20, first 2 shown]
.LBB92_564:
	s_or_b64 exec, exec, s[0:1]
	v_cmp_lt_i32_e32 vcc, 26, v201
	s_waitcnt lgkmcnt(0)
	s_barrier
	s_and_saveexec_b64 s[0:1], vcc
	s_cbranch_execz .LBB92_566
; %bb.565:
	ds_read2_b64 v[204:207], v200 offset0:54 offset1:55
	v_mul_f64 v[198:199], v[190:191], v[78:79]
	v_mul_f64 v[78:79], v[188:189], v[78:79]
	v_fma_f64 v[198:199], v[188:189], v[76:77], -v[198:199]
	v_fmac_f64_e32 v[78:79], v[190:191], v[76:77]
	ds_read2_b64 v[188:191], v200 offset0:56 offset1:57
	s_waitcnt lgkmcnt(1)
	v_mul_f64 v[76:77], v[206:207], v[78:79]
	v_fma_f64 v[76:77], v[204:205], v[198:199], -v[76:77]
	v_mul_f64 v[204:205], v[204:205], v[78:79]
	v_fmac_f64_e32 v[204:205], v[206:207], v[198:199]
	s_waitcnt vmcnt(19)
	v_add_f64 v[72:73], v[72:73], -v[76:77]
	s_waitcnt lgkmcnt(0)
	v_mul_f64 v[76:77], v[190:191], v[78:79]
	v_add_f64 v[74:75], v[74:75], -v[204:205]
	v_fma_f64 v[76:77], v[188:189], v[198:199], -v[76:77]
	v_mul_f64 v[188:189], v[188:189], v[78:79]
	ds_read2_b64 v[204:207], v200 offset0:58 offset1:59
	v_fmac_f64_e32 v[188:189], v[190:191], v[198:199]
	s_waitcnt vmcnt(18)
	v_add_f64 v[70:71], v[70:71], -v[188:189]
	ds_read2_b64 v[188:191], v200 offset0:60 offset1:61
	v_add_f64 v[68:69], v[68:69], -v[76:77]
	s_waitcnt lgkmcnt(1)
	v_mul_f64 v[76:77], v[206:207], v[78:79]
	v_fma_f64 v[76:77], v[204:205], v[198:199], -v[76:77]
	v_mul_f64 v[204:205], v[204:205], v[78:79]
	v_fmac_f64_e32 v[204:205], v[206:207], v[198:199]
	s_waitcnt vmcnt(17)
	v_add_f64 v[64:65], v[64:65], -v[76:77]
	s_waitcnt lgkmcnt(0)
	v_mul_f64 v[76:77], v[190:191], v[78:79]
	v_add_f64 v[66:67], v[66:67], -v[204:205]
	v_fma_f64 v[76:77], v[188:189], v[198:199], -v[76:77]
	v_mul_f64 v[188:189], v[188:189], v[78:79]
	ds_read2_b64 v[204:207], v200 offset0:62 offset1:63
	v_fmac_f64_e32 v[188:189], v[190:191], v[198:199]
	s_waitcnt vmcnt(16)
	v_add_f64 v[62:63], v[62:63], -v[188:189]
	ds_read2_b64 v[188:191], v200 offset0:64 offset1:65
	v_add_f64 v[60:61], v[60:61], -v[76:77]
	;; [unrolled: 18-line block ×9, first 2 shown]
	s_waitcnt lgkmcnt(1)
	v_mul_f64 v[76:77], v[206:207], v[78:79]
	v_fma_f64 v[76:77], v[204:205], v[198:199], -v[76:77]
	s_waitcnt vmcnt(1)
	v_add_f64 v[0:1], v[0:1], -v[76:77]
	s_waitcnt lgkmcnt(0)
	v_mul_f64 v[76:77], v[190:191], v[78:79]
	v_mul_f64 v[204:205], v[204:205], v[78:79]
	v_fma_f64 v[76:77], v[188:189], v[198:199], -v[76:77]
	v_mul_f64 v[188:189], v[188:189], v[78:79]
	v_fmac_f64_e32 v[204:205], v[206:207], v[198:199]
	v_fmac_f64_e32 v[188:189], v[190:191], v[198:199]
	v_add_f64 v[2:3], v[2:3], -v[204:205]
	s_waitcnt vmcnt(0)
	v_add_f64 v[184:185], v[184:185], -v[76:77]
	v_add_f64 v[186:187], v[186:187], -v[188:189]
	v_mov_b64_e32 v[76:77], v[198:199]
.LBB92_566:
	s_or_b64 exec, exec, s[0:1]
	v_lshl_add_u32 v188, v201, 4, v200
	s_barrier
	s_waitcnt vmcnt(19)
	ds_write2_b64 v188, v[72:73], v[74:75] offset1:1
	s_waitcnt lgkmcnt(0)
	s_barrier
	ds_read2_b64 v[188:191], v200 offset0:54 offset1:55
	s_cmp_lt_i32 s20, 29
	v_mov_b32_e32 v198, 27
	s_cbranch_scc1 .LBB92_569
; %bb.567:
	v_add_u32_e32 v199, 0x1c0, v200
	s_mov_b32 s16, 28
	v_mov_b32_e32 v198, 27
.LBB92_568:                             ; =>This Inner Loop Header: Depth=1
	ds_read2_b64 v[204:207], v199 offset1:1
	s_waitcnt lgkmcnt(1)
	v_xor_b32_e32 v209, 0x80000000, v189
	v_xor_b32_e32 v211, 0x80000000, v191
	v_cmp_gt_f64_e32 vcc, 0, v[190:191]
	v_cmp_gt_f64_e64 s[0:1], 0, v[188:189]
	v_mov_b32_e32 v208, v188
	v_mov_b32_e32 v210, v190
	v_cndmask_b32_e64 v209, v189, v209, s[0:1]
	v_cndmask_b32_e32 v211, v191, v211, vcc
	v_add_f64 v[208:209], v[208:209], v[210:211]
	s_waitcnt lgkmcnt(0)
	v_xor_b32_e32 v211, 0x80000000, v205
	v_xor_b32_e32 v213, 0x80000000, v207
	v_cmp_gt_f64_e32 vcc, 0, v[206:207]
	v_cmp_gt_f64_e64 s[0:1], 0, v[204:205]
	v_mov_b32_e32 v210, v204
	v_mov_b32_e32 v212, v206
	v_cndmask_b32_e64 v211, v205, v211, s[0:1]
	v_cndmask_b32_e32 v213, v207, v213, vcc
	v_add_f64 v[210:211], v[210:211], v[212:213]
	v_mov_b32_e32 v214, s16
	s_add_i32 s16, s16, 1
	v_cmp_lt_f64_e32 vcc, v[208:209], v[210:211]
	v_add_u32_e32 v199, 16, v199
	s_cmp_lg_u32 s20, s16
	v_cndmask_b32_e32 v189, v189, v205, vcc
	v_cndmask_b32_e32 v188, v188, v204, vcc
	;; [unrolled: 1-line block ×5, first 2 shown]
	s_cbranch_scc1 .LBB92_568
.LBB92_569:
	s_waitcnt lgkmcnt(0)
	v_cmp_eq_f64_e32 vcc, 0, v[188:189]
	v_cmp_eq_f64_e64 s[0:1], 0, v[190:191]
	s_and_b64 s[0:1], vcc, s[0:1]
	s_and_saveexec_b64 s[16:17], s[0:1]
	s_xor_b64 s[0:1], exec, s[16:17]
; %bb.570:
	v_cmp_ne_u32_e32 vcc, 0, v202
	s_nop 1
	v_cndmask_b32_e32 v202, 28, v202, vcc
; %bb.571:
	s_andn2_saveexec_b64 s[0:1], s[0:1]
	s_cbranch_execz .LBB92_577
; %bb.572:
	v_cmp_ngt_f64_e64 s[16:17], |v[188:189]|, |v[190:191]|
	s_and_saveexec_b64 s[18:19], s[16:17]
	s_xor_b64 s[16:17], exec, s[18:19]
	s_cbranch_execz .LBB92_574
; %bb.573:
	v_div_scale_f64 v[204:205], s[18:19], v[190:191], v[190:191], v[188:189]
	v_rcp_f64_e32 v[206:207], v[204:205]
	v_div_scale_f64 v[208:209], vcc, v[188:189], v[190:191], v[188:189]
	v_fma_f64 v[210:211], -v[204:205], v[206:207], 1.0
	v_fmac_f64_e32 v[206:207], v[206:207], v[210:211]
	v_fma_f64 v[210:211], -v[204:205], v[206:207], 1.0
	v_fmac_f64_e32 v[206:207], v[206:207], v[210:211]
	v_mul_f64 v[210:211], v[208:209], v[206:207]
	v_fma_f64 v[204:205], -v[204:205], v[210:211], v[208:209]
	v_div_fmas_f64 v[204:205], v[204:205], v[206:207], v[210:211]
	v_div_fixup_f64 v[204:205], v[204:205], v[190:191], v[188:189]
	v_fmac_f64_e32 v[190:191], v[188:189], v[204:205]
	v_div_scale_f64 v[188:189], s[18:19], v[190:191], v[190:191], 1.0
	v_rcp_f64_e32 v[206:207], v[188:189]
	s_nop 0
	v_fma_f64 v[208:209], -v[188:189], v[206:207], 1.0
	v_fmac_f64_e32 v[206:207], v[206:207], v[208:209]
	v_fma_f64 v[208:209], -v[188:189], v[206:207], 1.0
	v_fmac_f64_e32 v[206:207], v[206:207], v[208:209]
	v_div_scale_f64 v[208:209], vcc, 1.0, v[190:191], 1.0
	v_mul_f64 v[210:211], v[208:209], v[206:207]
	v_fma_f64 v[188:189], -v[188:189], v[210:211], v[208:209]
	s_nop 1
	v_div_fmas_f64 v[188:189], v[188:189], v[206:207], v[210:211]
	v_div_fixup_f64 v[190:191], v[188:189], v[190:191], 1.0
	v_mul_f64 v[188:189], v[204:205], v[190:191]
	v_xor_b32_e32 v191, 0x80000000, v191
.LBB92_574:
	s_andn2_saveexec_b64 s[16:17], s[16:17]
	s_cbranch_execz .LBB92_576
; %bb.575:
	v_div_scale_f64 v[204:205], s[18:19], v[188:189], v[188:189], v[190:191]
	v_rcp_f64_e32 v[206:207], v[204:205]
	v_div_scale_f64 v[208:209], vcc, v[190:191], v[188:189], v[190:191]
	v_fma_f64 v[210:211], -v[204:205], v[206:207], 1.0
	v_fmac_f64_e32 v[206:207], v[206:207], v[210:211]
	v_fma_f64 v[210:211], -v[204:205], v[206:207], 1.0
	v_fmac_f64_e32 v[206:207], v[206:207], v[210:211]
	v_mul_f64 v[210:211], v[208:209], v[206:207]
	v_fma_f64 v[204:205], -v[204:205], v[210:211], v[208:209]
	v_div_fmas_f64 v[204:205], v[204:205], v[206:207], v[210:211]
	v_div_fixup_f64 v[204:205], v[204:205], v[188:189], v[190:191]
	v_fmac_f64_e32 v[188:189], v[190:191], v[204:205]
	v_div_scale_f64 v[190:191], s[18:19], v[188:189], v[188:189], 1.0
	v_rcp_f64_e32 v[206:207], v[190:191]
	s_nop 0
	v_fma_f64 v[208:209], -v[190:191], v[206:207], 1.0
	v_fmac_f64_e32 v[206:207], v[206:207], v[208:209]
	v_fma_f64 v[208:209], -v[190:191], v[206:207], 1.0
	v_fmac_f64_e32 v[206:207], v[206:207], v[208:209]
	v_div_scale_f64 v[208:209], vcc, 1.0, v[188:189], 1.0
	v_mul_f64 v[210:211], v[208:209], v[206:207]
	v_fma_f64 v[190:191], -v[190:191], v[210:211], v[208:209]
	s_nop 1
	v_div_fmas_f64 v[190:191], v[190:191], v[206:207], v[210:211]
	v_div_fixup_f64 v[188:189], v[190:191], v[188:189], 1.0
	v_mul_f64 v[190:191], v[204:205], -v[188:189]
.LBB92_576:
	s_or_b64 exec, exec, s[16:17]
.LBB92_577:
	s_or_b64 exec, exec, s[0:1]
	v_cmp_ne_u32_e32 vcc, v201, v198
	s_and_saveexec_b64 s[0:1], vcc
	s_xor_b64 s[0:1], exec, s[0:1]
	s_cbranch_execz .LBB92_583
; %bb.578:
	v_cmp_eq_u32_e32 vcc, 27, v201
	s_and_saveexec_b64 s[16:17], vcc
	s_cbranch_execz .LBB92_582
; %bb.579:
	v_cmp_ne_u32_e32 vcc, 27, v198
	s_xor_b64 s[18:19], s[14:15], -1
	s_and_b64 s[22:23], s[18:19], vcc
	s_and_saveexec_b64 s[18:19], s[22:23]
	s_cbranch_execz .LBB92_581
; %bb.580:
	v_ashrrev_i32_e32 v199, 31, v198
	v_lshl_add_u64 v[204:205], v[198:199], 2, v[196:197]
	global_load_dword v199, v[204:205], off
	global_load_dword v201, v[196:197], off offset:108
	s_waitcnt vmcnt(1)
	global_store_dword v[196:197], v199, off offset:108
	s_waitcnt vmcnt(1)
	global_store_dword v[204:205], v201, off
.LBB92_581:
	s_or_b64 exec, exec, s[18:19]
	v_mov_b32_e32 v201, v198
	v_mov_b32_e32 v203, v198
.LBB92_582:
	s_or_b64 exec, exec, s[16:17]
.LBB92_583:
	s_andn2_saveexec_b64 s[0:1], s[0:1]
	s_cbranch_execz .LBB92_585
; %bb.584:
	v_mov_b32_e32 v201, 27
	s_waitcnt vmcnt(18)
	ds_write2_b64 v200, v[68:69], v[70:71] offset0:56 offset1:57
	s_waitcnt vmcnt(17)
	ds_write2_b64 v200, v[64:65], v[66:67] offset0:58 offset1:59
	;; [unrolled: 2-line block ×19, first 2 shown]
.LBB92_585:
	s_or_b64 exec, exec, s[0:1]
	v_cmp_lt_i32_e32 vcc, 27, v201
	s_waitcnt lgkmcnt(0)
	s_barrier
	s_and_saveexec_b64 s[0:1], vcc
	s_cbranch_execz .LBB92_587
; %bb.586:
	ds_read2_b64 v[204:207], v200 offset0:56 offset1:57
	v_mul_f64 v[198:199], v[190:191], v[74:75]
	v_mul_f64 v[74:75], v[188:189], v[74:75]
	v_fmac_f64_e32 v[74:75], v[190:191], v[72:73]
	v_fma_f64 v[198:199], v[188:189], v[72:73], -v[198:199]
	ds_read2_b64 v[188:191], v200 offset0:58 offset1:59
	s_waitcnt lgkmcnt(1)
	v_mul_f64 v[72:73], v[206:207], v[74:75]
	v_fma_f64 v[72:73], v[204:205], v[198:199], -v[72:73]
	v_mul_f64 v[204:205], v[204:205], v[74:75]
	v_fmac_f64_e32 v[204:205], v[206:207], v[198:199]
	s_waitcnt vmcnt(18)
	v_add_f64 v[70:71], v[70:71], -v[204:205]
	ds_read2_b64 v[204:207], v200 offset0:60 offset1:61
	v_add_f64 v[68:69], v[68:69], -v[72:73]
	s_waitcnt lgkmcnt(1)
	v_mul_f64 v[72:73], v[190:191], v[74:75]
	v_fma_f64 v[72:73], v[188:189], v[198:199], -v[72:73]
	v_mul_f64 v[188:189], v[188:189], v[74:75]
	v_fmac_f64_e32 v[188:189], v[190:191], v[198:199]
	s_waitcnt vmcnt(17)
	v_add_f64 v[64:65], v[64:65], -v[72:73]
	v_add_f64 v[66:67], v[66:67], -v[188:189]
	ds_read2_b64 v[188:191], v200 offset0:62 offset1:63
	s_waitcnt lgkmcnt(1)
	v_mul_f64 v[72:73], v[206:207], v[74:75]
	v_fma_f64 v[72:73], v[204:205], v[198:199], -v[72:73]
	v_mul_f64 v[204:205], v[204:205], v[74:75]
	v_fmac_f64_e32 v[204:205], v[206:207], v[198:199]
	s_waitcnt vmcnt(16)
	v_add_f64 v[62:63], v[62:63], -v[204:205]
	ds_read2_b64 v[204:207], v200 offset0:64 offset1:65
	v_add_f64 v[60:61], v[60:61], -v[72:73]
	s_waitcnt lgkmcnt(1)
	v_mul_f64 v[72:73], v[190:191], v[74:75]
	v_fma_f64 v[72:73], v[188:189], v[198:199], -v[72:73]
	v_mul_f64 v[188:189], v[188:189], v[74:75]
	v_fmac_f64_e32 v[188:189], v[190:191], v[198:199]
	s_waitcnt vmcnt(15)
	v_add_f64 v[56:57], v[56:57], -v[72:73]
	v_add_f64 v[58:59], v[58:59], -v[188:189]
	;; [unrolled: 18-line block ×9, first 2 shown]
	s_waitcnt lgkmcnt(0)
	v_mul_f64 v[72:73], v[206:207], v[74:75]
	v_mul_f64 v[188:189], v[204:205], v[74:75]
	v_fma_f64 v[72:73], v[204:205], v[198:199], -v[72:73]
	v_fmac_f64_e32 v[188:189], v[206:207], v[198:199]
	s_waitcnt vmcnt(0)
	v_add_f64 v[184:185], v[184:185], -v[72:73]
	v_add_f64 v[186:187], v[186:187], -v[188:189]
	v_mov_b64_e32 v[72:73], v[198:199]
.LBB92_587:
	s_or_b64 exec, exec, s[0:1]
	v_lshl_add_u32 v188, v201, 4, v200
	s_barrier
	s_waitcnt vmcnt(18)
	ds_write2_b64 v188, v[68:69], v[70:71] offset1:1
	s_waitcnt lgkmcnt(0)
	s_barrier
	ds_read2_b64 v[188:191], v200 offset0:56 offset1:57
	s_cmp_lt_i32 s20, 30
	v_mov_b32_e32 v198, 28
	s_cbranch_scc1 .LBB92_590
; %bb.588:
	v_add_u32_e32 v199, 0x1d0, v200
	s_mov_b32 s16, 29
	v_mov_b32_e32 v198, 28
.LBB92_589:                             ; =>This Inner Loop Header: Depth=1
	ds_read2_b64 v[204:207], v199 offset1:1
	s_waitcnt lgkmcnt(1)
	v_xor_b32_e32 v209, 0x80000000, v189
	v_xor_b32_e32 v211, 0x80000000, v191
	v_cmp_gt_f64_e32 vcc, 0, v[190:191]
	v_cmp_gt_f64_e64 s[0:1], 0, v[188:189]
	v_mov_b32_e32 v208, v188
	v_mov_b32_e32 v210, v190
	v_cndmask_b32_e64 v209, v189, v209, s[0:1]
	v_cndmask_b32_e32 v211, v191, v211, vcc
	v_add_f64 v[208:209], v[208:209], v[210:211]
	s_waitcnt lgkmcnt(0)
	v_xor_b32_e32 v211, 0x80000000, v205
	v_xor_b32_e32 v213, 0x80000000, v207
	v_cmp_gt_f64_e32 vcc, 0, v[206:207]
	v_cmp_gt_f64_e64 s[0:1], 0, v[204:205]
	v_mov_b32_e32 v210, v204
	v_mov_b32_e32 v212, v206
	v_cndmask_b32_e64 v211, v205, v211, s[0:1]
	v_cndmask_b32_e32 v213, v207, v213, vcc
	v_add_f64 v[210:211], v[210:211], v[212:213]
	v_mov_b32_e32 v214, s16
	s_add_i32 s16, s16, 1
	v_cmp_lt_f64_e32 vcc, v[208:209], v[210:211]
	v_add_u32_e32 v199, 16, v199
	s_cmp_lg_u32 s20, s16
	v_cndmask_b32_e32 v189, v189, v205, vcc
	v_cndmask_b32_e32 v188, v188, v204, vcc
	;; [unrolled: 1-line block ×5, first 2 shown]
	s_cbranch_scc1 .LBB92_589
.LBB92_590:
	s_waitcnt lgkmcnt(0)
	v_cmp_eq_f64_e32 vcc, 0, v[188:189]
	v_cmp_eq_f64_e64 s[0:1], 0, v[190:191]
	s_and_b64 s[0:1], vcc, s[0:1]
	s_and_saveexec_b64 s[16:17], s[0:1]
	s_xor_b64 s[0:1], exec, s[16:17]
; %bb.591:
	v_cmp_ne_u32_e32 vcc, 0, v202
	s_nop 1
	v_cndmask_b32_e32 v202, 29, v202, vcc
; %bb.592:
	s_andn2_saveexec_b64 s[0:1], s[0:1]
	s_cbranch_execz .LBB92_598
; %bb.593:
	v_cmp_ngt_f64_e64 s[16:17], |v[188:189]|, |v[190:191]|
	s_and_saveexec_b64 s[18:19], s[16:17]
	s_xor_b64 s[16:17], exec, s[18:19]
	s_cbranch_execz .LBB92_595
; %bb.594:
	v_div_scale_f64 v[204:205], s[18:19], v[190:191], v[190:191], v[188:189]
	v_rcp_f64_e32 v[206:207], v[204:205]
	v_div_scale_f64 v[208:209], vcc, v[188:189], v[190:191], v[188:189]
	v_fma_f64 v[210:211], -v[204:205], v[206:207], 1.0
	v_fmac_f64_e32 v[206:207], v[206:207], v[210:211]
	v_fma_f64 v[210:211], -v[204:205], v[206:207], 1.0
	v_fmac_f64_e32 v[206:207], v[206:207], v[210:211]
	v_mul_f64 v[210:211], v[208:209], v[206:207]
	v_fma_f64 v[204:205], -v[204:205], v[210:211], v[208:209]
	v_div_fmas_f64 v[204:205], v[204:205], v[206:207], v[210:211]
	v_div_fixup_f64 v[204:205], v[204:205], v[190:191], v[188:189]
	v_fmac_f64_e32 v[190:191], v[188:189], v[204:205]
	v_div_scale_f64 v[188:189], s[18:19], v[190:191], v[190:191], 1.0
	v_rcp_f64_e32 v[206:207], v[188:189]
	s_nop 0
	v_fma_f64 v[208:209], -v[188:189], v[206:207], 1.0
	v_fmac_f64_e32 v[206:207], v[206:207], v[208:209]
	v_fma_f64 v[208:209], -v[188:189], v[206:207], 1.0
	v_fmac_f64_e32 v[206:207], v[206:207], v[208:209]
	v_div_scale_f64 v[208:209], vcc, 1.0, v[190:191], 1.0
	v_mul_f64 v[210:211], v[208:209], v[206:207]
	v_fma_f64 v[188:189], -v[188:189], v[210:211], v[208:209]
	s_nop 1
	v_div_fmas_f64 v[188:189], v[188:189], v[206:207], v[210:211]
	v_div_fixup_f64 v[190:191], v[188:189], v[190:191], 1.0
	v_mul_f64 v[188:189], v[204:205], v[190:191]
	v_xor_b32_e32 v191, 0x80000000, v191
.LBB92_595:
	s_andn2_saveexec_b64 s[16:17], s[16:17]
	s_cbranch_execz .LBB92_597
; %bb.596:
	v_div_scale_f64 v[204:205], s[18:19], v[188:189], v[188:189], v[190:191]
	v_rcp_f64_e32 v[206:207], v[204:205]
	v_div_scale_f64 v[208:209], vcc, v[190:191], v[188:189], v[190:191]
	v_fma_f64 v[210:211], -v[204:205], v[206:207], 1.0
	v_fmac_f64_e32 v[206:207], v[206:207], v[210:211]
	v_fma_f64 v[210:211], -v[204:205], v[206:207], 1.0
	v_fmac_f64_e32 v[206:207], v[206:207], v[210:211]
	v_mul_f64 v[210:211], v[208:209], v[206:207]
	v_fma_f64 v[204:205], -v[204:205], v[210:211], v[208:209]
	v_div_fmas_f64 v[204:205], v[204:205], v[206:207], v[210:211]
	v_div_fixup_f64 v[204:205], v[204:205], v[188:189], v[190:191]
	v_fmac_f64_e32 v[188:189], v[190:191], v[204:205]
	v_div_scale_f64 v[190:191], s[18:19], v[188:189], v[188:189], 1.0
	v_rcp_f64_e32 v[206:207], v[190:191]
	s_nop 0
	v_fma_f64 v[208:209], -v[190:191], v[206:207], 1.0
	v_fmac_f64_e32 v[206:207], v[206:207], v[208:209]
	v_fma_f64 v[208:209], -v[190:191], v[206:207], 1.0
	v_fmac_f64_e32 v[206:207], v[206:207], v[208:209]
	v_div_scale_f64 v[208:209], vcc, 1.0, v[188:189], 1.0
	v_mul_f64 v[210:211], v[208:209], v[206:207]
	v_fma_f64 v[190:191], -v[190:191], v[210:211], v[208:209]
	s_nop 1
	v_div_fmas_f64 v[190:191], v[190:191], v[206:207], v[210:211]
	v_div_fixup_f64 v[188:189], v[190:191], v[188:189], 1.0
	v_mul_f64 v[190:191], v[204:205], -v[188:189]
.LBB92_597:
	s_or_b64 exec, exec, s[16:17]
.LBB92_598:
	s_or_b64 exec, exec, s[0:1]
	v_cmp_ne_u32_e32 vcc, v201, v198
	s_and_saveexec_b64 s[0:1], vcc
	s_xor_b64 s[0:1], exec, s[0:1]
	s_cbranch_execz .LBB92_604
; %bb.599:
	v_cmp_eq_u32_e32 vcc, 28, v201
	s_and_saveexec_b64 s[16:17], vcc
	s_cbranch_execz .LBB92_603
; %bb.600:
	v_cmp_ne_u32_e32 vcc, 28, v198
	s_xor_b64 s[18:19], s[14:15], -1
	s_and_b64 s[22:23], s[18:19], vcc
	s_and_saveexec_b64 s[18:19], s[22:23]
	s_cbranch_execz .LBB92_602
; %bb.601:
	v_ashrrev_i32_e32 v199, 31, v198
	v_lshl_add_u64 v[204:205], v[198:199], 2, v[196:197]
	global_load_dword v199, v[204:205], off
	global_load_dword v201, v[196:197], off offset:112
	s_waitcnt vmcnt(1)
	global_store_dword v[196:197], v199, off offset:112
	s_waitcnt vmcnt(1)
	global_store_dword v[204:205], v201, off
.LBB92_602:
	s_or_b64 exec, exec, s[18:19]
	v_mov_b32_e32 v201, v198
	v_mov_b32_e32 v203, v198
.LBB92_603:
	s_or_b64 exec, exec, s[16:17]
.LBB92_604:
	s_andn2_saveexec_b64 s[0:1], s[0:1]
	s_cbranch_execz .LBB92_606
; %bb.605:
	v_mov_b32_e32 v201, 28
	s_waitcnt vmcnt(17)
	ds_write2_b64 v200, v[64:65], v[66:67] offset0:58 offset1:59
	s_waitcnt vmcnt(16)
	ds_write2_b64 v200, v[60:61], v[62:63] offset0:60 offset1:61
	;; [unrolled: 2-line block ×18, first 2 shown]
.LBB92_606:
	s_or_b64 exec, exec, s[0:1]
	v_cmp_lt_i32_e32 vcc, 28, v201
	s_waitcnt lgkmcnt(0)
	s_barrier
	s_and_saveexec_b64 s[0:1], vcc
	s_cbranch_execz .LBB92_608
; %bb.607:
	ds_read2_b64 v[204:207], v200 offset0:58 offset1:59
	v_mul_f64 v[198:199], v[190:191], v[70:71]
	v_mul_f64 v[70:71], v[188:189], v[70:71]
	v_fma_f64 v[198:199], v[188:189], v[68:69], -v[198:199]
	v_fmac_f64_e32 v[70:71], v[190:191], v[68:69]
	ds_read2_b64 v[188:191], v200 offset0:60 offset1:61
	s_waitcnt lgkmcnt(1)
	v_mul_f64 v[68:69], v[206:207], v[70:71]
	v_fma_f64 v[68:69], v[204:205], v[198:199], -v[68:69]
	v_mul_f64 v[204:205], v[204:205], v[70:71]
	v_fmac_f64_e32 v[204:205], v[206:207], v[198:199]
	s_waitcnt vmcnt(17)
	v_add_f64 v[64:65], v[64:65], -v[68:69]
	s_waitcnt lgkmcnt(0)
	v_mul_f64 v[68:69], v[190:191], v[70:71]
	v_add_f64 v[66:67], v[66:67], -v[204:205]
	v_fma_f64 v[68:69], v[188:189], v[198:199], -v[68:69]
	v_mul_f64 v[188:189], v[188:189], v[70:71]
	ds_read2_b64 v[204:207], v200 offset0:62 offset1:63
	v_fmac_f64_e32 v[188:189], v[190:191], v[198:199]
	s_waitcnt vmcnt(16)
	v_add_f64 v[62:63], v[62:63], -v[188:189]
	ds_read2_b64 v[188:191], v200 offset0:64 offset1:65
	v_add_f64 v[60:61], v[60:61], -v[68:69]
	s_waitcnt lgkmcnt(1)
	v_mul_f64 v[68:69], v[206:207], v[70:71]
	v_fma_f64 v[68:69], v[204:205], v[198:199], -v[68:69]
	v_mul_f64 v[204:205], v[204:205], v[70:71]
	v_fmac_f64_e32 v[204:205], v[206:207], v[198:199]
	s_waitcnt vmcnt(15)
	v_add_f64 v[56:57], v[56:57], -v[68:69]
	s_waitcnt lgkmcnt(0)
	v_mul_f64 v[68:69], v[190:191], v[70:71]
	v_add_f64 v[58:59], v[58:59], -v[204:205]
	v_fma_f64 v[68:69], v[188:189], v[198:199], -v[68:69]
	v_mul_f64 v[188:189], v[188:189], v[70:71]
	ds_read2_b64 v[204:207], v200 offset0:66 offset1:67
	v_fmac_f64_e32 v[188:189], v[190:191], v[198:199]
	s_waitcnt vmcnt(14)
	v_add_f64 v[54:55], v[54:55], -v[188:189]
	ds_read2_b64 v[188:191], v200 offset0:68 offset1:69
	v_add_f64 v[52:53], v[52:53], -v[68:69]
	;; [unrolled: 18-line block ×8, first 2 shown]
	s_waitcnt lgkmcnt(1)
	v_mul_f64 v[68:69], v[206:207], v[70:71]
	v_fma_f64 v[68:69], v[204:205], v[198:199], -v[68:69]
	s_waitcnt vmcnt(1)
	v_add_f64 v[0:1], v[0:1], -v[68:69]
	s_waitcnt lgkmcnt(0)
	v_mul_f64 v[68:69], v[190:191], v[70:71]
	v_mul_f64 v[204:205], v[204:205], v[70:71]
	v_fma_f64 v[68:69], v[188:189], v[198:199], -v[68:69]
	v_mul_f64 v[188:189], v[188:189], v[70:71]
	v_fmac_f64_e32 v[204:205], v[206:207], v[198:199]
	v_fmac_f64_e32 v[188:189], v[190:191], v[198:199]
	v_add_f64 v[2:3], v[2:3], -v[204:205]
	s_waitcnt vmcnt(0)
	v_add_f64 v[184:185], v[184:185], -v[68:69]
	v_add_f64 v[186:187], v[186:187], -v[188:189]
	v_mov_b64_e32 v[68:69], v[198:199]
.LBB92_608:
	s_or_b64 exec, exec, s[0:1]
	v_lshl_add_u32 v188, v201, 4, v200
	s_barrier
	s_waitcnt vmcnt(17)
	ds_write2_b64 v188, v[64:65], v[66:67] offset1:1
	s_waitcnt lgkmcnt(0)
	s_barrier
	ds_read2_b64 v[188:191], v200 offset0:58 offset1:59
	s_cmp_lt_i32 s20, 31
	v_mov_b32_e32 v198, 29
	s_cbranch_scc1 .LBB92_611
; %bb.609:
	v_add_u32_e32 v199, 0x1e0, v200
	s_mov_b32 s16, 30
	v_mov_b32_e32 v198, 29
.LBB92_610:                             ; =>This Inner Loop Header: Depth=1
	ds_read2_b64 v[204:207], v199 offset1:1
	s_waitcnt lgkmcnt(1)
	v_xor_b32_e32 v209, 0x80000000, v189
	v_xor_b32_e32 v211, 0x80000000, v191
	v_cmp_gt_f64_e32 vcc, 0, v[190:191]
	v_cmp_gt_f64_e64 s[0:1], 0, v[188:189]
	v_mov_b32_e32 v208, v188
	v_mov_b32_e32 v210, v190
	v_cndmask_b32_e64 v209, v189, v209, s[0:1]
	v_cndmask_b32_e32 v211, v191, v211, vcc
	v_add_f64 v[208:209], v[208:209], v[210:211]
	s_waitcnt lgkmcnt(0)
	v_xor_b32_e32 v211, 0x80000000, v205
	v_xor_b32_e32 v213, 0x80000000, v207
	v_cmp_gt_f64_e32 vcc, 0, v[206:207]
	v_cmp_gt_f64_e64 s[0:1], 0, v[204:205]
	v_mov_b32_e32 v210, v204
	v_mov_b32_e32 v212, v206
	v_cndmask_b32_e64 v211, v205, v211, s[0:1]
	v_cndmask_b32_e32 v213, v207, v213, vcc
	v_add_f64 v[210:211], v[210:211], v[212:213]
	v_mov_b32_e32 v214, s16
	s_add_i32 s16, s16, 1
	v_cmp_lt_f64_e32 vcc, v[208:209], v[210:211]
	v_add_u32_e32 v199, 16, v199
	s_cmp_lg_u32 s20, s16
	v_cndmask_b32_e32 v189, v189, v205, vcc
	v_cndmask_b32_e32 v188, v188, v204, vcc
	;; [unrolled: 1-line block ×5, first 2 shown]
	s_cbranch_scc1 .LBB92_610
.LBB92_611:
	s_waitcnt lgkmcnt(0)
	v_cmp_eq_f64_e32 vcc, 0, v[188:189]
	v_cmp_eq_f64_e64 s[0:1], 0, v[190:191]
	s_and_b64 s[0:1], vcc, s[0:1]
	s_and_saveexec_b64 s[16:17], s[0:1]
	s_xor_b64 s[0:1], exec, s[16:17]
; %bb.612:
	v_cmp_ne_u32_e32 vcc, 0, v202
	s_nop 1
	v_cndmask_b32_e32 v202, 30, v202, vcc
; %bb.613:
	s_andn2_saveexec_b64 s[0:1], s[0:1]
	s_cbranch_execz .LBB92_619
; %bb.614:
	v_cmp_ngt_f64_e64 s[16:17], |v[188:189]|, |v[190:191]|
	s_and_saveexec_b64 s[18:19], s[16:17]
	s_xor_b64 s[16:17], exec, s[18:19]
	s_cbranch_execz .LBB92_616
; %bb.615:
	v_div_scale_f64 v[204:205], s[18:19], v[190:191], v[190:191], v[188:189]
	v_rcp_f64_e32 v[206:207], v[204:205]
	v_div_scale_f64 v[208:209], vcc, v[188:189], v[190:191], v[188:189]
	v_fma_f64 v[210:211], -v[204:205], v[206:207], 1.0
	v_fmac_f64_e32 v[206:207], v[206:207], v[210:211]
	v_fma_f64 v[210:211], -v[204:205], v[206:207], 1.0
	v_fmac_f64_e32 v[206:207], v[206:207], v[210:211]
	v_mul_f64 v[210:211], v[208:209], v[206:207]
	v_fma_f64 v[204:205], -v[204:205], v[210:211], v[208:209]
	v_div_fmas_f64 v[204:205], v[204:205], v[206:207], v[210:211]
	v_div_fixup_f64 v[204:205], v[204:205], v[190:191], v[188:189]
	v_fmac_f64_e32 v[190:191], v[188:189], v[204:205]
	v_div_scale_f64 v[188:189], s[18:19], v[190:191], v[190:191], 1.0
	v_rcp_f64_e32 v[206:207], v[188:189]
	s_nop 0
	v_fma_f64 v[208:209], -v[188:189], v[206:207], 1.0
	v_fmac_f64_e32 v[206:207], v[206:207], v[208:209]
	v_fma_f64 v[208:209], -v[188:189], v[206:207], 1.0
	v_fmac_f64_e32 v[206:207], v[206:207], v[208:209]
	v_div_scale_f64 v[208:209], vcc, 1.0, v[190:191], 1.0
	v_mul_f64 v[210:211], v[208:209], v[206:207]
	v_fma_f64 v[188:189], -v[188:189], v[210:211], v[208:209]
	s_nop 1
	v_div_fmas_f64 v[188:189], v[188:189], v[206:207], v[210:211]
	v_div_fixup_f64 v[190:191], v[188:189], v[190:191], 1.0
	v_mul_f64 v[188:189], v[204:205], v[190:191]
	v_xor_b32_e32 v191, 0x80000000, v191
.LBB92_616:
	s_andn2_saveexec_b64 s[16:17], s[16:17]
	s_cbranch_execz .LBB92_618
; %bb.617:
	v_div_scale_f64 v[204:205], s[18:19], v[188:189], v[188:189], v[190:191]
	v_rcp_f64_e32 v[206:207], v[204:205]
	v_div_scale_f64 v[208:209], vcc, v[190:191], v[188:189], v[190:191]
	v_fma_f64 v[210:211], -v[204:205], v[206:207], 1.0
	v_fmac_f64_e32 v[206:207], v[206:207], v[210:211]
	v_fma_f64 v[210:211], -v[204:205], v[206:207], 1.0
	v_fmac_f64_e32 v[206:207], v[206:207], v[210:211]
	v_mul_f64 v[210:211], v[208:209], v[206:207]
	v_fma_f64 v[204:205], -v[204:205], v[210:211], v[208:209]
	v_div_fmas_f64 v[204:205], v[204:205], v[206:207], v[210:211]
	v_div_fixup_f64 v[204:205], v[204:205], v[188:189], v[190:191]
	v_fmac_f64_e32 v[188:189], v[190:191], v[204:205]
	v_div_scale_f64 v[190:191], s[18:19], v[188:189], v[188:189], 1.0
	v_rcp_f64_e32 v[206:207], v[190:191]
	s_nop 0
	v_fma_f64 v[208:209], -v[190:191], v[206:207], 1.0
	v_fmac_f64_e32 v[206:207], v[206:207], v[208:209]
	v_fma_f64 v[208:209], -v[190:191], v[206:207], 1.0
	v_fmac_f64_e32 v[206:207], v[206:207], v[208:209]
	v_div_scale_f64 v[208:209], vcc, 1.0, v[188:189], 1.0
	v_mul_f64 v[210:211], v[208:209], v[206:207]
	v_fma_f64 v[190:191], -v[190:191], v[210:211], v[208:209]
	s_nop 1
	v_div_fmas_f64 v[190:191], v[190:191], v[206:207], v[210:211]
	v_div_fixup_f64 v[188:189], v[190:191], v[188:189], 1.0
	v_mul_f64 v[190:191], v[204:205], -v[188:189]
.LBB92_618:
	s_or_b64 exec, exec, s[16:17]
.LBB92_619:
	s_or_b64 exec, exec, s[0:1]
	v_cmp_ne_u32_e32 vcc, v201, v198
	s_and_saveexec_b64 s[0:1], vcc
	s_xor_b64 s[0:1], exec, s[0:1]
	s_cbranch_execz .LBB92_625
; %bb.620:
	v_cmp_eq_u32_e32 vcc, 29, v201
	s_and_saveexec_b64 s[16:17], vcc
	s_cbranch_execz .LBB92_624
; %bb.621:
	v_cmp_ne_u32_e32 vcc, 29, v198
	s_xor_b64 s[18:19], s[14:15], -1
	s_and_b64 s[22:23], s[18:19], vcc
	s_and_saveexec_b64 s[18:19], s[22:23]
	s_cbranch_execz .LBB92_623
; %bb.622:
	v_ashrrev_i32_e32 v199, 31, v198
	v_lshl_add_u64 v[204:205], v[198:199], 2, v[196:197]
	global_load_dword v199, v[204:205], off
	global_load_dword v201, v[196:197], off offset:116
	s_waitcnt vmcnt(1)
	global_store_dword v[196:197], v199, off offset:116
	s_waitcnt vmcnt(1)
	global_store_dword v[204:205], v201, off
.LBB92_623:
	s_or_b64 exec, exec, s[18:19]
	v_mov_b32_e32 v201, v198
	v_mov_b32_e32 v203, v198
.LBB92_624:
	s_or_b64 exec, exec, s[16:17]
.LBB92_625:
	s_andn2_saveexec_b64 s[0:1], s[0:1]
	s_cbranch_execz .LBB92_627
; %bb.626:
	v_mov_b32_e32 v201, 29
	s_waitcnt vmcnt(16)
	ds_write2_b64 v200, v[60:61], v[62:63] offset0:60 offset1:61
	s_waitcnt vmcnt(15)
	ds_write2_b64 v200, v[56:57], v[58:59] offset0:62 offset1:63
	;; [unrolled: 2-line block ×17, first 2 shown]
.LBB92_627:
	s_or_b64 exec, exec, s[0:1]
	v_cmp_lt_i32_e32 vcc, 29, v201
	s_waitcnt lgkmcnt(0)
	s_barrier
	s_and_saveexec_b64 s[0:1], vcc
	s_cbranch_execz .LBB92_629
; %bb.628:
	ds_read2_b64 v[204:207], v200 offset0:60 offset1:61
	v_mul_f64 v[198:199], v[190:191], v[66:67]
	v_mul_f64 v[66:67], v[188:189], v[66:67]
	v_fmac_f64_e32 v[66:67], v[190:191], v[64:65]
	v_fma_f64 v[198:199], v[188:189], v[64:65], -v[198:199]
	ds_read2_b64 v[188:191], v200 offset0:62 offset1:63
	s_waitcnt lgkmcnt(1)
	v_mul_f64 v[64:65], v[206:207], v[66:67]
	v_fma_f64 v[64:65], v[204:205], v[198:199], -v[64:65]
	v_mul_f64 v[204:205], v[204:205], v[66:67]
	v_fmac_f64_e32 v[204:205], v[206:207], v[198:199]
	s_waitcnt vmcnt(16)
	v_add_f64 v[62:63], v[62:63], -v[204:205]
	ds_read2_b64 v[204:207], v200 offset0:64 offset1:65
	v_add_f64 v[60:61], v[60:61], -v[64:65]
	s_waitcnt lgkmcnt(1)
	v_mul_f64 v[64:65], v[190:191], v[66:67]
	v_fma_f64 v[64:65], v[188:189], v[198:199], -v[64:65]
	v_mul_f64 v[188:189], v[188:189], v[66:67]
	v_fmac_f64_e32 v[188:189], v[190:191], v[198:199]
	s_waitcnt vmcnt(15)
	v_add_f64 v[56:57], v[56:57], -v[64:65]
	v_add_f64 v[58:59], v[58:59], -v[188:189]
	ds_read2_b64 v[188:191], v200 offset0:66 offset1:67
	s_waitcnt lgkmcnt(1)
	v_mul_f64 v[64:65], v[206:207], v[66:67]
	v_fma_f64 v[64:65], v[204:205], v[198:199], -v[64:65]
	v_mul_f64 v[204:205], v[204:205], v[66:67]
	v_fmac_f64_e32 v[204:205], v[206:207], v[198:199]
	s_waitcnt vmcnt(14)
	v_add_f64 v[54:55], v[54:55], -v[204:205]
	ds_read2_b64 v[204:207], v200 offset0:68 offset1:69
	v_add_f64 v[52:53], v[52:53], -v[64:65]
	s_waitcnt lgkmcnt(1)
	v_mul_f64 v[64:65], v[190:191], v[66:67]
	v_fma_f64 v[64:65], v[188:189], v[198:199], -v[64:65]
	v_mul_f64 v[188:189], v[188:189], v[66:67]
	v_fmac_f64_e32 v[188:189], v[190:191], v[198:199]
	s_waitcnt vmcnt(13)
	v_add_f64 v[48:49], v[48:49], -v[64:65]
	v_add_f64 v[50:51], v[50:51], -v[188:189]
	;; [unrolled: 18-line block ×8, first 2 shown]
	s_waitcnt lgkmcnt(0)
	v_mul_f64 v[64:65], v[206:207], v[66:67]
	v_mul_f64 v[188:189], v[204:205], v[66:67]
	v_fma_f64 v[64:65], v[204:205], v[198:199], -v[64:65]
	v_fmac_f64_e32 v[188:189], v[206:207], v[198:199]
	s_waitcnt vmcnt(0)
	v_add_f64 v[184:185], v[184:185], -v[64:65]
	v_add_f64 v[186:187], v[186:187], -v[188:189]
	v_mov_b64_e32 v[64:65], v[198:199]
.LBB92_629:
	s_or_b64 exec, exec, s[0:1]
	v_lshl_add_u32 v188, v201, 4, v200
	s_barrier
	s_waitcnt vmcnt(16)
	ds_write2_b64 v188, v[60:61], v[62:63] offset1:1
	s_waitcnt lgkmcnt(0)
	s_barrier
	ds_read2_b64 v[188:191], v200 offset0:60 offset1:61
	s_cmp_lt_i32 s20, 32
	v_mov_b32_e32 v198, 30
	s_cbranch_scc1 .LBB92_632
; %bb.630:
	v_add_u32_e32 v199, 0x1f0, v200
	s_mov_b32 s16, 31
	v_mov_b32_e32 v198, 30
.LBB92_631:                             ; =>This Inner Loop Header: Depth=1
	ds_read2_b64 v[204:207], v199 offset1:1
	s_waitcnt lgkmcnt(1)
	v_xor_b32_e32 v209, 0x80000000, v189
	v_xor_b32_e32 v211, 0x80000000, v191
	v_cmp_gt_f64_e32 vcc, 0, v[190:191]
	v_cmp_gt_f64_e64 s[0:1], 0, v[188:189]
	v_mov_b32_e32 v208, v188
	v_mov_b32_e32 v210, v190
	v_cndmask_b32_e64 v209, v189, v209, s[0:1]
	v_cndmask_b32_e32 v211, v191, v211, vcc
	v_add_f64 v[208:209], v[208:209], v[210:211]
	s_waitcnt lgkmcnt(0)
	v_xor_b32_e32 v211, 0x80000000, v205
	v_xor_b32_e32 v213, 0x80000000, v207
	v_cmp_gt_f64_e32 vcc, 0, v[206:207]
	v_cmp_gt_f64_e64 s[0:1], 0, v[204:205]
	v_mov_b32_e32 v210, v204
	v_mov_b32_e32 v212, v206
	v_cndmask_b32_e64 v211, v205, v211, s[0:1]
	v_cndmask_b32_e32 v213, v207, v213, vcc
	v_add_f64 v[210:211], v[210:211], v[212:213]
	v_mov_b32_e32 v214, s16
	s_add_i32 s16, s16, 1
	v_cmp_lt_f64_e32 vcc, v[208:209], v[210:211]
	v_add_u32_e32 v199, 16, v199
	s_cmp_lg_u32 s20, s16
	v_cndmask_b32_e32 v189, v189, v205, vcc
	v_cndmask_b32_e32 v188, v188, v204, vcc
	;; [unrolled: 1-line block ×5, first 2 shown]
	s_cbranch_scc1 .LBB92_631
.LBB92_632:
	s_waitcnt lgkmcnt(0)
	v_cmp_eq_f64_e32 vcc, 0, v[188:189]
	v_cmp_eq_f64_e64 s[0:1], 0, v[190:191]
	s_and_b64 s[0:1], vcc, s[0:1]
	s_and_saveexec_b64 s[16:17], s[0:1]
	s_xor_b64 s[0:1], exec, s[16:17]
; %bb.633:
	v_cmp_ne_u32_e32 vcc, 0, v202
	s_nop 1
	v_cndmask_b32_e32 v202, 31, v202, vcc
; %bb.634:
	s_andn2_saveexec_b64 s[0:1], s[0:1]
	s_cbranch_execz .LBB92_640
; %bb.635:
	v_cmp_ngt_f64_e64 s[16:17], |v[188:189]|, |v[190:191]|
	s_and_saveexec_b64 s[18:19], s[16:17]
	s_xor_b64 s[16:17], exec, s[18:19]
	s_cbranch_execz .LBB92_637
; %bb.636:
	v_div_scale_f64 v[204:205], s[18:19], v[190:191], v[190:191], v[188:189]
	v_rcp_f64_e32 v[206:207], v[204:205]
	v_div_scale_f64 v[208:209], vcc, v[188:189], v[190:191], v[188:189]
	v_fma_f64 v[210:211], -v[204:205], v[206:207], 1.0
	v_fmac_f64_e32 v[206:207], v[206:207], v[210:211]
	v_fma_f64 v[210:211], -v[204:205], v[206:207], 1.0
	v_fmac_f64_e32 v[206:207], v[206:207], v[210:211]
	v_mul_f64 v[210:211], v[208:209], v[206:207]
	v_fma_f64 v[204:205], -v[204:205], v[210:211], v[208:209]
	v_div_fmas_f64 v[204:205], v[204:205], v[206:207], v[210:211]
	v_div_fixup_f64 v[204:205], v[204:205], v[190:191], v[188:189]
	v_fmac_f64_e32 v[190:191], v[188:189], v[204:205]
	v_div_scale_f64 v[188:189], s[18:19], v[190:191], v[190:191], 1.0
	v_rcp_f64_e32 v[206:207], v[188:189]
	s_nop 0
	v_fma_f64 v[208:209], -v[188:189], v[206:207], 1.0
	v_fmac_f64_e32 v[206:207], v[206:207], v[208:209]
	v_fma_f64 v[208:209], -v[188:189], v[206:207], 1.0
	v_fmac_f64_e32 v[206:207], v[206:207], v[208:209]
	v_div_scale_f64 v[208:209], vcc, 1.0, v[190:191], 1.0
	v_mul_f64 v[210:211], v[208:209], v[206:207]
	v_fma_f64 v[188:189], -v[188:189], v[210:211], v[208:209]
	s_nop 1
	v_div_fmas_f64 v[188:189], v[188:189], v[206:207], v[210:211]
	v_div_fixup_f64 v[190:191], v[188:189], v[190:191], 1.0
	v_mul_f64 v[188:189], v[204:205], v[190:191]
	v_xor_b32_e32 v191, 0x80000000, v191
.LBB92_637:
	s_andn2_saveexec_b64 s[16:17], s[16:17]
	s_cbranch_execz .LBB92_639
; %bb.638:
	v_div_scale_f64 v[204:205], s[18:19], v[188:189], v[188:189], v[190:191]
	v_rcp_f64_e32 v[206:207], v[204:205]
	v_div_scale_f64 v[208:209], vcc, v[190:191], v[188:189], v[190:191]
	v_fma_f64 v[210:211], -v[204:205], v[206:207], 1.0
	v_fmac_f64_e32 v[206:207], v[206:207], v[210:211]
	v_fma_f64 v[210:211], -v[204:205], v[206:207], 1.0
	v_fmac_f64_e32 v[206:207], v[206:207], v[210:211]
	v_mul_f64 v[210:211], v[208:209], v[206:207]
	v_fma_f64 v[204:205], -v[204:205], v[210:211], v[208:209]
	v_div_fmas_f64 v[204:205], v[204:205], v[206:207], v[210:211]
	v_div_fixup_f64 v[204:205], v[204:205], v[188:189], v[190:191]
	v_fmac_f64_e32 v[188:189], v[190:191], v[204:205]
	v_div_scale_f64 v[190:191], s[18:19], v[188:189], v[188:189], 1.0
	v_rcp_f64_e32 v[206:207], v[190:191]
	s_nop 0
	v_fma_f64 v[208:209], -v[190:191], v[206:207], 1.0
	v_fmac_f64_e32 v[206:207], v[206:207], v[208:209]
	v_fma_f64 v[208:209], -v[190:191], v[206:207], 1.0
	v_fmac_f64_e32 v[206:207], v[206:207], v[208:209]
	v_div_scale_f64 v[208:209], vcc, 1.0, v[188:189], 1.0
	v_mul_f64 v[210:211], v[208:209], v[206:207]
	v_fma_f64 v[190:191], -v[190:191], v[210:211], v[208:209]
	s_nop 1
	v_div_fmas_f64 v[190:191], v[190:191], v[206:207], v[210:211]
	v_div_fixup_f64 v[188:189], v[190:191], v[188:189], 1.0
	v_mul_f64 v[190:191], v[204:205], -v[188:189]
.LBB92_639:
	s_or_b64 exec, exec, s[16:17]
.LBB92_640:
	s_or_b64 exec, exec, s[0:1]
	v_cmp_ne_u32_e32 vcc, v201, v198
	s_and_saveexec_b64 s[0:1], vcc
	s_xor_b64 s[0:1], exec, s[0:1]
	s_cbranch_execz .LBB92_646
; %bb.641:
	v_cmp_eq_u32_e32 vcc, 30, v201
	s_and_saveexec_b64 s[16:17], vcc
	s_cbranch_execz .LBB92_645
; %bb.642:
	v_cmp_ne_u32_e32 vcc, 30, v198
	s_xor_b64 s[18:19], s[14:15], -1
	s_and_b64 s[22:23], s[18:19], vcc
	s_and_saveexec_b64 s[18:19], s[22:23]
	s_cbranch_execz .LBB92_644
; %bb.643:
	v_ashrrev_i32_e32 v199, 31, v198
	v_lshl_add_u64 v[204:205], v[198:199], 2, v[196:197]
	global_load_dword v199, v[204:205], off
	global_load_dword v201, v[196:197], off offset:120
	s_waitcnt vmcnt(1)
	global_store_dword v[196:197], v199, off offset:120
	s_waitcnt vmcnt(1)
	global_store_dword v[204:205], v201, off
.LBB92_644:
	s_or_b64 exec, exec, s[18:19]
	v_mov_b32_e32 v201, v198
	v_mov_b32_e32 v203, v198
.LBB92_645:
	s_or_b64 exec, exec, s[16:17]
.LBB92_646:
	s_andn2_saveexec_b64 s[0:1], s[0:1]
	s_cbranch_execz .LBB92_648
; %bb.647:
	v_mov_b32_e32 v201, 30
	s_waitcnt vmcnt(15)
	ds_write2_b64 v200, v[56:57], v[58:59] offset0:62 offset1:63
	s_waitcnt vmcnt(14)
	ds_write2_b64 v200, v[52:53], v[54:55] offset0:64 offset1:65
	;; [unrolled: 2-line block ×16, first 2 shown]
.LBB92_648:
	s_or_b64 exec, exec, s[0:1]
	v_cmp_lt_i32_e32 vcc, 30, v201
	s_waitcnt lgkmcnt(0)
	s_barrier
	s_and_saveexec_b64 s[0:1], vcc
	s_cbranch_execz .LBB92_650
; %bb.649:
	ds_read2_b64 v[204:207], v200 offset0:62 offset1:63
	v_mul_f64 v[198:199], v[188:189], v[62:63]
	v_mul_f64 v[62:63], v[190:191], v[62:63]
	v_fmac_f64_e32 v[198:199], v[190:191], v[60:61]
	v_fma_f64 v[60:61], v[188:189], v[60:61], -v[62:63]
	ds_read2_b64 v[188:191], v200 offset0:64 offset1:65
	s_waitcnt lgkmcnt(1)
	v_mul_f64 v[62:63], v[206:207], v[198:199]
	v_fma_f64 v[62:63], v[204:205], v[60:61], -v[62:63]
	v_mul_f64 v[204:205], v[204:205], v[198:199]
	v_fmac_f64_e32 v[204:205], v[206:207], v[60:61]
	s_waitcnt vmcnt(15)
	v_add_f64 v[56:57], v[56:57], -v[62:63]
	s_waitcnt lgkmcnt(0)
	v_mul_f64 v[62:63], v[190:191], v[198:199]
	v_add_f64 v[58:59], v[58:59], -v[204:205]
	v_fma_f64 v[62:63], v[188:189], v[60:61], -v[62:63]
	v_mul_f64 v[188:189], v[188:189], v[198:199]
	ds_read2_b64 v[204:207], v200 offset0:66 offset1:67
	v_fmac_f64_e32 v[188:189], v[190:191], v[60:61]
	s_waitcnt vmcnt(14)
	v_add_f64 v[54:55], v[54:55], -v[188:189]
	ds_read2_b64 v[188:191], v200 offset0:68 offset1:69
	v_add_f64 v[52:53], v[52:53], -v[62:63]
	s_waitcnt lgkmcnt(1)
	v_mul_f64 v[62:63], v[206:207], v[198:199]
	v_fma_f64 v[62:63], v[204:205], v[60:61], -v[62:63]
	v_mul_f64 v[204:205], v[204:205], v[198:199]
	v_fmac_f64_e32 v[204:205], v[206:207], v[60:61]
	s_waitcnt vmcnt(13)
	v_add_f64 v[48:49], v[48:49], -v[62:63]
	s_waitcnt lgkmcnt(0)
	v_mul_f64 v[62:63], v[190:191], v[198:199]
	v_add_f64 v[50:51], v[50:51], -v[204:205]
	v_fma_f64 v[62:63], v[188:189], v[60:61], -v[62:63]
	v_mul_f64 v[188:189], v[188:189], v[198:199]
	ds_read2_b64 v[204:207], v200 offset0:70 offset1:71
	v_fmac_f64_e32 v[188:189], v[190:191], v[60:61]
	s_waitcnt vmcnt(12)
	v_add_f64 v[46:47], v[46:47], -v[188:189]
	ds_read2_b64 v[188:191], v200 offset0:72 offset1:73
	v_add_f64 v[44:45], v[44:45], -v[62:63]
	;; [unrolled: 18-line block ×7, first 2 shown]
	s_waitcnt lgkmcnt(1)
	v_mul_f64 v[62:63], v[206:207], v[198:199]
	v_fma_f64 v[62:63], v[204:205], v[60:61], -v[62:63]
	s_waitcnt vmcnt(1)
	v_add_f64 v[0:1], v[0:1], -v[62:63]
	s_waitcnt lgkmcnt(0)
	v_mul_f64 v[62:63], v[190:191], v[198:199]
	v_mul_f64 v[204:205], v[204:205], v[198:199]
	v_fma_f64 v[62:63], v[188:189], v[60:61], -v[62:63]
	v_mul_f64 v[188:189], v[188:189], v[198:199]
	v_fmac_f64_e32 v[204:205], v[206:207], v[60:61]
	v_fmac_f64_e32 v[188:189], v[190:191], v[60:61]
	v_add_f64 v[2:3], v[2:3], -v[204:205]
	s_waitcnt vmcnt(0)
	v_add_f64 v[184:185], v[184:185], -v[62:63]
	v_add_f64 v[186:187], v[186:187], -v[188:189]
	v_mov_b64_e32 v[62:63], v[198:199]
.LBB92_650:
	s_or_b64 exec, exec, s[0:1]
	v_lshl_add_u32 v188, v201, 4, v200
	s_barrier
	s_waitcnt vmcnt(15)
	ds_write2_b64 v188, v[56:57], v[58:59] offset1:1
	s_waitcnt lgkmcnt(0)
	s_barrier
	ds_read2_b64 v[188:191], v200 offset0:62 offset1:63
	s_cmp_lt_i32 s20, 33
	v_mov_b32_e32 v198, 31
	s_cbranch_scc1 .LBB92_653
; %bb.651:
	v_add_u32_e32 v199, 0x200, v200
	s_mov_b32 s16, 32
	v_mov_b32_e32 v198, 31
.LBB92_652:                             ; =>This Inner Loop Header: Depth=1
	ds_read2_b64 v[204:207], v199 offset1:1
	s_waitcnt lgkmcnt(1)
	v_xor_b32_e32 v209, 0x80000000, v189
	v_xor_b32_e32 v211, 0x80000000, v191
	v_cmp_gt_f64_e32 vcc, 0, v[190:191]
	v_cmp_gt_f64_e64 s[0:1], 0, v[188:189]
	v_mov_b32_e32 v208, v188
	v_mov_b32_e32 v210, v190
	v_cndmask_b32_e64 v209, v189, v209, s[0:1]
	v_cndmask_b32_e32 v211, v191, v211, vcc
	v_add_f64 v[208:209], v[208:209], v[210:211]
	s_waitcnt lgkmcnt(0)
	v_xor_b32_e32 v211, 0x80000000, v205
	v_xor_b32_e32 v213, 0x80000000, v207
	v_cmp_gt_f64_e32 vcc, 0, v[206:207]
	v_cmp_gt_f64_e64 s[0:1], 0, v[204:205]
	v_mov_b32_e32 v210, v204
	v_mov_b32_e32 v212, v206
	v_cndmask_b32_e64 v211, v205, v211, s[0:1]
	v_cndmask_b32_e32 v213, v207, v213, vcc
	v_add_f64 v[210:211], v[210:211], v[212:213]
	v_mov_b32_e32 v214, s16
	s_add_i32 s16, s16, 1
	v_cmp_lt_f64_e32 vcc, v[208:209], v[210:211]
	v_add_u32_e32 v199, 16, v199
	s_cmp_lg_u32 s20, s16
	v_cndmask_b32_e32 v189, v189, v205, vcc
	v_cndmask_b32_e32 v188, v188, v204, vcc
	;; [unrolled: 1-line block ×5, first 2 shown]
	s_cbranch_scc1 .LBB92_652
.LBB92_653:
	s_waitcnt lgkmcnt(0)
	v_cmp_eq_f64_e32 vcc, 0, v[188:189]
	v_cmp_eq_f64_e64 s[0:1], 0, v[190:191]
	s_and_b64 s[0:1], vcc, s[0:1]
	s_and_saveexec_b64 s[16:17], s[0:1]
	s_xor_b64 s[0:1], exec, s[16:17]
; %bb.654:
	v_cmp_ne_u32_e32 vcc, 0, v202
	s_nop 1
	v_cndmask_b32_e32 v202, 32, v202, vcc
; %bb.655:
	s_andn2_saveexec_b64 s[0:1], s[0:1]
	s_cbranch_execz .LBB92_661
; %bb.656:
	v_cmp_ngt_f64_e64 s[16:17], |v[188:189]|, |v[190:191]|
	s_and_saveexec_b64 s[18:19], s[16:17]
	s_xor_b64 s[16:17], exec, s[18:19]
	s_cbranch_execz .LBB92_658
; %bb.657:
	v_div_scale_f64 v[204:205], s[18:19], v[190:191], v[190:191], v[188:189]
	v_rcp_f64_e32 v[206:207], v[204:205]
	v_div_scale_f64 v[208:209], vcc, v[188:189], v[190:191], v[188:189]
	v_fma_f64 v[210:211], -v[204:205], v[206:207], 1.0
	v_fmac_f64_e32 v[206:207], v[206:207], v[210:211]
	v_fma_f64 v[210:211], -v[204:205], v[206:207], 1.0
	v_fmac_f64_e32 v[206:207], v[206:207], v[210:211]
	v_mul_f64 v[210:211], v[208:209], v[206:207]
	v_fma_f64 v[204:205], -v[204:205], v[210:211], v[208:209]
	v_div_fmas_f64 v[204:205], v[204:205], v[206:207], v[210:211]
	v_div_fixup_f64 v[204:205], v[204:205], v[190:191], v[188:189]
	v_fmac_f64_e32 v[190:191], v[188:189], v[204:205]
	v_div_scale_f64 v[188:189], s[18:19], v[190:191], v[190:191], 1.0
	v_rcp_f64_e32 v[206:207], v[188:189]
	s_nop 0
	v_fma_f64 v[208:209], -v[188:189], v[206:207], 1.0
	v_fmac_f64_e32 v[206:207], v[206:207], v[208:209]
	v_fma_f64 v[208:209], -v[188:189], v[206:207], 1.0
	v_fmac_f64_e32 v[206:207], v[206:207], v[208:209]
	v_div_scale_f64 v[208:209], vcc, 1.0, v[190:191], 1.0
	v_mul_f64 v[210:211], v[208:209], v[206:207]
	v_fma_f64 v[188:189], -v[188:189], v[210:211], v[208:209]
	s_nop 1
	v_div_fmas_f64 v[188:189], v[188:189], v[206:207], v[210:211]
	v_div_fixup_f64 v[190:191], v[188:189], v[190:191], 1.0
	v_mul_f64 v[188:189], v[204:205], v[190:191]
	v_xor_b32_e32 v191, 0x80000000, v191
.LBB92_658:
	s_andn2_saveexec_b64 s[16:17], s[16:17]
	s_cbranch_execz .LBB92_660
; %bb.659:
	v_div_scale_f64 v[204:205], s[18:19], v[188:189], v[188:189], v[190:191]
	v_rcp_f64_e32 v[206:207], v[204:205]
	v_div_scale_f64 v[208:209], vcc, v[190:191], v[188:189], v[190:191]
	v_fma_f64 v[210:211], -v[204:205], v[206:207], 1.0
	v_fmac_f64_e32 v[206:207], v[206:207], v[210:211]
	v_fma_f64 v[210:211], -v[204:205], v[206:207], 1.0
	v_fmac_f64_e32 v[206:207], v[206:207], v[210:211]
	v_mul_f64 v[210:211], v[208:209], v[206:207]
	v_fma_f64 v[204:205], -v[204:205], v[210:211], v[208:209]
	v_div_fmas_f64 v[204:205], v[204:205], v[206:207], v[210:211]
	v_div_fixup_f64 v[204:205], v[204:205], v[188:189], v[190:191]
	v_fmac_f64_e32 v[188:189], v[190:191], v[204:205]
	v_div_scale_f64 v[190:191], s[18:19], v[188:189], v[188:189], 1.0
	v_rcp_f64_e32 v[206:207], v[190:191]
	s_nop 0
	v_fma_f64 v[208:209], -v[190:191], v[206:207], 1.0
	v_fmac_f64_e32 v[206:207], v[206:207], v[208:209]
	v_fma_f64 v[208:209], -v[190:191], v[206:207], 1.0
	v_fmac_f64_e32 v[206:207], v[206:207], v[208:209]
	v_div_scale_f64 v[208:209], vcc, 1.0, v[188:189], 1.0
	v_mul_f64 v[210:211], v[208:209], v[206:207]
	v_fma_f64 v[190:191], -v[190:191], v[210:211], v[208:209]
	s_nop 1
	v_div_fmas_f64 v[190:191], v[190:191], v[206:207], v[210:211]
	v_div_fixup_f64 v[188:189], v[190:191], v[188:189], 1.0
	v_mul_f64 v[190:191], v[204:205], -v[188:189]
.LBB92_660:
	s_or_b64 exec, exec, s[16:17]
.LBB92_661:
	s_or_b64 exec, exec, s[0:1]
	v_cmp_ne_u32_e32 vcc, v201, v198
	s_and_saveexec_b64 s[0:1], vcc
	s_xor_b64 s[0:1], exec, s[0:1]
	s_cbranch_execz .LBB92_667
; %bb.662:
	v_cmp_eq_u32_e32 vcc, 31, v201
	s_and_saveexec_b64 s[16:17], vcc
	s_cbranch_execz .LBB92_666
; %bb.663:
	v_cmp_ne_u32_e32 vcc, 31, v198
	s_xor_b64 s[18:19], s[14:15], -1
	s_and_b64 s[22:23], s[18:19], vcc
	s_and_saveexec_b64 s[18:19], s[22:23]
	s_cbranch_execz .LBB92_665
; %bb.664:
	v_ashrrev_i32_e32 v199, 31, v198
	v_lshl_add_u64 v[204:205], v[198:199], 2, v[196:197]
	global_load_dword v199, v[204:205], off
	global_load_dword v201, v[196:197], off offset:124
	s_waitcnt vmcnt(1)
	global_store_dword v[196:197], v199, off offset:124
	s_waitcnt vmcnt(1)
	global_store_dword v[204:205], v201, off
.LBB92_665:
	s_or_b64 exec, exec, s[18:19]
	v_mov_b32_e32 v201, v198
	v_mov_b32_e32 v203, v198
.LBB92_666:
	s_or_b64 exec, exec, s[16:17]
.LBB92_667:
	s_andn2_saveexec_b64 s[0:1], s[0:1]
	s_cbranch_execz .LBB92_669
; %bb.668:
	v_mov_b32_e32 v201, 31
	s_waitcnt vmcnt(14)
	ds_write2_b64 v200, v[52:53], v[54:55] offset0:64 offset1:65
	s_waitcnt vmcnt(13)
	ds_write2_b64 v200, v[48:49], v[50:51] offset0:66 offset1:67
	;; [unrolled: 2-line block ×15, first 2 shown]
.LBB92_669:
	s_or_b64 exec, exec, s[0:1]
	v_cmp_lt_i32_e32 vcc, 31, v201
	s_waitcnt lgkmcnt(0)
	s_barrier
	s_and_saveexec_b64 s[0:1], vcc
	s_cbranch_execz .LBB92_671
; %bb.670:
	ds_read2_b64 v[204:207], v200 offset0:64 offset1:65
	v_mul_f64 v[198:199], v[188:189], v[58:59]
	v_fmac_f64_e32 v[198:199], v[190:191], v[56:57]
	v_mul_f64 v[58:59], v[190:191], v[58:59]
	v_fma_f64 v[56:57], v[188:189], v[56:57], -v[58:59]
	ds_read2_b64 v[188:191], v200 offset0:66 offset1:67
	s_waitcnt lgkmcnt(1)
	v_mul_f64 v[58:59], v[206:207], v[198:199]
	v_fma_f64 v[58:59], v[204:205], v[56:57], -v[58:59]
	v_mul_f64 v[204:205], v[204:205], v[198:199]
	v_fmac_f64_e32 v[204:205], v[206:207], v[56:57]
	s_waitcnt vmcnt(14)
	v_add_f64 v[54:55], v[54:55], -v[204:205]
	ds_read2_b64 v[204:207], v200 offset0:68 offset1:69
	v_add_f64 v[52:53], v[52:53], -v[58:59]
	s_waitcnt lgkmcnt(1)
	v_mul_f64 v[58:59], v[190:191], v[198:199]
	v_fma_f64 v[58:59], v[188:189], v[56:57], -v[58:59]
	v_mul_f64 v[188:189], v[188:189], v[198:199]
	v_fmac_f64_e32 v[188:189], v[190:191], v[56:57]
	s_waitcnt vmcnt(13)
	v_add_f64 v[48:49], v[48:49], -v[58:59]
	v_add_f64 v[50:51], v[50:51], -v[188:189]
	ds_read2_b64 v[188:191], v200 offset0:70 offset1:71
	s_waitcnt lgkmcnt(1)
	v_mul_f64 v[58:59], v[206:207], v[198:199]
	v_fma_f64 v[58:59], v[204:205], v[56:57], -v[58:59]
	v_mul_f64 v[204:205], v[204:205], v[198:199]
	v_fmac_f64_e32 v[204:205], v[206:207], v[56:57]
	s_waitcnt vmcnt(12)
	v_add_f64 v[46:47], v[46:47], -v[204:205]
	ds_read2_b64 v[204:207], v200 offset0:72 offset1:73
	v_add_f64 v[44:45], v[44:45], -v[58:59]
	s_waitcnt lgkmcnt(1)
	v_mul_f64 v[58:59], v[190:191], v[198:199]
	v_fma_f64 v[58:59], v[188:189], v[56:57], -v[58:59]
	v_mul_f64 v[188:189], v[188:189], v[198:199]
	v_fmac_f64_e32 v[188:189], v[190:191], v[56:57]
	s_waitcnt vmcnt(11)
	v_add_f64 v[40:41], v[40:41], -v[58:59]
	v_add_f64 v[42:43], v[42:43], -v[188:189]
	;; [unrolled: 18-line block ×7, first 2 shown]
	s_waitcnt lgkmcnt(0)
	v_mul_f64 v[58:59], v[206:207], v[198:199]
	v_mul_f64 v[188:189], v[204:205], v[198:199]
	v_fma_f64 v[58:59], v[204:205], v[56:57], -v[58:59]
	v_fmac_f64_e32 v[188:189], v[206:207], v[56:57]
	s_waitcnt vmcnt(0)
	v_add_f64 v[184:185], v[184:185], -v[58:59]
	v_add_f64 v[186:187], v[186:187], -v[188:189]
	v_mov_b64_e32 v[58:59], v[198:199]
.LBB92_671:
	s_or_b64 exec, exec, s[0:1]
	v_lshl_add_u32 v188, v201, 4, v200
	s_barrier
	s_waitcnt vmcnt(14)
	ds_write2_b64 v188, v[52:53], v[54:55] offset1:1
	s_waitcnt lgkmcnt(0)
	s_barrier
	ds_read2_b64 v[188:191], v200 offset0:64 offset1:65
	s_cmp_lt_i32 s20, 34
	v_mov_b32_e32 v198, 32
	s_cbranch_scc1 .LBB92_674
; %bb.672:
	v_add_u32_e32 v199, 0x210, v200
	s_mov_b32 s16, 33
	v_mov_b32_e32 v198, 32
.LBB92_673:                             ; =>This Inner Loop Header: Depth=1
	ds_read2_b64 v[204:207], v199 offset1:1
	s_waitcnt lgkmcnt(1)
	v_xor_b32_e32 v209, 0x80000000, v189
	v_xor_b32_e32 v211, 0x80000000, v191
	v_cmp_gt_f64_e32 vcc, 0, v[190:191]
	v_cmp_gt_f64_e64 s[0:1], 0, v[188:189]
	v_mov_b32_e32 v208, v188
	v_mov_b32_e32 v210, v190
	v_cndmask_b32_e64 v209, v189, v209, s[0:1]
	v_cndmask_b32_e32 v211, v191, v211, vcc
	v_add_f64 v[208:209], v[208:209], v[210:211]
	s_waitcnt lgkmcnt(0)
	v_xor_b32_e32 v211, 0x80000000, v205
	v_xor_b32_e32 v213, 0x80000000, v207
	v_cmp_gt_f64_e32 vcc, 0, v[206:207]
	v_cmp_gt_f64_e64 s[0:1], 0, v[204:205]
	v_mov_b32_e32 v210, v204
	v_mov_b32_e32 v212, v206
	v_cndmask_b32_e64 v211, v205, v211, s[0:1]
	v_cndmask_b32_e32 v213, v207, v213, vcc
	v_add_f64 v[210:211], v[210:211], v[212:213]
	v_mov_b32_e32 v214, s16
	s_add_i32 s16, s16, 1
	v_cmp_lt_f64_e32 vcc, v[208:209], v[210:211]
	v_add_u32_e32 v199, 16, v199
	s_cmp_lg_u32 s20, s16
	v_cndmask_b32_e32 v189, v189, v205, vcc
	v_cndmask_b32_e32 v188, v188, v204, vcc
	;; [unrolled: 1-line block ×5, first 2 shown]
	s_cbranch_scc1 .LBB92_673
.LBB92_674:
	s_waitcnt lgkmcnt(0)
	v_cmp_eq_f64_e32 vcc, 0, v[188:189]
	v_cmp_eq_f64_e64 s[0:1], 0, v[190:191]
	s_and_b64 s[0:1], vcc, s[0:1]
	s_and_saveexec_b64 s[16:17], s[0:1]
	s_xor_b64 s[0:1], exec, s[16:17]
; %bb.675:
	v_cmp_ne_u32_e32 vcc, 0, v202
	s_nop 1
	v_cndmask_b32_e32 v202, 33, v202, vcc
; %bb.676:
	s_andn2_saveexec_b64 s[0:1], s[0:1]
	s_cbranch_execz .LBB92_682
; %bb.677:
	v_cmp_ngt_f64_e64 s[16:17], |v[188:189]|, |v[190:191]|
	s_and_saveexec_b64 s[18:19], s[16:17]
	s_xor_b64 s[16:17], exec, s[18:19]
	s_cbranch_execz .LBB92_679
; %bb.678:
	v_div_scale_f64 v[204:205], s[18:19], v[190:191], v[190:191], v[188:189]
	v_rcp_f64_e32 v[206:207], v[204:205]
	v_div_scale_f64 v[208:209], vcc, v[188:189], v[190:191], v[188:189]
	v_fma_f64 v[210:211], -v[204:205], v[206:207], 1.0
	v_fmac_f64_e32 v[206:207], v[206:207], v[210:211]
	v_fma_f64 v[210:211], -v[204:205], v[206:207], 1.0
	v_fmac_f64_e32 v[206:207], v[206:207], v[210:211]
	v_mul_f64 v[210:211], v[208:209], v[206:207]
	v_fma_f64 v[204:205], -v[204:205], v[210:211], v[208:209]
	v_div_fmas_f64 v[204:205], v[204:205], v[206:207], v[210:211]
	v_div_fixup_f64 v[204:205], v[204:205], v[190:191], v[188:189]
	v_fmac_f64_e32 v[190:191], v[188:189], v[204:205]
	v_div_scale_f64 v[188:189], s[18:19], v[190:191], v[190:191], 1.0
	v_rcp_f64_e32 v[206:207], v[188:189]
	s_nop 0
	v_fma_f64 v[208:209], -v[188:189], v[206:207], 1.0
	v_fmac_f64_e32 v[206:207], v[206:207], v[208:209]
	v_fma_f64 v[208:209], -v[188:189], v[206:207], 1.0
	v_fmac_f64_e32 v[206:207], v[206:207], v[208:209]
	v_div_scale_f64 v[208:209], vcc, 1.0, v[190:191], 1.0
	v_mul_f64 v[210:211], v[208:209], v[206:207]
	v_fma_f64 v[188:189], -v[188:189], v[210:211], v[208:209]
	s_nop 1
	v_div_fmas_f64 v[188:189], v[188:189], v[206:207], v[210:211]
	v_div_fixup_f64 v[190:191], v[188:189], v[190:191], 1.0
	v_mul_f64 v[188:189], v[204:205], v[190:191]
	v_xor_b32_e32 v191, 0x80000000, v191
.LBB92_679:
	s_andn2_saveexec_b64 s[16:17], s[16:17]
	s_cbranch_execz .LBB92_681
; %bb.680:
	v_div_scale_f64 v[204:205], s[18:19], v[188:189], v[188:189], v[190:191]
	v_rcp_f64_e32 v[206:207], v[204:205]
	v_div_scale_f64 v[208:209], vcc, v[190:191], v[188:189], v[190:191]
	v_fma_f64 v[210:211], -v[204:205], v[206:207], 1.0
	v_fmac_f64_e32 v[206:207], v[206:207], v[210:211]
	v_fma_f64 v[210:211], -v[204:205], v[206:207], 1.0
	v_fmac_f64_e32 v[206:207], v[206:207], v[210:211]
	v_mul_f64 v[210:211], v[208:209], v[206:207]
	v_fma_f64 v[204:205], -v[204:205], v[210:211], v[208:209]
	v_div_fmas_f64 v[204:205], v[204:205], v[206:207], v[210:211]
	v_div_fixup_f64 v[204:205], v[204:205], v[188:189], v[190:191]
	v_fmac_f64_e32 v[188:189], v[190:191], v[204:205]
	v_div_scale_f64 v[190:191], s[18:19], v[188:189], v[188:189], 1.0
	v_rcp_f64_e32 v[206:207], v[190:191]
	s_nop 0
	v_fma_f64 v[208:209], -v[190:191], v[206:207], 1.0
	v_fmac_f64_e32 v[206:207], v[206:207], v[208:209]
	v_fma_f64 v[208:209], -v[190:191], v[206:207], 1.0
	v_fmac_f64_e32 v[206:207], v[206:207], v[208:209]
	v_div_scale_f64 v[208:209], vcc, 1.0, v[188:189], 1.0
	v_mul_f64 v[210:211], v[208:209], v[206:207]
	v_fma_f64 v[190:191], -v[190:191], v[210:211], v[208:209]
	s_nop 1
	v_div_fmas_f64 v[190:191], v[190:191], v[206:207], v[210:211]
	v_div_fixup_f64 v[188:189], v[190:191], v[188:189], 1.0
	v_mul_f64 v[190:191], v[204:205], -v[188:189]
.LBB92_681:
	s_or_b64 exec, exec, s[16:17]
.LBB92_682:
	s_or_b64 exec, exec, s[0:1]
	v_cmp_ne_u32_e32 vcc, v201, v198
	s_and_saveexec_b64 s[0:1], vcc
	s_xor_b64 s[0:1], exec, s[0:1]
	s_cbranch_execz .LBB92_688
; %bb.683:
	v_cmp_eq_u32_e32 vcc, 32, v201
	s_and_saveexec_b64 s[16:17], vcc
	s_cbranch_execz .LBB92_687
; %bb.684:
	v_cmp_ne_u32_e32 vcc, 32, v198
	s_xor_b64 s[18:19], s[14:15], -1
	s_and_b64 s[22:23], s[18:19], vcc
	s_and_saveexec_b64 s[18:19], s[22:23]
	s_cbranch_execz .LBB92_686
; %bb.685:
	v_ashrrev_i32_e32 v199, 31, v198
	v_lshl_add_u64 v[204:205], v[198:199], 2, v[196:197]
	global_load_dword v199, v[204:205], off
	global_load_dword v201, v[196:197], off offset:128
	s_waitcnt vmcnt(1)
	global_store_dword v[196:197], v199, off offset:128
	s_waitcnt vmcnt(1)
	global_store_dword v[204:205], v201, off
.LBB92_686:
	s_or_b64 exec, exec, s[18:19]
	v_mov_b32_e32 v201, v198
	v_mov_b32_e32 v203, v198
.LBB92_687:
	s_or_b64 exec, exec, s[16:17]
.LBB92_688:
	s_andn2_saveexec_b64 s[0:1], s[0:1]
	s_cbranch_execz .LBB92_690
; %bb.689:
	v_mov_b32_e32 v201, 32
	s_waitcnt vmcnt(13)
	ds_write2_b64 v200, v[48:49], v[50:51] offset0:66 offset1:67
	s_waitcnt vmcnt(12)
	ds_write2_b64 v200, v[44:45], v[46:47] offset0:68 offset1:69
	;; [unrolled: 2-line block ×14, first 2 shown]
.LBB92_690:
	s_or_b64 exec, exec, s[0:1]
	v_cmp_lt_i32_e32 vcc, 32, v201
	s_waitcnt lgkmcnt(0)
	s_barrier
	s_and_saveexec_b64 s[0:1], vcc
	s_cbranch_execz .LBB92_692
; %bb.691:
	ds_read2_b64 v[204:207], v200 offset0:66 offset1:67
	v_mul_f64 v[198:199], v[188:189], v[54:55]
	v_mul_f64 v[54:55], v[190:191], v[54:55]
	v_fmac_f64_e32 v[198:199], v[190:191], v[52:53]
	v_fma_f64 v[52:53], v[188:189], v[52:53], -v[54:55]
	ds_read2_b64 v[188:191], v200 offset0:68 offset1:69
	s_waitcnt lgkmcnt(1)
	v_mul_f64 v[54:55], v[206:207], v[198:199]
	v_fma_f64 v[54:55], v[204:205], v[52:53], -v[54:55]
	v_mul_f64 v[204:205], v[204:205], v[198:199]
	v_fmac_f64_e32 v[204:205], v[206:207], v[52:53]
	s_waitcnt vmcnt(13)
	v_add_f64 v[48:49], v[48:49], -v[54:55]
	s_waitcnt lgkmcnt(0)
	v_mul_f64 v[54:55], v[190:191], v[198:199]
	v_add_f64 v[50:51], v[50:51], -v[204:205]
	v_fma_f64 v[54:55], v[188:189], v[52:53], -v[54:55]
	v_mul_f64 v[188:189], v[188:189], v[198:199]
	ds_read2_b64 v[204:207], v200 offset0:70 offset1:71
	v_fmac_f64_e32 v[188:189], v[190:191], v[52:53]
	s_waitcnt vmcnt(12)
	v_add_f64 v[46:47], v[46:47], -v[188:189]
	ds_read2_b64 v[188:191], v200 offset0:72 offset1:73
	v_add_f64 v[44:45], v[44:45], -v[54:55]
	s_waitcnt lgkmcnt(1)
	v_mul_f64 v[54:55], v[206:207], v[198:199]
	v_fma_f64 v[54:55], v[204:205], v[52:53], -v[54:55]
	v_mul_f64 v[204:205], v[204:205], v[198:199]
	v_fmac_f64_e32 v[204:205], v[206:207], v[52:53]
	s_waitcnt vmcnt(11)
	v_add_f64 v[40:41], v[40:41], -v[54:55]
	s_waitcnt lgkmcnt(0)
	v_mul_f64 v[54:55], v[190:191], v[198:199]
	v_add_f64 v[42:43], v[42:43], -v[204:205]
	v_fma_f64 v[54:55], v[188:189], v[52:53], -v[54:55]
	v_mul_f64 v[188:189], v[188:189], v[198:199]
	ds_read2_b64 v[204:207], v200 offset0:74 offset1:75
	v_fmac_f64_e32 v[188:189], v[190:191], v[52:53]
	s_waitcnt vmcnt(10)
	v_add_f64 v[38:39], v[38:39], -v[188:189]
	ds_read2_b64 v[188:191], v200 offset0:76 offset1:77
	v_add_f64 v[36:37], v[36:37], -v[54:55]
	;; [unrolled: 18-line block ×6, first 2 shown]
	s_waitcnt lgkmcnt(1)
	v_mul_f64 v[54:55], v[206:207], v[198:199]
	v_fma_f64 v[54:55], v[204:205], v[52:53], -v[54:55]
	s_waitcnt vmcnt(1)
	v_add_f64 v[0:1], v[0:1], -v[54:55]
	s_waitcnt lgkmcnt(0)
	v_mul_f64 v[54:55], v[190:191], v[198:199]
	v_mul_f64 v[204:205], v[204:205], v[198:199]
	v_fma_f64 v[54:55], v[188:189], v[52:53], -v[54:55]
	v_mul_f64 v[188:189], v[188:189], v[198:199]
	v_fmac_f64_e32 v[204:205], v[206:207], v[52:53]
	v_fmac_f64_e32 v[188:189], v[190:191], v[52:53]
	v_add_f64 v[2:3], v[2:3], -v[204:205]
	s_waitcnt vmcnt(0)
	v_add_f64 v[184:185], v[184:185], -v[54:55]
	v_add_f64 v[186:187], v[186:187], -v[188:189]
	v_mov_b64_e32 v[54:55], v[198:199]
.LBB92_692:
	s_or_b64 exec, exec, s[0:1]
	v_lshl_add_u32 v188, v201, 4, v200
	s_barrier
	s_waitcnt vmcnt(13)
	ds_write2_b64 v188, v[48:49], v[50:51] offset1:1
	s_waitcnt lgkmcnt(0)
	s_barrier
	ds_read2_b64 v[188:191], v200 offset0:66 offset1:67
	s_cmp_lt_i32 s20, 35
	v_mov_b32_e32 v198, 33
	s_cbranch_scc1 .LBB92_695
; %bb.693:
	v_add_u32_e32 v199, 0x220, v200
	s_mov_b32 s16, 34
	v_mov_b32_e32 v198, 33
.LBB92_694:                             ; =>This Inner Loop Header: Depth=1
	ds_read2_b64 v[204:207], v199 offset1:1
	s_waitcnt lgkmcnt(1)
	v_xor_b32_e32 v209, 0x80000000, v189
	v_xor_b32_e32 v211, 0x80000000, v191
	v_cmp_gt_f64_e32 vcc, 0, v[190:191]
	v_cmp_gt_f64_e64 s[0:1], 0, v[188:189]
	v_mov_b32_e32 v208, v188
	v_mov_b32_e32 v210, v190
	v_cndmask_b32_e64 v209, v189, v209, s[0:1]
	v_cndmask_b32_e32 v211, v191, v211, vcc
	v_add_f64 v[208:209], v[208:209], v[210:211]
	s_waitcnt lgkmcnt(0)
	v_xor_b32_e32 v211, 0x80000000, v205
	v_xor_b32_e32 v213, 0x80000000, v207
	v_cmp_gt_f64_e32 vcc, 0, v[206:207]
	v_cmp_gt_f64_e64 s[0:1], 0, v[204:205]
	v_mov_b32_e32 v210, v204
	v_mov_b32_e32 v212, v206
	v_cndmask_b32_e64 v211, v205, v211, s[0:1]
	v_cndmask_b32_e32 v213, v207, v213, vcc
	v_add_f64 v[210:211], v[210:211], v[212:213]
	v_mov_b32_e32 v214, s16
	s_add_i32 s16, s16, 1
	v_cmp_lt_f64_e32 vcc, v[208:209], v[210:211]
	v_add_u32_e32 v199, 16, v199
	s_cmp_lg_u32 s20, s16
	v_cndmask_b32_e32 v189, v189, v205, vcc
	v_cndmask_b32_e32 v188, v188, v204, vcc
	;; [unrolled: 1-line block ×5, first 2 shown]
	s_cbranch_scc1 .LBB92_694
.LBB92_695:
	s_waitcnt lgkmcnt(0)
	v_cmp_eq_f64_e32 vcc, 0, v[188:189]
	v_cmp_eq_f64_e64 s[0:1], 0, v[190:191]
	s_and_b64 s[0:1], vcc, s[0:1]
	s_and_saveexec_b64 s[16:17], s[0:1]
	s_xor_b64 s[0:1], exec, s[16:17]
; %bb.696:
	v_cmp_ne_u32_e32 vcc, 0, v202
	s_nop 1
	v_cndmask_b32_e32 v202, 34, v202, vcc
; %bb.697:
	s_andn2_saveexec_b64 s[0:1], s[0:1]
	s_cbranch_execz .LBB92_703
; %bb.698:
	v_cmp_ngt_f64_e64 s[16:17], |v[188:189]|, |v[190:191]|
	s_and_saveexec_b64 s[18:19], s[16:17]
	s_xor_b64 s[16:17], exec, s[18:19]
	s_cbranch_execz .LBB92_700
; %bb.699:
	v_div_scale_f64 v[204:205], s[18:19], v[190:191], v[190:191], v[188:189]
	v_rcp_f64_e32 v[206:207], v[204:205]
	v_div_scale_f64 v[208:209], vcc, v[188:189], v[190:191], v[188:189]
	v_fma_f64 v[210:211], -v[204:205], v[206:207], 1.0
	v_fmac_f64_e32 v[206:207], v[206:207], v[210:211]
	v_fma_f64 v[210:211], -v[204:205], v[206:207], 1.0
	v_fmac_f64_e32 v[206:207], v[206:207], v[210:211]
	v_mul_f64 v[210:211], v[208:209], v[206:207]
	v_fma_f64 v[204:205], -v[204:205], v[210:211], v[208:209]
	v_div_fmas_f64 v[204:205], v[204:205], v[206:207], v[210:211]
	v_div_fixup_f64 v[204:205], v[204:205], v[190:191], v[188:189]
	v_fmac_f64_e32 v[190:191], v[188:189], v[204:205]
	v_div_scale_f64 v[188:189], s[18:19], v[190:191], v[190:191], 1.0
	v_rcp_f64_e32 v[206:207], v[188:189]
	s_nop 0
	v_fma_f64 v[208:209], -v[188:189], v[206:207], 1.0
	v_fmac_f64_e32 v[206:207], v[206:207], v[208:209]
	v_fma_f64 v[208:209], -v[188:189], v[206:207], 1.0
	v_fmac_f64_e32 v[206:207], v[206:207], v[208:209]
	v_div_scale_f64 v[208:209], vcc, 1.0, v[190:191], 1.0
	v_mul_f64 v[210:211], v[208:209], v[206:207]
	v_fma_f64 v[188:189], -v[188:189], v[210:211], v[208:209]
	s_nop 1
	v_div_fmas_f64 v[188:189], v[188:189], v[206:207], v[210:211]
	v_div_fixup_f64 v[190:191], v[188:189], v[190:191], 1.0
	v_mul_f64 v[188:189], v[204:205], v[190:191]
	v_xor_b32_e32 v191, 0x80000000, v191
.LBB92_700:
	s_andn2_saveexec_b64 s[16:17], s[16:17]
	s_cbranch_execz .LBB92_702
; %bb.701:
	v_div_scale_f64 v[204:205], s[18:19], v[188:189], v[188:189], v[190:191]
	v_rcp_f64_e32 v[206:207], v[204:205]
	v_div_scale_f64 v[208:209], vcc, v[190:191], v[188:189], v[190:191]
	v_fma_f64 v[210:211], -v[204:205], v[206:207], 1.0
	v_fmac_f64_e32 v[206:207], v[206:207], v[210:211]
	v_fma_f64 v[210:211], -v[204:205], v[206:207], 1.0
	v_fmac_f64_e32 v[206:207], v[206:207], v[210:211]
	v_mul_f64 v[210:211], v[208:209], v[206:207]
	v_fma_f64 v[204:205], -v[204:205], v[210:211], v[208:209]
	v_div_fmas_f64 v[204:205], v[204:205], v[206:207], v[210:211]
	v_div_fixup_f64 v[204:205], v[204:205], v[188:189], v[190:191]
	v_fmac_f64_e32 v[188:189], v[190:191], v[204:205]
	v_div_scale_f64 v[190:191], s[18:19], v[188:189], v[188:189], 1.0
	v_rcp_f64_e32 v[206:207], v[190:191]
	s_nop 0
	v_fma_f64 v[208:209], -v[190:191], v[206:207], 1.0
	v_fmac_f64_e32 v[206:207], v[206:207], v[208:209]
	v_fma_f64 v[208:209], -v[190:191], v[206:207], 1.0
	v_fmac_f64_e32 v[206:207], v[206:207], v[208:209]
	v_div_scale_f64 v[208:209], vcc, 1.0, v[188:189], 1.0
	v_mul_f64 v[210:211], v[208:209], v[206:207]
	v_fma_f64 v[190:191], -v[190:191], v[210:211], v[208:209]
	s_nop 1
	v_div_fmas_f64 v[190:191], v[190:191], v[206:207], v[210:211]
	v_div_fixup_f64 v[188:189], v[190:191], v[188:189], 1.0
	v_mul_f64 v[190:191], v[204:205], -v[188:189]
.LBB92_702:
	s_or_b64 exec, exec, s[16:17]
.LBB92_703:
	s_or_b64 exec, exec, s[0:1]
	v_cmp_ne_u32_e32 vcc, v201, v198
	s_and_saveexec_b64 s[0:1], vcc
	s_xor_b64 s[0:1], exec, s[0:1]
	s_cbranch_execz .LBB92_709
; %bb.704:
	v_cmp_eq_u32_e32 vcc, 33, v201
	s_and_saveexec_b64 s[16:17], vcc
	s_cbranch_execz .LBB92_708
; %bb.705:
	v_cmp_ne_u32_e32 vcc, 33, v198
	s_xor_b64 s[18:19], s[14:15], -1
	s_and_b64 s[22:23], s[18:19], vcc
	s_and_saveexec_b64 s[18:19], s[22:23]
	s_cbranch_execz .LBB92_707
; %bb.706:
	v_ashrrev_i32_e32 v199, 31, v198
	v_lshl_add_u64 v[204:205], v[198:199], 2, v[196:197]
	global_load_dword v199, v[204:205], off
	global_load_dword v201, v[196:197], off offset:132
	s_waitcnt vmcnt(1)
	global_store_dword v[196:197], v199, off offset:132
	s_waitcnt vmcnt(1)
	global_store_dword v[204:205], v201, off
.LBB92_707:
	s_or_b64 exec, exec, s[18:19]
	v_mov_b32_e32 v201, v198
	v_mov_b32_e32 v203, v198
.LBB92_708:
	s_or_b64 exec, exec, s[16:17]
.LBB92_709:
	s_andn2_saveexec_b64 s[0:1], s[0:1]
	s_cbranch_execz .LBB92_711
; %bb.710:
	v_mov_b32_e32 v201, 33
	s_waitcnt vmcnt(12)
	ds_write2_b64 v200, v[44:45], v[46:47] offset0:68 offset1:69
	s_waitcnt vmcnt(11)
	ds_write2_b64 v200, v[40:41], v[42:43] offset0:70 offset1:71
	;; [unrolled: 2-line block ×13, first 2 shown]
.LBB92_711:
	s_or_b64 exec, exec, s[0:1]
	v_cmp_lt_i32_e32 vcc, 33, v201
	s_waitcnt lgkmcnt(0)
	s_barrier
	s_and_saveexec_b64 s[0:1], vcc
	s_cbranch_execz .LBB92_713
; %bb.712:
	ds_read2_b64 v[204:207], v200 offset0:68 offset1:69
	v_mul_f64 v[198:199], v[188:189], v[50:51]
	v_fmac_f64_e32 v[198:199], v[190:191], v[48:49]
	v_mul_f64 v[50:51], v[190:191], v[50:51]
	v_fma_f64 v[48:49], v[188:189], v[48:49], -v[50:51]
	ds_read2_b64 v[188:191], v200 offset0:70 offset1:71
	s_waitcnt lgkmcnt(1)
	v_mul_f64 v[50:51], v[206:207], v[198:199]
	v_fma_f64 v[50:51], v[204:205], v[48:49], -v[50:51]
	v_mul_f64 v[204:205], v[204:205], v[198:199]
	v_fmac_f64_e32 v[204:205], v[206:207], v[48:49]
	s_waitcnt vmcnt(12)
	v_add_f64 v[46:47], v[46:47], -v[204:205]
	ds_read2_b64 v[204:207], v200 offset0:72 offset1:73
	v_add_f64 v[44:45], v[44:45], -v[50:51]
	s_waitcnt lgkmcnt(1)
	v_mul_f64 v[50:51], v[190:191], v[198:199]
	v_fma_f64 v[50:51], v[188:189], v[48:49], -v[50:51]
	v_mul_f64 v[188:189], v[188:189], v[198:199]
	v_fmac_f64_e32 v[188:189], v[190:191], v[48:49]
	s_waitcnt vmcnt(11)
	v_add_f64 v[40:41], v[40:41], -v[50:51]
	v_add_f64 v[42:43], v[42:43], -v[188:189]
	ds_read2_b64 v[188:191], v200 offset0:74 offset1:75
	s_waitcnt lgkmcnt(1)
	v_mul_f64 v[50:51], v[206:207], v[198:199]
	v_fma_f64 v[50:51], v[204:205], v[48:49], -v[50:51]
	v_mul_f64 v[204:205], v[204:205], v[198:199]
	v_fmac_f64_e32 v[204:205], v[206:207], v[48:49]
	s_waitcnt vmcnt(10)
	v_add_f64 v[38:39], v[38:39], -v[204:205]
	ds_read2_b64 v[204:207], v200 offset0:76 offset1:77
	v_add_f64 v[36:37], v[36:37], -v[50:51]
	s_waitcnt lgkmcnt(1)
	v_mul_f64 v[50:51], v[190:191], v[198:199]
	v_fma_f64 v[50:51], v[188:189], v[48:49], -v[50:51]
	v_mul_f64 v[188:189], v[188:189], v[198:199]
	v_fmac_f64_e32 v[188:189], v[190:191], v[48:49]
	s_waitcnt vmcnt(9)
	v_add_f64 v[32:33], v[32:33], -v[50:51]
	v_add_f64 v[34:35], v[34:35], -v[188:189]
	;; [unrolled: 18-line block ×6, first 2 shown]
	s_waitcnt lgkmcnt(0)
	v_mul_f64 v[50:51], v[206:207], v[198:199]
	v_mul_f64 v[188:189], v[204:205], v[198:199]
	v_fma_f64 v[50:51], v[204:205], v[48:49], -v[50:51]
	v_fmac_f64_e32 v[188:189], v[206:207], v[48:49]
	s_waitcnt vmcnt(0)
	v_add_f64 v[184:185], v[184:185], -v[50:51]
	v_add_f64 v[186:187], v[186:187], -v[188:189]
	v_mov_b64_e32 v[50:51], v[198:199]
.LBB92_713:
	s_or_b64 exec, exec, s[0:1]
	v_lshl_add_u32 v188, v201, 4, v200
	s_barrier
	s_waitcnt vmcnt(12)
	ds_write2_b64 v188, v[44:45], v[46:47] offset1:1
	s_waitcnt lgkmcnt(0)
	s_barrier
	ds_read2_b64 v[188:191], v200 offset0:68 offset1:69
	s_cmp_lt_i32 s20, 36
	v_mov_b32_e32 v198, 34
	s_cbranch_scc1 .LBB92_716
; %bb.714:
	v_add_u32_e32 v199, 0x230, v200
	s_mov_b32 s16, 35
	v_mov_b32_e32 v198, 34
.LBB92_715:                             ; =>This Inner Loop Header: Depth=1
	ds_read2_b64 v[204:207], v199 offset1:1
	s_waitcnt lgkmcnt(1)
	v_xor_b32_e32 v209, 0x80000000, v189
	v_xor_b32_e32 v211, 0x80000000, v191
	v_cmp_gt_f64_e32 vcc, 0, v[190:191]
	v_cmp_gt_f64_e64 s[0:1], 0, v[188:189]
	v_mov_b32_e32 v208, v188
	v_mov_b32_e32 v210, v190
	v_cndmask_b32_e64 v209, v189, v209, s[0:1]
	v_cndmask_b32_e32 v211, v191, v211, vcc
	v_add_f64 v[208:209], v[208:209], v[210:211]
	s_waitcnt lgkmcnt(0)
	v_xor_b32_e32 v211, 0x80000000, v205
	v_xor_b32_e32 v213, 0x80000000, v207
	v_cmp_gt_f64_e32 vcc, 0, v[206:207]
	v_cmp_gt_f64_e64 s[0:1], 0, v[204:205]
	v_mov_b32_e32 v210, v204
	v_mov_b32_e32 v212, v206
	v_cndmask_b32_e64 v211, v205, v211, s[0:1]
	v_cndmask_b32_e32 v213, v207, v213, vcc
	v_add_f64 v[210:211], v[210:211], v[212:213]
	v_mov_b32_e32 v214, s16
	s_add_i32 s16, s16, 1
	v_cmp_lt_f64_e32 vcc, v[208:209], v[210:211]
	v_add_u32_e32 v199, 16, v199
	s_cmp_lg_u32 s20, s16
	v_cndmask_b32_e32 v189, v189, v205, vcc
	v_cndmask_b32_e32 v188, v188, v204, vcc
	v_cndmask_b32_e32 v191, v191, v207, vcc
	v_cndmask_b32_e32 v190, v190, v206, vcc
	v_cndmask_b32_e32 v198, v198, v214, vcc
	s_cbranch_scc1 .LBB92_715
.LBB92_716:
	s_waitcnt lgkmcnt(0)
	v_cmp_eq_f64_e32 vcc, 0, v[188:189]
	v_cmp_eq_f64_e64 s[0:1], 0, v[190:191]
	s_and_b64 s[0:1], vcc, s[0:1]
	s_and_saveexec_b64 s[16:17], s[0:1]
	s_xor_b64 s[0:1], exec, s[16:17]
; %bb.717:
	v_cmp_ne_u32_e32 vcc, 0, v202
	s_nop 1
	v_cndmask_b32_e32 v202, 35, v202, vcc
; %bb.718:
	s_andn2_saveexec_b64 s[0:1], s[0:1]
	s_cbranch_execz .LBB92_724
; %bb.719:
	v_cmp_ngt_f64_e64 s[16:17], |v[188:189]|, |v[190:191]|
	s_and_saveexec_b64 s[18:19], s[16:17]
	s_xor_b64 s[16:17], exec, s[18:19]
	s_cbranch_execz .LBB92_721
; %bb.720:
	v_div_scale_f64 v[204:205], s[18:19], v[190:191], v[190:191], v[188:189]
	v_rcp_f64_e32 v[206:207], v[204:205]
	v_div_scale_f64 v[208:209], vcc, v[188:189], v[190:191], v[188:189]
	v_fma_f64 v[210:211], -v[204:205], v[206:207], 1.0
	v_fmac_f64_e32 v[206:207], v[206:207], v[210:211]
	v_fma_f64 v[210:211], -v[204:205], v[206:207], 1.0
	v_fmac_f64_e32 v[206:207], v[206:207], v[210:211]
	v_mul_f64 v[210:211], v[208:209], v[206:207]
	v_fma_f64 v[204:205], -v[204:205], v[210:211], v[208:209]
	v_div_fmas_f64 v[204:205], v[204:205], v[206:207], v[210:211]
	v_div_fixup_f64 v[204:205], v[204:205], v[190:191], v[188:189]
	v_fmac_f64_e32 v[190:191], v[188:189], v[204:205]
	v_div_scale_f64 v[188:189], s[18:19], v[190:191], v[190:191], 1.0
	v_rcp_f64_e32 v[206:207], v[188:189]
	s_nop 0
	v_fma_f64 v[208:209], -v[188:189], v[206:207], 1.0
	v_fmac_f64_e32 v[206:207], v[206:207], v[208:209]
	v_fma_f64 v[208:209], -v[188:189], v[206:207], 1.0
	v_fmac_f64_e32 v[206:207], v[206:207], v[208:209]
	v_div_scale_f64 v[208:209], vcc, 1.0, v[190:191], 1.0
	v_mul_f64 v[210:211], v[208:209], v[206:207]
	v_fma_f64 v[188:189], -v[188:189], v[210:211], v[208:209]
	s_nop 1
	v_div_fmas_f64 v[188:189], v[188:189], v[206:207], v[210:211]
	v_div_fixup_f64 v[190:191], v[188:189], v[190:191], 1.0
	v_mul_f64 v[188:189], v[204:205], v[190:191]
	v_xor_b32_e32 v191, 0x80000000, v191
.LBB92_721:
	s_andn2_saveexec_b64 s[16:17], s[16:17]
	s_cbranch_execz .LBB92_723
; %bb.722:
	v_div_scale_f64 v[204:205], s[18:19], v[188:189], v[188:189], v[190:191]
	v_rcp_f64_e32 v[206:207], v[204:205]
	v_div_scale_f64 v[208:209], vcc, v[190:191], v[188:189], v[190:191]
	v_fma_f64 v[210:211], -v[204:205], v[206:207], 1.0
	v_fmac_f64_e32 v[206:207], v[206:207], v[210:211]
	v_fma_f64 v[210:211], -v[204:205], v[206:207], 1.0
	v_fmac_f64_e32 v[206:207], v[206:207], v[210:211]
	v_mul_f64 v[210:211], v[208:209], v[206:207]
	v_fma_f64 v[204:205], -v[204:205], v[210:211], v[208:209]
	v_div_fmas_f64 v[204:205], v[204:205], v[206:207], v[210:211]
	v_div_fixup_f64 v[204:205], v[204:205], v[188:189], v[190:191]
	v_fmac_f64_e32 v[188:189], v[190:191], v[204:205]
	v_div_scale_f64 v[190:191], s[18:19], v[188:189], v[188:189], 1.0
	v_rcp_f64_e32 v[206:207], v[190:191]
	s_nop 0
	v_fma_f64 v[208:209], -v[190:191], v[206:207], 1.0
	v_fmac_f64_e32 v[206:207], v[206:207], v[208:209]
	v_fma_f64 v[208:209], -v[190:191], v[206:207], 1.0
	v_fmac_f64_e32 v[206:207], v[206:207], v[208:209]
	v_div_scale_f64 v[208:209], vcc, 1.0, v[188:189], 1.0
	v_mul_f64 v[210:211], v[208:209], v[206:207]
	v_fma_f64 v[190:191], -v[190:191], v[210:211], v[208:209]
	s_nop 1
	v_div_fmas_f64 v[190:191], v[190:191], v[206:207], v[210:211]
	v_div_fixup_f64 v[188:189], v[190:191], v[188:189], 1.0
	v_mul_f64 v[190:191], v[204:205], -v[188:189]
.LBB92_723:
	s_or_b64 exec, exec, s[16:17]
.LBB92_724:
	s_or_b64 exec, exec, s[0:1]
	v_cmp_ne_u32_e32 vcc, v201, v198
	s_and_saveexec_b64 s[0:1], vcc
	s_xor_b64 s[0:1], exec, s[0:1]
	s_cbranch_execz .LBB92_730
; %bb.725:
	v_cmp_eq_u32_e32 vcc, 34, v201
	s_and_saveexec_b64 s[16:17], vcc
	s_cbranch_execz .LBB92_729
; %bb.726:
	v_cmp_ne_u32_e32 vcc, 34, v198
	s_xor_b64 s[18:19], s[14:15], -1
	s_and_b64 s[22:23], s[18:19], vcc
	s_and_saveexec_b64 s[18:19], s[22:23]
	s_cbranch_execz .LBB92_728
; %bb.727:
	v_ashrrev_i32_e32 v199, 31, v198
	v_lshl_add_u64 v[204:205], v[198:199], 2, v[196:197]
	global_load_dword v199, v[204:205], off
	global_load_dword v201, v[196:197], off offset:136
	s_waitcnt vmcnt(1)
	global_store_dword v[196:197], v199, off offset:136
	s_waitcnt vmcnt(1)
	global_store_dword v[204:205], v201, off
.LBB92_728:
	s_or_b64 exec, exec, s[18:19]
	v_mov_b32_e32 v201, v198
	v_mov_b32_e32 v203, v198
.LBB92_729:
	s_or_b64 exec, exec, s[16:17]
.LBB92_730:
	s_andn2_saveexec_b64 s[0:1], s[0:1]
	s_cbranch_execz .LBB92_732
; %bb.731:
	v_mov_b32_e32 v201, 34
	s_waitcnt vmcnt(11)
	ds_write2_b64 v200, v[40:41], v[42:43] offset0:70 offset1:71
	s_waitcnt vmcnt(10)
	ds_write2_b64 v200, v[36:37], v[38:39] offset0:72 offset1:73
	;; [unrolled: 2-line block ×12, first 2 shown]
.LBB92_732:
	s_or_b64 exec, exec, s[0:1]
	v_cmp_lt_i32_e32 vcc, 34, v201
	s_waitcnt lgkmcnt(0)
	s_barrier
	s_and_saveexec_b64 s[0:1], vcc
	s_cbranch_execz .LBB92_734
; %bb.733:
	ds_read2_b64 v[204:207], v200 offset0:70 offset1:71
	v_mul_f64 v[198:199], v[188:189], v[46:47]
	v_mul_f64 v[46:47], v[190:191], v[46:47]
	v_fmac_f64_e32 v[198:199], v[190:191], v[44:45]
	v_fma_f64 v[44:45], v[188:189], v[44:45], -v[46:47]
	ds_read2_b64 v[188:191], v200 offset0:72 offset1:73
	s_waitcnt lgkmcnt(1)
	v_mul_f64 v[46:47], v[206:207], v[198:199]
	v_fma_f64 v[46:47], v[204:205], v[44:45], -v[46:47]
	v_mul_f64 v[204:205], v[204:205], v[198:199]
	v_fmac_f64_e32 v[204:205], v[206:207], v[44:45]
	s_waitcnt vmcnt(11)
	v_add_f64 v[40:41], v[40:41], -v[46:47]
	s_waitcnt lgkmcnt(0)
	v_mul_f64 v[46:47], v[190:191], v[198:199]
	v_add_f64 v[42:43], v[42:43], -v[204:205]
	v_fma_f64 v[46:47], v[188:189], v[44:45], -v[46:47]
	v_mul_f64 v[188:189], v[188:189], v[198:199]
	ds_read2_b64 v[204:207], v200 offset0:74 offset1:75
	v_fmac_f64_e32 v[188:189], v[190:191], v[44:45]
	s_waitcnt vmcnt(10)
	v_add_f64 v[38:39], v[38:39], -v[188:189]
	ds_read2_b64 v[188:191], v200 offset0:76 offset1:77
	v_add_f64 v[36:37], v[36:37], -v[46:47]
	s_waitcnt lgkmcnt(1)
	v_mul_f64 v[46:47], v[206:207], v[198:199]
	v_fma_f64 v[46:47], v[204:205], v[44:45], -v[46:47]
	v_mul_f64 v[204:205], v[204:205], v[198:199]
	v_fmac_f64_e32 v[204:205], v[206:207], v[44:45]
	s_waitcnt vmcnt(9)
	v_add_f64 v[32:33], v[32:33], -v[46:47]
	s_waitcnt lgkmcnt(0)
	v_mul_f64 v[46:47], v[190:191], v[198:199]
	v_add_f64 v[34:35], v[34:35], -v[204:205]
	v_fma_f64 v[46:47], v[188:189], v[44:45], -v[46:47]
	v_mul_f64 v[188:189], v[188:189], v[198:199]
	ds_read2_b64 v[204:207], v200 offset0:78 offset1:79
	v_fmac_f64_e32 v[188:189], v[190:191], v[44:45]
	s_waitcnt vmcnt(8)
	v_add_f64 v[30:31], v[30:31], -v[188:189]
	ds_read2_b64 v[188:191], v200 offset0:80 offset1:81
	v_add_f64 v[28:29], v[28:29], -v[46:47]
	;; [unrolled: 18-line block ×5, first 2 shown]
	s_waitcnt lgkmcnt(1)
	v_mul_f64 v[46:47], v[206:207], v[198:199]
	v_fma_f64 v[46:47], v[204:205], v[44:45], -v[46:47]
	s_waitcnt vmcnt(1)
	v_add_f64 v[0:1], v[0:1], -v[46:47]
	s_waitcnt lgkmcnt(0)
	v_mul_f64 v[46:47], v[190:191], v[198:199]
	v_mul_f64 v[204:205], v[204:205], v[198:199]
	v_fma_f64 v[46:47], v[188:189], v[44:45], -v[46:47]
	v_mul_f64 v[188:189], v[188:189], v[198:199]
	v_fmac_f64_e32 v[204:205], v[206:207], v[44:45]
	v_fmac_f64_e32 v[188:189], v[190:191], v[44:45]
	v_add_f64 v[2:3], v[2:3], -v[204:205]
	s_waitcnt vmcnt(0)
	v_add_f64 v[184:185], v[184:185], -v[46:47]
	v_add_f64 v[186:187], v[186:187], -v[188:189]
	v_mov_b64_e32 v[46:47], v[198:199]
.LBB92_734:
	s_or_b64 exec, exec, s[0:1]
	v_lshl_add_u32 v188, v201, 4, v200
	s_barrier
	s_waitcnt vmcnt(11)
	ds_write2_b64 v188, v[40:41], v[42:43] offset1:1
	s_waitcnt lgkmcnt(0)
	s_barrier
	ds_read2_b64 v[188:191], v200 offset0:70 offset1:71
	s_cmp_lt_i32 s20, 37
	v_mov_b32_e32 v198, 35
	s_cbranch_scc1 .LBB92_737
; %bb.735:
	v_add_u32_e32 v199, 0x240, v200
	s_mov_b32 s16, 36
	v_mov_b32_e32 v198, 35
.LBB92_736:                             ; =>This Inner Loop Header: Depth=1
	ds_read2_b64 v[204:207], v199 offset1:1
	s_waitcnt lgkmcnt(1)
	v_xor_b32_e32 v209, 0x80000000, v189
	v_xor_b32_e32 v211, 0x80000000, v191
	v_cmp_gt_f64_e32 vcc, 0, v[190:191]
	v_cmp_gt_f64_e64 s[0:1], 0, v[188:189]
	v_mov_b32_e32 v208, v188
	v_mov_b32_e32 v210, v190
	v_cndmask_b32_e64 v209, v189, v209, s[0:1]
	v_cndmask_b32_e32 v211, v191, v211, vcc
	v_add_f64 v[208:209], v[208:209], v[210:211]
	s_waitcnt lgkmcnt(0)
	v_xor_b32_e32 v211, 0x80000000, v205
	v_xor_b32_e32 v213, 0x80000000, v207
	v_cmp_gt_f64_e32 vcc, 0, v[206:207]
	v_cmp_gt_f64_e64 s[0:1], 0, v[204:205]
	v_mov_b32_e32 v210, v204
	v_mov_b32_e32 v212, v206
	v_cndmask_b32_e64 v211, v205, v211, s[0:1]
	v_cndmask_b32_e32 v213, v207, v213, vcc
	v_add_f64 v[210:211], v[210:211], v[212:213]
	v_mov_b32_e32 v214, s16
	s_add_i32 s16, s16, 1
	v_cmp_lt_f64_e32 vcc, v[208:209], v[210:211]
	v_add_u32_e32 v199, 16, v199
	s_cmp_lg_u32 s20, s16
	v_cndmask_b32_e32 v189, v189, v205, vcc
	v_cndmask_b32_e32 v188, v188, v204, vcc
	v_cndmask_b32_e32 v191, v191, v207, vcc
	v_cndmask_b32_e32 v190, v190, v206, vcc
	v_cndmask_b32_e32 v198, v198, v214, vcc
	s_cbranch_scc1 .LBB92_736
.LBB92_737:
	s_waitcnt lgkmcnt(0)
	v_cmp_eq_f64_e32 vcc, 0, v[188:189]
	v_cmp_eq_f64_e64 s[0:1], 0, v[190:191]
	s_and_b64 s[0:1], vcc, s[0:1]
	s_and_saveexec_b64 s[16:17], s[0:1]
	s_xor_b64 s[0:1], exec, s[16:17]
; %bb.738:
	v_cmp_ne_u32_e32 vcc, 0, v202
	s_nop 1
	v_cndmask_b32_e32 v202, 36, v202, vcc
; %bb.739:
	s_andn2_saveexec_b64 s[0:1], s[0:1]
	s_cbranch_execz .LBB92_745
; %bb.740:
	v_cmp_ngt_f64_e64 s[16:17], |v[188:189]|, |v[190:191]|
	s_and_saveexec_b64 s[18:19], s[16:17]
	s_xor_b64 s[16:17], exec, s[18:19]
	s_cbranch_execz .LBB92_742
; %bb.741:
	v_div_scale_f64 v[204:205], s[18:19], v[190:191], v[190:191], v[188:189]
	v_rcp_f64_e32 v[206:207], v[204:205]
	v_div_scale_f64 v[208:209], vcc, v[188:189], v[190:191], v[188:189]
	v_fma_f64 v[210:211], -v[204:205], v[206:207], 1.0
	v_fmac_f64_e32 v[206:207], v[206:207], v[210:211]
	v_fma_f64 v[210:211], -v[204:205], v[206:207], 1.0
	v_fmac_f64_e32 v[206:207], v[206:207], v[210:211]
	v_mul_f64 v[210:211], v[208:209], v[206:207]
	v_fma_f64 v[204:205], -v[204:205], v[210:211], v[208:209]
	v_div_fmas_f64 v[204:205], v[204:205], v[206:207], v[210:211]
	v_div_fixup_f64 v[204:205], v[204:205], v[190:191], v[188:189]
	v_fmac_f64_e32 v[190:191], v[188:189], v[204:205]
	v_div_scale_f64 v[188:189], s[18:19], v[190:191], v[190:191], 1.0
	v_rcp_f64_e32 v[206:207], v[188:189]
	s_nop 0
	v_fma_f64 v[208:209], -v[188:189], v[206:207], 1.0
	v_fmac_f64_e32 v[206:207], v[206:207], v[208:209]
	v_fma_f64 v[208:209], -v[188:189], v[206:207], 1.0
	v_fmac_f64_e32 v[206:207], v[206:207], v[208:209]
	v_div_scale_f64 v[208:209], vcc, 1.0, v[190:191], 1.0
	v_mul_f64 v[210:211], v[208:209], v[206:207]
	v_fma_f64 v[188:189], -v[188:189], v[210:211], v[208:209]
	s_nop 1
	v_div_fmas_f64 v[188:189], v[188:189], v[206:207], v[210:211]
	v_div_fixup_f64 v[190:191], v[188:189], v[190:191], 1.0
	v_mul_f64 v[188:189], v[204:205], v[190:191]
	v_xor_b32_e32 v191, 0x80000000, v191
.LBB92_742:
	s_andn2_saveexec_b64 s[16:17], s[16:17]
	s_cbranch_execz .LBB92_744
; %bb.743:
	v_div_scale_f64 v[204:205], s[18:19], v[188:189], v[188:189], v[190:191]
	v_rcp_f64_e32 v[206:207], v[204:205]
	v_div_scale_f64 v[208:209], vcc, v[190:191], v[188:189], v[190:191]
	v_fma_f64 v[210:211], -v[204:205], v[206:207], 1.0
	v_fmac_f64_e32 v[206:207], v[206:207], v[210:211]
	v_fma_f64 v[210:211], -v[204:205], v[206:207], 1.0
	v_fmac_f64_e32 v[206:207], v[206:207], v[210:211]
	v_mul_f64 v[210:211], v[208:209], v[206:207]
	v_fma_f64 v[204:205], -v[204:205], v[210:211], v[208:209]
	v_div_fmas_f64 v[204:205], v[204:205], v[206:207], v[210:211]
	v_div_fixup_f64 v[204:205], v[204:205], v[188:189], v[190:191]
	v_fmac_f64_e32 v[188:189], v[190:191], v[204:205]
	v_div_scale_f64 v[190:191], s[18:19], v[188:189], v[188:189], 1.0
	v_rcp_f64_e32 v[206:207], v[190:191]
	s_nop 0
	v_fma_f64 v[208:209], -v[190:191], v[206:207], 1.0
	v_fmac_f64_e32 v[206:207], v[206:207], v[208:209]
	v_fma_f64 v[208:209], -v[190:191], v[206:207], 1.0
	v_fmac_f64_e32 v[206:207], v[206:207], v[208:209]
	v_div_scale_f64 v[208:209], vcc, 1.0, v[188:189], 1.0
	v_mul_f64 v[210:211], v[208:209], v[206:207]
	v_fma_f64 v[190:191], -v[190:191], v[210:211], v[208:209]
	s_nop 1
	v_div_fmas_f64 v[190:191], v[190:191], v[206:207], v[210:211]
	v_div_fixup_f64 v[188:189], v[190:191], v[188:189], 1.0
	v_mul_f64 v[190:191], v[204:205], -v[188:189]
.LBB92_744:
	s_or_b64 exec, exec, s[16:17]
.LBB92_745:
	s_or_b64 exec, exec, s[0:1]
	v_cmp_ne_u32_e32 vcc, v201, v198
	s_and_saveexec_b64 s[0:1], vcc
	s_xor_b64 s[0:1], exec, s[0:1]
	s_cbranch_execz .LBB92_751
; %bb.746:
	v_cmp_eq_u32_e32 vcc, 35, v201
	s_and_saveexec_b64 s[16:17], vcc
	s_cbranch_execz .LBB92_750
; %bb.747:
	v_cmp_ne_u32_e32 vcc, 35, v198
	s_xor_b64 s[18:19], s[14:15], -1
	s_and_b64 s[22:23], s[18:19], vcc
	s_and_saveexec_b64 s[18:19], s[22:23]
	s_cbranch_execz .LBB92_749
; %bb.748:
	v_ashrrev_i32_e32 v199, 31, v198
	v_lshl_add_u64 v[204:205], v[198:199], 2, v[196:197]
	global_load_dword v199, v[204:205], off
	global_load_dword v201, v[196:197], off offset:140
	s_waitcnt vmcnt(1)
	global_store_dword v[196:197], v199, off offset:140
	s_waitcnt vmcnt(1)
	global_store_dword v[204:205], v201, off
.LBB92_749:
	s_or_b64 exec, exec, s[18:19]
	v_mov_b32_e32 v201, v198
	v_mov_b32_e32 v203, v198
.LBB92_750:
	s_or_b64 exec, exec, s[16:17]
.LBB92_751:
	s_andn2_saveexec_b64 s[0:1], s[0:1]
	s_cbranch_execz .LBB92_753
; %bb.752:
	v_mov_b32_e32 v201, 35
	s_waitcnt vmcnt(10)
	ds_write2_b64 v200, v[36:37], v[38:39] offset0:72 offset1:73
	s_waitcnt vmcnt(9)
	ds_write2_b64 v200, v[32:33], v[34:35] offset0:74 offset1:75
	;; [unrolled: 2-line block ×11, first 2 shown]
.LBB92_753:
	s_or_b64 exec, exec, s[0:1]
	v_cmp_lt_i32_e32 vcc, 35, v201
	s_waitcnt lgkmcnt(0)
	s_barrier
	s_and_saveexec_b64 s[0:1], vcc
	s_cbranch_execz .LBB92_755
; %bb.754:
	ds_read2_b64 v[204:207], v200 offset0:72 offset1:73
	v_mul_f64 v[198:199], v[188:189], v[42:43]
	v_fmac_f64_e32 v[198:199], v[190:191], v[40:41]
	v_mul_f64 v[42:43], v[190:191], v[42:43]
	v_fma_f64 v[40:41], v[188:189], v[40:41], -v[42:43]
	ds_read2_b64 v[188:191], v200 offset0:74 offset1:75
	s_waitcnt lgkmcnt(1)
	v_mul_f64 v[42:43], v[206:207], v[198:199]
	v_fma_f64 v[42:43], v[204:205], v[40:41], -v[42:43]
	v_mul_f64 v[204:205], v[204:205], v[198:199]
	v_fmac_f64_e32 v[204:205], v[206:207], v[40:41]
	s_waitcnt vmcnt(10)
	v_add_f64 v[38:39], v[38:39], -v[204:205]
	ds_read2_b64 v[204:207], v200 offset0:76 offset1:77
	v_add_f64 v[36:37], v[36:37], -v[42:43]
	s_waitcnt lgkmcnt(1)
	v_mul_f64 v[42:43], v[190:191], v[198:199]
	v_fma_f64 v[42:43], v[188:189], v[40:41], -v[42:43]
	v_mul_f64 v[188:189], v[188:189], v[198:199]
	v_fmac_f64_e32 v[188:189], v[190:191], v[40:41]
	s_waitcnt vmcnt(9)
	v_add_f64 v[32:33], v[32:33], -v[42:43]
	v_add_f64 v[34:35], v[34:35], -v[188:189]
	ds_read2_b64 v[188:191], v200 offset0:78 offset1:79
	s_waitcnt lgkmcnt(1)
	v_mul_f64 v[42:43], v[206:207], v[198:199]
	v_fma_f64 v[42:43], v[204:205], v[40:41], -v[42:43]
	v_mul_f64 v[204:205], v[204:205], v[198:199]
	v_fmac_f64_e32 v[204:205], v[206:207], v[40:41]
	s_waitcnt vmcnt(8)
	v_add_f64 v[30:31], v[30:31], -v[204:205]
	ds_read2_b64 v[204:207], v200 offset0:80 offset1:81
	v_add_f64 v[28:29], v[28:29], -v[42:43]
	s_waitcnt lgkmcnt(1)
	v_mul_f64 v[42:43], v[190:191], v[198:199]
	v_fma_f64 v[42:43], v[188:189], v[40:41], -v[42:43]
	v_mul_f64 v[188:189], v[188:189], v[198:199]
	v_fmac_f64_e32 v[188:189], v[190:191], v[40:41]
	s_waitcnt vmcnt(7)
	v_add_f64 v[24:25], v[24:25], -v[42:43]
	v_add_f64 v[26:27], v[26:27], -v[188:189]
	;; [unrolled: 18-line block ×5, first 2 shown]
	s_waitcnt lgkmcnt(0)
	v_mul_f64 v[42:43], v[206:207], v[198:199]
	v_mul_f64 v[188:189], v[204:205], v[198:199]
	v_fma_f64 v[42:43], v[204:205], v[40:41], -v[42:43]
	v_fmac_f64_e32 v[188:189], v[206:207], v[40:41]
	s_waitcnt vmcnt(0)
	v_add_f64 v[184:185], v[184:185], -v[42:43]
	v_add_f64 v[186:187], v[186:187], -v[188:189]
	v_mov_b64_e32 v[42:43], v[198:199]
.LBB92_755:
	s_or_b64 exec, exec, s[0:1]
	v_lshl_add_u32 v188, v201, 4, v200
	s_barrier
	s_waitcnt vmcnt(10)
	ds_write2_b64 v188, v[36:37], v[38:39] offset1:1
	s_waitcnt lgkmcnt(0)
	s_barrier
	ds_read2_b64 v[188:191], v200 offset0:72 offset1:73
	s_cmp_lt_i32 s20, 38
	v_mov_b32_e32 v198, 36
	s_cbranch_scc1 .LBB92_758
; %bb.756:
	v_add_u32_e32 v199, 0x250, v200
	s_mov_b32 s16, 37
	v_mov_b32_e32 v198, 36
.LBB92_757:                             ; =>This Inner Loop Header: Depth=1
	ds_read2_b64 v[204:207], v199 offset1:1
	s_waitcnt lgkmcnt(1)
	v_xor_b32_e32 v209, 0x80000000, v189
	v_xor_b32_e32 v211, 0x80000000, v191
	v_cmp_gt_f64_e32 vcc, 0, v[190:191]
	v_cmp_gt_f64_e64 s[0:1], 0, v[188:189]
	v_mov_b32_e32 v208, v188
	v_mov_b32_e32 v210, v190
	v_cndmask_b32_e64 v209, v189, v209, s[0:1]
	v_cndmask_b32_e32 v211, v191, v211, vcc
	v_add_f64 v[208:209], v[208:209], v[210:211]
	s_waitcnt lgkmcnt(0)
	v_xor_b32_e32 v211, 0x80000000, v205
	v_xor_b32_e32 v213, 0x80000000, v207
	v_cmp_gt_f64_e32 vcc, 0, v[206:207]
	v_cmp_gt_f64_e64 s[0:1], 0, v[204:205]
	v_mov_b32_e32 v210, v204
	v_mov_b32_e32 v212, v206
	v_cndmask_b32_e64 v211, v205, v211, s[0:1]
	v_cndmask_b32_e32 v213, v207, v213, vcc
	v_add_f64 v[210:211], v[210:211], v[212:213]
	v_mov_b32_e32 v214, s16
	s_add_i32 s16, s16, 1
	v_cmp_lt_f64_e32 vcc, v[208:209], v[210:211]
	v_add_u32_e32 v199, 16, v199
	s_cmp_lg_u32 s20, s16
	v_cndmask_b32_e32 v189, v189, v205, vcc
	v_cndmask_b32_e32 v188, v188, v204, vcc
	;; [unrolled: 1-line block ×5, first 2 shown]
	s_cbranch_scc1 .LBB92_757
.LBB92_758:
	s_waitcnt lgkmcnt(0)
	v_cmp_eq_f64_e32 vcc, 0, v[188:189]
	v_cmp_eq_f64_e64 s[0:1], 0, v[190:191]
	s_and_b64 s[0:1], vcc, s[0:1]
	s_and_saveexec_b64 s[16:17], s[0:1]
	s_xor_b64 s[0:1], exec, s[16:17]
; %bb.759:
	v_cmp_ne_u32_e32 vcc, 0, v202
	s_nop 1
	v_cndmask_b32_e32 v202, 37, v202, vcc
; %bb.760:
	s_andn2_saveexec_b64 s[0:1], s[0:1]
	s_cbranch_execz .LBB92_766
; %bb.761:
	v_cmp_ngt_f64_e64 s[16:17], |v[188:189]|, |v[190:191]|
	s_and_saveexec_b64 s[18:19], s[16:17]
	s_xor_b64 s[16:17], exec, s[18:19]
	s_cbranch_execz .LBB92_763
; %bb.762:
	v_div_scale_f64 v[204:205], s[18:19], v[190:191], v[190:191], v[188:189]
	v_rcp_f64_e32 v[206:207], v[204:205]
	v_div_scale_f64 v[208:209], vcc, v[188:189], v[190:191], v[188:189]
	v_fma_f64 v[210:211], -v[204:205], v[206:207], 1.0
	v_fmac_f64_e32 v[206:207], v[206:207], v[210:211]
	v_fma_f64 v[210:211], -v[204:205], v[206:207], 1.0
	v_fmac_f64_e32 v[206:207], v[206:207], v[210:211]
	v_mul_f64 v[210:211], v[208:209], v[206:207]
	v_fma_f64 v[204:205], -v[204:205], v[210:211], v[208:209]
	v_div_fmas_f64 v[204:205], v[204:205], v[206:207], v[210:211]
	v_div_fixup_f64 v[204:205], v[204:205], v[190:191], v[188:189]
	v_fmac_f64_e32 v[190:191], v[188:189], v[204:205]
	v_div_scale_f64 v[188:189], s[18:19], v[190:191], v[190:191], 1.0
	v_rcp_f64_e32 v[206:207], v[188:189]
	s_nop 0
	v_fma_f64 v[208:209], -v[188:189], v[206:207], 1.0
	v_fmac_f64_e32 v[206:207], v[206:207], v[208:209]
	v_fma_f64 v[208:209], -v[188:189], v[206:207], 1.0
	v_fmac_f64_e32 v[206:207], v[206:207], v[208:209]
	v_div_scale_f64 v[208:209], vcc, 1.0, v[190:191], 1.0
	v_mul_f64 v[210:211], v[208:209], v[206:207]
	v_fma_f64 v[188:189], -v[188:189], v[210:211], v[208:209]
	s_nop 1
	v_div_fmas_f64 v[188:189], v[188:189], v[206:207], v[210:211]
	v_div_fixup_f64 v[190:191], v[188:189], v[190:191], 1.0
	v_mul_f64 v[188:189], v[204:205], v[190:191]
	v_xor_b32_e32 v191, 0x80000000, v191
.LBB92_763:
	s_andn2_saveexec_b64 s[16:17], s[16:17]
	s_cbranch_execz .LBB92_765
; %bb.764:
	v_div_scale_f64 v[204:205], s[18:19], v[188:189], v[188:189], v[190:191]
	v_rcp_f64_e32 v[206:207], v[204:205]
	v_div_scale_f64 v[208:209], vcc, v[190:191], v[188:189], v[190:191]
	v_fma_f64 v[210:211], -v[204:205], v[206:207], 1.0
	v_fmac_f64_e32 v[206:207], v[206:207], v[210:211]
	v_fma_f64 v[210:211], -v[204:205], v[206:207], 1.0
	v_fmac_f64_e32 v[206:207], v[206:207], v[210:211]
	v_mul_f64 v[210:211], v[208:209], v[206:207]
	v_fma_f64 v[204:205], -v[204:205], v[210:211], v[208:209]
	v_div_fmas_f64 v[204:205], v[204:205], v[206:207], v[210:211]
	v_div_fixup_f64 v[204:205], v[204:205], v[188:189], v[190:191]
	v_fmac_f64_e32 v[188:189], v[190:191], v[204:205]
	v_div_scale_f64 v[190:191], s[18:19], v[188:189], v[188:189], 1.0
	v_rcp_f64_e32 v[206:207], v[190:191]
	s_nop 0
	v_fma_f64 v[208:209], -v[190:191], v[206:207], 1.0
	v_fmac_f64_e32 v[206:207], v[206:207], v[208:209]
	v_fma_f64 v[208:209], -v[190:191], v[206:207], 1.0
	v_fmac_f64_e32 v[206:207], v[206:207], v[208:209]
	v_div_scale_f64 v[208:209], vcc, 1.0, v[188:189], 1.0
	v_mul_f64 v[210:211], v[208:209], v[206:207]
	v_fma_f64 v[190:191], -v[190:191], v[210:211], v[208:209]
	s_nop 1
	v_div_fmas_f64 v[190:191], v[190:191], v[206:207], v[210:211]
	v_div_fixup_f64 v[188:189], v[190:191], v[188:189], 1.0
	v_mul_f64 v[190:191], v[204:205], -v[188:189]
.LBB92_765:
	s_or_b64 exec, exec, s[16:17]
.LBB92_766:
	s_or_b64 exec, exec, s[0:1]
	v_cmp_ne_u32_e32 vcc, v201, v198
	s_and_saveexec_b64 s[0:1], vcc
	s_xor_b64 s[0:1], exec, s[0:1]
	s_cbranch_execz .LBB92_772
; %bb.767:
	v_cmp_eq_u32_e32 vcc, 36, v201
	s_and_saveexec_b64 s[16:17], vcc
	s_cbranch_execz .LBB92_771
; %bb.768:
	v_cmp_ne_u32_e32 vcc, 36, v198
	s_xor_b64 s[18:19], s[14:15], -1
	s_and_b64 s[22:23], s[18:19], vcc
	s_and_saveexec_b64 s[18:19], s[22:23]
	s_cbranch_execz .LBB92_770
; %bb.769:
	v_ashrrev_i32_e32 v199, 31, v198
	v_lshl_add_u64 v[204:205], v[198:199], 2, v[196:197]
	global_load_dword v199, v[204:205], off
	global_load_dword v201, v[196:197], off offset:144
	s_waitcnt vmcnt(1)
	global_store_dword v[196:197], v199, off offset:144
	s_waitcnt vmcnt(1)
	global_store_dword v[204:205], v201, off
.LBB92_770:
	s_or_b64 exec, exec, s[18:19]
	v_mov_b32_e32 v201, v198
	v_mov_b32_e32 v203, v198
.LBB92_771:
	s_or_b64 exec, exec, s[16:17]
.LBB92_772:
	s_andn2_saveexec_b64 s[0:1], s[0:1]
	s_cbranch_execz .LBB92_774
; %bb.773:
	v_mov_b32_e32 v201, 36
	s_waitcnt vmcnt(9)
	ds_write2_b64 v200, v[32:33], v[34:35] offset0:74 offset1:75
	s_waitcnt vmcnt(8)
	ds_write2_b64 v200, v[28:29], v[30:31] offset0:76 offset1:77
	;; [unrolled: 2-line block ×10, first 2 shown]
.LBB92_774:
	s_or_b64 exec, exec, s[0:1]
	v_cmp_lt_i32_e32 vcc, 36, v201
	s_waitcnt lgkmcnt(0)
	s_barrier
	s_and_saveexec_b64 s[0:1], vcc
	s_cbranch_execz .LBB92_776
; %bb.775:
	ds_read2_b64 v[204:207], v200 offset0:74 offset1:75
	v_mul_f64 v[198:199], v[188:189], v[38:39]
	v_mul_f64 v[38:39], v[190:191], v[38:39]
	v_fmac_f64_e32 v[198:199], v[190:191], v[36:37]
	v_fma_f64 v[36:37], v[188:189], v[36:37], -v[38:39]
	ds_read2_b64 v[188:191], v200 offset0:76 offset1:77
	s_waitcnt lgkmcnt(1)
	v_mul_f64 v[38:39], v[206:207], v[198:199]
	v_fma_f64 v[38:39], v[204:205], v[36:37], -v[38:39]
	v_mul_f64 v[204:205], v[204:205], v[198:199]
	v_fmac_f64_e32 v[204:205], v[206:207], v[36:37]
	s_waitcnt vmcnt(9)
	v_add_f64 v[32:33], v[32:33], -v[38:39]
	s_waitcnt lgkmcnt(0)
	v_mul_f64 v[38:39], v[190:191], v[198:199]
	v_add_f64 v[34:35], v[34:35], -v[204:205]
	v_fma_f64 v[38:39], v[188:189], v[36:37], -v[38:39]
	v_mul_f64 v[188:189], v[188:189], v[198:199]
	ds_read2_b64 v[204:207], v200 offset0:78 offset1:79
	v_fmac_f64_e32 v[188:189], v[190:191], v[36:37]
	s_waitcnt vmcnt(8)
	v_add_f64 v[30:31], v[30:31], -v[188:189]
	ds_read2_b64 v[188:191], v200 offset0:80 offset1:81
	v_add_f64 v[28:29], v[28:29], -v[38:39]
	s_waitcnt lgkmcnt(1)
	v_mul_f64 v[38:39], v[206:207], v[198:199]
	v_fma_f64 v[38:39], v[204:205], v[36:37], -v[38:39]
	v_mul_f64 v[204:205], v[204:205], v[198:199]
	v_fmac_f64_e32 v[204:205], v[206:207], v[36:37]
	s_waitcnt vmcnt(7)
	v_add_f64 v[24:25], v[24:25], -v[38:39]
	s_waitcnt lgkmcnt(0)
	v_mul_f64 v[38:39], v[190:191], v[198:199]
	v_add_f64 v[26:27], v[26:27], -v[204:205]
	v_fma_f64 v[38:39], v[188:189], v[36:37], -v[38:39]
	v_mul_f64 v[188:189], v[188:189], v[198:199]
	ds_read2_b64 v[204:207], v200 offset0:82 offset1:83
	v_fmac_f64_e32 v[188:189], v[190:191], v[36:37]
	s_waitcnt vmcnt(6)
	v_add_f64 v[22:23], v[22:23], -v[188:189]
	ds_read2_b64 v[188:191], v200 offset0:84 offset1:85
	v_add_f64 v[20:21], v[20:21], -v[38:39]
	s_waitcnt lgkmcnt(1)
	v_mul_f64 v[38:39], v[206:207], v[198:199]
	v_fma_f64 v[38:39], v[204:205], v[36:37], -v[38:39]
	v_mul_f64 v[204:205], v[204:205], v[198:199]
	v_fmac_f64_e32 v[204:205], v[206:207], v[36:37]
	s_waitcnt vmcnt(5)
	v_add_f64 v[16:17], v[16:17], -v[38:39]
	s_waitcnt lgkmcnt(0)
	v_mul_f64 v[38:39], v[190:191], v[198:199]
	v_add_f64 v[18:19], v[18:19], -v[204:205]
	v_fma_f64 v[38:39], v[188:189], v[36:37], -v[38:39]
	v_mul_f64 v[188:189], v[188:189], v[198:199]
	ds_read2_b64 v[204:207], v200 offset0:86 offset1:87
	v_fmac_f64_e32 v[188:189], v[190:191], v[36:37]
	s_waitcnt vmcnt(4)
	v_add_f64 v[14:15], v[14:15], -v[188:189]
	ds_read2_b64 v[188:191], v200 offset0:88 offset1:89
	v_add_f64 v[12:13], v[12:13], -v[38:39]
	s_waitcnt lgkmcnt(1)
	v_mul_f64 v[38:39], v[206:207], v[198:199]
	v_fma_f64 v[38:39], v[204:205], v[36:37], -v[38:39]
	v_mul_f64 v[204:205], v[204:205], v[198:199]
	v_fmac_f64_e32 v[204:205], v[206:207], v[36:37]
	s_waitcnt vmcnt(3)
	v_add_f64 v[8:9], v[8:9], -v[38:39]
	s_waitcnt lgkmcnt(0)
	v_mul_f64 v[38:39], v[190:191], v[198:199]
	v_add_f64 v[10:11], v[10:11], -v[204:205]
	v_fma_f64 v[38:39], v[188:189], v[36:37], -v[38:39]
	v_mul_f64 v[188:189], v[188:189], v[198:199]
	ds_read2_b64 v[204:207], v200 offset0:90 offset1:91
	v_fmac_f64_e32 v[188:189], v[190:191], v[36:37]
	s_waitcnt vmcnt(2)
	v_add_f64 v[6:7], v[6:7], -v[188:189]
	ds_read2_b64 v[188:191], v200 offset0:92 offset1:93
	v_add_f64 v[4:5], v[4:5], -v[38:39]
	s_waitcnt lgkmcnt(1)
	v_mul_f64 v[38:39], v[206:207], v[198:199]
	v_fma_f64 v[38:39], v[204:205], v[36:37], -v[38:39]
	s_waitcnt vmcnt(1)
	v_add_f64 v[0:1], v[0:1], -v[38:39]
	s_waitcnt lgkmcnt(0)
	v_mul_f64 v[38:39], v[190:191], v[198:199]
	v_mul_f64 v[204:205], v[204:205], v[198:199]
	v_fma_f64 v[38:39], v[188:189], v[36:37], -v[38:39]
	v_mul_f64 v[188:189], v[188:189], v[198:199]
	v_fmac_f64_e32 v[204:205], v[206:207], v[36:37]
	v_fmac_f64_e32 v[188:189], v[190:191], v[36:37]
	v_add_f64 v[2:3], v[2:3], -v[204:205]
	s_waitcnt vmcnt(0)
	v_add_f64 v[184:185], v[184:185], -v[38:39]
	v_add_f64 v[186:187], v[186:187], -v[188:189]
	v_mov_b64_e32 v[38:39], v[198:199]
.LBB92_776:
	s_or_b64 exec, exec, s[0:1]
	v_lshl_add_u32 v188, v201, 4, v200
	s_barrier
	s_waitcnt vmcnt(9)
	ds_write2_b64 v188, v[32:33], v[34:35] offset1:1
	s_waitcnt lgkmcnt(0)
	s_barrier
	ds_read2_b64 v[188:191], v200 offset0:74 offset1:75
	s_cmp_lt_i32 s20, 39
	v_mov_b32_e32 v198, 37
	s_cbranch_scc1 .LBB92_779
; %bb.777:
	v_add_u32_e32 v199, 0x260, v200
	s_mov_b32 s16, 38
	v_mov_b32_e32 v198, 37
.LBB92_778:                             ; =>This Inner Loop Header: Depth=1
	ds_read2_b64 v[204:207], v199 offset1:1
	s_waitcnt lgkmcnt(1)
	v_xor_b32_e32 v209, 0x80000000, v189
	v_xor_b32_e32 v211, 0x80000000, v191
	v_cmp_gt_f64_e32 vcc, 0, v[190:191]
	v_cmp_gt_f64_e64 s[0:1], 0, v[188:189]
	v_mov_b32_e32 v208, v188
	v_mov_b32_e32 v210, v190
	v_cndmask_b32_e64 v209, v189, v209, s[0:1]
	v_cndmask_b32_e32 v211, v191, v211, vcc
	v_add_f64 v[208:209], v[208:209], v[210:211]
	s_waitcnt lgkmcnt(0)
	v_xor_b32_e32 v211, 0x80000000, v205
	v_xor_b32_e32 v213, 0x80000000, v207
	v_cmp_gt_f64_e32 vcc, 0, v[206:207]
	v_cmp_gt_f64_e64 s[0:1], 0, v[204:205]
	v_mov_b32_e32 v210, v204
	v_mov_b32_e32 v212, v206
	v_cndmask_b32_e64 v211, v205, v211, s[0:1]
	v_cndmask_b32_e32 v213, v207, v213, vcc
	v_add_f64 v[210:211], v[210:211], v[212:213]
	v_mov_b32_e32 v214, s16
	s_add_i32 s16, s16, 1
	v_cmp_lt_f64_e32 vcc, v[208:209], v[210:211]
	v_add_u32_e32 v199, 16, v199
	s_cmp_lg_u32 s20, s16
	v_cndmask_b32_e32 v189, v189, v205, vcc
	v_cndmask_b32_e32 v188, v188, v204, vcc
	;; [unrolled: 1-line block ×5, first 2 shown]
	s_cbranch_scc1 .LBB92_778
.LBB92_779:
	s_waitcnt lgkmcnt(0)
	v_cmp_eq_f64_e32 vcc, 0, v[188:189]
	v_cmp_eq_f64_e64 s[0:1], 0, v[190:191]
	s_and_b64 s[0:1], vcc, s[0:1]
	s_and_saveexec_b64 s[16:17], s[0:1]
	s_xor_b64 s[0:1], exec, s[16:17]
; %bb.780:
	v_cmp_ne_u32_e32 vcc, 0, v202
	s_nop 1
	v_cndmask_b32_e32 v202, 38, v202, vcc
; %bb.781:
	s_andn2_saveexec_b64 s[0:1], s[0:1]
	s_cbranch_execz .LBB92_787
; %bb.782:
	v_cmp_ngt_f64_e64 s[16:17], |v[188:189]|, |v[190:191]|
	s_and_saveexec_b64 s[18:19], s[16:17]
	s_xor_b64 s[16:17], exec, s[18:19]
	s_cbranch_execz .LBB92_784
; %bb.783:
	v_div_scale_f64 v[204:205], s[18:19], v[190:191], v[190:191], v[188:189]
	v_rcp_f64_e32 v[206:207], v[204:205]
	v_div_scale_f64 v[208:209], vcc, v[188:189], v[190:191], v[188:189]
	v_fma_f64 v[210:211], -v[204:205], v[206:207], 1.0
	v_fmac_f64_e32 v[206:207], v[206:207], v[210:211]
	v_fma_f64 v[210:211], -v[204:205], v[206:207], 1.0
	v_fmac_f64_e32 v[206:207], v[206:207], v[210:211]
	v_mul_f64 v[210:211], v[208:209], v[206:207]
	v_fma_f64 v[204:205], -v[204:205], v[210:211], v[208:209]
	v_div_fmas_f64 v[204:205], v[204:205], v[206:207], v[210:211]
	v_div_fixup_f64 v[204:205], v[204:205], v[190:191], v[188:189]
	v_fmac_f64_e32 v[190:191], v[188:189], v[204:205]
	v_div_scale_f64 v[188:189], s[18:19], v[190:191], v[190:191], 1.0
	v_rcp_f64_e32 v[206:207], v[188:189]
	s_nop 0
	v_fma_f64 v[208:209], -v[188:189], v[206:207], 1.0
	v_fmac_f64_e32 v[206:207], v[206:207], v[208:209]
	v_fma_f64 v[208:209], -v[188:189], v[206:207], 1.0
	v_fmac_f64_e32 v[206:207], v[206:207], v[208:209]
	v_div_scale_f64 v[208:209], vcc, 1.0, v[190:191], 1.0
	v_mul_f64 v[210:211], v[208:209], v[206:207]
	v_fma_f64 v[188:189], -v[188:189], v[210:211], v[208:209]
	s_nop 1
	v_div_fmas_f64 v[188:189], v[188:189], v[206:207], v[210:211]
	v_div_fixup_f64 v[190:191], v[188:189], v[190:191], 1.0
	v_mul_f64 v[188:189], v[204:205], v[190:191]
	v_xor_b32_e32 v191, 0x80000000, v191
.LBB92_784:
	s_andn2_saveexec_b64 s[16:17], s[16:17]
	s_cbranch_execz .LBB92_786
; %bb.785:
	v_div_scale_f64 v[204:205], s[18:19], v[188:189], v[188:189], v[190:191]
	v_rcp_f64_e32 v[206:207], v[204:205]
	v_div_scale_f64 v[208:209], vcc, v[190:191], v[188:189], v[190:191]
	v_fma_f64 v[210:211], -v[204:205], v[206:207], 1.0
	v_fmac_f64_e32 v[206:207], v[206:207], v[210:211]
	v_fma_f64 v[210:211], -v[204:205], v[206:207], 1.0
	v_fmac_f64_e32 v[206:207], v[206:207], v[210:211]
	v_mul_f64 v[210:211], v[208:209], v[206:207]
	v_fma_f64 v[204:205], -v[204:205], v[210:211], v[208:209]
	v_div_fmas_f64 v[204:205], v[204:205], v[206:207], v[210:211]
	v_div_fixup_f64 v[204:205], v[204:205], v[188:189], v[190:191]
	v_fmac_f64_e32 v[188:189], v[190:191], v[204:205]
	v_div_scale_f64 v[190:191], s[18:19], v[188:189], v[188:189], 1.0
	v_rcp_f64_e32 v[206:207], v[190:191]
	s_nop 0
	v_fma_f64 v[208:209], -v[190:191], v[206:207], 1.0
	v_fmac_f64_e32 v[206:207], v[206:207], v[208:209]
	v_fma_f64 v[208:209], -v[190:191], v[206:207], 1.0
	v_fmac_f64_e32 v[206:207], v[206:207], v[208:209]
	v_div_scale_f64 v[208:209], vcc, 1.0, v[188:189], 1.0
	v_mul_f64 v[210:211], v[208:209], v[206:207]
	v_fma_f64 v[190:191], -v[190:191], v[210:211], v[208:209]
	s_nop 1
	v_div_fmas_f64 v[190:191], v[190:191], v[206:207], v[210:211]
	v_div_fixup_f64 v[188:189], v[190:191], v[188:189], 1.0
	v_mul_f64 v[190:191], v[204:205], -v[188:189]
.LBB92_786:
	s_or_b64 exec, exec, s[16:17]
.LBB92_787:
	s_or_b64 exec, exec, s[0:1]
	v_cmp_ne_u32_e32 vcc, v201, v198
	s_and_saveexec_b64 s[0:1], vcc
	s_xor_b64 s[0:1], exec, s[0:1]
	s_cbranch_execz .LBB92_793
; %bb.788:
	v_cmp_eq_u32_e32 vcc, 37, v201
	s_and_saveexec_b64 s[16:17], vcc
	s_cbranch_execz .LBB92_792
; %bb.789:
	v_cmp_ne_u32_e32 vcc, 37, v198
	s_xor_b64 s[18:19], s[14:15], -1
	s_and_b64 s[22:23], s[18:19], vcc
	s_and_saveexec_b64 s[18:19], s[22:23]
	s_cbranch_execz .LBB92_791
; %bb.790:
	v_ashrrev_i32_e32 v199, 31, v198
	v_lshl_add_u64 v[204:205], v[198:199], 2, v[196:197]
	global_load_dword v199, v[204:205], off
	global_load_dword v201, v[196:197], off offset:148
	s_waitcnt vmcnt(1)
	global_store_dword v[196:197], v199, off offset:148
	s_waitcnt vmcnt(1)
	global_store_dword v[204:205], v201, off
.LBB92_791:
	s_or_b64 exec, exec, s[18:19]
	v_mov_b32_e32 v201, v198
	v_mov_b32_e32 v203, v198
.LBB92_792:
	s_or_b64 exec, exec, s[16:17]
.LBB92_793:
	s_andn2_saveexec_b64 s[0:1], s[0:1]
	s_cbranch_execz .LBB92_795
; %bb.794:
	v_mov_b32_e32 v201, 37
	s_waitcnt vmcnt(8)
	ds_write2_b64 v200, v[28:29], v[30:31] offset0:76 offset1:77
	s_waitcnt vmcnt(7)
	ds_write2_b64 v200, v[24:25], v[26:27] offset0:78 offset1:79
	;; [unrolled: 2-line block ×9, first 2 shown]
.LBB92_795:
	s_or_b64 exec, exec, s[0:1]
	v_cmp_lt_i32_e32 vcc, 37, v201
	s_waitcnt lgkmcnt(0)
	s_barrier
	s_and_saveexec_b64 s[0:1], vcc
	s_cbranch_execz .LBB92_797
; %bb.796:
	ds_read2_b64 v[204:207], v200 offset0:76 offset1:77
	v_mul_f64 v[198:199], v[188:189], v[34:35]
	v_fmac_f64_e32 v[198:199], v[190:191], v[32:33]
	v_mul_f64 v[34:35], v[190:191], v[34:35]
	v_fma_f64 v[32:33], v[188:189], v[32:33], -v[34:35]
	ds_read2_b64 v[188:191], v200 offset0:78 offset1:79
	s_waitcnt lgkmcnt(1)
	v_mul_f64 v[34:35], v[206:207], v[198:199]
	v_fma_f64 v[34:35], v[204:205], v[32:33], -v[34:35]
	v_mul_f64 v[204:205], v[204:205], v[198:199]
	v_fmac_f64_e32 v[204:205], v[206:207], v[32:33]
	s_waitcnt vmcnt(8)
	v_add_f64 v[30:31], v[30:31], -v[204:205]
	ds_read2_b64 v[204:207], v200 offset0:80 offset1:81
	v_add_f64 v[28:29], v[28:29], -v[34:35]
	s_waitcnt lgkmcnt(1)
	v_mul_f64 v[34:35], v[190:191], v[198:199]
	v_fma_f64 v[34:35], v[188:189], v[32:33], -v[34:35]
	v_mul_f64 v[188:189], v[188:189], v[198:199]
	v_fmac_f64_e32 v[188:189], v[190:191], v[32:33]
	s_waitcnt vmcnt(7)
	v_add_f64 v[24:25], v[24:25], -v[34:35]
	v_add_f64 v[26:27], v[26:27], -v[188:189]
	ds_read2_b64 v[188:191], v200 offset0:82 offset1:83
	s_waitcnt lgkmcnt(1)
	v_mul_f64 v[34:35], v[206:207], v[198:199]
	v_fma_f64 v[34:35], v[204:205], v[32:33], -v[34:35]
	v_mul_f64 v[204:205], v[204:205], v[198:199]
	v_fmac_f64_e32 v[204:205], v[206:207], v[32:33]
	s_waitcnt vmcnt(6)
	v_add_f64 v[22:23], v[22:23], -v[204:205]
	ds_read2_b64 v[204:207], v200 offset0:84 offset1:85
	v_add_f64 v[20:21], v[20:21], -v[34:35]
	s_waitcnt lgkmcnt(1)
	v_mul_f64 v[34:35], v[190:191], v[198:199]
	v_fma_f64 v[34:35], v[188:189], v[32:33], -v[34:35]
	v_mul_f64 v[188:189], v[188:189], v[198:199]
	v_fmac_f64_e32 v[188:189], v[190:191], v[32:33]
	s_waitcnt vmcnt(5)
	v_add_f64 v[16:17], v[16:17], -v[34:35]
	v_add_f64 v[18:19], v[18:19], -v[188:189]
	;; [unrolled: 18-line block ×4, first 2 shown]
	s_waitcnt lgkmcnt(0)
	v_mul_f64 v[34:35], v[206:207], v[198:199]
	v_mul_f64 v[188:189], v[204:205], v[198:199]
	v_fma_f64 v[34:35], v[204:205], v[32:33], -v[34:35]
	v_fmac_f64_e32 v[188:189], v[206:207], v[32:33]
	s_waitcnt vmcnt(0)
	v_add_f64 v[184:185], v[184:185], -v[34:35]
	v_add_f64 v[186:187], v[186:187], -v[188:189]
	v_mov_b64_e32 v[34:35], v[198:199]
.LBB92_797:
	s_or_b64 exec, exec, s[0:1]
	v_lshl_add_u32 v188, v201, 4, v200
	s_barrier
	s_waitcnt vmcnt(8)
	ds_write2_b64 v188, v[28:29], v[30:31] offset1:1
	s_waitcnt lgkmcnt(0)
	s_barrier
	ds_read2_b64 v[188:191], v200 offset0:76 offset1:77
	s_cmp_lt_i32 s20, 40
	v_mov_b32_e32 v198, 38
	s_cbranch_scc1 .LBB92_800
; %bb.798:
	v_add_u32_e32 v199, 0x270, v200
	s_mov_b32 s16, 39
	v_mov_b32_e32 v198, 38
.LBB92_799:                             ; =>This Inner Loop Header: Depth=1
	ds_read2_b64 v[204:207], v199 offset1:1
	s_waitcnt lgkmcnt(1)
	v_xor_b32_e32 v209, 0x80000000, v189
	v_xor_b32_e32 v211, 0x80000000, v191
	v_cmp_gt_f64_e32 vcc, 0, v[190:191]
	v_cmp_gt_f64_e64 s[0:1], 0, v[188:189]
	v_mov_b32_e32 v208, v188
	v_mov_b32_e32 v210, v190
	v_cndmask_b32_e64 v209, v189, v209, s[0:1]
	v_cndmask_b32_e32 v211, v191, v211, vcc
	v_add_f64 v[208:209], v[208:209], v[210:211]
	s_waitcnt lgkmcnt(0)
	v_xor_b32_e32 v211, 0x80000000, v205
	v_xor_b32_e32 v213, 0x80000000, v207
	v_cmp_gt_f64_e32 vcc, 0, v[206:207]
	v_cmp_gt_f64_e64 s[0:1], 0, v[204:205]
	v_mov_b32_e32 v210, v204
	v_mov_b32_e32 v212, v206
	v_cndmask_b32_e64 v211, v205, v211, s[0:1]
	v_cndmask_b32_e32 v213, v207, v213, vcc
	v_add_f64 v[210:211], v[210:211], v[212:213]
	v_mov_b32_e32 v214, s16
	s_add_i32 s16, s16, 1
	v_cmp_lt_f64_e32 vcc, v[208:209], v[210:211]
	v_add_u32_e32 v199, 16, v199
	s_cmp_lg_u32 s20, s16
	v_cndmask_b32_e32 v189, v189, v205, vcc
	v_cndmask_b32_e32 v188, v188, v204, vcc
	v_cndmask_b32_e32 v191, v191, v207, vcc
	v_cndmask_b32_e32 v190, v190, v206, vcc
	v_cndmask_b32_e32 v198, v198, v214, vcc
	s_cbranch_scc1 .LBB92_799
.LBB92_800:
	s_waitcnt lgkmcnt(0)
	v_cmp_eq_f64_e32 vcc, 0, v[188:189]
	v_cmp_eq_f64_e64 s[0:1], 0, v[190:191]
	s_and_b64 s[0:1], vcc, s[0:1]
	s_and_saveexec_b64 s[16:17], s[0:1]
	s_xor_b64 s[0:1], exec, s[16:17]
; %bb.801:
	v_cmp_ne_u32_e32 vcc, 0, v202
	s_nop 1
	v_cndmask_b32_e32 v202, 39, v202, vcc
; %bb.802:
	s_andn2_saveexec_b64 s[0:1], s[0:1]
	s_cbranch_execz .LBB92_808
; %bb.803:
	v_cmp_ngt_f64_e64 s[16:17], |v[188:189]|, |v[190:191]|
	s_and_saveexec_b64 s[18:19], s[16:17]
	s_xor_b64 s[16:17], exec, s[18:19]
	s_cbranch_execz .LBB92_805
; %bb.804:
	v_div_scale_f64 v[204:205], s[18:19], v[190:191], v[190:191], v[188:189]
	v_rcp_f64_e32 v[206:207], v[204:205]
	v_div_scale_f64 v[208:209], vcc, v[188:189], v[190:191], v[188:189]
	v_fma_f64 v[210:211], -v[204:205], v[206:207], 1.0
	v_fmac_f64_e32 v[206:207], v[206:207], v[210:211]
	v_fma_f64 v[210:211], -v[204:205], v[206:207], 1.0
	v_fmac_f64_e32 v[206:207], v[206:207], v[210:211]
	v_mul_f64 v[210:211], v[208:209], v[206:207]
	v_fma_f64 v[204:205], -v[204:205], v[210:211], v[208:209]
	v_div_fmas_f64 v[204:205], v[204:205], v[206:207], v[210:211]
	v_div_fixup_f64 v[204:205], v[204:205], v[190:191], v[188:189]
	v_fmac_f64_e32 v[190:191], v[188:189], v[204:205]
	v_div_scale_f64 v[188:189], s[18:19], v[190:191], v[190:191], 1.0
	v_rcp_f64_e32 v[206:207], v[188:189]
	s_nop 0
	v_fma_f64 v[208:209], -v[188:189], v[206:207], 1.0
	v_fmac_f64_e32 v[206:207], v[206:207], v[208:209]
	v_fma_f64 v[208:209], -v[188:189], v[206:207], 1.0
	v_fmac_f64_e32 v[206:207], v[206:207], v[208:209]
	v_div_scale_f64 v[208:209], vcc, 1.0, v[190:191], 1.0
	v_mul_f64 v[210:211], v[208:209], v[206:207]
	v_fma_f64 v[188:189], -v[188:189], v[210:211], v[208:209]
	s_nop 1
	v_div_fmas_f64 v[188:189], v[188:189], v[206:207], v[210:211]
	v_div_fixup_f64 v[190:191], v[188:189], v[190:191], 1.0
	v_mul_f64 v[188:189], v[204:205], v[190:191]
	v_xor_b32_e32 v191, 0x80000000, v191
.LBB92_805:
	s_andn2_saveexec_b64 s[16:17], s[16:17]
	s_cbranch_execz .LBB92_807
; %bb.806:
	v_div_scale_f64 v[204:205], s[18:19], v[188:189], v[188:189], v[190:191]
	v_rcp_f64_e32 v[206:207], v[204:205]
	v_div_scale_f64 v[208:209], vcc, v[190:191], v[188:189], v[190:191]
	v_fma_f64 v[210:211], -v[204:205], v[206:207], 1.0
	v_fmac_f64_e32 v[206:207], v[206:207], v[210:211]
	v_fma_f64 v[210:211], -v[204:205], v[206:207], 1.0
	v_fmac_f64_e32 v[206:207], v[206:207], v[210:211]
	v_mul_f64 v[210:211], v[208:209], v[206:207]
	v_fma_f64 v[204:205], -v[204:205], v[210:211], v[208:209]
	v_div_fmas_f64 v[204:205], v[204:205], v[206:207], v[210:211]
	v_div_fixup_f64 v[204:205], v[204:205], v[188:189], v[190:191]
	v_fmac_f64_e32 v[188:189], v[190:191], v[204:205]
	v_div_scale_f64 v[190:191], s[18:19], v[188:189], v[188:189], 1.0
	v_rcp_f64_e32 v[206:207], v[190:191]
	s_nop 0
	v_fma_f64 v[208:209], -v[190:191], v[206:207], 1.0
	v_fmac_f64_e32 v[206:207], v[206:207], v[208:209]
	v_fma_f64 v[208:209], -v[190:191], v[206:207], 1.0
	v_fmac_f64_e32 v[206:207], v[206:207], v[208:209]
	v_div_scale_f64 v[208:209], vcc, 1.0, v[188:189], 1.0
	v_mul_f64 v[210:211], v[208:209], v[206:207]
	v_fma_f64 v[190:191], -v[190:191], v[210:211], v[208:209]
	s_nop 1
	v_div_fmas_f64 v[190:191], v[190:191], v[206:207], v[210:211]
	v_div_fixup_f64 v[188:189], v[190:191], v[188:189], 1.0
	v_mul_f64 v[190:191], v[204:205], -v[188:189]
.LBB92_807:
	s_or_b64 exec, exec, s[16:17]
.LBB92_808:
	s_or_b64 exec, exec, s[0:1]
	v_cmp_ne_u32_e32 vcc, v201, v198
	s_and_saveexec_b64 s[0:1], vcc
	s_xor_b64 s[0:1], exec, s[0:1]
	s_cbranch_execz .LBB92_814
; %bb.809:
	v_cmp_eq_u32_e32 vcc, 38, v201
	s_and_saveexec_b64 s[16:17], vcc
	s_cbranch_execz .LBB92_813
; %bb.810:
	v_cmp_ne_u32_e32 vcc, 38, v198
	s_xor_b64 s[18:19], s[14:15], -1
	s_and_b64 s[22:23], s[18:19], vcc
	s_and_saveexec_b64 s[18:19], s[22:23]
	s_cbranch_execz .LBB92_812
; %bb.811:
	v_ashrrev_i32_e32 v199, 31, v198
	v_lshl_add_u64 v[204:205], v[198:199], 2, v[196:197]
	global_load_dword v199, v[204:205], off
	global_load_dword v201, v[196:197], off offset:152
	s_waitcnt vmcnt(1)
	global_store_dword v[196:197], v199, off offset:152
	s_waitcnt vmcnt(1)
	global_store_dword v[204:205], v201, off
.LBB92_812:
	s_or_b64 exec, exec, s[18:19]
	v_mov_b32_e32 v201, v198
	v_mov_b32_e32 v203, v198
.LBB92_813:
	s_or_b64 exec, exec, s[16:17]
.LBB92_814:
	s_andn2_saveexec_b64 s[0:1], s[0:1]
	s_cbranch_execz .LBB92_816
; %bb.815:
	v_mov_b32_e32 v201, 38
	s_waitcnt vmcnt(7)
	ds_write2_b64 v200, v[24:25], v[26:27] offset0:78 offset1:79
	s_waitcnt vmcnt(6)
	ds_write2_b64 v200, v[20:21], v[22:23] offset0:80 offset1:81
	;; [unrolled: 2-line block ×8, first 2 shown]
.LBB92_816:
	s_or_b64 exec, exec, s[0:1]
	v_cmp_lt_i32_e32 vcc, 38, v201
	s_waitcnt lgkmcnt(0)
	s_barrier
	s_and_saveexec_b64 s[0:1], vcc
	s_cbranch_execz .LBB92_818
; %bb.817:
	ds_read2_b64 v[204:207], v200 offset0:78 offset1:79
	v_mul_f64 v[198:199], v[188:189], v[30:31]
	v_mul_f64 v[30:31], v[190:191], v[30:31]
	v_fmac_f64_e32 v[198:199], v[190:191], v[28:29]
	v_fma_f64 v[28:29], v[188:189], v[28:29], -v[30:31]
	ds_read2_b64 v[188:191], v200 offset0:80 offset1:81
	s_waitcnt lgkmcnt(1)
	v_mul_f64 v[30:31], v[206:207], v[198:199]
	v_fma_f64 v[30:31], v[204:205], v[28:29], -v[30:31]
	v_mul_f64 v[204:205], v[204:205], v[198:199]
	v_fmac_f64_e32 v[204:205], v[206:207], v[28:29]
	s_waitcnt vmcnt(7)
	v_add_f64 v[24:25], v[24:25], -v[30:31]
	s_waitcnt lgkmcnt(0)
	v_mul_f64 v[30:31], v[190:191], v[198:199]
	v_add_f64 v[26:27], v[26:27], -v[204:205]
	v_fma_f64 v[30:31], v[188:189], v[28:29], -v[30:31]
	v_mul_f64 v[188:189], v[188:189], v[198:199]
	ds_read2_b64 v[204:207], v200 offset0:82 offset1:83
	v_fmac_f64_e32 v[188:189], v[190:191], v[28:29]
	s_waitcnt vmcnt(6)
	v_add_f64 v[22:23], v[22:23], -v[188:189]
	ds_read2_b64 v[188:191], v200 offset0:84 offset1:85
	v_add_f64 v[20:21], v[20:21], -v[30:31]
	s_waitcnt lgkmcnt(1)
	v_mul_f64 v[30:31], v[206:207], v[198:199]
	v_fma_f64 v[30:31], v[204:205], v[28:29], -v[30:31]
	v_mul_f64 v[204:205], v[204:205], v[198:199]
	v_fmac_f64_e32 v[204:205], v[206:207], v[28:29]
	s_waitcnt vmcnt(5)
	v_add_f64 v[16:17], v[16:17], -v[30:31]
	s_waitcnt lgkmcnt(0)
	v_mul_f64 v[30:31], v[190:191], v[198:199]
	v_add_f64 v[18:19], v[18:19], -v[204:205]
	v_fma_f64 v[30:31], v[188:189], v[28:29], -v[30:31]
	v_mul_f64 v[188:189], v[188:189], v[198:199]
	ds_read2_b64 v[204:207], v200 offset0:86 offset1:87
	v_fmac_f64_e32 v[188:189], v[190:191], v[28:29]
	s_waitcnt vmcnt(4)
	v_add_f64 v[14:15], v[14:15], -v[188:189]
	ds_read2_b64 v[188:191], v200 offset0:88 offset1:89
	v_add_f64 v[12:13], v[12:13], -v[30:31]
	s_waitcnt lgkmcnt(1)
	v_mul_f64 v[30:31], v[206:207], v[198:199]
	v_fma_f64 v[30:31], v[204:205], v[28:29], -v[30:31]
	v_mul_f64 v[204:205], v[204:205], v[198:199]
	v_fmac_f64_e32 v[204:205], v[206:207], v[28:29]
	s_waitcnt vmcnt(3)
	v_add_f64 v[8:9], v[8:9], -v[30:31]
	s_waitcnt lgkmcnt(0)
	v_mul_f64 v[30:31], v[190:191], v[198:199]
	v_add_f64 v[10:11], v[10:11], -v[204:205]
	v_fma_f64 v[30:31], v[188:189], v[28:29], -v[30:31]
	v_mul_f64 v[188:189], v[188:189], v[198:199]
	ds_read2_b64 v[204:207], v200 offset0:90 offset1:91
	v_fmac_f64_e32 v[188:189], v[190:191], v[28:29]
	s_waitcnt vmcnt(2)
	v_add_f64 v[6:7], v[6:7], -v[188:189]
	ds_read2_b64 v[188:191], v200 offset0:92 offset1:93
	v_add_f64 v[4:5], v[4:5], -v[30:31]
	s_waitcnt lgkmcnt(1)
	v_mul_f64 v[30:31], v[206:207], v[198:199]
	v_fma_f64 v[30:31], v[204:205], v[28:29], -v[30:31]
	s_waitcnt vmcnt(1)
	v_add_f64 v[0:1], v[0:1], -v[30:31]
	s_waitcnt lgkmcnt(0)
	v_mul_f64 v[30:31], v[190:191], v[198:199]
	v_mul_f64 v[204:205], v[204:205], v[198:199]
	v_fma_f64 v[30:31], v[188:189], v[28:29], -v[30:31]
	v_mul_f64 v[188:189], v[188:189], v[198:199]
	v_fmac_f64_e32 v[204:205], v[206:207], v[28:29]
	v_fmac_f64_e32 v[188:189], v[190:191], v[28:29]
	v_add_f64 v[2:3], v[2:3], -v[204:205]
	s_waitcnt vmcnt(0)
	v_add_f64 v[184:185], v[184:185], -v[30:31]
	v_add_f64 v[186:187], v[186:187], -v[188:189]
	v_mov_b64_e32 v[30:31], v[198:199]
.LBB92_818:
	s_or_b64 exec, exec, s[0:1]
	v_lshl_add_u32 v188, v201, 4, v200
	s_barrier
	s_waitcnt vmcnt(7)
	ds_write2_b64 v188, v[24:25], v[26:27] offset1:1
	s_waitcnt lgkmcnt(0)
	s_barrier
	ds_read2_b64 v[188:191], v200 offset0:78 offset1:79
	s_cmp_lt_i32 s20, 41
	v_mov_b32_e32 v198, 39
	s_cbranch_scc1 .LBB92_821
; %bb.819:
	v_add_u32_e32 v199, 0x280, v200
	s_mov_b32 s16, 40
	v_mov_b32_e32 v198, 39
.LBB92_820:                             ; =>This Inner Loop Header: Depth=1
	ds_read2_b64 v[204:207], v199 offset1:1
	s_waitcnt lgkmcnt(1)
	v_xor_b32_e32 v209, 0x80000000, v189
	v_xor_b32_e32 v211, 0x80000000, v191
	v_cmp_gt_f64_e32 vcc, 0, v[190:191]
	v_cmp_gt_f64_e64 s[0:1], 0, v[188:189]
	v_mov_b32_e32 v208, v188
	v_mov_b32_e32 v210, v190
	v_cndmask_b32_e64 v209, v189, v209, s[0:1]
	v_cndmask_b32_e32 v211, v191, v211, vcc
	v_add_f64 v[208:209], v[208:209], v[210:211]
	s_waitcnt lgkmcnt(0)
	v_xor_b32_e32 v211, 0x80000000, v205
	v_xor_b32_e32 v213, 0x80000000, v207
	v_cmp_gt_f64_e32 vcc, 0, v[206:207]
	v_cmp_gt_f64_e64 s[0:1], 0, v[204:205]
	v_mov_b32_e32 v210, v204
	v_mov_b32_e32 v212, v206
	v_cndmask_b32_e64 v211, v205, v211, s[0:1]
	v_cndmask_b32_e32 v213, v207, v213, vcc
	v_add_f64 v[210:211], v[210:211], v[212:213]
	v_mov_b32_e32 v214, s16
	s_add_i32 s16, s16, 1
	v_cmp_lt_f64_e32 vcc, v[208:209], v[210:211]
	v_add_u32_e32 v199, 16, v199
	s_cmp_lg_u32 s20, s16
	v_cndmask_b32_e32 v189, v189, v205, vcc
	v_cndmask_b32_e32 v188, v188, v204, vcc
	;; [unrolled: 1-line block ×5, first 2 shown]
	s_cbranch_scc1 .LBB92_820
.LBB92_821:
	s_waitcnt lgkmcnt(0)
	v_cmp_eq_f64_e32 vcc, 0, v[188:189]
	v_cmp_eq_f64_e64 s[0:1], 0, v[190:191]
	s_and_b64 s[0:1], vcc, s[0:1]
	s_and_saveexec_b64 s[16:17], s[0:1]
	s_xor_b64 s[0:1], exec, s[16:17]
; %bb.822:
	v_cmp_ne_u32_e32 vcc, 0, v202
	s_nop 1
	v_cndmask_b32_e32 v202, 40, v202, vcc
; %bb.823:
	s_andn2_saveexec_b64 s[0:1], s[0:1]
	s_cbranch_execz .LBB92_829
; %bb.824:
	v_cmp_ngt_f64_e64 s[16:17], |v[188:189]|, |v[190:191]|
	s_and_saveexec_b64 s[18:19], s[16:17]
	s_xor_b64 s[16:17], exec, s[18:19]
	s_cbranch_execz .LBB92_826
; %bb.825:
	v_div_scale_f64 v[204:205], s[18:19], v[190:191], v[190:191], v[188:189]
	v_rcp_f64_e32 v[206:207], v[204:205]
	v_div_scale_f64 v[208:209], vcc, v[188:189], v[190:191], v[188:189]
	v_fma_f64 v[210:211], -v[204:205], v[206:207], 1.0
	v_fmac_f64_e32 v[206:207], v[206:207], v[210:211]
	v_fma_f64 v[210:211], -v[204:205], v[206:207], 1.0
	v_fmac_f64_e32 v[206:207], v[206:207], v[210:211]
	v_mul_f64 v[210:211], v[208:209], v[206:207]
	v_fma_f64 v[204:205], -v[204:205], v[210:211], v[208:209]
	v_div_fmas_f64 v[204:205], v[204:205], v[206:207], v[210:211]
	v_div_fixup_f64 v[204:205], v[204:205], v[190:191], v[188:189]
	v_fmac_f64_e32 v[190:191], v[188:189], v[204:205]
	v_div_scale_f64 v[188:189], s[18:19], v[190:191], v[190:191], 1.0
	v_rcp_f64_e32 v[206:207], v[188:189]
	s_nop 0
	v_fma_f64 v[208:209], -v[188:189], v[206:207], 1.0
	v_fmac_f64_e32 v[206:207], v[206:207], v[208:209]
	v_fma_f64 v[208:209], -v[188:189], v[206:207], 1.0
	v_fmac_f64_e32 v[206:207], v[206:207], v[208:209]
	v_div_scale_f64 v[208:209], vcc, 1.0, v[190:191], 1.0
	v_mul_f64 v[210:211], v[208:209], v[206:207]
	v_fma_f64 v[188:189], -v[188:189], v[210:211], v[208:209]
	s_nop 1
	v_div_fmas_f64 v[188:189], v[188:189], v[206:207], v[210:211]
	v_div_fixup_f64 v[190:191], v[188:189], v[190:191], 1.0
	v_mul_f64 v[188:189], v[204:205], v[190:191]
	v_xor_b32_e32 v191, 0x80000000, v191
.LBB92_826:
	s_andn2_saveexec_b64 s[16:17], s[16:17]
	s_cbranch_execz .LBB92_828
; %bb.827:
	v_div_scale_f64 v[204:205], s[18:19], v[188:189], v[188:189], v[190:191]
	v_rcp_f64_e32 v[206:207], v[204:205]
	v_div_scale_f64 v[208:209], vcc, v[190:191], v[188:189], v[190:191]
	v_fma_f64 v[210:211], -v[204:205], v[206:207], 1.0
	v_fmac_f64_e32 v[206:207], v[206:207], v[210:211]
	v_fma_f64 v[210:211], -v[204:205], v[206:207], 1.0
	v_fmac_f64_e32 v[206:207], v[206:207], v[210:211]
	v_mul_f64 v[210:211], v[208:209], v[206:207]
	v_fma_f64 v[204:205], -v[204:205], v[210:211], v[208:209]
	v_div_fmas_f64 v[204:205], v[204:205], v[206:207], v[210:211]
	v_div_fixup_f64 v[204:205], v[204:205], v[188:189], v[190:191]
	v_fmac_f64_e32 v[188:189], v[190:191], v[204:205]
	v_div_scale_f64 v[190:191], s[18:19], v[188:189], v[188:189], 1.0
	v_rcp_f64_e32 v[206:207], v[190:191]
	s_nop 0
	v_fma_f64 v[208:209], -v[190:191], v[206:207], 1.0
	v_fmac_f64_e32 v[206:207], v[206:207], v[208:209]
	v_fma_f64 v[208:209], -v[190:191], v[206:207], 1.0
	v_fmac_f64_e32 v[206:207], v[206:207], v[208:209]
	v_div_scale_f64 v[208:209], vcc, 1.0, v[188:189], 1.0
	v_mul_f64 v[210:211], v[208:209], v[206:207]
	v_fma_f64 v[190:191], -v[190:191], v[210:211], v[208:209]
	s_nop 1
	v_div_fmas_f64 v[190:191], v[190:191], v[206:207], v[210:211]
	v_div_fixup_f64 v[188:189], v[190:191], v[188:189], 1.0
	v_mul_f64 v[190:191], v[204:205], -v[188:189]
.LBB92_828:
	s_or_b64 exec, exec, s[16:17]
.LBB92_829:
	s_or_b64 exec, exec, s[0:1]
	v_cmp_ne_u32_e32 vcc, v201, v198
	s_and_saveexec_b64 s[0:1], vcc
	s_xor_b64 s[0:1], exec, s[0:1]
	s_cbranch_execz .LBB92_835
; %bb.830:
	v_cmp_eq_u32_e32 vcc, 39, v201
	s_and_saveexec_b64 s[16:17], vcc
	s_cbranch_execz .LBB92_834
; %bb.831:
	v_cmp_ne_u32_e32 vcc, 39, v198
	s_xor_b64 s[18:19], s[14:15], -1
	s_and_b64 s[22:23], s[18:19], vcc
	s_and_saveexec_b64 s[18:19], s[22:23]
	s_cbranch_execz .LBB92_833
; %bb.832:
	v_ashrrev_i32_e32 v199, 31, v198
	v_lshl_add_u64 v[204:205], v[198:199], 2, v[196:197]
	global_load_dword v199, v[204:205], off
	global_load_dword v201, v[196:197], off offset:156
	s_waitcnt vmcnt(1)
	global_store_dword v[196:197], v199, off offset:156
	s_waitcnt vmcnt(1)
	global_store_dword v[204:205], v201, off
.LBB92_833:
	s_or_b64 exec, exec, s[18:19]
	v_mov_b32_e32 v201, v198
	v_mov_b32_e32 v203, v198
.LBB92_834:
	s_or_b64 exec, exec, s[16:17]
.LBB92_835:
	s_andn2_saveexec_b64 s[0:1], s[0:1]
	s_cbranch_execz .LBB92_837
; %bb.836:
	v_mov_b32_e32 v201, 39
	s_waitcnt vmcnt(6)
	ds_write2_b64 v200, v[20:21], v[22:23] offset0:80 offset1:81
	s_waitcnt vmcnt(5)
	ds_write2_b64 v200, v[16:17], v[18:19] offset0:82 offset1:83
	;; [unrolled: 2-line block ×7, first 2 shown]
.LBB92_837:
	s_or_b64 exec, exec, s[0:1]
	v_cmp_lt_i32_e32 vcc, 39, v201
	s_waitcnt lgkmcnt(0)
	s_barrier
	s_and_saveexec_b64 s[0:1], vcc
	s_cbranch_execz .LBB92_839
; %bb.838:
	ds_read2_b64 v[204:207], v200 offset0:80 offset1:81
	v_mul_f64 v[198:199], v[188:189], v[26:27]
	v_fmac_f64_e32 v[198:199], v[190:191], v[24:25]
	v_mul_f64 v[26:27], v[190:191], v[26:27]
	v_fma_f64 v[24:25], v[188:189], v[24:25], -v[26:27]
	ds_read2_b64 v[188:191], v200 offset0:82 offset1:83
	s_waitcnt lgkmcnt(1)
	v_mul_f64 v[26:27], v[206:207], v[198:199]
	v_fma_f64 v[26:27], v[204:205], v[24:25], -v[26:27]
	v_mul_f64 v[204:205], v[204:205], v[198:199]
	v_fmac_f64_e32 v[204:205], v[206:207], v[24:25]
	s_waitcnt vmcnt(6)
	v_add_f64 v[22:23], v[22:23], -v[204:205]
	ds_read2_b64 v[204:207], v200 offset0:84 offset1:85
	v_add_f64 v[20:21], v[20:21], -v[26:27]
	s_waitcnt lgkmcnt(1)
	v_mul_f64 v[26:27], v[190:191], v[198:199]
	v_fma_f64 v[26:27], v[188:189], v[24:25], -v[26:27]
	v_mul_f64 v[188:189], v[188:189], v[198:199]
	v_fmac_f64_e32 v[188:189], v[190:191], v[24:25]
	s_waitcnt vmcnt(5)
	v_add_f64 v[16:17], v[16:17], -v[26:27]
	v_add_f64 v[18:19], v[18:19], -v[188:189]
	ds_read2_b64 v[188:191], v200 offset0:86 offset1:87
	s_waitcnt lgkmcnt(1)
	v_mul_f64 v[26:27], v[206:207], v[198:199]
	v_fma_f64 v[26:27], v[204:205], v[24:25], -v[26:27]
	v_mul_f64 v[204:205], v[204:205], v[198:199]
	v_fmac_f64_e32 v[204:205], v[206:207], v[24:25]
	s_waitcnt vmcnt(4)
	v_add_f64 v[14:15], v[14:15], -v[204:205]
	ds_read2_b64 v[204:207], v200 offset0:88 offset1:89
	v_add_f64 v[12:13], v[12:13], -v[26:27]
	s_waitcnt lgkmcnt(1)
	v_mul_f64 v[26:27], v[190:191], v[198:199]
	v_fma_f64 v[26:27], v[188:189], v[24:25], -v[26:27]
	v_mul_f64 v[188:189], v[188:189], v[198:199]
	v_fmac_f64_e32 v[188:189], v[190:191], v[24:25]
	s_waitcnt vmcnt(3)
	v_add_f64 v[8:9], v[8:9], -v[26:27]
	v_add_f64 v[10:11], v[10:11], -v[188:189]
	;; [unrolled: 18-line block ×3, first 2 shown]
	s_waitcnt lgkmcnt(0)
	v_mul_f64 v[26:27], v[206:207], v[198:199]
	v_mul_f64 v[188:189], v[204:205], v[198:199]
	v_fma_f64 v[26:27], v[204:205], v[24:25], -v[26:27]
	v_fmac_f64_e32 v[188:189], v[206:207], v[24:25]
	s_waitcnt vmcnt(0)
	v_add_f64 v[184:185], v[184:185], -v[26:27]
	v_add_f64 v[186:187], v[186:187], -v[188:189]
	v_mov_b64_e32 v[26:27], v[198:199]
.LBB92_839:
	s_or_b64 exec, exec, s[0:1]
	v_lshl_add_u32 v188, v201, 4, v200
	s_barrier
	s_waitcnt vmcnt(6)
	ds_write2_b64 v188, v[20:21], v[22:23] offset1:1
	s_waitcnt lgkmcnt(0)
	s_barrier
	ds_read2_b64 v[188:191], v200 offset0:80 offset1:81
	s_cmp_lt_i32 s20, 42
	v_mov_b32_e32 v198, 40
	s_cbranch_scc1 .LBB92_842
; %bb.840:
	v_add_u32_e32 v199, 0x290, v200
	s_mov_b32 s16, 41
	v_mov_b32_e32 v198, 40
.LBB92_841:                             ; =>This Inner Loop Header: Depth=1
	ds_read2_b64 v[204:207], v199 offset1:1
	s_waitcnt lgkmcnt(1)
	v_xor_b32_e32 v209, 0x80000000, v189
	v_xor_b32_e32 v211, 0x80000000, v191
	v_cmp_gt_f64_e32 vcc, 0, v[190:191]
	v_cmp_gt_f64_e64 s[0:1], 0, v[188:189]
	v_mov_b32_e32 v208, v188
	v_mov_b32_e32 v210, v190
	v_cndmask_b32_e64 v209, v189, v209, s[0:1]
	v_cndmask_b32_e32 v211, v191, v211, vcc
	v_add_f64 v[208:209], v[208:209], v[210:211]
	s_waitcnt lgkmcnt(0)
	v_xor_b32_e32 v211, 0x80000000, v205
	v_xor_b32_e32 v213, 0x80000000, v207
	v_cmp_gt_f64_e32 vcc, 0, v[206:207]
	v_cmp_gt_f64_e64 s[0:1], 0, v[204:205]
	v_mov_b32_e32 v210, v204
	v_mov_b32_e32 v212, v206
	v_cndmask_b32_e64 v211, v205, v211, s[0:1]
	v_cndmask_b32_e32 v213, v207, v213, vcc
	v_add_f64 v[210:211], v[210:211], v[212:213]
	v_mov_b32_e32 v214, s16
	s_add_i32 s16, s16, 1
	v_cmp_lt_f64_e32 vcc, v[208:209], v[210:211]
	v_add_u32_e32 v199, 16, v199
	s_cmp_lg_u32 s20, s16
	v_cndmask_b32_e32 v189, v189, v205, vcc
	v_cndmask_b32_e32 v188, v188, v204, vcc
	;; [unrolled: 1-line block ×5, first 2 shown]
	s_cbranch_scc1 .LBB92_841
.LBB92_842:
	s_waitcnt lgkmcnt(0)
	v_cmp_eq_f64_e32 vcc, 0, v[188:189]
	v_cmp_eq_f64_e64 s[0:1], 0, v[190:191]
	s_and_b64 s[0:1], vcc, s[0:1]
	s_and_saveexec_b64 s[16:17], s[0:1]
	s_xor_b64 s[0:1], exec, s[16:17]
; %bb.843:
	v_cmp_ne_u32_e32 vcc, 0, v202
	s_nop 1
	v_cndmask_b32_e32 v202, 41, v202, vcc
; %bb.844:
	s_andn2_saveexec_b64 s[0:1], s[0:1]
	s_cbranch_execz .LBB92_850
; %bb.845:
	v_cmp_ngt_f64_e64 s[16:17], |v[188:189]|, |v[190:191]|
	s_and_saveexec_b64 s[18:19], s[16:17]
	s_xor_b64 s[16:17], exec, s[18:19]
	s_cbranch_execz .LBB92_847
; %bb.846:
	v_div_scale_f64 v[204:205], s[18:19], v[190:191], v[190:191], v[188:189]
	v_rcp_f64_e32 v[206:207], v[204:205]
	v_div_scale_f64 v[208:209], vcc, v[188:189], v[190:191], v[188:189]
	v_fma_f64 v[210:211], -v[204:205], v[206:207], 1.0
	v_fmac_f64_e32 v[206:207], v[206:207], v[210:211]
	v_fma_f64 v[210:211], -v[204:205], v[206:207], 1.0
	v_fmac_f64_e32 v[206:207], v[206:207], v[210:211]
	v_mul_f64 v[210:211], v[208:209], v[206:207]
	v_fma_f64 v[204:205], -v[204:205], v[210:211], v[208:209]
	v_div_fmas_f64 v[204:205], v[204:205], v[206:207], v[210:211]
	v_div_fixup_f64 v[204:205], v[204:205], v[190:191], v[188:189]
	v_fmac_f64_e32 v[190:191], v[188:189], v[204:205]
	v_div_scale_f64 v[188:189], s[18:19], v[190:191], v[190:191], 1.0
	v_rcp_f64_e32 v[206:207], v[188:189]
	s_nop 0
	v_fma_f64 v[208:209], -v[188:189], v[206:207], 1.0
	v_fmac_f64_e32 v[206:207], v[206:207], v[208:209]
	v_fma_f64 v[208:209], -v[188:189], v[206:207], 1.0
	v_fmac_f64_e32 v[206:207], v[206:207], v[208:209]
	v_div_scale_f64 v[208:209], vcc, 1.0, v[190:191], 1.0
	v_mul_f64 v[210:211], v[208:209], v[206:207]
	v_fma_f64 v[188:189], -v[188:189], v[210:211], v[208:209]
	s_nop 1
	v_div_fmas_f64 v[188:189], v[188:189], v[206:207], v[210:211]
	v_div_fixup_f64 v[190:191], v[188:189], v[190:191], 1.0
	v_mul_f64 v[188:189], v[204:205], v[190:191]
	v_xor_b32_e32 v191, 0x80000000, v191
.LBB92_847:
	s_andn2_saveexec_b64 s[16:17], s[16:17]
	s_cbranch_execz .LBB92_849
; %bb.848:
	v_div_scale_f64 v[204:205], s[18:19], v[188:189], v[188:189], v[190:191]
	v_rcp_f64_e32 v[206:207], v[204:205]
	v_div_scale_f64 v[208:209], vcc, v[190:191], v[188:189], v[190:191]
	v_fma_f64 v[210:211], -v[204:205], v[206:207], 1.0
	v_fmac_f64_e32 v[206:207], v[206:207], v[210:211]
	v_fma_f64 v[210:211], -v[204:205], v[206:207], 1.0
	v_fmac_f64_e32 v[206:207], v[206:207], v[210:211]
	v_mul_f64 v[210:211], v[208:209], v[206:207]
	v_fma_f64 v[204:205], -v[204:205], v[210:211], v[208:209]
	v_div_fmas_f64 v[204:205], v[204:205], v[206:207], v[210:211]
	v_div_fixup_f64 v[204:205], v[204:205], v[188:189], v[190:191]
	v_fmac_f64_e32 v[188:189], v[190:191], v[204:205]
	v_div_scale_f64 v[190:191], s[18:19], v[188:189], v[188:189], 1.0
	v_rcp_f64_e32 v[206:207], v[190:191]
	s_nop 0
	v_fma_f64 v[208:209], -v[190:191], v[206:207], 1.0
	v_fmac_f64_e32 v[206:207], v[206:207], v[208:209]
	v_fma_f64 v[208:209], -v[190:191], v[206:207], 1.0
	v_fmac_f64_e32 v[206:207], v[206:207], v[208:209]
	v_div_scale_f64 v[208:209], vcc, 1.0, v[188:189], 1.0
	v_mul_f64 v[210:211], v[208:209], v[206:207]
	v_fma_f64 v[190:191], -v[190:191], v[210:211], v[208:209]
	s_nop 1
	v_div_fmas_f64 v[190:191], v[190:191], v[206:207], v[210:211]
	v_div_fixup_f64 v[188:189], v[190:191], v[188:189], 1.0
	v_mul_f64 v[190:191], v[204:205], -v[188:189]
.LBB92_849:
	s_or_b64 exec, exec, s[16:17]
.LBB92_850:
	s_or_b64 exec, exec, s[0:1]
	v_cmp_ne_u32_e32 vcc, v201, v198
	s_and_saveexec_b64 s[0:1], vcc
	s_xor_b64 s[0:1], exec, s[0:1]
	s_cbranch_execz .LBB92_856
; %bb.851:
	v_cmp_eq_u32_e32 vcc, 40, v201
	s_and_saveexec_b64 s[16:17], vcc
	s_cbranch_execz .LBB92_855
; %bb.852:
	v_cmp_ne_u32_e32 vcc, 40, v198
	s_xor_b64 s[18:19], s[14:15], -1
	s_and_b64 s[22:23], s[18:19], vcc
	s_and_saveexec_b64 s[18:19], s[22:23]
	s_cbranch_execz .LBB92_854
; %bb.853:
	v_ashrrev_i32_e32 v199, 31, v198
	v_lshl_add_u64 v[204:205], v[198:199], 2, v[196:197]
	global_load_dword v199, v[204:205], off
	global_load_dword v201, v[196:197], off offset:160
	s_waitcnt vmcnt(1)
	global_store_dword v[196:197], v199, off offset:160
	s_waitcnt vmcnt(1)
	global_store_dword v[204:205], v201, off
.LBB92_854:
	s_or_b64 exec, exec, s[18:19]
	v_mov_b32_e32 v201, v198
	v_mov_b32_e32 v203, v198
.LBB92_855:
	s_or_b64 exec, exec, s[16:17]
.LBB92_856:
	s_andn2_saveexec_b64 s[0:1], s[0:1]
	s_cbranch_execz .LBB92_858
; %bb.857:
	v_mov_b32_e32 v201, 40
	s_waitcnt vmcnt(5)
	ds_write2_b64 v200, v[16:17], v[18:19] offset0:82 offset1:83
	s_waitcnt vmcnt(4)
	ds_write2_b64 v200, v[12:13], v[14:15] offset0:84 offset1:85
	;; [unrolled: 2-line block ×6, first 2 shown]
.LBB92_858:
	s_or_b64 exec, exec, s[0:1]
	v_cmp_lt_i32_e32 vcc, 40, v201
	s_waitcnt lgkmcnt(0)
	s_barrier
	s_and_saveexec_b64 s[0:1], vcc
	s_cbranch_execz .LBB92_860
; %bb.859:
	ds_read2_b64 v[204:207], v200 offset0:82 offset1:83
	v_mul_f64 v[198:199], v[188:189], v[22:23]
	v_mul_f64 v[22:23], v[190:191], v[22:23]
	v_fmac_f64_e32 v[198:199], v[190:191], v[20:21]
	v_fma_f64 v[20:21], v[188:189], v[20:21], -v[22:23]
	ds_read2_b64 v[188:191], v200 offset0:84 offset1:85
	s_waitcnt lgkmcnt(1)
	v_mul_f64 v[22:23], v[206:207], v[198:199]
	v_fma_f64 v[22:23], v[204:205], v[20:21], -v[22:23]
	v_mul_f64 v[204:205], v[204:205], v[198:199]
	v_fmac_f64_e32 v[204:205], v[206:207], v[20:21]
	s_waitcnt vmcnt(5)
	v_add_f64 v[16:17], v[16:17], -v[22:23]
	s_waitcnt lgkmcnt(0)
	v_mul_f64 v[22:23], v[190:191], v[198:199]
	v_add_f64 v[18:19], v[18:19], -v[204:205]
	v_fma_f64 v[22:23], v[188:189], v[20:21], -v[22:23]
	v_mul_f64 v[188:189], v[188:189], v[198:199]
	ds_read2_b64 v[204:207], v200 offset0:86 offset1:87
	v_fmac_f64_e32 v[188:189], v[190:191], v[20:21]
	s_waitcnt vmcnt(4)
	v_add_f64 v[14:15], v[14:15], -v[188:189]
	ds_read2_b64 v[188:191], v200 offset0:88 offset1:89
	v_add_f64 v[12:13], v[12:13], -v[22:23]
	s_waitcnt lgkmcnt(1)
	v_mul_f64 v[22:23], v[206:207], v[198:199]
	v_fma_f64 v[22:23], v[204:205], v[20:21], -v[22:23]
	v_mul_f64 v[204:205], v[204:205], v[198:199]
	v_fmac_f64_e32 v[204:205], v[206:207], v[20:21]
	s_waitcnt vmcnt(3)
	v_add_f64 v[8:9], v[8:9], -v[22:23]
	s_waitcnt lgkmcnt(0)
	v_mul_f64 v[22:23], v[190:191], v[198:199]
	v_add_f64 v[10:11], v[10:11], -v[204:205]
	v_fma_f64 v[22:23], v[188:189], v[20:21], -v[22:23]
	v_mul_f64 v[188:189], v[188:189], v[198:199]
	ds_read2_b64 v[204:207], v200 offset0:90 offset1:91
	v_fmac_f64_e32 v[188:189], v[190:191], v[20:21]
	s_waitcnt vmcnt(2)
	v_add_f64 v[6:7], v[6:7], -v[188:189]
	ds_read2_b64 v[188:191], v200 offset0:92 offset1:93
	v_add_f64 v[4:5], v[4:5], -v[22:23]
	s_waitcnt lgkmcnt(1)
	v_mul_f64 v[22:23], v[206:207], v[198:199]
	v_fma_f64 v[22:23], v[204:205], v[20:21], -v[22:23]
	s_waitcnt vmcnt(1)
	v_add_f64 v[0:1], v[0:1], -v[22:23]
	s_waitcnt lgkmcnt(0)
	v_mul_f64 v[22:23], v[190:191], v[198:199]
	v_mul_f64 v[204:205], v[204:205], v[198:199]
	v_fma_f64 v[22:23], v[188:189], v[20:21], -v[22:23]
	v_mul_f64 v[188:189], v[188:189], v[198:199]
	v_fmac_f64_e32 v[204:205], v[206:207], v[20:21]
	v_fmac_f64_e32 v[188:189], v[190:191], v[20:21]
	v_add_f64 v[2:3], v[2:3], -v[204:205]
	s_waitcnt vmcnt(0)
	v_add_f64 v[184:185], v[184:185], -v[22:23]
	v_add_f64 v[186:187], v[186:187], -v[188:189]
	v_mov_b64_e32 v[22:23], v[198:199]
.LBB92_860:
	s_or_b64 exec, exec, s[0:1]
	v_lshl_add_u32 v188, v201, 4, v200
	s_barrier
	s_waitcnt vmcnt(5)
	ds_write2_b64 v188, v[16:17], v[18:19] offset1:1
	s_waitcnt lgkmcnt(0)
	s_barrier
	ds_read2_b64 v[188:191], v200 offset0:82 offset1:83
	s_cmp_lt_i32 s20, 43
	v_mov_b32_e32 v198, 41
	s_cbranch_scc1 .LBB92_863
; %bb.861:
	v_add_u32_e32 v199, 0x2a0, v200
	s_mov_b32 s16, 42
	v_mov_b32_e32 v198, 41
.LBB92_862:                             ; =>This Inner Loop Header: Depth=1
	ds_read2_b64 v[204:207], v199 offset1:1
	s_waitcnt lgkmcnt(1)
	v_xor_b32_e32 v209, 0x80000000, v189
	v_xor_b32_e32 v211, 0x80000000, v191
	v_cmp_gt_f64_e32 vcc, 0, v[190:191]
	v_cmp_gt_f64_e64 s[0:1], 0, v[188:189]
	v_mov_b32_e32 v208, v188
	v_mov_b32_e32 v210, v190
	v_cndmask_b32_e64 v209, v189, v209, s[0:1]
	v_cndmask_b32_e32 v211, v191, v211, vcc
	v_add_f64 v[208:209], v[208:209], v[210:211]
	s_waitcnt lgkmcnt(0)
	v_xor_b32_e32 v211, 0x80000000, v205
	v_xor_b32_e32 v213, 0x80000000, v207
	v_cmp_gt_f64_e32 vcc, 0, v[206:207]
	v_cmp_gt_f64_e64 s[0:1], 0, v[204:205]
	v_mov_b32_e32 v210, v204
	v_mov_b32_e32 v212, v206
	v_cndmask_b32_e64 v211, v205, v211, s[0:1]
	v_cndmask_b32_e32 v213, v207, v213, vcc
	v_add_f64 v[210:211], v[210:211], v[212:213]
	v_mov_b32_e32 v214, s16
	s_add_i32 s16, s16, 1
	v_cmp_lt_f64_e32 vcc, v[208:209], v[210:211]
	v_add_u32_e32 v199, 16, v199
	s_cmp_lg_u32 s20, s16
	v_cndmask_b32_e32 v189, v189, v205, vcc
	v_cndmask_b32_e32 v188, v188, v204, vcc
	;; [unrolled: 1-line block ×5, first 2 shown]
	s_cbranch_scc1 .LBB92_862
.LBB92_863:
	s_waitcnt lgkmcnt(0)
	v_cmp_eq_f64_e32 vcc, 0, v[188:189]
	v_cmp_eq_f64_e64 s[0:1], 0, v[190:191]
	s_and_b64 s[0:1], vcc, s[0:1]
	s_and_saveexec_b64 s[16:17], s[0:1]
	s_xor_b64 s[0:1], exec, s[16:17]
; %bb.864:
	v_cmp_ne_u32_e32 vcc, 0, v202
	s_nop 1
	v_cndmask_b32_e32 v202, 42, v202, vcc
; %bb.865:
	s_andn2_saveexec_b64 s[0:1], s[0:1]
	s_cbranch_execz .LBB92_871
; %bb.866:
	v_cmp_ngt_f64_e64 s[16:17], |v[188:189]|, |v[190:191]|
	s_and_saveexec_b64 s[18:19], s[16:17]
	s_xor_b64 s[16:17], exec, s[18:19]
	s_cbranch_execz .LBB92_868
; %bb.867:
	v_div_scale_f64 v[204:205], s[18:19], v[190:191], v[190:191], v[188:189]
	v_rcp_f64_e32 v[206:207], v[204:205]
	v_div_scale_f64 v[208:209], vcc, v[188:189], v[190:191], v[188:189]
	v_fma_f64 v[210:211], -v[204:205], v[206:207], 1.0
	v_fmac_f64_e32 v[206:207], v[206:207], v[210:211]
	v_fma_f64 v[210:211], -v[204:205], v[206:207], 1.0
	v_fmac_f64_e32 v[206:207], v[206:207], v[210:211]
	v_mul_f64 v[210:211], v[208:209], v[206:207]
	v_fma_f64 v[204:205], -v[204:205], v[210:211], v[208:209]
	v_div_fmas_f64 v[204:205], v[204:205], v[206:207], v[210:211]
	v_div_fixup_f64 v[204:205], v[204:205], v[190:191], v[188:189]
	v_fmac_f64_e32 v[190:191], v[188:189], v[204:205]
	v_div_scale_f64 v[188:189], s[18:19], v[190:191], v[190:191], 1.0
	v_rcp_f64_e32 v[206:207], v[188:189]
	s_nop 0
	v_fma_f64 v[208:209], -v[188:189], v[206:207], 1.0
	v_fmac_f64_e32 v[206:207], v[206:207], v[208:209]
	v_fma_f64 v[208:209], -v[188:189], v[206:207], 1.0
	v_fmac_f64_e32 v[206:207], v[206:207], v[208:209]
	v_div_scale_f64 v[208:209], vcc, 1.0, v[190:191], 1.0
	v_mul_f64 v[210:211], v[208:209], v[206:207]
	v_fma_f64 v[188:189], -v[188:189], v[210:211], v[208:209]
	s_nop 1
	v_div_fmas_f64 v[188:189], v[188:189], v[206:207], v[210:211]
	v_div_fixup_f64 v[190:191], v[188:189], v[190:191], 1.0
	v_mul_f64 v[188:189], v[204:205], v[190:191]
	v_xor_b32_e32 v191, 0x80000000, v191
.LBB92_868:
	s_andn2_saveexec_b64 s[16:17], s[16:17]
	s_cbranch_execz .LBB92_870
; %bb.869:
	v_div_scale_f64 v[204:205], s[18:19], v[188:189], v[188:189], v[190:191]
	v_rcp_f64_e32 v[206:207], v[204:205]
	v_div_scale_f64 v[208:209], vcc, v[190:191], v[188:189], v[190:191]
	v_fma_f64 v[210:211], -v[204:205], v[206:207], 1.0
	v_fmac_f64_e32 v[206:207], v[206:207], v[210:211]
	v_fma_f64 v[210:211], -v[204:205], v[206:207], 1.0
	v_fmac_f64_e32 v[206:207], v[206:207], v[210:211]
	v_mul_f64 v[210:211], v[208:209], v[206:207]
	v_fma_f64 v[204:205], -v[204:205], v[210:211], v[208:209]
	v_div_fmas_f64 v[204:205], v[204:205], v[206:207], v[210:211]
	v_div_fixup_f64 v[204:205], v[204:205], v[188:189], v[190:191]
	v_fmac_f64_e32 v[188:189], v[190:191], v[204:205]
	v_div_scale_f64 v[190:191], s[18:19], v[188:189], v[188:189], 1.0
	v_rcp_f64_e32 v[206:207], v[190:191]
	s_nop 0
	v_fma_f64 v[208:209], -v[190:191], v[206:207], 1.0
	v_fmac_f64_e32 v[206:207], v[206:207], v[208:209]
	v_fma_f64 v[208:209], -v[190:191], v[206:207], 1.0
	v_fmac_f64_e32 v[206:207], v[206:207], v[208:209]
	v_div_scale_f64 v[208:209], vcc, 1.0, v[188:189], 1.0
	v_mul_f64 v[210:211], v[208:209], v[206:207]
	v_fma_f64 v[190:191], -v[190:191], v[210:211], v[208:209]
	s_nop 1
	v_div_fmas_f64 v[190:191], v[190:191], v[206:207], v[210:211]
	v_div_fixup_f64 v[188:189], v[190:191], v[188:189], 1.0
	v_mul_f64 v[190:191], v[204:205], -v[188:189]
.LBB92_870:
	s_or_b64 exec, exec, s[16:17]
.LBB92_871:
	s_or_b64 exec, exec, s[0:1]
	v_cmp_ne_u32_e32 vcc, v201, v198
	s_and_saveexec_b64 s[0:1], vcc
	s_xor_b64 s[0:1], exec, s[0:1]
	s_cbranch_execz .LBB92_877
; %bb.872:
	v_cmp_eq_u32_e32 vcc, 41, v201
	s_and_saveexec_b64 s[16:17], vcc
	s_cbranch_execz .LBB92_876
; %bb.873:
	v_cmp_ne_u32_e32 vcc, 41, v198
	s_xor_b64 s[18:19], s[14:15], -1
	s_and_b64 s[22:23], s[18:19], vcc
	s_and_saveexec_b64 s[18:19], s[22:23]
	s_cbranch_execz .LBB92_875
; %bb.874:
	v_ashrrev_i32_e32 v199, 31, v198
	v_lshl_add_u64 v[204:205], v[198:199], 2, v[196:197]
	global_load_dword v199, v[204:205], off
	global_load_dword v201, v[196:197], off offset:164
	s_waitcnt vmcnt(1)
	global_store_dword v[196:197], v199, off offset:164
	s_waitcnt vmcnt(1)
	global_store_dword v[204:205], v201, off
.LBB92_875:
	s_or_b64 exec, exec, s[18:19]
	v_mov_b32_e32 v201, v198
	v_mov_b32_e32 v203, v198
.LBB92_876:
	s_or_b64 exec, exec, s[16:17]
.LBB92_877:
	s_andn2_saveexec_b64 s[0:1], s[0:1]
	s_cbranch_execz .LBB92_879
; %bb.878:
	v_mov_b32_e32 v201, 41
	s_waitcnt vmcnt(4)
	ds_write2_b64 v200, v[12:13], v[14:15] offset0:84 offset1:85
	s_waitcnt vmcnt(3)
	ds_write2_b64 v200, v[8:9], v[10:11] offset0:86 offset1:87
	;; [unrolled: 2-line block ×5, first 2 shown]
.LBB92_879:
	s_or_b64 exec, exec, s[0:1]
	v_cmp_lt_i32_e32 vcc, 41, v201
	s_waitcnt lgkmcnt(0)
	s_barrier
	s_and_saveexec_b64 s[0:1], vcc
	s_cbranch_execz .LBB92_881
; %bb.880:
	ds_read2_b64 v[204:207], v200 offset0:84 offset1:85
	v_mul_f64 v[198:199], v[188:189], v[18:19]
	v_fmac_f64_e32 v[198:199], v[190:191], v[16:17]
	v_mul_f64 v[18:19], v[190:191], v[18:19]
	v_fma_f64 v[16:17], v[188:189], v[16:17], -v[18:19]
	ds_read2_b64 v[188:191], v200 offset0:86 offset1:87
	s_waitcnt lgkmcnt(1)
	v_mul_f64 v[18:19], v[206:207], v[198:199]
	v_fma_f64 v[18:19], v[204:205], v[16:17], -v[18:19]
	v_mul_f64 v[204:205], v[204:205], v[198:199]
	v_fmac_f64_e32 v[204:205], v[206:207], v[16:17]
	s_waitcnt vmcnt(4)
	v_add_f64 v[14:15], v[14:15], -v[204:205]
	ds_read2_b64 v[204:207], v200 offset0:88 offset1:89
	v_add_f64 v[12:13], v[12:13], -v[18:19]
	s_waitcnt lgkmcnt(1)
	v_mul_f64 v[18:19], v[190:191], v[198:199]
	v_fma_f64 v[18:19], v[188:189], v[16:17], -v[18:19]
	v_mul_f64 v[188:189], v[188:189], v[198:199]
	v_fmac_f64_e32 v[188:189], v[190:191], v[16:17]
	s_waitcnt vmcnt(3)
	v_add_f64 v[8:9], v[8:9], -v[18:19]
	v_add_f64 v[10:11], v[10:11], -v[188:189]
	ds_read2_b64 v[188:191], v200 offset0:90 offset1:91
	s_waitcnt lgkmcnt(1)
	v_mul_f64 v[18:19], v[206:207], v[198:199]
	v_fma_f64 v[18:19], v[204:205], v[16:17], -v[18:19]
	v_mul_f64 v[204:205], v[204:205], v[198:199]
	v_fmac_f64_e32 v[204:205], v[206:207], v[16:17]
	s_waitcnt vmcnt(2)
	v_add_f64 v[6:7], v[6:7], -v[204:205]
	ds_read2_b64 v[204:207], v200 offset0:92 offset1:93
	v_add_f64 v[4:5], v[4:5], -v[18:19]
	s_waitcnt lgkmcnt(1)
	v_mul_f64 v[18:19], v[190:191], v[198:199]
	v_fma_f64 v[18:19], v[188:189], v[16:17], -v[18:19]
	v_mul_f64 v[188:189], v[188:189], v[198:199]
	v_fmac_f64_e32 v[188:189], v[190:191], v[16:17]
	s_waitcnt vmcnt(1)
	v_add_f64 v[0:1], v[0:1], -v[18:19]
	v_add_f64 v[2:3], v[2:3], -v[188:189]
	s_waitcnt lgkmcnt(0)
	v_mul_f64 v[18:19], v[206:207], v[198:199]
	v_mul_f64 v[188:189], v[204:205], v[198:199]
	v_fma_f64 v[18:19], v[204:205], v[16:17], -v[18:19]
	v_fmac_f64_e32 v[188:189], v[206:207], v[16:17]
	s_waitcnt vmcnt(0)
	v_add_f64 v[184:185], v[184:185], -v[18:19]
	v_add_f64 v[186:187], v[186:187], -v[188:189]
	v_mov_b64_e32 v[18:19], v[198:199]
.LBB92_881:
	s_or_b64 exec, exec, s[0:1]
	v_lshl_add_u32 v188, v201, 4, v200
	s_barrier
	s_waitcnt vmcnt(4)
	ds_write2_b64 v188, v[12:13], v[14:15] offset1:1
	s_waitcnt lgkmcnt(0)
	s_barrier
	ds_read2_b64 v[188:191], v200 offset0:84 offset1:85
	s_cmp_lt_i32 s20, 44
	v_mov_b32_e32 v198, 42
	s_cbranch_scc1 .LBB92_884
; %bb.882:
	v_add_u32_e32 v199, 0x2b0, v200
	s_mov_b32 s16, 43
	v_mov_b32_e32 v198, 42
.LBB92_883:                             ; =>This Inner Loop Header: Depth=1
	ds_read2_b64 v[204:207], v199 offset1:1
	s_waitcnt lgkmcnt(1)
	v_xor_b32_e32 v209, 0x80000000, v189
	v_xor_b32_e32 v211, 0x80000000, v191
	v_cmp_gt_f64_e32 vcc, 0, v[190:191]
	v_cmp_gt_f64_e64 s[0:1], 0, v[188:189]
	v_mov_b32_e32 v208, v188
	v_mov_b32_e32 v210, v190
	v_cndmask_b32_e64 v209, v189, v209, s[0:1]
	v_cndmask_b32_e32 v211, v191, v211, vcc
	v_add_f64 v[208:209], v[208:209], v[210:211]
	s_waitcnt lgkmcnt(0)
	v_xor_b32_e32 v211, 0x80000000, v205
	v_xor_b32_e32 v213, 0x80000000, v207
	v_cmp_gt_f64_e32 vcc, 0, v[206:207]
	v_cmp_gt_f64_e64 s[0:1], 0, v[204:205]
	v_mov_b32_e32 v210, v204
	v_mov_b32_e32 v212, v206
	v_cndmask_b32_e64 v211, v205, v211, s[0:1]
	v_cndmask_b32_e32 v213, v207, v213, vcc
	v_add_f64 v[210:211], v[210:211], v[212:213]
	v_mov_b32_e32 v214, s16
	s_add_i32 s16, s16, 1
	v_cmp_lt_f64_e32 vcc, v[208:209], v[210:211]
	v_add_u32_e32 v199, 16, v199
	s_cmp_lg_u32 s20, s16
	v_cndmask_b32_e32 v189, v189, v205, vcc
	v_cndmask_b32_e32 v188, v188, v204, vcc
	;; [unrolled: 1-line block ×5, first 2 shown]
	s_cbranch_scc1 .LBB92_883
.LBB92_884:
	s_waitcnt lgkmcnt(0)
	v_cmp_eq_f64_e32 vcc, 0, v[188:189]
	v_cmp_eq_f64_e64 s[0:1], 0, v[190:191]
	s_and_b64 s[0:1], vcc, s[0:1]
	s_and_saveexec_b64 s[16:17], s[0:1]
	s_xor_b64 s[0:1], exec, s[16:17]
; %bb.885:
	v_cmp_ne_u32_e32 vcc, 0, v202
	s_nop 1
	v_cndmask_b32_e32 v202, 43, v202, vcc
; %bb.886:
	s_andn2_saveexec_b64 s[0:1], s[0:1]
	s_cbranch_execz .LBB92_892
; %bb.887:
	v_cmp_ngt_f64_e64 s[16:17], |v[188:189]|, |v[190:191]|
	s_and_saveexec_b64 s[18:19], s[16:17]
	s_xor_b64 s[16:17], exec, s[18:19]
	s_cbranch_execz .LBB92_889
; %bb.888:
	v_div_scale_f64 v[204:205], s[18:19], v[190:191], v[190:191], v[188:189]
	v_rcp_f64_e32 v[206:207], v[204:205]
	v_div_scale_f64 v[208:209], vcc, v[188:189], v[190:191], v[188:189]
	v_fma_f64 v[210:211], -v[204:205], v[206:207], 1.0
	v_fmac_f64_e32 v[206:207], v[206:207], v[210:211]
	v_fma_f64 v[210:211], -v[204:205], v[206:207], 1.0
	v_fmac_f64_e32 v[206:207], v[206:207], v[210:211]
	v_mul_f64 v[210:211], v[208:209], v[206:207]
	v_fma_f64 v[204:205], -v[204:205], v[210:211], v[208:209]
	v_div_fmas_f64 v[204:205], v[204:205], v[206:207], v[210:211]
	v_div_fixup_f64 v[204:205], v[204:205], v[190:191], v[188:189]
	v_fmac_f64_e32 v[190:191], v[188:189], v[204:205]
	v_div_scale_f64 v[188:189], s[18:19], v[190:191], v[190:191], 1.0
	v_rcp_f64_e32 v[206:207], v[188:189]
	s_nop 0
	v_fma_f64 v[208:209], -v[188:189], v[206:207], 1.0
	v_fmac_f64_e32 v[206:207], v[206:207], v[208:209]
	v_fma_f64 v[208:209], -v[188:189], v[206:207], 1.0
	v_fmac_f64_e32 v[206:207], v[206:207], v[208:209]
	v_div_scale_f64 v[208:209], vcc, 1.0, v[190:191], 1.0
	v_mul_f64 v[210:211], v[208:209], v[206:207]
	v_fma_f64 v[188:189], -v[188:189], v[210:211], v[208:209]
	s_nop 1
	v_div_fmas_f64 v[188:189], v[188:189], v[206:207], v[210:211]
	v_div_fixup_f64 v[190:191], v[188:189], v[190:191], 1.0
	v_mul_f64 v[188:189], v[204:205], v[190:191]
	v_xor_b32_e32 v191, 0x80000000, v191
.LBB92_889:
	s_andn2_saveexec_b64 s[16:17], s[16:17]
	s_cbranch_execz .LBB92_891
; %bb.890:
	v_div_scale_f64 v[204:205], s[18:19], v[188:189], v[188:189], v[190:191]
	v_rcp_f64_e32 v[206:207], v[204:205]
	v_div_scale_f64 v[208:209], vcc, v[190:191], v[188:189], v[190:191]
	v_fma_f64 v[210:211], -v[204:205], v[206:207], 1.0
	v_fmac_f64_e32 v[206:207], v[206:207], v[210:211]
	v_fma_f64 v[210:211], -v[204:205], v[206:207], 1.0
	v_fmac_f64_e32 v[206:207], v[206:207], v[210:211]
	v_mul_f64 v[210:211], v[208:209], v[206:207]
	v_fma_f64 v[204:205], -v[204:205], v[210:211], v[208:209]
	v_div_fmas_f64 v[204:205], v[204:205], v[206:207], v[210:211]
	v_div_fixup_f64 v[204:205], v[204:205], v[188:189], v[190:191]
	v_fmac_f64_e32 v[188:189], v[190:191], v[204:205]
	v_div_scale_f64 v[190:191], s[18:19], v[188:189], v[188:189], 1.0
	v_rcp_f64_e32 v[206:207], v[190:191]
	s_nop 0
	v_fma_f64 v[208:209], -v[190:191], v[206:207], 1.0
	v_fmac_f64_e32 v[206:207], v[206:207], v[208:209]
	v_fma_f64 v[208:209], -v[190:191], v[206:207], 1.0
	v_fmac_f64_e32 v[206:207], v[206:207], v[208:209]
	v_div_scale_f64 v[208:209], vcc, 1.0, v[188:189], 1.0
	v_mul_f64 v[210:211], v[208:209], v[206:207]
	v_fma_f64 v[190:191], -v[190:191], v[210:211], v[208:209]
	s_nop 1
	v_div_fmas_f64 v[190:191], v[190:191], v[206:207], v[210:211]
	v_div_fixup_f64 v[188:189], v[190:191], v[188:189], 1.0
	v_mul_f64 v[190:191], v[204:205], -v[188:189]
.LBB92_891:
	s_or_b64 exec, exec, s[16:17]
.LBB92_892:
	s_or_b64 exec, exec, s[0:1]
	v_cmp_ne_u32_e32 vcc, v201, v198
	s_and_saveexec_b64 s[0:1], vcc
	s_xor_b64 s[0:1], exec, s[0:1]
	s_cbranch_execz .LBB92_898
; %bb.893:
	v_cmp_eq_u32_e32 vcc, 42, v201
	s_and_saveexec_b64 s[16:17], vcc
	s_cbranch_execz .LBB92_897
; %bb.894:
	v_cmp_ne_u32_e32 vcc, 42, v198
	s_xor_b64 s[18:19], s[14:15], -1
	s_and_b64 s[22:23], s[18:19], vcc
	s_and_saveexec_b64 s[18:19], s[22:23]
	s_cbranch_execz .LBB92_896
; %bb.895:
	v_ashrrev_i32_e32 v199, 31, v198
	v_lshl_add_u64 v[204:205], v[198:199], 2, v[196:197]
	global_load_dword v199, v[204:205], off
	global_load_dword v201, v[196:197], off offset:168
	s_waitcnt vmcnt(1)
	global_store_dword v[196:197], v199, off offset:168
	s_waitcnt vmcnt(1)
	global_store_dword v[204:205], v201, off
.LBB92_896:
	s_or_b64 exec, exec, s[18:19]
	v_mov_b32_e32 v201, v198
	v_mov_b32_e32 v203, v198
.LBB92_897:
	s_or_b64 exec, exec, s[16:17]
.LBB92_898:
	s_andn2_saveexec_b64 s[0:1], s[0:1]
	s_cbranch_execz .LBB92_900
; %bb.899:
	v_mov_b32_e32 v201, 42
	s_waitcnt vmcnt(3)
	ds_write2_b64 v200, v[8:9], v[10:11] offset0:86 offset1:87
	s_waitcnt vmcnt(2)
	ds_write2_b64 v200, v[4:5], v[6:7] offset0:88 offset1:89
	;; [unrolled: 2-line block ×4, first 2 shown]
.LBB92_900:
	s_or_b64 exec, exec, s[0:1]
	v_cmp_lt_i32_e32 vcc, 42, v201
	s_waitcnt lgkmcnt(0)
	s_barrier
	s_and_saveexec_b64 s[0:1], vcc
	s_cbranch_execz .LBB92_902
; %bb.901:
	ds_read2_b64 v[204:207], v200 offset0:86 offset1:87
	v_mul_f64 v[198:199], v[188:189], v[14:15]
	v_mul_f64 v[14:15], v[190:191], v[14:15]
	v_fmac_f64_e32 v[198:199], v[190:191], v[12:13]
	v_fma_f64 v[12:13], v[188:189], v[12:13], -v[14:15]
	ds_read2_b64 v[188:191], v200 offset0:88 offset1:89
	s_waitcnt lgkmcnt(1)
	v_mul_f64 v[14:15], v[206:207], v[198:199]
	v_fma_f64 v[14:15], v[204:205], v[12:13], -v[14:15]
	v_mul_f64 v[204:205], v[204:205], v[198:199]
	v_fmac_f64_e32 v[204:205], v[206:207], v[12:13]
	s_waitcnt vmcnt(3)
	v_add_f64 v[8:9], v[8:9], -v[14:15]
	s_waitcnt lgkmcnt(0)
	v_mul_f64 v[14:15], v[190:191], v[198:199]
	v_add_f64 v[10:11], v[10:11], -v[204:205]
	v_fma_f64 v[14:15], v[188:189], v[12:13], -v[14:15]
	v_mul_f64 v[188:189], v[188:189], v[198:199]
	ds_read2_b64 v[204:207], v200 offset0:90 offset1:91
	v_fmac_f64_e32 v[188:189], v[190:191], v[12:13]
	s_waitcnt vmcnt(2)
	v_add_f64 v[6:7], v[6:7], -v[188:189]
	ds_read2_b64 v[188:191], v200 offset0:92 offset1:93
	v_add_f64 v[4:5], v[4:5], -v[14:15]
	s_waitcnt lgkmcnt(1)
	v_mul_f64 v[14:15], v[206:207], v[198:199]
	v_fma_f64 v[14:15], v[204:205], v[12:13], -v[14:15]
	s_waitcnt vmcnt(1)
	v_add_f64 v[0:1], v[0:1], -v[14:15]
	s_waitcnt lgkmcnt(0)
	v_mul_f64 v[14:15], v[190:191], v[198:199]
	v_mul_f64 v[204:205], v[204:205], v[198:199]
	v_fma_f64 v[14:15], v[188:189], v[12:13], -v[14:15]
	v_mul_f64 v[188:189], v[188:189], v[198:199]
	v_fmac_f64_e32 v[204:205], v[206:207], v[12:13]
	v_fmac_f64_e32 v[188:189], v[190:191], v[12:13]
	v_add_f64 v[2:3], v[2:3], -v[204:205]
	s_waitcnt vmcnt(0)
	v_add_f64 v[184:185], v[184:185], -v[14:15]
	v_add_f64 v[186:187], v[186:187], -v[188:189]
	v_mov_b64_e32 v[14:15], v[198:199]
.LBB92_902:
	s_or_b64 exec, exec, s[0:1]
	v_lshl_add_u32 v188, v201, 4, v200
	s_barrier
	s_waitcnt vmcnt(3)
	ds_write2_b64 v188, v[8:9], v[10:11] offset1:1
	s_waitcnt lgkmcnt(0)
	s_barrier
	ds_read2_b64 v[188:191], v200 offset0:86 offset1:87
	s_cmp_lt_i32 s20, 45
	v_mov_b32_e32 v198, 43
	s_cbranch_scc1 .LBB92_905
; %bb.903:
	v_add_u32_e32 v199, 0x2c0, v200
	s_mov_b32 s16, 44
	v_mov_b32_e32 v198, 43
.LBB92_904:                             ; =>This Inner Loop Header: Depth=1
	ds_read2_b64 v[204:207], v199 offset1:1
	s_waitcnt lgkmcnt(1)
	v_xor_b32_e32 v209, 0x80000000, v189
	v_xor_b32_e32 v211, 0x80000000, v191
	v_cmp_gt_f64_e32 vcc, 0, v[190:191]
	v_cmp_gt_f64_e64 s[0:1], 0, v[188:189]
	v_mov_b32_e32 v208, v188
	v_mov_b32_e32 v210, v190
	v_cndmask_b32_e64 v209, v189, v209, s[0:1]
	v_cndmask_b32_e32 v211, v191, v211, vcc
	v_add_f64 v[208:209], v[208:209], v[210:211]
	s_waitcnt lgkmcnt(0)
	v_xor_b32_e32 v211, 0x80000000, v205
	v_xor_b32_e32 v213, 0x80000000, v207
	v_cmp_gt_f64_e32 vcc, 0, v[206:207]
	v_cmp_gt_f64_e64 s[0:1], 0, v[204:205]
	v_mov_b32_e32 v210, v204
	v_mov_b32_e32 v212, v206
	v_cndmask_b32_e64 v211, v205, v211, s[0:1]
	v_cndmask_b32_e32 v213, v207, v213, vcc
	v_add_f64 v[210:211], v[210:211], v[212:213]
	v_mov_b32_e32 v214, s16
	s_add_i32 s16, s16, 1
	v_cmp_lt_f64_e32 vcc, v[208:209], v[210:211]
	v_add_u32_e32 v199, 16, v199
	s_cmp_lg_u32 s20, s16
	v_cndmask_b32_e32 v189, v189, v205, vcc
	v_cndmask_b32_e32 v188, v188, v204, vcc
	;; [unrolled: 1-line block ×5, first 2 shown]
	s_cbranch_scc1 .LBB92_904
.LBB92_905:
	s_waitcnt lgkmcnt(0)
	v_cmp_eq_f64_e32 vcc, 0, v[188:189]
	v_cmp_eq_f64_e64 s[0:1], 0, v[190:191]
	s_and_b64 s[0:1], vcc, s[0:1]
	s_and_saveexec_b64 s[16:17], s[0:1]
	s_xor_b64 s[0:1], exec, s[16:17]
; %bb.906:
	v_cmp_ne_u32_e32 vcc, 0, v202
	s_nop 1
	v_cndmask_b32_e32 v202, 44, v202, vcc
; %bb.907:
	s_andn2_saveexec_b64 s[0:1], s[0:1]
	s_cbranch_execz .LBB92_913
; %bb.908:
	v_cmp_ngt_f64_e64 s[16:17], |v[188:189]|, |v[190:191]|
	s_and_saveexec_b64 s[18:19], s[16:17]
	s_xor_b64 s[16:17], exec, s[18:19]
	s_cbranch_execz .LBB92_910
; %bb.909:
	v_div_scale_f64 v[204:205], s[18:19], v[190:191], v[190:191], v[188:189]
	v_rcp_f64_e32 v[206:207], v[204:205]
	v_div_scale_f64 v[208:209], vcc, v[188:189], v[190:191], v[188:189]
	v_fma_f64 v[210:211], -v[204:205], v[206:207], 1.0
	v_fmac_f64_e32 v[206:207], v[206:207], v[210:211]
	v_fma_f64 v[210:211], -v[204:205], v[206:207], 1.0
	v_fmac_f64_e32 v[206:207], v[206:207], v[210:211]
	v_mul_f64 v[210:211], v[208:209], v[206:207]
	v_fma_f64 v[204:205], -v[204:205], v[210:211], v[208:209]
	v_div_fmas_f64 v[204:205], v[204:205], v[206:207], v[210:211]
	v_div_fixup_f64 v[204:205], v[204:205], v[190:191], v[188:189]
	v_fmac_f64_e32 v[190:191], v[188:189], v[204:205]
	v_div_scale_f64 v[188:189], s[18:19], v[190:191], v[190:191], 1.0
	v_rcp_f64_e32 v[206:207], v[188:189]
	s_nop 0
	v_fma_f64 v[208:209], -v[188:189], v[206:207], 1.0
	v_fmac_f64_e32 v[206:207], v[206:207], v[208:209]
	v_fma_f64 v[208:209], -v[188:189], v[206:207], 1.0
	v_fmac_f64_e32 v[206:207], v[206:207], v[208:209]
	v_div_scale_f64 v[208:209], vcc, 1.0, v[190:191], 1.0
	v_mul_f64 v[210:211], v[208:209], v[206:207]
	v_fma_f64 v[188:189], -v[188:189], v[210:211], v[208:209]
	s_nop 1
	v_div_fmas_f64 v[188:189], v[188:189], v[206:207], v[210:211]
	v_div_fixup_f64 v[190:191], v[188:189], v[190:191], 1.0
	v_mul_f64 v[188:189], v[204:205], v[190:191]
	v_xor_b32_e32 v191, 0x80000000, v191
.LBB92_910:
	s_andn2_saveexec_b64 s[16:17], s[16:17]
	s_cbranch_execz .LBB92_912
; %bb.911:
	v_div_scale_f64 v[204:205], s[18:19], v[188:189], v[188:189], v[190:191]
	v_rcp_f64_e32 v[206:207], v[204:205]
	v_div_scale_f64 v[208:209], vcc, v[190:191], v[188:189], v[190:191]
	v_fma_f64 v[210:211], -v[204:205], v[206:207], 1.0
	v_fmac_f64_e32 v[206:207], v[206:207], v[210:211]
	v_fma_f64 v[210:211], -v[204:205], v[206:207], 1.0
	v_fmac_f64_e32 v[206:207], v[206:207], v[210:211]
	v_mul_f64 v[210:211], v[208:209], v[206:207]
	v_fma_f64 v[204:205], -v[204:205], v[210:211], v[208:209]
	v_div_fmas_f64 v[204:205], v[204:205], v[206:207], v[210:211]
	v_div_fixup_f64 v[204:205], v[204:205], v[188:189], v[190:191]
	v_fmac_f64_e32 v[188:189], v[190:191], v[204:205]
	v_div_scale_f64 v[190:191], s[18:19], v[188:189], v[188:189], 1.0
	v_rcp_f64_e32 v[206:207], v[190:191]
	s_nop 0
	v_fma_f64 v[208:209], -v[190:191], v[206:207], 1.0
	v_fmac_f64_e32 v[206:207], v[206:207], v[208:209]
	v_fma_f64 v[208:209], -v[190:191], v[206:207], 1.0
	v_fmac_f64_e32 v[206:207], v[206:207], v[208:209]
	v_div_scale_f64 v[208:209], vcc, 1.0, v[188:189], 1.0
	v_mul_f64 v[210:211], v[208:209], v[206:207]
	v_fma_f64 v[190:191], -v[190:191], v[210:211], v[208:209]
	s_nop 1
	v_div_fmas_f64 v[190:191], v[190:191], v[206:207], v[210:211]
	v_div_fixup_f64 v[188:189], v[190:191], v[188:189], 1.0
	v_mul_f64 v[190:191], v[204:205], -v[188:189]
.LBB92_912:
	s_or_b64 exec, exec, s[16:17]
.LBB92_913:
	s_or_b64 exec, exec, s[0:1]
	v_cmp_ne_u32_e32 vcc, v201, v198
	s_and_saveexec_b64 s[0:1], vcc
	s_xor_b64 s[0:1], exec, s[0:1]
	s_cbranch_execz .LBB92_919
; %bb.914:
	v_cmp_eq_u32_e32 vcc, 43, v201
	s_and_saveexec_b64 s[16:17], vcc
	s_cbranch_execz .LBB92_918
; %bb.915:
	v_cmp_ne_u32_e32 vcc, 43, v198
	s_xor_b64 s[18:19], s[14:15], -1
	s_and_b64 s[22:23], s[18:19], vcc
	s_and_saveexec_b64 s[18:19], s[22:23]
	s_cbranch_execz .LBB92_917
; %bb.916:
	v_ashrrev_i32_e32 v199, 31, v198
	v_lshl_add_u64 v[204:205], v[198:199], 2, v[196:197]
	global_load_dword v199, v[204:205], off
	global_load_dword v201, v[196:197], off offset:172
	s_waitcnt vmcnt(1)
	global_store_dword v[196:197], v199, off offset:172
	s_waitcnt vmcnt(1)
	global_store_dword v[204:205], v201, off
.LBB92_917:
	s_or_b64 exec, exec, s[18:19]
	v_mov_b32_e32 v201, v198
	v_mov_b32_e32 v203, v198
.LBB92_918:
	s_or_b64 exec, exec, s[16:17]
.LBB92_919:
	s_andn2_saveexec_b64 s[0:1], s[0:1]
	s_cbranch_execz .LBB92_921
; %bb.920:
	v_mov_b32_e32 v201, 43
	s_waitcnt vmcnt(2)
	ds_write2_b64 v200, v[4:5], v[6:7] offset0:88 offset1:89
	s_waitcnt vmcnt(1)
	ds_write2_b64 v200, v[0:1], v[2:3] offset0:90 offset1:91
	;; [unrolled: 2-line block ×3, first 2 shown]
.LBB92_921:
	s_or_b64 exec, exec, s[0:1]
	v_cmp_lt_i32_e32 vcc, 43, v201
	s_waitcnt lgkmcnt(0)
	s_barrier
	s_and_saveexec_b64 s[0:1], vcc
	s_cbranch_execz .LBB92_923
; %bb.922:
	ds_read2_b64 v[204:207], v200 offset0:88 offset1:89
	v_mul_f64 v[198:199], v[188:189], v[10:11]
	v_fmac_f64_e32 v[198:199], v[190:191], v[8:9]
	v_mul_f64 v[10:11], v[190:191], v[10:11]
	v_fma_f64 v[8:9], v[188:189], v[8:9], -v[10:11]
	ds_read2_b64 v[188:191], v200 offset0:90 offset1:91
	s_waitcnt lgkmcnt(1)
	v_mul_f64 v[10:11], v[206:207], v[198:199]
	v_fma_f64 v[10:11], v[204:205], v[8:9], -v[10:11]
	v_mul_f64 v[204:205], v[204:205], v[198:199]
	v_fmac_f64_e32 v[204:205], v[206:207], v[8:9]
	s_waitcnt vmcnt(2)
	v_add_f64 v[6:7], v[6:7], -v[204:205]
	ds_read2_b64 v[204:207], v200 offset0:92 offset1:93
	v_add_f64 v[4:5], v[4:5], -v[10:11]
	s_waitcnt lgkmcnt(1)
	v_mul_f64 v[10:11], v[190:191], v[198:199]
	v_fma_f64 v[10:11], v[188:189], v[8:9], -v[10:11]
	v_mul_f64 v[188:189], v[188:189], v[198:199]
	v_fmac_f64_e32 v[188:189], v[190:191], v[8:9]
	s_waitcnt vmcnt(1)
	v_add_f64 v[0:1], v[0:1], -v[10:11]
	v_add_f64 v[2:3], v[2:3], -v[188:189]
	s_waitcnt lgkmcnt(0)
	v_mul_f64 v[10:11], v[206:207], v[198:199]
	v_mul_f64 v[188:189], v[204:205], v[198:199]
	v_fma_f64 v[10:11], v[204:205], v[8:9], -v[10:11]
	v_fmac_f64_e32 v[188:189], v[206:207], v[8:9]
	s_waitcnt vmcnt(0)
	v_add_f64 v[184:185], v[184:185], -v[10:11]
	v_add_f64 v[186:187], v[186:187], -v[188:189]
	v_mov_b64_e32 v[10:11], v[198:199]
.LBB92_923:
	s_or_b64 exec, exec, s[0:1]
	v_lshl_add_u32 v188, v201, 4, v200
	s_barrier
	s_waitcnt vmcnt(2)
	ds_write2_b64 v188, v[4:5], v[6:7] offset1:1
	s_waitcnt lgkmcnt(0)
	s_barrier
	ds_read2_b64 v[188:191], v200 offset0:88 offset1:89
	s_cmp_lt_i32 s20, 46
	v_mov_b32_e32 v198, 44
	s_cbranch_scc1 .LBB92_926
; %bb.924:
	v_add_u32_e32 v199, 0x2d0, v200
	s_mov_b32 s16, 45
	v_mov_b32_e32 v198, 44
.LBB92_925:                             ; =>This Inner Loop Header: Depth=1
	ds_read2_b64 v[204:207], v199 offset1:1
	s_waitcnt lgkmcnt(1)
	v_xor_b32_e32 v209, 0x80000000, v189
	v_xor_b32_e32 v211, 0x80000000, v191
	v_cmp_gt_f64_e32 vcc, 0, v[190:191]
	v_cmp_gt_f64_e64 s[0:1], 0, v[188:189]
	v_mov_b32_e32 v208, v188
	v_mov_b32_e32 v210, v190
	v_cndmask_b32_e64 v209, v189, v209, s[0:1]
	v_cndmask_b32_e32 v211, v191, v211, vcc
	v_add_f64 v[208:209], v[208:209], v[210:211]
	s_waitcnt lgkmcnt(0)
	v_xor_b32_e32 v211, 0x80000000, v205
	v_xor_b32_e32 v213, 0x80000000, v207
	v_cmp_gt_f64_e32 vcc, 0, v[206:207]
	v_cmp_gt_f64_e64 s[0:1], 0, v[204:205]
	v_mov_b32_e32 v210, v204
	v_mov_b32_e32 v212, v206
	v_cndmask_b32_e64 v211, v205, v211, s[0:1]
	v_cndmask_b32_e32 v213, v207, v213, vcc
	v_add_f64 v[210:211], v[210:211], v[212:213]
	v_mov_b32_e32 v214, s16
	s_add_i32 s16, s16, 1
	v_cmp_lt_f64_e32 vcc, v[208:209], v[210:211]
	v_add_u32_e32 v199, 16, v199
	s_cmp_lg_u32 s20, s16
	v_cndmask_b32_e32 v189, v189, v205, vcc
	v_cndmask_b32_e32 v188, v188, v204, vcc
	;; [unrolled: 1-line block ×5, first 2 shown]
	s_cbranch_scc1 .LBB92_925
.LBB92_926:
	s_waitcnt lgkmcnt(0)
	v_cmp_eq_f64_e32 vcc, 0, v[188:189]
	v_cmp_eq_f64_e64 s[0:1], 0, v[190:191]
	s_and_b64 s[0:1], vcc, s[0:1]
	s_and_saveexec_b64 s[16:17], s[0:1]
	s_xor_b64 s[0:1], exec, s[16:17]
; %bb.927:
	v_cmp_ne_u32_e32 vcc, 0, v202
	s_nop 1
	v_cndmask_b32_e32 v202, 45, v202, vcc
; %bb.928:
	s_andn2_saveexec_b64 s[0:1], s[0:1]
	s_cbranch_execz .LBB92_934
; %bb.929:
	v_cmp_ngt_f64_e64 s[16:17], |v[188:189]|, |v[190:191]|
	s_and_saveexec_b64 s[18:19], s[16:17]
	s_xor_b64 s[16:17], exec, s[18:19]
	s_cbranch_execz .LBB92_931
; %bb.930:
	v_div_scale_f64 v[204:205], s[18:19], v[190:191], v[190:191], v[188:189]
	v_rcp_f64_e32 v[206:207], v[204:205]
	v_div_scale_f64 v[208:209], vcc, v[188:189], v[190:191], v[188:189]
	v_fma_f64 v[210:211], -v[204:205], v[206:207], 1.0
	v_fmac_f64_e32 v[206:207], v[206:207], v[210:211]
	v_fma_f64 v[210:211], -v[204:205], v[206:207], 1.0
	v_fmac_f64_e32 v[206:207], v[206:207], v[210:211]
	v_mul_f64 v[210:211], v[208:209], v[206:207]
	v_fma_f64 v[204:205], -v[204:205], v[210:211], v[208:209]
	v_div_fmas_f64 v[204:205], v[204:205], v[206:207], v[210:211]
	v_div_fixup_f64 v[204:205], v[204:205], v[190:191], v[188:189]
	v_fmac_f64_e32 v[190:191], v[188:189], v[204:205]
	v_div_scale_f64 v[188:189], s[18:19], v[190:191], v[190:191], 1.0
	v_rcp_f64_e32 v[206:207], v[188:189]
	s_nop 0
	v_fma_f64 v[208:209], -v[188:189], v[206:207], 1.0
	v_fmac_f64_e32 v[206:207], v[206:207], v[208:209]
	v_fma_f64 v[208:209], -v[188:189], v[206:207], 1.0
	v_fmac_f64_e32 v[206:207], v[206:207], v[208:209]
	v_div_scale_f64 v[208:209], vcc, 1.0, v[190:191], 1.0
	v_mul_f64 v[210:211], v[208:209], v[206:207]
	v_fma_f64 v[188:189], -v[188:189], v[210:211], v[208:209]
	s_nop 1
	v_div_fmas_f64 v[188:189], v[188:189], v[206:207], v[210:211]
	v_div_fixup_f64 v[190:191], v[188:189], v[190:191], 1.0
	v_mul_f64 v[188:189], v[204:205], v[190:191]
	v_xor_b32_e32 v191, 0x80000000, v191
.LBB92_931:
	s_andn2_saveexec_b64 s[16:17], s[16:17]
	s_cbranch_execz .LBB92_933
; %bb.932:
	v_div_scale_f64 v[204:205], s[18:19], v[188:189], v[188:189], v[190:191]
	v_rcp_f64_e32 v[206:207], v[204:205]
	v_div_scale_f64 v[208:209], vcc, v[190:191], v[188:189], v[190:191]
	v_fma_f64 v[210:211], -v[204:205], v[206:207], 1.0
	v_fmac_f64_e32 v[206:207], v[206:207], v[210:211]
	v_fma_f64 v[210:211], -v[204:205], v[206:207], 1.0
	v_fmac_f64_e32 v[206:207], v[206:207], v[210:211]
	v_mul_f64 v[210:211], v[208:209], v[206:207]
	v_fma_f64 v[204:205], -v[204:205], v[210:211], v[208:209]
	v_div_fmas_f64 v[204:205], v[204:205], v[206:207], v[210:211]
	v_div_fixup_f64 v[204:205], v[204:205], v[188:189], v[190:191]
	v_fmac_f64_e32 v[188:189], v[190:191], v[204:205]
	v_div_scale_f64 v[190:191], s[18:19], v[188:189], v[188:189], 1.0
	v_rcp_f64_e32 v[206:207], v[190:191]
	s_nop 0
	v_fma_f64 v[208:209], -v[190:191], v[206:207], 1.0
	v_fmac_f64_e32 v[206:207], v[206:207], v[208:209]
	v_fma_f64 v[208:209], -v[190:191], v[206:207], 1.0
	v_fmac_f64_e32 v[206:207], v[206:207], v[208:209]
	v_div_scale_f64 v[208:209], vcc, 1.0, v[188:189], 1.0
	v_mul_f64 v[210:211], v[208:209], v[206:207]
	v_fma_f64 v[190:191], -v[190:191], v[210:211], v[208:209]
	s_nop 1
	v_div_fmas_f64 v[190:191], v[190:191], v[206:207], v[210:211]
	v_div_fixup_f64 v[188:189], v[190:191], v[188:189], 1.0
	v_mul_f64 v[190:191], v[204:205], -v[188:189]
.LBB92_933:
	s_or_b64 exec, exec, s[16:17]
.LBB92_934:
	s_or_b64 exec, exec, s[0:1]
	v_cmp_ne_u32_e32 vcc, v201, v198
	s_and_saveexec_b64 s[0:1], vcc
	s_xor_b64 s[0:1], exec, s[0:1]
	s_cbranch_execz .LBB92_940
; %bb.935:
	v_cmp_eq_u32_e32 vcc, 44, v201
	s_and_saveexec_b64 s[16:17], vcc
	s_cbranch_execz .LBB92_939
; %bb.936:
	v_cmp_ne_u32_e32 vcc, 44, v198
	s_xor_b64 s[18:19], s[14:15], -1
	s_and_b64 s[22:23], s[18:19], vcc
	s_and_saveexec_b64 s[18:19], s[22:23]
	s_cbranch_execz .LBB92_938
; %bb.937:
	v_ashrrev_i32_e32 v199, 31, v198
	v_lshl_add_u64 v[204:205], v[198:199], 2, v[196:197]
	global_load_dword v199, v[204:205], off
	global_load_dword v201, v[196:197], off offset:176
	s_waitcnt vmcnt(1)
	global_store_dword v[196:197], v199, off offset:176
	s_waitcnt vmcnt(1)
	global_store_dword v[204:205], v201, off
.LBB92_938:
	s_or_b64 exec, exec, s[18:19]
	v_mov_b32_e32 v201, v198
	v_mov_b32_e32 v203, v198
.LBB92_939:
	s_or_b64 exec, exec, s[16:17]
.LBB92_940:
	s_andn2_saveexec_b64 s[0:1], s[0:1]
	s_cbranch_execz .LBB92_942
; %bb.941:
	v_mov_b32_e32 v201, 44
	s_waitcnt vmcnt(1)
	ds_write2_b64 v200, v[0:1], v[2:3] offset0:90 offset1:91
	s_waitcnt vmcnt(0)
	ds_write2_b64 v200, v[184:185], v[186:187] offset0:92 offset1:93
.LBB92_942:
	s_or_b64 exec, exec, s[0:1]
	v_cmp_lt_i32_e32 vcc, 44, v201
	s_waitcnt lgkmcnt(0)
	s_barrier
	s_and_saveexec_b64 s[0:1], vcc
	s_cbranch_execz .LBB92_944
; %bb.943:
	ds_read2_b64 v[204:207], v200 offset0:90 offset1:91
	v_mul_f64 v[198:199], v[188:189], v[6:7]
	v_mul_f64 v[6:7], v[190:191], v[6:7]
	v_fmac_f64_e32 v[198:199], v[190:191], v[4:5]
	v_fma_f64 v[4:5], v[188:189], v[4:5], -v[6:7]
	ds_read2_b64 v[188:191], v200 offset0:92 offset1:93
	s_waitcnt lgkmcnt(1)
	v_mul_f64 v[6:7], v[206:207], v[198:199]
	v_fma_f64 v[6:7], v[204:205], v[4:5], -v[6:7]
	s_waitcnt vmcnt(1)
	v_add_f64 v[0:1], v[0:1], -v[6:7]
	v_mul_f64 v[204:205], v[204:205], v[198:199]
	s_waitcnt lgkmcnt(0)
	v_mul_f64 v[6:7], v[190:191], v[198:199]
	v_fma_f64 v[6:7], v[188:189], v[4:5], -v[6:7]
	v_mul_f64 v[188:189], v[188:189], v[198:199]
	v_fmac_f64_e32 v[204:205], v[206:207], v[4:5]
	v_fmac_f64_e32 v[188:189], v[190:191], v[4:5]
	v_add_f64 v[2:3], v[2:3], -v[204:205]
	s_waitcnt vmcnt(0)
	v_add_f64 v[184:185], v[184:185], -v[6:7]
	v_add_f64 v[186:187], v[186:187], -v[188:189]
	v_mov_b64_e32 v[6:7], v[198:199]
.LBB92_944:
	s_or_b64 exec, exec, s[0:1]
	v_lshl_add_u32 v188, v201, 4, v200
	s_barrier
	s_waitcnt vmcnt(1)
	ds_write2_b64 v188, v[0:1], v[2:3] offset1:1
	s_waitcnt lgkmcnt(0)
	s_barrier
	ds_read2_b64 v[188:191], v200 offset0:90 offset1:91
	s_cmp_lt_i32 s20, 47
	v_mov_b32_e32 v198, 45
	s_cbranch_scc1 .LBB92_947
; %bb.945:
	v_add_u32_e32 v199, 0x2e0, v200
	s_mov_b32 s16, 46
	v_mov_b32_e32 v198, 45
.LBB92_946:                             ; =>This Inner Loop Header: Depth=1
	ds_read2_b64 v[204:207], v199 offset1:1
	s_waitcnt lgkmcnt(1)
	v_xor_b32_e32 v209, 0x80000000, v189
	v_xor_b32_e32 v211, 0x80000000, v191
	v_cmp_gt_f64_e32 vcc, 0, v[190:191]
	v_cmp_gt_f64_e64 s[0:1], 0, v[188:189]
	v_mov_b32_e32 v208, v188
	v_mov_b32_e32 v210, v190
	v_cndmask_b32_e64 v209, v189, v209, s[0:1]
	v_cndmask_b32_e32 v211, v191, v211, vcc
	v_add_f64 v[208:209], v[208:209], v[210:211]
	s_waitcnt lgkmcnt(0)
	v_xor_b32_e32 v211, 0x80000000, v205
	v_xor_b32_e32 v213, 0x80000000, v207
	v_cmp_gt_f64_e32 vcc, 0, v[206:207]
	v_cmp_gt_f64_e64 s[0:1], 0, v[204:205]
	v_mov_b32_e32 v210, v204
	v_mov_b32_e32 v212, v206
	v_cndmask_b32_e64 v211, v205, v211, s[0:1]
	v_cndmask_b32_e32 v213, v207, v213, vcc
	v_add_f64 v[210:211], v[210:211], v[212:213]
	v_mov_b32_e32 v214, s16
	s_add_i32 s16, s16, 1
	v_cmp_lt_f64_e32 vcc, v[208:209], v[210:211]
	v_add_u32_e32 v199, 16, v199
	s_cmp_lg_u32 s20, s16
	v_cndmask_b32_e32 v189, v189, v205, vcc
	v_cndmask_b32_e32 v188, v188, v204, vcc
	v_cndmask_b32_e32 v191, v191, v207, vcc
	v_cndmask_b32_e32 v190, v190, v206, vcc
	v_cndmask_b32_e32 v198, v198, v214, vcc
	s_cbranch_scc1 .LBB92_946
.LBB92_947:
	s_waitcnt lgkmcnt(0)
	v_cmp_eq_f64_e32 vcc, 0, v[188:189]
	v_cmp_eq_f64_e64 s[0:1], 0, v[190:191]
	s_and_b64 s[0:1], vcc, s[0:1]
	s_and_saveexec_b64 s[16:17], s[0:1]
	s_xor_b64 s[0:1], exec, s[16:17]
; %bb.948:
	v_cmp_ne_u32_e32 vcc, 0, v202
	s_nop 1
	v_cndmask_b32_e32 v202, 46, v202, vcc
; %bb.949:
	s_andn2_saveexec_b64 s[0:1], s[0:1]
	s_cbranch_execz .LBB92_955
; %bb.950:
	v_cmp_ngt_f64_e64 s[16:17], |v[188:189]|, |v[190:191]|
	s_and_saveexec_b64 s[18:19], s[16:17]
	s_xor_b64 s[16:17], exec, s[18:19]
	s_cbranch_execz .LBB92_952
; %bb.951:
	v_div_scale_f64 v[204:205], s[18:19], v[190:191], v[190:191], v[188:189]
	v_rcp_f64_e32 v[206:207], v[204:205]
	v_div_scale_f64 v[208:209], vcc, v[188:189], v[190:191], v[188:189]
	v_fma_f64 v[210:211], -v[204:205], v[206:207], 1.0
	v_fmac_f64_e32 v[206:207], v[206:207], v[210:211]
	v_fma_f64 v[210:211], -v[204:205], v[206:207], 1.0
	v_fmac_f64_e32 v[206:207], v[206:207], v[210:211]
	v_mul_f64 v[210:211], v[208:209], v[206:207]
	v_fma_f64 v[204:205], -v[204:205], v[210:211], v[208:209]
	v_div_fmas_f64 v[204:205], v[204:205], v[206:207], v[210:211]
	v_div_fixup_f64 v[204:205], v[204:205], v[190:191], v[188:189]
	v_fmac_f64_e32 v[190:191], v[188:189], v[204:205]
	v_div_scale_f64 v[188:189], s[18:19], v[190:191], v[190:191], 1.0
	v_rcp_f64_e32 v[206:207], v[188:189]
	s_nop 0
	v_fma_f64 v[208:209], -v[188:189], v[206:207], 1.0
	v_fmac_f64_e32 v[206:207], v[206:207], v[208:209]
	v_fma_f64 v[208:209], -v[188:189], v[206:207], 1.0
	v_fmac_f64_e32 v[206:207], v[206:207], v[208:209]
	v_div_scale_f64 v[208:209], vcc, 1.0, v[190:191], 1.0
	v_mul_f64 v[210:211], v[208:209], v[206:207]
	v_fma_f64 v[188:189], -v[188:189], v[210:211], v[208:209]
	s_nop 1
	v_div_fmas_f64 v[188:189], v[188:189], v[206:207], v[210:211]
	v_div_fixup_f64 v[190:191], v[188:189], v[190:191], 1.0
	v_mul_f64 v[188:189], v[204:205], v[190:191]
	v_xor_b32_e32 v191, 0x80000000, v191
.LBB92_952:
	s_andn2_saveexec_b64 s[16:17], s[16:17]
	s_cbranch_execz .LBB92_954
; %bb.953:
	v_div_scale_f64 v[204:205], s[18:19], v[188:189], v[188:189], v[190:191]
	v_rcp_f64_e32 v[206:207], v[204:205]
	v_div_scale_f64 v[208:209], vcc, v[190:191], v[188:189], v[190:191]
	v_fma_f64 v[210:211], -v[204:205], v[206:207], 1.0
	v_fmac_f64_e32 v[206:207], v[206:207], v[210:211]
	v_fma_f64 v[210:211], -v[204:205], v[206:207], 1.0
	v_fmac_f64_e32 v[206:207], v[206:207], v[210:211]
	v_mul_f64 v[210:211], v[208:209], v[206:207]
	v_fma_f64 v[204:205], -v[204:205], v[210:211], v[208:209]
	v_div_fmas_f64 v[204:205], v[204:205], v[206:207], v[210:211]
	v_div_fixup_f64 v[204:205], v[204:205], v[188:189], v[190:191]
	v_fmac_f64_e32 v[188:189], v[190:191], v[204:205]
	v_div_scale_f64 v[190:191], s[18:19], v[188:189], v[188:189], 1.0
	v_rcp_f64_e32 v[206:207], v[190:191]
	s_nop 0
	v_fma_f64 v[208:209], -v[190:191], v[206:207], 1.0
	v_fmac_f64_e32 v[206:207], v[206:207], v[208:209]
	v_fma_f64 v[208:209], -v[190:191], v[206:207], 1.0
	v_fmac_f64_e32 v[206:207], v[206:207], v[208:209]
	v_div_scale_f64 v[208:209], vcc, 1.0, v[188:189], 1.0
	v_mul_f64 v[210:211], v[208:209], v[206:207]
	v_fma_f64 v[190:191], -v[190:191], v[210:211], v[208:209]
	s_nop 1
	v_div_fmas_f64 v[190:191], v[190:191], v[206:207], v[210:211]
	v_div_fixup_f64 v[188:189], v[190:191], v[188:189], 1.0
	v_mul_f64 v[190:191], v[204:205], -v[188:189]
.LBB92_954:
	s_or_b64 exec, exec, s[16:17]
.LBB92_955:
	s_or_b64 exec, exec, s[0:1]
	v_cmp_ne_u32_e32 vcc, v201, v198
	s_and_saveexec_b64 s[0:1], vcc
	s_xor_b64 s[0:1], exec, s[0:1]
	s_cbranch_execz .LBB92_961
; %bb.956:
	v_cmp_eq_u32_e32 vcc, 45, v201
	s_and_saveexec_b64 s[16:17], vcc
	s_cbranch_execz .LBB92_960
; %bb.957:
	v_cmp_ne_u32_e32 vcc, 45, v198
	s_xor_b64 s[18:19], s[14:15], -1
	s_and_b64 s[22:23], s[18:19], vcc
	s_and_saveexec_b64 s[18:19], s[22:23]
	s_cbranch_execz .LBB92_959
; %bb.958:
	v_ashrrev_i32_e32 v199, 31, v198
	v_lshl_add_u64 v[204:205], v[198:199], 2, v[196:197]
	global_load_dword v199, v[204:205], off
	global_load_dword v201, v[196:197], off offset:180
	s_waitcnt vmcnt(1)
	global_store_dword v[196:197], v199, off offset:180
	s_waitcnt vmcnt(1)
	global_store_dword v[204:205], v201, off
.LBB92_959:
	s_or_b64 exec, exec, s[18:19]
	v_mov_b32_e32 v201, v198
	v_mov_b32_e32 v203, v198
.LBB92_960:
	s_or_b64 exec, exec, s[16:17]
.LBB92_961:
	s_andn2_saveexec_b64 s[0:1], s[0:1]
	s_cbranch_execz .LBB92_963
; %bb.962:
	v_mov_b32_e32 v201, 45
	s_waitcnt vmcnt(0)
	ds_write2_b64 v200, v[184:185], v[186:187] offset0:92 offset1:93
.LBB92_963:
	s_or_b64 exec, exec, s[0:1]
	v_cmp_lt_i32_e32 vcc, 45, v201
	s_waitcnt lgkmcnt(0)
	s_barrier
	s_and_saveexec_b64 s[0:1], vcc
	s_cbranch_execz .LBB92_965
; %bb.964:
	ds_read2_b64 v[204:207], v200 offset0:92 offset1:93
	v_mul_f64 v[198:199], v[188:189], v[2:3]
	v_mul_f64 v[2:3], v[190:191], v[2:3]
	v_fmac_f64_e32 v[198:199], v[190:191], v[0:1]
	v_fma_f64 v[0:1], v[188:189], v[0:1], -v[2:3]
	s_waitcnt lgkmcnt(0)
	v_mul_f64 v[2:3], v[206:207], v[198:199]
	v_mul_f64 v[188:189], v[204:205], v[198:199]
	v_fma_f64 v[2:3], v[204:205], v[0:1], -v[2:3]
	v_fmac_f64_e32 v[188:189], v[206:207], v[0:1]
	s_waitcnt vmcnt(0)
	v_add_f64 v[184:185], v[184:185], -v[2:3]
	v_add_f64 v[186:187], v[186:187], -v[188:189]
	v_mov_b64_e32 v[2:3], v[198:199]
.LBB92_965:
	s_or_b64 exec, exec, s[0:1]
	v_lshl_add_u32 v188, v201, 4, v200
	s_barrier
	s_waitcnt vmcnt(0)
	ds_write2_b64 v188, v[184:185], v[186:187] offset1:1
	s_waitcnt lgkmcnt(0)
	s_barrier
	ds_read2_b64 v[188:191], v200 offset0:92 offset1:93
	s_cmp_lt_i32 s20, 48
	v_mov_b32_e32 v198, 46
	s_cbranch_scc1 .LBB92_968
; %bb.966:
	v_add_u32_e32 v199, 0x2f0, v200
	s_mov_b32 s16, 47
	v_mov_b32_e32 v198, 46
.LBB92_967:                             ; =>This Inner Loop Header: Depth=1
	ds_read2_b64 v[204:207], v199 offset1:1
	s_waitcnt lgkmcnt(1)
	v_xor_b32_e32 v200, 0x80000000, v189
	v_xor_b32_e32 v211, 0x80000000, v191
	v_cmp_gt_f64_e32 vcc, 0, v[190:191]
	v_cmp_gt_f64_e64 s[0:1], 0, v[188:189]
	v_mov_b32_e32 v208, v188
	v_mov_b32_e32 v210, v190
	v_cndmask_b32_e64 v209, v189, v200, s[0:1]
	v_cndmask_b32_e32 v211, v191, v211, vcc
	s_waitcnt lgkmcnt(0)
	v_xor_b32_e32 v200, 0x80000000, v205
	v_xor_b32_e32 v213, 0x80000000, v207
	v_cmp_gt_f64_e32 vcc, 0, v[206:207]
	v_cmp_gt_f64_e64 s[0:1], 0, v[204:205]
	v_add_f64 v[208:209], v[208:209], v[210:211]
	v_mov_b32_e32 v210, v204
	v_mov_b32_e32 v212, v206
	v_cndmask_b32_e64 v211, v205, v200, s[0:1]
	v_cndmask_b32_e32 v213, v207, v213, vcc
	v_add_f64 v[210:211], v[210:211], v[212:213]
	v_mov_b32_e32 v214, s16
	s_add_i32 s16, s16, 1
	v_cmp_lt_f64_e32 vcc, v[208:209], v[210:211]
	v_add_u32_e32 v199, 16, v199
	s_cmp_lg_u32 s20, s16
	v_cndmask_b32_e32 v189, v189, v205, vcc
	v_cndmask_b32_e32 v188, v188, v204, vcc
	;; [unrolled: 1-line block ×5, first 2 shown]
	s_cbranch_scc1 .LBB92_967
.LBB92_968:
	s_waitcnt lgkmcnt(0)
	v_cmp_eq_f64_e32 vcc, 0, v[188:189]
	v_cmp_eq_f64_e64 s[0:1], 0, v[190:191]
	s_and_b64 s[0:1], vcc, s[0:1]
	s_and_saveexec_b64 s[16:17], s[0:1]
	s_xor_b64 s[0:1], exec, s[16:17]
; %bb.969:
	v_cmp_ne_u32_e32 vcc, 0, v202
	s_nop 1
	v_cndmask_b32_e32 v202, 47, v202, vcc
; %bb.970:
	s_andn2_saveexec_b64 s[0:1], s[0:1]
	s_cbranch_execz .LBB92_976
; %bb.971:
	v_cmp_ngt_f64_e64 s[16:17], |v[188:189]|, |v[190:191]|
	s_and_saveexec_b64 s[18:19], s[16:17]
	s_xor_b64 s[16:17], exec, s[18:19]
	s_cbranch_execz .LBB92_973
; %bb.972:
	v_div_scale_f64 v[204:205], s[18:19], v[190:191], v[190:191], v[188:189]
	v_rcp_f64_e32 v[206:207], v[204:205]
	v_div_scale_f64 v[208:209], vcc, v[188:189], v[190:191], v[188:189]
	v_fma_f64 v[210:211], -v[204:205], v[206:207], 1.0
	v_fmac_f64_e32 v[206:207], v[206:207], v[210:211]
	v_fma_f64 v[210:211], -v[204:205], v[206:207], 1.0
	v_fmac_f64_e32 v[206:207], v[206:207], v[210:211]
	v_mul_f64 v[210:211], v[208:209], v[206:207]
	v_fma_f64 v[204:205], -v[204:205], v[210:211], v[208:209]
	v_div_fmas_f64 v[204:205], v[204:205], v[206:207], v[210:211]
	v_div_fixup_f64 v[204:205], v[204:205], v[190:191], v[188:189]
	v_fmac_f64_e32 v[190:191], v[188:189], v[204:205]
	v_div_scale_f64 v[188:189], s[18:19], v[190:191], v[190:191], 1.0
	v_rcp_f64_e32 v[206:207], v[188:189]
	s_nop 0
	v_fma_f64 v[208:209], -v[188:189], v[206:207], 1.0
	v_fmac_f64_e32 v[206:207], v[206:207], v[208:209]
	v_fma_f64 v[208:209], -v[188:189], v[206:207], 1.0
	v_fmac_f64_e32 v[206:207], v[206:207], v[208:209]
	v_div_scale_f64 v[208:209], vcc, 1.0, v[190:191], 1.0
	v_mul_f64 v[210:211], v[208:209], v[206:207]
	v_fma_f64 v[188:189], -v[188:189], v[210:211], v[208:209]
	s_nop 1
	v_div_fmas_f64 v[188:189], v[188:189], v[206:207], v[210:211]
	v_div_fixup_f64 v[190:191], v[188:189], v[190:191], 1.0
	v_mul_f64 v[188:189], v[204:205], v[190:191]
	v_xor_b32_e32 v191, 0x80000000, v191
.LBB92_973:
	s_andn2_saveexec_b64 s[16:17], s[16:17]
	s_cbranch_execz .LBB92_975
; %bb.974:
	v_div_scale_f64 v[204:205], s[18:19], v[188:189], v[188:189], v[190:191]
	v_rcp_f64_e32 v[206:207], v[204:205]
	v_div_scale_f64 v[208:209], vcc, v[190:191], v[188:189], v[190:191]
	v_fma_f64 v[210:211], -v[204:205], v[206:207], 1.0
	v_fmac_f64_e32 v[206:207], v[206:207], v[210:211]
	v_fma_f64 v[210:211], -v[204:205], v[206:207], 1.0
	v_fmac_f64_e32 v[206:207], v[206:207], v[210:211]
	v_mul_f64 v[210:211], v[208:209], v[206:207]
	v_fma_f64 v[204:205], -v[204:205], v[210:211], v[208:209]
	v_div_fmas_f64 v[204:205], v[204:205], v[206:207], v[210:211]
	v_div_fixup_f64 v[204:205], v[204:205], v[188:189], v[190:191]
	v_fmac_f64_e32 v[188:189], v[190:191], v[204:205]
	v_div_scale_f64 v[190:191], s[18:19], v[188:189], v[188:189], 1.0
	v_rcp_f64_e32 v[206:207], v[190:191]
	s_nop 0
	v_fma_f64 v[208:209], -v[190:191], v[206:207], 1.0
	v_fmac_f64_e32 v[206:207], v[206:207], v[208:209]
	v_fma_f64 v[208:209], -v[190:191], v[206:207], 1.0
	v_fmac_f64_e32 v[206:207], v[206:207], v[208:209]
	v_div_scale_f64 v[208:209], vcc, 1.0, v[188:189], 1.0
	v_mul_f64 v[210:211], v[208:209], v[206:207]
	v_fma_f64 v[190:191], -v[190:191], v[210:211], v[208:209]
	s_nop 1
	v_div_fmas_f64 v[190:191], v[190:191], v[206:207], v[210:211]
	v_div_fixup_f64 v[188:189], v[190:191], v[188:189], 1.0
	v_mul_f64 v[190:191], v[204:205], -v[188:189]
.LBB92_975:
	s_or_b64 exec, exec, s[16:17]
.LBB92_976:
	s_or_b64 exec, exec, s[0:1]
	v_cmp_ne_u32_e32 vcc, v201, v198
	v_mov_b32_e32 v200, 46
	s_and_saveexec_b64 s[0:1], vcc
	s_cbranch_execz .LBB92_982
; %bb.977:
	v_cmp_eq_u32_e32 vcc, 46, v201
	s_and_saveexec_b64 s[16:17], vcc
	s_cbranch_execz .LBB92_981
; %bb.978:
	v_cmp_ne_u32_e32 vcc, 46, v198
	s_xor_b64 s[14:15], s[14:15], -1
	s_and_b64 s[18:19], s[14:15], vcc
	s_and_saveexec_b64 s[14:15], s[18:19]
	s_cbranch_execz .LBB92_980
; %bb.979:
	v_ashrrev_i32_e32 v199, 31, v198
	v_lshl_add_u64 v[200:201], v[198:199], 2, v[196:197]
	global_load_dword v199, v[200:201], off
	global_load_dword v203, v[196:197], off offset:184
	s_waitcnt vmcnt(1)
	global_store_dword v[196:197], v199, off offset:184
	s_waitcnt vmcnt(1)
	global_store_dword v[200:201], v203, off
.LBB92_980:
	s_or_b64 exec, exec, s[14:15]
	v_mov_b32_e32 v201, v198
	v_mov_b32_e32 v203, v198
.LBB92_981:
	s_or_b64 exec, exec, s[16:17]
	v_mov_b32_e32 v200, v201
.LBB92_982:
	s_or_b64 exec, exec, s[0:1]
	v_cmp_gt_i32_e32 vcc, 47, v200
	v_ashrrev_i32_e32 v201, 31, v200
	s_barrier
	s_barrier
	s_and_saveexec_b64 s[0:1], vcc
	s_cbranch_execz .LBB92_984
; %bb.983:
	v_mov_b32_e32 v196, s6
	v_mov_b32_e32 v197, s7
	v_mul_lo_u32 v204, s11, v194
	v_mul_lo_u32 v205, s10, v195
	v_mad_u64_u32 v[198:199], s[6:7], s10, v194, 0
	v_add3_u32 v199, v199, v205, v204
	v_lshl_add_u64 v[196:197], v[198:199], 2, v[196:197]
	v_lshl_add_u64 v[196:197], s[8:9], 2, v[196:197]
	;; [unrolled: 1-line block ×3, first 2 shown]
	v_add3_u32 v198, v203, s13, 1
	global_store_dword v[196:197], v198, off
.LBB92_984:
	s_or_b64 exec, exec, s[0:1]
	v_cmp_eq_u32_e32 vcc, 0, v200
	s_and_saveexec_b64 s[6:7], vcc
	s_cbranch_execz .LBB92_987
; %bb.985:
	v_mov_b32_e32 v196, s4
	v_mov_b32_e32 v197, s5
	v_lshl_add_u64 v[194:195], v[194:195], 2, v[196:197]
	global_load_dword v196, v[194:195], off
	v_cmp_ne_u32_e64 s[0:1], 0, v202
	s_waitcnt vmcnt(0)
	v_cmp_eq_u32_e32 vcc, 0, v196
	s_and_b64 s[0:1], vcc, s[0:1]
	s_and_b64 exec, exec, s[0:1]
	s_cbranch_execz .LBB92_987
; %bb.986:
	v_add_u32_e32 v196, s13, v202
	global_store_dword v[194:195], v196, off
.LBB92_987:
	s_or_b64 exec, exec, s[6:7]
	v_mul_f64 v[194:195], v[190:191], v[186:187]
	v_fma_f64 v[194:195], v[188:189], v[184:185], -v[194:195]
	v_mul_f64 v[188:189], v[188:189], v[186:187]
	v_fmac_f64_e32 v[188:189], v[190:191], v[184:185]
	v_cmp_lt_i32_e32 vcc, 46, v200
	s_nop 1
	v_cndmask_b32_e32 v187, v187, v189, vcc
	v_cndmask_b32_e32 v186, v186, v188, vcc
	v_lshl_add_u64 v[188:189], v[200:201], 4, v[192:193]
	global_store_dwordx4 v[188:189], v[124:127], off
	v_cndmask_b32_e32 v185, v185, v195, vcc
	v_cndmask_b32_e32 v184, v184, v194, vcc
	v_lshl_add_u64 v[124:125], s[2:3], 4, v[188:189]
	global_store_dwordx4 v[124:125], v[120:123], off
	s_nop 1
	v_add_u32_e32 v120, s12, v200
	v_ashrrev_i32_e32 v121, 31, v120
	v_lshl_add_u64 v[122:123], v[120:121], 4, v[192:193]
	v_add_u32_e32 v120, s2, v120
	v_ashrrev_i32_e32 v121, 31, v120
	global_store_dwordx4 v[122:123], v[180:183], off
	v_lshl_add_u64 v[122:123], v[120:121], 4, v[192:193]
	v_add_u32_e32 v120, s2, v120
	v_ashrrev_i32_e32 v121, 31, v120
	global_store_dwordx4 v[122:123], v[176:179], off
	;; [unrolled: 4-line block ×14, first 2 shown]
	v_lshl_add_u64 v[122:123], v[120:121], 4, v[192:193]
	global_store_dwordx4 v[122:123], v[116:119], off
	s_nop 1
	v_add_u32_e32 v116, s2, v120
	v_ashrrev_i32_e32 v117, 31, v116
	v_lshl_add_u64 v[118:119], v[116:117], 4, v[192:193]
	global_store_dwordx4 v[118:119], v[112:115], off
	s_nop 1
	v_add_u32_e32 v112, s2, v116
	v_ashrrev_i32_e32 v113, 31, v112
	;; [unrolled: 5-line block ×30, first 2 shown]
	v_lshl_add_u64 v[0:1], v[0:1], 4, v[192:193]
	global_store_dwordx4 v[0:1], v[184:187], off
.LBB92_988:
	s_endpgm
	.section	.rodata,"a",@progbits
	.p2align	6, 0x0
	.amdhsa_kernel _ZN9rocsolver6v33100L18getf2_small_kernelILi47E19rocblas_complex_numIdEiiPS3_EEvT1_T3_lS5_lPS5_llPT2_S5_S5_S7_l
		.amdhsa_group_segment_fixed_size 0
		.amdhsa_private_segment_fixed_size 0
		.amdhsa_kernarg_size 352
		.amdhsa_user_sgpr_count 2
		.amdhsa_user_sgpr_dispatch_ptr 0
		.amdhsa_user_sgpr_queue_ptr 0
		.amdhsa_user_sgpr_kernarg_segment_ptr 1
		.amdhsa_user_sgpr_dispatch_id 0
		.amdhsa_user_sgpr_kernarg_preload_length 0
		.amdhsa_user_sgpr_kernarg_preload_offset 0
		.amdhsa_user_sgpr_private_segment_size 0
		.amdhsa_uses_dynamic_stack 0
		.amdhsa_enable_private_segment 0
		.amdhsa_system_sgpr_workgroup_id_x 1
		.amdhsa_system_sgpr_workgroup_id_y 1
		.amdhsa_system_sgpr_workgroup_id_z 0
		.amdhsa_system_sgpr_workgroup_info 0
		.amdhsa_system_vgpr_workitem_id 1
		.amdhsa_next_free_vgpr 228
		.amdhsa_next_free_sgpr 24
		.amdhsa_accum_offset 228
		.amdhsa_reserve_vcc 1
		.amdhsa_float_round_mode_32 0
		.amdhsa_float_round_mode_16_64 0
		.amdhsa_float_denorm_mode_32 3
		.amdhsa_float_denorm_mode_16_64 3
		.amdhsa_dx10_clamp 1
		.amdhsa_ieee_mode 1
		.amdhsa_fp16_overflow 0
		.amdhsa_tg_split 0
		.amdhsa_exception_fp_ieee_invalid_op 0
		.amdhsa_exception_fp_denorm_src 0
		.amdhsa_exception_fp_ieee_div_zero 0
		.amdhsa_exception_fp_ieee_overflow 0
		.amdhsa_exception_fp_ieee_underflow 0
		.amdhsa_exception_fp_ieee_inexact 0
		.amdhsa_exception_int_div_zero 0
	.end_amdhsa_kernel
	.section	.text._ZN9rocsolver6v33100L18getf2_small_kernelILi47E19rocblas_complex_numIdEiiPS3_EEvT1_T3_lS5_lPS5_llPT2_S5_S5_S7_l,"axG",@progbits,_ZN9rocsolver6v33100L18getf2_small_kernelILi47E19rocblas_complex_numIdEiiPS3_EEvT1_T3_lS5_lPS5_llPT2_S5_S5_S7_l,comdat
.Lfunc_end92:
	.size	_ZN9rocsolver6v33100L18getf2_small_kernelILi47E19rocblas_complex_numIdEiiPS3_EEvT1_T3_lS5_lPS5_llPT2_S5_S5_S7_l, .Lfunc_end92-_ZN9rocsolver6v33100L18getf2_small_kernelILi47E19rocblas_complex_numIdEiiPS3_EEvT1_T3_lS5_lPS5_llPT2_S5_S5_S7_l
                                        ; -- End function
	.set _ZN9rocsolver6v33100L18getf2_small_kernelILi47E19rocblas_complex_numIdEiiPS3_EEvT1_T3_lS5_lPS5_llPT2_S5_S5_S7_l.num_vgpr, 228
	.set _ZN9rocsolver6v33100L18getf2_small_kernelILi47E19rocblas_complex_numIdEiiPS3_EEvT1_T3_lS5_lPS5_llPT2_S5_S5_S7_l.num_agpr, 0
	.set _ZN9rocsolver6v33100L18getf2_small_kernelILi47E19rocblas_complex_numIdEiiPS3_EEvT1_T3_lS5_lPS5_llPT2_S5_S5_S7_l.numbered_sgpr, 24
	.set _ZN9rocsolver6v33100L18getf2_small_kernelILi47E19rocblas_complex_numIdEiiPS3_EEvT1_T3_lS5_lPS5_llPT2_S5_S5_S7_l.num_named_barrier, 0
	.set _ZN9rocsolver6v33100L18getf2_small_kernelILi47E19rocblas_complex_numIdEiiPS3_EEvT1_T3_lS5_lPS5_llPT2_S5_S5_S7_l.private_seg_size, 0
	.set _ZN9rocsolver6v33100L18getf2_small_kernelILi47E19rocblas_complex_numIdEiiPS3_EEvT1_T3_lS5_lPS5_llPT2_S5_S5_S7_l.uses_vcc, 1
	.set _ZN9rocsolver6v33100L18getf2_small_kernelILi47E19rocblas_complex_numIdEiiPS3_EEvT1_T3_lS5_lPS5_llPT2_S5_S5_S7_l.uses_flat_scratch, 0
	.set _ZN9rocsolver6v33100L18getf2_small_kernelILi47E19rocblas_complex_numIdEiiPS3_EEvT1_T3_lS5_lPS5_llPT2_S5_S5_S7_l.has_dyn_sized_stack, 0
	.set _ZN9rocsolver6v33100L18getf2_small_kernelILi47E19rocblas_complex_numIdEiiPS3_EEvT1_T3_lS5_lPS5_llPT2_S5_S5_S7_l.has_recursion, 0
	.set _ZN9rocsolver6v33100L18getf2_small_kernelILi47E19rocblas_complex_numIdEiiPS3_EEvT1_T3_lS5_lPS5_llPT2_S5_S5_S7_l.has_indirect_call, 0
	.section	.AMDGPU.csdata,"",@progbits
; Kernel info:
; codeLenInByte = 121224
; TotalNumSgprs: 30
; NumVgprs: 228
; NumAgprs: 0
; TotalNumVgprs: 228
; ScratchSize: 0
; MemoryBound: 0
; FloatMode: 240
; IeeeMode: 1
; LDSByteSize: 0 bytes/workgroup (compile time only)
; SGPRBlocks: 3
; VGPRBlocks: 28
; NumSGPRsForWavesPerEU: 30
; NumVGPRsForWavesPerEU: 228
; AccumOffset: 228
; Occupancy: 2
; WaveLimiterHint : 0
; COMPUTE_PGM_RSRC2:SCRATCH_EN: 0
; COMPUTE_PGM_RSRC2:USER_SGPR: 2
; COMPUTE_PGM_RSRC2:TRAP_HANDLER: 0
; COMPUTE_PGM_RSRC2:TGID_X_EN: 1
; COMPUTE_PGM_RSRC2:TGID_Y_EN: 1
; COMPUTE_PGM_RSRC2:TGID_Z_EN: 0
; COMPUTE_PGM_RSRC2:TIDIG_COMP_CNT: 1
; COMPUTE_PGM_RSRC3_GFX90A:ACCUM_OFFSET: 56
; COMPUTE_PGM_RSRC3_GFX90A:TG_SPLIT: 0
	.section	.text._ZN9rocsolver6v33100L23getf2_npvt_small_kernelILi47E19rocblas_complex_numIdEiiPS3_EEvT1_T3_lS5_lPT2_S5_S5_,"axG",@progbits,_ZN9rocsolver6v33100L23getf2_npvt_small_kernelILi47E19rocblas_complex_numIdEiiPS3_EEvT1_T3_lS5_lPT2_S5_S5_,comdat
	.globl	_ZN9rocsolver6v33100L23getf2_npvt_small_kernelILi47E19rocblas_complex_numIdEiiPS3_EEvT1_T3_lS5_lPT2_S5_S5_ ; -- Begin function _ZN9rocsolver6v33100L23getf2_npvt_small_kernelILi47E19rocblas_complex_numIdEiiPS3_EEvT1_T3_lS5_lPT2_S5_S5_
	.p2align	8
	.type	_ZN9rocsolver6v33100L23getf2_npvt_small_kernelILi47E19rocblas_complex_numIdEiiPS3_EEvT1_T3_lS5_lPT2_S5_S5_,@function
_ZN9rocsolver6v33100L23getf2_npvt_small_kernelILi47E19rocblas_complex_numIdEiiPS3_EEvT1_T3_lS5_lPT2_S5_S5_: ; @_ZN9rocsolver6v33100L23getf2_npvt_small_kernelILi47E19rocblas_complex_numIdEiiPS3_EEvT1_T3_lS5_lPT2_S5_S5_
; %bb.0:
	s_load_dword s2, s[0:1], 0x44
	s_load_dwordx2 s[8:9], s[0:1], 0x30
	v_bfe_u32 v2, v0, 10, 10
	s_waitcnt lgkmcnt(0)
	s_lshr_b32 s2, s2, 16
	s_mul_i32 s3, s3, s2
	v_add_u32_e32 v4, s3, v2
	v_cmp_gt_i32_e32 vcc, s8, v4
	s_and_saveexec_b64 s[4:5], vcc
	s_cbranch_execz .LBB93_426
; %bb.1:
	s_load_dwordx4 s[12:15], s[0:1], 0x8
	s_load_dword s10, s[0:1], 0x18
	s_load_dwordx4 s[4:7], s[0:1], 0x20
	v_ashrrev_i32_e32 v5, 31, v4
	scratch_store_dwordx2 off, v[4:5], off offset:920 ; 8-byte Folded Spill
	v_and_b32_e32 v254, 0x3ff, v0
	s_waitcnt lgkmcnt(0)
	v_mov_b32_e32 v0, s12
	v_mul_lo_u32 v3, s5, v4
	v_mul_lo_u32 v6, s4, v5
	v_mad_u64_u32 v[4:5], s[0:1], s4, v4, 0
	v_mov_b32_e32 v1, s13
	v_add3_u32 v5, v5, v6, v3
	v_lshl_add_u64 v[0:1], v[4:5], 4, v[0:1]
	v_lshl_add_u64 v[0:1], s[14:15], 4, v[0:1]
	v_lshlrev_b32_e32 v4, 4, v254
	v_mov_b32_e32 v5, 0
	s_add_i32 s0, s10, s10
	v_lshl_add_u64 v[248:249], v[0:1], 0, v[4:5]
	v_add_u32_e32 v4, s0, v254
	v_ashrrev_i32_e32 v5, 31, v4
	v_lshl_add_u64 v[58:59], v[4:5], 4, v[0:1]
	v_add_u32_e32 v4, s10, v4
	v_ashrrev_i32_e32 v5, 31, v4
	;; [unrolled: 3-line block ×45, first 2 shown]
	s_ashr_i32 s11, s10, 31
	v_lshl_add_u64 v[212:213], v[4:5], 4, v[0:1]
	s_mulk_i32 s2, 0x2f0
	v_lshl_add_u64 v[0:1], s[10:11], 4, v[248:249]
	s_movk_i32 s0, 0x2f0
	s_add_i32 s1, s2, 0
	scratch_store_dwordx2 off, v[0:1], off offset:328 ; 8-byte Folded Spill
	scratch_store_dwordx2 off, v[58:59], off offset:904 ; 8-byte Folded Spill
	scratch_store_dwordx2 off, v[60:61], off offset:896 ; 8-byte Folded Spill
	scratch_store_dwordx2 off, v[62:63], off offset:912 ; 8-byte Folded Spill
	v_mad_u32_u24 v241, v2, s0, 0
	v_lshl_add_u32 v255, v2, 4, s1
	global_load_dwordx4 v[250:253], v[248:249], off
	global_load_dwordx4 v[168:171], v[60:61], off
	;; [unrolled: 1-line block ×32, first 2 shown]
	v_cmp_ne_u32_e64 s[2:3], 0, v254
	scratch_store_dwordx2 off, v[6:7], off  ; 8-byte Folded Spill
	scratch_store_dwordx2 off, v[8:9], off offset:8 ; 8-byte Folded Spill
	scratch_store_dwordx2 off, v[10:11], off offset:16 ; 8-byte Folded Spill
	;; [unrolled: 1-line block ×25, first 2 shown]
	global_load_dwordx4 v[56:59], v[56:57], off
	v_cmp_eq_u32_e64 s[0:1], 0, v254
	scratch_store_dwordx2 off, v[184:185], off offset:208 ; 8-byte Folded Spill
	global_load_dwordx4 v[52:55], v[184:185], off
	global_load_dwordx4 v[48:51], v[186:187], off
	;; [unrolled: 1-line block ×13, first 2 shown]
	s_nop 0
	scratch_store_dwordx2 off, v[186:187], off offset:216 ; 8-byte Folded Spill
	global_load_dwordx4 v[184:187], v[212:213], off
	s_nop 0
	scratch_store_dwordx2 off, v[188:189], off offset:224 ; 8-byte Folded Spill
	scratch_store_dwordx2 off, v[190:191], off offset:232 ; 8-byte Folded Spill
	;; [unrolled: 1-line block ×13, first 2 shown]
	s_and_saveexec_b64 s[10:11], s[0:1]
	s_cbranch_execz .LBB93_8
; %bb.2:
	s_waitcnt vmcnt(62)
	ds_write2_b64 v255, v[250:251], v[252:253] offset1:1
	ds_write2_b64 v241, v[176:177], v[178:179] offset0:2 offset1:3
	ds_write2_b64 v241, v[172:173], v[174:175] offset0:4 offset1:5
	ds_write2_b64 v241, v[168:169], v[170:171] offset0:6 offset1:7
	ds_write2_b64 v241, v[164:165], v[166:167] offset0:8 offset1:9
	ds_write2_b64 v241, v[160:161], v[162:163] offset0:10 offset1:11
	ds_write2_b64 v241, v[156:157], v[158:159] offset0:12 offset1:13
	ds_write2_b64 v241, v[152:153], v[154:155] offset0:14 offset1:15
	ds_write2_b64 v241, v[148:149], v[150:151] offset0:16 offset1:17
	ds_write2_b64 v241, v[144:145], v[146:147] offset0:18 offset1:19
	ds_write2_b64 v241, v[140:141], v[142:143] offset0:20 offset1:21
	ds_write2_b64 v241, v[136:137], v[138:139] offset0:22 offset1:23
	ds_write2_b64 v241, v[132:133], v[134:135] offset0:24 offset1:25
	ds_write2_b64 v241, v[128:129], v[130:131] offset0:26 offset1:27
	ds_write2_b64 v241, v[124:125], v[126:127] offset0:28 offset1:29
	ds_write2_b64 v241, v[120:121], v[122:123] offset0:30 offset1:31
	ds_write2_b64 v241, v[116:117], v[118:119] offset0:32 offset1:33
	ds_write2_b64 v241, v[112:113], v[114:115] offset0:34 offset1:35
	ds_write2_b64 v241, v[108:109], v[110:111] offset0:36 offset1:37
	ds_write2_b64 v241, v[104:105], v[106:107] offset0:38 offset1:39
	ds_write2_b64 v241, v[100:101], v[102:103] offset0:40 offset1:41
	ds_write2_b64 v241, v[96:97], v[98:99] offset0:42 offset1:43
	ds_write2_b64 v241, v[92:93], v[94:95] offset0:44 offset1:45
	ds_write2_b64 v241, v[88:89], v[90:91] offset0:46 offset1:47
	ds_write2_b64 v241, v[84:85], v[86:87] offset0:48 offset1:49
	ds_write2_b64 v241, v[80:81], v[82:83] offset0:50 offset1:51
	s_waitcnt vmcnt(61)
	ds_write2_b64 v241, v[76:77], v[78:79] offset0:52 offset1:53
	s_waitcnt vmcnt(60)
	ds_write2_b64 v241, v[72:73], v[74:75] offset0:54 offset1:55
	s_waitcnt vmcnt(59)
	ds_write2_b64 v241, v[68:69], v[70:71] offset0:56 offset1:57
	s_waitcnt vmcnt(58)
	ds_write2_b64 v241, v[64:65], v[66:67] offset0:58 offset1:59
	s_waitcnt vmcnt(57)
	ds_write2_b64 v241, v[60:61], v[62:63] offset0:60 offset1:61
	s_waitcnt vmcnt(29)
	ds_write2_b64 v241, v[56:57], v[58:59] offset0:62 offset1:63
	s_waitcnt vmcnt(27)
	ds_write2_b64 v241, v[52:53], v[54:55] offset0:64 offset1:65
	s_waitcnt vmcnt(26)
	ds_write2_b64 v241, v[48:49], v[50:51] offset0:66 offset1:67
	s_waitcnt vmcnt(25)
	ds_write2_b64 v241, v[44:45], v[46:47] offset0:68 offset1:69
	s_waitcnt vmcnt(24)
	ds_write2_b64 v241, v[40:41], v[42:43] offset0:70 offset1:71
	s_waitcnt vmcnt(23)
	ds_write2_b64 v241, v[36:37], v[38:39] offset0:72 offset1:73
	s_waitcnt vmcnt(22)
	ds_write2_b64 v241, v[32:33], v[34:35] offset0:74 offset1:75
	s_waitcnt vmcnt(21)
	ds_write2_b64 v241, v[28:29], v[30:31] offset0:76 offset1:77
	s_waitcnt vmcnt(20)
	ds_write2_b64 v241, v[24:25], v[26:27] offset0:78 offset1:79
	s_waitcnt vmcnt(19)
	ds_write2_b64 v241, v[20:21], v[22:23] offset0:80 offset1:81
	s_waitcnt vmcnt(18)
	ds_write2_b64 v241, v[16:17], v[18:19] offset0:82 offset1:83
	s_waitcnt vmcnt(17)
	ds_write2_b64 v241, v[12:13], v[14:15] offset0:84 offset1:85
	s_waitcnt vmcnt(16)
	ds_write2_b64 v241, v[8:9], v[10:11] offset0:86 offset1:87
	s_waitcnt vmcnt(15)
	ds_write2_b64 v241, v[4:5], v[6:7] offset0:88 offset1:89
	ds_write2_b64 v241, v[0:1], v[2:3] offset0:90 offset1:91
	s_waitcnt vmcnt(13)
	ds_write2_b64 v241, v[184:185], v[186:187] offset0:92 offset1:93
	ds_read2_b64 v[188:191], v255 offset1:1
	s_waitcnt lgkmcnt(0)
	v_cmp_neq_f64_e32 vcc, 0, v[188:189]
	v_cmp_neq_f64_e64 s[4:5], 0, v[190:191]
	s_or_b64 s[4:5], vcc, s[4:5]
	s_and_b64 exec, exec, s[4:5]
	s_cbranch_execz .LBB93_8
; %bb.3:
	v_cmp_ngt_f64_e64 s[4:5], |v[188:189]|, |v[190:191]|
                                        ; implicit-def: $vgpr192_vgpr193
	s_and_saveexec_b64 s[12:13], s[4:5]
	s_xor_b64 s[4:5], exec, s[12:13]
                                        ; implicit-def: $vgpr194_vgpr195
	s_cbranch_execz .LBB93_5
; %bb.4:
	v_div_scale_f64 v[192:193], s[12:13], v[190:191], v[190:191], v[188:189]
	v_rcp_f64_e32 v[194:195], v[192:193]
	v_div_scale_f64 v[196:197], vcc, v[188:189], v[190:191], v[188:189]
	v_fma_f64 v[198:199], -v[192:193], v[194:195], 1.0
	v_fmac_f64_e32 v[194:195], v[194:195], v[198:199]
	v_fma_f64 v[198:199], -v[192:193], v[194:195], 1.0
	v_fmac_f64_e32 v[194:195], v[194:195], v[198:199]
	v_mul_f64 v[198:199], v[196:197], v[194:195]
	v_fma_f64 v[192:193], -v[192:193], v[198:199], v[196:197]
	v_div_fmas_f64 v[192:193], v[192:193], v[194:195], v[198:199]
	v_div_fixup_f64 v[192:193], v[192:193], v[190:191], v[188:189]
	v_fmac_f64_e32 v[190:191], v[188:189], v[192:193]
	v_div_scale_f64 v[188:189], s[12:13], v[190:191], v[190:191], 1.0
	v_rcp_f64_e32 v[194:195], v[188:189]
	s_nop 0
	v_fma_f64 v[196:197], -v[188:189], v[194:195], 1.0
	v_fmac_f64_e32 v[194:195], v[194:195], v[196:197]
	v_fma_f64 v[196:197], -v[188:189], v[194:195], 1.0
	v_fmac_f64_e32 v[194:195], v[194:195], v[196:197]
	v_div_scale_f64 v[196:197], vcc, 1.0, v[190:191], 1.0
	v_mul_f64 v[198:199], v[196:197], v[194:195]
	v_fma_f64 v[188:189], -v[188:189], v[198:199], v[196:197]
	s_nop 1
	v_div_fmas_f64 v[188:189], v[188:189], v[194:195], v[198:199]
	v_div_fixup_f64 v[194:195], v[188:189], v[190:191], 1.0
	v_mul_f64 v[192:193], v[192:193], v[194:195]
	v_xor_b32_e32 v195, 0x80000000, v195
                                        ; implicit-def: $vgpr188_vgpr189
.LBB93_5:
	s_andn2_saveexec_b64 s[4:5], s[4:5]
	s_cbranch_execz .LBB93_7
; %bb.6:
	v_div_scale_f64 v[192:193], s[12:13], v[188:189], v[188:189], v[190:191]
	v_rcp_f64_e32 v[194:195], v[192:193]
	v_div_scale_f64 v[196:197], vcc, v[190:191], v[188:189], v[190:191]
	v_fma_f64 v[198:199], -v[192:193], v[194:195], 1.0
	v_fmac_f64_e32 v[194:195], v[194:195], v[198:199]
	v_fma_f64 v[198:199], -v[192:193], v[194:195], 1.0
	v_fmac_f64_e32 v[194:195], v[194:195], v[198:199]
	v_mul_f64 v[198:199], v[196:197], v[194:195]
	v_fma_f64 v[192:193], -v[192:193], v[198:199], v[196:197]
	v_div_fmas_f64 v[192:193], v[192:193], v[194:195], v[198:199]
	v_div_fixup_f64 v[194:195], v[192:193], v[188:189], v[190:191]
	v_fmac_f64_e32 v[188:189], v[190:191], v[194:195]
	v_div_scale_f64 v[190:191], s[12:13], v[188:189], v[188:189], 1.0
	v_rcp_f64_e32 v[192:193], v[190:191]
	s_nop 0
	v_fma_f64 v[196:197], -v[190:191], v[192:193], 1.0
	v_fmac_f64_e32 v[192:193], v[192:193], v[196:197]
	v_fma_f64 v[196:197], -v[190:191], v[192:193], 1.0
	v_fmac_f64_e32 v[192:193], v[192:193], v[196:197]
	v_div_scale_f64 v[196:197], vcc, 1.0, v[188:189], 1.0
	v_mul_f64 v[198:199], v[196:197], v[192:193]
	v_fma_f64 v[190:191], -v[190:191], v[198:199], v[196:197]
	s_nop 1
	v_div_fmas_f64 v[190:191], v[190:191], v[192:193], v[198:199]
	v_div_fixup_f64 v[192:193], v[190:191], v[188:189], 1.0
	v_mul_f64 v[194:195], v[194:195], -v[192:193]
.LBB93_7:
	s_or_b64 exec, exec, s[4:5]
	ds_write2_b64 v255, v[192:193], v[194:195] offset1:1
.LBB93_8:
	s_or_b64 exec, exec, s[10:11]
	s_waitcnt lgkmcnt(0)
	s_barrier
	ds_read2_b64 v[188:191], v255 offset1:1
	s_waitcnt lgkmcnt(0)
	scratch_store_dwordx4 off, v[188:191], off offset:336 ; 16-byte Folded Spill
	s_and_saveexec_b64 s[4:5], s[2:3]
	s_cbranch_execz .LBB93_10
; %bb.9:
	scratch_load_dwordx4 v[190:193], off, off offset:336 ; 16-byte Folded Reload
	s_waitcnt vmcnt(0)
	v_mul_f64 v[188:189], v[192:193], v[252:253]
	v_mul_f64 v[252:253], v[190:191], v[252:253]
	v_fma_f64 v[188:189], v[190:191], v[250:251], -v[188:189]
	v_fmac_f64_e32 v[252:253], v[192:193], v[250:251]
	ds_read2_b64 v[190:193], v241 offset0:2 offset1:3
	v_mov_b64_e32 v[250:251], v[188:189]
	s_waitcnt lgkmcnt(0)
	v_mul_f64 v[180:181], v[192:193], v[252:253]
	v_fma_f64 v[180:181], v[190:191], v[188:189], -v[180:181]
	v_mul_f64 v[190:191], v[190:191], v[252:253]
	v_fmac_f64_e32 v[190:191], v[192:193], v[188:189]
	v_add_f64 v[178:179], v[178:179], -v[190:191]
	ds_read2_b64 v[190:193], v241 offset0:4 offset1:5
	v_add_f64 v[176:177], v[176:177], -v[180:181]
	s_waitcnt lgkmcnt(0)
	v_mul_f64 v[180:181], v[192:193], v[252:253]
	v_fma_f64 v[180:181], v[190:191], v[188:189], -v[180:181]
	v_mul_f64 v[190:191], v[190:191], v[252:253]
	v_fmac_f64_e32 v[190:191], v[192:193], v[188:189]
	v_add_f64 v[174:175], v[174:175], -v[190:191]
	ds_read2_b64 v[190:193], v241 offset0:6 offset1:7
	v_add_f64 v[172:173], v[172:173], -v[180:181]
	;; [unrolled: 8-line block ×45, first 2 shown]
	s_waitcnt lgkmcnt(0)
	v_mul_f64 v[180:181], v[192:193], v[252:253]
	v_fma_f64 v[180:181], v[190:191], v[188:189], -v[180:181]
	v_mul_f64 v[190:191], v[190:191], v[252:253]
	v_fmac_f64_e32 v[190:191], v[192:193], v[188:189]
	v_add_f64 v[184:185], v[184:185], -v[180:181]
	v_add_f64 v[186:187], v[186:187], -v[190:191]
.LBB93_10:
	s_or_b64 exec, exec, s[4:5]
	v_cmp_eq_u32_e32 vcc, 1, v254
	s_waitcnt vmcnt(63) expcnt(7) lgkmcnt(15)
	s_barrier
	s_and_saveexec_b64 s[4:5], vcc
	s_cbranch_execz .LBB93_17
; %bb.11:
	ds_write2_b64 v255, v[176:177], v[178:179] offset1:1
	ds_write2_b64 v241, v[172:173], v[174:175] offset0:4 offset1:5
	ds_write2_b64 v241, v[168:169], v[170:171] offset0:6 offset1:7
	;; [unrolled: 1-line block ×24, first 2 shown]
	s_waitcnt vmcnt(62)
	ds_write2_b64 v241, v[76:77], v[78:79] offset0:52 offset1:53
	s_waitcnt vmcnt(61)
	ds_write2_b64 v241, v[72:73], v[74:75] offset0:54 offset1:55
	;; [unrolled: 2-line block ×19, first 2 shown]
	ds_write2_b64 v241, v[0:1], v[2:3] offset0:90 offset1:91
	s_waitcnt vmcnt(14)
	ds_write2_b64 v241, v[184:185], v[186:187] offset0:92 offset1:93
	ds_read2_b64 v[188:191], v255 offset1:1
	s_waitcnt lgkmcnt(0)
	v_cmp_neq_f64_e32 vcc, 0, v[188:189]
	v_cmp_neq_f64_e64 s[2:3], 0, v[190:191]
	s_or_b64 s[2:3], vcc, s[2:3]
	s_and_b64 exec, exec, s[2:3]
	s_cbranch_execz .LBB93_17
; %bb.12:
	v_cmp_ngt_f64_e64 s[2:3], |v[188:189]|, |v[190:191]|
                                        ; implicit-def: $vgpr192_vgpr193
	s_and_saveexec_b64 s[10:11], s[2:3]
	s_xor_b64 s[2:3], exec, s[10:11]
                                        ; implicit-def: $vgpr194_vgpr195
	s_cbranch_execz .LBB93_14
; %bb.13:
	v_div_scale_f64 v[192:193], s[10:11], v[190:191], v[190:191], v[188:189]
	v_rcp_f64_e32 v[194:195], v[192:193]
	v_div_scale_f64 v[196:197], vcc, v[188:189], v[190:191], v[188:189]
	v_fma_f64 v[198:199], -v[192:193], v[194:195], 1.0
	v_fmac_f64_e32 v[194:195], v[194:195], v[198:199]
	v_fma_f64 v[198:199], -v[192:193], v[194:195], 1.0
	v_fmac_f64_e32 v[194:195], v[194:195], v[198:199]
	v_mul_f64 v[198:199], v[196:197], v[194:195]
	v_fma_f64 v[192:193], -v[192:193], v[198:199], v[196:197]
	v_div_fmas_f64 v[192:193], v[192:193], v[194:195], v[198:199]
	v_div_fixup_f64 v[192:193], v[192:193], v[190:191], v[188:189]
	v_fmac_f64_e32 v[190:191], v[188:189], v[192:193]
	v_div_scale_f64 v[188:189], s[10:11], v[190:191], v[190:191], 1.0
	v_rcp_f64_e32 v[194:195], v[188:189]
	s_nop 0
	v_fma_f64 v[196:197], -v[188:189], v[194:195], 1.0
	v_fmac_f64_e32 v[194:195], v[194:195], v[196:197]
	v_fma_f64 v[196:197], -v[188:189], v[194:195], 1.0
	v_fmac_f64_e32 v[194:195], v[194:195], v[196:197]
	v_div_scale_f64 v[196:197], vcc, 1.0, v[190:191], 1.0
	v_mul_f64 v[198:199], v[196:197], v[194:195]
	v_fma_f64 v[188:189], -v[188:189], v[198:199], v[196:197]
	s_nop 1
	v_div_fmas_f64 v[188:189], v[188:189], v[194:195], v[198:199]
	v_div_fixup_f64 v[194:195], v[188:189], v[190:191], 1.0
	v_mul_f64 v[192:193], v[192:193], v[194:195]
	v_xor_b32_e32 v195, 0x80000000, v195
                                        ; implicit-def: $vgpr188_vgpr189
.LBB93_14:
	s_andn2_saveexec_b64 s[2:3], s[2:3]
	s_cbranch_execz .LBB93_16
; %bb.15:
	v_div_scale_f64 v[192:193], s[10:11], v[188:189], v[188:189], v[190:191]
	v_rcp_f64_e32 v[194:195], v[192:193]
	v_div_scale_f64 v[196:197], vcc, v[190:191], v[188:189], v[190:191]
	v_fma_f64 v[198:199], -v[192:193], v[194:195], 1.0
	v_fmac_f64_e32 v[194:195], v[194:195], v[198:199]
	v_fma_f64 v[198:199], -v[192:193], v[194:195], 1.0
	v_fmac_f64_e32 v[194:195], v[194:195], v[198:199]
	v_mul_f64 v[198:199], v[196:197], v[194:195]
	v_fma_f64 v[192:193], -v[192:193], v[198:199], v[196:197]
	v_div_fmas_f64 v[192:193], v[192:193], v[194:195], v[198:199]
	v_div_fixup_f64 v[194:195], v[192:193], v[188:189], v[190:191]
	v_fmac_f64_e32 v[188:189], v[190:191], v[194:195]
	v_div_scale_f64 v[190:191], s[10:11], v[188:189], v[188:189], 1.0
	v_rcp_f64_e32 v[192:193], v[190:191]
	s_nop 0
	v_fma_f64 v[196:197], -v[190:191], v[192:193], 1.0
	v_fmac_f64_e32 v[192:193], v[192:193], v[196:197]
	v_fma_f64 v[196:197], -v[190:191], v[192:193], 1.0
	v_fmac_f64_e32 v[192:193], v[192:193], v[196:197]
	v_div_scale_f64 v[196:197], vcc, 1.0, v[188:189], 1.0
	v_mul_f64 v[198:199], v[196:197], v[192:193]
	v_fma_f64 v[190:191], -v[190:191], v[198:199], v[196:197]
	s_nop 1
	v_div_fmas_f64 v[190:191], v[190:191], v[192:193], v[198:199]
	v_div_fixup_f64 v[192:193], v[190:191], v[188:189], 1.0
	v_mul_f64 v[194:195], v[194:195], -v[192:193]
.LBB93_16:
	s_or_b64 exec, exec, s[2:3]
	ds_write2_b64 v255, v[192:193], v[194:195] offset1:1
.LBB93_17:
	s_or_b64 exec, exec, s[4:5]
	s_waitcnt lgkmcnt(0)
	s_barrier
	ds_read2_b64 v[188:191], v255 offset1:1
	v_cmp_lt_u32_e32 vcc, 1, v254
	s_waitcnt lgkmcnt(0)
	scratch_store_dwordx4 off, v[188:191], off offset:352 ; 16-byte Folded Spill
	s_and_saveexec_b64 s[2:3], vcc
	s_cbranch_execz .LBB93_19
; %bb.18:
	scratch_load_dwordx4 v[190:193], off, off offset:352 ; 16-byte Folded Reload
	s_waitcnt vmcnt(0)
	v_mul_f64 v[188:189], v[192:193], v[178:179]
	v_mul_f64 v[178:179], v[190:191], v[178:179]
	v_fma_f64 v[188:189], v[190:191], v[176:177], -v[188:189]
	v_fmac_f64_e32 v[178:179], v[192:193], v[176:177]
	ds_read2_b64 v[190:193], v241 offset0:4 offset1:5
	s_waitcnt lgkmcnt(0)
	v_mul_f64 v[176:177], v[192:193], v[178:179]
	v_fma_f64 v[176:177], v[190:191], v[188:189], -v[176:177]
	v_mul_f64 v[190:191], v[190:191], v[178:179]
	v_fmac_f64_e32 v[190:191], v[192:193], v[188:189]
	v_add_f64 v[174:175], v[174:175], -v[190:191]
	ds_read2_b64 v[190:193], v241 offset0:6 offset1:7
	v_add_f64 v[172:173], v[172:173], -v[176:177]
	s_waitcnt lgkmcnt(0)
	v_mul_f64 v[176:177], v[192:193], v[178:179]
	v_fma_f64 v[176:177], v[190:191], v[188:189], -v[176:177]
	v_mul_f64 v[190:191], v[190:191], v[178:179]
	v_fmac_f64_e32 v[190:191], v[192:193], v[188:189]
	v_add_f64 v[170:171], v[170:171], -v[190:191]
	ds_read2_b64 v[190:193], v241 offset0:8 offset1:9
	v_add_f64 v[168:169], v[168:169], -v[176:177]
	;; [unrolled: 8-line block ×44, first 2 shown]
	s_waitcnt lgkmcnt(0)
	v_mul_f64 v[176:177], v[192:193], v[178:179]
	v_fma_f64 v[176:177], v[190:191], v[188:189], -v[176:177]
	v_mul_f64 v[190:191], v[190:191], v[178:179]
	v_fmac_f64_e32 v[190:191], v[192:193], v[188:189]
	v_add_f64 v[184:185], v[184:185], -v[176:177]
	v_add_f64 v[186:187], v[186:187], -v[190:191]
	v_mov_b64_e32 v[176:177], v[188:189]
.LBB93_19:
	s_or_b64 exec, exec, s[2:3]
	v_cmp_eq_u32_e32 vcc, 2, v254
	s_waitcnt vmcnt(63) expcnt(7) lgkmcnt(15)
	s_barrier
	s_and_saveexec_b64 s[4:5], vcc
	s_cbranch_execz .LBB93_26
; %bb.20:
	ds_write2_b64 v255, v[172:173], v[174:175] offset1:1
	ds_write2_b64 v241, v[168:169], v[170:171] offset0:6 offset1:7
	ds_write2_b64 v241, v[164:165], v[166:167] offset0:8 offset1:9
	;; [unrolled: 1-line block ×24, first 2 shown]
	s_waitcnt vmcnt(62)
	ds_write2_b64 v241, v[72:73], v[74:75] offset0:54 offset1:55
	s_waitcnt vmcnt(61)
	ds_write2_b64 v241, v[68:69], v[70:71] offset0:56 offset1:57
	;; [unrolled: 2-line block ×18, first 2 shown]
	ds_write2_b64 v241, v[0:1], v[2:3] offset0:90 offset1:91
	s_waitcnt vmcnt(15)
	ds_write2_b64 v241, v[184:185], v[186:187] offset0:92 offset1:93
	ds_read2_b64 v[188:191], v255 offset1:1
	s_waitcnt lgkmcnt(0)
	v_cmp_neq_f64_e32 vcc, 0, v[188:189]
	v_cmp_neq_f64_e64 s[2:3], 0, v[190:191]
	s_or_b64 s[2:3], vcc, s[2:3]
	s_and_b64 exec, exec, s[2:3]
	s_cbranch_execz .LBB93_26
; %bb.21:
	v_cmp_ngt_f64_e64 s[2:3], |v[188:189]|, |v[190:191]|
                                        ; implicit-def: $vgpr192_vgpr193
	s_and_saveexec_b64 s[10:11], s[2:3]
	s_xor_b64 s[2:3], exec, s[10:11]
                                        ; implicit-def: $vgpr194_vgpr195
	s_cbranch_execz .LBB93_23
; %bb.22:
	v_div_scale_f64 v[192:193], s[10:11], v[190:191], v[190:191], v[188:189]
	v_rcp_f64_e32 v[194:195], v[192:193]
	v_div_scale_f64 v[196:197], vcc, v[188:189], v[190:191], v[188:189]
	v_fma_f64 v[198:199], -v[192:193], v[194:195], 1.0
	v_fmac_f64_e32 v[194:195], v[194:195], v[198:199]
	v_fma_f64 v[198:199], -v[192:193], v[194:195], 1.0
	v_fmac_f64_e32 v[194:195], v[194:195], v[198:199]
	v_mul_f64 v[198:199], v[196:197], v[194:195]
	v_fma_f64 v[192:193], -v[192:193], v[198:199], v[196:197]
	v_div_fmas_f64 v[192:193], v[192:193], v[194:195], v[198:199]
	v_div_fixup_f64 v[192:193], v[192:193], v[190:191], v[188:189]
	v_fmac_f64_e32 v[190:191], v[188:189], v[192:193]
	v_div_scale_f64 v[188:189], s[10:11], v[190:191], v[190:191], 1.0
	v_rcp_f64_e32 v[194:195], v[188:189]
	s_nop 0
	v_fma_f64 v[196:197], -v[188:189], v[194:195], 1.0
	v_fmac_f64_e32 v[194:195], v[194:195], v[196:197]
	v_fma_f64 v[196:197], -v[188:189], v[194:195], 1.0
	v_fmac_f64_e32 v[194:195], v[194:195], v[196:197]
	v_div_scale_f64 v[196:197], vcc, 1.0, v[190:191], 1.0
	v_mul_f64 v[198:199], v[196:197], v[194:195]
	v_fma_f64 v[188:189], -v[188:189], v[198:199], v[196:197]
	s_nop 1
	v_div_fmas_f64 v[188:189], v[188:189], v[194:195], v[198:199]
	v_div_fixup_f64 v[194:195], v[188:189], v[190:191], 1.0
	v_mul_f64 v[192:193], v[192:193], v[194:195]
	v_xor_b32_e32 v195, 0x80000000, v195
                                        ; implicit-def: $vgpr188_vgpr189
.LBB93_23:
	s_andn2_saveexec_b64 s[2:3], s[2:3]
	s_cbranch_execz .LBB93_25
; %bb.24:
	v_div_scale_f64 v[192:193], s[10:11], v[188:189], v[188:189], v[190:191]
	v_rcp_f64_e32 v[194:195], v[192:193]
	v_div_scale_f64 v[196:197], vcc, v[190:191], v[188:189], v[190:191]
	v_fma_f64 v[198:199], -v[192:193], v[194:195], 1.0
	v_fmac_f64_e32 v[194:195], v[194:195], v[198:199]
	v_fma_f64 v[198:199], -v[192:193], v[194:195], 1.0
	v_fmac_f64_e32 v[194:195], v[194:195], v[198:199]
	v_mul_f64 v[198:199], v[196:197], v[194:195]
	v_fma_f64 v[192:193], -v[192:193], v[198:199], v[196:197]
	v_div_fmas_f64 v[192:193], v[192:193], v[194:195], v[198:199]
	v_div_fixup_f64 v[194:195], v[192:193], v[188:189], v[190:191]
	v_fmac_f64_e32 v[188:189], v[190:191], v[194:195]
	v_div_scale_f64 v[190:191], s[10:11], v[188:189], v[188:189], 1.0
	v_rcp_f64_e32 v[192:193], v[190:191]
	s_nop 0
	v_fma_f64 v[196:197], -v[190:191], v[192:193], 1.0
	v_fmac_f64_e32 v[192:193], v[192:193], v[196:197]
	v_fma_f64 v[196:197], -v[190:191], v[192:193], 1.0
	v_fmac_f64_e32 v[192:193], v[192:193], v[196:197]
	v_div_scale_f64 v[196:197], vcc, 1.0, v[188:189], 1.0
	v_mul_f64 v[198:199], v[196:197], v[192:193]
	v_fma_f64 v[190:191], -v[190:191], v[198:199], v[196:197]
	s_nop 1
	v_div_fmas_f64 v[190:191], v[190:191], v[192:193], v[198:199]
	v_div_fixup_f64 v[192:193], v[190:191], v[188:189], 1.0
	v_mul_f64 v[194:195], v[194:195], -v[192:193]
.LBB93_25:
	s_or_b64 exec, exec, s[2:3]
	ds_write2_b64 v255, v[192:193], v[194:195] offset1:1
.LBB93_26:
	s_or_b64 exec, exec, s[4:5]
	s_waitcnt lgkmcnt(0)
	s_barrier
	ds_read2_b64 v[188:191], v255 offset1:1
	v_cmp_lt_u32_e32 vcc, 2, v254
	s_waitcnt lgkmcnt(0)
	scratch_store_dwordx4 off, v[188:191], off offset:368 ; 16-byte Folded Spill
	s_and_saveexec_b64 s[2:3], vcc
	s_cbranch_execz .LBB93_28
; %bb.27:
	scratch_load_dwordx4 v[190:193], off, off offset:368 ; 16-byte Folded Reload
	s_waitcnt vmcnt(0)
	v_mul_f64 v[188:189], v[192:193], v[174:175]
	v_mul_f64 v[174:175], v[190:191], v[174:175]
	v_fma_f64 v[188:189], v[190:191], v[172:173], -v[188:189]
	v_fmac_f64_e32 v[174:175], v[192:193], v[172:173]
	ds_read2_b64 v[190:193], v241 offset0:6 offset1:7
	s_waitcnt lgkmcnt(0)
	v_mul_f64 v[172:173], v[192:193], v[174:175]
	v_fma_f64 v[172:173], v[190:191], v[188:189], -v[172:173]
	v_mul_f64 v[190:191], v[190:191], v[174:175]
	v_fmac_f64_e32 v[190:191], v[192:193], v[188:189]
	v_add_f64 v[170:171], v[170:171], -v[190:191]
	ds_read2_b64 v[190:193], v241 offset0:8 offset1:9
	v_add_f64 v[168:169], v[168:169], -v[172:173]
	s_waitcnt lgkmcnt(0)
	v_mul_f64 v[172:173], v[192:193], v[174:175]
	v_fma_f64 v[172:173], v[190:191], v[188:189], -v[172:173]
	v_mul_f64 v[190:191], v[190:191], v[174:175]
	v_fmac_f64_e32 v[190:191], v[192:193], v[188:189]
	v_add_f64 v[166:167], v[166:167], -v[190:191]
	ds_read2_b64 v[190:193], v241 offset0:10 offset1:11
	v_add_f64 v[164:165], v[164:165], -v[172:173]
	s_waitcnt lgkmcnt(0)
	v_mul_f64 v[172:173], v[192:193], v[174:175]
	v_fma_f64 v[172:173], v[190:191], v[188:189], -v[172:173]
	v_mul_f64 v[190:191], v[190:191], v[174:175]
	v_fmac_f64_e32 v[190:191], v[192:193], v[188:189]
	v_add_f64 v[162:163], v[162:163], -v[190:191]
	ds_read2_b64 v[190:193], v241 offset0:12 offset1:13
	v_add_f64 v[160:161], v[160:161], -v[172:173]
	s_waitcnt lgkmcnt(0)
	v_mul_f64 v[172:173], v[192:193], v[174:175]
	v_fma_f64 v[172:173], v[190:191], v[188:189], -v[172:173]
	v_mul_f64 v[190:191], v[190:191], v[174:175]
	v_fmac_f64_e32 v[190:191], v[192:193], v[188:189]
	v_add_f64 v[158:159], v[158:159], -v[190:191]
	ds_read2_b64 v[190:193], v241 offset0:14 offset1:15
	v_add_f64 v[156:157], v[156:157], -v[172:173]
	s_waitcnt lgkmcnt(0)
	v_mul_f64 v[172:173], v[192:193], v[174:175]
	v_fma_f64 v[172:173], v[190:191], v[188:189], -v[172:173]
	v_mul_f64 v[190:191], v[190:191], v[174:175]
	v_fmac_f64_e32 v[190:191], v[192:193], v[188:189]
	v_add_f64 v[154:155], v[154:155], -v[190:191]
	ds_read2_b64 v[190:193], v241 offset0:16 offset1:17
	v_add_f64 v[152:153], v[152:153], -v[172:173]
	s_waitcnt lgkmcnt(0)
	v_mul_f64 v[172:173], v[192:193], v[174:175]
	v_fma_f64 v[172:173], v[190:191], v[188:189], -v[172:173]
	v_mul_f64 v[190:191], v[190:191], v[174:175]
	v_fmac_f64_e32 v[190:191], v[192:193], v[188:189]
	v_add_f64 v[150:151], v[150:151], -v[190:191]
	ds_read2_b64 v[190:193], v241 offset0:18 offset1:19
	v_add_f64 v[148:149], v[148:149], -v[172:173]
	s_waitcnt lgkmcnt(0)
	v_mul_f64 v[172:173], v[192:193], v[174:175]
	v_fma_f64 v[172:173], v[190:191], v[188:189], -v[172:173]
	v_mul_f64 v[190:191], v[190:191], v[174:175]
	v_fmac_f64_e32 v[190:191], v[192:193], v[188:189]
	v_add_f64 v[146:147], v[146:147], -v[190:191]
	ds_read2_b64 v[190:193], v241 offset0:20 offset1:21
	v_add_f64 v[144:145], v[144:145], -v[172:173]
	s_waitcnt lgkmcnt(0)
	v_mul_f64 v[172:173], v[192:193], v[174:175]
	v_fma_f64 v[172:173], v[190:191], v[188:189], -v[172:173]
	v_mul_f64 v[190:191], v[190:191], v[174:175]
	v_fmac_f64_e32 v[190:191], v[192:193], v[188:189]
	v_add_f64 v[142:143], v[142:143], -v[190:191]
	ds_read2_b64 v[190:193], v241 offset0:22 offset1:23
	v_add_f64 v[140:141], v[140:141], -v[172:173]
	s_waitcnt lgkmcnt(0)
	v_mul_f64 v[172:173], v[192:193], v[174:175]
	v_fma_f64 v[172:173], v[190:191], v[188:189], -v[172:173]
	v_mul_f64 v[190:191], v[190:191], v[174:175]
	v_fmac_f64_e32 v[190:191], v[192:193], v[188:189]
	v_add_f64 v[138:139], v[138:139], -v[190:191]
	ds_read2_b64 v[190:193], v241 offset0:24 offset1:25
	v_add_f64 v[136:137], v[136:137], -v[172:173]
	s_waitcnt lgkmcnt(0)
	v_mul_f64 v[172:173], v[192:193], v[174:175]
	v_fma_f64 v[172:173], v[190:191], v[188:189], -v[172:173]
	v_mul_f64 v[190:191], v[190:191], v[174:175]
	v_fmac_f64_e32 v[190:191], v[192:193], v[188:189]
	v_add_f64 v[134:135], v[134:135], -v[190:191]
	ds_read2_b64 v[190:193], v241 offset0:26 offset1:27
	v_add_f64 v[132:133], v[132:133], -v[172:173]
	s_waitcnt lgkmcnt(0)
	v_mul_f64 v[172:173], v[192:193], v[174:175]
	v_fma_f64 v[172:173], v[190:191], v[188:189], -v[172:173]
	v_mul_f64 v[190:191], v[190:191], v[174:175]
	v_fmac_f64_e32 v[190:191], v[192:193], v[188:189]
	v_add_f64 v[130:131], v[130:131], -v[190:191]
	ds_read2_b64 v[190:193], v241 offset0:28 offset1:29
	v_add_f64 v[128:129], v[128:129], -v[172:173]
	s_waitcnt lgkmcnt(0)
	v_mul_f64 v[172:173], v[192:193], v[174:175]
	v_fma_f64 v[172:173], v[190:191], v[188:189], -v[172:173]
	v_mul_f64 v[190:191], v[190:191], v[174:175]
	v_fmac_f64_e32 v[190:191], v[192:193], v[188:189]
	v_add_f64 v[126:127], v[126:127], -v[190:191]
	ds_read2_b64 v[190:193], v241 offset0:30 offset1:31
	v_add_f64 v[124:125], v[124:125], -v[172:173]
	s_waitcnt lgkmcnt(0)
	v_mul_f64 v[172:173], v[192:193], v[174:175]
	v_fma_f64 v[172:173], v[190:191], v[188:189], -v[172:173]
	v_mul_f64 v[190:191], v[190:191], v[174:175]
	v_fmac_f64_e32 v[190:191], v[192:193], v[188:189]
	v_add_f64 v[122:123], v[122:123], -v[190:191]
	ds_read2_b64 v[190:193], v241 offset0:32 offset1:33
	v_add_f64 v[120:121], v[120:121], -v[172:173]
	s_waitcnt lgkmcnt(0)
	v_mul_f64 v[172:173], v[192:193], v[174:175]
	v_fma_f64 v[172:173], v[190:191], v[188:189], -v[172:173]
	v_mul_f64 v[190:191], v[190:191], v[174:175]
	v_fmac_f64_e32 v[190:191], v[192:193], v[188:189]
	v_add_f64 v[118:119], v[118:119], -v[190:191]
	ds_read2_b64 v[190:193], v241 offset0:34 offset1:35
	v_add_f64 v[116:117], v[116:117], -v[172:173]
	s_waitcnt lgkmcnt(0)
	v_mul_f64 v[172:173], v[192:193], v[174:175]
	v_fma_f64 v[172:173], v[190:191], v[188:189], -v[172:173]
	v_mul_f64 v[190:191], v[190:191], v[174:175]
	v_fmac_f64_e32 v[190:191], v[192:193], v[188:189]
	v_add_f64 v[114:115], v[114:115], -v[190:191]
	ds_read2_b64 v[190:193], v241 offset0:36 offset1:37
	v_add_f64 v[112:113], v[112:113], -v[172:173]
	s_waitcnt lgkmcnt(0)
	v_mul_f64 v[172:173], v[192:193], v[174:175]
	v_fma_f64 v[172:173], v[190:191], v[188:189], -v[172:173]
	v_mul_f64 v[190:191], v[190:191], v[174:175]
	v_fmac_f64_e32 v[190:191], v[192:193], v[188:189]
	v_add_f64 v[110:111], v[110:111], -v[190:191]
	ds_read2_b64 v[190:193], v241 offset0:38 offset1:39
	v_add_f64 v[108:109], v[108:109], -v[172:173]
	s_waitcnt lgkmcnt(0)
	v_mul_f64 v[172:173], v[192:193], v[174:175]
	v_fma_f64 v[172:173], v[190:191], v[188:189], -v[172:173]
	v_mul_f64 v[190:191], v[190:191], v[174:175]
	v_fmac_f64_e32 v[190:191], v[192:193], v[188:189]
	v_add_f64 v[106:107], v[106:107], -v[190:191]
	ds_read2_b64 v[190:193], v241 offset0:40 offset1:41
	v_add_f64 v[104:105], v[104:105], -v[172:173]
	s_waitcnt lgkmcnt(0)
	v_mul_f64 v[172:173], v[192:193], v[174:175]
	v_fma_f64 v[172:173], v[190:191], v[188:189], -v[172:173]
	v_mul_f64 v[190:191], v[190:191], v[174:175]
	v_fmac_f64_e32 v[190:191], v[192:193], v[188:189]
	v_add_f64 v[102:103], v[102:103], -v[190:191]
	ds_read2_b64 v[190:193], v241 offset0:42 offset1:43
	v_add_f64 v[100:101], v[100:101], -v[172:173]
	s_waitcnt lgkmcnt(0)
	v_mul_f64 v[172:173], v[192:193], v[174:175]
	v_fma_f64 v[172:173], v[190:191], v[188:189], -v[172:173]
	v_mul_f64 v[190:191], v[190:191], v[174:175]
	v_fmac_f64_e32 v[190:191], v[192:193], v[188:189]
	v_add_f64 v[98:99], v[98:99], -v[190:191]
	ds_read2_b64 v[190:193], v241 offset0:44 offset1:45
	v_add_f64 v[96:97], v[96:97], -v[172:173]
	s_waitcnt lgkmcnt(0)
	v_mul_f64 v[172:173], v[192:193], v[174:175]
	v_fma_f64 v[172:173], v[190:191], v[188:189], -v[172:173]
	v_mul_f64 v[190:191], v[190:191], v[174:175]
	v_fmac_f64_e32 v[190:191], v[192:193], v[188:189]
	v_add_f64 v[94:95], v[94:95], -v[190:191]
	ds_read2_b64 v[190:193], v241 offset0:46 offset1:47
	v_add_f64 v[92:93], v[92:93], -v[172:173]
	s_waitcnt lgkmcnt(0)
	v_mul_f64 v[172:173], v[192:193], v[174:175]
	v_fma_f64 v[172:173], v[190:191], v[188:189], -v[172:173]
	v_mul_f64 v[190:191], v[190:191], v[174:175]
	v_fmac_f64_e32 v[190:191], v[192:193], v[188:189]
	v_add_f64 v[90:91], v[90:91], -v[190:191]
	ds_read2_b64 v[190:193], v241 offset0:48 offset1:49
	v_add_f64 v[88:89], v[88:89], -v[172:173]
	s_waitcnt lgkmcnt(0)
	v_mul_f64 v[172:173], v[192:193], v[174:175]
	v_fma_f64 v[172:173], v[190:191], v[188:189], -v[172:173]
	v_mul_f64 v[190:191], v[190:191], v[174:175]
	v_fmac_f64_e32 v[190:191], v[192:193], v[188:189]
	v_add_f64 v[86:87], v[86:87], -v[190:191]
	ds_read2_b64 v[190:193], v241 offset0:50 offset1:51
	v_add_f64 v[84:85], v[84:85], -v[172:173]
	s_waitcnt lgkmcnt(0)
	v_mul_f64 v[172:173], v[192:193], v[174:175]
	v_fma_f64 v[172:173], v[190:191], v[188:189], -v[172:173]
	v_mul_f64 v[190:191], v[190:191], v[174:175]
	v_fmac_f64_e32 v[190:191], v[192:193], v[188:189]
	v_add_f64 v[82:83], v[82:83], -v[190:191]
	ds_read2_b64 v[190:193], v241 offset0:52 offset1:53
	v_add_f64 v[80:81], v[80:81], -v[172:173]
	s_waitcnt lgkmcnt(0)
	v_mul_f64 v[172:173], v[192:193], v[174:175]
	v_fma_f64 v[172:173], v[190:191], v[188:189], -v[172:173]
	v_mul_f64 v[190:191], v[190:191], v[174:175]
	v_fmac_f64_e32 v[190:191], v[192:193], v[188:189]
	v_add_f64 v[78:79], v[78:79], -v[190:191]
	ds_read2_b64 v[190:193], v241 offset0:54 offset1:55
	v_add_f64 v[76:77], v[76:77], -v[172:173]
	s_waitcnt lgkmcnt(0)
	v_mul_f64 v[172:173], v[192:193], v[174:175]
	v_fma_f64 v[172:173], v[190:191], v[188:189], -v[172:173]
	v_mul_f64 v[190:191], v[190:191], v[174:175]
	v_fmac_f64_e32 v[190:191], v[192:193], v[188:189]
	v_add_f64 v[74:75], v[74:75], -v[190:191]
	ds_read2_b64 v[190:193], v241 offset0:56 offset1:57
	v_add_f64 v[72:73], v[72:73], -v[172:173]
	s_waitcnt lgkmcnt(0)
	v_mul_f64 v[172:173], v[192:193], v[174:175]
	v_fma_f64 v[172:173], v[190:191], v[188:189], -v[172:173]
	v_mul_f64 v[190:191], v[190:191], v[174:175]
	v_fmac_f64_e32 v[190:191], v[192:193], v[188:189]
	v_add_f64 v[70:71], v[70:71], -v[190:191]
	ds_read2_b64 v[190:193], v241 offset0:58 offset1:59
	v_add_f64 v[68:69], v[68:69], -v[172:173]
	s_waitcnt lgkmcnt(0)
	v_mul_f64 v[172:173], v[192:193], v[174:175]
	v_fma_f64 v[172:173], v[190:191], v[188:189], -v[172:173]
	v_mul_f64 v[190:191], v[190:191], v[174:175]
	v_fmac_f64_e32 v[190:191], v[192:193], v[188:189]
	v_add_f64 v[66:67], v[66:67], -v[190:191]
	ds_read2_b64 v[190:193], v241 offset0:60 offset1:61
	v_add_f64 v[64:65], v[64:65], -v[172:173]
	s_waitcnt lgkmcnt(0)
	v_mul_f64 v[172:173], v[192:193], v[174:175]
	v_fma_f64 v[172:173], v[190:191], v[188:189], -v[172:173]
	v_mul_f64 v[190:191], v[190:191], v[174:175]
	v_fmac_f64_e32 v[190:191], v[192:193], v[188:189]
	v_add_f64 v[62:63], v[62:63], -v[190:191]
	ds_read2_b64 v[190:193], v241 offset0:62 offset1:63
	v_add_f64 v[60:61], v[60:61], -v[172:173]
	s_waitcnt lgkmcnt(0)
	v_mul_f64 v[172:173], v[192:193], v[174:175]
	v_fma_f64 v[172:173], v[190:191], v[188:189], -v[172:173]
	v_mul_f64 v[190:191], v[190:191], v[174:175]
	v_fmac_f64_e32 v[190:191], v[192:193], v[188:189]
	v_add_f64 v[58:59], v[58:59], -v[190:191]
	ds_read2_b64 v[190:193], v241 offset0:64 offset1:65
	v_add_f64 v[56:57], v[56:57], -v[172:173]
	s_waitcnt lgkmcnt(0)
	v_mul_f64 v[172:173], v[192:193], v[174:175]
	v_fma_f64 v[172:173], v[190:191], v[188:189], -v[172:173]
	v_mul_f64 v[190:191], v[190:191], v[174:175]
	v_fmac_f64_e32 v[190:191], v[192:193], v[188:189]
	v_add_f64 v[54:55], v[54:55], -v[190:191]
	ds_read2_b64 v[190:193], v241 offset0:66 offset1:67
	v_add_f64 v[52:53], v[52:53], -v[172:173]
	s_waitcnt lgkmcnt(0)
	v_mul_f64 v[172:173], v[192:193], v[174:175]
	v_fma_f64 v[172:173], v[190:191], v[188:189], -v[172:173]
	v_mul_f64 v[190:191], v[190:191], v[174:175]
	v_fmac_f64_e32 v[190:191], v[192:193], v[188:189]
	v_add_f64 v[50:51], v[50:51], -v[190:191]
	ds_read2_b64 v[190:193], v241 offset0:68 offset1:69
	v_add_f64 v[48:49], v[48:49], -v[172:173]
	s_waitcnt lgkmcnt(0)
	v_mul_f64 v[172:173], v[192:193], v[174:175]
	v_fma_f64 v[172:173], v[190:191], v[188:189], -v[172:173]
	v_mul_f64 v[190:191], v[190:191], v[174:175]
	v_fmac_f64_e32 v[190:191], v[192:193], v[188:189]
	v_add_f64 v[46:47], v[46:47], -v[190:191]
	ds_read2_b64 v[190:193], v241 offset0:70 offset1:71
	v_add_f64 v[44:45], v[44:45], -v[172:173]
	s_waitcnt lgkmcnt(0)
	v_mul_f64 v[172:173], v[192:193], v[174:175]
	v_fma_f64 v[172:173], v[190:191], v[188:189], -v[172:173]
	v_mul_f64 v[190:191], v[190:191], v[174:175]
	v_fmac_f64_e32 v[190:191], v[192:193], v[188:189]
	v_add_f64 v[42:43], v[42:43], -v[190:191]
	ds_read2_b64 v[190:193], v241 offset0:72 offset1:73
	v_add_f64 v[40:41], v[40:41], -v[172:173]
	s_waitcnt lgkmcnt(0)
	v_mul_f64 v[172:173], v[192:193], v[174:175]
	v_fma_f64 v[172:173], v[190:191], v[188:189], -v[172:173]
	v_mul_f64 v[190:191], v[190:191], v[174:175]
	v_fmac_f64_e32 v[190:191], v[192:193], v[188:189]
	v_add_f64 v[38:39], v[38:39], -v[190:191]
	ds_read2_b64 v[190:193], v241 offset0:74 offset1:75
	v_add_f64 v[36:37], v[36:37], -v[172:173]
	s_waitcnt lgkmcnt(0)
	v_mul_f64 v[172:173], v[192:193], v[174:175]
	v_fma_f64 v[172:173], v[190:191], v[188:189], -v[172:173]
	v_mul_f64 v[190:191], v[190:191], v[174:175]
	v_fmac_f64_e32 v[190:191], v[192:193], v[188:189]
	v_add_f64 v[34:35], v[34:35], -v[190:191]
	ds_read2_b64 v[190:193], v241 offset0:76 offset1:77
	v_add_f64 v[32:33], v[32:33], -v[172:173]
	s_waitcnt lgkmcnt(0)
	v_mul_f64 v[172:173], v[192:193], v[174:175]
	v_fma_f64 v[172:173], v[190:191], v[188:189], -v[172:173]
	v_mul_f64 v[190:191], v[190:191], v[174:175]
	v_fmac_f64_e32 v[190:191], v[192:193], v[188:189]
	v_add_f64 v[30:31], v[30:31], -v[190:191]
	ds_read2_b64 v[190:193], v241 offset0:78 offset1:79
	v_add_f64 v[28:29], v[28:29], -v[172:173]
	s_waitcnt lgkmcnt(0)
	v_mul_f64 v[172:173], v[192:193], v[174:175]
	v_fma_f64 v[172:173], v[190:191], v[188:189], -v[172:173]
	v_mul_f64 v[190:191], v[190:191], v[174:175]
	v_fmac_f64_e32 v[190:191], v[192:193], v[188:189]
	v_add_f64 v[26:27], v[26:27], -v[190:191]
	ds_read2_b64 v[190:193], v241 offset0:80 offset1:81
	v_add_f64 v[24:25], v[24:25], -v[172:173]
	s_waitcnt lgkmcnt(0)
	v_mul_f64 v[172:173], v[192:193], v[174:175]
	v_fma_f64 v[172:173], v[190:191], v[188:189], -v[172:173]
	v_mul_f64 v[190:191], v[190:191], v[174:175]
	v_fmac_f64_e32 v[190:191], v[192:193], v[188:189]
	v_add_f64 v[22:23], v[22:23], -v[190:191]
	ds_read2_b64 v[190:193], v241 offset0:82 offset1:83
	v_add_f64 v[20:21], v[20:21], -v[172:173]
	s_waitcnt lgkmcnt(0)
	v_mul_f64 v[172:173], v[192:193], v[174:175]
	v_fma_f64 v[172:173], v[190:191], v[188:189], -v[172:173]
	v_mul_f64 v[190:191], v[190:191], v[174:175]
	v_fmac_f64_e32 v[190:191], v[192:193], v[188:189]
	v_add_f64 v[18:19], v[18:19], -v[190:191]
	ds_read2_b64 v[190:193], v241 offset0:84 offset1:85
	v_add_f64 v[16:17], v[16:17], -v[172:173]
	s_waitcnt lgkmcnt(0)
	v_mul_f64 v[172:173], v[192:193], v[174:175]
	v_fma_f64 v[172:173], v[190:191], v[188:189], -v[172:173]
	v_mul_f64 v[190:191], v[190:191], v[174:175]
	v_fmac_f64_e32 v[190:191], v[192:193], v[188:189]
	v_add_f64 v[14:15], v[14:15], -v[190:191]
	ds_read2_b64 v[190:193], v241 offset0:86 offset1:87
	v_add_f64 v[12:13], v[12:13], -v[172:173]
	s_waitcnt lgkmcnt(0)
	v_mul_f64 v[172:173], v[192:193], v[174:175]
	v_fma_f64 v[172:173], v[190:191], v[188:189], -v[172:173]
	v_mul_f64 v[190:191], v[190:191], v[174:175]
	v_fmac_f64_e32 v[190:191], v[192:193], v[188:189]
	v_add_f64 v[10:11], v[10:11], -v[190:191]
	ds_read2_b64 v[190:193], v241 offset0:88 offset1:89
	v_add_f64 v[8:9], v[8:9], -v[172:173]
	s_waitcnt lgkmcnt(0)
	v_mul_f64 v[172:173], v[192:193], v[174:175]
	v_fma_f64 v[172:173], v[190:191], v[188:189], -v[172:173]
	v_mul_f64 v[190:191], v[190:191], v[174:175]
	v_fmac_f64_e32 v[190:191], v[192:193], v[188:189]
	v_add_f64 v[6:7], v[6:7], -v[190:191]
	ds_read2_b64 v[190:193], v241 offset0:90 offset1:91
	v_add_f64 v[4:5], v[4:5], -v[172:173]
	s_waitcnt lgkmcnt(0)
	v_mul_f64 v[172:173], v[192:193], v[174:175]
	v_fma_f64 v[172:173], v[190:191], v[188:189], -v[172:173]
	v_mul_f64 v[190:191], v[190:191], v[174:175]
	v_fmac_f64_e32 v[190:191], v[192:193], v[188:189]
	v_add_f64 v[2:3], v[2:3], -v[190:191]
	ds_read2_b64 v[190:193], v241 offset0:92 offset1:93
	v_add_f64 v[0:1], v[0:1], -v[172:173]
	s_waitcnt lgkmcnt(0)
	v_mul_f64 v[172:173], v[192:193], v[174:175]
	v_fma_f64 v[172:173], v[190:191], v[188:189], -v[172:173]
	v_mul_f64 v[190:191], v[190:191], v[174:175]
	v_fmac_f64_e32 v[190:191], v[192:193], v[188:189]
	v_add_f64 v[184:185], v[184:185], -v[172:173]
	v_add_f64 v[186:187], v[186:187], -v[190:191]
	v_mov_b64_e32 v[172:173], v[188:189]
.LBB93_28:
	s_or_b64 exec, exec, s[2:3]
	v_cmp_eq_u32_e32 vcc, 3, v254
	s_waitcnt vmcnt(63) expcnt(7) lgkmcnt(15)
	s_barrier
	s_and_saveexec_b64 s[4:5], vcc
	s_cbranch_execz .LBB93_35
; %bb.29:
	ds_write2_b64 v255, v[168:169], v[170:171] offset1:1
	ds_write2_b64 v241, v[164:165], v[166:167] offset0:8 offset1:9
	ds_write2_b64 v241, v[160:161], v[162:163] offset0:10 offset1:11
	;; [unrolled: 1-line block ×24, first 2 shown]
	s_waitcnt vmcnt(62)
	ds_write2_b64 v241, v[68:69], v[70:71] offset0:56 offset1:57
	s_waitcnt vmcnt(61)
	ds_write2_b64 v241, v[64:65], v[66:67] offset0:58 offset1:59
	;; [unrolled: 2-line block ×17, first 2 shown]
	ds_write2_b64 v241, v[0:1], v[2:3] offset0:90 offset1:91
	s_waitcnt vmcnt(16)
	ds_write2_b64 v241, v[184:185], v[186:187] offset0:92 offset1:93
	ds_read2_b64 v[188:191], v255 offset1:1
	s_waitcnt lgkmcnt(0)
	v_cmp_neq_f64_e32 vcc, 0, v[188:189]
	v_cmp_neq_f64_e64 s[2:3], 0, v[190:191]
	s_or_b64 s[2:3], vcc, s[2:3]
	s_and_b64 exec, exec, s[2:3]
	s_cbranch_execz .LBB93_35
; %bb.30:
	v_cmp_ngt_f64_e64 s[2:3], |v[188:189]|, |v[190:191]|
                                        ; implicit-def: $vgpr192_vgpr193
	s_and_saveexec_b64 s[10:11], s[2:3]
	s_xor_b64 s[2:3], exec, s[10:11]
                                        ; implicit-def: $vgpr194_vgpr195
	s_cbranch_execz .LBB93_32
; %bb.31:
	v_div_scale_f64 v[192:193], s[10:11], v[190:191], v[190:191], v[188:189]
	v_rcp_f64_e32 v[194:195], v[192:193]
	v_div_scale_f64 v[196:197], vcc, v[188:189], v[190:191], v[188:189]
	v_fma_f64 v[198:199], -v[192:193], v[194:195], 1.0
	v_fmac_f64_e32 v[194:195], v[194:195], v[198:199]
	v_fma_f64 v[198:199], -v[192:193], v[194:195], 1.0
	v_fmac_f64_e32 v[194:195], v[194:195], v[198:199]
	v_mul_f64 v[198:199], v[196:197], v[194:195]
	v_fma_f64 v[192:193], -v[192:193], v[198:199], v[196:197]
	v_div_fmas_f64 v[192:193], v[192:193], v[194:195], v[198:199]
	v_div_fixup_f64 v[192:193], v[192:193], v[190:191], v[188:189]
	v_fmac_f64_e32 v[190:191], v[188:189], v[192:193]
	v_div_scale_f64 v[188:189], s[10:11], v[190:191], v[190:191], 1.0
	v_rcp_f64_e32 v[194:195], v[188:189]
	s_nop 0
	v_fma_f64 v[196:197], -v[188:189], v[194:195], 1.0
	v_fmac_f64_e32 v[194:195], v[194:195], v[196:197]
	v_fma_f64 v[196:197], -v[188:189], v[194:195], 1.0
	v_fmac_f64_e32 v[194:195], v[194:195], v[196:197]
	v_div_scale_f64 v[196:197], vcc, 1.0, v[190:191], 1.0
	v_mul_f64 v[198:199], v[196:197], v[194:195]
	v_fma_f64 v[188:189], -v[188:189], v[198:199], v[196:197]
	s_nop 1
	v_div_fmas_f64 v[188:189], v[188:189], v[194:195], v[198:199]
	v_div_fixup_f64 v[194:195], v[188:189], v[190:191], 1.0
	v_mul_f64 v[192:193], v[192:193], v[194:195]
	v_xor_b32_e32 v195, 0x80000000, v195
                                        ; implicit-def: $vgpr188_vgpr189
.LBB93_32:
	s_andn2_saveexec_b64 s[2:3], s[2:3]
	s_cbranch_execz .LBB93_34
; %bb.33:
	v_div_scale_f64 v[192:193], s[10:11], v[188:189], v[188:189], v[190:191]
	v_rcp_f64_e32 v[194:195], v[192:193]
	v_div_scale_f64 v[196:197], vcc, v[190:191], v[188:189], v[190:191]
	v_fma_f64 v[198:199], -v[192:193], v[194:195], 1.0
	v_fmac_f64_e32 v[194:195], v[194:195], v[198:199]
	v_fma_f64 v[198:199], -v[192:193], v[194:195], 1.0
	v_fmac_f64_e32 v[194:195], v[194:195], v[198:199]
	v_mul_f64 v[198:199], v[196:197], v[194:195]
	v_fma_f64 v[192:193], -v[192:193], v[198:199], v[196:197]
	v_div_fmas_f64 v[192:193], v[192:193], v[194:195], v[198:199]
	v_div_fixup_f64 v[194:195], v[192:193], v[188:189], v[190:191]
	v_fmac_f64_e32 v[188:189], v[190:191], v[194:195]
	v_div_scale_f64 v[190:191], s[10:11], v[188:189], v[188:189], 1.0
	v_rcp_f64_e32 v[192:193], v[190:191]
	s_nop 0
	v_fma_f64 v[196:197], -v[190:191], v[192:193], 1.0
	v_fmac_f64_e32 v[192:193], v[192:193], v[196:197]
	v_fma_f64 v[196:197], -v[190:191], v[192:193], 1.0
	v_fmac_f64_e32 v[192:193], v[192:193], v[196:197]
	v_div_scale_f64 v[196:197], vcc, 1.0, v[188:189], 1.0
	v_mul_f64 v[198:199], v[196:197], v[192:193]
	v_fma_f64 v[190:191], -v[190:191], v[198:199], v[196:197]
	s_nop 1
	v_div_fmas_f64 v[190:191], v[190:191], v[192:193], v[198:199]
	v_div_fixup_f64 v[192:193], v[190:191], v[188:189], 1.0
	v_mul_f64 v[194:195], v[194:195], -v[192:193]
.LBB93_34:
	s_or_b64 exec, exec, s[2:3]
	ds_write2_b64 v255, v[192:193], v[194:195] offset1:1
.LBB93_35:
	s_or_b64 exec, exec, s[4:5]
	s_waitcnt lgkmcnt(0)
	s_barrier
	ds_read2_b64 v[188:191], v255 offset1:1
	v_cmp_lt_u32_e32 vcc, 3, v254
	s_waitcnt lgkmcnt(0)
	scratch_store_dwordx4 off, v[188:191], off offset:384 ; 16-byte Folded Spill
	s_and_saveexec_b64 s[2:3], vcc
	s_cbranch_execz .LBB93_37
; %bb.36:
	scratch_load_dwordx4 v[190:193], off, off offset:384 ; 16-byte Folded Reload
	s_waitcnt vmcnt(0)
	v_mul_f64 v[188:189], v[192:193], v[170:171]
	v_mul_f64 v[170:171], v[190:191], v[170:171]
	v_fma_f64 v[188:189], v[190:191], v[168:169], -v[188:189]
	v_fmac_f64_e32 v[170:171], v[192:193], v[168:169]
	ds_read2_b64 v[190:193], v241 offset0:8 offset1:9
	s_waitcnt lgkmcnt(0)
	v_mul_f64 v[168:169], v[192:193], v[170:171]
	v_fma_f64 v[168:169], v[190:191], v[188:189], -v[168:169]
	v_mul_f64 v[190:191], v[190:191], v[170:171]
	v_fmac_f64_e32 v[190:191], v[192:193], v[188:189]
	v_add_f64 v[166:167], v[166:167], -v[190:191]
	ds_read2_b64 v[190:193], v241 offset0:10 offset1:11
	v_add_f64 v[164:165], v[164:165], -v[168:169]
	s_waitcnt lgkmcnt(0)
	v_mul_f64 v[168:169], v[192:193], v[170:171]
	v_fma_f64 v[168:169], v[190:191], v[188:189], -v[168:169]
	v_mul_f64 v[190:191], v[190:191], v[170:171]
	v_fmac_f64_e32 v[190:191], v[192:193], v[188:189]
	v_add_f64 v[162:163], v[162:163], -v[190:191]
	ds_read2_b64 v[190:193], v241 offset0:12 offset1:13
	v_add_f64 v[160:161], v[160:161], -v[168:169]
	;; [unrolled: 8-line block ×42, first 2 shown]
	s_waitcnt lgkmcnt(0)
	v_mul_f64 v[168:169], v[192:193], v[170:171]
	v_fma_f64 v[168:169], v[190:191], v[188:189], -v[168:169]
	v_mul_f64 v[190:191], v[190:191], v[170:171]
	v_fmac_f64_e32 v[190:191], v[192:193], v[188:189]
	v_add_f64 v[184:185], v[184:185], -v[168:169]
	v_add_f64 v[186:187], v[186:187], -v[190:191]
	v_mov_b64_e32 v[168:169], v[188:189]
.LBB93_37:
	s_or_b64 exec, exec, s[2:3]
	v_cmp_eq_u32_e32 vcc, 4, v254
	s_waitcnt vmcnt(63) expcnt(7) lgkmcnt(15)
	s_barrier
	s_and_saveexec_b64 s[4:5], vcc
	s_cbranch_execz .LBB93_44
; %bb.38:
	ds_write2_b64 v255, v[164:165], v[166:167] offset1:1
	ds_write2_b64 v241, v[160:161], v[162:163] offset0:10 offset1:11
	ds_write2_b64 v241, v[156:157], v[158:159] offset0:12 offset1:13
	;; [unrolled: 1-line block ×24, first 2 shown]
	s_waitcnt vmcnt(62)
	ds_write2_b64 v241, v[64:65], v[66:67] offset0:58 offset1:59
	s_waitcnt vmcnt(61)
	ds_write2_b64 v241, v[60:61], v[62:63] offset0:60 offset1:61
	;; [unrolled: 2-line block ×16, first 2 shown]
	ds_write2_b64 v241, v[0:1], v[2:3] offset0:90 offset1:91
	s_waitcnt vmcnt(17)
	ds_write2_b64 v241, v[184:185], v[186:187] offset0:92 offset1:93
	ds_read2_b64 v[188:191], v255 offset1:1
	s_waitcnt lgkmcnt(0)
	v_cmp_neq_f64_e32 vcc, 0, v[188:189]
	v_cmp_neq_f64_e64 s[2:3], 0, v[190:191]
	s_or_b64 s[2:3], vcc, s[2:3]
	s_and_b64 exec, exec, s[2:3]
	s_cbranch_execz .LBB93_44
; %bb.39:
	v_cmp_ngt_f64_e64 s[2:3], |v[188:189]|, |v[190:191]|
                                        ; implicit-def: $vgpr192_vgpr193
	s_and_saveexec_b64 s[10:11], s[2:3]
	s_xor_b64 s[2:3], exec, s[10:11]
                                        ; implicit-def: $vgpr194_vgpr195
	s_cbranch_execz .LBB93_41
; %bb.40:
	v_div_scale_f64 v[192:193], s[10:11], v[190:191], v[190:191], v[188:189]
	v_rcp_f64_e32 v[194:195], v[192:193]
	v_div_scale_f64 v[196:197], vcc, v[188:189], v[190:191], v[188:189]
	v_fma_f64 v[198:199], -v[192:193], v[194:195], 1.0
	v_fmac_f64_e32 v[194:195], v[194:195], v[198:199]
	v_fma_f64 v[198:199], -v[192:193], v[194:195], 1.0
	v_fmac_f64_e32 v[194:195], v[194:195], v[198:199]
	v_mul_f64 v[198:199], v[196:197], v[194:195]
	v_fma_f64 v[192:193], -v[192:193], v[198:199], v[196:197]
	v_div_fmas_f64 v[192:193], v[192:193], v[194:195], v[198:199]
	v_div_fixup_f64 v[192:193], v[192:193], v[190:191], v[188:189]
	v_fmac_f64_e32 v[190:191], v[188:189], v[192:193]
	v_div_scale_f64 v[188:189], s[10:11], v[190:191], v[190:191], 1.0
	v_rcp_f64_e32 v[194:195], v[188:189]
	s_nop 0
	v_fma_f64 v[196:197], -v[188:189], v[194:195], 1.0
	v_fmac_f64_e32 v[194:195], v[194:195], v[196:197]
	v_fma_f64 v[196:197], -v[188:189], v[194:195], 1.0
	v_fmac_f64_e32 v[194:195], v[194:195], v[196:197]
	v_div_scale_f64 v[196:197], vcc, 1.0, v[190:191], 1.0
	v_mul_f64 v[198:199], v[196:197], v[194:195]
	v_fma_f64 v[188:189], -v[188:189], v[198:199], v[196:197]
	s_nop 1
	v_div_fmas_f64 v[188:189], v[188:189], v[194:195], v[198:199]
	v_div_fixup_f64 v[194:195], v[188:189], v[190:191], 1.0
	v_mul_f64 v[192:193], v[192:193], v[194:195]
	v_xor_b32_e32 v195, 0x80000000, v195
                                        ; implicit-def: $vgpr188_vgpr189
.LBB93_41:
	s_andn2_saveexec_b64 s[2:3], s[2:3]
	s_cbranch_execz .LBB93_43
; %bb.42:
	v_div_scale_f64 v[192:193], s[10:11], v[188:189], v[188:189], v[190:191]
	v_rcp_f64_e32 v[194:195], v[192:193]
	v_div_scale_f64 v[196:197], vcc, v[190:191], v[188:189], v[190:191]
	v_fma_f64 v[198:199], -v[192:193], v[194:195], 1.0
	v_fmac_f64_e32 v[194:195], v[194:195], v[198:199]
	v_fma_f64 v[198:199], -v[192:193], v[194:195], 1.0
	v_fmac_f64_e32 v[194:195], v[194:195], v[198:199]
	v_mul_f64 v[198:199], v[196:197], v[194:195]
	v_fma_f64 v[192:193], -v[192:193], v[198:199], v[196:197]
	v_div_fmas_f64 v[192:193], v[192:193], v[194:195], v[198:199]
	v_div_fixup_f64 v[194:195], v[192:193], v[188:189], v[190:191]
	v_fmac_f64_e32 v[188:189], v[190:191], v[194:195]
	v_div_scale_f64 v[190:191], s[10:11], v[188:189], v[188:189], 1.0
	v_rcp_f64_e32 v[192:193], v[190:191]
	s_nop 0
	v_fma_f64 v[196:197], -v[190:191], v[192:193], 1.0
	v_fmac_f64_e32 v[192:193], v[192:193], v[196:197]
	v_fma_f64 v[196:197], -v[190:191], v[192:193], 1.0
	v_fmac_f64_e32 v[192:193], v[192:193], v[196:197]
	v_div_scale_f64 v[196:197], vcc, 1.0, v[188:189], 1.0
	v_mul_f64 v[198:199], v[196:197], v[192:193]
	v_fma_f64 v[190:191], -v[190:191], v[198:199], v[196:197]
	s_nop 1
	v_div_fmas_f64 v[190:191], v[190:191], v[192:193], v[198:199]
	v_div_fixup_f64 v[192:193], v[190:191], v[188:189], 1.0
	v_mul_f64 v[194:195], v[194:195], -v[192:193]
.LBB93_43:
	s_or_b64 exec, exec, s[2:3]
	ds_write2_b64 v255, v[192:193], v[194:195] offset1:1
.LBB93_44:
	s_or_b64 exec, exec, s[4:5]
	s_waitcnt lgkmcnt(0)
	s_barrier
	ds_read2_b64 v[188:191], v255 offset1:1
	v_cmp_lt_u32_e32 vcc, 4, v254
	s_waitcnt lgkmcnt(0)
	scratch_store_dwordx4 off, v[188:191], off offset:400 ; 16-byte Folded Spill
	s_and_saveexec_b64 s[2:3], vcc
	s_cbranch_execz .LBB93_46
; %bb.45:
	scratch_load_dwordx4 v[190:193], off, off offset:400 ; 16-byte Folded Reload
	s_waitcnt vmcnt(0)
	v_mul_f64 v[188:189], v[192:193], v[166:167]
	v_mul_f64 v[166:167], v[190:191], v[166:167]
	v_fma_f64 v[188:189], v[190:191], v[164:165], -v[188:189]
	v_fmac_f64_e32 v[166:167], v[192:193], v[164:165]
	ds_read2_b64 v[190:193], v241 offset0:10 offset1:11
	s_waitcnt lgkmcnt(0)
	v_mul_f64 v[164:165], v[192:193], v[166:167]
	v_fma_f64 v[164:165], v[190:191], v[188:189], -v[164:165]
	v_mul_f64 v[190:191], v[190:191], v[166:167]
	v_fmac_f64_e32 v[190:191], v[192:193], v[188:189]
	v_add_f64 v[162:163], v[162:163], -v[190:191]
	ds_read2_b64 v[190:193], v241 offset0:12 offset1:13
	v_add_f64 v[160:161], v[160:161], -v[164:165]
	s_waitcnt lgkmcnt(0)
	v_mul_f64 v[164:165], v[192:193], v[166:167]
	v_fma_f64 v[164:165], v[190:191], v[188:189], -v[164:165]
	v_mul_f64 v[190:191], v[190:191], v[166:167]
	v_fmac_f64_e32 v[190:191], v[192:193], v[188:189]
	v_add_f64 v[158:159], v[158:159], -v[190:191]
	ds_read2_b64 v[190:193], v241 offset0:14 offset1:15
	v_add_f64 v[156:157], v[156:157], -v[164:165]
	;; [unrolled: 8-line block ×41, first 2 shown]
	s_waitcnt lgkmcnt(0)
	v_mul_f64 v[164:165], v[192:193], v[166:167]
	v_fma_f64 v[164:165], v[190:191], v[188:189], -v[164:165]
	v_mul_f64 v[190:191], v[190:191], v[166:167]
	v_fmac_f64_e32 v[190:191], v[192:193], v[188:189]
	v_add_f64 v[184:185], v[184:185], -v[164:165]
	v_add_f64 v[186:187], v[186:187], -v[190:191]
	v_mov_b64_e32 v[164:165], v[188:189]
.LBB93_46:
	s_or_b64 exec, exec, s[2:3]
	v_cmp_eq_u32_e32 vcc, 5, v254
	s_waitcnt vmcnt(63) expcnt(7) lgkmcnt(15)
	s_barrier
	s_and_saveexec_b64 s[4:5], vcc
	s_cbranch_execz .LBB93_53
; %bb.47:
	ds_write2_b64 v255, v[160:161], v[162:163] offset1:1
	ds_write2_b64 v241, v[156:157], v[158:159] offset0:12 offset1:13
	ds_write2_b64 v241, v[152:153], v[154:155] offset0:14 offset1:15
	;; [unrolled: 1-line block ×24, first 2 shown]
	s_waitcnt vmcnt(62)
	ds_write2_b64 v241, v[60:61], v[62:63] offset0:60 offset1:61
	s_waitcnt vmcnt(34)
	ds_write2_b64 v241, v[56:57], v[58:59] offset0:62 offset1:63
	s_waitcnt vmcnt(32)
	ds_write2_b64 v241, v[52:53], v[54:55] offset0:64 offset1:65
	s_waitcnt vmcnt(31)
	ds_write2_b64 v241, v[48:49], v[50:51] offset0:66 offset1:67
	s_waitcnt vmcnt(30)
	ds_write2_b64 v241, v[44:45], v[46:47] offset0:68 offset1:69
	s_waitcnt vmcnt(29)
	ds_write2_b64 v241, v[40:41], v[42:43] offset0:70 offset1:71
	s_waitcnt vmcnt(28)
	ds_write2_b64 v241, v[36:37], v[38:39] offset0:72 offset1:73
	s_waitcnt vmcnt(27)
	ds_write2_b64 v241, v[32:33], v[34:35] offset0:74 offset1:75
	s_waitcnt vmcnt(26)
	ds_write2_b64 v241, v[28:29], v[30:31] offset0:76 offset1:77
	s_waitcnt vmcnt(25)
	ds_write2_b64 v241, v[24:25], v[26:27] offset0:78 offset1:79
	s_waitcnt vmcnt(24)
	ds_write2_b64 v241, v[20:21], v[22:23] offset0:80 offset1:81
	s_waitcnt vmcnt(23)
	ds_write2_b64 v241, v[16:17], v[18:19] offset0:82 offset1:83
	s_waitcnt vmcnt(22)
	ds_write2_b64 v241, v[12:13], v[14:15] offset0:84 offset1:85
	s_waitcnt vmcnt(21)
	ds_write2_b64 v241, v[8:9], v[10:11] offset0:86 offset1:87
	s_waitcnt vmcnt(20)
	ds_write2_b64 v241, v[4:5], v[6:7] offset0:88 offset1:89
	ds_write2_b64 v241, v[0:1], v[2:3] offset0:90 offset1:91
	s_waitcnt vmcnt(18)
	ds_write2_b64 v241, v[184:185], v[186:187] offset0:92 offset1:93
	ds_read2_b64 v[188:191], v255 offset1:1
	s_waitcnt lgkmcnt(0)
	v_cmp_neq_f64_e32 vcc, 0, v[188:189]
	v_cmp_neq_f64_e64 s[2:3], 0, v[190:191]
	s_or_b64 s[2:3], vcc, s[2:3]
	s_and_b64 exec, exec, s[2:3]
	s_cbranch_execz .LBB93_53
; %bb.48:
	v_cmp_ngt_f64_e64 s[2:3], |v[188:189]|, |v[190:191]|
                                        ; implicit-def: $vgpr192_vgpr193
	s_and_saveexec_b64 s[10:11], s[2:3]
	s_xor_b64 s[2:3], exec, s[10:11]
                                        ; implicit-def: $vgpr194_vgpr195
	s_cbranch_execz .LBB93_50
; %bb.49:
	v_div_scale_f64 v[192:193], s[10:11], v[190:191], v[190:191], v[188:189]
	v_rcp_f64_e32 v[194:195], v[192:193]
	v_div_scale_f64 v[196:197], vcc, v[188:189], v[190:191], v[188:189]
	v_fma_f64 v[198:199], -v[192:193], v[194:195], 1.0
	v_fmac_f64_e32 v[194:195], v[194:195], v[198:199]
	v_fma_f64 v[198:199], -v[192:193], v[194:195], 1.0
	v_fmac_f64_e32 v[194:195], v[194:195], v[198:199]
	v_mul_f64 v[198:199], v[196:197], v[194:195]
	v_fma_f64 v[192:193], -v[192:193], v[198:199], v[196:197]
	v_div_fmas_f64 v[192:193], v[192:193], v[194:195], v[198:199]
	v_div_fixup_f64 v[192:193], v[192:193], v[190:191], v[188:189]
	v_fmac_f64_e32 v[190:191], v[188:189], v[192:193]
	v_div_scale_f64 v[188:189], s[10:11], v[190:191], v[190:191], 1.0
	v_rcp_f64_e32 v[194:195], v[188:189]
	s_nop 0
	v_fma_f64 v[196:197], -v[188:189], v[194:195], 1.0
	v_fmac_f64_e32 v[194:195], v[194:195], v[196:197]
	v_fma_f64 v[196:197], -v[188:189], v[194:195], 1.0
	v_fmac_f64_e32 v[194:195], v[194:195], v[196:197]
	v_div_scale_f64 v[196:197], vcc, 1.0, v[190:191], 1.0
	v_mul_f64 v[198:199], v[196:197], v[194:195]
	v_fma_f64 v[188:189], -v[188:189], v[198:199], v[196:197]
	s_nop 1
	v_div_fmas_f64 v[188:189], v[188:189], v[194:195], v[198:199]
	v_div_fixup_f64 v[194:195], v[188:189], v[190:191], 1.0
	v_mul_f64 v[192:193], v[192:193], v[194:195]
	v_xor_b32_e32 v195, 0x80000000, v195
                                        ; implicit-def: $vgpr188_vgpr189
.LBB93_50:
	s_andn2_saveexec_b64 s[2:3], s[2:3]
	s_cbranch_execz .LBB93_52
; %bb.51:
	v_div_scale_f64 v[192:193], s[10:11], v[188:189], v[188:189], v[190:191]
	v_rcp_f64_e32 v[194:195], v[192:193]
	v_div_scale_f64 v[196:197], vcc, v[190:191], v[188:189], v[190:191]
	v_fma_f64 v[198:199], -v[192:193], v[194:195], 1.0
	v_fmac_f64_e32 v[194:195], v[194:195], v[198:199]
	v_fma_f64 v[198:199], -v[192:193], v[194:195], 1.0
	v_fmac_f64_e32 v[194:195], v[194:195], v[198:199]
	v_mul_f64 v[198:199], v[196:197], v[194:195]
	v_fma_f64 v[192:193], -v[192:193], v[198:199], v[196:197]
	v_div_fmas_f64 v[192:193], v[192:193], v[194:195], v[198:199]
	v_div_fixup_f64 v[194:195], v[192:193], v[188:189], v[190:191]
	v_fmac_f64_e32 v[188:189], v[190:191], v[194:195]
	v_div_scale_f64 v[190:191], s[10:11], v[188:189], v[188:189], 1.0
	v_rcp_f64_e32 v[192:193], v[190:191]
	s_nop 0
	v_fma_f64 v[196:197], -v[190:191], v[192:193], 1.0
	v_fmac_f64_e32 v[192:193], v[192:193], v[196:197]
	v_fma_f64 v[196:197], -v[190:191], v[192:193], 1.0
	v_fmac_f64_e32 v[192:193], v[192:193], v[196:197]
	v_div_scale_f64 v[196:197], vcc, 1.0, v[188:189], 1.0
	v_mul_f64 v[198:199], v[196:197], v[192:193]
	v_fma_f64 v[190:191], -v[190:191], v[198:199], v[196:197]
	s_nop 1
	v_div_fmas_f64 v[190:191], v[190:191], v[192:193], v[198:199]
	v_div_fixup_f64 v[192:193], v[190:191], v[188:189], 1.0
	v_mul_f64 v[194:195], v[194:195], -v[192:193]
.LBB93_52:
	s_or_b64 exec, exec, s[2:3]
	ds_write2_b64 v255, v[192:193], v[194:195] offset1:1
.LBB93_53:
	s_or_b64 exec, exec, s[4:5]
	s_waitcnt lgkmcnt(0)
	s_barrier
	ds_read2_b64 v[188:191], v255 offset1:1
	v_cmp_lt_u32_e32 vcc, 5, v254
	s_waitcnt lgkmcnt(0)
	scratch_store_dwordx4 off, v[188:191], off offset:416 ; 16-byte Folded Spill
	s_and_saveexec_b64 s[2:3], vcc
	s_cbranch_execz .LBB93_55
; %bb.54:
	scratch_load_dwordx4 v[190:193], off, off offset:416 ; 16-byte Folded Reload
	s_waitcnt vmcnt(0)
	v_mul_f64 v[188:189], v[192:193], v[162:163]
	v_mul_f64 v[162:163], v[190:191], v[162:163]
	v_fma_f64 v[188:189], v[190:191], v[160:161], -v[188:189]
	v_fmac_f64_e32 v[162:163], v[192:193], v[160:161]
	ds_read2_b64 v[190:193], v241 offset0:12 offset1:13
	s_waitcnt lgkmcnt(0)
	v_mul_f64 v[160:161], v[192:193], v[162:163]
	v_fma_f64 v[160:161], v[190:191], v[188:189], -v[160:161]
	v_mul_f64 v[190:191], v[190:191], v[162:163]
	v_fmac_f64_e32 v[190:191], v[192:193], v[188:189]
	v_add_f64 v[158:159], v[158:159], -v[190:191]
	ds_read2_b64 v[190:193], v241 offset0:14 offset1:15
	v_add_f64 v[156:157], v[156:157], -v[160:161]
	s_waitcnt lgkmcnt(0)
	v_mul_f64 v[160:161], v[192:193], v[162:163]
	v_fma_f64 v[160:161], v[190:191], v[188:189], -v[160:161]
	v_mul_f64 v[190:191], v[190:191], v[162:163]
	v_fmac_f64_e32 v[190:191], v[192:193], v[188:189]
	v_add_f64 v[154:155], v[154:155], -v[190:191]
	ds_read2_b64 v[190:193], v241 offset0:16 offset1:17
	v_add_f64 v[152:153], v[152:153], -v[160:161]
	;; [unrolled: 8-line block ×40, first 2 shown]
	s_waitcnt lgkmcnt(0)
	v_mul_f64 v[160:161], v[192:193], v[162:163]
	v_fma_f64 v[160:161], v[190:191], v[188:189], -v[160:161]
	v_mul_f64 v[190:191], v[190:191], v[162:163]
	v_fmac_f64_e32 v[190:191], v[192:193], v[188:189]
	v_add_f64 v[184:185], v[184:185], -v[160:161]
	v_add_f64 v[186:187], v[186:187], -v[190:191]
	v_mov_b64_e32 v[160:161], v[188:189]
.LBB93_55:
	s_or_b64 exec, exec, s[2:3]
	v_cmp_eq_u32_e32 vcc, 6, v254
	s_waitcnt vmcnt(63) expcnt(7) lgkmcnt(15)
	s_barrier
	s_and_saveexec_b64 s[4:5], vcc
	s_cbranch_execz .LBB93_62
; %bb.56:
	ds_write2_b64 v255, v[156:157], v[158:159] offset1:1
	ds_write2_b64 v241, v[152:153], v[154:155] offset0:14 offset1:15
	ds_write2_b64 v241, v[148:149], v[150:151] offset0:16 offset1:17
	ds_write2_b64 v241, v[144:145], v[146:147] offset0:18 offset1:19
	ds_write2_b64 v241, v[140:141], v[142:143] offset0:20 offset1:21
	ds_write2_b64 v241, v[136:137], v[138:139] offset0:22 offset1:23
	ds_write2_b64 v241, v[132:133], v[134:135] offset0:24 offset1:25
	ds_write2_b64 v241, v[128:129], v[130:131] offset0:26 offset1:27
	ds_write2_b64 v241, v[124:125], v[126:127] offset0:28 offset1:29
	ds_write2_b64 v241, v[120:121], v[122:123] offset0:30 offset1:31
	ds_write2_b64 v241, v[116:117], v[118:119] offset0:32 offset1:33
	ds_write2_b64 v241, v[112:113], v[114:115] offset0:34 offset1:35
	ds_write2_b64 v241, v[108:109], v[110:111] offset0:36 offset1:37
	ds_write2_b64 v241, v[104:105], v[106:107] offset0:38 offset1:39
	ds_write2_b64 v241, v[100:101], v[102:103] offset0:40 offset1:41
	ds_write2_b64 v241, v[96:97], v[98:99] offset0:42 offset1:43
	ds_write2_b64 v241, v[92:93], v[94:95] offset0:44 offset1:45
	ds_write2_b64 v241, v[88:89], v[90:91] offset0:46 offset1:47
	ds_write2_b64 v241, v[84:85], v[86:87] offset0:48 offset1:49
	ds_write2_b64 v241, v[80:81], v[82:83] offset0:50 offset1:51
	ds_write2_b64 v241, v[76:77], v[78:79] offset0:52 offset1:53
	ds_write2_b64 v241, v[72:73], v[74:75] offset0:54 offset1:55
	ds_write2_b64 v241, v[68:69], v[70:71] offset0:56 offset1:57
	ds_write2_b64 v241, v[64:65], v[66:67] offset0:58 offset1:59
	ds_write2_b64 v241, v[60:61], v[62:63] offset0:60 offset1:61
	s_waitcnt vmcnt(35)
	ds_write2_b64 v241, v[56:57], v[58:59] offset0:62 offset1:63
	s_waitcnt vmcnt(33)
	ds_write2_b64 v241, v[52:53], v[54:55] offset0:64 offset1:65
	;; [unrolled: 2-line block ×14, first 2 shown]
	ds_write2_b64 v241, v[0:1], v[2:3] offset0:90 offset1:91
	s_waitcnt vmcnt(19)
	ds_write2_b64 v241, v[184:185], v[186:187] offset0:92 offset1:93
	ds_read2_b64 v[188:191], v255 offset1:1
	s_waitcnt lgkmcnt(0)
	v_cmp_neq_f64_e32 vcc, 0, v[188:189]
	v_cmp_neq_f64_e64 s[2:3], 0, v[190:191]
	s_or_b64 s[2:3], vcc, s[2:3]
	s_and_b64 exec, exec, s[2:3]
	s_cbranch_execz .LBB93_62
; %bb.57:
	v_cmp_ngt_f64_e64 s[2:3], |v[188:189]|, |v[190:191]|
                                        ; implicit-def: $vgpr192_vgpr193
	s_and_saveexec_b64 s[10:11], s[2:3]
	s_xor_b64 s[2:3], exec, s[10:11]
                                        ; implicit-def: $vgpr194_vgpr195
	s_cbranch_execz .LBB93_59
; %bb.58:
	v_div_scale_f64 v[192:193], s[10:11], v[190:191], v[190:191], v[188:189]
	v_rcp_f64_e32 v[194:195], v[192:193]
	v_div_scale_f64 v[196:197], vcc, v[188:189], v[190:191], v[188:189]
	v_fma_f64 v[198:199], -v[192:193], v[194:195], 1.0
	v_fmac_f64_e32 v[194:195], v[194:195], v[198:199]
	v_fma_f64 v[198:199], -v[192:193], v[194:195], 1.0
	v_fmac_f64_e32 v[194:195], v[194:195], v[198:199]
	v_mul_f64 v[198:199], v[196:197], v[194:195]
	v_fma_f64 v[192:193], -v[192:193], v[198:199], v[196:197]
	v_div_fmas_f64 v[192:193], v[192:193], v[194:195], v[198:199]
	v_div_fixup_f64 v[192:193], v[192:193], v[190:191], v[188:189]
	v_fmac_f64_e32 v[190:191], v[188:189], v[192:193]
	v_div_scale_f64 v[188:189], s[10:11], v[190:191], v[190:191], 1.0
	v_rcp_f64_e32 v[194:195], v[188:189]
	s_nop 0
	v_fma_f64 v[196:197], -v[188:189], v[194:195], 1.0
	v_fmac_f64_e32 v[194:195], v[194:195], v[196:197]
	v_fma_f64 v[196:197], -v[188:189], v[194:195], 1.0
	v_fmac_f64_e32 v[194:195], v[194:195], v[196:197]
	v_div_scale_f64 v[196:197], vcc, 1.0, v[190:191], 1.0
	v_mul_f64 v[198:199], v[196:197], v[194:195]
	v_fma_f64 v[188:189], -v[188:189], v[198:199], v[196:197]
	s_nop 1
	v_div_fmas_f64 v[188:189], v[188:189], v[194:195], v[198:199]
	v_div_fixup_f64 v[194:195], v[188:189], v[190:191], 1.0
	v_mul_f64 v[192:193], v[192:193], v[194:195]
	v_xor_b32_e32 v195, 0x80000000, v195
                                        ; implicit-def: $vgpr188_vgpr189
.LBB93_59:
	s_andn2_saveexec_b64 s[2:3], s[2:3]
	s_cbranch_execz .LBB93_61
; %bb.60:
	v_div_scale_f64 v[192:193], s[10:11], v[188:189], v[188:189], v[190:191]
	v_rcp_f64_e32 v[194:195], v[192:193]
	v_div_scale_f64 v[196:197], vcc, v[190:191], v[188:189], v[190:191]
	v_fma_f64 v[198:199], -v[192:193], v[194:195], 1.0
	v_fmac_f64_e32 v[194:195], v[194:195], v[198:199]
	v_fma_f64 v[198:199], -v[192:193], v[194:195], 1.0
	v_fmac_f64_e32 v[194:195], v[194:195], v[198:199]
	v_mul_f64 v[198:199], v[196:197], v[194:195]
	v_fma_f64 v[192:193], -v[192:193], v[198:199], v[196:197]
	v_div_fmas_f64 v[192:193], v[192:193], v[194:195], v[198:199]
	v_div_fixup_f64 v[194:195], v[192:193], v[188:189], v[190:191]
	v_fmac_f64_e32 v[188:189], v[190:191], v[194:195]
	v_div_scale_f64 v[190:191], s[10:11], v[188:189], v[188:189], 1.0
	v_rcp_f64_e32 v[192:193], v[190:191]
	s_nop 0
	v_fma_f64 v[196:197], -v[190:191], v[192:193], 1.0
	v_fmac_f64_e32 v[192:193], v[192:193], v[196:197]
	v_fma_f64 v[196:197], -v[190:191], v[192:193], 1.0
	v_fmac_f64_e32 v[192:193], v[192:193], v[196:197]
	v_div_scale_f64 v[196:197], vcc, 1.0, v[188:189], 1.0
	v_mul_f64 v[198:199], v[196:197], v[192:193]
	v_fma_f64 v[190:191], -v[190:191], v[198:199], v[196:197]
	s_nop 1
	v_div_fmas_f64 v[190:191], v[190:191], v[192:193], v[198:199]
	v_div_fixup_f64 v[192:193], v[190:191], v[188:189], 1.0
	v_mul_f64 v[194:195], v[194:195], -v[192:193]
.LBB93_61:
	s_or_b64 exec, exec, s[2:3]
	ds_write2_b64 v255, v[192:193], v[194:195] offset1:1
.LBB93_62:
	s_or_b64 exec, exec, s[4:5]
	s_waitcnt lgkmcnt(0)
	s_barrier
	ds_read2_b64 v[188:191], v255 offset1:1
	v_cmp_lt_u32_e32 vcc, 6, v254
	s_waitcnt lgkmcnt(0)
	scratch_store_dwordx4 off, v[188:191], off offset:432 ; 16-byte Folded Spill
	s_and_saveexec_b64 s[2:3], vcc
	s_cbranch_execz .LBB93_64
; %bb.63:
	scratch_load_dwordx4 v[190:193], off, off offset:432 ; 16-byte Folded Reload
	s_waitcnt vmcnt(0)
	v_mul_f64 v[188:189], v[192:193], v[158:159]
	v_mul_f64 v[158:159], v[190:191], v[158:159]
	v_fma_f64 v[188:189], v[190:191], v[156:157], -v[188:189]
	v_fmac_f64_e32 v[158:159], v[192:193], v[156:157]
	ds_read2_b64 v[190:193], v241 offset0:14 offset1:15
	s_waitcnt lgkmcnt(0)
	v_mul_f64 v[156:157], v[192:193], v[158:159]
	v_fma_f64 v[156:157], v[190:191], v[188:189], -v[156:157]
	v_mul_f64 v[190:191], v[190:191], v[158:159]
	v_fmac_f64_e32 v[190:191], v[192:193], v[188:189]
	v_add_f64 v[154:155], v[154:155], -v[190:191]
	ds_read2_b64 v[190:193], v241 offset0:16 offset1:17
	v_add_f64 v[152:153], v[152:153], -v[156:157]
	s_waitcnt lgkmcnt(0)
	v_mul_f64 v[156:157], v[192:193], v[158:159]
	v_fma_f64 v[156:157], v[190:191], v[188:189], -v[156:157]
	v_mul_f64 v[190:191], v[190:191], v[158:159]
	v_fmac_f64_e32 v[190:191], v[192:193], v[188:189]
	v_add_f64 v[150:151], v[150:151], -v[190:191]
	ds_read2_b64 v[190:193], v241 offset0:18 offset1:19
	v_add_f64 v[148:149], v[148:149], -v[156:157]
	;; [unrolled: 8-line block ×39, first 2 shown]
	s_waitcnt lgkmcnt(0)
	v_mul_f64 v[156:157], v[192:193], v[158:159]
	v_fma_f64 v[156:157], v[190:191], v[188:189], -v[156:157]
	v_mul_f64 v[190:191], v[190:191], v[158:159]
	v_fmac_f64_e32 v[190:191], v[192:193], v[188:189]
	v_add_f64 v[184:185], v[184:185], -v[156:157]
	v_add_f64 v[186:187], v[186:187], -v[190:191]
	v_mov_b64_e32 v[156:157], v[188:189]
.LBB93_64:
	s_or_b64 exec, exec, s[2:3]
	v_cmp_eq_u32_e32 vcc, 7, v254
	s_waitcnt vmcnt(63) expcnt(7) lgkmcnt(15)
	s_barrier
	s_and_saveexec_b64 s[4:5], vcc
	s_cbranch_execz .LBB93_71
; %bb.65:
	ds_write2_b64 v255, v[152:153], v[154:155] offset1:1
	ds_write2_b64 v241, v[148:149], v[150:151] offset0:16 offset1:17
	ds_write2_b64 v241, v[144:145], v[146:147] offset0:18 offset1:19
	;; [unrolled: 1-line block ×23, first 2 shown]
	s_waitcnt vmcnt(36)
	ds_write2_b64 v241, v[56:57], v[58:59] offset0:62 offset1:63
	s_waitcnt vmcnt(34)
	ds_write2_b64 v241, v[52:53], v[54:55] offset0:64 offset1:65
	;; [unrolled: 2-line block ×14, first 2 shown]
	ds_write2_b64 v241, v[0:1], v[2:3] offset0:90 offset1:91
	s_waitcnt vmcnt(20)
	ds_write2_b64 v241, v[184:185], v[186:187] offset0:92 offset1:93
	ds_read2_b64 v[188:191], v255 offset1:1
	s_waitcnt lgkmcnt(0)
	v_cmp_neq_f64_e32 vcc, 0, v[188:189]
	v_cmp_neq_f64_e64 s[2:3], 0, v[190:191]
	s_or_b64 s[2:3], vcc, s[2:3]
	s_and_b64 exec, exec, s[2:3]
	s_cbranch_execz .LBB93_71
; %bb.66:
	v_cmp_ngt_f64_e64 s[2:3], |v[188:189]|, |v[190:191]|
                                        ; implicit-def: $vgpr192_vgpr193
	s_and_saveexec_b64 s[10:11], s[2:3]
	s_xor_b64 s[2:3], exec, s[10:11]
                                        ; implicit-def: $vgpr194_vgpr195
	s_cbranch_execz .LBB93_68
; %bb.67:
	v_div_scale_f64 v[192:193], s[10:11], v[190:191], v[190:191], v[188:189]
	v_rcp_f64_e32 v[194:195], v[192:193]
	v_div_scale_f64 v[196:197], vcc, v[188:189], v[190:191], v[188:189]
	v_fma_f64 v[198:199], -v[192:193], v[194:195], 1.0
	v_fmac_f64_e32 v[194:195], v[194:195], v[198:199]
	v_fma_f64 v[198:199], -v[192:193], v[194:195], 1.0
	v_fmac_f64_e32 v[194:195], v[194:195], v[198:199]
	v_mul_f64 v[198:199], v[196:197], v[194:195]
	v_fma_f64 v[192:193], -v[192:193], v[198:199], v[196:197]
	v_div_fmas_f64 v[192:193], v[192:193], v[194:195], v[198:199]
	v_div_fixup_f64 v[192:193], v[192:193], v[190:191], v[188:189]
	v_fmac_f64_e32 v[190:191], v[188:189], v[192:193]
	v_div_scale_f64 v[188:189], s[10:11], v[190:191], v[190:191], 1.0
	v_rcp_f64_e32 v[194:195], v[188:189]
	s_nop 0
	v_fma_f64 v[196:197], -v[188:189], v[194:195], 1.0
	v_fmac_f64_e32 v[194:195], v[194:195], v[196:197]
	v_fma_f64 v[196:197], -v[188:189], v[194:195], 1.0
	v_fmac_f64_e32 v[194:195], v[194:195], v[196:197]
	v_div_scale_f64 v[196:197], vcc, 1.0, v[190:191], 1.0
	v_mul_f64 v[198:199], v[196:197], v[194:195]
	v_fma_f64 v[188:189], -v[188:189], v[198:199], v[196:197]
	s_nop 1
	v_div_fmas_f64 v[188:189], v[188:189], v[194:195], v[198:199]
	v_div_fixup_f64 v[194:195], v[188:189], v[190:191], 1.0
	v_mul_f64 v[192:193], v[192:193], v[194:195]
	v_xor_b32_e32 v195, 0x80000000, v195
                                        ; implicit-def: $vgpr188_vgpr189
.LBB93_68:
	s_andn2_saveexec_b64 s[2:3], s[2:3]
	s_cbranch_execz .LBB93_70
; %bb.69:
	v_div_scale_f64 v[192:193], s[10:11], v[188:189], v[188:189], v[190:191]
	v_rcp_f64_e32 v[194:195], v[192:193]
	v_div_scale_f64 v[196:197], vcc, v[190:191], v[188:189], v[190:191]
	v_fma_f64 v[198:199], -v[192:193], v[194:195], 1.0
	v_fmac_f64_e32 v[194:195], v[194:195], v[198:199]
	v_fma_f64 v[198:199], -v[192:193], v[194:195], 1.0
	v_fmac_f64_e32 v[194:195], v[194:195], v[198:199]
	v_mul_f64 v[198:199], v[196:197], v[194:195]
	v_fma_f64 v[192:193], -v[192:193], v[198:199], v[196:197]
	v_div_fmas_f64 v[192:193], v[192:193], v[194:195], v[198:199]
	v_div_fixup_f64 v[194:195], v[192:193], v[188:189], v[190:191]
	v_fmac_f64_e32 v[188:189], v[190:191], v[194:195]
	v_div_scale_f64 v[190:191], s[10:11], v[188:189], v[188:189], 1.0
	v_rcp_f64_e32 v[192:193], v[190:191]
	s_nop 0
	v_fma_f64 v[196:197], -v[190:191], v[192:193], 1.0
	v_fmac_f64_e32 v[192:193], v[192:193], v[196:197]
	v_fma_f64 v[196:197], -v[190:191], v[192:193], 1.0
	v_fmac_f64_e32 v[192:193], v[192:193], v[196:197]
	v_div_scale_f64 v[196:197], vcc, 1.0, v[188:189], 1.0
	v_mul_f64 v[198:199], v[196:197], v[192:193]
	v_fma_f64 v[190:191], -v[190:191], v[198:199], v[196:197]
	s_nop 1
	v_div_fmas_f64 v[190:191], v[190:191], v[192:193], v[198:199]
	v_div_fixup_f64 v[192:193], v[190:191], v[188:189], 1.0
	v_mul_f64 v[194:195], v[194:195], -v[192:193]
.LBB93_70:
	s_or_b64 exec, exec, s[2:3]
	ds_write2_b64 v255, v[192:193], v[194:195] offset1:1
.LBB93_71:
	s_or_b64 exec, exec, s[4:5]
	s_waitcnt lgkmcnt(0)
	s_barrier
	ds_read2_b64 v[188:191], v255 offset1:1
	v_cmp_lt_u32_e32 vcc, 7, v254
	s_waitcnt lgkmcnt(0)
	scratch_store_dwordx4 off, v[188:191], off offset:448 ; 16-byte Folded Spill
	s_and_saveexec_b64 s[2:3], vcc
	s_cbranch_execz .LBB93_73
; %bb.72:
	scratch_load_dwordx4 v[190:193], off, off offset:448 ; 16-byte Folded Reload
	s_waitcnt vmcnt(0)
	v_mul_f64 v[188:189], v[192:193], v[154:155]
	v_mul_f64 v[154:155], v[190:191], v[154:155]
	v_fma_f64 v[188:189], v[190:191], v[152:153], -v[188:189]
	v_fmac_f64_e32 v[154:155], v[192:193], v[152:153]
	ds_read2_b64 v[190:193], v241 offset0:16 offset1:17
	s_waitcnt lgkmcnt(0)
	v_mul_f64 v[152:153], v[192:193], v[154:155]
	v_fma_f64 v[152:153], v[190:191], v[188:189], -v[152:153]
	v_mul_f64 v[190:191], v[190:191], v[154:155]
	v_fmac_f64_e32 v[190:191], v[192:193], v[188:189]
	v_add_f64 v[150:151], v[150:151], -v[190:191]
	ds_read2_b64 v[190:193], v241 offset0:18 offset1:19
	v_add_f64 v[148:149], v[148:149], -v[152:153]
	s_waitcnt lgkmcnt(0)
	v_mul_f64 v[152:153], v[192:193], v[154:155]
	v_fma_f64 v[152:153], v[190:191], v[188:189], -v[152:153]
	v_mul_f64 v[190:191], v[190:191], v[154:155]
	v_fmac_f64_e32 v[190:191], v[192:193], v[188:189]
	v_add_f64 v[146:147], v[146:147], -v[190:191]
	ds_read2_b64 v[190:193], v241 offset0:20 offset1:21
	v_add_f64 v[144:145], v[144:145], -v[152:153]
	;; [unrolled: 8-line block ×38, first 2 shown]
	s_waitcnt lgkmcnt(0)
	v_mul_f64 v[152:153], v[192:193], v[154:155]
	v_fma_f64 v[152:153], v[190:191], v[188:189], -v[152:153]
	v_mul_f64 v[190:191], v[190:191], v[154:155]
	v_fmac_f64_e32 v[190:191], v[192:193], v[188:189]
	v_add_f64 v[184:185], v[184:185], -v[152:153]
	v_add_f64 v[186:187], v[186:187], -v[190:191]
	v_mov_b64_e32 v[152:153], v[188:189]
.LBB93_73:
	s_or_b64 exec, exec, s[2:3]
	v_cmp_eq_u32_e32 vcc, 8, v254
	s_waitcnt vmcnt(63) expcnt(7) lgkmcnt(15)
	s_barrier
	s_and_saveexec_b64 s[4:5], vcc
	s_cbranch_execz .LBB93_80
; %bb.74:
	ds_write2_b64 v255, v[148:149], v[150:151] offset1:1
	ds_write2_b64 v241, v[144:145], v[146:147] offset0:18 offset1:19
	ds_write2_b64 v241, v[140:141], v[142:143] offset0:20 offset1:21
	;; [unrolled: 1-line block ×22, first 2 shown]
	s_waitcnt vmcnt(37)
	ds_write2_b64 v241, v[56:57], v[58:59] offset0:62 offset1:63
	s_waitcnt vmcnt(35)
	ds_write2_b64 v241, v[52:53], v[54:55] offset0:64 offset1:65
	;; [unrolled: 2-line block ×14, first 2 shown]
	ds_write2_b64 v241, v[0:1], v[2:3] offset0:90 offset1:91
	s_waitcnt vmcnt(21)
	ds_write2_b64 v241, v[184:185], v[186:187] offset0:92 offset1:93
	ds_read2_b64 v[188:191], v255 offset1:1
	s_waitcnt lgkmcnt(0)
	v_cmp_neq_f64_e32 vcc, 0, v[188:189]
	v_cmp_neq_f64_e64 s[2:3], 0, v[190:191]
	s_or_b64 s[2:3], vcc, s[2:3]
	s_and_b64 exec, exec, s[2:3]
	s_cbranch_execz .LBB93_80
; %bb.75:
	v_cmp_ngt_f64_e64 s[2:3], |v[188:189]|, |v[190:191]|
                                        ; implicit-def: $vgpr192_vgpr193
	s_and_saveexec_b64 s[10:11], s[2:3]
	s_xor_b64 s[2:3], exec, s[10:11]
                                        ; implicit-def: $vgpr194_vgpr195
	s_cbranch_execz .LBB93_77
; %bb.76:
	v_div_scale_f64 v[192:193], s[10:11], v[190:191], v[190:191], v[188:189]
	v_rcp_f64_e32 v[194:195], v[192:193]
	v_div_scale_f64 v[196:197], vcc, v[188:189], v[190:191], v[188:189]
	v_fma_f64 v[198:199], -v[192:193], v[194:195], 1.0
	v_fmac_f64_e32 v[194:195], v[194:195], v[198:199]
	v_fma_f64 v[198:199], -v[192:193], v[194:195], 1.0
	v_fmac_f64_e32 v[194:195], v[194:195], v[198:199]
	v_mul_f64 v[198:199], v[196:197], v[194:195]
	v_fma_f64 v[192:193], -v[192:193], v[198:199], v[196:197]
	v_div_fmas_f64 v[192:193], v[192:193], v[194:195], v[198:199]
	v_div_fixup_f64 v[192:193], v[192:193], v[190:191], v[188:189]
	v_fmac_f64_e32 v[190:191], v[188:189], v[192:193]
	v_div_scale_f64 v[188:189], s[10:11], v[190:191], v[190:191], 1.0
	v_rcp_f64_e32 v[194:195], v[188:189]
	s_nop 0
	v_fma_f64 v[196:197], -v[188:189], v[194:195], 1.0
	v_fmac_f64_e32 v[194:195], v[194:195], v[196:197]
	v_fma_f64 v[196:197], -v[188:189], v[194:195], 1.0
	v_fmac_f64_e32 v[194:195], v[194:195], v[196:197]
	v_div_scale_f64 v[196:197], vcc, 1.0, v[190:191], 1.0
	v_mul_f64 v[198:199], v[196:197], v[194:195]
	v_fma_f64 v[188:189], -v[188:189], v[198:199], v[196:197]
	s_nop 1
	v_div_fmas_f64 v[188:189], v[188:189], v[194:195], v[198:199]
	v_div_fixup_f64 v[194:195], v[188:189], v[190:191], 1.0
	v_mul_f64 v[192:193], v[192:193], v[194:195]
	v_xor_b32_e32 v195, 0x80000000, v195
                                        ; implicit-def: $vgpr188_vgpr189
.LBB93_77:
	s_andn2_saveexec_b64 s[2:3], s[2:3]
	s_cbranch_execz .LBB93_79
; %bb.78:
	v_div_scale_f64 v[192:193], s[10:11], v[188:189], v[188:189], v[190:191]
	v_rcp_f64_e32 v[194:195], v[192:193]
	v_div_scale_f64 v[196:197], vcc, v[190:191], v[188:189], v[190:191]
	v_fma_f64 v[198:199], -v[192:193], v[194:195], 1.0
	v_fmac_f64_e32 v[194:195], v[194:195], v[198:199]
	v_fma_f64 v[198:199], -v[192:193], v[194:195], 1.0
	v_fmac_f64_e32 v[194:195], v[194:195], v[198:199]
	v_mul_f64 v[198:199], v[196:197], v[194:195]
	v_fma_f64 v[192:193], -v[192:193], v[198:199], v[196:197]
	v_div_fmas_f64 v[192:193], v[192:193], v[194:195], v[198:199]
	v_div_fixup_f64 v[194:195], v[192:193], v[188:189], v[190:191]
	v_fmac_f64_e32 v[188:189], v[190:191], v[194:195]
	v_div_scale_f64 v[190:191], s[10:11], v[188:189], v[188:189], 1.0
	v_rcp_f64_e32 v[192:193], v[190:191]
	s_nop 0
	v_fma_f64 v[196:197], -v[190:191], v[192:193], 1.0
	v_fmac_f64_e32 v[192:193], v[192:193], v[196:197]
	v_fma_f64 v[196:197], -v[190:191], v[192:193], 1.0
	v_fmac_f64_e32 v[192:193], v[192:193], v[196:197]
	v_div_scale_f64 v[196:197], vcc, 1.0, v[188:189], 1.0
	v_mul_f64 v[198:199], v[196:197], v[192:193]
	v_fma_f64 v[190:191], -v[190:191], v[198:199], v[196:197]
	s_nop 1
	v_div_fmas_f64 v[190:191], v[190:191], v[192:193], v[198:199]
	v_div_fixup_f64 v[192:193], v[190:191], v[188:189], 1.0
	v_mul_f64 v[194:195], v[194:195], -v[192:193]
.LBB93_79:
	s_or_b64 exec, exec, s[2:3]
	ds_write2_b64 v255, v[192:193], v[194:195] offset1:1
.LBB93_80:
	s_or_b64 exec, exec, s[4:5]
	s_waitcnt lgkmcnt(0)
	s_barrier
	ds_read2_b64 v[188:191], v255 offset1:1
	v_cmp_lt_u32_e32 vcc, 8, v254
	s_waitcnt lgkmcnt(0)
	scratch_store_dwordx4 off, v[188:191], off offset:464 ; 16-byte Folded Spill
	s_and_saveexec_b64 s[2:3], vcc
	s_cbranch_execz .LBB93_82
; %bb.81:
	scratch_load_dwordx4 v[190:193], off, off offset:464 ; 16-byte Folded Reload
	s_waitcnt vmcnt(0)
	v_mul_f64 v[188:189], v[192:193], v[150:151]
	v_mul_f64 v[150:151], v[190:191], v[150:151]
	v_fma_f64 v[188:189], v[190:191], v[148:149], -v[188:189]
	v_fmac_f64_e32 v[150:151], v[192:193], v[148:149]
	ds_read2_b64 v[190:193], v241 offset0:18 offset1:19
	s_waitcnt lgkmcnt(0)
	v_mul_f64 v[148:149], v[192:193], v[150:151]
	v_fma_f64 v[148:149], v[190:191], v[188:189], -v[148:149]
	v_mul_f64 v[190:191], v[190:191], v[150:151]
	v_fmac_f64_e32 v[190:191], v[192:193], v[188:189]
	v_add_f64 v[146:147], v[146:147], -v[190:191]
	ds_read2_b64 v[190:193], v241 offset0:20 offset1:21
	v_add_f64 v[144:145], v[144:145], -v[148:149]
	s_waitcnt lgkmcnt(0)
	v_mul_f64 v[148:149], v[192:193], v[150:151]
	v_fma_f64 v[148:149], v[190:191], v[188:189], -v[148:149]
	v_mul_f64 v[190:191], v[190:191], v[150:151]
	v_fmac_f64_e32 v[190:191], v[192:193], v[188:189]
	v_add_f64 v[142:143], v[142:143], -v[190:191]
	ds_read2_b64 v[190:193], v241 offset0:22 offset1:23
	v_add_f64 v[140:141], v[140:141], -v[148:149]
	;; [unrolled: 8-line block ×37, first 2 shown]
	s_waitcnt lgkmcnt(0)
	v_mul_f64 v[148:149], v[192:193], v[150:151]
	v_fma_f64 v[148:149], v[190:191], v[188:189], -v[148:149]
	v_mul_f64 v[190:191], v[190:191], v[150:151]
	v_fmac_f64_e32 v[190:191], v[192:193], v[188:189]
	v_add_f64 v[184:185], v[184:185], -v[148:149]
	v_add_f64 v[186:187], v[186:187], -v[190:191]
	v_mov_b64_e32 v[148:149], v[188:189]
.LBB93_82:
	s_or_b64 exec, exec, s[2:3]
	v_cmp_eq_u32_e32 vcc, 9, v254
	s_waitcnt vmcnt(63) expcnt(7) lgkmcnt(15)
	s_barrier
	s_and_saveexec_b64 s[4:5], vcc
	s_cbranch_execz .LBB93_89
; %bb.83:
	ds_write2_b64 v255, v[144:145], v[146:147] offset1:1
	ds_write2_b64 v241, v[140:141], v[142:143] offset0:20 offset1:21
	ds_write2_b64 v241, v[136:137], v[138:139] offset0:22 offset1:23
	;; [unrolled: 1-line block ×21, first 2 shown]
	s_waitcnt vmcnt(38)
	ds_write2_b64 v241, v[56:57], v[58:59] offset0:62 offset1:63
	s_waitcnt vmcnt(36)
	ds_write2_b64 v241, v[52:53], v[54:55] offset0:64 offset1:65
	;; [unrolled: 2-line block ×14, first 2 shown]
	ds_write2_b64 v241, v[0:1], v[2:3] offset0:90 offset1:91
	s_waitcnt vmcnt(22)
	ds_write2_b64 v241, v[184:185], v[186:187] offset0:92 offset1:93
	ds_read2_b64 v[188:191], v255 offset1:1
	s_waitcnt lgkmcnt(0)
	v_cmp_neq_f64_e32 vcc, 0, v[188:189]
	v_cmp_neq_f64_e64 s[2:3], 0, v[190:191]
	s_or_b64 s[2:3], vcc, s[2:3]
	s_and_b64 exec, exec, s[2:3]
	s_cbranch_execz .LBB93_89
; %bb.84:
	v_cmp_ngt_f64_e64 s[2:3], |v[188:189]|, |v[190:191]|
                                        ; implicit-def: $vgpr192_vgpr193
	s_and_saveexec_b64 s[10:11], s[2:3]
	s_xor_b64 s[2:3], exec, s[10:11]
                                        ; implicit-def: $vgpr194_vgpr195
	s_cbranch_execz .LBB93_86
; %bb.85:
	v_div_scale_f64 v[192:193], s[10:11], v[190:191], v[190:191], v[188:189]
	v_rcp_f64_e32 v[194:195], v[192:193]
	v_div_scale_f64 v[196:197], vcc, v[188:189], v[190:191], v[188:189]
	v_fma_f64 v[198:199], -v[192:193], v[194:195], 1.0
	v_fmac_f64_e32 v[194:195], v[194:195], v[198:199]
	v_fma_f64 v[198:199], -v[192:193], v[194:195], 1.0
	v_fmac_f64_e32 v[194:195], v[194:195], v[198:199]
	v_mul_f64 v[198:199], v[196:197], v[194:195]
	v_fma_f64 v[192:193], -v[192:193], v[198:199], v[196:197]
	v_div_fmas_f64 v[192:193], v[192:193], v[194:195], v[198:199]
	v_div_fixup_f64 v[192:193], v[192:193], v[190:191], v[188:189]
	v_fmac_f64_e32 v[190:191], v[188:189], v[192:193]
	v_div_scale_f64 v[188:189], s[10:11], v[190:191], v[190:191], 1.0
	v_rcp_f64_e32 v[194:195], v[188:189]
	s_nop 0
	v_fma_f64 v[196:197], -v[188:189], v[194:195], 1.0
	v_fmac_f64_e32 v[194:195], v[194:195], v[196:197]
	v_fma_f64 v[196:197], -v[188:189], v[194:195], 1.0
	v_fmac_f64_e32 v[194:195], v[194:195], v[196:197]
	v_div_scale_f64 v[196:197], vcc, 1.0, v[190:191], 1.0
	v_mul_f64 v[198:199], v[196:197], v[194:195]
	v_fma_f64 v[188:189], -v[188:189], v[198:199], v[196:197]
	s_nop 1
	v_div_fmas_f64 v[188:189], v[188:189], v[194:195], v[198:199]
	v_div_fixup_f64 v[194:195], v[188:189], v[190:191], 1.0
	v_mul_f64 v[192:193], v[192:193], v[194:195]
	v_xor_b32_e32 v195, 0x80000000, v195
                                        ; implicit-def: $vgpr188_vgpr189
.LBB93_86:
	s_andn2_saveexec_b64 s[2:3], s[2:3]
	s_cbranch_execz .LBB93_88
; %bb.87:
	v_div_scale_f64 v[192:193], s[10:11], v[188:189], v[188:189], v[190:191]
	v_rcp_f64_e32 v[194:195], v[192:193]
	v_div_scale_f64 v[196:197], vcc, v[190:191], v[188:189], v[190:191]
	v_fma_f64 v[198:199], -v[192:193], v[194:195], 1.0
	v_fmac_f64_e32 v[194:195], v[194:195], v[198:199]
	v_fma_f64 v[198:199], -v[192:193], v[194:195], 1.0
	v_fmac_f64_e32 v[194:195], v[194:195], v[198:199]
	v_mul_f64 v[198:199], v[196:197], v[194:195]
	v_fma_f64 v[192:193], -v[192:193], v[198:199], v[196:197]
	v_div_fmas_f64 v[192:193], v[192:193], v[194:195], v[198:199]
	v_div_fixup_f64 v[194:195], v[192:193], v[188:189], v[190:191]
	v_fmac_f64_e32 v[188:189], v[190:191], v[194:195]
	v_div_scale_f64 v[190:191], s[10:11], v[188:189], v[188:189], 1.0
	v_rcp_f64_e32 v[192:193], v[190:191]
	s_nop 0
	v_fma_f64 v[196:197], -v[190:191], v[192:193], 1.0
	v_fmac_f64_e32 v[192:193], v[192:193], v[196:197]
	v_fma_f64 v[196:197], -v[190:191], v[192:193], 1.0
	v_fmac_f64_e32 v[192:193], v[192:193], v[196:197]
	v_div_scale_f64 v[196:197], vcc, 1.0, v[188:189], 1.0
	v_mul_f64 v[198:199], v[196:197], v[192:193]
	v_fma_f64 v[190:191], -v[190:191], v[198:199], v[196:197]
	s_nop 1
	v_div_fmas_f64 v[190:191], v[190:191], v[192:193], v[198:199]
	v_div_fixup_f64 v[192:193], v[190:191], v[188:189], 1.0
	v_mul_f64 v[194:195], v[194:195], -v[192:193]
.LBB93_88:
	s_or_b64 exec, exec, s[2:3]
	ds_write2_b64 v255, v[192:193], v[194:195] offset1:1
.LBB93_89:
	s_or_b64 exec, exec, s[4:5]
	s_waitcnt lgkmcnt(0)
	s_barrier
	ds_read2_b64 v[188:191], v255 offset1:1
	v_cmp_lt_u32_e32 vcc, 9, v254
	s_waitcnt lgkmcnt(0)
	scratch_store_dwordx4 off, v[188:191], off offset:480 ; 16-byte Folded Spill
	s_and_saveexec_b64 s[2:3], vcc
	s_cbranch_execz .LBB93_91
; %bb.90:
	scratch_load_dwordx4 v[190:193], off, off offset:480 ; 16-byte Folded Reload
	s_waitcnt vmcnt(0)
	v_mul_f64 v[188:189], v[192:193], v[146:147]
	v_mul_f64 v[146:147], v[190:191], v[146:147]
	v_fma_f64 v[188:189], v[190:191], v[144:145], -v[188:189]
	v_fmac_f64_e32 v[146:147], v[192:193], v[144:145]
	ds_read2_b64 v[190:193], v241 offset0:20 offset1:21
	s_waitcnt lgkmcnt(0)
	v_mul_f64 v[144:145], v[192:193], v[146:147]
	v_fma_f64 v[144:145], v[190:191], v[188:189], -v[144:145]
	v_mul_f64 v[190:191], v[190:191], v[146:147]
	v_fmac_f64_e32 v[190:191], v[192:193], v[188:189]
	v_add_f64 v[142:143], v[142:143], -v[190:191]
	ds_read2_b64 v[190:193], v241 offset0:22 offset1:23
	v_add_f64 v[140:141], v[140:141], -v[144:145]
	s_waitcnt lgkmcnt(0)
	v_mul_f64 v[144:145], v[192:193], v[146:147]
	v_fma_f64 v[144:145], v[190:191], v[188:189], -v[144:145]
	v_mul_f64 v[190:191], v[190:191], v[146:147]
	v_fmac_f64_e32 v[190:191], v[192:193], v[188:189]
	v_add_f64 v[138:139], v[138:139], -v[190:191]
	ds_read2_b64 v[190:193], v241 offset0:24 offset1:25
	v_add_f64 v[136:137], v[136:137], -v[144:145]
	;; [unrolled: 8-line block ×36, first 2 shown]
	s_waitcnt lgkmcnt(0)
	v_mul_f64 v[144:145], v[192:193], v[146:147]
	v_fma_f64 v[144:145], v[190:191], v[188:189], -v[144:145]
	v_mul_f64 v[190:191], v[190:191], v[146:147]
	v_fmac_f64_e32 v[190:191], v[192:193], v[188:189]
	v_add_f64 v[184:185], v[184:185], -v[144:145]
	v_add_f64 v[186:187], v[186:187], -v[190:191]
	v_mov_b64_e32 v[144:145], v[188:189]
.LBB93_91:
	s_or_b64 exec, exec, s[2:3]
	v_cmp_eq_u32_e32 vcc, 10, v254
	s_waitcnt vmcnt(63) expcnt(7) lgkmcnt(15)
	s_barrier
	s_and_saveexec_b64 s[4:5], vcc
	s_cbranch_execz .LBB93_98
; %bb.92:
	ds_write2_b64 v255, v[140:141], v[142:143] offset1:1
	ds_write2_b64 v241, v[136:137], v[138:139] offset0:22 offset1:23
	ds_write2_b64 v241, v[132:133], v[134:135] offset0:24 offset1:25
	;; [unrolled: 1-line block ×20, first 2 shown]
	s_waitcnt vmcnt(39)
	ds_write2_b64 v241, v[56:57], v[58:59] offset0:62 offset1:63
	s_waitcnt vmcnt(37)
	ds_write2_b64 v241, v[52:53], v[54:55] offset0:64 offset1:65
	;; [unrolled: 2-line block ×14, first 2 shown]
	ds_write2_b64 v241, v[0:1], v[2:3] offset0:90 offset1:91
	s_waitcnt vmcnt(23)
	ds_write2_b64 v241, v[184:185], v[186:187] offset0:92 offset1:93
	ds_read2_b64 v[188:191], v255 offset1:1
	s_waitcnt lgkmcnt(0)
	v_cmp_neq_f64_e32 vcc, 0, v[188:189]
	v_cmp_neq_f64_e64 s[2:3], 0, v[190:191]
	s_or_b64 s[2:3], vcc, s[2:3]
	s_and_b64 exec, exec, s[2:3]
	s_cbranch_execz .LBB93_98
; %bb.93:
	v_cmp_ngt_f64_e64 s[2:3], |v[188:189]|, |v[190:191]|
                                        ; implicit-def: $vgpr192_vgpr193
	s_and_saveexec_b64 s[10:11], s[2:3]
	s_xor_b64 s[2:3], exec, s[10:11]
                                        ; implicit-def: $vgpr194_vgpr195
	s_cbranch_execz .LBB93_95
; %bb.94:
	v_div_scale_f64 v[192:193], s[10:11], v[190:191], v[190:191], v[188:189]
	v_rcp_f64_e32 v[194:195], v[192:193]
	v_div_scale_f64 v[196:197], vcc, v[188:189], v[190:191], v[188:189]
	v_fma_f64 v[198:199], -v[192:193], v[194:195], 1.0
	v_fmac_f64_e32 v[194:195], v[194:195], v[198:199]
	v_fma_f64 v[198:199], -v[192:193], v[194:195], 1.0
	v_fmac_f64_e32 v[194:195], v[194:195], v[198:199]
	v_mul_f64 v[198:199], v[196:197], v[194:195]
	v_fma_f64 v[192:193], -v[192:193], v[198:199], v[196:197]
	v_div_fmas_f64 v[192:193], v[192:193], v[194:195], v[198:199]
	v_div_fixup_f64 v[192:193], v[192:193], v[190:191], v[188:189]
	v_fmac_f64_e32 v[190:191], v[188:189], v[192:193]
	v_div_scale_f64 v[188:189], s[10:11], v[190:191], v[190:191], 1.0
	v_rcp_f64_e32 v[194:195], v[188:189]
	s_nop 0
	v_fma_f64 v[196:197], -v[188:189], v[194:195], 1.0
	v_fmac_f64_e32 v[194:195], v[194:195], v[196:197]
	v_fma_f64 v[196:197], -v[188:189], v[194:195], 1.0
	v_fmac_f64_e32 v[194:195], v[194:195], v[196:197]
	v_div_scale_f64 v[196:197], vcc, 1.0, v[190:191], 1.0
	v_mul_f64 v[198:199], v[196:197], v[194:195]
	v_fma_f64 v[188:189], -v[188:189], v[198:199], v[196:197]
	s_nop 1
	v_div_fmas_f64 v[188:189], v[188:189], v[194:195], v[198:199]
	v_div_fixup_f64 v[194:195], v[188:189], v[190:191], 1.0
	v_mul_f64 v[192:193], v[192:193], v[194:195]
	v_xor_b32_e32 v195, 0x80000000, v195
                                        ; implicit-def: $vgpr188_vgpr189
.LBB93_95:
	s_andn2_saveexec_b64 s[2:3], s[2:3]
	s_cbranch_execz .LBB93_97
; %bb.96:
	v_div_scale_f64 v[192:193], s[10:11], v[188:189], v[188:189], v[190:191]
	v_rcp_f64_e32 v[194:195], v[192:193]
	v_div_scale_f64 v[196:197], vcc, v[190:191], v[188:189], v[190:191]
	v_fma_f64 v[198:199], -v[192:193], v[194:195], 1.0
	v_fmac_f64_e32 v[194:195], v[194:195], v[198:199]
	v_fma_f64 v[198:199], -v[192:193], v[194:195], 1.0
	v_fmac_f64_e32 v[194:195], v[194:195], v[198:199]
	v_mul_f64 v[198:199], v[196:197], v[194:195]
	v_fma_f64 v[192:193], -v[192:193], v[198:199], v[196:197]
	v_div_fmas_f64 v[192:193], v[192:193], v[194:195], v[198:199]
	v_div_fixup_f64 v[194:195], v[192:193], v[188:189], v[190:191]
	v_fmac_f64_e32 v[188:189], v[190:191], v[194:195]
	v_div_scale_f64 v[190:191], s[10:11], v[188:189], v[188:189], 1.0
	v_rcp_f64_e32 v[192:193], v[190:191]
	s_nop 0
	v_fma_f64 v[196:197], -v[190:191], v[192:193], 1.0
	v_fmac_f64_e32 v[192:193], v[192:193], v[196:197]
	v_fma_f64 v[196:197], -v[190:191], v[192:193], 1.0
	v_fmac_f64_e32 v[192:193], v[192:193], v[196:197]
	v_div_scale_f64 v[196:197], vcc, 1.0, v[188:189], 1.0
	v_mul_f64 v[198:199], v[196:197], v[192:193]
	v_fma_f64 v[190:191], -v[190:191], v[198:199], v[196:197]
	s_nop 1
	v_div_fmas_f64 v[190:191], v[190:191], v[192:193], v[198:199]
	v_div_fixup_f64 v[192:193], v[190:191], v[188:189], 1.0
	v_mul_f64 v[194:195], v[194:195], -v[192:193]
.LBB93_97:
	s_or_b64 exec, exec, s[2:3]
	ds_write2_b64 v255, v[192:193], v[194:195] offset1:1
.LBB93_98:
	s_or_b64 exec, exec, s[4:5]
	s_waitcnt lgkmcnt(0)
	s_barrier
	ds_read2_b64 v[188:191], v255 offset1:1
	v_cmp_lt_u32_e32 vcc, 10, v254
	s_waitcnt lgkmcnt(0)
	scratch_store_dwordx4 off, v[188:191], off offset:496 ; 16-byte Folded Spill
	s_and_saveexec_b64 s[2:3], vcc
	s_cbranch_execz .LBB93_100
; %bb.99:
	scratch_load_dwordx4 v[190:193], off, off offset:496 ; 16-byte Folded Reload
	s_waitcnt vmcnt(0)
	v_mul_f64 v[188:189], v[192:193], v[142:143]
	v_mul_f64 v[142:143], v[190:191], v[142:143]
	v_fma_f64 v[188:189], v[190:191], v[140:141], -v[188:189]
	v_fmac_f64_e32 v[142:143], v[192:193], v[140:141]
	ds_read2_b64 v[190:193], v241 offset0:22 offset1:23
	s_waitcnt lgkmcnt(0)
	v_mul_f64 v[140:141], v[192:193], v[142:143]
	v_fma_f64 v[140:141], v[190:191], v[188:189], -v[140:141]
	v_mul_f64 v[190:191], v[190:191], v[142:143]
	v_fmac_f64_e32 v[190:191], v[192:193], v[188:189]
	v_add_f64 v[138:139], v[138:139], -v[190:191]
	ds_read2_b64 v[190:193], v241 offset0:24 offset1:25
	v_add_f64 v[136:137], v[136:137], -v[140:141]
	s_waitcnt lgkmcnt(0)
	v_mul_f64 v[140:141], v[192:193], v[142:143]
	v_fma_f64 v[140:141], v[190:191], v[188:189], -v[140:141]
	v_mul_f64 v[190:191], v[190:191], v[142:143]
	v_fmac_f64_e32 v[190:191], v[192:193], v[188:189]
	v_add_f64 v[134:135], v[134:135], -v[190:191]
	ds_read2_b64 v[190:193], v241 offset0:26 offset1:27
	v_add_f64 v[132:133], v[132:133], -v[140:141]
	;; [unrolled: 8-line block ×35, first 2 shown]
	s_waitcnt lgkmcnt(0)
	v_mul_f64 v[140:141], v[192:193], v[142:143]
	v_fma_f64 v[140:141], v[190:191], v[188:189], -v[140:141]
	v_mul_f64 v[190:191], v[190:191], v[142:143]
	v_fmac_f64_e32 v[190:191], v[192:193], v[188:189]
	v_add_f64 v[184:185], v[184:185], -v[140:141]
	v_add_f64 v[186:187], v[186:187], -v[190:191]
	v_mov_b64_e32 v[140:141], v[188:189]
.LBB93_100:
	s_or_b64 exec, exec, s[2:3]
	v_cmp_eq_u32_e32 vcc, 11, v254
	s_waitcnt vmcnt(63) expcnt(7) lgkmcnt(15)
	s_barrier
	s_and_saveexec_b64 s[4:5], vcc
	s_cbranch_execz .LBB93_107
; %bb.101:
	ds_write2_b64 v255, v[136:137], v[138:139] offset1:1
	ds_write2_b64 v241, v[132:133], v[134:135] offset0:24 offset1:25
	ds_write2_b64 v241, v[128:129], v[130:131] offset0:26 offset1:27
	;; [unrolled: 1-line block ×19, first 2 shown]
	s_waitcnt vmcnt(40)
	ds_write2_b64 v241, v[56:57], v[58:59] offset0:62 offset1:63
	s_waitcnt vmcnt(38)
	ds_write2_b64 v241, v[52:53], v[54:55] offset0:64 offset1:65
	;; [unrolled: 2-line block ×14, first 2 shown]
	ds_write2_b64 v241, v[0:1], v[2:3] offset0:90 offset1:91
	s_waitcnt vmcnt(24)
	ds_write2_b64 v241, v[184:185], v[186:187] offset0:92 offset1:93
	ds_read2_b64 v[188:191], v255 offset1:1
	s_waitcnt lgkmcnt(0)
	v_cmp_neq_f64_e32 vcc, 0, v[188:189]
	v_cmp_neq_f64_e64 s[2:3], 0, v[190:191]
	s_or_b64 s[2:3], vcc, s[2:3]
	s_and_b64 exec, exec, s[2:3]
	s_cbranch_execz .LBB93_107
; %bb.102:
	v_cmp_ngt_f64_e64 s[2:3], |v[188:189]|, |v[190:191]|
                                        ; implicit-def: $vgpr192_vgpr193
	s_and_saveexec_b64 s[10:11], s[2:3]
	s_xor_b64 s[2:3], exec, s[10:11]
                                        ; implicit-def: $vgpr194_vgpr195
	s_cbranch_execz .LBB93_104
; %bb.103:
	v_div_scale_f64 v[192:193], s[10:11], v[190:191], v[190:191], v[188:189]
	v_rcp_f64_e32 v[194:195], v[192:193]
	v_div_scale_f64 v[196:197], vcc, v[188:189], v[190:191], v[188:189]
	v_fma_f64 v[198:199], -v[192:193], v[194:195], 1.0
	v_fmac_f64_e32 v[194:195], v[194:195], v[198:199]
	v_fma_f64 v[198:199], -v[192:193], v[194:195], 1.0
	v_fmac_f64_e32 v[194:195], v[194:195], v[198:199]
	v_mul_f64 v[198:199], v[196:197], v[194:195]
	v_fma_f64 v[192:193], -v[192:193], v[198:199], v[196:197]
	v_div_fmas_f64 v[192:193], v[192:193], v[194:195], v[198:199]
	v_div_fixup_f64 v[192:193], v[192:193], v[190:191], v[188:189]
	v_fmac_f64_e32 v[190:191], v[188:189], v[192:193]
	v_div_scale_f64 v[188:189], s[10:11], v[190:191], v[190:191], 1.0
	v_rcp_f64_e32 v[194:195], v[188:189]
	s_nop 0
	v_fma_f64 v[196:197], -v[188:189], v[194:195], 1.0
	v_fmac_f64_e32 v[194:195], v[194:195], v[196:197]
	v_fma_f64 v[196:197], -v[188:189], v[194:195], 1.0
	v_fmac_f64_e32 v[194:195], v[194:195], v[196:197]
	v_div_scale_f64 v[196:197], vcc, 1.0, v[190:191], 1.0
	v_mul_f64 v[198:199], v[196:197], v[194:195]
	v_fma_f64 v[188:189], -v[188:189], v[198:199], v[196:197]
	s_nop 1
	v_div_fmas_f64 v[188:189], v[188:189], v[194:195], v[198:199]
	v_div_fixup_f64 v[194:195], v[188:189], v[190:191], 1.0
	v_mul_f64 v[192:193], v[192:193], v[194:195]
	v_xor_b32_e32 v195, 0x80000000, v195
                                        ; implicit-def: $vgpr188_vgpr189
.LBB93_104:
	s_andn2_saveexec_b64 s[2:3], s[2:3]
	s_cbranch_execz .LBB93_106
; %bb.105:
	v_div_scale_f64 v[192:193], s[10:11], v[188:189], v[188:189], v[190:191]
	v_rcp_f64_e32 v[194:195], v[192:193]
	v_div_scale_f64 v[196:197], vcc, v[190:191], v[188:189], v[190:191]
	v_fma_f64 v[198:199], -v[192:193], v[194:195], 1.0
	v_fmac_f64_e32 v[194:195], v[194:195], v[198:199]
	v_fma_f64 v[198:199], -v[192:193], v[194:195], 1.0
	v_fmac_f64_e32 v[194:195], v[194:195], v[198:199]
	v_mul_f64 v[198:199], v[196:197], v[194:195]
	v_fma_f64 v[192:193], -v[192:193], v[198:199], v[196:197]
	v_div_fmas_f64 v[192:193], v[192:193], v[194:195], v[198:199]
	v_div_fixup_f64 v[194:195], v[192:193], v[188:189], v[190:191]
	v_fmac_f64_e32 v[188:189], v[190:191], v[194:195]
	v_div_scale_f64 v[190:191], s[10:11], v[188:189], v[188:189], 1.0
	v_rcp_f64_e32 v[192:193], v[190:191]
	s_nop 0
	v_fma_f64 v[196:197], -v[190:191], v[192:193], 1.0
	v_fmac_f64_e32 v[192:193], v[192:193], v[196:197]
	v_fma_f64 v[196:197], -v[190:191], v[192:193], 1.0
	v_fmac_f64_e32 v[192:193], v[192:193], v[196:197]
	v_div_scale_f64 v[196:197], vcc, 1.0, v[188:189], 1.0
	v_mul_f64 v[198:199], v[196:197], v[192:193]
	v_fma_f64 v[190:191], -v[190:191], v[198:199], v[196:197]
	s_nop 1
	v_div_fmas_f64 v[190:191], v[190:191], v[192:193], v[198:199]
	v_div_fixup_f64 v[192:193], v[190:191], v[188:189], 1.0
	v_mul_f64 v[194:195], v[194:195], -v[192:193]
.LBB93_106:
	s_or_b64 exec, exec, s[2:3]
	ds_write2_b64 v255, v[192:193], v[194:195] offset1:1
.LBB93_107:
	s_or_b64 exec, exec, s[4:5]
	s_waitcnt lgkmcnt(0)
	s_barrier
	ds_read2_b64 v[188:191], v255 offset1:1
	v_cmp_lt_u32_e32 vcc, 11, v254
	s_waitcnt lgkmcnt(0)
	scratch_store_dwordx4 off, v[188:191], off offset:512 ; 16-byte Folded Spill
	s_and_saveexec_b64 s[2:3], vcc
	s_cbranch_execz .LBB93_109
; %bb.108:
	scratch_load_dwordx4 v[190:193], off, off offset:512 ; 16-byte Folded Reload
	s_waitcnt vmcnt(0)
	v_mul_f64 v[188:189], v[192:193], v[138:139]
	v_mul_f64 v[138:139], v[190:191], v[138:139]
	v_fma_f64 v[188:189], v[190:191], v[136:137], -v[188:189]
	v_fmac_f64_e32 v[138:139], v[192:193], v[136:137]
	ds_read2_b64 v[190:193], v241 offset0:24 offset1:25
	s_waitcnt lgkmcnt(0)
	v_mul_f64 v[136:137], v[192:193], v[138:139]
	v_fma_f64 v[136:137], v[190:191], v[188:189], -v[136:137]
	v_mul_f64 v[190:191], v[190:191], v[138:139]
	v_fmac_f64_e32 v[190:191], v[192:193], v[188:189]
	v_add_f64 v[134:135], v[134:135], -v[190:191]
	ds_read2_b64 v[190:193], v241 offset0:26 offset1:27
	v_add_f64 v[132:133], v[132:133], -v[136:137]
	s_waitcnt lgkmcnt(0)
	v_mul_f64 v[136:137], v[192:193], v[138:139]
	v_fma_f64 v[136:137], v[190:191], v[188:189], -v[136:137]
	v_mul_f64 v[190:191], v[190:191], v[138:139]
	v_fmac_f64_e32 v[190:191], v[192:193], v[188:189]
	v_add_f64 v[130:131], v[130:131], -v[190:191]
	ds_read2_b64 v[190:193], v241 offset0:28 offset1:29
	v_add_f64 v[128:129], v[128:129], -v[136:137]
	s_waitcnt lgkmcnt(0)
	v_mul_f64 v[136:137], v[192:193], v[138:139]
	v_fma_f64 v[136:137], v[190:191], v[188:189], -v[136:137]
	v_mul_f64 v[190:191], v[190:191], v[138:139]
	v_fmac_f64_e32 v[190:191], v[192:193], v[188:189]
	v_add_f64 v[126:127], v[126:127], -v[190:191]
	ds_read2_b64 v[190:193], v241 offset0:30 offset1:31
	v_add_f64 v[124:125], v[124:125], -v[136:137]
	s_waitcnt lgkmcnt(0)
	v_mul_f64 v[136:137], v[192:193], v[138:139]
	v_fma_f64 v[136:137], v[190:191], v[188:189], -v[136:137]
	v_mul_f64 v[190:191], v[190:191], v[138:139]
	v_fmac_f64_e32 v[190:191], v[192:193], v[188:189]
	v_add_f64 v[122:123], v[122:123], -v[190:191]
	ds_read2_b64 v[190:193], v241 offset0:32 offset1:33
	v_add_f64 v[120:121], v[120:121], -v[136:137]
	s_waitcnt lgkmcnt(0)
	v_mul_f64 v[136:137], v[192:193], v[138:139]
	v_fma_f64 v[136:137], v[190:191], v[188:189], -v[136:137]
	v_mul_f64 v[190:191], v[190:191], v[138:139]
	v_fmac_f64_e32 v[190:191], v[192:193], v[188:189]
	v_add_f64 v[118:119], v[118:119], -v[190:191]
	ds_read2_b64 v[190:193], v241 offset0:34 offset1:35
	v_add_f64 v[116:117], v[116:117], -v[136:137]
	s_waitcnt lgkmcnt(0)
	v_mul_f64 v[136:137], v[192:193], v[138:139]
	v_fma_f64 v[136:137], v[190:191], v[188:189], -v[136:137]
	v_mul_f64 v[190:191], v[190:191], v[138:139]
	v_fmac_f64_e32 v[190:191], v[192:193], v[188:189]
	v_add_f64 v[114:115], v[114:115], -v[190:191]
	ds_read2_b64 v[190:193], v241 offset0:36 offset1:37
	v_add_f64 v[112:113], v[112:113], -v[136:137]
	s_waitcnt lgkmcnt(0)
	v_mul_f64 v[136:137], v[192:193], v[138:139]
	v_fma_f64 v[136:137], v[190:191], v[188:189], -v[136:137]
	v_mul_f64 v[190:191], v[190:191], v[138:139]
	v_fmac_f64_e32 v[190:191], v[192:193], v[188:189]
	v_add_f64 v[110:111], v[110:111], -v[190:191]
	ds_read2_b64 v[190:193], v241 offset0:38 offset1:39
	v_add_f64 v[108:109], v[108:109], -v[136:137]
	s_waitcnt lgkmcnt(0)
	v_mul_f64 v[136:137], v[192:193], v[138:139]
	v_fma_f64 v[136:137], v[190:191], v[188:189], -v[136:137]
	v_mul_f64 v[190:191], v[190:191], v[138:139]
	v_fmac_f64_e32 v[190:191], v[192:193], v[188:189]
	v_add_f64 v[106:107], v[106:107], -v[190:191]
	ds_read2_b64 v[190:193], v241 offset0:40 offset1:41
	v_add_f64 v[104:105], v[104:105], -v[136:137]
	s_waitcnt lgkmcnt(0)
	v_mul_f64 v[136:137], v[192:193], v[138:139]
	v_fma_f64 v[136:137], v[190:191], v[188:189], -v[136:137]
	v_mul_f64 v[190:191], v[190:191], v[138:139]
	v_fmac_f64_e32 v[190:191], v[192:193], v[188:189]
	v_add_f64 v[102:103], v[102:103], -v[190:191]
	ds_read2_b64 v[190:193], v241 offset0:42 offset1:43
	v_add_f64 v[100:101], v[100:101], -v[136:137]
	s_waitcnt lgkmcnt(0)
	v_mul_f64 v[136:137], v[192:193], v[138:139]
	v_fma_f64 v[136:137], v[190:191], v[188:189], -v[136:137]
	v_mul_f64 v[190:191], v[190:191], v[138:139]
	v_fmac_f64_e32 v[190:191], v[192:193], v[188:189]
	v_add_f64 v[98:99], v[98:99], -v[190:191]
	ds_read2_b64 v[190:193], v241 offset0:44 offset1:45
	v_add_f64 v[96:97], v[96:97], -v[136:137]
	s_waitcnt lgkmcnt(0)
	v_mul_f64 v[136:137], v[192:193], v[138:139]
	v_fma_f64 v[136:137], v[190:191], v[188:189], -v[136:137]
	v_mul_f64 v[190:191], v[190:191], v[138:139]
	v_fmac_f64_e32 v[190:191], v[192:193], v[188:189]
	v_add_f64 v[94:95], v[94:95], -v[190:191]
	ds_read2_b64 v[190:193], v241 offset0:46 offset1:47
	v_add_f64 v[92:93], v[92:93], -v[136:137]
	s_waitcnt lgkmcnt(0)
	v_mul_f64 v[136:137], v[192:193], v[138:139]
	v_fma_f64 v[136:137], v[190:191], v[188:189], -v[136:137]
	v_mul_f64 v[190:191], v[190:191], v[138:139]
	v_fmac_f64_e32 v[190:191], v[192:193], v[188:189]
	v_add_f64 v[90:91], v[90:91], -v[190:191]
	ds_read2_b64 v[190:193], v241 offset0:48 offset1:49
	v_add_f64 v[88:89], v[88:89], -v[136:137]
	s_waitcnt lgkmcnt(0)
	v_mul_f64 v[136:137], v[192:193], v[138:139]
	v_fma_f64 v[136:137], v[190:191], v[188:189], -v[136:137]
	v_mul_f64 v[190:191], v[190:191], v[138:139]
	v_fmac_f64_e32 v[190:191], v[192:193], v[188:189]
	v_add_f64 v[86:87], v[86:87], -v[190:191]
	ds_read2_b64 v[190:193], v241 offset0:50 offset1:51
	v_add_f64 v[84:85], v[84:85], -v[136:137]
	s_waitcnt lgkmcnt(0)
	v_mul_f64 v[136:137], v[192:193], v[138:139]
	v_fma_f64 v[136:137], v[190:191], v[188:189], -v[136:137]
	v_mul_f64 v[190:191], v[190:191], v[138:139]
	v_fmac_f64_e32 v[190:191], v[192:193], v[188:189]
	v_add_f64 v[82:83], v[82:83], -v[190:191]
	ds_read2_b64 v[190:193], v241 offset0:52 offset1:53
	v_add_f64 v[80:81], v[80:81], -v[136:137]
	s_waitcnt lgkmcnt(0)
	v_mul_f64 v[136:137], v[192:193], v[138:139]
	v_fma_f64 v[136:137], v[190:191], v[188:189], -v[136:137]
	v_mul_f64 v[190:191], v[190:191], v[138:139]
	v_fmac_f64_e32 v[190:191], v[192:193], v[188:189]
	v_add_f64 v[78:79], v[78:79], -v[190:191]
	ds_read2_b64 v[190:193], v241 offset0:54 offset1:55
	v_add_f64 v[76:77], v[76:77], -v[136:137]
	s_waitcnt lgkmcnt(0)
	v_mul_f64 v[136:137], v[192:193], v[138:139]
	v_fma_f64 v[136:137], v[190:191], v[188:189], -v[136:137]
	v_mul_f64 v[190:191], v[190:191], v[138:139]
	v_fmac_f64_e32 v[190:191], v[192:193], v[188:189]
	v_add_f64 v[74:75], v[74:75], -v[190:191]
	ds_read2_b64 v[190:193], v241 offset0:56 offset1:57
	v_add_f64 v[72:73], v[72:73], -v[136:137]
	s_waitcnt lgkmcnt(0)
	v_mul_f64 v[136:137], v[192:193], v[138:139]
	v_fma_f64 v[136:137], v[190:191], v[188:189], -v[136:137]
	v_mul_f64 v[190:191], v[190:191], v[138:139]
	v_fmac_f64_e32 v[190:191], v[192:193], v[188:189]
	v_add_f64 v[70:71], v[70:71], -v[190:191]
	ds_read2_b64 v[190:193], v241 offset0:58 offset1:59
	v_add_f64 v[68:69], v[68:69], -v[136:137]
	s_waitcnt lgkmcnt(0)
	v_mul_f64 v[136:137], v[192:193], v[138:139]
	v_fma_f64 v[136:137], v[190:191], v[188:189], -v[136:137]
	v_mul_f64 v[190:191], v[190:191], v[138:139]
	v_fmac_f64_e32 v[190:191], v[192:193], v[188:189]
	v_add_f64 v[66:67], v[66:67], -v[190:191]
	ds_read2_b64 v[190:193], v241 offset0:60 offset1:61
	v_add_f64 v[64:65], v[64:65], -v[136:137]
	s_waitcnt lgkmcnt(0)
	v_mul_f64 v[136:137], v[192:193], v[138:139]
	v_fma_f64 v[136:137], v[190:191], v[188:189], -v[136:137]
	v_mul_f64 v[190:191], v[190:191], v[138:139]
	v_fmac_f64_e32 v[190:191], v[192:193], v[188:189]
	v_add_f64 v[62:63], v[62:63], -v[190:191]
	ds_read2_b64 v[190:193], v241 offset0:62 offset1:63
	v_add_f64 v[60:61], v[60:61], -v[136:137]
	s_waitcnt lgkmcnt(0)
	v_mul_f64 v[136:137], v[192:193], v[138:139]
	v_fma_f64 v[136:137], v[190:191], v[188:189], -v[136:137]
	v_mul_f64 v[190:191], v[190:191], v[138:139]
	v_fmac_f64_e32 v[190:191], v[192:193], v[188:189]
	v_add_f64 v[58:59], v[58:59], -v[190:191]
	ds_read2_b64 v[190:193], v241 offset0:64 offset1:65
	v_add_f64 v[56:57], v[56:57], -v[136:137]
	s_waitcnt lgkmcnt(0)
	v_mul_f64 v[136:137], v[192:193], v[138:139]
	v_fma_f64 v[136:137], v[190:191], v[188:189], -v[136:137]
	v_mul_f64 v[190:191], v[190:191], v[138:139]
	v_fmac_f64_e32 v[190:191], v[192:193], v[188:189]
	v_add_f64 v[54:55], v[54:55], -v[190:191]
	ds_read2_b64 v[190:193], v241 offset0:66 offset1:67
	v_add_f64 v[52:53], v[52:53], -v[136:137]
	s_waitcnt lgkmcnt(0)
	v_mul_f64 v[136:137], v[192:193], v[138:139]
	v_fma_f64 v[136:137], v[190:191], v[188:189], -v[136:137]
	v_mul_f64 v[190:191], v[190:191], v[138:139]
	v_fmac_f64_e32 v[190:191], v[192:193], v[188:189]
	v_add_f64 v[50:51], v[50:51], -v[190:191]
	ds_read2_b64 v[190:193], v241 offset0:68 offset1:69
	v_add_f64 v[48:49], v[48:49], -v[136:137]
	s_waitcnt lgkmcnt(0)
	v_mul_f64 v[136:137], v[192:193], v[138:139]
	v_fma_f64 v[136:137], v[190:191], v[188:189], -v[136:137]
	v_mul_f64 v[190:191], v[190:191], v[138:139]
	v_fmac_f64_e32 v[190:191], v[192:193], v[188:189]
	v_add_f64 v[46:47], v[46:47], -v[190:191]
	ds_read2_b64 v[190:193], v241 offset0:70 offset1:71
	v_add_f64 v[44:45], v[44:45], -v[136:137]
	s_waitcnt lgkmcnt(0)
	v_mul_f64 v[136:137], v[192:193], v[138:139]
	v_fma_f64 v[136:137], v[190:191], v[188:189], -v[136:137]
	v_mul_f64 v[190:191], v[190:191], v[138:139]
	v_fmac_f64_e32 v[190:191], v[192:193], v[188:189]
	v_add_f64 v[42:43], v[42:43], -v[190:191]
	ds_read2_b64 v[190:193], v241 offset0:72 offset1:73
	v_add_f64 v[40:41], v[40:41], -v[136:137]
	s_waitcnt lgkmcnt(0)
	v_mul_f64 v[136:137], v[192:193], v[138:139]
	v_fma_f64 v[136:137], v[190:191], v[188:189], -v[136:137]
	v_mul_f64 v[190:191], v[190:191], v[138:139]
	v_fmac_f64_e32 v[190:191], v[192:193], v[188:189]
	v_add_f64 v[38:39], v[38:39], -v[190:191]
	ds_read2_b64 v[190:193], v241 offset0:74 offset1:75
	v_add_f64 v[36:37], v[36:37], -v[136:137]
	s_waitcnt lgkmcnt(0)
	v_mul_f64 v[136:137], v[192:193], v[138:139]
	v_fma_f64 v[136:137], v[190:191], v[188:189], -v[136:137]
	v_mul_f64 v[190:191], v[190:191], v[138:139]
	v_fmac_f64_e32 v[190:191], v[192:193], v[188:189]
	v_add_f64 v[34:35], v[34:35], -v[190:191]
	ds_read2_b64 v[190:193], v241 offset0:76 offset1:77
	v_add_f64 v[32:33], v[32:33], -v[136:137]
	s_waitcnt lgkmcnt(0)
	v_mul_f64 v[136:137], v[192:193], v[138:139]
	v_fma_f64 v[136:137], v[190:191], v[188:189], -v[136:137]
	v_mul_f64 v[190:191], v[190:191], v[138:139]
	v_fmac_f64_e32 v[190:191], v[192:193], v[188:189]
	v_add_f64 v[30:31], v[30:31], -v[190:191]
	ds_read2_b64 v[190:193], v241 offset0:78 offset1:79
	v_add_f64 v[28:29], v[28:29], -v[136:137]
	s_waitcnt lgkmcnt(0)
	v_mul_f64 v[136:137], v[192:193], v[138:139]
	v_fma_f64 v[136:137], v[190:191], v[188:189], -v[136:137]
	v_mul_f64 v[190:191], v[190:191], v[138:139]
	v_fmac_f64_e32 v[190:191], v[192:193], v[188:189]
	v_add_f64 v[26:27], v[26:27], -v[190:191]
	ds_read2_b64 v[190:193], v241 offset0:80 offset1:81
	v_add_f64 v[24:25], v[24:25], -v[136:137]
	s_waitcnt lgkmcnt(0)
	v_mul_f64 v[136:137], v[192:193], v[138:139]
	v_fma_f64 v[136:137], v[190:191], v[188:189], -v[136:137]
	v_mul_f64 v[190:191], v[190:191], v[138:139]
	v_fmac_f64_e32 v[190:191], v[192:193], v[188:189]
	v_add_f64 v[22:23], v[22:23], -v[190:191]
	ds_read2_b64 v[190:193], v241 offset0:82 offset1:83
	v_add_f64 v[20:21], v[20:21], -v[136:137]
	s_waitcnt lgkmcnt(0)
	v_mul_f64 v[136:137], v[192:193], v[138:139]
	v_fma_f64 v[136:137], v[190:191], v[188:189], -v[136:137]
	v_mul_f64 v[190:191], v[190:191], v[138:139]
	v_fmac_f64_e32 v[190:191], v[192:193], v[188:189]
	v_add_f64 v[18:19], v[18:19], -v[190:191]
	ds_read2_b64 v[190:193], v241 offset0:84 offset1:85
	v_add_f64 v[16:17], v[16:17], -v[136:137]
	s_waitcnt lgkmcnt(0)
	v_mul_f64 v[136:137], v[192:193], v[138:139]
	v_fma_f64 v[136:137], v[190:191], v[188:189], -v[136:137]
	v_mul_f64 v[190:191], v[190:191], v[138:139]
	v_fmac_f64_e32 v[190:191], v[192:193], v[188:189]
	v_add_f64 v[14:15], v[14:15], -v[190:191]
	ds_read2_b64 v[190:193], v241 offset0:86 offset1:87
	v_add_f64 v[12:13], v[12:13], -v[136:137]
	s_waitcnt lgkmcnt(0)
	v_mul_f64 v[136:137], v[192:193], v[138:139]
	v_fma_f64 v[136:137], v[190:191], v[188:189], -v[136:137]
	v_mul_f64 v[190:191], v[190:191], v[138:139]
	v_fmac_f64_e32 v[190:191], v[192:193], v[188:189]
	v_add_f64 v[10:11], v[10:11], -v[190:191]
	ds_read2_b64 v[190:193], v241 offset0:88 offset1:89
	v_add_f64 v[8:9], v[8:9], -v[136:137]
	s_waitcnt lgkmcnt(0)
	v_mul_f64 v[136:137], v[192:193], v[138:139]
	v_fma_f64 v[136:137], v[190:191], v[188:189], -v[136:137]
	v_mul_f64 v[190:191], v[190:191], v[138:139]
	v_fmac_f64_e32 v[190:191], v[192:193], v[188:189]
	v_add_f64 v[6:7], v[6:7], -v[190:191]
	ds_read2_b64 v[190:193], v241 offset0:90 offset1:91
	v_add_f64 v[4:5], v[4:5], -v[136:137]
	s_waitcnt lgkmcnt(0)
	v_mul_f64 v[136:137], v[192:193], v[138:139]
	v_fma_f64 v[136:137], v[190:191], v[188:189], -v[136:137]
	v_mul_f64 v[190:191], v[190:191], v[138:139]
	v_fmac_f64_e32 v[190:191], v[192:193], v[188:189]
	v_add_f64 v[2:3], v[2:3], -v[190:191]
	ds_read2_b64 v[190:193], v241 offset0:92 offset1:93
	v_add_f64 v[0:1], v[0:1], -v[136:137]
	s_waitcnt lgkmcnt(0)
	v_mul_f64 v[136:137], v[192:193], v[138:139]
	v_fma_f64 v[136:137], v[190:191], v[188:189], -v[136:137]
	v_mul_f64 v[190:191], v[190:191], v[138:139]
	v_fmac_f64_e32 v[190:191], v[192:193], v[188:189]
	v_add_f64 v[184:185], v[184:185], -v[136:137]
	v_add_f64 v[186:187], v[186:187], -v[190:191]
	v_mov_b64_e32 v[136:137], v[188:189]
.LBB93_109:
	s_or_b64 exec, exec, s[2:3]
	v_cmp_eq_u32_e32 vcc, 12, v254
	s_waitcnt vmcnt(63) expcnt(7) lgkmcnt(15)
	s_barrier
	s_and_saveexec_b64 s[4:5], vcc
	s_cbranch_execz .LBB93_116
; %bb.110:
	ds_write2_b64 v255, v[132:133], v[134:135] offset1:1
	ds_write2_b64 v241, v[128:129], v[130:131] offset0:26 offset1:27
	ds_write2_b64 v241, v[124:125], v[126:127] offset0:28 offset1:29
	;; [unrolled: 1-line block ×18, first 2 shown]
	s_waitcnt vmcnt(41)
	ds_write2_b64 v241, v[56:57], v[58:59] offset0:62 offset1:63
	s_waitcnt vmcnt(39)
	ds_write2_b64 v241, v[52:53], v[54:55] offset0:64 offset1:65
	;; [unrolled: 2-line block ×14, first 2 shown]
	ds_write2_b64 v241, v[0:1], v[2:3] offset0:90 offset1:91
	s_waitcnt vmcnt(25)
	ds_write2_b64 v241, v[184:185], v[186:187] offset0:92 offset1:93
	ds_read2_b64 v[188:191], v255 offset1:1
	s_waitcnt lgkmcnt(0)
	v_cmp_neq_f64_e32 vcc, 0, v[188:189]
	v_cmp_neq_f64_e64 s[2:3], 0, v[190:191]
	s_or_b64 s[2:3], vcc, s[2:3]
	s_and_b64 exec, exec, s[2:3]
	s_cbranch_execz .LBB93_116
; %bb.111:
	v_cmp_ngt_f64_e64 s[2:3], |v[188:189]|, |v[190:191]|
                                        ; implicit-def: $vgpr192_vgpr193
	s_and_saveexec_b64 s[10:11], s[2:3]
	s_xor_b64 s[2:3], exec, s[10:11]
                                        ; implicit-def: $vgpr194_vgpr195
	s_cbranch_execz .LBB93_113
; %bb.112:
	v_div_scale_f64 v[192:193], s[10:11], v[190:191], v[190:191], v[188:189]
	v_rcp_f64_e32 v[194:195], v[192:193]
	v_div_scale_f64 v[196:197], vcc, v[188:189], v[190:191], v[188:189]
	v_fma_f64 v[198:199], -v[192:193], v[194:195], 1.0
	v_fmac_f64_e32 v[194:195], v[194:195], v[198:199]
	v_fma_f64 v[198:199], -v[192:193], v[194:195], 1.0
	v_fmac_f64_e32 v[194:195], v[194:195], v[198:199]
	v_mul_f64 v[198:199], v[196:197], v[194:195]
	v_fma_f64 v[192:193], -v[192:193], v[198:199], v[196:197]
	v_div_fmas_f64 v[192:193], v[192:193], v[194:195], v[198:199]
	v_div_fixup_f64 v[192:193], v[192:193], v[190:191], v[188:189]
	v_fmac_f64_e32 v[190:191], v[188:189], v[192:193]
	v_div_scale_f64 v[188:189], s[10:11], v[190:191], v[190:191], 1.0
	v_rcp_f64_e32 v[194:195], v[188:189]
	s_nop 0
	v_fma_f64 v[196:197], -v[188:189], v[194:195], 1.0
	v_fmac_f64_e32 v[194:195], v[194:195], v[196:197]
	v_fma_f64 v[196:197], -v[188:189], v[194:195], 1.0
	v_fmac_f64_e32 v[194:195], v[194:195], v[196:197]
	v_div_scale_f64 v[196:197], vcc, 1.0, v[190:191], 1.0
	v_mul_f64 v[198:199], v[196:197], v[194:195]
	v_fma_f64 v[188:189], -v[188:189], v[198:199], v[196:197]
	s_nop 1
	v_div_fmas_f64 v[188:189], v[188:189], v[194:195], v[198:199]
	v_div_fixup_f64 v[194:195], v[188:189], v[190:191], 1.0
	v_mul_f64 v[192:193], v[192:193], v[194:195]
	v_xor_b32_e32 v195, 0x80000000, v195
                                        ; implicit-def: $vgpr188_vgpr189
.LBB93_113:
	s_andn2_saveexec_b64 s[2:3], s[2:3]
	s_cbranch_execz .LBB93_115
; %bb.114:
	v_div_scale_f64 v[192:193], s[10:11], v[188:189], v[188:189], v[190:191]
	v_rcp_f64_e32 v[194:195], v[192:193]
	v_div_scale_f64 v[196:197], vcc, v[190:191], v[188:189], v[190:191]
	v_fma_f64 v[198:199], -v[192:193], v[194:195], 1.0
	v_fmac_f64_e32 v[194:195], v[194:195], v[198:199]
	v_fma_f64 v[198:199], -v[192:193], v[194:195], 1.0
	v_fmac_f64_e32 v[194:195], v[194:195], v[198:199]
	v_mul_f64 v[198:199], v[196:197], v[194:195]
	v_fma_f64 v[192:193], -v[192:193], v[198:199], v[196:197]
	v_div_fmas_f64 v[192:193], v[192:193], v[194:195], v[198:199]
	v_div_fixup_f64 v[194:195], v[192:193], v[188:189], v[190:191]
	v_fmac_f64_e32 v[188:189], v[190:191], v[194:195]
	v_div_scale_f64 v[190:191], s[10:11], v[188:189], v[188:189], 1.0
	v_rcp_f64_e32 v[192:193], v[190:191]
	s_nop 0
	v_fma_f64 v[196:197], -v[190:191], v[192:193], 1.0
	v_fmac_f64_e32 v[192:193], v[192:193], v[196:197]
	v_fma_f64 v[196:197], -v[190:191], v[192:193], 1.0
	v_fmac_f64_e32 v[192:193], v[192:193], v[196:197]
	v_div_scale_f64 v[196:197], vcc, 1.0, v[188:189], 1.0
	v_mul_f64 v[198:199], v[196:197], v[192:193]
	v_fma_f64 v[190:191], -v[190:191], v[198:199], v[196:197]
	s_nop 1
	v_div_fmas_f64 v[190:191], v[190:191], v[192:193], v[198:199]
	v_div_fixup_f64 v[192:193], v[190:191], v[188:189], 1.0
	v_mul_f64 v[194:195], v[194:195], -v[192:193]
.LBB93_115:
	s_or_b64 exec, exec, s[2:3]
	ds_write2_b64 v255, v[192:193], v[194:195] offset1:1
.LBB93_116:
	s_or_b64 exec, exec, s[4:5]
	s_waitcnt lgkmcnt(0)
	s_barrier
	ds_read2_b64 v[188:191], v255 offset1:1
	v_cmp_lt_u32_e32 vcc, 12, v254
	s_waitcnt lgkmcnt(0)
	scratch_store_dwordx4 off, v[188:191], off offset:528 ; 16-byte Folded Spill
	s_and_saveexec_b64 s[2:3], vcc
	s_cbranch_execz .LBB93_118
; %bb.117:
	scratch_load_dwordx4 v[190:193], off, off offset:528 ; 16-byte Folded Reload
	s_waitcnt vmcnt(0)
	v_mul_f64 v[188:189], v[192:193], v[134:135]
	v_mul_f64 v[134:135], v[190:191], v[134:135]
	v_fma_f64 v[188:189], v[190:191], v[132:133], -v[188:189]
	v_fmac_f64_e32 v[134:135], v[192:193], v[132:133]
	ds_read2_b64 v[190:193], v241 offset0:26 offset1:27
	s_waitcnt lgkmcnt(0)
	v_mul_f64 v[132:133], v[192:193], v[134:135]
	v_fma_f64 v[132:133], v[190:191], v[188:189], -v[132:133]
	v_mul_f64 v[190:191], v[190:191], v[134:135]
	v_fmac_f64_e32 v[190:191], v[192:193], v[188:189]
	v_add_f64 v[130:131], v[130:131], -v[190:191]
	ds_read2_b64 v[190:193], v241 offset0:28 offset1:29
	v_add_f64 v[128:129], v[128:129], -v[132:133]
	s_waitcnt lgkmcnt(0)
	v_mul_f64 v[132:133], v[192:193], v[134:135]
	v_fma_f64 v[132:133], v[190:191], v[188:189], -v[132:133]
	v_mul_f64 v[190:191], v[190:191], v[134:135]
	v_fmac_f64_e32 v[190:191], v[192:193], v[188:189]
	v_add_f64 v[126:127], v[126:127], -v[190:191]
	ds_read2_b64 v[190:193], v241 offset0:30 offset1:31
	v_add_f64 v[124:125], v[124:125], -v[132:133]
	;; [unrolled: 8-line block ×33, first 2 shown]
	s_waitcnt lgkmcnt(0)
	v_mul_f64 v[132:133], v[192:193], v[134:135]
	v_fma_f64 v[132:133], v[190:191], v[188:189], -v[132:133]
	v_mul_f64 v[190:191], v[190:191], v[134:135]
	v_fmac_f64_e32 v[190:191], v[192:193], v[188:189]
	v_add_f64 v[184:185], v[184:185], -v[132:133]
	v_add_f64 v[186:187], v[186:187], -v[190:191]
	v_mov_b64_e32 v[132:133], v[188:189]
.LBB93_118:
	s_or_b64 exec, exec, s[2:3]
	v_cmp_eq_u32_e32 vcc, 13, v254
	s_waitcnt vmcnt(63) expcnt(7) lgkmcnt(15)
	s_barrier
	s_and_saveexec_b64 s[4:5], vcc
	s_cbranch_execz .LBB93_125
; %bb.119:
	ds_write2_b64 v255, v[128:129], v[130:131] offset1:1
	ds_write2_b64 v241, v[124:125], v[126:127] offset0:28 offset1:29
	ds_write2_b64 v241, v[120:121], v[122:123] offset0:30 offset1:31
	;; [unrolled: 1-line block ×17, first 2 shown]
	s_waitcnt vmcnt(42)
	ds_write2_b64 v241, v[56:57], v[58:59] offset0:62 offset1:63
	s_waitcnt vmcnt(40)
	ds_write2_b64 v241, v[52:53], v[54:55] offset0:64 offset1:65
	;; [unrolled: 2-line block ×14, first 2 shown]
	ds_write2_b64 v241, v[0:1], v[2:3] offset0:90 offset1:91
	s_waitcnt vmcnt(26)
	ds_write2_b64 v241, v[184:185], v[186:187] offset0:92 offset1:93
	ds_read2_b64 v[188:191], v255 offset1:1
	s_waitcnt lgkmcnt(0)
	v_cmp_neq_f64_e32 vcc, 0, v[188:189]
	v_cmp_neq_f64_e64 s[2:3], 0, v[190:191]
	s_or_b64 s[2:3], vcc, s[2:3]
	s_and_b64 exec, exec, s[2:3]
	s_cbranch_execz .LBB93_125
; %bb.120:
	v_cmp_ngt_f64_e64 s[2:3], |v[188:189]|, |v[190:191]|
                                        ; implicit-def: $vgpr192_vgpr193
	s_and_saveexec_b64 s[10:11], s[2:3]
	s_xor_b64 s[2:3], exec, s[10:11]
                                        ; implicit-def: $vgpr194_vgpr195
	s_cbranch_execz .LBB93_122
; %bb.121:
	v_div_scale_f64 v[192:193], s[10:11], v[190:191], v[190:191], v[188:189]
	v_rcp_f64_e32 v[194:195], v[192:193]
	v_div_scale_f64 v[196:197], vcc, v[188:189], v[190:191], v[188:189]
	v_fma_f64 v[198:199], -v[192:193], v[194:195], 1.0
	v_fmac_f64_e32 v[194:195], v[194:195], v[198:199]
	v_fma_f64 v[198:199], -v[192:193], v[194:195], 1.0
	v_fmac_f64_e32 v[194:195], v[194:195], v[198:199]
	v_mul_f64 v[198:199], v[196:197], v[194:195]
	v_fma_f64 v[192:193], -v[192:193], v[198:199], v[196:197]
	v_div_fmas_f64 v[192:193], v[192:193], v[194:195], v[198:199]
	v_div_fixup_f64 v[192:193], v[192:193], v[190:191], v[188:189]
	v_fmac_f64_e32 v[190:191], v[188:189], v[192:193]
	v_div_scale_f64 v[188:189], s[10:11], v[190:191], v[190:191], 1.0
	v_rcp_f64_e32 v[194:195], v[188:189]
	s_nop 0
	v_fma_f64 v[196:197], -v[188:189], v[194:195], 1.0
	v_fmac_f64_e32 v[194:195], v[194:195], v[196:197]
	v_fma_f64 v[196:197], -v[188:189], v[194:195], 1.0
	v_fmac_f64_e32 v[194:195], v[194:195], v[196:197]
	v_div_scale_f64 v[196:197], vcc, 1.0, v[190:191], 1.0
	v_mul_f64 v[198:199], v[196:197], v[194:195]
	v_fma_f64 v[188:189], -v[188:189], v[198:199], v[196:197]
	s_nop 1
	v_div_fmas_f64 v[188:189], v[188:189], v[194:195], v[198:199]
	v_div_fixup_f64 v[194:195], v[188:189], v[190:191], 1.0
	v_mul_f64 v[192:193], v[192:193], v[194:195]
	v_xor_b32_e32 v195, 0x80000000, v195
                                        ; implicit-def: $vgpr188_vgpr189
.LBB93_122:
	s_andn2_saveexec_b64 s[2:3], s[2:3]
	s_cbranch_execz .LBB93_124
; %bb.123:
	v_div_scale_f64 v[192:193], s[10:11], v[188:189], v[188:189], v[190:191]
	v_rcp_f64_e32 v[194:195], v[192:193]
	v_div_scale_f64 v[196:197], vcc, v[190:191], v[188:189], v[190:191]
	v_fma_f64 v[198:199], -v[192:193], v[194:195], 1.0
	v_fmac_f64_e32 v[194:195], v[194:195], v[198:199]
	v_fma_f64 v[198:199], -v[192:193], v[194:195], 1.0
	v_fmac_f64_e32 v[194:195], v[194:195], v[198:199]
	v_mul_f64 v[198:199], v[196:197], v[194:195]
	v_fma_f64 v[192:193], -v[192:193], v[198:199], v[196:197]
	v_div_fmas_f64 v[192:193], v[192:193], v[194:195], v[198:199]
	v_div_fixup_f64 v[194:195], v[192:193], v[188:189], v[190:191]
	v_fmac_f64_e32 v[188:189], v[190:191], v[194:195]
	v_div_scale_f64 v[190:191], s[10:11], v[188:189], v[188:189], 1.0
	v_rcp_f64_e32 v[192:193], v[190:191]
	s_nop 0
	v_fma_f64 v[196:197], -v[190:191], v[192:193], 1.0
	v_fmac_f64_e32 v[192:193], v[192:193], v[196:197]
	v_fma_f64 v[196:197], -v[190:191], v[192:193], 1.0
	v_fmac_f64_e32 v[192:193], v[192:193], v[196:197]
	v_div_scale_f64 v[196:197], vcc, 1.0, v[188:189], 1.0
	v_mul_f64 v[198:199], v[196:197], v[192:193]
	v_fma_f64 v[190:191], -v[190:191], v[198:199], v[196:197]
	s_nop 1
	v_div_fmas_f64 v[190:191], v[190:191], v[192:193], v[198:199]
	v_div_fixup_f64 v[192:193], v[190:191], v[188:189], 1.0
	v_mul_f64 v[194:195], v[194:195], -v[192:193]
.LBB93_124:
	s_or_b64 exec, exec, s[2:3]
	ds_write2_b64 v255, v[192:193], v[194:195] offset1:1
.LBB93_125:
	s_or_b64 exec, exec, s[4:5]
	s_waitcnt lgkmcnt(0)
	s_barrier
	ds_read2_b64 v[188:191], v255 offset1:1
	v_cmp_lt_u32_e32 vcc, 13, v254
	s_waitcnt lgkmcnt(0)
	scratch_store_dwordx4 off, v[188:191], off offset:544 ; 16-byte Folded Spill
	s_and_saveexec_b64 s[2:3], vcc
	s_cbranch_execz .LBB93_127
; %bb.126:
	scratch_load_dwordx4 v[190:193], off, off offset:544 ; 16-byte Folded Reload
	s_waitcnt vmcnt(0)
	v_mul_f64 v[188:189], v[192:193], v[130:131]
	v_mul_f64 v[130:131], v[190:191], v[130:131]
	v_fma_f64 v[188:189], v[190:191], v[128:129], -v[188:189]
	v_fmac_f64_e32 v[130:131], v[192:193], v[128:129]
	ds_read2_b64 v[190:193], v241 offset0:28 offset1:29
	s_waitcnt lgkmcnt(0)
	v_mul_f64 v[128:129], v[192:193], v[130:131]
	v_fma_f64 v[128:129], v[190:191], v[188:189], -v[128:129]
	v_mul_f64 v[190:191], v[190:191], v[130:131]
	v_fmac_f64_e32 v[190:191], v[192:193], v[188:189]
	v_add_f64 v[126:127], v[126:127], -v[190:191]
	ds_read2_b64 v[190:193], v241 offset0:30 offset1:31
	v_add_f64 v[124:125], v[124:125], -v[128:129]
	s_waitcnt lgkmcnt(0)
	v_mul_f64 v[128:129], v[192:193], v[130:131]
	v_fma_f64 v[128:129], v[190:191], v[188:189], -v[128:129]
	v_mul_f64 v[190:191], v[190:191], v[130:131]
	v_fmac_f64_e32 v[190:191], v[192:193], v[188:189]
	v_add_f64 v[122:123], v[122:123], -v[190:191]
	ds_read2_b64 v[190:193], v241 offset0:32 offset1:33
	v_add_f64 v[120:121], v[120:121], -v[128:129]
	;; [unrolled: 8-line block ×32, first 2 shown]
	s_waitcnt lgkmcnt(0)
	v_mul_f64 v[128:129], v[192:193], v[130:131]
	v_fma_f64 v[128:129], v[190:191], v[188:189], -v[128:129]
	v_mul_f64 v[190:191], v[190:191], v[130:131]
	v_fmac_f64_e32 v[190:191], v[192:193], v[188:189]
	v_add_f64 v[184:185], v[184:185], -v[128:129]
	v_add_f64 v[186:187], v[186:187], -v[190:191]
	v_mov_b64_e32 v[128:129], v[188:189]
.LBB93_127:
	s_or_b64 exec, exec, s[2:3]
	v_cmp_eq_u32_e32 vcc, 14, v254
	s_waitcnt vmcnt(63) expcnt(7) lgkmcnt(15)
	s_barrier
	s_and_saveexec_b64 s[4:5], vcc
	s_cbranch_execz .LBB93_134
; %bb.128:
	ds_write2_b64 v255, v[124:125], v[126:127] offset1:1
	ds_write2_b64 v241, v[120:121], v[122:123] offset0:30 offset1:31
	ds_write2_b64 v241, v[116:117], v[118:119] offset0:32 offset1:33
	;; [unrolled: 1-line block ×16, first 2 shown]
	s_waitcnt vmcnt(43)
	ds_write2_b64 v241, v[56:57], v[58:59] offset0:62 offset1:63
	s_waitcnt vmcnt(41)
	ds_write2_b64 v241, v[52:53], v[54:55] offset0:64 offset1:65
	;; [unrolled: 2-line block ×14, first 2 shown]
	ds_write2_b64 v241, v[0:1], v[2:3] offset0:90 offset1:91
	s_waitcnt vmcnt(27)
	ds_write2_b64 v241, v[184:185], v[186:187] offset0:92 offset1:93
	ds_read2_b64 v[188:191], v255 offset1:1
	s_waitcnt lgkmcnt(0)
	v_cmp_neq_f64_e32 vcc, 0, v[188:189]
	v_cmp_neq_f64_e64 s[2:3], 0, v[190:191]
	s_or_b64 s[2:3], vcc, s[2:3]
	s_and_b64 exec, exec, s[2:3]
	s_cbranch_execz .LBB93_134
; %bb.129:
	v_cmp_ngt_f64_e64 s[2:3], |v[188:189]|, |v[190:191]|
                                        ; implicit-def: $vgpr192_vgpr193
	s_and_saveexec_b64 s[10:11], s[2:3]
	s_xor_b64 s[2:3], exec, s[10:11]
                                        ; implicit-def: $vgpr194_vgpr195
	s_cbranch_execz .LBB93_131
; %bb.130:
	v_div_scale_f64 v[192:193], s[10:11], v[190:191], v[190:191], v[188:189]
	v_rcp_f64_e32 v[194:195], v[192:193]
	v_div_scale_f64 v[196:197], vcc, v[188:189], v[190:191], v[188:189]
	v_fma_f64 v[198:199], -v[192:193], v[194:195], 1.0
	v_fmac_f64_e32 v[194:195], v[194:195], v[198:199]
	v_fma_f64 v[198:199], -v[192:193], v[194:195], 1.0
	v_fmac_f64_e32 v[194:195], v[194:195], v[198:199]
	v_mul_f64 v[198:199], v[196:197], v[194:195]
	v_fma_f64 v[192:193], -v[192:193], v[198:199], v[196:197]
	v_div_fmas_f64 v[192:193], v[192:193], v[194:195], v[198:199]
	v_div_fixup_f64 v[192:193], v[192:193], v[190:191], v[188:189]
	v_fmac_f64_e32 v[190:191], v[188:189], v[192:193]
	v_div_scale_f64 v[188:189], s[10:11], v[190:191], v[190:191], 1.0
	v_rcp_f64_e32 v[194:195], v[188:189]
	s_nop 0
	v_fma_f64 v[196:197], -v[188:189], v[194:195], 1.0
	v_fmac_f64_e32 v[194:195], v[194:195], v[196:197]
	v_fma_f64 v[196:197], -v[188:189], v[194:195], 1.0
	v_fmac_f64_e32 v[194:195], v[194:195], v[196:197]
	v_div_scale_f64 v[196:197], vcc, 1.0, v[190:191], 1.0
	v_mul_f64 v[198:199], v[196:197], v[194:195]
	v_fma_f64 v[188:189], -v[188:189], v[198:199], v[196:197]
	s_nop 1
	v_div_fmas_f64 v[188:189], v[188:189], v[194:195], v[198:199]
	v_div_fixup_f64 v[194:195], v[188:189], v[190:191], 1.0
	v_mul_f64 v[192:193], v[192:193], v[194:195]
	v_xor_b32_e32 v195, 0x80000000, v195
                                        ; implicit-def: $vgpr188_vgpr189
.LBB93_131:
	s_andn2_saveexec_b64 s[2:3], s[2:3]
	s_cbranch_execz .LBB93_133
; %bb.132:
	v_div_scale_f64 v[192:193], s[10:11], v[188:189], v[188:189], v[190:191]
	v_rcp_f64_e32 v[194:195], v[192:193]
	v_div_scale_f64 v[196:197], vcc, v[190:191], v[188:189], v[190:191]
	v_fma_f64 v[198:199], -v[192:193], v[194:195], 1.0
	v_fmac_f64_e32 v[194:195], v[194:195], v[198:199]
	v_fma_f64 v[198:199], -v[192:193], v[194:195], 1.0
	v_fmac_f64_e32 v[194:195], v[194:195], v[198:199]
	v_mul_f64 v[198:199], v[196:197], v[194:195]
	v_fma_f64 v[192:193], -v[192:193], v[198:199], v[196:197]
	v_div_fmas_f64 v[192:193], v[192:193], v[194:195], v[198:199]
	v_div_fixup_f64 v[194:195], v[192:193], v[188:189], v[190:191]
	v_fmac_f64_e32 v[188:189], v[190:191], v[194:195]
	v_div_scale_f64 v[190:191], s[10:11], v[188:189], v[188:189], 1.0
	v_rcp_f64_e32 v[192:193], v[190:191]
	s_nop 0
	v_fma_f64 v[196:197], -v[190:191], v[192:193], 1.0
	v_fmac_f64_e32 v[192:193], v[192:193], v[196:197]
	v_fma_f64 v[196:197], -v[190:191], v[192:193], 1.0
	v_fmac_f64_e32 v[192:193], v[192:193], v[196:197]
	v_div_scale_f64 v[196:197], vcc, 1.0, v[188:189], 1.0
	v_mul_f64 v[198:199], v[196:197], v[192:193]
	v_fma_f64 v[190:191], -v[190:191], v[198:199], v[196:197]
	s_nop 1
	v_div_fmas_f64 v[190:191], v[190:191], v[192:193], v[198:199]
	v_div_fixup_f64 v[192:193], v[190:191], v[188:189], 1.0
	v_mul_f64 v[194:195], v[194:195], -v[192:193]
.LBB93_133:
	s_or_b64 exec, exec, s[2:3]
	ds_write2_b64 v255, v[192:193], v[194:195] offset1:1
.LBB93_134:
	s_or_b64 exec, exec, s[4:5]
	s_waitcnt lgkmcnt(0)
	s_barrier
	ds_read2_b64 v[188:191], v255 offset1:1
	v_cmp_lt_u32_e32 vcc, 14, v254
	s_waitcnt lgkmcnt(0)
	scratch_store_dwordx4 off, v[188:191], off offset:560 ; 16-byte Folded Spill
	s_and_saveexec_b64 s[2:3], vcc
	s_cbranch_execz .LBB93_136
; %bb.135:
	scratch_load_dwordx4 v[190:193], off, off offset:560 ; 16-byte Folded Reload
	s_waitcnt vmcnt(0)
	v_mul_f64 v[188:189], v[192:193], v[126:127]
	v_mul_f64 v[126:127], v[190:191], v[126:127]
	v_fma_f64 v[188:189], v[190:191], v[124:125], -v[188:189]
	v_fmac_f64_e32 v[126:127], v[192:193], v[124:125]
	ds_read2_b64 v[190:193], v241 offset0:30 offset1:31
	s_waitcnt lgkmcnt(0)
	v_mul_f64 v[124:125], v[192:193], v[126:127]
	v_fma_f64 v[124:125], v[190:191], v[188:189], -v[124:125]
	v_mul_f64 v[190:191], v[190:191], v[126:127]
	v_fmac_f64_e32 v[190:191], v[192:193], v[188:189]
	v_add_f64 v[122:123], v[122:123], -v[190:191]
	ds_read2_b64 v[190:193], v241 offset0:32 offset1:33
	v_add_f64 v[120:121], v[120:121], -v[124:125]
	s_waitcnt lgkmcnt(0)
	v_mul_f64 v[124:125], v[192:193], v[126:127]
	v_fma_f64 v[124:125], v[190:191], v[188:189], -v[124:125]
	v_mul_f64 v[190:191], v[190:191], v[126:127]
	v_fmac_f64_e32 v[190:191], v[192:193], v[188:189]
	v_add_f64 v[118:119], v[118:119], -v[190:191]
	ds_read2_b64 v[190:193], v241 offset0:34 offset1:35
	v_add_f64 v[116:117], v[116:117], -v[124:125]
	;; [unrolled: 8-line block ×31, first 2 shown]
	s_waitcnt lgkmcnt(0)
	v_mul_f64 v[124:125], v[192:193], v[126:127]
	v_fma_f64 v[124:125], v[190:191], v[188:189], -v[124:125]
	v_mul_f64 v[190:191], v[190:191], v[126:127]
	v_fmac_f64_e32 v[190:191], v[192:193], v[188:189]
	v_add_f64 v[184:185], v[184:185], -v[124:125]
	v_add_f64 v[186:187], v[186:187], -v[190:191]
	v_mov_b64_e32 v[124:125], v[188:189]
.LBB93_136:
	s_or_b64 exec, exec, s[2:3]
	v_cmp_eq_u32_e32 vcc, 15, v254
	s_waitcnt vmcnt(63) expcnt(7) lgkmcnt(15)
	s_barrier
	s_and_saveexec_b64 s[4:5], vcc
	s_cbranch_execz .LBB93_143
; %bb.137:
	ds_write2_b64 v255, v[120:121], v[122:123] offset1:1
	ds_write2_b64 v241, v[116:117], v[118:119] offset0:32 offset1:33
	ds_write2_b64 v241, v[112:113], v[114:115] offset0:34 offset1:35
	ds_write2_b64 v241, v[108:109], v[110:111] offset0:36 offset1:37
	ds_write2_b64 v241, v[104:105], v[106:107] offset0:38 offset1:39
	ds_write2_b64 v241, v[100:101], v[102:103] offset0:40 offset1:41
	ds_write2_b64 v241, v[96:97], v[98:99] offset0:42 offset1:43
	ds_write2_b64 v241, v[92:93], v[94:95] offset0:44 offset1:45
	ds_write2_b64 v241, v[88:89], v[90:91] offset0:46 offset1:47
	ds_write2_b64 v241, v[84:85], v[86:87] offset0:48 offset1:49
	ds_write2_b64 v241, v[80:81], v[82:83] offset0:50 offset1:51
	ds_write2_b64 v241, v[76:77], v[78:79] offset0:52 offset1:53
	ds_write2_b64 v241, v[72:73], v[74:75] offset0:54 offset1:55
	ds_write2_b64 v241, v[68:69], v[70:71] offset0:56 offset1:57
	ds_write2_b64 v241, v[64:65], v[66:67] offset0:58 offset1:59
	ds_write2_b64 v241, v[60:61], v[62:63] offset0:60 offset1:61
	s_waitcnt vmcnt(44)
	ds_write2_b64 v241, v[56:57], v[58:59] offset0:62 offset1:63
	s_waitcnt vmcnt(42)
	ds_write2_b64 v241, v[52:53], v[54:55] offset0:64 offset1:65
	;; [unrolled: 2-line block ×14, first 2 shown]
	ds_write2_b64 v241, v[0:1], v[2:3] offset0:90 offset1:91
	s_waitcnt vmcnt(28)
	ds_write2_b64 v241, v[184:185], v[186:187] offset0:92 offset1:93
	ds_read2_b64 v[188:191], v255 offset1:1
	s_waitcnt lgkmcnt(0)
	v_cmp_neq_f64_e32 vcc, 0, v[188:189]
	v_cmp_neq_f64_e64 s[2:3], 0, v[190:191]
	s_or_b64 s[2:3], vcc, s[2:3]
	s_and_b64 exec, exec, s[2:3]
	s_cbranch_execz .LBB93_143
; %bb.138:
	v_cmp_ngt_f64_e64 s[2:3], |v[188:189]|, |v[190:191]|
                                        ; implicit-def: $vgpr192_vgpr193
	s_and_saveexec_b64 s[10:11], s[2:3]
	s_xor_b64 s[2:3], exec, s[10:11]
                                        ; implicit-def: $vgpr194_vgpr195
	s_cbranch_execz .LBB93_140
; %bb.139:
	v_div_scale_f64 v[192:193], s[10:11], v[190:191], v[190:191], v[188:189]
	v_rcp_f64_e32 v[194:195], v[192:193]
	v_div_scale_f64 v[196:197], vcc, v[188:189], v[190:191], v[188:189]
	v_fma_f64 v[198:199], -v[192:193], v[194:195], 1.0
	v_fmac_f64_e32 v[194:195], v[194:195], v[198:199]
	v_fma_f64 v[198:199], -v[192:193], v[194:195], 1.0
	v_fmac_f64_e32 v[194:195], v[194:195], v[198:199]
	v_mul_f64 v[198:199], v[196:197], v[194:195]
	v_fma_f64 v[192:193], -v[192:193], v[198:199], v[196:197]
	v_div_fmas_f64 v[192:193], v[192:193], v[194:195], v[198:199]
	v_div_fixup_f64 v[192:193], v[192:193], v[190:191], v[188:189]
	v_fmac_f64_e32 v[190:191], v[188:189], v[192:193]
	v_div_scale_f64 v[188:189], s[10:11], v[190:191], v[190:191], 1.0
	v_rcp_f64_e32 v[194:195], v[188:189]
	s_nop 0
	v_fma_f64 v[196:197], -v[188:189], v[194:195], 1.0
	v_fmac_f64_e32 v[194:195], v[194:195], v[196:197]
	v_fma_f64 v[196:197], -v[188:189], v[194:195], 1.0
	v_fmac_f64_e32 v[194:195], v[194:195], v[196:197]
	v_div_scale_f64 v[196:197], vcc, 1.0, v[190:191], 1.0
	v_mul_f64 v[198:199], v[196:197], v[194:195]
	v_fma_f64 v[188:189], -v[188:189], v[198:199], v[196:197]
	s_nop 1
	v_div_fmas_f64 v[188:189], v[188:189], v[194:195], v[198:199]
	v_div_fixup_f64 v[194:195], v[188:189], v[190:191], 1.0
	v_mul_f64 v[192:193], v[192:193], v[194:195]
	v_xor_b32_e32 v195, 0x80000000, v195
                                        ; implicit-def: $vgpr188_vgpr189
.LBB93_140:
	s_andn2_saveexec_b64 s[2:3], s[2:3]
	s_cbranch_execz .LBB93_142
; %bb.141:
	v_div_scale_f64 v[192:193], s[10:11], v[188:189], v[188:189], v[190:191]
	v_rcp_f64_e32 v[194:195], v[192:193]
	v_div_scale_f64 v[196:197], vcc, v[190:191], v[188:189], v[190:191]
	v_fma_f64 v[198:199], -v[192:193], v[194:195], 1.0
	v_fmac_f64_e32 v[194:195], v[194:195], v[198:199]
	v_fma_f64 v[198:199], -v[192:193], v[194:195], 1.0
	v_fmac_f64_e32 v[194:195], v[194:195], v[198:199]
	v_mul_f64 v[198:199], v[196:197], v[194:195]
	v_fma_f64 v[192:193], -v[192:193], v[198:199], v[196:197]
	v_div_fmas_f64 v[192:193], v[192:193], v[194:195], v[198:199]
	v_div_fixup_f64 v[194:195], v[192:193], v[188:189], v[190:191]
	v_fmac_f64_e32 v[188:189], v[190:191], v[194:195]
	v_div_scale_f64 v[190:191], s[10:11], v[188:189], v[188:189], 1.0
	v_rcp_f64_e32 v[192:193], v[190:191]
	s_nop 0
	v_fma_f64 v[196:197], -v[190:191], v[192:193], 1.0
	v_fmac_f64_e32 v[192:193], v[192:193], v[196:197]
	v_fma_f64 v[196:197], -v[190:191], v[192:193], 1.0
	v_fmac_f64_e32 v[192:193], v[192:193], v[196:197]
	v_div_scale_f64 v[196:197], vcc, 1.0, v[188:189], 1.0
	v_mul_f64 v[198:199], v[196:197], v[192:193]
	v_fma_f64 v[190:191], -v[190:191], v[198:199], v[196:197]
	s_nop 1
	v_div_fmas_f64 v[190:191], v[190:191], v[192:193], v[198:199]
	v_div_fixup_f64 v[192:193], v[190:191], v[188:189], 1.0
	v_mul_f64 v[194:195], v[194:195], -v[192:193]
.LBB93_142:
	s_or_b64 exec, exec, s[2:3]
	ds_write2_b64 v255, v[192:193], v[194:195] offset1:1
.LBB93_143:
	s_or_b64 exec, exec, s[4:5]
	s_waitcnt lgkmcnt(0)
	s_barrier
	ds_read2_b64 v[188:191], v255 offset1:1
	v_cmp_lt_u32_e32 vcc, 15, v254
	s_waitcnt lgkmcnt(0)
	scratch_store_dwordx4 off, v[188:191], off offset:576 ; 16-byte Folded Spill
	s_and_saveexec_b64 s[2:3], vcc
	s_cbranch_execz .LBB93_145
; %bb.144:
	scratch_load_dwordx4 v[190:193], off, off offset:576 ; 16-byte Folded Reload
	s_waitcnt vmcnt(0)
	v_mul_f64 v[188:189], v[192:193], v[122:123]
	v_mul_f64 v[122:123], v[190:191], v[122:123]
	v_fma_f64 v[188:189], v[190:191], v[120:121], -v[188:189]
	v_fmac_f64_e32 v[122:123], v[192:193], v[120:121]
	ds_read2_b64 v[190:193], v241 offset0:32 offset1:33
	s_waitcnt lgkmcnt(0)
	v_mul_f64 v[120:121], v[192:193], v[122:123]
	v_fma_f64 v[120:121], v[190:191], v[188:189], -v[120:121]
	v_mul_f64 v[190:191], v[190:191], v[122:123]
	v_fmac_f64_e32 v[190:191], v[192:193], v[188:189]
	v_add_f64 v[118:119], v[118:119], -v[190:191]
	ds_read2_b64 v[190:193], v241 offset0:34 offset1:35
	v_add_f64 v[116:117], v[116:117], -v[120:121]
	s_waitcnt lgkmcnt(0)
	v_mul_f64 v[120:121], v[192:193], v[122:123]
	v_fma_f64 v[120:121], v[190:191], v[188:189], -v[120:121]
	v_mul_f64 v[190:191], v[190:191], v[122:123]
	v_fmac_f64_e32 v[190:191], v[192:193], v[188:189]
	v_add_f64 v[114:115], v[114:115], -v[190:191]
	ds_read2_b64 v[190:193], v241 offset0:36 offset1:37
	v_add_f64 v[112:113], v[112:113], -v[120:121]
	;; [unrolled: 8-line block ×30, first 2 shown]
	s_waitcnt lgkmcnt(0)
	v_mul_f64 v[120:121], v[192:193], v[122:123]
	v_fma_f64 v[120:121], v[190:191], v[188:189], -v[120:121]
	v_mul_f64 v[190:191], v[190:191], v[122:123]
	v_fmac_f64_e32 v[190:191], v[192:193], v[188:189]
	v_add_f64 v[184:185], v[184:185], -v[120:121]
	v_add_f64 v[186:187], v[186:187], -v[190:191]
	v_mov_b64_e32 v[120:121], v[188:189]
.LBB93_145:
	s_or_b64 exec, exec, s[2:3]
	v_cmp_eq_u32_e32 vcc, 16, v254
	s_waitcnt vmcnt(63) expcnt(7) lgkmcnt(15)
	s_barrier
	s_and_saveexec_b64 s[4:5], vcc
	s_cbranch_execz .LBB93_152
; %bb.146:
	ds_write2_b64 v255, v[116:117], v[118:119] offset1:1
	ds_write2_b64 v241, v[112:113], v[114:115] offset0:34 offset1:35
	ds_write2_b64 v241, v[108:109], v[110:111] offset0:36 offset1:37
	;; [unrolled: 1-line block ×14, first 2 shown]
	s_waitcnt vmcnt(45)
	ds_write2_b64 v241, v[56:57], v[58:59] offset0:62 offset1:63
	s_waitcnt vmcnt(43)
	ds_write2_b64 v241, v[52:53], v[54:55] offset0:64 offset1:65
	s_waitcnt vmcnt(42)
	ds_write2_b64 v241, v[48:49], v[50:51] offset0:66 offset1:67
	s_waitcnt vmcnt(41)
	ds_write2_b64 v241, v[44:45], v[46:47] offset0:68 offset1:69
	s_waitcnt vmcnt(40)
	ds_write2_b64 v241, v[40:41], v[42:43] offset0:70 offset1:71
	s_waitcnt vmcnt(39)
	ds_write2_b64 v241, v[36:37], v[38:39] offset0:72 offset1:73
	s_waitcnt vmcnt(38)
	ds_write2_b64 v241, v[32:33], v[34:35] offset0:74 offset1:75
	s_waitcnt vmcnt(37)
	ds_write2_b64 v241, v[28:29], v[30:31] offset0:76 offset1:77
	s_waitcnt vmcnt(36)
	ds_write2_b64 v241, v[24:25], v[26:27] offset0:78 offset1:79
	s_waitcnt vmcnt(35)
	ds_write2_b64 v241, v[20:21], v[22:23] offset0:80 offset1:81
	s_waitcnt vmcnt(34)
	ds_write2_b64 v241, v[16:17], v[18:19] offset0:82 offset1:83
	s_waitcnt vmcnt(33)
	ds_write2_b64 v241, v[12:13], v[14:15] offset0:84 offset1:85
	s_waitcnt vmcnt(32)
	ds_write2_b64 v241, v[8:9], v[10:11] offset0:86 offset1:87
	s_waitcnt vmcnt(31)
	ds_write2_b64 v241, v[4:5], v[6:7] offset0:88 offset1:89
	ds_write2_b64 v241, v[0:1], v[2:3] offset0:90 offset1:91
	s_waitcnt vmcnt(29)
	ds_write2_b64 v241, v[184:185], v[186:187] offset0:92 offset1:93
	ds_read2_b64 v[188:191], v255 offset1:1
	s_waitcnt lgkmcnt(0)
	v_cmp_neq_f64_e32 vcc, 0, v[188:189]
	v_cmp_neq_f64_e64 s[2:3], 0, v[190:191]
	s_or_b64 s[2:3], vcc, s[2:3]
	s_and_b64 exec, exec, s[2:3]
	s_cbranch_execz .LBB93_152
; %bb.147:
	v_cmp_ngt_f64_e64 s[2:3], |v[188:189]|, |v[190:191]|
                                        ; implicit-def: $vgpr192_vgpr193
	s_and_saveexec_b64 s[10:11], s[2:3]
	s_xor_b64 s[2:3], exec, s[10:11]
                                        ; implicit-def: $vgpr194_vgpr195
	s_cbranch_execz .LBB93_149
; %bb.148:
	v_div_scale_f64 v[192:193], s[10:11], v[190:191], v[190:191], v[188:189]
	v_rcp_f64_e32 v[194:195], v[192:193]
	v_div_scale_f64 v[196:197], vcc, v[188:189], v[190:191], v[188:189]
	v_fma_f64 v[198:199], -v[192:193], v[194:195], 1.0
	v_fmac_f64_e32 v[194:195], v[194:195], v[198:199]
	v_fma_f64 v[198:199], -v[192:193], v[194:195], 1.0
	v_fmac_f64_e32 v[194:195], v[194:195], v[198:199]
	v_mul_f64 v[198:199], v[196:197], v[194:195]
	v_fma_f64 v[192:193], -v[192:193], v[198:199], v[196:197]
	v_div_fmas_f64 v[192:193], v[192:193], v[194:195], v[198:199]
	v_div_fixup_f64 v[192:193], v[192:193], v[190:191], v[188:189]
	v_fmac_f64_e32 v[190:191], v[188:189], v[192:193]
	v_div_scale_f64 v[188:189], s[10:11], v[190:191], v[190:191], 1.0
	v_rcp_f64_e32 v[194:195], v[188:189]
	s_nop 0
	v_fma_f64 v[196:197], -v[188:189], v[194:195], 1.0
	v_fmac_f64_e32 v[194:195], v[194:195], v[196:197]
	v_fma_f64 v[196:197], -v[188:189], v[194:195], 1.0
	v_fmac_f64_e32 v[194:195], v[194:195], v[196:197]
	v_div_scale_f64 v[196:197], vcc, 1.0, v[190:191], 1.0
	v_mul_f64 v[198:199], v[196:197], v[194:195]
	v_fma_f64 v[188:189], -v[188:189], v[198:199], v[196:197]
	s_nop 1
	v_div_fmas_f64 v[188:189], v[188:189], v[194:195], v[198:199]
	v_div_fixup_f64 v[194:195], v[188:189], v[190:191], 1.0
	v_mul_f64 v[192:193], v[192:193], v[194:195]
	v_xor_b32_e32 v195, 0x80000000, v195
                                        ; implicit-def: $vgpr188_vgpr189
.LBB93_149:
	s_andn2_saveexec_b64 s[2:3], s[2:3]
	s_cbranch_execz .LBB93_151
; %bb.150:
	v_div_scale_f64 v[192:193], s[10:11], v[188:189], v[188:189], v[190:191]
	v_rcp_f64_e32 v[194:195], v[192:193]
	v_div_scale_f64 v[196:197], vcc, v[190:191], v[188:189], v[190:191]
	v_fma_f64 v[198:199], -v[192:193], v[194:195], 1.0
	v_fmac_f64_e32 v[194:195], v[194:195], v[198:199]
	v_fma_f64 v[198:199], -v[192:193], v[194:195], 1.0
	v_fmac_f64_e32 v[194:195], v[194:195], v[198:199]
	v_mul_f64 v[198:199], v[196:197], v[194:195]
	v_fma_f64 v[192:193], -v[192:193], v[198:199], v[196:197]
	v_div_fmas_f64 v[192:193], v[192:193], v[194:195], v[198:199]
	v_div_fixup_f64 v[194:195], v[192:193], v[188:189], v[190:191]
	v_fmac_f64_e32 v[188:189], v[190:191], v[194:195]
	v_div_scale_f64 v[190:191], s[10:11], v[188:189], v[188:189], 1.0
	v_rcp_f64_e32 v[192:193], v[190:191]
	s_nop 0
	v_fma_f64 v[196:197], -v[190:191], v[192:193], 1.0
	v_fmac_f64_e32 v[192:193], v[192:193], v[196:197]
	v_fma_f64 v[196:197], -v[190:191], v[192:193], 1.0
	v_fmac_f64_e32 v[192:193], v[192:193], v[196:197]
	v_div_scale_f64 v[196:197], vcc, 1.0, v[188:189], 1.0
	v_mul_f64 v[198:199], v[196:197], v[192:193]
	v_fma_f64 v[190:191], -v[190:191], v[198:199], v[196:197]
	s_nop 1
	v_div_fmas_f64 v[190:191], v[190:191], v[192:193], v[198:199]
	v_div_fixup_f64 v[192:193], v[190:191], v[188:189], 1.0
	v_mul_f64 v[194:195], v[194:195], -v[192:193]
.LBB93_151:
	s_or_b64 exec, exec, s[2:3]
	ds_write2_b64 v255, v[192:193], v[194:195] offset1:1
.LBB93_152:
	s_or_b64 exec, exec, s[4:5]
	s_waitcnt lgkmcnt(0)
	s_barrier
	ds_read2_b64 v[188:191], v255 offset1:1
	v_cmp_lt_u32_e32 vcc, 16, v254
	s_waitcnt lgkmcnt(0)
	scratch_store_dwordx4 off, v[188:191], off offset:592 ; 16-byte Folded Spill
	s_and_saveexec_b64 s[2:3], vcc
	s_cbranch_execz .LBB93_154
; %bb.153:
	scratch_load_dwordx4 v[190:193], off, off offset:592 ; 16-byte Folded Reload
	s_waitcnt vmcnt(0)
	v_mul_f64 v[188:189], v[192:193], v[118:119]
	v_mul_f64 v[118:119], v[190:191], v[118:119]
	v_fma_f64 v[188:189], v[190:191], v[116:117], -v[188:189]
	v_fmac_f64_e32 v[118:119], v[192:193], v[116:117]
	ds_read2_b64 v[190:193], v241 offset0:34 offset1:35
	s_waitcnt lgkmcnt(0)
	v_mul_f64 v[116:117], v[192:193], v[118:119]
	v_fma_f64 v[116:117], v[190:191], v[188:189], -v[116:117]
	v_mul_f64 v[190:191], v[190:191], v[118:119]
	v_fmac_f64_e32 v[190:191], v[192:193], v[188:189]
	v_add_f64 v[114:115], v[114:115], -v[190:191]
	ds_read2_b64 v[190:193], v241 offset0:36 offset1:37
	v_add_f64 v[112:113], v[112:113], -v[116:117]
	s_waitcnt lgkmcnt(0)
	v_mul_f64 v[116:117], v[192:193], v[118:119]
	v_fma_f64 v[116:117], v[190:191], v[188:189], -v[116:117]
	v_mul_f64 v[190:191], v[190:191], v[118:119]
	v_fmac_f64_e32 v[190:191], v[192:193], v[188:189]
	v_add_f64 v[110:111], v[110:111], -v[190:191]
	ds_read2_b64 v[190:193], v241 offset0:38 offset1:39
	v_add_f64 v[108:109], v[108:109], -v[116:117]
	s_waitcnt lgkmcnt(0)
	v_mul_f64 v[116:117], v[192:193], v[118:119]
	v_fma_f64 v[116:117], v[190:191], v[188:189], -v[116:117]
	v_mul_f64 v[190:191], v[190:191], v[118:119]
	v_fmac_f64_e32 v[190:191], v[192:193], v[188:189]
	v_add_f64 v[106:107], v[106:107], -v[190:191]
	ds_read2_b64 v[190:193], v241 offset0:40 offset1:41
	v_add_f64 v[104:105], v[104:105], -v[116:117]
	s_waitcnt lgkmcnt(0)
	v_mul_f64 v[116:117], v[192:193], v[118:119]
	v_fma_f64 v[116:117], v[190:191], v[188:189], -v[116:117]
	v_mul_f64 v[190:191], v[190:191], v[118:119]
	v_fmac_f64_e32 v[190:191], v[192:193], v[188:189]
	v_add_f64 v[102:103], v[102:103], -v[190:191]
	ds_read2_b64 v[190:193], v241 offset0:42 offset1:43
	v_add_f64 v[100:101], v[100:101], -v[116:117]
	s_waitcnt lgkmcnt(0)
	v_mul_f64 v[116:117], v[192:193], v[118:119]
	v_fma_f64 v[116:117], v[190:191], v[188:189], -v[116:117]
	v_mul_f64 v[190:191], v[190:191], v[118:119]
	v_fmac_f64_e32 v[190:191], v[192:193], v[188:189]
	v_add_f64 v[98:99], v[98:99], -v[190:191]
	ds_read2_b64 v[190:193], v241 offset0:44 offset1:45
	v_add_f64 v[96:97], v[96:97], -v[116:117]
	s_waitcnt lgkmcnt(0)
	v_mul_f64 v[116:117], v[192:193], v[118:119]
	v_fma_f64 v[116:117], v[190:191], v[188:189], -v[116:117]
	v_mul_f64 v[190:191], v[190:191], v[118:119]
	v_fmac_f64_e32 v[190:191], v[192:193], v[188:189]
	v_add_f64 v[94:95], v[94:95], -v[190:191]
	ds_read2_b64 v[190:193], v241 offset0:46 offset1:47
	v_add_f64 v[92:93], v[92:93], -v[116:117]
	s_waitcnt lgkmcnt(0)
	v_mul_f64 v[116:117], v[192:193], v[118:119]
	v_fma_f64 v[116:117], v[190:191], v[188:189], -v[116:117]
	v_mul_f64 v[190:191], v[190:191], v[118:119]
	v_fmac_f64_e32 v[190:191], v[192:193], v[188:189]
	v_add_f64 v[90:91], v[90:91], -v[190:191]
	ds_read2_b64 v[190:193], v241 offset0:48 offset1:49
	v_add_f64 v[88:89], v[88:89], -v[116:117]
	s_waitcnt lgkmcnt(0)
	v_mul_f64 v[116:117], v[192:193], v[118:119]
	v_fma_f64 v[116:117], v[190:191], v[188:189], -v[116:117]
	v_mul_f64 v[190:191], v[190:191], v[118:119]
	v_fmac_f64_e32 v[190:191], v[192:193], v[188:189]
	v_add_f64 v[86:87], v[86:87], -v[190:191]
	ds_read2_b64 v[190:193], v241 offset0:50 offset1:51
	v_add_f64 v[84:85], v[84:85], -v[116:117]
	s_waitcnt lgkmcnt(0)
	v_mul_f64 v[116:117], v[192:193], v[118:119]
	v_fma_f64 v[116:117], v[190:191], v[188:189], -v[116:117]
	v_mul_f64 v[190:191], v[190:191], v[118:119]
	v_fmac_f64_e32 v[190:191], v[192:193], v[188:189]
	v_add_f64 v[82:83], v[82:83], -v[190:191]
	ds_read2_b64 v[190:193], v241 offset0:52 offset1:53
	v_add_f64 v[80:81], v[80:81], -v[116:117]
	s_waitcnt lgkmcnt(0)
	v_mul_f64 v[116:117], v[192:193], v[118:119]
	v_fma_f64 v[116:117], v[190:191], v[188:189], -v[116:117]
	v_mul_f64 v[190:191], v[190:191], v[118:119]
	v_fmac_f64_e32 v[190:191], v[192:193], v[188:189]
	v_add_f64 v[78:79], v[78:79], -v[190:191]
	ds_read2_b64 v[190:193], v241 offset0:54 offset1:55
	v_add_f64 v[76:77], v[76:77], -v[116:117]
	s_waitcnt lgkmcnt(0)
	v_mul_f64 v[116:117], v[192:193], v[118:119]
	v_fma_f64 v[116:117], v[190:191], v[188:189], -v[116:117]
	v_mul_f64 v[190:191], v[190:191], v[118:119]
	v_fmac_f64_e32 v[190:191], v[192:193], v[188:189]
	v_add_f64 v[74:75], v[74:75], -v[190:191]
	ds_read2_b64 v[190:193], v241 offset0:56 offset1:57
	v_add_f64 v[72:73], v[72:73], -v[116:117]
	s_waitcnt lgkmcnt(0)
	v_mul_f64 v[116:117], v[192:193], v[118:119]
	v_fma_f64 v[116:117], v[190:191], v[188:189], -v[116:117]
	v_mul_f64 v[190:191], v[190:191], v[118:119]
	v_fmac_f64_e32 v[190:191], v[192:193], v[188:189]
	v_add_f64 v[70:71], v[70:71], -v[190:191]
	ds_read2_b64 v[190:193], v241 offset0:58 offset1:59
	v_add_f64 v[68:69], v[68:69], -v[116:117]
	s_waitcnt lgkmcnt(0)
	v_mul_f64 v[116:117], v[192:193], v[118:119]
	v_fma_f64 v[116:117], v[190:191], v[188:189], -v[116:117]
	v_mul_f64 v[190:191], v[190:191], v[118:119]
	v_fmac_f64_e32 v[190:191], v[192:193], v[188:189]
	v_add_f64 v[66:67], v[66:67], -v[190:191]
	ds_read2_b64 v[190:193], v241 offset0:60 offset1:61
	v_add_f64 v[64:65], v[64:65], -v[116:117]
	s_waitcnt lgkmcnt(0)
	v_mul_f64 v[116:117], v[192:193], v[118:119]
	v_fma_f64 v[116:117], v[190:191], v[188:189], -v[116:117]
	v_mul_f64 v[190:191], v[190:191], v[118:119]
	v_fmac_f64_e32 v[190:191], v[192:193], v[188:189]
	v_add_f64 v[62:63], v[62:63], -v[190:191]
	ds_read2_b64 v[190:193], v241 offset0:62 offset1:63
	v_add_f64 v[60:61], v[60:61], -v[116:117]
	s_waitcnt lgkmcnt(0)
	v_mul_f64 v[116:117], v[192:193], v[118:119]
	v_fma_f64 v[116:117], v[190:191], v[188:189], -v[116:117]
	v_mul_f64 v[190:191], v[190:191], v[118:119]
	v_fmac_f64_e32 v[190:191], v[192:193], v[188:189]
	v_add_f64 v[58:59], v[58:59], -v[190:191]
	ds_read2_b64 v[190:193], v241 offset0:64 offset1:65
	v_add_f64 v[56:57], v[56:57], -v[116:117]
	s_waitcnt lgkmcnt(0)
	v_mul_f64 v[116:117], v[192:193], v[118:119]
	v_fma_f64 v[116:117], v[190:191], v[188:189], -v[116:117]
	v_mul_f64 v[190:191], v[190:191], v[118:119]
	v_fmac_f64_e32 v[190:191], v[192:193], v[188:189]
	v_add_f64 v[54:55], v[54:55], -v[190:191]
	ds_read2_b64 v[190:193], v241 offset0:66 offset1:67
	v_add_f64 v[52:53], v[52:53], -v[116:117]
	s_waitcnt lgkmcnt(0)
	v_mul_f64 v[116:117], v[192:193], v[118:119]
	v_fma_f64 v[116:117], v[190:191], v[188:189], -v[116:117]
	v_mul_f64 v[190:191], v[190:191], v[118:119]
	v_fmac_f64_e32 v[190:191], v[192:193], v[188:189]
	v_add_f64 v[50:51], v[50:51], -v[190:191]
	ds_read2_b64 v[190:193], v241 offset0:68 offset1:69
	v_add_f64 v[48:49], v[48:49], -v[116:117]
	s_waitcnt lgkmcnt(0)
	v_mul_f64 v[116:117], v[192:193], v[118:119]
	v_fma_f64 v[116:117], v[190:191], v[188:189], -v[116:117]
	v_mul_f64 v[190:191], v[190:191], v[118:119]
	v_fmac_f64_e32 v[190:191], v[192:193], v[188:189]
	v_add_f64 v[46:47], v[46:47], -v[190:191]
	ds_read2_b64 v[190:193], v241 offset0:70 offset1:71
	v_add_f64 v[44:45], v[44:45], -v[116:117]
	s_waitcnt lgkmcnt(0)
	v_mul_f64 v[116:117], v[192:193], v[118:119]
	v_fma_f64 v[116:117], v[190:191], v[188:189], -v[116:117]
	v_mul_f64 v[190:191], v[190:191], v[118:119]
	v_fmac_f64_e32 v[190:191], v[192:193], v[188:189]
	v_add_f64 v[42:43], v[42:43], -v[190:191]
	ds_read2_b64 v[190:193], v241 offset0:72 offset1:73
	v_add_f64 v[40:41], v[40:41], -v[116:117]
	s_waitcnt lgkmcnt(0)
	v_mul_f64 v[116:117], v[192:193], v[118:119]
	v_fma_f64 v[116:117], v[190:191], v[188:189], -v[116:117]
	v_mul_f64 v[190:191], v[190:191], v[118:119]
	v_fmac_f64_e32 v[190:191], v[192:193], v[188:189]
	v_add_f64 v[38:39], v[38:39], -v[190:191]
	ds_read2_b64 v[190:193], v241 offset0:74 offset1:75
	v_add_f64 v[36:37], v[36:37], -v[116:117]
	s_waitcnt lgkmcnt(0)
	v_mul_f64 v[116:117], v[192:193], v[118:119]
	v_fma_f64 v[116:117], v[190:191], v[188:189], -v[116:117]
	v_mul_f64 v[190:191], v[190:191], v[118:119]
	v_fmac_f64_e32 v[190:191], v[192:193], v[188:189]
	v_add_f64 v[34:35], v[34:35], -v[190:191]
	ds_read2_b64 v[190:193], v241 offset0:76 offset1:77
	v_add_f64 v[32:33], v[32:33], -v[116:117]
	s_waitcnt lgkmcnt(0)
	v_mul_f64 v[116:117], v[192:193], v[118:119]
	v_fma_f64 v[116:117], v[190:191], v[188:189], -v[116:117]
	v_mul_f64 v[190:191], v[190:191], v[118:119]
	v_fmac_f64_e32 v[190:191], v[192:193], v[188:189]
	v_add_f64 v[30:31], v[30:31], -v[190:191]
	ds_read2_b64 v[190:193], v241 offset0:78 offset1:79
	v_add_f64 v[28:29], v[28:29], -v[116:117]
	s_waitcnt lgkmcnt(0)
	v_mul_f64 v[116:117], v[192:193], v[118:119]
	v_fma_f64 v[116:117], v[190:191], v[188:189], -v[116:117]
	v_mul_f64 v[190:191], v[190:191], v[118:119]
	v_fmac_f64_e32 v[190:191], v[192:193], v[188:189]
	v_add_f64 v[26:27], v[26:27], -v[190:191]
	ds_read2_b64 v[190:193], v241 offset0:80 offset1:81
	v_add_f64 v[24:25], v[24:25], -v[116:117]
	s_waitcnt lgkmcnt(0)
	v_mul_f64 v[116:117], v[192:193], v[118:119]
	v_fma_f64 v[116:117], v[190:191], v[188:189], -v[116:117]
	v_mul_f64 v[190:191], v[190:191], v[118:119]
	v_fmac_f64_e32 v[190:191], v[192:193], v[188:189]
	v_add_f64 v[22:23], v[22:23], -v[190:191]
	ds_read2_b64 v[190:193], v241 offset0:82 offset1:83
	v_add_f64 v[20:21], v[20:21], -v[116:117]
	s_waitcnt lgkmcnt(0)
	v_mul_f64 v[116:117], v[192:193], v[118:119]
	v_fma_f64 v[116:117], v[190:191], v[188:189], -v[116:117]
	v_mul_f64 v[190:191], v[190:191], v[118:119]
	v_fmac_f64_e32 v[190:191], v[192:193], v[188:189]
	v_add_f64 v[18:19], v[18:19], -v[190:191]
	ds_read2_b64 v[190:193], v241 offset0:84 offset1:85
	v_add_f64 v[16:17], v[16:17], -v[116:117]
	s_waitcnt lgkmcnt(0)
	v_mul_f64 v[116:117], v[192:193], v[118:119]
	v_fma_f64 v[116:117], v[190:191], v[188:189], -v[116:117]
	v_mul_f64 v[190:191], v[190:191], v[118:119]
	v_fmac_f64_e32 v[190:191], v[192:193], v[188:189]
	v_add_f64 v[14:15], v[14:15], -v[190:191]
	ds_read2_b64 v[190:193], v241 offset0:86 offset1:87
	v_add_f64 v[12:13], v[12:13], -v[116:117]
	s_waitcnt lgkmcnt(0)
	v_mul_f64 v[116:117], v[192:193], v[118:119]
	v_fma_f64 v[116:117], v[190:191], v[188:189], -v[116:117]
	v_mul_f64 v[190:191], v[190:191], v[118:119]
	v_fmac_f64_e32 v[190:191], v[192:193], v[188:189]
	v_add_f64 v[10:11], v[10:11], -v[190:191]
	ds_read2_b64 v[190:193], v241 offset0:88 offset1:89
	v_add_f64 v[8:9], v[8:9], -v[116:117]
	s_waitcnt lgkmcnt(0)
	v_mul_f64 v[116:117], v[192:193], v[118:119]
	v_fma_f64 v[116:117], v[190:191], v[188:189], -v[116:117]
	v_mul_f64 v[190:191], v[190:191], v[118:119]
	v_fmac_f64_e32 v[190:191], v[192:193], v[188:189]
	v_add_f64 v[6:7], v[6:7], -v[190:191]
	ds_read2_b64 v[190:193], v241 offset0:90 offset1:91
	v_add_f64 v[4:5], v[4:5], -v[116:117]
	s_waitcnt lgkmcnt(0)
	v_mul_f64 v[116:117], v[192:193], v[118:119]
	v_fma_f64 v[116:117], v[190:191], v[188:189], -v[116:117]
	v_mul_f64 v[190:191], v[190:191], v[118:119]
	v_fmac_f64_e32 v[190:191], v[192:193], v[188:189]
	v_add_f64 v[2:3], v[2:3], -v[190:191]
	ds_read2_b64 v[190:193], v241 offset0:92 offset1:93
	v_add_f64 v[0:1], v[0:1], -v[116:117]
	s_waitcnt lgkmcnt(0)
	v_mul_f64 v[116:117], v[192:193], v[118:119]
	v_fma_f64 v[116:117], v[190:191], v[188:189], -v[116:117]
	v_mul_f64 v[190:191], v[190:191], v[118:119]
	v_fmac_f64_e32 v[190:191], v[192:193], v[188:189]
	v_add_f64 v[184:185], v[184:185], -v[116:117]
	v_add_f64 v[186:187], v[186:187], -v[190:191]
	v_mov_b64_e32 v[116:117], v[188:189]
.LBB93_154:
	s_or_b64 exec, exec, s[2:3]
	v_cmp_eq_u32_e32 vcc, 17, v254
	s_waitcnt vmcnt(63) expcnt(7) lgkmcnt(15)
	s_barrier
	s_and_saveexec_b64 s[4:5], vcc
	s_cbranch_execz .LBB93_161
; %bb.155:
	ds_write2_b64 v255, v[112:113], v[114:115] offset1:1
	ds_write2_b64 v241, v[108:109], v[110:111] offset0:36 offset1:37
	ds_write2_b64 v241, v[104:105], v[106:107] offset0:38 offset1:39
	;; [unrolled: 1-line block ×13, first 2 shown]
	s_waitcnt vmcnt(46)
	ds_write2_b64 v241, v[56:57], v[58:59] offset0:62 offset1:63
	s_waitcnt vmcnt(44)
	ds_write2_b64 v241, v[52:53], v[54:55] offset0:64 offset1:65
	;; [unrolled: 2-line block ×14, first 2 shown]
	ds_write2_b64 v241, v[0:1], v[2:3] offset0:90 offset1:91
	s_waitcnt vmcnt(30)
	ds_write2_b64 v241, v[184:185], v[186:187] offset0:92 offset1:93
	ds_read2_b64 v[188:191], v255 offset1:1
	s_waitcnt lgkmcnt(0)
	v_cmp_neq_f64_e32 vcc, 0, v[188:189]
	v_cmp_neq_f64_e64 s[2:3], 0, v[190:191]
	s_or_b64 s[2:3], vcc, s[2:3]
	s_and_b64 exec, exec, s[2:3]
	s_cbranch_execz .LBB93_161
; %bb.156:
	v_cmp_ngt_f64_e64 s[2:3], |v[188:189]|, |v[190:191]|
                                        ; implicit-def: $vgpr192_vgpr193
	s_and_saveexec_b64 s[10:11], s[2:3]
	s_xor_b64 s[2:3], exec, s[10:11]
                                        ; implicit-def: $vgpr194_vgpr195
	s_cbranch_execz .LBB93_158
; %bb.157:
	v_div_scale_f64 v[192:193], s[10:11], v[190:191], v[190:191], v[188:189]
	v_rcp_f64_e32 v[194:195], v[192:193]
	v_div_scale_f64 v[196:197], vcc, v[188:189], v[190:191], v[188:189]
	v_fma_f64 v[198:199], -v[192:193], v[194:195], 1.0
	v_fmac_f64_e32 v[194:195], v[194:195], v[198:199]
	v_fma_f64 v[198:199], -v[192:193], v[194:195], 1.0
	v_fmac_f64_e32 v[194:195], v[194:195], v[198:199]
	v_mul_f64 v[198:199], v[196:197], v[194:195]
	v_fma_f64 v[192:193], -v[192:193], v[198:199], v[196:197]
	v_div_fmas_f64 v[192:193], v[192:193], v[194:195], v[198:199]
	v_div_fixup_f64 v[192:193], v[192:193], v[190:191], v[188:189]
	v_fmac_f64_e32 v[190:191], v[188:189], v[192:193]
	v_div_scale_f64 v[188:189], s[10:11], v[190:191], v[190:191], 1.0
	v_rcp_f64_e32 v[194:195], v[188:189]
	s_nop 0
	v_fma_f64 v[196:197], -v[188:189], v[194:195], 1.0
	v_fmac_f64_e32 v[194:195], v[194:195], v[196:197]
	v_fma_f64 v[196:197], -v[188:189], v[194:195], 1.0
	v_fmac_f64_e32 v[194:195], v[194:195], v[196:197]
	v_div_scale_f64 v[196:197], vcc, 1.0, v[190:191], 1.0
	v_mul_f64 v[198:199], v[196:197], v[194:195]
	v_fma_f64 v[188:189], -v[188:189], v[198:199], v[196:197]
	s_nop 1
	v_div_fmas_f64 v[188:189], v[188:189], v[194:195], v[198:199]
	v_div_fixup_f64 v[194:195], v[188:189], v[190:191], 1.0
	v_mul_f64 v[192:193], v[192:193], v[194:195]
	v_xor_b32_e32 v195, 0x80000000, v195
                                        ; implicit-def: $vgpr188_vgpr189
.LBB93_158:
	s_andn2_saveexec_b64 s[2:3], s[2:3]
	s_cbranch_execz .LBB93_160
; %bb.159:
	v_div_scale_f64 v[192:193], s[10:11], v[188:189], v[188:189], v[190:191]
	v_rcp_f64_e32 v[194:195], v[192:193]
	v_div_scale_f64 v[196:197], vcc, v[190:191], v[188:189], v[190:191]
	v_fma_f64 v[198:199], -v[192:193], v[194:195], 1.0
	v_fmac_f64_e32 v[194:195], v[194:195], v[198:199]
	v_fma_f64 v[198:199], -v[192:193], v[194:195], 1.0
	v_fmac_f64_e32 v[194:195], v[194:195], v[198:199]
	v_mul_f64 v[198:199], v[196:197], v[194:195]
	v_fma_f64 v[192:193], -v[192:193], v[198:199], v[196:197]
	v_div_fmas_f64 v[192:193], v[192:193], v[194:195], v[198:199]
	v_div_fixup_f64 v[194:195], v[192:193], v[188:189], v[190:191]
	v_fmac_f64_e32 v[188:189], v[190:191], v[194:195]
	v_div_scale_f64 v[190:191], s[10:11], v[188:189], v[188:189], 1.0
	v_rcp_f64_e32 v[192:193], v[190:191]
	s_nop 0
	v_fma_f64 v[196:197], -v[190:191], v[192:193], 1.0
	v_fmac_f64_e32 v[192:193], v[192:193], v[196:197]
	v_fma_f64 v[196:197], -v[190:191], v[192:193], 1.0
	v_fmac_f64_e32 v[192:193], v[192:193], v[196:197]
	v_div_scale_f64 v[196:197], vcc, 1.0, v[188:189], 1.0
	v_mul_f64 v[198:199], v[196:197], v[192:193]
	v_fma_f64 v[190:191], -v[190:191], v[198:199], v[196:197]
	s_nop 1
	v_div_fmas_f64 v[190:191], v[190:191], v[192:193], v[198:199]
	v_div_fixup_f64 v[192:193], v[190:191], v[188:189], 1.0
	v_mul_f64 v[194:195], v[194:195], -v[192:193]
.LBB93_160:
	s_or_b64 exec, exec, s[2:3]
	ds_write2_b64 v255, v[192:193], v[194:195] offset1:1
.LBB93_161:
	s_or_b64 exec, exec, s[4:5]
	s_waitcnt lgkmcnt(0)
	s_barrier
	ds_read2_b64 v[188:191], v255 offset1:1
	v_cmp_lt_u32_e32 vcc, 17, v254
	s_waitcnt lgkmcnt(0)
	scratch_store_dwordx4 off, v[188:191], off offset:608 ; 16-byte Folded Spill
	s_and_saveexec_b64 s[2:3], vcc
	s_cbranch_execz .LBB93_163
; %bb.162:
	scratch_load_dwordx4 v[190:193], off, off offset:608 ; 16-byte Folded Reload
	s_waitcnt vmcnt(0)
	v_mul_f64 v[188:189], v[192:193], v[114:115]
	v_mul_f64 v[114:115], v[190:191], v[114:115]
	v_fma_f64 v[188:189], v[190:191], v[112:113], -v[188:189]
	v_fmac_f64_e32 v[114:115], v[192:193], v[112:113]
	ds_read2_b64 v[190:193], v241 offset0:36 offset1:37
	s_waitcnt lgkmcnt(0)
	v_mul_f64 v[112:113], v[192:193], v[114:115]
	v_fma_f64 v[112:113], v[190:191], v[188:189], -v[112:113]
	v_mul_f64 v[190:191], v[190:191], v[114:115]
	v_fmac_f64_e32 v[190:191], v[192:193], v[188:189]
	v_add_f64 v[110:111], v[110:111], -v[190:191]
	ds_read2_b64 v[190:193], v241 offset0:38 offset1:39
	v_add_f64 v[108:109], v[108:109], -v[112:113]
	s_waitcnt lgkmcnt(0)
	v_mul_f64 v[112:113], v[192:193], v[114:115]
	v_fma_f64 v[112:113], v[190:191], v[188:189], -v[112:113]
	v_mul_f64 v[190:191], v[190:191], v[114:115]
	v_fmac_f64_e32 v[190:191], v[192:193], v[188:189]
	v_add_f64 v[106:107], v[106:107], -v[190:191]
	ds_read2_b64 v[190:193], v241 offset0:40 offset1:41
	v_add_f64 v[104:105], v[104:105], -v[112:113]
	s_waitcnt lgkmcnt(0)
	v_mul_f64 v[112:113], v[192:193], v[114:115]
	v_fma_f64 v[112:113], v[190:191], v[188:189], -v[112:113]
	v_mul_f64 v[190:191], v[190:191], v[114:115]
	v_fmac_f64_e32 v[190:191], v[192:193], v[188:189]
	v_add_f64 v[102:103], v[102:103], -v[190:191]
	ds_read2_b64 v[190:193], v241 offset0:42 offset1:43
	v_add_f64 v[100:101], v[100:101], -v[112:113]
	s_waitcnt lgkmcnt(0)
	v_mul_f64 v[112:113], v[192:193], v[114:115]
	v_fma_f64 v[112:113], v[190:191], v[188:189], -v[112:113]
	v_mul_f64 v[190:191], v[190:191], v[114:115]
	v_fmac_f64_e32 v[190:191], v[192:193], v[188:189]
	v_add_f64 v[98:99], v[98:99], -v[190:191]
	ds_read2_b64 v[190:193], v241 offset0:44 offset1:45
	v_add_f64 v[96:97], v[96:97], -v[112:113]
	s_waitcnt lgkmcnt(0)
	v_mul_f64 v[112:113], v[192:193], v[114:115]
	v_fma_f64 v[112:113], v[190:191], v[188:189], -v[112:113]
	v_mul_f64 v[190:191], v[190:191], v[114:115]
	v_fmac_f64_e32 v[190:191], v[192:193], v[188:189]
	v_add_f64 v[94:95], v[94:95], -v[190:191]
	ds_read2_b64 v[190:193], v241 offset0:46 offset1:47
	v_add_f64 v[92:93], v[92:93], -v[112:113]
	s_waitcnt lgkmcnt(0)
	v_mul_f64 v[112:113], v[192:193], v[114:115]
	v_fma_f64 v[112:113], v[190:191], v[188:189], -v[112:113]
	v_mul_f64 v[190:191], v[190:191], v[114:115]
	v_fmac_f64_e32 v[190:191], v[192:193], v[188:189]
	v_add_f64 v[90:91], v[90:91], -v[190:191]
	ds_read2_b64 v[190:193], v241 offset0:48 offset1:49
	v_add_f64 v[88:89], v[88:89], -v[112:113]
	s_waitcnt lgkmcnt(0)
	v_mul_f64 v[112:113], v[192:193], v[114:115]
	v_fma_f64 v[112:113], v[190:191], v[188:189], -v[112:113]
	v_mul_f64 v[190:191], v[190:191], v[114:115]
	v_fmac_f64_e32 v[190:191], v[192:193], v[188:189]
	v_add_f64 v[86:87], v[86:87], -v[190:191]
	ds_read2_b64 v[190:193], v241 offset0:50 offset1:51
	v_add_f64 v[84:85], v[84:85], -v[112:113]
	s_waitcnt lgkmcnt(0)
	v_mul_f64 v[112:113], v[192:193], v[114:115]
	v_fma_f64 v[112:113], v[190:191], v[188:189], -v[112:113]
	v_mul_f64 v[190:191], v[190:191], v[114:115]
	v_fmac_f64_e32 v[190:191], v[192:193], v[188:189]
	v_add_f64 v[82:83], v[82:83], -v[190:191]
	ds_read2_b64 v[190:193], v241 offset0:52 offset1:53
	v_add_f64 v[80:81], v[80:81], -v[112:113]
	s_waitcnt lgkmcnt(0)
	v_mul_f64 v[112:113], v[192:193], v[114:115]
	v_fma_f64 v[112:113], v[190:191], v[188:189], -v[112:113]
	v_mul_f64 v[190:191], v[190:191], v[114:115]
	v_fmac_f64_e32 v[190:191], v[192:193], v[188:189]
	v_add_f64 v[78:79], v[78:79], -v[190:191]
	ds_read2_b64 v[190:193], v241 offset0:54 offset1:55
	v_add_f64 v[76:77], v[76:77], -v[112:113]
	s_waitcnt lgkmcnt(0)
	v_mul_f64 v[112:113], v[192:193], v[114:115]
	v_fma_f64 v[112:113], v[190:191], v[188:189], -v[112:113]
	v_mul_f64 v[190:191], v[190:191], v[114:115]
	v_fmac_f64_e32 v[190:191], v[192:193], v[188:189]
	v_add_f64 v[74:75], v[74:75], -v[190:191]
	ds_read2_b64 v[190:193], v241 offset0:56 offset1:57
	v_add_f64 v[72:73], v[72:73], -v[112:113]
	s_waitcnt lgkmcnt(0)
	v_mul_f64 v[112:113], v[192:193], v[114:115]
	v_fma_f64 v[112:113], v[190:191], v[188:189], -v[112:113]
	v_mul_f64 v[190:191], v[190:191], v[114:115]
	v_fmac_f64_e32 v[190:191], v[192:193], v[188:189]
	v_add_f64 v[70:71], v[70:71], -v[190:191]
	ds_read2_b64 v[190:193], v241 offset0:58 offset1:59
	v_add_f64 v[68:69], v[68:69], -v[112:113]
	s_waitcnt lgkmcnt(0)
	v_mul_f64 v[112:113], v[192:193], v[114:115]
	v_fma_f64 v[112:113], v[190:191], v[188:189], -v[112:113]
	v_mul_f64 v[190:191], v[190:191], v[114:115]
	v_fmac_f64_e32 v[190:191], v[192:193], v[188:189]
	v_add_f64 v[66:67], v[66:67], -v[190:191]
	ds_read2_b64 v[190:193], v241 offset0:60 offset1:61
	v_add_f64 v[64:65], v[64:65], -v[112:113]
	s_waitcnt lgkmcnt(0)
	v_mul_f64 v[112:113], v[192:193], v[114:115]
	v_fma_f64 v[112:113], v[190:191], v[188:189], -v[112:113]
	v_mul_f64 v[190:191], v[190:191], v[114:115]
	v_fmac_f64_e32 v[190:191], v[192:193], v[188:189]
	v_add_f64 v[62:63], v[62:63], -v[190:191]
	ds_read2_b64 v[190:193], v241 offset0:62 offset1:63
	v_add_f64 v[60:61], v[60:61], -v[112:113]
	s_waitcnt lgkmcnt(0)
	v_mul_f64 v[112:113], v[192:193], v[114:115]
	v_fma_f64 v[112:113], v[190:191], v[188:189], -v[112:113]
	v_mul_f64 v[190:191], v[190:191], v[114:115]
	v_fmac_f64_e32 v[190:191], v[192:193], v[188:189]
	v_add_f64 v[58:59], v[58:59], -v[190:191]
	ds_read2_b64 v[190:193], v241 offset0:64 offset1:65
	v_add_f64 v[56:57], v[56:57], -v[112:113]
	s_waitcnt lgkmcnt(0)
	v_mul_f64 v[112:113], v[192:193], v[114:115]
	v_fma_f64 v[112:113], v[190:191], v[188:189], -v[112:113]
	v_mul_f64 v[190:191], v[190:191], v[114:115]
	v_fmac_f64_e32 v[190:191], v[192:193], v[188:189]
	v_add_f64 v[54:55], v[54:55], -v[190:191]
	ds_read2_b64 v[190:193], v241 offset0:66 offset1:67
	v_add_f64 v[52:53], v[52:53], -v[112:113]
	s_waitcnt lgkmcnt(0)
	v_mul_f64 v[112:113], v[192:193], v[114:115]
	v_fma_f64 v[112:113], v[190:191], v[188:189], -v[112:113]
	v_mul_f64 v[190:191], v[190:191], v[114:115]
	v_fmac_f64_e32 v[190:191], v[192:193], v[188:189]
	v_add_f64 v[50:51], v[50:51], -v[190:191]
	ds_read2_b64 v[190:193], v241 offset0:68 offset1:69
	v_add_f64 v[48:49], v[48:49], -v[112:113]
	s_waitcnt lgkmcnt(0)
	v_mul_f64 v[112:113], v[192:193], v[114:115]
	v_fma_f64 v[112:113], v[190:191], v[188:189], -v[112:113]
	v_mul_f64 v[190:191], v[190:191], v[114:115]
	v_fmac_f64_e32 v[190:191], v[192:193], v[188:189]
	v_add_f64 v[46:47], v[46:47], -v[190:191]
	ds_read2_b64 v[190:193], v241 offset0:70 offset1:71
	v_add_f64 v[44:45], v[44:45], -v[112:113]
	s_waitcnt lgkmcnt(0)
	v_mul_f64 v[112:113], v[192:193], v[114:115]
	v_fma_f64 v[112:113], v[190:191], v[188:189], -v[112:113]
	v_mul_f64 v[190:191], v[190:191], v[114:115]
	v_fmac_f64_e32 v[190:191], v[192:193], v[188:189]
	v_add_f64 v[42:43], v[42:43], -v[190:191]
	ds_read2_b64 v[190:193], v241 offset0:72 offset1:73
	v_add_f64 v[40:41], v[40:41], -v[112:113]
	s_waitcnt lgkmcnt(0)
	v_mul_f64 v[112:113], v[192:193], v[114:115]
	v_fma_f64 v[112:113], v[190:191], v[188:189], -v[112:113]
	v_mul_f64 v[190:191], v[190:191], v[114:115]
	v_fmac_f64_e32 v[190:191], v[192:193], v[188:189]
	v_add_f64 v[38:39], v[38:39], -v[190:191]
	ds_read2_b64 v[190:193], v241 offset0:74 offset1:75
	v_add_f64 v[36:37], v[36:37], -v[112:113]
	s_waitcnt lgkmcnt(0)
	v_mul_f64 v[112:113], v[192:193], v[114:115]
	v_fma_f64 v[112:113], v[190:191], v[188:189], -v[112:113]
	v_mul_f64 v[190:191], v[190:191], v[114:115]
	v_fmac_f64_e32 v[190:191], v[192:193], v[188:189]
	v_add_f64 v[34:35], v[34:35], -v[190:191]
	ds_read2_b64 v[190:193], v241 offset0:76 offset1:77
	v_add_f64 v[32:33], v[32:33], -v[112:113]
	s_waitcnt lgkmcnt(0)
	v_mul_f64 v[112:113], v[192:193], v[114:115]
	v_fma_f64 v[112:113], v[190:191], v[188:189], -v[112:113]
	v_mul_f64 v[190:191], v[190:191], v[114:115]
	v_fmac_f64_e32 v[190:191], v[192:193], v[188:189]
	v_add_f64 v[30:31], v[30:31], -v[190:191]
	ds_read2_b64 v[190:193], v241 offset0:78 offset1:79
	v_add_f64 v[28:29], v[28:29], -v[112:113]
	s_waitcnt lgkmcnt(0)
	v_mul_f64 v[112:113], v[192:193], v[114:115]
	v_fma_f64 v[112:113], v[190:191], v[188:189], -v[112:113]
	v_mul_f64 v[190:191], v[190:191], v[114:115]
	v_fmac_f64_e32 v[190:191], v[192:193], v[188:189]
	v_add_f64 v[26:27], v[26:27], -v[190:191]
	ds_read2_b64 v[190:193], v241 offset0:80 offset1:81
	v_add_f64 v[24:25], v[24:25], -v[112:113]
	s_waitcnt lgkmcnt(0)
	v_mul_f64 v[112:113], v[192:193], v[114:115]
	v_fma_f64 v[112:113], v[190:191], v[188:189], -v[112:113]
	v_mul_f64 v[190:191], v[190:191], v[114:115]
	v_fmac_f64_e32 v[190:191], v[192:193], v[188:189]
	v_add_f64 v[22:23], v[22:23], -v[190:191]
	ds_read2_b64 v[190:193], v241 offset0:82 offset1:83
	v_add_f64 v[20:21], v[20:21], -v[112:113]
	s_waitcnt lgkmcnt(0)
	v_mul_f64 v[112:113], v[192:193], v[114:115]
	v_fma_f64 v[112:113], v[190:191], v[188:189], -v[112:113]
	v_mul_f64 v[190:191], v[190:191], v[114:115]
	v_fmac_f64_e32 v[190:191], v[192:193], v[188:189]
	v_add_f64 v[18:19], v[18:19], -v[190:191]
	ds_read2_b64 v[190:193], v241 offset0:84 offset1:85
	v_add_f64 v[16:17], v[16:17], -v[112:113]
	s_waitcnt lgkmcnt(0)
	v_mul_f64 v[112:113], v[192:193], v[114:115]
	v_fma_f64 v[112:113], v[190:191], v[188:189], -v[112:113]
	v_mul_f64 v[190:191], v[190:191], v[114:115]
	v_fmac_f64_e32 v[190:191], v[192:193], v[188:189]
	v_add_f64 v[14:15], v[14:15], -v[190:191]
	ds_read2_b64 v[190:193], v241 offset0:86 offset1:87
	v_add_f64 v[12:13], v[12:13], -v[112:113]
	s_waitcnt lgkmcnt(0)
	v_mul_f64 v[112:113], v[192:193], v[114:115]
	v_fma_f64 v[112:113], v[190:191], v[188:189], -v[112:113]
	v_mul_f64 v[190:191], v[190:191], v[114:115]
	v_fmac_f64_e32 v[190:191], v[192:193], v[188:189]
	v_add_f64 v[10:11], v[10:11], -v[190:191]
	ds_read2_b64 v[190:193], v241 offset0:88 offset1:89
	v_add_f64 v[8:9], v[8:9], -v[112:113]
	s_waitcnt lgkmcnt(0)
	v_mul_f64 v[112:113], v[192:193], v[114:115]
	v_fma_f64 v[112:113], v[190:191], v[188:189], -v[112:113]
	v_mul_f64 v[190:191], v[190:191], v[114:115]
	v_fmac_f64_e32 v[190:191], v[192:193], v[188:189]
	v_add_f64 v[6:7], v[6:7], -v[190:191]
	ds_read2_b64 v[190:193], v241 offset0:90 offset1:91
	v_add_f64 v[4:5], v[4:5], -v[112:113]
	s_waitcnt lgkmcnt(0)
	v_mul_f64 v[112:113], v[192:193], v[114:115]
	v_fma_f64 v[112:113], v[190:191], v[188:189], -v[112:113]
	v_mul_f64 v[190:191], v[190:191], v[114:115]
	v_fmac_f64_e32 v[190:191], v[192:193], v[188:189]
	v_add_f64 v[2:3], v[2:3], -v[190:191]
	ds_read2_b64 v[190:193], v241 offset0:92 offset1:93
	v_add_f64 v[0:1], v[0:1], -v[112:113]
	s_waitcnt lgkmcnt(0)
	v_mul_f64 v[112:113], v[192:193], v[114:115]
	v_fma_f64 v[112:113], v[190:191], v[188:189], -v[112:113]
	v_mul_f64 v[190:191], v[190:191], v[114:115]
	v_fmac_f64_e32 v[190:191], v[192:193], v[188:189]
	v_add_f64 v[184:185], v[184:185], -v[112:113]
	v_add_f64 v[186:187], v[186:187], -v[190:191]
	v_mov_b64_e32 v[112:113], v[188:189]
.LBB93_163:
	s_or_b64 exec, exec, s[2:3]
	v_cmp_eq_u32_e32 vcc, 18, v254
	s_waitcnt vmcnt(63) expcnt(7) lgkmcnt(15)
	s_barrier
	s_and_saveexec_b64 s[4:5], vcc
	s_cbranch_execz .LBB93_170
; %bb.164:
	ds_write2_b64 v255, v[108:109], v[110:111] offset1:1
	ds_write2_b64 v241, v[104:105], v[106:107] offset0:38 offset1:39
	ds_write2_b64 v241, v[100:101], v[102:103] offset0:40 offset1:41
	ds_write2_b64 v241, v[96:97], v[98:99] offset0:42 offset1:43
	ds_write2_b64 v241, v[92:93], v[94:95] offset0:44 offset1:45
	ds_write2_b64 v241, v[88:89], v[90:91] offset0:46 offset1:47
	ds_write2_b64 v241, v[84:85], v[86:87] offset0:48 offset1:49
	ds_write2_b64 v241, v[80:81], v[82:83] offset0:50 offset1:51
	ds_write2_b64 v241, v[76:77], v[78:79] offset0:52 offset1:53
	ds_write2_b64 v241, v[72:73], v[74:75] offset0:54 offset1:55
	ds_write2_b64 v241, v[68:69], v[70:71] offset0:56 offset1:57
	ds_write2_b64 v241, v[64:65], v[66:67] offset0:58 offset1:59
	ds_write2_b64 v241, v[60:61], v[62:63] offset0:60 offset1:61
	s_waitcnt vmcnt(47)
	ds_write2_b64 v241, v[56:57], v[58:59] offset0:62 offset1:63
	s_waitcnt vmcnt(45)
	ds_write2_b64 v241, v[52:53], v[54:55] offset0:64 offset1:65
	;; [unrolled: 2-line block ×14, first 2 shown]
	ds_write2_b64 v241, v[0:1], v[2:3] offset0:90 offset1:91
	s_waitcnt vmcnt(31)
	ds_write2_b64 v241, v[184:185], v[186:187] offset0:92 offset1:93
	ds_read2_b64 v[188:191], v255 offset1:1
	s_waitcnt lgkmcnt(0)
	v_cmp_neq_f64_e32 vcc, 0, v[188:189]
	v_cmp_neq_f64_e64 s[2:3], 0, v[190:191]
	s_or_b64 s[2:3], vcc, s[2:3]
	s_and_b64 exec, exec, s[2:3]
	s_cbranch_execz .LBB93_170
; %bb.165:
	v_cmp_ngt_f64_e64 s[2:3], |v[188:189]|, |v[190:191]|
                                        ; implicit-def: $vgpr192_vgpr193
	s_and_saveexec_b64 s[10:11], s[2:3]
	s_xor_b64 s[2:3], exec, s[10:11]
                                        ; implicit-def: $vgpr194_vgpr195
	s_cbranch_execz .LBB93_167
; %bb.166:
	v_div_scale_f64 v[192:193], s[10:11], v[190:191], v[190:191], v[188:189]
	v_rcp_f64_e32 v[194:195], v[192:193]
	v_div_scale_f64 v[196:197], vcc, v[188:189], v[190:191], v[188:189]
	v_fma_f64 v[198:199], -v[192:193], v[194:195], 1.0
	v_fmac_f64_e32 v[194:195], v[194:195], v[198:199]
	v_fma_f64 v[198:199], -v[192:193], v[194:195], 1.0
	v_fmac_f64_e32 v[194:195], v[194:195], v[198:199]
	v_mul_f64 v[198:199], v[196:197], v[194:195]
	v_fma_f64 v[192:193], -v[192:193], v[198:199], v[196:197]
	v_div_fmas_f64 v[192:193], v[192:193], v[194:195], v[198:199]
	v_div_fixup_f64 v[192:193], v[192:193], v[190:191], v[188:189]
	v_fmac_f64_e32 v[190:191], v[188:189], v[192:193]
	v_div_scale_f64 v[188:189], s[10:11], v[190:191], v[190:191], 1.0
	v_rcp_f64_e32 v[194:195], v[188:189]
	s_nop 0
	v_fma_f64 v[196:197], -v[188:189], v[194:195], 1.0
	v_fmac_f64_e32 v[194:195], v[194:195], v[196:197]
	v_fma_f64 v[196:197], -v[188:189], v[194:195], 1.0
	v_fmac_f64_e32 v[194:195], v[194:195], v[196:197]
	v_div_scale_f64 v[196:197], vcc, 1.0, v[190:191], 1.0
	v_mul_f64 v[198:199], v[196:197], v[194:195]
	v_fma_f64 v[188:189], -v[188:189], v[198:199], v[196:197]
	s_nop 1
	v_div_fmas_f64 v[188:189], v[188:189], v[194:195], v[198:199]
	v_div_fixup_f64 v[194:195], v[188:189], v[190:191], 1.0
	v_mul_f64 v[192:193], v[192:193], v[194:195]
	v_xor_b32_e32 v195, 0x80000000, v195
                                        ; implicit-def: $vgpr188_vgpr189
.LBB93_167:
	s_andn2_saveexec_b64 s[2:3], s[2:3]
	s_cbranch_execz .LBB93_169
; %bb.168:
	v_div_scale_f64 v[192:193], s[10:11], v[188:189], v[188:189], v[190:191]
	v_rcp_f64_e32 v[194:195], v[192:193]
	v_div_scale_f64 v[196:197], vcc, v[190:191], v[188:189], v[190:191]
	v_fma_f64 v[198:199], -v[192:193], v[194:195], 1.0
	v_fmac_f64_e32 v[194:195], v[194:195], v[198:199]
	v_fma_f64 v[198:199], -v[192:193], v[194:195], 1.0
	v_fmac_f64_e32 v[194:195], v[194:195], v[198:199]
	v_mul_f64 v[198:199], v[196:197], v[194:195]
	v_fma_f64 v[192:193], -v[192:193], v[198:199], v[196:197]
	v_div_fmas_f64 v[192:193], v[192:193], v[194:195], v[198:199]
	v_div_fixup_f64 v[194:195], v[192:193], v[188:189], v[190:191]
	v_fmac_f64_e32 v[188:189], v[190:191], v[194:195]
	v_div_scale_f64 v[190:191], s[10:11], v[188:189], v[188:189], 1.0
	v_rcp_f64_e32 v[192:193], v[190:191]
	s_nop 0
	v_fma_f64 v[196:197], -v[190:191], v[192:193], 1.0
	v_fmac_f64_e32 v[192:193], v[192:193], v[196:197]
	v_fma_f64 v[196:197], -v[190:191], v[192:193], 1.0
	v_fmac_f64_e32 v[192:193], v[192:193], v[196:197]
	v_div_scale_f64 v[196:197], vcc, 1.0, v[188:189], 1.0
	v_mul_f64 v[198:199], v[196:197], v[192:193]
	v_fma_f64 v[190:191], -v[190:191], v[198:199], v[196:197]
	s_nop 1
	v_div_fmas_f64 v[190:191], v[190:191], v[192:193], v[198:199]
	v_div_fixup_f64 v[192:193], v[190:191], v[188:189], 1.0
	v_mul_f64 v[194:195], v[194:195], -v[192:193]
.LBB93_169:
	s_or_b64 exec, exec, s[2:3]
	ds_write2_b64 v255, v[192:193], v[194:195] offset1:1
.LBB93_170:
	s_or_b64 exec, exec, s[4:5]
	s_waitcnt lgkmcnt(0)
	s_barrier
	ds_read2_b64 v[188:191], v255 offset1:1
	v_cmp_lt_u32_e32 vcc, 18, v254
	s_waitcnt lgkmcnt(0)
	scratch_store_dwordx4 off, v[188:191], off offset:624 ; 16-byte Folded Spill
	s_and_saveexec_b64 s[2:3], vcc
	s_cbranch_execz .LBB93_172
; %bb.171:
	scratch_load_dwordx4 v[190:193], off, off offset:624 ; 16-byte Folded Reload
	s_waitcnt vmcnt(0)
	v_mul_f64 v[188:189], v[192:193], v[110:111]
	v_mul_f64 v[110:111], v[190:191], v[110:111]
	v_fma_f64 v[188:189], v[190:191], v[108:109], -v[188:189]
	v_fmac_f64_e32 v[110:111], v[192:193], v[108:109]
	ds_read2_b64 v[190:193], v241 offset0:38 offset1:39
	s_waitcnt lgkmcnt(0)
	v_mul_f64 v[108:109], v[192:193], v[110:111]
	v_fma_f64 v[108:109], v[190:191], v[188:189], -v[108:109]
	v_mul_f64 v[190:191], v[190:191], v[110:111]
	v_fmac_f64_e32 v[190:191], v[192:193], v[188:189]
	v_add_f64 v[106:107], v[106:107], -v[190:191]
	ds_read2_b64 v[190:193], v241 offset0:40 offset1:41
	v_add_f64 v[104:105], v[104:105], -v[108:109]
	s_waitcnt lgkmcnt(0)
	v_mul_f64 v[108:109], v[192:193], v[110:111]
	v_fma_f64 v[108:109], v[190:191], v[188:189], -v[108:109]
	v_mul_f64 v[190:191], v[190:191], v[110:111]
	v_fmac_f64_e32 v[190:191], v[192:193], v[188:189]
	v_add_f64 v[102:103], v[102:103], -v[190:191]
	ds_read2_b64 v[190:193], v241 offset0:42 offset1:43
	v_add_f64 v[100:101], v[100:101], -v[108:109]
	;; [unrolled: 8-line block ×27, first 2 shown]
	s_waitcnt lgkmcnt(0)
	v_mul_f64 v[108:109], v[192:193], v[110:111]
	v_fma_f64 v[108:109], v[190:191], v[188:189], -v[108:109]
	v_mul_f64 v[190:191], v[190:191], v[110:111]
	v_fmac_f64_e32 v[190:191], v[192:193], v[188:189]
	v_add_f64 v[184:185], v[184:185], -v[108:109]
	v_add_f64 v[186:187], v[186:187], -v[190:191]
	v_mov_b64_e32 v[108:109], v[188:189]
.LBB93_172:
	s_or_b64 exec, exec, s[2:3]
	v_cmp_eq_u32_e32 vcc, 19, v254
	s_waitcnt vmcnt(63) expcnt(7) lgkmcnt(15)
	s_barrier
	s_and_saveexec_b64 s[4:5], vcc
	s_cbranch_execz .LBB93_179
; %bb.173:
	ds_write2_b64 v255, v[104:105], v[106:107] offset1:1
	ds_write2_b64 v241, v[100:101], v[102:103] offset0:40 offset1:41
	ds_write2_b64 v241, v[96:97], v[98:99] offset0:42 offset1:43
	ds_write2_b64 v241, v[92:93], v[94:95] offset0:44 offset1:45
	ds_write2_b64 v241, v[88:89], v[90:91] offset0:46 offset1:47
	ds_write2_b64 v241, v[84:85], v[86:87] offset0:48 offset1:49
	ds_write2_b64 v241, v[80:81], v[82:83] offset0:50 offset1:51
	ds_write2_b64 v241, v[76:77], v[78:79] offset0:52 offset1:53
	ds_write2_b64 v241, v[72:73], v[74:75] offset0:54 offset1:55
	ds_write2_b64 v241, v[68:69], v[70:71] offset0:56 offset1:57
	ds_write2_b64 v241, v[64:65], v[66:67] offset0:58 offset1:59
	ds_write2_b64 v241, v[60:61], v[62:63] offset0:60 offset1:61
	s_waitcnt vmcnt(48)
	ds_write2_b64 v241, v[56:57], v[58:59] offset0:62 offset1:63
	s_waitcnt vmcnt(46)
	ds_write2_b64 v241, v[52:53], v[54:55] offset0:64 offset1:65
	;; [unrolled: 2-line block ×14, first 2 shown]
	ds_write2_b64 v241, v[0:1], v[2:3] offset0:90 offset1:91
	s_waitcnt vmcnt(32)
	ds_write2_b64 v241, v[184:185], v[186:187] offset0:92 offset1:93
	ds_read2_b64 v[188:191], v255 offset1:1
	s_waitcnt lgkmcnt(0)
	v_cmp_neq_f64_e32 vcc, 0, v[188:189]
	v_cmp_neq_f64_e64 s[2:3], 0, v[190:191]
	s_or_b64 s[2:3], vcc, s[2:3]
	s_and_b64 exec, exec, s[2:3]
	s_cbranch_execz .LBB93_179
; %bb.174:
	v_cmp_ngt_f64_e64 s[2:3], |v[188:189]|, |v[190:191]|
                                        ; implicit-def: $vgpr192_vgpr193
	s_and_saveexec_b64 s[10:11], s[2:3]
	s_xor_b64 s[2:3], exec, s[10:11]
                                        ; implicit-def: $vgpr194_vgpr195
	s_cbranch_execz .LBB93_176
; %bb.175:
	v_div_scale_f64 v[192:193], s[10:11], v[190:191], v[190:191], v[188:189]
	v_rcp_f64_e32 v[194:195], v[192:193]
	v_div_scale_f64 v[196:197], vcc, v[188:189], v[190:191], v[188:189]
	v_fma_f64 v[198:199], -v[192:193], v[194:195], 1.0
	v_fmac_f64_e32 v[194:195], v[194:195], v[198:199]
	v_fma_f64 v[198:199], -v[192:193], v[194:195], 1.0
	v_fmac_f64_e32 v[194:195], v[194:195], v[198:199]
	v_mul_f64 v[198:199], v[196:197], v[194:195]
	v_fma_f64 v[192:193], -v[192:193], v[198:199], v[196:197]
	v_div_fmas_f64 v[192:193], v[192:193], v[194:195], v[198:199]
	v_div_fixup_f64 v[192:193], v[192:193], v[190:191], v[188:189]
	v_fmac_f64_e32 v[190:191], v[188:189], v[192:193]
	v_div_scale_f64 v[188:189], s[10:11], v[190:191], v[190:191], 1.0
	v_rcp_f64_e32 v[194:195], v[188:189]
	s_nop 0
	v_fma_f64 v[196:197], -v[188:189], v[194:195], 1.0
	v_fmac_f64_e32 v[194:195], v[194:195], v[196:197]
	v_fma_f64 v[196:197], -v[188:189], v[194:195], 1.0
	v_fmac_f64_e32 v[194:195], v[194:195], v[196:197]
	v_div_scale_f64 v[196:197], vcc, 1.0, v[190:191], 1.0
	v_mul_f64 v[198:199], v[196:197], v[194:195]
	v_fma_f64 v[188:189], -v[188:189], v[198:199], v[196:197]
	s_nop 1
	v_div_fmas_f64 v[188:189], v[188:189], v[194:195], v[198:199]
	v_div_fixup_f64 v[194:195], v[188:189], v[190:191], 1.0
	v_mul_f64 v[192:193], v[192:193], v[194:195]
	v_xor_b32_e32 v195, 0x80000000, v195
                                        ; implicit-def: $vgpr188_vgpr189
.LBB93_176:
	s_andn2_saveexec_b64 s[2:3], s[2:3]
	s_cbranch_execz .LBB93_178
; %bb.177:
	v_div_scale_f64 v[192:193], s[10:11], v[188:189], v[188:189], v[190:191]
	v_rcp_f64_e32 v[194:195], v[192:193]
	v_div_scale_f64 v[196:197], vcc, v[190:191], v[188:189], v[190:191]
	v_fma_f64 v[198:199], -v[192:193], v[194:195], 1.0
	v_fmac_f64_e32 v[194:195], v[194:195], v[198:199]
	v_fma_f64 v[198:199], -v[192:193], v[194:195], 1.0
	v_fmac_f64_e32 v[194:195], v[194:195], v[198:199]
	v_mul_f64 v[198:199], v[196:197], v[194:195]
	v_fma_f64 v[192:193], -v[192:193], v[198:199], v[196:197]
	v_div_fmas_f64 v[192:193], v[192:193], v[194:195], v[198:199]
	v_div_fixup_f64 v[194:195], v[192:193], v[188:189], v[190:191]
	v_fmac_f64_e32 v[188:189], v[190:191], v[194:195]
	v_div_scale_f64 v[190:191], s[10:11], v[188:189], v[188:189], 1.0
	v_rcp_f64_e32 v[192:193], v[190:191]
	s_nop 0
	v_fma_f64 v[196:197], -v[190:191], v[192:193], 1.0
	v_fmac_f64_e32 v[192:193], v[192:193], v[196:197]
	v_fma_f64 v[196:197], -v[190:191], v[192:193], 1.0
	v_fmac_f64_e32 v[192:193], v[192:193], v[196:197]
	v_div_scale_f64 v[196:197], vcc, 1.0, v[188:189], 1.0
	v_mul_f64 v[198:199], v[196:197], v[192:193]
	v_fma_f64 v[190:191], -v[190:191], v[198:199], v[196:197]
	s_nop 1
	v_div_fmas_f64 v[190:191], v[190:191], v[192:193], v[198:199]
	v_div_fixup_f64 v[192:193], v[190:191], v[188:189], 1.0
	v_mul_f64 v[194:195], v[194:195], -v[192:193]
.LBB93_178:
	s_or_b64 exec, exec, s[2:3]
	ds_write2_b64 v255, v[192:193], v[194:195] offset1:1
.LBB93_179:
	s_or_b64 exec, exec, s[4:5]
	s_waitcnt lgkmcnt(0)
	s_barrier
	ds_read2_b64 v[188:191], v255 offset1:1
	v_cmp_lt_u32_e32 vcc, 19, v254
	s_waitcnt lgkmcnt(0)
	scratch_store_dwordx4 off, v[188:191], off offset:640 ; 16-byte Folded Spill
	s_and_saveexec_b64 s[2:3], vcc
	s_cbranch_execz .LBB93_181
; %bb.180:
	scratch_load_dwordx4 v[190:193], off, off offset:640 ; 16-byte Folded Reload
	s_waitcnt vmcnt(0)
	v_mul_f64 v[188:189], v[192:193], v[106:107]
	v_mul_f64 v[106:107], v[190:191], v[106:107]
	v_fma_f64 v[188:189], v[190:191], v[104:105], -v[188:189]
	v_fmac_f64_e32 v[106:107], v[192:193], v[104:105]
	ds_read2_b64 v[190:193], v241 offset0:40 offset1:41
	s_waitcnt lgkmcnt(0)
	v_mul_f64 v[104:105], v[192:193], v[106:107]
	v_fma_f64 v[104:105], v[190:191], v[188:189], -v[104:105]
	v_mul_f64 v[190:191], v[190:191], v[106:107]
	v_fmac_f64_e32 v[190:191], v[192:193], v[188:189]
	v_add_f64 v[102:103], v[102:103], -v[190:191]
	ds_read2_b64 v[190:193], v241 offset0:42 offset1:43
	v_add_f64 v[100:101], v[100:101], -v[104:105]
	s_waitcnt lgkmcnt(0)
	v_mul_f64 v[104:105], v[192:193], v[106:107]
	v_fma_f64 v[104:105], v[190:191], v[188:189], -v[104:105]
	v_mul_f64 v[190:191], v[190:191], v[106:107]
	v_fmac_f64_e32 v[190:191], v[192:193], v[188:189]
	v_add_f64 v[98:99], v[98:99], -v[190:191]
	ds_read2_b64 v[190:193], v241 offset0:44 offset1:45
	v_add_f64 v[96:97], v[96:97], -v[104:105]
	;; [unrolled: 8-line block ×26, first 2 shown]
	s_waitcnt lgkmcnt(0)
	v_mul_f64 v[104:105], v[192:193], v[106:107]
	v_fma_f64 v[104:105], v[190:191], v[188:189], -v[104:105]
	v_mul_f64 v[190:191], v[190:191], v[106:107]
	v_fmac_f64_e32 v[190:191], v[192:193], v[188:189]
	v_add_f64 v[184:185], v[184:185], -v[104:105]
	v_add_f64 v[186:187], v[186:187], -v[190:191]
	v_mov_b64_e32 v[104:105], v[188:189]
.LBB93_181:
	s_or_b64 exec, exec, s[2:3]
	v_cmp_eq_u32_e32 vcc, 20, v254
	s_waitcnt vmcnt(63) expcnt(7) lgkmcnt(15)
	s_barrier
	s_and_saveexec_b64 s[4:5], vcc
	s_cbranch_execz .LBB93_188
; %bb.182:
	ds_write2_b64 v255, v[100:101], v[102:103] offset1:1
	ds_write2_b64 v241, v[96:97], v[98:99] offset0:42 offset1:43
	ds_write2_b64 v241, v[92:93], v[94:95] offset0:44 offset1:45
	;; [unrolled: 1-line block ×10, first 2 shown]
	s_waitcnt vmcnt(49)
	ds_write2_b64 v241, v[56:57], v[58:59] offset0:62 offset1:63
	s_waitcnt vmcnt(47)
	ds_write2_b64 v241, v[52:53], v[54:55] offset0:64 offset1:65
	;; [unrolled: 2-line block ×14, first 2 shown]
	ds_write2_b64 v241, v[0:1], v[2:3] offset0:90 offset1:91
	s_waitcnt vmcnt(33)
	ds_write2_b64 v241, v[184:185], v[186:187] offset0:92 offset1:93
	ds_read2_b64 v[188:191], v255 offset1:1
	s_waitcnt lgkmcnt(0)
	v_cmp_neq_f64_e32 vcc, 0, v[188:189]
	v_cmp_neq_f64_e64 s[2:3], 0, v[190:191]
	s_or_b64 s[2:3], vcc, s[2:3]
	s_and_b64 exec, exec, s[2:3]
	s_cbranch_execz .LBB93_188
; %bb.183:
	v_cmp_ngt_f64_e64 s[2:3], |v[188:189]|, |v[190:191]|
                                        ; implicit-def: $vgpr192_vgpr193
	s_and_saveexec_b64 s[10:11], s[2:3]
	s_xor_b64 s[2:3], exec, s[10:11]
                                        ; implicit-def: $vgpr194_vgpr195
	s_cbranch_execz .LBB93_185
; %bb.184:
	v_div_scale_f64 v[192:193], s[10:11], v[190:191], v[190:191], v[188:189]
	v_rcp_f64_e32 v[194:195], v[192:193]
	v_div_scale_f64 v[196:197], vcc, v[188:189], v[190:191], v[188:189]
	v_fma_f64 v[198:199], -v[192:193], v[194:195], 1.0
	v_fmac_f64_e32 v[194:195], v[194:195], v[198:199]
	v_fma_f64 v[198:199], -v[192:193], v[194:195], 1.0
	v_fmac_f64_e32 v[194:195], v[194:195], v[198:199]
	v_mul_f64 v[198:199], v[196:197], v[194:195]
	v_fma_f64 v[192:193], -v[192:193], v[198:199], v[196:197]
	v_div_fmas_f64 v[192:193], v[192:193], v[194:195], v[198:199]
	v_div_fixup_f64 v[192:193], v[192:193], v[190:191], v[188:189]
	v_fmac_f64_e32 v[190:191], v[188:189], v[192:193]
	v_div_scale_f64 v[188:189], s[10:11], v[190:191], v[190:191], 1.0
	v_rcp_f64_e32 v[194:195], v[188:189]
	s_nop 0
	v_fma_f64 v[196:197], -v[188:189], v[194:195], 1.0
	v_fmac_f64_e32 v[194:195], v[194:195], v[196:197]
	v_fma_f64 v[196:197], -v[188:189], v[194:195], 1.0
	v_fmac_f64_e32 v[194:195], v[194:195], v[196:197]
	v_div_scale_f64 v[196:197], vcc, 1.0, v[190:191], 1.0
	v_mul_f64 v[198:199], v[196:197], v[194:195]
	v_fma_f64 v[188:189], -v[188:189], v[198:199], v[196:197]
	s_nop 1
	v_div_fmas_f64 v[188:189], v[188:189], v[194:195], v[198:199]
	v_div_fixup_f64 v[194:195], v[188:189], v[190:191], 1.0
	v_mul_f64 v[192:193], v[192:193], v[194:195]
	v_xor_b32_e32 v195, 0x80000000, v195
                                        ; implicit-def: $vgpr188_vgpr189
.LBB93_185:
	s_andn2_saveexec_b64 s[2:3], s[2:3]
	s_cbranch_execz .LBB93_187
; %bb.186:
	v_div_scale_f64 v[192:193], s[10:11], v[188:189], v[188:189], v[190:191]
	v_rcp_f64_e32 v[194:195], v[192:193]
	v_div_scale_f64 v[196:197], vcc, v[190:191], v[188:189], v[190:191]
	v_fma_f64 v[198:199], -v[192:193], v[194:195], 1.0
	v_fmac_f64_e32 v[194:195], v[194:195], v[198:199]
	v_fma_f64 v[198:199], -v[192:193], v[194:195], 1.0
	v_fmac_f64_e32 v[194:195], v[194:195], v[198:199]
	v_mul_f64 v[198:199], v[196:197], v[194:195]
	v_fma_f64 v[192:193], -v[192:193], v[198:199], v[196:197]
	v_div_fmas_f64 v[192:193], v[192:193], v[194:195], v[198:199]
	v_div_fixup_f64 v[194:195], v[192:193], v[188:189], v[190:191]
	v_fmac_f64_e32 v[188:189], v[190:191], v[194:195]
	v_div_scale_f64 v[190:191], s[10:11], v[188:189], v[188:189], 1.0
	v_rcp_f64_e32 v[192:193], v[190:191]
	s_nop 0
	v_fma_f64 v[196:197], -v[190:191], v[192:193], 1.0
	v_fmac_f64_e32 v[192:193], v[192:193], v[196:197]
	v_fma_f64 v[196:197], -v[190:191], v[192:193], 1.0
	v_fmac_f64_e32 v[192:193], v[192:193], v[196:197]
	v_div_scale_f64 v[196:197], vcc, 1.0, v[188:189], 1.0
	v_mul_f64 v[198:199], v[196:197], v[192:193]
	v_fma_f64 v[190:191], -v[190:191], v[198:199], v[196:197]
	s_nop 1
	v_div_fmas_f64 v[190:191], v[190:191], v[192:193], v[198:199]
	v_div_fixup_f64 v[192:193], v[190:191], v[188:189], 1.0
	v_mul_f64 v[194:195], v[194:195], -v[192:193]
.LBB93_187:
	s_or_b64 exec, exec, s[2:3]
	ds_write2_b64 v255, v[192:193], v[194:195] offset1:1
.LBB93_188:
	s_or_b64 exec, exec, s[4:5]
	s_waitcnt lgkmcnt(0)
	s_barrier
	ds_read2_b64 v[188:191], v255 offset1:1
	v_cmp_lt_u32_e32 vcc, 20, v254
	s_waitcnt lgkmcnt(0)
	scratch_store_dwordx4 off, v[188:191], off offset:656 ; 16-byte Folded Spill
	s_and_saveexec_b64 s[2:3], vcc
	s_cbranch_execz .LBB93_190
; %bb.189:
	scratch_load_dwordx4 v[190:193], off, off offset:656 ; 16-byte Folded Reload
	s_waitcnt vmcnt(0)
	v_mul_f64 v[188:189], v[192:193], v[102:103]
	v_mul_f64 v[102:103], v[190:191], v[102:103]
	v_fma_f64 v[188:189], v[190:191], v[100:101], -v[188:189]
	v_fmac_f64_e32 v[102:103], v[192:193], v[100:101]
	ds_read2_b64 v[190:193], v241 offset0:42 offset1:43
	s_waitcnt lgkmcnt(0)
	v_mul_f64 v[100:101], v[192:193], v[102:103]
	v_fma_f64 v[100:101], v[190:191], v[188:189], -v[100:101]
	v_mul_f64 v[190:191], v[190:191], v[102:103]
	v_fmac_f64_e32 v[190:191], v[192:193], v[188:189]
	v_add_f64 v[98:99], v[98:99], -v[190:191]
	ds_read2_b64 v[190:193], v241 offset0:44 offset1:45
	v_add_f64 v[96:97], v[96:97], -v[100:101]
	s_waitcnt lgkmcnt(0)
	v_mul_f64 v[100:101], v[192:193], v[102:103]
	v_fma_f64 v[100:101], v[190:191], v[188:189], -v[100:101]
	v_mul_f64 v[190:191], v[190:191], v[102:103]
	v_fmac_f64_e32 v[190:191], v[192:193], v[188:189]
	v_add_f64 v[94:95], v[94:95], -v[190:191]
	ds_read2_b64 v[190:193], v241 offset0:46 offset1:47
	v_add_f64 v[92:93], v[92:93], -v[100:101]
	;; [unrolled: 8-line block ×25, first 2 shown]
	s_waitcnt lgkmcnt(0)
	v_mul_f64 v[100:101], v[192:193], v[102:103]
	v_fma_f64 v[100:101], v[190:191], v[188:189], -v[100:101]
	v_mul_f64 v[190:191], v[190:191], v[102:103]
	v_fmac_f64_e32 v[190:191], v[192:193], v[188:189]
	v_add_f64 v[184:185], v[184:185], -v[100:101]
	v_add_f64 v[186:187], v[186:187], -v[190:191]
	v_mov_b64_e32 v[100:101], v[188:189]
.LBB93_190:
	s_or_b64 exec, exec, s[2:3]
	v_cmp_eq_u32_e32 vcc, 21, v254
	s_waitcnt vmcnt(63) expcnt(7) lgkmcnt(15)
	s_barrier
	s_and_saveexec_b64 s[4:5], vcc
	s_cbranch_execz .LBB93_197
; %bb.191:
	ds_write2_b64 v255, v[96:97], v[98:99] offset1:1
	ds_write2_b64 v241, v[92:93], v[94:95] offset0:44 offset1:45
	ds_write2_b64 v241, v[88:89], v[90:91] offset0:46 offset1:47
	;; [unrolled: 1-line block ×9, first 2 shown]
	s_waitcnt vmcnt(50)
	ds_write2_b64 v241, v[56:57], v[58:59] offset0:62 offset1:63
	s_waitcnt vmcnt(48)
	ds_write2_b64 v241, v[52:53], v[54:55] offset0:64 offset1:65
	s_waitcnt vmcnt(47)
	ds_write2_b64 v241, v[48:49], v[50:51] offset0:66 offset1:67
	s_waitcnt vmcnt(46)
	ds_write2_b64 v241, v[44:45], v[46:47] offset0:68 offset1:69
	s_waitcnt vmcnt(45)
	ds_write2_b64 v241, v[40:41], v[42:43] offset0:70 offset1:71
	s_waitcnt vmcnt(44)
	ds_write2_b64 v241, v[36:37], v[38:39] offset0:72 offset1:73
	s_waitcnt vmcnt(43)
	ds_write2_b64 v241, v[32:33], v[34:35] offset0:74 offset1:75
	s_waitcnt vmcnt(42)
	ds_write2_b64 v241, v[28:29], v[30:31] offset0:76 offset1:77
	s_waitcnt vmcnt(41)
	ds_write2_b64 v241, v[24:25], v[26:27] offset0:78 offset1:79
	s_waitcnt vmcnt(40)
	ds_write2_b64 v241, v[20:21], v[22:23] offset0:80 offset1:81
	s_waitcnt vmcnt(39)
	ds_write2_b64 v241, v[16:17], v[18:19] offset0:82 offset1:83
	s_waitcnt vmcnt(38)
	ds_write2_b64 v241, v[12:13], v[14:15] offset0:84 offset1:85
	s_waitcnt vmcnt(37)
	ds_write2_b64 v241, v[8:9], v[10:11] offset0:86 offset1:87
	s_waitcnt vmcnt(36)
	ds_write2_b64 v241, v[4:5], v[6:7] offset0:88 offset1:89
	ds_write2_b64 v241, v[0:1], v[2:3] offset0:90 offset1:91
	s_waitcnt vmcnt(34)
	ds_write2_b64 v241, v[184:185], v[186:187] offset0:92 offset1:93
	ds_read2_b64 v[188:191], v255 offset1:1
	s_waitcnt lgkmcnt(0)
	v_cmp_neq_f64_e32 vcc, 0, v[188:189]
	v_cmp_neq_f64_e64 s[2:3], 0, v[190:191]
	s_or_b64 s[2:3], vcc, s[2:3]
	s_and_b64 exec, exec, s[2:3]
	s_cbranch_execz .LBB93_197
; %bb.192:
	v_cmp_ngt_f64_e64 s[2:3], |v[188:189]|, |v[190:191]|
                                        ; implicit-def: $vgpr192_vgpr193
	s_and_saveexec_b64 s[10:11], s[2:3]
	s_xor_b64 s[2:3], exec, s[10:11]
                                        ; implicit-def: $vgpr194_vgpr195
	s_cbranch_execz .LBB93_194
; %bb.193:
	v_div_scale_f64 v[192:193], s[10:11], v[190:191], v[190:191], v[188:189]
	v_rcp_f64_e32 v[194:195], v[192:193]
	v_div_scale_f64 v[196:197], vcc, v[188:189], v[190:191], v[188:189]
	v_fma_f64 v[198:199], -v[192:193], v[194:195], 1.0
	v_fmac_f64_e32 v[194:195], v[194:195], v[198:199]
	v_fma_f64 v[198:199], -v[192:193], v[194:195], 1.0
	v_fmac_f64_e32 v[194:195], v[194:195], v[198:199]
	v_mul_f64 v[198:199], v[196:197], v[194:195]
	v_fma_f64 v[192:193], -v[192:193], v[198:199], v[196:197]
	v_div_fmas_f64 v[192:193], v[192:193], v[194:195], v[198:199]
	v_div_fixup_f64 v[192:193], v[192:193], v[190:191], v[188:189]
	v_fmac_f64_e32 v[190:191], v[188:189], v[192:193]
	v_div_scale_f64 v[188:189], s[10:11], v[190:191], v[190:191], 1.0
	v_rcp_f64_e32 v[194:195], v[188:189]
	s_nop 0
	v_fma_f64 v[196:197], -v[188:189], v[194:195], 1.0
	v_fmac_f64_e32 v[194:195], v[194:195], v[196:197]
	v_fma_f64 v[196:197], -v[188:189], v[194:195], 1.0
	v_fmac_f64_e32 v[194:195], v[194:195], v[196:197]
	v_div_scale_f64 v[196:197], vcc, 1.0, v[190:191], 1.0
	v_mul_f64 v[198:199], v[196:197], v[194:195]
	v_fma_f64 v[188:189], -v[188:189], v[198:199], v[196:197]
	s_nop 1
	v_div_fmas_f64 v[188:189], v[188:189], v[194:195], v[198:199]
	v_div_fixup_f64 v[194:195], v[188:189], v[190:191], 1.0
	v_mul_f64 v[192:193], v[192:193], v[194:195]
	v_xor_b32_e32 v195, 0x80000000, v195
                                        ; implicit-def: $vgpr188_vgpr189
.LBB93_194:
	s_andn2_saveexec_b64 s[2:3], s[2:3]
	s_cbranch_execz .LBB93_196
; %bb.195:
	v_div_scale_f64 v[192:193], s[10:11], v[188:189], v[188:189], v[190:191]
	v_rcp_f64_e32 v[194:195], v[192:193]
	v_div_scale_f64 v[196:197], vcc, v[190:191], v[188:189], v[190:191]
	v_fma_f64 v[198:199], -v[192:193], v[194:195], 1.0
	v_fmac_f64_e32 v[194:195], v[194:195], v[198:199]
	v_fma_f64 v[198:199], -v[192:193], v[194:195], 1.0
	v_fmac_f64_e32 v[194:195], v[194:195], v[198:199]
	v_mul_f64 v[198:199], v[196:197], v[194:195]
	v_fma_f64 v[192:193], -v[192:193], v[198:199], v[196:197]
	v_div_fmas_f64 v[192:193], v[192:193], v[194:195], v[198:199]
	v_div_fixup_f64 v[194:195], v[192:193], v[188:189], v[190:191]
	v_fmac_f64_e32 v[188:189], v[190:191], v[194:195]
	v_div_scale_f64 v[190:191], s[10:11], v[188:189], v[188:189], 1.0
	v_rcp_f64_e32 v[192:193], v[190:191]
	s_nop 0
	v_fma_f64 v[196:197], -v[190:191], v[192:193], 1.0
	v_fmac_f64_e32 v[192:193], v[192:193], v[196:197]
	v_fma_f64 v[196:197], -v[190:191], v[192:193], 1.0
	v_fmac_f64_e32 v[192:193], v[192:193], v[196:197]
	v_div_scale_f64 v[196:197], vcc, 1.0, v[188:189], 1.0
	v_mul_f64 v[198:199], v[196:197], v[192:193]
	v_fma_f64 v[190:191], -v[190:191], v[198:199], v[196:197]
	s_nop 1
	v_div_fmas_f64 v[190:191], v[190:191], v[192:193], v[198:199]
	v_div_fixup_f64 v[192:193], v[190:191], v[188:189], 1.0
	v_mul_f64 v[194:195], v[194:195], -v[192:193]
.LBB93_196:
	s_or_b64 exec, exec, s[2:3]
	ds_write2_b64 v255, v[192:193], v[194:195] offset1:1
.LBB93_197:
	s_or_b64 exec, exec, s[4:5]
	s_waitcnt lgkmcnt(0)
	s_barrier
	ds_read2_b64 v[188:191], v255 offset1:1
	v_cmp_lt_u32_e32 vcc, 21, v254
	s_waitcnt lgkmcnt(0)
	scratch_store_dwordx4 off, v[188:191], off offset:672 ; 16-byte Folded Spill
	s_and_saveexec_b64 s[2:3], vcc
	s_cbranch_execz .LBB93_199
; %bb.198:
	scratch_load_dwordx4 v[190:193], off, off offset:672 ; 16-byte Folded Reload
	s_waitcnt vmcnt(0)
	v_mul_f64 v[188:189], v[192:193], v[98:99]
	v_mul_f64 v[98:99], v[190:191], v[98:99]
	v_fma_f64 v[188:189], v[190:191], v[96:97], -v[188:189]
	v_fmac_f64_e32 v[98:99], v[192:193], v[96:97]
	ds_read2_b64 v[190:193], v241 offset0:44 offset1:45
	s_waitcnt lgkmcnt(0)
	v_mul_f64 v[96:97], v[192:193], v[98:99]
	v_fma_f64 v[96:97], v[190:191], v[188:189], -v[96:97]
	v_mul_f64 v[190:191], v[190:191], v[98:99]
	v_fmac_f64_e32 v[190:191], v[192:193], v[188:189]
	v_add_f64 v[94:95], v[94:95], -v[190:191]
	ds_read2_b64 v[190:193], v241 offset0:46 offset1:47
	v_add_f64 v[92:93], v[92:93], -v[96:97]
	s_waitcnt lgkmcnt(0)
	v_mul_f64 v[96:97], v[192:193], v[98:99]
	v_fma_f64 v[96:97], v[190:191], v[188:189], -v[96:97]
	v_mul_f64 v[190:191], v[190:191], v[98:99]
	v_fmac_f64_e32 v[190:191], v[192:193], v[188:189]
	v_add_f64 v[90:91], v[90:91], -v[190:191]
	ds_read2_b64 v[190:193], v241 offset0:48 offset1:49
	v_add_f64 v[88:89], v[88:89], -v[96:97]
	;; [unrolled: 8-line block ×24, first 2 shown]
	s_waitcnt lgkmcnt(0)
	v_mul_f64 v[96:97], v[192:193], v[98:99]
	v_fma_f64 v[96:97], v[190:191], v[188:189], -v[96:97]
	v_mul_f64 v[190:191], v[190:191], v[98:99]
	v_fmac_f64_e32 v[190:191], v[192:193], v[188:189]
	v_add_f64 v[184:185], v[184:185], -v[96:97]
	v_add_f64 v[186:187], v[186:187], -v[190:191]
	v_mov_b64_e32 v[96:97], v[188:189]
.LBB93_199:
	s_or_b64 exec, exec, s[2:3]
	v_cmp_eq_u32_e32 vcc, 22, v254
	s_waitcnt vmcnt(63) expcnt(7) lgkmcnt(15)
	s_barrier
	s_and_saveexec_b64 s[4:5], vcc
	s_cbranch_execz .LBB93_206
; %bb.200:
	ds_write2_b64 v255, v[92:93], v[94:95] offset1:1
	ds_write2_b64 v241, v[88:89], v[90:91] offset0:46 offset1:47
	ds_write2_b64 v241, v[84:85], v[86:87] offset0:48 offset1:49
	;; [unrolled: 1-line block ×8, first 2 shown]
	s_waitcnt vmcnt(51)
	ds_write2_b64 v241, v[56:57], v[58:59] offset0:62 offset1:63
	s_waitcnt vmcnt(49)
	ds_write2_b64 v241, v[52:53], v[54:55] offset0:64 offset1:65
	;; [unrolled: 2-line block ×14, first 2 shown]
	ds_write2_b64 v241, v[0:1], v[2:3] offset0:90 offset1:91
	s_waitcnt vmcnt(35)
	ds_write2_b64 v241, v[184:185], v[186:187] offset0:92 offset1:93
	ds_read2_b64 v[188:191], v255 offset1:1
	s_waitcnt lgkmcnt(0)
	v_cmp_neq_f64_e32 vcc, 0, v[188:189]
	v_cmp_neq_f64_e64 s[2:3], 0, v[190:191]
	s_or_b64 s[2:3], vcc, s[2:3]
	s_and_b64 exec, exec, s[2:3]
	s_cbranch_execz .LBB93_206
; %bb.201:
	v_cmp_ngt_f64_e64 s[2:3], |v[188:189]|, |v[190:191]|
                                        ; implicit-def: $vgpr192_vgpr193
	s_and_saveexec_b64 s[10:11], s[2:3]
	s_xor_b64 s[2:3], exec, s[10:11]
                                        ; implicit-def: $vgpr194_vgpr195
	s_cbranch_execz .LBB93_203
; %bb.202:
	v_div_scale_f64 v[192:193], s[10:11], v[190:191], v[190:191], v[188:189]
	v_rcp_f64_e32 v[194:195], v[192:193]
	v_div_scale_f64 v[196:197], vcc, v[188:189], v[190:191], v[188:189]
	v_fma_f64 v[198:199], -v[192:193], v[194:195], 1.0
	v_fmac_f64_e32 v[194:195], v[194:195], v[198:199]
	v_fma_f64 v[198:199], -v[192:193], v[194:195], 1.0
	v_fmac_f64_e32 v[194:195], v[194:195], v[198:199]
	v_mul_f64 v[198:199], v[196:197], v[194:195]
	v_fma_f64 v[192:193], -v[192:193], v[198:199], v[196:197]
	v_div_fmas_f64 v[192:193], v[192:193], v[194:195], v[198:199]
	v_div_fixup_f64 v[192:193], v[192:193], v[190:191], v[188:189]
	v_fmac_f64_e32 v[190:191], v[188:189], v[192:193]
	v_div_scale_f64 v[188:189], s[10:11], v[190:191], v[190:191], 1.0
	v_rcp_f64_e32 v[194:195], v[188:189]
	s_nop 0
	v_fma_f64 v[196:197], -v[188:189], v[194:195], 1.0
	v_fmac_f64_e32 v[194:195], v[194:195], v[196:197]
	v_fma_f64 v[196:197], -v[188:189], v[194:195], 1.0
	v_fmac_f64_e32 v[194:195], v[194:195], v[196:197]
	v_div_scale_f64 v[196:197], vcc, 1.0, v[190:191], 1.0
	v_mul_f64 v[198:199], v[196:197], v[194:195]
	v_fma_f64 v[188:189], -v[188:189], v[198:199], v[196:197]
	s_nop 1
	v_div_fmas_f64 v[188:189], v[188:189], v[194:195], v[198:199]
	v_div_fixup_f64 v[194:195], v[188:189], v[190:191], 1.0
	v_mul_f64 v[192:193], v[192:193], v[194:195]
	v_xor_b32_e32 v195, 0x80000000, v195
                                        ; implicit-def: $vgpr188_vgpr189
.LBB93_203:
	s_andn2_saveexec_b64 s[2:3], s[2:3]
	s_cbranch_execz .LBB93_205
; %bb.204:
	v_div_scale_f64 v[192:193], s[10:11], v[188:189], v[188:189], v[190:191]
	v_rcp_f64_e32 v[194:195], v[192:193]
	v_div_scale_f64 v[196:197], vcc, v[190:191], v[188:189], v[190:191]
	v_fma_f64 v[198:199], -v[192:193], v[194:195], 1.0
	v_fmac_f64_e32 v[194:195], v[194:195], v[198:199]
	v_fma_f64 v[198:199], -v[192:193], v[194:195], 1.0
	v_fmac_f64_e32 v[194:195], v[194:195], v[198:199]
	v_mul_f64 v[198:199], v[196:197], v[194:195]
	v_fma_f64 v[192:193], -v[192:193], v[198:199], v[196:197]
	v_div_fmas_f64 v[192:193], v[192:193], v[194:195], v[198:199]
	v_div_fixup_f64 v[194:195], v[192:193], v[188:189], v[190:191]
	v_fmac_f64_e32 v[188:189], v[190:191], v[194:195]
	v_div_scale_f64 v[190:191], s[10:11], v[188:189], v[188:189], 1.0
	v_rcp_f64_e32 v[192:193], v[190:191]
	s_nop 0
	v_fma_f64 v[196:197], -v[190:191], v[192:193], 1.0
	v_fmac_f64_e32 v[192:193], v[192:193], v[196:197]
	v_fma_f64 v[196:197], -v[190:191], v[192:193], 1.0
	v_fmac_f64_e32 v[192:193], v[192:193], v[196:197]
	v_div_scale_f64 v[196:197], vcc, 1.0, v[188:189], 1.0
	v_mul_f64 v[198:199], v[196:197], v[192:193]
	v_fma_f64 v[190:191], -v[190:191], v[198:199], v[196:197]
	s_nop 1
	v_div_fmas_f64 v[190:191], v[190:191], v[192:193], v[198:199]
	v_div_fixup_f64 v[192:193], v[190:191], v[188:189], 1.0
	v_mul_f64 v[194:195], v[194:195], -v[192:193]
.LBB93_205:
	s_or_b64 exec, exec, s[2:3]
	ds_write2_b64 v255, v[192:193], v[194:195] offset1:1
.LBB93_206:
	s_or_b64 exec, exec, s[4:5]
	s_waitcnt lgkmcnt(0)
	s_barrier
	ds_read2_b64 v[188:191], v255 offset1:1
	v_cmp_lt_u32_e32 vcc, 22, v254
	s_waitcnt lgkmcnt(0)
	scratch_store_dwordx4 off, v[188:191], off offset:688 ; 16-byte Folded Spill
	s_and_saveexec_b64 s[2:3], vcc
	s_cbranch_execz .LBB93_208
; %bb.207:
	scratch_load_dwordx4 v[190:193], off, off offset:688 ; 16-byte Folded Reload
	s_waitcnt vmcnt(0)
	v_mul_f64 v[188:189], v[192:193], v[94:95]
	v_mul_f64 v[94:95], v[190:191], v[94:95]
	v_fma_f64 v[188:189], v[190:191], v[92:93], -v[188:189]
	v_fmac_f64_e32 v[94:95], v[192:193], v[92:93]
	ds_read2_b64 v[190:193], v241 offset0:46 offset1:47
	s_waitcnt lgkmcnt(0)
	v_mul_f64 v[92:93], v[192:193], v[94:95]
	v_fma_f64 v[92:93], v[190:191], v[188:189], -v[92:93]
	v_mul_f64 v[190:191], v[190:191], v[94:95]
	v_fmac_f64_e32 v[190:191], v[192:193], v[188:189]
	v_add_f64 v[90:91], v[90:91], -v[190:191]
	ds_read2_b64 v[190:193], v241 offset0:48 offset1:49
	v_add_f64 v[88:89], v[88:89], -v[92:93]
	s_waitcnt lgkmcnt(0)
	v_mul_f64 v[92:93], v[192:193], v[94:95]
	v_fma_f64 v[92:93], v[190:191], v[188:189], -v[92:93]
	v_mul_f64 v[190:191], v[190:191], v[94:95]
	v_fmac_f64_e32 v[190:191], v[192:193], v[188:189]
	v_add_f64 v[86:87], v[86:87], -v[190:191]
	ds_read2_b64 v[190:193], v241 offset0:50 offset1:51
	v_add_f64 v[84:85], v[84:85], -v[92:93]
	;; [unrolled: 8-line block ×23, first 2 shown]
	s_waitcnt lgkmcnt(0)
	v_mul_f64 v[92:93], v[192:193], v[94:95]
	v_fma_f64 v[92:93], v[190:191], v[188:189], -v[92:93]
	v_mul_f64 v[190:191], v[190:191], v[94:95]
	v_fmac_f64_e32 v[190:191], v[192:193], v[188:189]
	v_add_f64 v[184:185], v[184:185], -v[92:93]
	v_add_f64 v[186:187], v[186:187], -v[190:191]
	v_mov_b64_e32 v[92:93], v[188:189]
.LBB93_208:
	s_or_b64 exec, exec, s[2:3]
	v_cmp_eq_u32_e32 vcc, 23, v254
	s_waitcnt vmcnt(63) expcnt(7) lgkmcnt(15)
	s_barrier
	s_and_saveexec_b64 s[4:5], vcc
	s_cbranch_execz .LBB93_215
; %bb.209:
	ds_write2_b64 v255, v[88:89], v[90:91] offset1:1
	ds_write2_b64 v241, v[84:85], v[86:87] offset0:48 offset1:49
	ds_write2_b64 v241, v[80:81], v[82:83] offset0:50 offset1:51
	;; [unrolled: 1-line block ×7, first 2 shown]
	s_waitcnt vmcnt(52)
	ds_write2_b64 v241, v[56:57], v[58:59] offset0:62 offset1:63
	s_waitcnt vmcnt(50)
	ds_write2_b64 v241, v[52:53], v[54:55] offset0:64 offset1:65
	;; [unrolled: 2-line block ×14, first 2 shown]
	ds_write2_b64 v241, v[0:1], v[2:3] offset0:90 offset1:91
	s_waitcnt vmcnt(36)
	ds_write2_b64 v241, v[184:185], v[186:187] offset0:92 offset1:93
	ds_read2_b64 v[188:191], v255 offset1:1
	s_waitcnt lgkmcnt(0)
	v_cmp_neq_f64_e32 vcc, 0, v[188:189]
	v_cmp_neq_f64_e64 s[2:3], 0, v[190:191]
	s_or_b64 s[2:3], vcc, s[2:3]
	s_and_b64 exec, exec, s[2:3]
	s_cbranch_execz .LBB93_215
; %bb.210:
	v_cmp_ngt_f64_e64 s[2:3], |v[188:189]|, |v[190:191]|
                                        ; implicit-def: $vgpr192_vgpr193
	s_and_saveexec_b64 s[10:11], s[2:3]
	s_xor_b64 s[2:3], exec, s[10:11]
                                        ; implicit-def: $vgpr194_vgpr195
	s_cbranch_execz .LBB93_212
; %bb.211:
	v_div_scale_f64 v[192:193], s[10:11], v[190:191], v[190:191], v[188:189]
	v_rcp_f64_e32 v[194:195], v[192:193]
	v_div_scale_f64 v[196:197], vcc, v[188:189], v[190:191], v[188:189]
	v_fma_f64 v[198:199], -v[192:193], v[194:195], 1.0
	v_fmac_f64_e32 v[194:195], v[194:195], v[198:199]
	v_fma_f64 v[198:199], -v[192:193], v[194:195], 1.0
	v_fmac_f64_e32 v[194:195], v[194:195], v[198:199]
	v_mul_f64 v[198:199], v[196:197], v[194:195]
	v_fma_f64 v[192:193], -v[192:193], v[198:199], v[196:197]
	v_div_fmas_f64 v[192:193], v[192:193], v[194:195], v[198:199]
	v_div_fixup_f64 v[192:193], v[192:193], v[190:191], v[188:189]
	v_fmac_f64_e32 v[190:191], v[188:189], v[192:193]
	v_div_scale_f64 v[188:189], s[10:11], v[190:191], v[190:191], 1.0
	v_rcp_f64_e32 v[194:195], v[188:189]
	s_nop 0
	v_fma_f64 v[196:197], -v[188:189], v[194:195], 1.0
	v_fmac_f64_e32 v[194:195], v[194:195], v[196:197]
	v_fma_f64 v[196:197], -v[188:189], v[194:195], 1.0
	v_fmac_f64_e32 v[194:195], v[194:195], v[196:197]
	v_div_scale_f64 v[196:197], vcc, 1.0, v[190:191], 1.0
	v_mul_f64 v[198:199], v[196:197], v[194:195]
	v_fma_f64 v[188:189], -v[188:189], v[198:199], v[196:197]
	s_nop 1
	v_div_fmas_f64 v[188:189], v[188:189], v[194:195], v[198:199]
	v_div_fixup_f64 v[194:195], v[188:189], v[190:191], 1.0
	v_mul_f64 v[192:193], v[192:193], v[194:195]
	v_xor_b32_e32 v195, 0x80000000, v195
                                        ; implicit-def: $vgpr188_vgpr189
.LBB93_212:
	s_andn2_saveexec_b64 s[2:3], s[2:3]
	s_cbranch_execz .LBB93_214
; %bb.213:
	v_div_scale_f64 v[192:193], s[10:11], v[188:189], v[188:189], v[190:191]
	v_rcp_f64_e32 v[194:195], v[192:193]
	v_div_scale_f64 v[196:197], vcc, v[190:191], v[188:189], v[190:191]
	v_fma_f64 v[198:199], -v[192:193], v[194:195], 1.0
	v_fmac_f64_e32 v[194:195], v[194:195], v[198:199]
	v_fma_f64 v[198:199], -v[192:193], v[194:195], 1.0
	v_fmac_f64_e32 v[194:195], v[194:195], v[198:199]
	v_mul_f64 v[198:199], v[196:197], v[194:195]
	v_fma_f64 v[192:193], -v[192:193], v[198:199], v[196:197]
	v_div_fmas_f64 v[192:193], v[192:193], v[194:195], v[198:199]
	v_div_fixup_f64 v[194:195], v[192:193], v[188:189], v[190:191]
	v_fmac_f64_e32 v[188:189], v[190:191], v[194:195]
	v_div_scale_f64 v[190:191], s[10:11], v[188:189], v[188:189], 1.0
	v_rcp_f64_e32 v[192:193], v[190:191]
	s_nop 0
	v_fma_f64 v[196:197], -v[190:191], v[192:193], 1.0
	v_fmac_f64_e32 v[192:193], v[192:193], v[196:197]
	v_fma_f64 v[196:197], -v[190:191], v[192:193], 1.0
	v_fmac_f64_e32 v[192:193], v[192:193], v[196:197]
	v_div_scale_f64 v[196:197], vcc, 1.0, v[188:189], 1.0
	v_mul_f64 v[198:199], v[196:197], v[192:193]
	v_fma_f64 v[190:191], -v[190:191], v[198:199], v[196:197]
	s_nop 1
	v_div_fmas_f64 v[190:191], v[190:191], v[192:193], v[198:199]
	v_div_fixup_f64 v[192:193], v[190:191], v[188:189], 1.0
	v_mul_f64 v[194:195], v[194:195], -v[192:193]
.LBB93_214:
	s_or_b64 exec, exec, s[2:3]
	ds_write2_b64 v255, v[192:193], v[194:195] offset1:1
.LBB93_215:
	s_or_b64 exec, exec, s[4:5]
	s_waitcnt lgkmcnt(0)
	s_barrier
	ds_read2_b64 v[188:191], v255 offset1:1
	v_cmp_lt_u32_e32 vcc, 23, v254
	s_waitcnt lgkmcnt(0)
	scratch_store_dwordx4 off, v[188:191], off offset:704 ; 16-byte Folded Spill
	s_and_saveexec_b64 s[2:3], vcc
	s_cbranch_execz .LBB93_217
; %bb.216:
	scratch_load_dwordx4 v[190:193], off, off offset:704 ; 16-byte Folded Reload
	s_waitcnt vmcnt(0)
	v_mul_f64 v[188:189], v[192:193], v[90:91]
	v_mul_f64 v[90:91], v[190:191], v[90:91]
	v_fma_f64 v[188:189], v[190:191], v[88:89], -v[188:189]
	v_fmac_f64_e32 v[90:91], v[192:193], v[88:89]
	ds_read2_b64 v[190:193], v241 offset0:48 offset1:49
	s_waitcnt lgkmcnt(0)
	v_mul_f64 v[88:89], v[192:193], v[90:91]
	v_fma_f64 v[88:89], v[190:191], v[188:189], -v[88:89]
	v_mul_f64 v[190:191], v[190:191], v[90:91]
	v_fmac_f64_e32 v[190:191], v[192:193], v[188:189]
	v_add_f64 v[86:87], v[86:87], -v[190:191]
	ds_read2_b64 v[190:193], v241 offset0:50 offset1:51
	v_add_f64 v[84:85], v[84:85], -v[88:89]
	s_waitcnt lgkmcnt(0)
	v_mul_f64 v[88:89], v[192:193], v[90:91]
	v_fma_f64 v[88:89], v[190:191], v[188:189], -v[88:89]
	v_mul_f64 v[190:191], v[190:191], v[90:91]
	v_fmac_f64_e32 v[190:191], v[192:193], v[188:189]
	v_add_f64 v[82:83], v[82:83], -v[190:191]
	ds_read2_b64 v[190:193], v241 offset0:52 offset1:53
	v_add_f64 v[80:81], v[80:81], -v[88:89]
	s_waitcnt lgkmcnt(0)
	v_mul_f64 v[88:89], v[192:193], v[90:91]
	v_fma_f64 v[88:89], v[190:191], v[188:189], -v[88:89]
	v_mul_f64 v[190:191], v[190:191], v[90:91]
	v_fmac_f64_e32 v[190:191], v[192:193], v[188:189]
	v_add_f64 v[78:79], v[78:79], -v[190:191]
	ds_read2_b64 v[190:193], v241 offset0:54 offset1:55
	v_add_f64 v[76:77], v[76:77], -v[88:89]
	s_waitcnt lgkmcnt(0)
	v_mul_f64 v[88:89], v[192:193], v[90:91]
	v_fma_f64 v[88:89], v[190:191], v[188:189], -v[88:89]
	v_mul_f64 v[190:191], v[190:191], v[90:91]
	v_fmac_f64_e32 v[190:191], v[192:193], v[188:189]
	v_add_f64 v[74:75], v[74:75], -v[190:191]
	ds_read2_b64 v[190:193], v241 offset0:56 offset1:57
	v_add_f64 v[72:73], v[72:73], -v[88:89]
	s_waitcnt lgkmcnt(0)
	v_mul_f64 v[88:89], v[192:193], v[90:91]
	v_fma_f64 v[88:89], v[190:191], v[188:189], -v[88:89]
	v_mul_f64 v[190:191], v[190:191], v[90:91]
	v_fmac_f64_e32 v[190:191], v[192:193], v[188:189]
	v_add_f64 v[70:71], v[70:71], -v[190:191]
	ds_read2_b64 v[190:193], v241 offset0:58 offset1:59
	v_add_f64 v[68:69], v[68:69], -v[88:89]
	s_waitcnt lgkmcnt(0)
	v_mul_f64 v[88:89], v[192:193], v[90:91]
	v_fma_f64 v[88:89], v[190:191], v[188:189], -v[88:89]
	v_mul_f64 v[190:191], v[190:191], v[90:91]
	v_fmac_f64_e32 v[190:191], v[192:193], v[188:189]
	v_add_f64 v[66:67], v[66:67], -v[190:191]
	ds_read2_b64 v[190:193], v241 offset0:60 offset1:61
	v_add_f64 v[64:65], v[64:65], -v[88:89]
	s_waitcnt lgkmcnt(0)
	v_mul_f64 v[88:89], v[192:193], v[90:91]
	v_fma_f64 v[88:89], v[190:191], v[188:189], -v[88:89]
	v_mul_f64 v[190:191], v[190:191], v[90:91]
	v_fmac_f64_e32 v[190:191], v[192:193], v[188:189]
	v_add_f64 v[62:63], v[62:63], -v[190:191]
	ds_read2_b64 v[190:193], v241 offset0:62 offset1:63
	v_add_f64 v[60:61], v[60:61], -v[88:89]
	s_waitcnt lgkmcnt(0)
	v_mul_f64 v[88:89], v[192:193], v[90:91]
	v_fma_f64 v[88:89], v[190:191], v[188:189], -v[88:89]
	v_mul_f64 v[190:191], v[190:191], v[90:91]
	v_fmac_f64_e32 v[190:191], v[192:193], v[188:189]
	v_add_f64 v[58:59], v[58:59], -v[190:191]
	ds_read2_b64 v[190:193], v241 offset0:64 offset1:65
	v_add_f64 v[56:57], v[56:57], -v[88:89]
	s_waitcnt lgkmcnt(0)
	v_mul_f64 v[88:89], v[192:193], v[90:91]
	v_fma_f64 v[88:89], v[190:191], v[188:189], -v[88:89]
	v_mul_f64 v[190:191], v[190:191], v[90:91]
	v_fmac_f64_e32 v[190:191], v[192:193], v[188:189]
	v_add_f64 v[54:55], v[54:55], -v[190:191]
	ds_read2_b64 v[190:193], v241 offset0:66 offset1:67
	v_add_f64 v[52:53], v[52:53], -v[88:89]
	s_waitcnt lgkmcnt(0)
	v_mul_f64 v[88:89], v[192:193], v[90:91]
	v_fma_f64 v[88:89], v[190:191], v[188:189], -v[88:89]
	v_mul_f64 v[190:191], v[190:191], v[90:91]
	v_fmac_f64_e32 v[190:191], v[192:193], v[188:189]
	v_add_f64 v[50:51], v[50:51], -v[190:191]
	ds_read2_b64 v[190:193], v241 offset0:68 offset1:69
	v_add_f64 v[48:49], v[48:49], -v[88:89]
	s_waitcnt lgkmcnt(0)
	v_mul_f64 v[88:89], v[192:193], v[90:91]
	v_fma_f64 v[88:89], v[190:191], v[188:189], -v[88:89]
	v_mul_f64 v[190:191], v[190:191], v[90:91]
	v_fmac_f64_e32 v[190:191], v[192:193], v[188:189]
	v_add_f64 v[46:47], v[46:47], -v[190:191]
	ds_read2_b64 v[190:193], v241 offset0:70 offset1:71
	v_add_f64 v[44:45], v[44:45], -v[88:89]
	s_waitcnt lgkmcnt(0)
	v_mul_f64 v[88:89], v[192:193], v[90:91]
	v_fma_f64 v[88:89], v[190:191], v[188:189], -v[88:89]
	v_mul_f64 v[190:191], v[190:191], v[90:91]
	v_fmac_f64_e32 v[190:191], v[192:193], v[188:189]
	v_add_f64 v[42:43], v[42:43], -v[190:191]
	ds_read2_b64 v[190:193], v241 offset0:72 offset1:73
	v_add_f64 v[40:41], v[40:41], -v[88:89]
	s_waitcnt lgkmcnt(0)
	v_mul_f64 v[88:89], v[192:193], v[90:91]
	v_fma_f64 v[88:89], v[190:191], v[188:189], -v[88:89]
	v_mul_f64 v[190:191], v[190:191], v[90:91]
	v_fmac_f64_e32 v[190:191], v[192:193], v[188:189]
	v_add_f64 v[38:39], v[38:39], -v[190:191]
	ds_read2_b64 v[190:193], v241 offset0:74 offset1:75
	v_add_f64 v[36:37], v[36:37], -v[88:89]
	s_waitcnt lgkmcnt(0)
	v_mul_f64 v[88:89], v[192:193], v[90:91]
	v_fma_f64 v[88:89], v[190:191], v[188:189], -v[88:89]
	v_mul_f64 v[190:191], v[190:191], v[90:91]
	v_fmac_f64_e32 v[190:191], v[192:193], v[188:189]
	v_add_f64 v[34:35], v[34:35], -v[190:191]
	ds_read2_b64 v[190:193], v241 offset0:76 offset1:77
	v_add_f64 v[32:33], v[32:33], -v[88:89]
	s_waitcnt lgkmcnt(0)
	v_mul_f64 v[88:89], v[192:193], v[90:91]
	v_fma_f64 v[88:89], v[190:191], v[188:189], -v[88:89]
	v_mul_f64 v[190:191], v[190:191], v[90:91]
	v_fmac_f64_e32 v[190:191], v[192:193], v[188:189]
	v_add_f64 v[30:31], v[30:31], -v[190:191]
	ds_read2_b64 v[190:193], v241 offset0:78 offset1:79
	v_add_f64 v[28:29], v[28:29], -v[88:89]
	s_waitcnt lgkmcnt(0)
	v_mul_f64 v[88:89], v[192:193], v[90:91]
	v_fma_f64 v[88:89], v[190:191], v[188:189], -v[88:89]
	v_mul_f64 v[190:191], v[190:191], v[90:91]
	v_fmac_f64_e32 v[190:191], v[192:193], v[188:189]
	v_add_f64 v[26:27], v[26:27], -v[190:191]
	ds_read2_b64 v[190:193], v241 offset0:80 offset1:81
	v_add_f64 v[24:25], v[24:25], -v[88:89]
	s_waitcnt lgkmcnt(0)
	v_mul_f64 v[88:89], v[192:193], v[90:91]
	v_fma_f64 v[88:89], v[190:191], v[188:189], -v[88:89]
	v_mul_f64 v[190:191], v[190:191], v[90:91]
	v_fmac_f64_e32 v[190:191], v[192:193], v[188:189]
	v_add_f64 v[22:23], v[22:23], -v[190:191]
	ds_read2_b64 v[190:193], v241 offset0:82 offset1:83
	v_add_f64 v[20:21], v[20:21], -v[88:89]
	s_waitcnt lgkmcnt(0)
	v_mul_f64 v[88:89], v[192:193], v[90:91]
	v_fma_f64 v[88:89], v[190:191], v[188:189], -v[88:89]
	v_mul_f64 v[190:191], v[190:191], v[90:91]
	v_fmac_f64_e32 v[190:191], v[192:193], v[188:189]
	v_add_f64 v[18:19], v[18:19], -v[190:191]
	ds_read2_b64 v[190:193], v241 offset0:84 offset1:85
	v_add_f64 v[16:17], v[16:17], -v[88:89]
	s_waitcnt lgkmcnt(0)
	v_mul_f64 v[88:89], v[192:193], v[90:91]
	v_fma_f64 v[88:89], v[190:191], v[188:189], -v[88:89]
	v_mul_f64 v[190:191], v[190:191], v[90:91]
	v_fmac_f64_e32 v[190:191], v[192:193], v[188:189]
	v_add_f64 v[14:15], v[14:15], -v[190:191]
	ds_read2_b64 v[190:193], v241 offset0:86 offset1:87
	v_add_f64 v[12:13], v[12:13], -v[88:89]
	s_waitcnt lgkmcnt(0)
	v_mul_f64 v[88:89], v[192:193], v[90:91]
	v_fma_f64 v[88:89], v[190:191], v[188:189], -v[88:89]
	v_mul_f64 v[190:191], v[190:191], v[90:91]
	v_fmac_f64_e32 v[190:191], v[192:193], v[188:189]
	v_add_f64 v[10:11], v[10:11], -v[190:191]
	ds_read2_b64 v[190:193], v241 offset0:88 offset1:89
	v_add_f64 v[8:9], v[8:9], -v[88:89]
	s_waitcnt lgkmcnt(0)
	v_mul_f64 v[88:89], v[192:193], v[90:91]
	v_fma_f64 v[88:89], v[190:191], v[188:189], -v[88:89]
	v_mul_f64 v[190:191], v[190:191], v[90:91]
	v_fmac_f64_e32 v[190:191], v[192:193], v[188:189]
	v_add_f64 v[6:7], v[6:7], -v[190:191]
	ds_read2_b64 v[190:193], v241 offset0:90 offset1:91
	v_add_f64 v[4:5], v[4:5], -v[88:89]
	s_waitcnt lgkmcnt(0)
	v_mul_f64 v[88:89], v[192:193], v[90:91]
	v_fma_f64 v[88:89], v[190:191], v[188:189], -v[88:89]
	v_mul_f64 v[190:191], v[190:191], v[90:91]
	v_fmac_f64_e32 v[190:191], v[192:193], v[188:189]
	v_add_f64 v[2:3], v[2:3], -v[190:191]
	ds_read2_b64 v[190:193], v241 offset0:92 offset1:93
	v_add_f64 v[0:1], v[0:1], -v[88:89]
	s_waitcnt lgkmcnt(0)
	v_mul_f64 v[88:89], v[192:193], v[90:91]
	v_fma_f64 v[88:89], v[190:191], v[188:189], -v[88:89]
	v_mul_f64 v[190:191], v[190:191], v[90:91]
	v_fmac_f64_e32 v[190:191], v[192:193], v[188:189]
	v_add_f64 v[184:185], v[184:185], -v[88:89]
	v_add_f64 v[186:187], v[186:187], -v[190:191]
	v_mov_b64_e32 v[88:89], v[188:189]
.LBB93_217:
	s_or_b64 exec, exec, s[2:3]
	v_cmp_eq_u32_e32 vcc, 24, v254
	s_waitcnt vmcnt(63) expcnt(7) lgkmcnt(15)
	s_barrier
	s_and_saveexec_b64 s[4:5], vcc
	s_cbranch_execz .LBB93_224
; %bb.218:
	ds_write2_b64 v255, v[84:85], v[86:87] offset1:1
	ds_write2_b64 v241, v[80:81], v[82:83] offset0:50 offset1:51
	ds_write2_b64 v241, v[76:77], v[78:79] offset0:52 offset1:53
	;; [unrolled: 1-line block ×6, first 2 shown]
	s_waitcnt vmcnt(53)
	ds_write2_b64 v241, v[56:57], v[58:59] offset0:62 offset1:63
	s_waitcnt vmcnt(51)
	ds_write2_b64 v241, v[52:53], v[54:55] offset0:64 offset1:65
	;; [unrolled: 2-line block ×14, first 2 shown]
	ds_write2_b64 v241, v[0:1], v[2:3] offset0:90 offset1:91
	s_waitcnt vmcnt(37)
	ds_write2_b64 v241, v[184:185], v[186:187] offset0:92 offset1:93
	ds_read2_b64 v[188:191], v255 offset1:1
	s_waitcnt lgkmcnt(0)
	v_cmp_neq_f64_e32 vcc, 0, v[188:189]
	v_cmp_neq_f64_e64 s[2:3], 0, v[190:191]
	s_or_b64 s[2:3], vcc, s[2:3]
	s_and_b64 exec, exec, s[2:3]
	s_cbranch_execz .LBB93_224
; %bb.219:
	v_cmp_ngt_f64_e64 s[2:3], |v[188:189]|, |v[190:191]|
                                        ; implicit-def: $vgpr192_vgpr193
	s_and_saveexec_b64 s[10:11], s[2:3]
	s_xor_b64 s[2:3], exec, s[10:11]
                                        ; implicit-def: $vgpr194_vgpr195
	s_cbranch_execz .LBB93_221
; %bb.220:
	v_div_scale_f64 v[192:193], s[10:11], v[190:191], v[190:191], v[188:189]
	v_rcp_f64_e32 v[194:195], v[192:193]
	v_div_scale_f64 v[196:197], vcc, v[188:189], v[190:191], v[188:189]
	v_fma_f64 v[198:199], -v[192:193], v[194:195], 1.0
	v_fmac_f64_e32 v[194:195], v[194:195], v[198:199]
	v_fma_f64 v[198:199], -v[192:193], v[194:195], 1.0
	v_fmac_f64_e32 v[194:195], v[194:195], v[198:199]
	v_mul_f64 v[198:199], v[196:197], v[194:195]
	v_fma_f64 v[192:193], -v[192:193], v[198:199], v[196:197]
	v_div_fmas_f64 v[192:193], v[192:193], v[194:195], v[198:199]
	v_div_fixup_f64 v[192:193], v[192:193], v[190:191], v[188:189]
	v_fmac_f64_e32 v[190:191], v[188:189], v[192:193]
	v_div_scale_f64 v[188:189], s[10:11], v[190:191], v[190:191], 1.0
	v_rcp_f64_e32 v[194:195], v[188:189]
	s_nop 0
	v_fma_f64 v[196:197], -v[188:189], v[194:195], 1.0
	v_fmac_f64_e32 v[194:195], v[194:195], v[196:197]
	v_fma_f64 v[196:197], -v[188:189], v[194:195], 1.0
	v_fmac_f64_e32 v[194:195], v[194:195], v[196:197]
	v_div_scale_f64 v[196:197], vcc, 1.0, v[190:191], 1.0
	v_mul_f64 v[198:199], v[196:197], v[194:195]
	v_fma_f64 v[188:189], -v[188:189], v[198:199], v[196:197]
	s_nop 1
	v_div_fmas_f64 v[188:189], v[188:189], v[194:195], v[198:199]
	v_div_fixup_f64 v[194:195], v[188:189], v[190:191], 1.0
	v_mul_f64 v[192:193], v[192:193], v[194:195]
	v_xor_b32_e32 v195, 0x80000000, v195
                                        ; implicit-def: $vgpr188_vgpr189
.LBB93_221:
	s_andn2_saveexec_b64 s[2:3], s[2:3]
	s_cbranch_execz .LBB93_223
; %bb.222:
	v_div_scale_f64 v[192:193], s[10:11], v[188:189], v[188:189], v[190:191]
	v_rcp_f64_e32 v[194:195], v[192:193]
	v_div_scale_f64 v[196:197], vcc, v[190:191], v[188:189], v[190:191]
	v_fma_f64 v[198:199], -v[192:193], v[194:195], 1.0
	v_fmac_f64_e32 v[194:195], v[194:195], v[198:199]
	v_fma_f64 v[198:199], -v[192:193], v[194:195], 1.0
	v_fmac_f64_e32 v[194:195], v[194:195], v[198:199]
	v_mul_f64 v[198:199], v[196:197], v[194:195]
	v_fma_f64 v[192:193], -v[192:193], v[198:199], v[196:197]
	v_div_fmas_f64 v[192:193], v[192:193], v[194:195], v[198:199]
	v_div_fixup_f64 v[194:195], v[192:193], v[188:189], v[190:191]
	v_fmac_f64_e32 v[188:189], v[190:191], v[194:195]
	v_div_scale_f64 v[190:191], s[10:11], v[188:189], v[188:189], 1.0
	v_rcp_f64_e32 v[192:193], v[190:191]
	s_nop 0
	v_fma_f64 v[196:197], -v[190:191], v[192:193], 1.0
	v_fmac_f64_e32 v[192:193], v[192:193], v[196:197]
	v_fma_f64 v[196:197], -v[190:191], v[192:193], 1.0
	v_fmac_f64_e32 v[192:193], v[192:193], v[196:197]
	v_div_scale_f64 v[196:197], vcc, 1.0, v[188:189], 1.0
	v_mul_f64 v[198:199], v[196:197], v[192:193]
	v_fma_f64 v[190:191], -v[190:191], v[198:199], v[196:197]
	s_nop 1
	v_div_fmas_f64 v[190:191], v[190:191], v[192:193], v[198:199]
	v_div_fixup_f64 v[192:193], v[190:191], v[188:189], 1.0
	v_mul_f64 v[194:195], v[194:195], -v[192:193]
.LBB93_223:
	s_or_b64 exec, exec, s[2:3]
	ds_write2_b64 v255, v[192:193], v[194:195] offset1:1
.LBB93_224:
	s_or_b64 exec, exec, s[4:5]
	s_waitcnt lgkmcnt(0)
	s_barrier
	ds_read2_b64 v[188:191], v255 offset1:1
	v_cmp_lt_u32_e32 vcc, 24, v254
	s_waitcnt lgkmcnt(0)
	scratch_store_dwordx4 off, v[188:191], off offset:720 ; 16-byte Folded Spill
	s_and_saveexec_b64 s[2:3], vcc
	s_cbranch_execz .LBB93_226
; %bb.225:
	scratch_load_dwordx4 v[190:193], off, off offset:720 ; 16-byte Folded Reload
	s_waitcnt vmcnt(0)
	v_mul_f64 v[188:189], v[192:193], v[86:87]
	v_mul_f64 v[86:87], v[190:191], v[86:87]
	v_fma_f64 v[188:189], v[190:191], v[84:85], -v[188:189]
	v_fmac_f64_e32 v[86:87], v[192:193], v[84:85]
	ds_read2_b64 v[190:193], v241 offset0:50 offset1:51
	s_waitcnt lgkmcnt(0)
	v_mul_f64 v[84:85], v[192:193], v[86:87]
	v_fma_f64 v[84:85], v[190:191], v[188:189], -v[84:85]
	v_mul_f64 v[190:191], v[190:191], v[86:87]
	v_fmac_f64_e32 v[190:191], v[192:193], v[188:189]
	v_add_f64 v[82:83], v[82:83], -v[190:191]
	ds_read2_b64 v[190:193], v241 offset0:52 offset1:53
	v_add_f64 v[80:81], v[80:81], -v[84:85]
	s_waitcnt lgkmcnt(0)
	v_mul_f64 v[84:85], v[192:193], v[86:87]
	v_fma_f64 v[84:85], v[190:191], v[188:189], -v[84:85]
	v_mul_f64 v[190:191], v[190:191], v[86:87]
	v_fmac_f64_e32 v[190:191], v[192:193], v[188:189]
	v_add_f64 v[78:79], v[78:79], -v[190:191]
	ds_read2_b64 v[190:193], v241 offset0:54 offset1:55
	v_add_f64 v[76:77], v[76:77], -v[84:85]
	;; [unrolled: 8-line block ×21, first 2 shown]
	s_waitcnt lgkmcnt(0)
	v_mul_f64 v[84:85], v[192:193], v[86:87]
	v_fma_f64 v[84:85], v[190:191], v[188:189], -v[84:85]
	v_mul_f64 v[190:191], v[190:191], v[86:87]
	v_fmac_f64_e32 v[190:191], v[192:193], v[188:189]
	v_add_f64 v[184:185], v[184:185], -v[84:85]
	v_add_f64 v[186:187], v[186:187], -v[190:191]
	v_mov_b64_e32 v[84:85], v[188:189]
.LBB93_226:
	s_or_b64 exec, exec, s[2:3]
	v_cmp_eq_u32_e32 vcc, 25, v254
	s_waitcnt vmcnt(63) expcnt(7) lgkmcnt(15)
	s_barrier
	s_and_saveexec_b64 s[4:5], vcc
	s_cbranch_execz .LBB93_233
; %bb.227:
	ds_write2_b64 v255, v[80:81], v[82:83] offset1:1
	ds_write2_b64 v241, v[76:77], v[78:79] offset0:52 offset1:53
	ds_write2_b64 v241, v[72:73], v[74:75] offset0:54 offset1:55
	;; [unrolled: 1-line block ×5, first 2 shown]
	s_waitcnt vmcnt(54)
	ds_write2_b64 v241, v[56:57], v[58:59] offset0:62 offset1:63
	s_waitcnt vmcnt(52)
	ds_write2_b64 v241, v[52:53], v[54:55] offset0:64 offset1:65
	;; [unrolled: 2-line block ×14, first 2 shown]
	ds_write2_b64 v241, v[0:1], v[2:3] offset0:90 offset1:91
	s_waitcnt vmcnt(38)
	ds_write2_b64 v241, v[184:185], v[186:187] offset0:92 offset1:93
	ds_read2_b64 v[188:191], v255 offset1:1
	s_waitcnt lgkmcnt(0)
	v_cmp_neq_f64_e32 vcc, 0, v[188:189]
	v_cmp_neq_f64_e64 s[2:3], 0, v[190:191]
	s_or_b64 s[2:3], vcc, s[2:3]
	s_and_b64 exec, exec, s[2:3]
	s_cbranch_execz .LBB93_233
; %bb.228:
	v_cmp_ngt_f64_e64 s[2:3], |v[188:189]|, |v[190:191]|
                                        ; implicit-def: $vgpr192_vgpr193
	s_and_saveexec_b64 s[10:11], s[2:3]
	s_xor_b64 s[2:3], exec, s[10:11]
                                        ; implicit-def: $vgpr194_vgpr195
	s_cbranch_execz .LBB93_230
; %bb.229:
	v_div_scale_f64 v[192:193], s[10:11], v[190:191], v[190:191], v[188:189]
	v_rcp_f64_e32 v[194:195], v[192:193]
	v_div_scale_f64 v[196:197], vcc, v[188:189], v[190:191], v[188:189]
	v_fma_f64 v[198:199], -v[192:193], v[194:195], 1.0
	v_fmac_f64_e32 v[194:195], v[194:195], v[198:199]
	v_fma_f64 v[198:199], -v[192:193], v[194:195], 1.0
	v_fmac_f64_e32 v[194:195], v[194:195], v[198:199]
	v_mul_f64 v[198:199], v[196:197], v[194:195]
	v_fma_f64 v[192:193], -v[192:193], v[198:199], v[196:197]
	v_div_fmas_f64 v[192:193], v[192:193], v[194:195], v[198:199]
	v_div_fixup_f64 v[192:193], v[192:193], v[190:191], v[188:189]
	v_fmac_f64_e32 v[190:191], v[188:189], v[192:193]
	v_div_scale_f64 v[188:189], s[10:11], v[190:191], v[190:191], 1.0
	v_rcp_f64_e32 v[194:195], v[188:189]
	s_nop 0
	v_fma_f64 v[196:197], -v[188:189], v[194:195], 1.0
	v_fmac_f64_e32 v[194:195], v[194:195], v[196:197]
	v_fma_f64 v[196:197], -v[188:189], v[194:195], 1.0
	v_fmac_f64_e32 v[194:195], v[194:195], v[196:197]
	v_div_scale_f64 v[196:197], vcc, 1.0, v[190:191], 1.0
	v_mul_f64 v[198:199], v[196:197], v[194:195]
	v_fma_f64 v[188:189], -v[188:189], v[198:199], v[196:197]
	s_nop 1
	v_div_fmas_f64 v[188:189], v[188:189], v[194:195], v[198:199]
	v_div_fixup_f64 v[194:195], v[188:189], v[190:191], 1.0
	v_mul_f64 v[192:193], v[192:193], v[194:195]
	v_xor_b32_e32 v195, 0x80000000, v195
                                        ; implicit-def: $vgpr188_vgpr189
.LBB93_230:
	s_andn2_saveexec_b64 s[2:3], s[2:3]
	s_cbranch_execz .LBB93_232
; %bb.231:
	v_div_scale_f64 v[192:193], s[10:11], v[188:189], v[188:189], v[190:191]
	v_rcp_f64_e32 v[194:195], v[192:193]
	v_div_scale_f64 v[196:197], vcc, v[190:191], v[188:189], v[190:191]
	v_fma_f64 v[198:199], -v[192:193], v[194:195], 1.0
	v_fmac_f64_e32 v[194:195], v[194:195], v[198:199]
	v_fma_f64 v[198:199], -v[192:193], v[194:195], 1.0
	v_fmac_f64_e32 v[194:195], v[194:195], v[198:199]
	v_mul_f64 v[198:199], v[196:197], v[194:195]
	v_fma_f64 v[192:193], -v[192:193], v[198:199], v[196:197]
	v_div_fmas_f64 v[192:193], v[192:193], v[194:195], v[198:199]
	v_div_fixup_f64 v[194:195], v[192:193], v[188:189], v[190:191]
	v_fmac_f64_e32 v[188:189], v[190:191], v[194:195]
	v_div_scale_f64 v[190:191], s[10:11], v[188:189], v[188:189], 1.0
	v_rcp_f64_e32 v[192:193], v[190:191]
	s_nop 0
	v_fma_f64 v[196:197], -v[190:191], v[192:193], 1.0
	v_fmac_f64_e32 v[192:193], v[192:193], v[196:197]
	v_fma_f64 v[196:197], -v[190:191], v[192:193], 1.0
	v_fmac_f64_e32 v[192:193], v[192:193], v[196:197]
	v_div_scale_f64 v[196:197], vcc, 1.0, v[188:189], 1.0
	v_mul_f64 v[198:199], v[196:197], v[192:193]
	v_fma_f64 v[190:191], -v[190:191], v[198:199], v[196:197]
	s_nop 1
	v_div_fmas_f64 v[190:191], v[190:191], v[192:193], v[198:199]
	v_div_fixup_f64 v[192:193], v[190:191], v[188:189], 1.0
	v_mul_f64 v[194:195], v[194:195], -v[192:193]
.LBB93_232:
	s_or_b64 exec, exec, s[2:3]
	ds_write2_b64 v255, v[192:193], v[194:195] offset1:1
.LBB93_233:
	s_or_b64 exec, exec, s[4:5]
	s_waitcnt lgkmcnt(0)
	s_barrier
	ds_read2_b64 v[188:191], v255 offset1:1
	v_cmp_lt_u32_e32 vcc, 25, v254
	s_waitcnt lgkmcnt(0)
	scratch_store_dwordx4 off, v[188:191], off offset:736 ; 16-byte Folded Spill
	s_and_saveexec_b64 s[2:3], vcc
	s_cbranch_execz .LBB93_235
; %bb.234:
	scratch_load_dwordx4 v[190:193], off, off offset:736 ; 16-byte Folded Reload
	s_waitcnt vmcnt(0)
	v_mul_f64 v[188:189], v[192:193], v[82:83]
	v_mul_f64 v[82:83], v[190:191], v[82:83]
	v_fma_f64 v[188:189], v[190:191], v[80:81], -v[188:189]
	v_fmac_f64_e32 v[82:83], v[192:193], v[80:81]
	ds_read2_b64 v[190:193], v241 offset0:52 offset1:53
	s_waitcnt lgkmcnt(0)
	v_mul_f64 v[80:81], v[192:193], v[82:83]
	v_fma_f64 v[80:81], v[190:191], v[188:189], -v[80:81]
	v_mul_f64 v[190:191], v[190:191], v[82:83]
	v_fmac_f64_e32 v[190:191], v[192:193], v[188:189]
	v_add_f64 v[78:79], v[78:79], -v[190:191]
	ds_read2_b64 v[190:193], v241 offset0:54 offset1:55
	v_add_f64 v[76:77], v[76:77], -v[80:81]
	s_waitcnt lgkmcnt(0)
	v_mul_f64 v[80:81], v[192:193], v[82:83]
	v_fma_f64 v[80:81], v[190:191], v[188:189], -v[80:81]
	v_mul_f64 v[190:191], v[190:191], v[82:83]
	v_fmac_f64_e32 v[190:191], v[192:193], v[188:189]
	v_add_f64 v[74:75], v[74:75], -v[190:191]
	ds_read2_b64 v[190:193], v241 offset0:56 offset1:57
	v_add_f64 v[72:73], v[72:73], -v[80:81]
	;; [unrolled: 8-line block ×20, first 2 shown]
	s_waitcnt lgkmcnt(0)
	v_mul_f64 v[80:81], v[192:193], v[82:83]
	v_fma_f64 v[80:81], v[190:191], v[188:189], -v[80:81]
	v_mul_f64 v[190:191], v[190:191], v[82:83]
	v_fmac_f64_e32 v[190:191], v[192:193], v[188:189]
	v_add_f64 v[184:185], v[184:185], -v[80:81]
	v_add_f64 v[186:187], v[186:187], -v[190:191]
	v_mov_b64_e32 v[80:81], v[188:189]
.LBB93_235:
	s_or_b64 exec, exec, s[2:3]
	v_cmp_eq_u32_e32 vcc, 26, v254
	s_waitcnt vmcnt(63) expcnt(7) lgkmcnt(15)
	s_barrier
	s_and_saveexec_b64 s[4:5], vcc
	s_cbranch_execz .LBB93_242
; %bb.236:
	ds_write2_b64 v255, v[76:77], v[78:79] offset1:1
	ds_write2_b64 v241, v[72:73], v[74:75] offset0:54 offset1:55
	ds_write2_b64 v241, v[68:69], v[70:71] offset0:56 offset1:57
	;; [unrolled: 1-line block ×4, first 2 shown]
	s_waitcnt vmcnt(55)
	ds_write2_b64 v241, v[56:57], v[58:59] offset0:62 offset1:63
	s_waitcnt vmcnt(53)
	ds_write2_b64 v241, v[52:53], v[54:55] offset0:64 offset1:65
	;; [unrolled: 2-line block ×14, first 2 shown]
	ds_write2_b64 v241, v[0:1], v[2:3] offset0:90 offset1:91
	s_waitcnt vmcnt(39)
	ds_write2_b64 v241, v[184:185], v[186:187] offset0:92 offset1:93
	ds_read2_b64 v[188:191], v255 offset1:1
	s_waitcnt lgkmcnt(0)
	v_cmp_neq_f64_e32 vcc, 0, v[188:189]
	v_cmp_neq_f64_e64 s[2:3], 0, v[190:191]
	s_or_b64 s[2:3], vcc, s[2:3]
	s_and_b64 exec, exec, s[2:3]
	s_cbranch_execz .LBB93_242
; %bb.237:
	v_cmp_ngt_f64_e64 s[2:3], |v[188:189]|, |v[190:191]|
                                        ; implicit-def: $vgpr192_vgpr193
	s_and_saveexec_b64 s[10:11], s[2:3]
	s_xor_b64 s[2:3], exec, s[10:11]
                                        ; implicit-def: $vgpr194_vgpr195
	s_cbranch_execz .LBB93_239
; %bb.238:
	v_div_scale_f64 v[192:193], s[10:11], v[190:191], v[190:191], v[188:189]
	v_rcp_f64_e32 v[194:195], v[192:193]
	v_div_scale_f64 v[196:197], vcc, v[188:189], v[190:191], v[188:189]
	v_fma_f64 v[198:199], -v[192:193], v[194:195], 1.0
	v_fmac_f64_e32 v[194:195], v[194:195], v[198:199]
	v_fma_f64 v[198:199], -v[192:193], v[194:195], 1.0
	v_fmac_f64_e32 v[194:195], v[194:195], v[198:199]
	v_mul_f64 v[198:199], v[196:197], v[194:195]
	v_fma_f64 v[192:193], -v[192:193], v[198:199], v[196:197]
	v_div_fmas_f64 v[192:193], v[192:193], v[194:195], v[198:199]
	v_div_fixup_f64 v[192:193], v[192:193], v[190:191], v[188:189]
	v_fmac_f64_e32 v[190:191], v[188:189], v[192:193]
	v_div_scale_f64 v[188:189], s[10:11], v[190:191], v[190:191], 1.0
	v_rcp_f64_e32 v[194:195], v[188:189]
	s_nop 0
	v_fma_f64 v[196:197], -v[188:189], v[194:195], 1.0
	v_fmac_f64_e32 v[194:195], v[194:195], v[196:197]
	v_fma_f64 v[196:197], -v[188:189], v[194:195], 1.0
	v_fmac_f64_e32 v[194:195], v[194:195], v[196:197]
	v_div_scale_f64 v[196:197], vcc, 1.0, v[190:191], 1.0
	v_mul_f64 v[198:199], v[196:197], v[194:195]
	v_fma_f64 v[188:189], -v[188:189], v[198:199], v[196:197]
	s_nop 1
	v_div_fmas_f64 v[188:189], v[188:189], v[194:195], v[198:199]
	v_div_fixup_f64 v[194:195], v[188:189], v[190:191], 1.0
	v_mul_f64 v[192:193], v[192:193], v[194:195]
	v_xor_b32_e32 v195, 0x80000000, v195
                                        ; implicit-def: $vgpr188_vgpr189
.LBB93_239:
	s_andn2_saveexec_b64 s[2:3], s[2:3]
	s_cbranch_execz .LBB93_241
; %bb.240:
	v_div_scale_f64 v[192:193], s[10:11], v[188:189], v[188:189], v[190:191]
	v_rcp_f64_e32 v[194:195], v[192:193]
	v_div_scale_f64 v[196:197], vcc, v[190:191], v[188:189], v[190:191]
	v_fma_f64 v[198:199], -v[192:193], v[194:195], 1.0
	v_fmac_f64_e32 v[194:195], v[194:195], v[198:199]
	v_fma_f64 v[198:199], -v[192:193], v[194:195], 1.0
	v_fmac_f64_e32 v[194:195], v[194:195], v[198:199]
	v_mul_f64 v[198:199], v[196:197], v[194:195]
	v_fma_f64 v[192:193], -v[192:193], v[198:199], v[196:197]
	v_div_fmas_f64 v[192:193], v[192:193], v[194:195], v[198:199]
	v_div_fixup_f64 v[194:195], v[192:193], v[188:189], v[190:191]
	v_fmac_f64_e32 v[188:189], v[190:191], v[194:195]
	v_div_scale_f64 v[190:191], s[10:11], v[188:189], v[188:189], 1.0
	v_rcp_f64_e32 v[192:193], v[190:191]
	s_nop 0
	v_fma_f64 v[196:197], -v[190:191], v[192:193], 1.0
	v_fmac_f64_e32 v[192:193], v[192:193], v[196:197]
	v_fma_f64 v[196:197], -v[190:191], v[192:193], 1.0
	v_fmac_f64_e32 v[192:193], v[192:193], v[196:197]
	v_div_scale_f64 v[196:197], vcc, 1.0, v[188:189], 1.0
	v_mul_f64 v[198:199], v[196:197], v[192:193]
	v_fma_f64 v[190:191], -v[190:191], v[198:199], v[196:197]
	s_nop 1
	v_div_fmas_f64 v[190:191], v[190:191], v[192:193], v[198:199]
	v_div_fixup_f64 v[192:193], v[190:191], v[188:189], 1.0
	v_mul_f64 v[194:195], v[194:195], -v[192:193]
.LBB93_241:
	s_or_b64 exec, exec, s[2:3]
	ds_write2_b64 v255, v[192:193], v[194:195] offset1:1
.LBB93_242:
	s_or_b64 exec, exec, s[4:5]
	s_waitcnt lgkmcnt(0)
	s_barrier
	ds_read2_b64 v[188:191], v255 offset1:1
	v_cmp_lt_u32_e32 vcc, 26, v254
	s_waitcnt lgkmcnt(0)
	scratch_store_dwordx4 off, v[188:191], off offset:752 ; 16-byte Folded Spill
	s_and_saveexec_b64 s[2:3], vcc
	s_cbranch_execz .LBB93_244
; %bb.243:
	scratch_load_dwordx4 v[190:193], off, off offset:752 ; 16-byte Folded Reload
	s_waitcnt vmcnt(0)
	v_mul_f64 v[188:189], v[192:193], v[78:79]
	v_mul_f64 v[78:79], v[190:191], v[78:79]
	v_fma_f64 v[188:189], v[190:191], v[76:77], -v[188:189]
	v_fmac_f64_e32 v[78:79], v[192:193], v[76:77]
	ds_read2_b64 v[190:193], v241 offset0:54 offset1:55
	s_waitcnt lgkmcnt(0)
	v_mul_f64 v[76:77], v[192:193], v[78:79]
	v_fma_f64 v[76:77], v[190:191], v[188:189], -v[76:77]
	v_mul_f64 v[190:191], v[190:191], v[78:79]
	v_fmac_f64_e32 v[190:191], v[192:193], v[188:189]
	v_add_f64 v[74:75], v[74:75], -v[190:191]
	ds_read2_b64 v[190:193], v241 offset0:56 offset1:57
	v_add_f64 v[72:73], v[72:73], -v[76:77]
	s_waitcnt lgkmcnt(0)
	v_mul_f64 v[76:77], v[192:193], v[78:79]
	v_fma_f64 v[76:77], v[190:191], v[188:189], -v[76:77]
	v_mul_f64 v[190:191], v[190:191], v[78:79]
	v_fmac_f64_e32 v[190:191], v[192:193], v[188:189]
	v_add_f64 v[70:71], v[70:71], -v[190:191]
	ds_read2_b64 v[190:193], v241 offset0:58 offset1:59
	v_add_f64 v[68:69], v[68:69], -v[76:77]
	;; [unrolled: 8-line block ×19, first 2 shown]
	s_waitcnt lgkmcnt(0)
	v_mul_f64 v[76:77], v[192:193], v[78:79]
	v_fma_f64 v[76:77], v[190:191], v[188:189], -v[76:77]
	v_mul_f64 v[190:191], v[190:191], v[78:79]
	v_fmac_f64_e32 v[190:191], v[192:193], v[188:189]
	v_add_f64 v[184:185], v[184:185], -v[76:77]
	v_add_f64 v[186:187], v[186:187], -v[190:191]
	v_mov_b64_e32 v[76:77], v[188:189]
.LBB93_244:
	s_or_b64 exec, exec, s[2:3]
	v_cmp_eq_u32_e32 vcc, 27, v254
	s_waitcnt vmcnt(63) expcnt(7) lgkmcnt(15)
	s_barrier
	s_and_saveexec_b64 s[4:5], vcc
	s_cbranch_execz .LBB93_251
; %bb.245:
	ds_write2_b64 v255, v[72:73], v[74:75] offset1:1
	ds_write2_b64 v241, v[68:69], v[70:71] offset0:56 offset1:57
	ds_write2_b64 v241, v[64:65], v[66:67] offset0:58 offset1:59
	;; [unrolled: 1-line block ×3, first 2 shown]
	s_waitcnt vmcnt(56)
	ds_write2_b64 v241, v[56:57], v[58:59] offset0:62 offset1:63
	s_waitcnt vmcnt(54)
	ds_write2_b64 v241, v[52:53], v[54:55] offset0:64 offset1:65
	;; [unrolled: 2-line block ×14, first 2 shown]
	ds_write2_b64 v241, v[0:1], v[2:3] offset0:90 offset1:91
	s_waitcnt vmcnt(40)
	ds_write2_b64 v241, v[184:185], v[186:187] offset0:92 offset1:93
	ds_read2_b64 v[188:191], v255 offset1:1
	s_waitcnt lgkmcnt(0)
	v_cmp_neq_f64_e32 vcc, 0, v[188:189]
	v_cmp_neq_f64_e64 s[2:3], 0, v[190:191]
	s_or_b64 s[2:3], vcc, s[2:3]
	s_and_b64 exec, exec, s[2:3]
	s_cbranch_execz .LBB93_251
; %bb.246:
	v_cmp_ngt_f64_e64 s[2:3], |v[188:189]|, |v[190:191]|
                                        ; implicit-def: $vgpr192_vgpr193
	s_and_saveexec_b64 s[10:11], s[2:3]
	s_xor_b64 s[2:3], exec, s[10:11]
                                        ; implicit-def: $vgpr194_vgpr195
	s_cbranch_execz .LBB93_248
; %bb.247:
	v_div_scale_f64 v[192:193], s[10:11], v[190:191], v[190:191], v[188:189]
	v_rcp_f64_e32 v[194:195], v[192:193]
	v_div_scale_f64 v[196:197], vcc, v[188:189], v[190:191], v[188:189]
	v_fma_f64 v[198:199], -v[192:193], v[194:195], 1.0
	v_fmac_f64_e32 v[194:195], v[194:195], v[198:199]
	v_fma_f64 v[198:199], -v[192:193], v[194:195], 1.0
	v_fmac_f64_e32 v[194:195], v[194:195], v[198:199]
	v_mul_f64 v[198:199], v[196:197], v[194:195]
	v_fma_f64 v[192:193], -v[192:193], v[198:199], v[196:197]
	v_div_fmas_f64 v[192:193], v[192:193], v[194:195], v[198:199]
	v_div_fixup_f64 v[192:193], v[192:193], v[190:191], v[188:189]
	v_fmac_f64_e32 v[190:191], v[188:189], v[192:193]
	v_div_scale_f64 v[188:189], s[10:11], v[190:191], v[190:191], 1.0
	v_rcp_f64_e32 v[194:195], v[188:189]
	s_nop 0
	v_fma_f64 v[196:197], -v[188:189], v[194:195], 1.0
	v_fmac_f64_e32 v[194:195], v[194:195], v[196:197]
	v_fma_f64 v[196:197], -v[188:189], v[194:195], 1.0
	v_fmac_f64_e32 v[194:195], v[194:195], v[196:197]
	v_div_scale_f64 v[196:197], vcc, 1.0, v[190:191], 1.0
	v_mul_f64 v[198:199], v[196:197], v[194:195]
	v_fma_f64 v[188:189], -v[188:189], v[198:199], v[196:197]
	s_nop 1
	v_div_fmas_f64 v[188:189], v[188:189], v[194:195], v[198:199]
	v_div_fixup_f64 v[194:195], v[188:189], v[190:191], 1.0
	v_mul_f64 v[192:193], v[192:193], v[194:195]
	v_xor_b32_e32 v195, 0x80000000, v195
                                        ; implicit-def: $vgpr188_vgpr189
.LBB93_248:
	s_andn2_saveexec_b64 s[2:3], s[2:3]
	s_cbranch_execz .LBB93_250
; %bb.249:
	v_div_scale_f64 v[192:193], s[10:11], v[188:189], v[188:189], v[190:191]
	v_rcp_f64_e32 v[194:195], v[192:193]
	v_div_scale_f64 v[196:197], vcc, v[190:191], v[188:189], v[190:191]
	v_fma_f64 v[198:199], -v[192:193], v[194:195], 1.0
	v_fmac_f64_e32 v[194:195], v[194:195], v[198:199]
	v_fma_f64 v[198:199], -v[192:193], v[194:195], 1.0
	v_fmac_f64_e32 v[194:195], v[194:195], v[198:199]
	v_mul_f64 v[198:199], v[196:197], v[194:195]
	v_fma_f64 v[192:193], -v[192:193], v[198:199], v[196:197]
	v_div_fmas_f64 v[192:193], v[192:193], v[194:195], v[198:199]
	v_div_fixup_f64 v[194:195], v[192:193], v[188:189], v[190:191]
	v_fmac_f64_e32 v[188:189], v[190:191], v[194:195]
	v_div_scale_f64 v[190:191], s[10:11], v[188:189], v[188:189], 1.0
	v_rcp_f64_e32 v[192:193], v[190:191]
	s_nop 0
	v_fma_f64 v[196:197], -v[190:191], v[192:193], 1.0
	v_fmac_f64_e32 v[192:193], v[192:193], v[196:197]
	v_fma_f64 v[196:197], -v[190:191], v[192:193], 1.0
	v_fmac_f64_e32 v[192:193], v[192:193], v[196:197]
	v_div_scale_f64 v[196:197], vcc, 1.0, v[188:189], 1.0
	v_mul_f64 v[198:199], v[196:197], v[192:193]
	v_fma_f64 v[190:191], -v[190:191], v[198:199], v[196:197]
	s_nop 1
	v_div_fmas_f64 v[190:191], v[190:191], v[192:193], v[198:199]
	v_div_fixup_f64 v[192:193], v[190:191], v[188:189], 1.0
	v_mul_f64 v[194:195], v[194:195], -v[192:193]
.LBB93_250:
	s_or_b64 exec, exec, s[2:3]
	ds_write2_b64 v255, v[192:193], v[194:195] offset1:1
.LBB93_251:
	s_or_b64 exec, exec, s[4:5]
	s_waitcnt lgkmcnt(0)
	s_barrier
	ds_read2_b64 v[188:191], v255 offset1:1
	v_cmp_lt_u32_e32 vcc, 27, v254
	s_waitcnt lgkmcnt(0)
	scratch_store_dwordx4 off, v[188:191], off offset:768 ; 16-byte Folded Spill
	s_and_saveexec_b64 s[2:3], vcc
	s_cbranch_execz .LBB93_253
; %bb.252:
	scratch_load_dwordx4 v[190:193], off, off offset:768 ; 16-byte Folded Reload
	s_waitcnt vmcnt(0)
	v_mul_f64 v[188:189], v[192:193], v[74:75]
	v_mul_f64 v[74:75], v[190:191], v[74:75]
	v_fma_f64 v[188:189], v[190:191], v[72:73], -v[188:189]
	v_fmac_f64_e32 v[74:75], v[192:193], v[72:73]
	ds_read2_b64 v[190:193], v241 offset0:56 offset1:57
	s_waitcnt lgkmcnt(0)
	v_mul_f64 v[72:73], v[192:193], v[74:75]
	v_fma_f64 v[72:73], v[190:191], v[188:189], -v[72:73]
	v_mul_f64 v[190:191], v[190:191], v[74:75]
	v_fmac_f64_e32 v[190:191], v[192:193], v[188:189]
	v_add_f64 v[70:71], v[70:71], -v[190:191]
	ds_read2_b64 v[190:193], v241 offset0:58 offset1:59
	v_add_f64 v[68:69], v[68:69], -v[72:73]
	s_waitcnt lgkmcnt(0)
	v_mul_f64 v[72:73], v[192:193], v[74:75]
	v_fma_f64 v[72:73], v[190:191], v[188:189], -v[72:73]
	v_mul_f64 v[190:191], v[190:191], v[74:75]
	v_fmac_f64_e32 v[190:191], v[192:193], v[188:189]
	v_add_f64 v[66:67], v[66:67], -v[190:191]
	ds_read2_b64 v[190:193], v241 offset0:60 offset1:61
	v_add_f64 v[64:65], v[64:65], -v[72:73]
	;; [unrolled: 8-line block ×18, first 2 shown]
	s_waitcnt lgkmcnt(0)
	v_mul_f64 v[72:73], v[192:193], v[74:75]
	v_fma_f64 v[72:73], v[190:191], v[188:189], -v[72:73]
	v_mul_f64 v[190:191], v[190:191], v[74:75]
	v_fmac_f64_e32 v[190:191], v[192:193], v[188:189]
	v_add_f64 v[184:185], v[184:185], -v[72:73]
	v_add_f64 v[186:187], v[186:187], -v[190:191]
	v_mov_b64_e32 v[72:73], v[188:189]
.LBB93_253:
	s_or_b64 exec, exec, s[2:3]
	v_cmp_eq_u32_e32 vcc, 28, v254
	s_waitcnt vmcnt(63) expcnt(7) lgkmcnt(15)
	s_barrier
	s_and_saveexec_b64 s[4:5], vcc
	s_cbranch_execz .LBB93_260
; %bb.254:
	ds_write2_b64 v255, v[68:69], v[70:71] offset1:1
	ds_write2_b64 v241, v[64:65], v[66:67] offset0:58 offset1:59
	ds_write2_b64 v241, v[60:61], v[62:63] offset0:60 offset1:61
	s_waitcnt vmcnt(57)
	ds_write2_b64 v241, v[56:57], v[58:59] offset0:62 offset1:63
	s_waitcnt vmcnt(55)
	;; [unrolled: 2-line block ×14, first 2 shown]
	ds_write2_b64 v241, v[4:5], v[6:7] offset0:88 offset1:89
	ds_write2_b64 v241, v[0:1], v[2:3] offset0:90 offset1:91
	s_waitcnt vmcnt(41)
	ds_write2_b64 v241, v[184:185], v[186:187] offset0:92 offset1:93
	ds_read2_b64 v[188:191], v255 offset1:1
	s_waitcnt lgkmcnt(0)
	v_cmp_neq_f64_e32 vcc, 0, v[188:189]
	v_cmp_neq_f64_e64 s[2:3], 0, v[190:191]
	s_or_b64 s[2:3], vcc, s[2:3]
	s_and_b64 exec, exec, s[2:3]
	s_cbranch_execz .LBB93_260
; %bb.255:
	v_cmp_ngt_f64_e64 s[2:3], |v[188:189]|, |v[190:191]|
                                        ; implicit-def: $vgpr192_vgpr193
	s_and_saveexec_b64 s[10:11], s[2:3]
	s_xor_b64 s[2:3], exec, s[10:11]
                                        ; implicit-def: $vgpr194_vgpr195
	s_cbranch_execz .LBB93_257
; %bb.256:
	v_div_scale_f64 v[192:193], s[10:11], v[190:191], v[190:191], v[188:189]
	v_rcp_f64_e32 v[194:195], v[192:193]
	v_div_scale_f64 v[196:197], vcc, v[188:189], v[190:191], v[188:189]
	v_fma_f64 v[198:199], -v[192:193], v[194:195], 1.0
	v_fmac_f64_e32 v[194:195], v[194:195], v[198:199]
	v_fma_f64 v[198:199], -v[192:193], v[194:195], 1.0
	v_fmac_f64_e32 v[194:195], v[194:195], v[198:199]
	v_mul_f64 v[198:199], v[196:197], v[194:195]
	v_fma_f64 v[192:193], -v[192:193], v[198:199], v[196:197]
	v_div_fmas_f64 v[192:193], v[192:193], v[194:195], v[198:199]
	v_div_fixup_f64 v[192:193], v[192:193], v[190:191], v[188:189]
	v_fmac_f64_e32 v[190:191], v[188:189], v[192:193]
	v_div_scale_f64 v[188:189], s[10:11], v[190:191], v[190:191], 1.0
	v_rcp_f64_e32 v[194:195], v[188:189]
	s_nop 0
	v_fma_f64 v[196:197], -v[188:189], v[194:195], 1.0
	v_fmac_f64_e32 v[194:195], v[194:195], v[196:197]
	v_fma_f64 v[196:197], -v[188:189], v[194:195], 1.0
	v_fmac_f64_e32 v[194:195], v[194:195], v[196:197]
	v_div_scale_f64 v[196:197], vcc, 1.0, v[190:191], 1.0
	v_mul_f64 v[198:199], v[196:197], v[194:195]
	v_fma_f64 v[188:189], -v[188:189], v[198:199], v[196:197]
	s_nop 1
	v_div_fmas_f64 v[188:189], v[188:189], v[194:195], v[198:199]
	v_div_fixup_f64 v[194:195], v[188:189], v[190:191], 1.0
	v_mul_f64 v[192:193], v[192:193], v[194:195]
	v_xor_b32_e32 v195, 0x80000000, v195
                                        ; implicit-def: $vgpr188_vgpr189
.LBB93_257:
	s_andn2_saveexec_b64 s[2:3], s[2:3]
	s_cbranch_execz .LBB93_259
; %bb.258:
	v_div_scale_f64 v[192:193], s[10:11], v[188:189], v[188:189], v[190:191]
	v_rcp_f64_e32 v[194:195], v[192:193]
	v_div_scale_f64 v[196:197], vcc, v[190:191], v[188:189], v[190:191]
	v_fma_f64 v[198:199], -v[192:193], v[194:195], 1.0
	v_fmac_f64_e32 v[194:195], v[194:195], v[198:199]
	v_fma_f64 v[198:199], -v[192:193], v[194:195], 1.0
	v_fmac_f64_e32 v[194:195], v[194:195], v[198:199]
	v_mul_f64 v[198:199], v[196:197], v[194:195]
	v_fma_f64 v[192:193], -v[192:193], v[198:199], v[196:197]
	v_div_fmas_f64 v[192:193], v[192:193], v[194:195], v[198:199]
	v_div_fixup_f64 v[194:195], v[192:193], v[188:189], v[190:191]
	v_fmac_f64_e32 v[188:189], v[190:191], v[194:195]
	v_div_scale_f64 v[190:191], s[10:11], v[188:189], v[188:189], 1.0
	v_rcp_f64_e32 v[192:193], v[190:191]
	s_nop 0
	v_fma_f64 v[196:197], -v[190:191], v[192:193], 1.0
	v_fmac_f64_e32 v[192:193], v[192:193], v[196:197]
	v_fma_f64 v[196:197], -v[190:191], v[192:193], 1.0
	v_fmac_f64_e32 v[192:193], v[192:193], v[196:197]
	v_div_scale_f64 v[196:197], vcc, 1.0, v[188:189], 1.0
	v_mul_f64 v[198:199], v[196:197], v[192:193]
	v_fma_f64 v[190:191], -v[190:191], v[198:199], v[196:197]
	s_nop 1
	v_div_fmas_f64 v[190:191], v[190:191], v[192:193], v[198:199]
	v_div_fixup_f64 v[192:193], v[190:191], v[188:189], 1.0
	v_mul_f64 v[194:195], v[194:195], -v[192:193]
.LBB93_259:
	s_or_b64 exec, exec, s[2:3]
	ds_write2_b64 v255, v[192:193], v[194:195] offset1:1
.LBB93_260:
	s_or_b64 exec, exec, s[4:5]
	s_waitcnt lgkmcnt(0)
	s_barrier
	ds_read2_b64 v[188:191], v255 offset1:1
	v_cmp_lt_u32_e32 vcc, 28, v254
	s_waitcnt lgkmcnt(0)
	scratch_store_dwordx4 off, v[188:191], off offset:784 ; 16-byte Folded Spill
	s_and_saveexec_b64 s[2:3], vcc
	s_cbranch_execz .LBB93_262
; %bb.261:
	scratch_load_dwordx4 v[190:193], off, off offset:784 ; 16-byte Folded Reload
	s_waitcnt vmcnt(0)
	v_mul_f64 v[188:189], v[192:193], v[70:71]
	v_mul_f64 v[70:71], v[190:191], v[70:71]
	v_fma_f64 v[188:189], v[190:191], v[68:69], -v[188:189]
	v_fmac_f64_e32 v[70:71], v[192:193], v[68:69]
	ds_read2_b64 v[190:193], v241 offset0:58 offset1:59
	s_waitcnt lgkmcnt(0)
	v_mul_f64 v[68:69], v[192:193], v[70:71]
	v_fma_f64 v[68:69], v[190:191], v[188:189], -v[68:69]
	v_mul_f64 v[190:191], v[190:191], v[70:71]
	v_fmac_f64_e32 v[190:191], v[192:193], v[188:189]
	v_add_f64 v[66:67], v[66:67], -v[190:191]
	ds_read2_b64 v[190:193], v241 offset0:60 offset1:61
	v_add_f64 v[64:65], v[64:65], -v[68:69]
	s_waitcnt lgkmcnt(0)
	v_mul_f64 v[68:69], v[192:193], v[70:71]
	v_fma_f64 v[68:69], v[190:191], v[188:189], -v[68:69]
	v_mul_f64 v[190:191], v[190:191], v[70:71]
	v_fmac_f64_e32 v[190:191], v[192:193], v[188:189]
	v_add_f64 v[62:63], v[62:63], -v[190:191]
	ds_read2_b64 v[190:193], v241 offset0:62 offset1:63
	v_add_f64 v[60:61], v[60:61], -v[68:69]
	;; [unrolled: 8-line block ×17, first 2 shown]
	s_waitcnt lgkmcnt(0)
	v_mul_f64 v[68:69], v[192:193], v[70:71]
	v_fma_f64 v[68:69], v[190:191], v[188:189], -v[68:69]
	v_mul_f64 v[190:191], v[190:191], v[70:71]
	v_fmac_f64_e32 v[190:191], v[192:193], v[188:189]
	v_add_f64 v[184:185], v[184:185], -v[68:69]
	v_add_f64 v[186:187], v[186:187], -v[190:191]
	v_mov_b64_e32 v[68:69], v[188:189]
.LBB93_262:
	s_or_b64 exec, exec, s[2:3]
	v_cmp_eq_u32_e32 vcc, 29, v254
	s_waitcnt vmcnt(63) expcnt(7) lgkmcnt(15)
	s_barrier
	s_and_saveexec_b64 s[4:5], vcc
	s_cbranch_execz .LBB93_269
; %bb.263:
	ds_write2_b64 v255, v[64:65], v[66:67] offset1:1
	ds_write2_b64 v241, v[60:61], v[62:63] offset0:60 offset1:61
	s_waitcnt vmcnt(58)
	ds_write2_b64 v241, v[56:57], v[58:59] offset0:62 offset1:63
	s_waitcnt vmcnt(56)
	;; [unrolled: 2-line block ×14, first 2 shown]
	ds_write2_b64 v241, v[4:5], v[6:7] offset0:88 offset1:89
	ds_write2_b64 v241, v[0:1], v[2:3] offset0:90 offset1:91
	s_waitcnt vmcnt(42)
	ds_write2_b64 v241, v[184:185], v[186:187] offset0:92 offset1:93
	ds_read2_b64 v[188:191], v255 offset1:1
	s_waitcnt lgkmcnt(0)
	v_cmp_neq_f64_e32 vcc, 0, v[188:189]
	v_cmp_neq_f64_e64 s[2:3], 0, v[190:191]
	s_or_b64 s[2:3], vcc, s[2:3]
	s_and_b64 exec, exec, s[2:3]
	s_cbranch_execz .LBB93_269
; %bb.264:
	v_cmp_ngt_f64_e64 s[2:3], |v[188:189]|, |v[190:191]|
                                        ; implicit-def: $vgpr192_vgpr193
	s_and_saveexec_b64 s[10:11], s[2:3]
	s_xor_b64 s[2:3], exec, s[10:11]
                                        ; implicit-def: $vgpr194_vgpr195
	s_cbranch_execz .LBB93_266
; %bb.265:
	v_div_scale_f64 v[192:193], s[10:11], v[190:191], v[190:191], v[188:189]
	v_rcp_f64_e32 v[194:195], v[192:193]
	v_div_scale_f64 v[196:197], vcc, v[188:189], v[190:191], v[188:189]
	v_fma_f64 v[198:199], -v[192:193], v[194:195], 1.0
	v_fmac_f64_e32 v[194:195], v[194:195], v[198:199]
	v_fma_f64 v[198:199], -v[192:193], v[194:195], 1.0
	v_fmac_f64_e32 v[194:195], v[194:195], v[198:199]
	v_mul_f64 v[198:199], v[196:197], v[194:195]
	v_fma_f64 v[192:193], -v[192:193], v[198:199], v[196:197]
	v_div_fmas_f64 v[192:193], v[192:193], v[194:195], v[198:199]
	v_div_fixup_f64 v[192:193], v[192:193], v[190:191], v[188:189]
	v_fmac_f64_e32 v[190:191], v[188:189], v[192:193]
	v_div_scale_f64 v[188:189], s[10:11], v[190:191], v[190:191], 1.0
	v_rcp_f64_e32 v[194:195], v[188:189]
	s_nop 0
	v_fma_f64 v[196:197], -v[188:189], v[194:195], 1.0
	v_fmac_f64_e32 v[194:195], v[194:195], v[196:197]
	v_fma_f64 v[196:197], -v[188:189], v[194:195], 1.0
	v_fmac_f64_e32 v[194:195], v[194:195], v[196:197]
	v_div_scale_f64 v[196:197], vcc, 1.0, v[190:191], 1.0
	v_mul_f64 v[198:199], v[196:197], v[194:195]
	v_fma_f64 v[188:189], -v[188:189], v[198:199], v[196:197]
	s_nop 1
	v_div_fmas_f64 v[188:189], v[188:189], v[194:195], v[198:199]
	v_div_fixup_f64 v[194:195], v[188:189], v[190:191], 1.0
	v_mul_f64 v[192:193], v[192:193], v[194:195]
	v_xor_b32_e32 v195, 0x80000000, v195
                                        ; implicit-def: $vgpr188_vgpr189
.LBB93_266:
	s_andn2_saveexec_b64 s[2:3], s[2:3]
	s_cbranch_execz .LBB93_268
; %bb.267:
	v_div_scale_f64 v[192:193], s[10:11], v[188:189], v[188:189], v[190:191]
	v_rcp_f64_e32 v[194:195], v[192:193]
	v_div_scale_f64 v[196:197], vcc, v[190:191], v[188:189], v[190:191]
	v_fma_f64 v[198:199], -v[192:193], v[194:195], 1.0
	v_fmac_f64_e32 v[194:195], v[194:195], v[198:199]
	v_fma_f64 v[198:199], -v[192:193], v[194:195], 1.0
	v_fmac_f64_e32 v[194:195], v[194:195], v[198:199]
	v_mul_f64 v[198:199], v[196:197], v[194:195]
	v_fma_f64 v[192:193], -v[192:193], v[198:199], v[196:197]
	v_div_fmas_f64 v[192:193], v[192:193], v[194:195], v[198:199]
	v_div_fixup_f64 v[194:195], v[192:193], v[188:189], v[190:191]
	v_fmac_f64_e32 v[188:189], v[190:191], v[194:195]
	v_div_scale_f64 v[190:191], s[10:11], v[188:189], v[188:189], 1.0
	v_rcp_f64_e32 v[192:193], v[190:191]
	s_nop 0
	v_fma_f64 v[196:197], -v[190:191], v[192:193], 1.0
	v_fmac_f64_e32 v[192:193], v[192:193], v[196:197]
	v_fma_f64 v[196:197], -v[190:191], v[192:193], 1.0
	v_fmac_f64_e32 v[192:193], v[192:193], v[196:197]
	v_div_scale_f64 v[196:197], vcc, 1.0, v[188:189], 1.0
	v_mul_f64 v[198:199], v[196:197], v[192:193]
	v_fma_f64 v[190:191], -v[190:191], v[198:199], v[196:197]
	s_nop 1
	v_div_fmas_f64 v[190:191], v[190:191], v[192:193], v[198:199]
	v_div_fixup_f64 v[192:193], v[190:191], v[188:189], 1.0
	v_mul_f64 v[194:195], v[194:195], -v[192:193]
.LBB93_268:
	s_or_b64 exec, exec, s[2:3]
	ds_write2_b64 v255, v[192:193], v[194:195] offset1:1
.LBB93_269:
	s_or_b64 exec, exec, s[4:5]
	s_waitcnt lgkmcnt(0)
	s_barrier
	ds_read2_b64 v[188:191], v255 offset1:1
	v_cmp_lt_u32_e32 vcc, 29, v254
	s_waitcnt lgkmcnt(0)
	scratch_store_dwordx4 off, v[188:191], off offset:800 ; 16-byte Folded Spill
	s_and_saveexec_b64 s[2:3], vcc
	s_cbranch_execz .LBB93_271
; %bb.270:
	scratch_load_dwordx4 v[190:193], off, off offset:800 ; 16-byte Folded Reload
	s_waitcnt vmcnt(0)
	v_mul_f64 v[188:189], v[192:193], v[66:67]
	v_mul_f64 v[66:67], v[190:191], v[66:67]
	v_fma_f64 v[188:189], v[190:191], v[64:65], -v[188:189]
	v_fmac_f64_e32 v[66:67], v[192:193], v[64:65]
	ds_read2_b64 v[190:193], v241 offset0:60 offset1:61
	s_waitcnt lgkmcnt(0)
	v_mul_f64 v[64:65], v[192:193], v[66:67]
	v_fma_f64 v[64:65], v[190:191], v[188:189], -v[64:65]
	v_mul_f64 v[190:191], v[190:191], v[66:67]
	v_fmac_f64_e32 v[190:191], v[192:193], v[188:189]
	v_add_f64 v[62:63], v[62:63], -v[190:191]
	ds_read2_b64 v[190:193], v241 offset0:62 offset1:63
	v_add_f64 v[60:61], v[60:61], -v[64:65]
	s_waitcnt lgkmcnt(0)
	v_mul_f64 v[64:65], v[192:193], v[66:67]
	v_fma_f64 v[64:65], v[190:191], v[188:189], -v[64:65]
	v_mul_f64 v[190:191], v[190:191], v[66:67]
	v_fmac_f64_e32 v[190:191], v[192:193], v[188:189]
	v_add_f64 v[58:59], v[58:59], -v[190:191]
	ds_read2_b64 v[190:193], v241 offset0:64 offset1:65
	v_add_f64 v[56:57], v[56:57], -v[64:65]
	;; [unrolled: 8-line block ×16, first 2 shown]
	s_waitcnt lgkmcnt(0)
	v_mul_f64 v[64:65], v[192:193], v[66:67]
	v_fma_f64 v[64:65], v[190:191], v[188:189], -v[64:65]
	v_mul_f64 v[190:191], v[190:191], v[66:67]
	v_fmac_f64_e32 v[190:191], v[192:193], v[188:189]
	v_add_f64 v[184:185], v[184:185], -v[64:65]
	v_add_f64 v[186:187], v[186:187], -v[190:191]
	v_mov_b64_e32 v[64:65], v[188:189]
.LBB93_271:
	s_or_b64 exec, exec, s[2:3]
	v_cmp_eq_u32_e32 vcc, 30, v254
	s_waitcnt vmcnt(63) expcnt(7) lgkmcnt(15)
	s_barrier
	s_and_saveexec_b64 s[4:5], vcc
	s_cbranch_execz .LBB93_278
; %bb.272:
	ds_write2_b64 v255, v[60:61], v[62:63] offset1:1
	s_waitcnt vmcnt(59)
	ds_write2_b64 v241, v[56:57], v[58:59] offset0:62 offset1:63
	s_waitcnt vmcnt(57)
	ds_write2_b64 v241, v[52:53], v[54:55] offset0:64 offset1:65
	;; [unrolled: 2-line block ×14, first 2 shown]
	ds_write2_b64 v241, v[0:1], v[2:3] offset0:90 offset1:91
	s_waitcnt vmcnt(43)
	ds_write2_b64 v241, v[184:185], v[186:187] offset0:92 offset1:93
	ds_read2_b64 v[188:191], v255 offset1:1
	s_waitcnt lgkmcnt(0)
	v_cmp_neq_f64_e32 vcc, 0, v[188:189]
	v_cmp_neq_f64_e64 s[2:3], 0, v[190:191]
	s_or_b64 s[2:3], vcc, s[2:3]
	s_and_b64 exec, exec, s[2:3]
	s_cbranch_execz .LBB93_278
; %bb.273:
	v_cmp_ngt_f64_e64 s[2:3], |v[188:189]|, |v[190:191]|
                                        ; implicit-def: $vgpr192_vgpr193
	s_and_saveexec_b64 s[10:11], s[2:3]
	s_xor_b64 s[2:3], exec, s[10:11]
                                        ; implicit-def: $vgpr194_vgpr195
	s_cbranch_execz .LBB93_275
; %bb.274:
	v_div_scale_f64 v[192:193], s[10:11], v[190:191], v[190:191], v[188:189]
	v_rcp_f64_e32 v[194:195], v[192:193]
	v_div_scale_f64 v[196:197], vcc, v[188:189], v[190:191], v[188:189]
	v_fma_f64 v[198:199], -v[192:193], v[194:195], 1.0
	v_fmac_f64_e32 v[194:195], v[194:195], v[198:199]
	v_fma_f64 v[198:199], -v[192:193], v[194:195], 1.0
	v_fmac_f64_e32 v[194:195], v[194:195], v[198:199]
	v_mul_f64 v[198:199], v[196:197], v[194:195]
	v_fma_f64 v[192:193], -v[192:193], v[198:199], v[196:197]
	v_div_fmas_f64 v[192:193], v[192:193], v[194:195], v[198:199]
	v_div_fixup_f64 v[192:193], v[192:193], v[190:191], v[188:189]
	v_fmac_f64_e32 v[190:191], v[188:189], v[192:193]
	v_div_scale_f64 v[188:189], s[10:11], v[190:191], v[190:191], 1.0
	v_rcp_f64_e32 v[194:195], v[188:189]
	s_nop 0
	v_fma_f64 v[196:197], -v[188:189], v[194:195], 1.0
	v_fmac_f64_e32 v[194:195], v[194:195], v[196:197]
	v_fma_f64 v[196:197], -v[188:189], v[194:195], 1.0
	v_fmac_f64_e32 v[194:195], v[194:195], v[196:197]
	v_div_scale_f64 v[196:197], vcc, 1.0, v[190:191], 1.0
	v_mul_f64 v[198:199], v[196:197], v[194:195]
	v_fma_f64 v[188:189], -v[188:189], v[198:199], v[196:197]
	s_nop 1
	v_div_fmas_f64 v[188:189], v[188:189], v[194:195], v[198:199]
	v_div_fixup_f64 v[194:195], v[188:189], v[190:191], 1.0
	v_mul_f64 v[192:193], v[192:193], v[194:195]
	v_xor_b32_e32 v195, 0x80000000, v195
                                        ; implicit-def: $vgpr188_vgpr189
.LBB93_275:
	s_andn2_saveexec_b64 s[2:3], s[2:3]
	s_cbranch_execz .LBB93_277
; %bb.276:
	v_div_scale_f64 v[192:193], s[10:11], v[188:189], v[188:189], v[190:191]
	v_rcp_f64_e32 v[194:195], v[192:193]
	v_div_scale_f64 v[196:197], vcc, v[190:191], v[188:189], v[190:191]
	v_fma_f64 v[198:199], -v[192:193], v[194:195], 1.0
	v_fmac_f64_e32 v[194:195], v[194:195], v[198:199]
	v_fma_f64 v[198:199], -v[192:193], v[194:195], 1.0
	v_fmac_f64_e32 v[194:195], v[194:195], v[198:199]
	v_mul_f64 v[198:199], v[196:197], v[194:195]
	v_fma_f64 v[192:193], -v[192:193], v[198:199], v[196:197]
	v_div_fmas_f64 v[192:193], v[192:193], v[194:195], v[198:199]
	v_div_fixup_f64 v[194:195], v[192:193], v[188:189], v[190:191]
	v_fmac_f64_e32 v[188:189], v[190:191], v[194:195]
	v_div_scale_f64 v[190:191], s[10:11], v[188:189], v[188:189], 1.0
	v_rcp_f64_e32 v[192:193], v[190:191]
	s_nop 0
	v_fma_f64 v[196:197], -v[190:191], v[192:193], 1.0
	v_fmac_f64_e32 v[192:193], v[192:193], v[196:197]
	v_fma_f64 v[196:197], -v[190:191], v[192:193], 1.0
	v_fmac_f64_e32 v[192:193], v[192:193], v[196:197]
	v_div_scale_f64 v[196:197], vcc, 1.0, v[188:189], 1.0
	v_mul_f64 v[198:199], v[196:197], v[192:193]
	v_fma_f64 v[190:191], -v[190:191], v[198:199], v[196:197]
	s_nop 1
	v_div_fmas_f64 v[190:191], v[190:191], v[192:193], v[198:199]
	v_div_fixup_f64 v[192:193], v[190:191], v[188:189], 1.0
	v_mul_f64 v[194:195], v[194:195], -v[192:193]
.LBB93_277:
	s_or_b64 exec, exec, s[2:3]
	ds_write2_b64 v255, v[192:193], v[194:195] offset1:1
.LBB93_278:
	s_or_b64 exec, exec, s[4:5]
	s_waitcnt lgkmcnt(0)
	s_barrier
	ds_read2_b64 v[188:191], v255 offset1:1
	v_cmp_lt_u32_e32 vcc, 30, v254
	s_waitcnt lgkmcnt(0)
	scratch_store_dwordx4 off, v[188:191], off offset:816 ; 16-byte Folded Spill
	s_and_saveexec_b64 s[2:3], vcc
	s_cbranch_execz .LBB93_280
; %bb.279:
	scratch_load_dwordx4 v[190:193], off, off offset:816 ; 16-byte Folded Reload
	s_waitcnt vmcnt(0)
	v_mul_f64 v[188:189], v[190:191], v[62:63]
	v_mul_f64 v[62:63], v[192:193], v[62:63]
	v_fmac_f64_e32 v[188:189], v[192:193], v[60:61]
	v_fma_f64 v[60:61], v[190:191], v[60:61], -v[62:63]
	ds_read2_b64 v[190:193], v241 offset0:62 offset1:63
	s_waitcnt lgkmcnt(0)
	v_mul_f64 v[62:63], v[192:193], v[188:189]
	v_fma_f64 v[62:63], v[190:191], v[60:61], -v[62:63]
	v_mul_f64 v[190:191], v[190:191], v[188:189]
	v_fmac_f64_e32 v[190:191], v[192:193], v[60:61]
	v_add_f64 v[58:59], v[58:59], -v[190:191]
	ds_read2_b64 v[190:193], v241 offset0:64 offset1:65
	v_add_f64 v[56:57], v[56:57], -v[62:63]
	s_waitcnt lgkmcnt(0)
	v_mul_f64 v[62:63], v[192:193], v[188:189]
	v_fma_f64 v[62:63], v[190:191], v[60:61], -v[62:63]
	v_mul_f64 v[190:191], v[190:191], v[188:189]
	v_fmac_f64_e32 v[190:191], v[192:193], v[60:61]
	v_add_f64 v[54:55], v[54:55], -v[190:191]
	ds_read2_b64 v[190:193], v241 offset0:66 offset1:67
	v_add_f64 v[52:53], v[52:53], -v[62:63]
	;; [unrolled: 8-line block ×15, first 2 shown]
	s_waitcnt lgkmcnt(0)
	v_mul_f64 v[62:63], v[192:193], v[188:189]
	v_fma_f64 v[62:63], v[190:191], v[60:61], -v[62:63]
	v_mul_f64 v[190:191], v[190:191], v[188:189]
	v_fmac_f64_e32 v[190:191], v[192:193], v[60:61]
	v_add_f64 v[184:185], v[184:185], -v[62:63]
	v_add_f64 v[186:187], v[186:187], -v[190:191]
	v_mov_b64_e32 v[62:63], v[188:189]
.LBB93_280:
	s_or_b64 exec, exec, s[2:3]
	v_cmp_eq_u32_e32 vcc, 31, v254
	s_waitcnt vmcnt(63) expcnt(7) lgkmcnt(15)
	s_barrier
	s_and_saveexec_b64 s[4:5], vcc
	s_cbranch_execz .LBB93_287
; %bb.281:
	s_waitcnt vmcnt(60)
	ds_write2_b64 v255, v[56:57], v[58:59] offset1:1
	s_waitcnt vmcnt(58)
	ds_write2_b64 v241, v[52:53], v[54:55] offset0:64 offset1:65
	s_waitcnt vmcnt(57)
	ds_write2_b64 v241, v[48:49], v[50:51] offset0:66 offset1:67
	;; [unrolled: 2-line block ×13, first 2 shown]
	ds_write2_b64 v241, v[0:1], v[2:3] offset0:90 offset1:91
	s_waitcnt vmcnt(44)
	ds_write2_b64 v241, v[184:185], v[186:187] offset0:92 offset1:93
	ds_read2_b64 v[188:191], v255 offset1:1
	s_waitcnt lgkmcnt(0)
	v_cmp_neq_f64_e32 vcc, 0, v[188:189]
	v_cmp_neq_f64_e64 s[2:3], 0, v[190:191]
	s_or_b64 s[2:3], vcc, s[2:3]
	s_and_b64 exec, exec, s[2:3]
	s_cbranch_execz .LBB93_287
; %bb.282:
	v_cmp_ngt_f64_e64 s[2:3], |v[188:189]|, |v[190:191]|
                                        ; implicit-def: $vgpr192_vgpr193
	s_and_saveexec_b64 s[10:11], s[2:3]
	s_xor_b64 s[2:3], exec, s[10:11]
                                        ; implicit-def: $vgpr194_vgpr195
	s_cbranch_execz .LBB93_284
; %bb.283:
	v_div_scale_f64 v[192:193], s[10:11], v[190:191], v[190:191], v[188:189]
	v_rcp_f64_e32 v[194:195], v[192:193]
	v_div_scale_f64 v[196:197], vcc, v[188:189], v[190:191], v[188:189]
	v_fma_f64 v[198:199], -v[192:193], v[194:195], 1.0
	v_fmac_f64_e32 v[194:195], v[194:195], v[198:199]
	v_fma_f64 v[198:199], -v[192:193], v[194:195], 1.0
	v_fmac_f64_e32 v[194:195], v[194:195], v[198:199]
	v_mul_f64 v[198:199], v[196:197], v[194:195]
	v_fma_f64 v[192:193], -v[192:193], v[198:199], v[196:197]
	v_div_fmas_f64 v[192:193], v[192:193], v[194:195], v[198:199]
	v_div_fixup_f64 v[192:193], v[192:193], v[190:191], v[188:189]
	v_fmac_f64_e32 v[190:191], v[188:189], v[192:193]
	v_div_scale_f64 v[188:189], s[10:11], v[190:191], v[190:191], 1.0
	v_rcp_f64_e32 v[194:195], v[188:189]
	s_nop 0
	v_fma_f64 v[196:197], -v[188:189], v[194:195], 1.0
	v_fmac_f64_e32 v[194:195], v[194:195], v[196:197]
	v_fma_f64 v[196:197], -v[188:189], v[194:195], 1.0
	v_fmac_f64_e32 v[194:195], v[194:195], v[196:197]
	v_div_scale_f64 v[196:197], vcc, 1.0, v[190:191], 1.0
	v_mul_f64 v[198:199], v[196:197], v[194:195]
	v_fma_f64 v[188:189], -v[188:189], v[198:199], v[196:197]
	s_nop 1
	v_div_fmas_f64 v[188:189], v[188:189], v[194:195], v[198:199]
	v_div_fixup_f64 v[194:195], v[188:189], v[190:191], 1.0
	v_mul_f64 v[192:193], v[192:193], v[194:195]
	v_xor_b32_e32 v195, 0x80000000, v195
                                        ; implicit-def: $vgpr188_vgpr189
.LBB93_284:
	s_andn2_saveexec_b64 s[2:3], s[2:3]
	s_cbranch_execz .LBB93_286
; %bb.285:
	v_div_scale_f64 v[192:193], s[10:11], v[188:189], v[188:189], v[190:191]
	v_rcp_f64_e32 v[194:195], v[192:193]
	v_div_scale_f64 v[196:197], vcc, v[190:191], v[188:189], v[190:191]
	v_fma_f64 v[198:199], -v[192:193], v[194:195], 1.0
	v_fmac_f64_e32 v[194:195], v[194:195], v[198:199]
	v_fma_f64 v[198:199], -v[192:193], v[194:195], 1.0
	v_fmac_f64_e32 v[194:195], v[194:195], v[198:199]
	v_mul_f64 v[198:199], v[196:197], v[194:195]
	v_fma_f64 v[192:193], -v[192:193], v[198:199], v[196:197]
	v_div_fmas_f64 v[192:193], v[192:193], v[194:195], v[198:199]
	v_div_fixup_f64 v[194:195], v[192:193], v[188:189], v[190:191]
	v_fmac_f64_e32 v[188:189], v[190:191], v[194:195]
	v_div_scale_f64 v[190:191], s[10:11], v[188:189], v[188:189], 1.0
	v_rcp_f64_e32 v[192:193], v[190:191]
	s_nop 0
	v_fma_f64 v[196:197], -v[190:191], v[192:193], 1.0
	v_fmac_f64_e32 v[192:193], v[192:193], v[196:197]
	v_fma_f64 v[196:197], -v[190:191], v[192:193], 1.0
	v_fmac_f64_e32 v[192:193], v[192:193], v[196:197]
	v_div_scale_f64 v[196:197], vcc, 1.0, v[188:189], 1.0
	v_mul_f64 v[198:199], v[196:197], v[192:193]
	v_fma_f64 v[190:191], -v[190:191], v[198:199], v[196:197]
	s_nop 1
	v_div_fmas_f64 v[190:191], v[190:191], v[192:193], v[198:199]
	v_div_fixup_f64 v[192:193], v[190:191], v[188:189], 1.0
	v_mul_f64 v[194:195], v[194:195], -v[192:193]
.LBB93_286:
	s_or_b64 exec, exec, s[2:3]
	ds_write2_b64 v255, v[192:193], v[194:195] offset1:1
.LBB93_287:
	s_or_b64 exec, exec, s[4:5]
	s_waitcnt lgkmcnt(0)
	s_barrier
	ds_read2_b64 v[188:191], v255 offset1:1
	v_cmp_lt_u32_e32 vcc, 31, v254
	s_waitcnt lgkmcnt(0)
	scratch_store_dwordx4 off, v[188:191], off offset:832 ; 16-byte Folded Spill
	s_and_saveexec_b64 s[2:3], vcc
	s_cbranch_execz .LBB93_289
; %bb.288:
	scratch_load_dwordx4 v[190:193], off, off offset:832 ; 16-byte Folded Reload
	s_waitcnt vmcnt(0)
	v_mul_f64 v[188:189], v[190:191], v[58:59]
	v_mul_f64 v[58:59], v[192:193], v[58:59]
	v_fmac_f64_e32 v[188:189], v[192:193], v[56:57]
	v_fma_f64 v[56:57], v[190:191], v[56:57], -v[58:59]
	ds_read2_b64 v[190:193], v241 offset0:64 offset1:65
	s_waitcnt lgkmcnt(0)
	v_mul_f64 v[58:59], v[192:193], v[188:189]
	v_fma_f64 v[58:59], v[190:191], v[56:57], -v[58:59]
	v_mul_f64 v[190:191], v[190:191], v[188:189]
	v_fmac_f64_e32 v[190:191], v[192:193], v[56:57]
	v_add_f64 v[54:55], v[54:55], -v[190:191]
	ds_read2_b64 v[190:193], v241 offset0:66 offset1:67
	v_add_f64 v[52:53], v[52:53], -v[58:59]
	s_waitcnt lgkmcnt(0)
	v_mul_f64 v[58:59], v[192:193], v[188:189]
	v_fma_f64 v[58:59], v[190:191], v[56:57], -v[58:59]
	v_mul_f64 v[190:191], v[190:191], v[188:189]
	v_fmac_f64_e32 v[190:191], v[192:193], v[56:57]
	v_add_f64 v[50:51], v[50:51], -v[190:191]
	ds_read2_b64 v[190:193], v241 offset0:68 offset1:69
	v_add_f64 v[48:49], v[48:49], -v[58:59]
	;; [unrolled: 8-line block ×14, first 2 shown]
	s_waitcnt lgkmcnt(0)
	v_mul_f64 v[58:59], v[192:193], v[188:189]
	v_fma_f64 v[58:59], v[190:191], v[56:57], -v[58:59]
	v_mul_f64 v[190:191], v[190:191], v[188:189]
	v_fmac_f64_e32 v[190:191], v[192:193], v[56:57]
	v_add_f64 v[184:185], v[184:185], -v[58:59]
	v_add_f64 v[186:187], v[186:187], -v[190:191]
	v_mov_b64_e32 v[58:59], v[188:189]
.LBB93_289:
	s_or_b64 exec, exec, s[2:3]
	v_cmp_eq_u32_e32 vcc, 32, v254
	s_waitcnt vmcnt(63) expcnt(7) lgkmcnt(15)
	s_barrier
	s_and_saveexec_b64 s[4:5], vcc
	s_cbranch_execz .LBB93_296
; %bb.290:
	s_waitcnt vmcnt(59)
	ds_write2_b64 v255, v[52:53], v[54:55] offset1:1
	s_waitcnt vmcnt(58)
	ds_write2_b64 v241, v[48:49], v[50:51] offset0:66 offset1:67
	s_waitcnt vmcnt(57)
	ds_write2_b64 v241, v[44:45], v[46:47] offset0:68 offset1:69
	;; [unrolled: 2-line block ×12, first 2 shown]
	ds_write2_b64 v241, v[0:1], v[2:3] offset0:90 offset1:91
	s_waitcnt vmcnt(45)
	ds_write2_b64 v241, v[184:185], v[186:187] offset0:92 offset1:93
	ds_read2_b64 v[188:191], v255 offset1:1
	s_waitcnt lgkmcnt(0)
	v_cmp_neq_f64_e32 vcc, 0, v[188:189]
	v_cmp_neq_f64_e64 s[2:3], 0, v[190:191]
	s_or_b64 s[2:3], vcc, s[2:3]
	s_and_b64 exec, exec, s[2:3]
	s_cbranch_execz .LBB93_296
; %bb.291:
	v_cmp_ngt_f64_e64 s[2:3], |v[188:189]|, |v[190:191]|
                                        ; implicit-def: $vgpr192_vgpr193
	s_and_saveexec_b64 s[10:11], s[2:3]
	s_xor_b64 s[2:3], exec, s[10:11]
                                        ; implicit-def: $vgpr194_vgpr195
	s_cbranch_execz .LBB93_293
; %bb.292:
	v_div_scale_f64 v[192:193], s[10:11], v[190:191], v[190:191], v[188:189]
	v_rcp_f64_e32 v[194:195], v[192:193]
	v_div_scale_f64 v[196:197], vcc, v[188:189], v[190:191], v[188:189]
	v_fma_f64 v[198:199], -v[192:193], v[194:195], 1.0
	v_fmac_f64_e32 v[194:195], v[194:195], v[198:199]
	v_fma_f64 v[198:199], -v[192:193], v[194:195], 1.0
	v_fmac_f64_e32 v[194:195], v[194:195], v[198:199]
	v_mul_f64 v[198:199], v[196:197], v[194:195]
	v_fma_f64 v[192:193], -v[192:193], v[198:199], v[196:197]
	v_div_fmas_f64 v[192:193], v[192:193], v[194:195], v[198:199]
	v_div_fixup_f64 v[192:193], v[192:193], v[190:191], v[188:189]
	v_fmac_f64_e32 v[190:191], v[188:189], v[192:193]
	v_div_scale_f64 v[188:189], s[10:11], v[190:191], v[190:191], 1.0
	v_rcp_f64_e32 v[194:195], v[188:189]
	s_nop 0
	v_fma_f64 v[196:197], -v[188:189], v[194:195], 1.0
	v_fmac_f64_e32 v[194:195], v[194:195], v[196:197]
	v_fma_f64 v[196:197], -v[188:189], v[194:195], 1.0
	v_fmac_f64_e32 v[194:195], v[194:195], v[196:197]
	v_div_scale_f64 v[196:197], vcc, 1.0, v[190:191], 1.0
	v_mul_f64 v[198:199], v[196:197], v[194:195]
	v_fma_f64 v[188:189], -v[188:189], v[198:199], v[196:197]
	s_nop 1
	v_div_fmas_f64 v[188:189], v[188:189], v[194:195], v[198:199]
	v_div_fixup_f64 v[194:195], v[188:189], v[190:191], 1.0
	v_mul_f64 v[192:193], v[192:193], v[194:195]
	v_xor_b32_e32 v195, 0x80000000, v195
                                        ; implicit-def: $vgpr188_vgpr189
.LBB93_293:
	s_andn2_saveexec_b64 s[2:3], s[2:3]
	s_cbranch_execz .LBB93_295
; %bb.294:
	v_div_scale_f64 v[192:193], s[10:11], v[188:189], v[188:189], v[190:191]
	v_rcp_f64_e32 v[194:195], v[192:193]
	v_div_scale_f64 v[196:197], vcc, v[190:191], v[188:189], v[190:191]
	v_fma_f64 v[198:199], -v[192:193], v[194:195], 1.0
	v_fmac_f64_e32 v[194:195], v[194:195], v[198:199]
	v_fma_f64 v[198:199], -v[192:193], v[194:195], 1.0
	v_fmac_f64_e32 v[194:195], v[194:195], v[198:199]
	v_mul_f64 v[198:199], v[196:197], v[194:195]
	v_fma_f64 v[192:193], -v[192:193], v[198:199], v[196:197]
	v_div_fmas_f64 v[192:193], v[192:193], v[194:195], v[198:199]
	v_div_fixup_f64 v[194:195], v[192:193], v[188:189], v[190:191]
	v_fmac_f64_e32 v[188:189], v[190:191], v[194:195]
	v_div_scale_f64 v[190:191], s[10:11], v[188:189], v[188:189], 1.0
	v_rcp_f64_e32 v[192:193], v[190:191]
	s_nop 0
	v_fma_f64 v[196:197], -v[190:191], v[192:193], 1.0
	v_fmac_f64_e32 v[192:193], v[192:193], v[196:197]
	v_fma_f64 v[196:197], -v[190:191], v[192:193], 1.0
	v_fmac_f64_e32 v[192:193], v[192:193], v[196:197]
	v_div_scale_f64 v[196:197], vcc, 1.0, v[188:189], 1.0
	v_mul_f64 v[198:199], v[196:197], v[192:193]
	v_fma_f64 v[190:191], -v[190:191], v[198:199], v[196:197]
	s_nop 1
	v_div_fmas_f64 v[190:191], v[190:191], v[192:193], v[198:199]
	v_div_fixup_f64 v[192:193], v[190:191], v[188:189], 1.0
	v_mul_f64 v[194:195], v[194:195], -v[192:193]
.LBB93_295:
	s_or_b64 exec, exec, s[2:3]
	ds_write2_b64 v255, v[192:193], v[194:195] offset1:1
.LBB93_296:
	s_or_b64 exec, exec, s[4:5]
	s_waitcnt lgkmcnt(0)
	s_barrier
	ds_read2_b64 v[188:191], v255 offset1:1
	v_cmp_lt_u32_e32 vcc, 32, v254
	s_waitcnt lgkmcnt(0)
	scratch_store_dwordx4 off, v[188:191], off offset:848 ; 16-byte Folded Spill
	s_and_saveexec_b64 s[2:3], vcc
	s_cbranch_execz .LBB93_298
; %bb.297:
	scratch_load_dwordx4 v[190:193], off, off offset:848 ; 16-byte Folded Reload
	s_waitcnt vmcnt(0)
	v_mul_f64 v[188:189], v[190:191], v[54:55]
	v_mul_f64 v[54:55], v[192:193], v[54:55]
	v_fmac_f64_e32 v[188:189], v[192:193], v[52:53]
	v_fma_f64 v[52:53], v[190:191], v[52:53], -v[54:55]
	ds_read2_b64 v[190:193], v241 offset0:66 offset1:67
	s_waitcnt lgkmcnt(0)
	v_mul_f64 v[54:55], v[192:193], v[188:189]
	v_fma_f64 v[54:55], v[190:191], v[52:53], -v[54:55]
	v_mul_f64 v[190:191], v[190:191], v[188:189]
	v_fmac_f64_e32 v[190:191], v[192:193], v[52:53]
	v_add_f64 v[50:51], v[50:51], -v[190:191]
	ds_read2_b64 v[190:193], v241 offset0:68 offset1:69
	v_add_f64 v[48:49], v[48:49], -v[54:55]
	s_waitcnt lgkmcnt(0)
	v_mul_f64 v[54:55], v[192:193], v[188:189]
	v_fma_f64 v[54:55], v[190:191], v[52:53], -v[54:55]
	v_mul_f64 v[190:191], v[190:191], v[188:189]
	v_fmac_f64_e32 v[190:191], v[192:193], v[52:53]
	v_add_f64 v[46:47], v[46:47], -v[190:191]
	ds_read2_b64 v[190:193], v241 offset0:70 offset1:71
	v_add_f64 v[44:45], v[44:45], -v[54:55]
	;; [unrolled: 8-line block ×13, first 2 shown]
	s_waitcnt lgkmcnt(0)
	v_mul_f64 v[54:55], v[192:193], v[188:189]
	v_fma_f64 v[54:55], v[190:191], v[52:53], -v[54:55]
	v_mul_f64 v[190:191], v[190:191], v[188:189]
	v_fmac_f64_e32 v[190:191], v[192:193], v[52:53]
	v_add_f64 v[184:185], v[184:185], -v[54:55]
	v_add_f64 v[186:187], v[186:187], -v[190:191]
	v_mov_b64_e32 v[54:55], v[188:189]
.LBB93_298:
	s_or_b64 exec, exec, s[2:3]
	v_cmp_eq_u32_e32 vcc, 33, v254
	s_waitcnt vmcnt(63) expcnt(7) lgkmcnt(15)
	s_barrier
	s_and_saveexec_b64 s[4:5], vcc
	s_cbranch_execz .LBB93_305
; %bb.299:
	s_waitcnt vmcnt(59)
	ds_write2_b64 v255, v[48:49], v[50:51] offset1:1
	s_waitcnt vmcnt(58)
	ds_write2_b64 v241, v[44:45], v[46:47] offset0:68 offset1:69
	s_waitcnt vmcnt(57)
	ds_write2_b64 v241, v[40:41], v[42:43] offset0:70 offset1:71
	;; [unrolled: 2-line block ×11, first 2 shown]
	ds_write2_b64 v241, v[0:1], v[2:3] offset0:90 offset1:91
	s_waitcnt vmcnt(46)
	ds_write2_b64 v241, v[184:185], v[186:187] offset0:92 offset1:93
	ds_read2_b64 v[188:191], v255 offset1:1
	s_waitcnt lgkmcnt(0)
	v_cmp_neq_f64_e32 vcc, 0, v[188:189]
	v_cmp_neq_f64_e64 s[2:3], 0, v[190:191]
	s_or_b64 s[2:3], vcc, s[2:3]
	s_and_b64 exec, exec, s[2:3]
	s_cbranch_execz .LBB93_305
; %bb.300:
	v_cmp_ngt_f64_e64 s[2:3], |v[188:189]|, |v[190:191]|
                                        ; implicit-def: $vgpr192_vgpr193
	s_and_saveexec_b64 s[10:11], s[2:3]
	s_xor_b64 s[2:3], exec, s[10:11]
                                        ; implicit-def: $vgpr194_vgpr195
	s_cbranch_execz .LBB93_302
; %bb.301:
	v_div_scale_f64 v[192:193], s[10:11], v[190:191], v[190:191], v[188:189]
	v_rcp_f64_e32 v[194:195], v[192:193]
	v_div_scale_f64 v[196:197], vcc, v[188:189], v[190:191], v[188:189]
	v_fma_f64 v[198:199], -v[192:193], v[194:195], 1.0
	v_fmac_f64_e32 v[194:195], v[194:195], v[198:199]
	v_fma_f64 v[198:199], -v[192:193], v[194:195], 1.0
	v_fmac_f64_e32 v[194:195], v[194:195], v[198:199]
	v_mul_f64 v[198:199], v[196:197], v[194:195]
	v_fma_f64 v[192:193], -v[192:193], v[198:199], v[196:197]
	v_div_fmas_f64 v[192:193], v[192:193], v[194:195], v[198:199]
	v_div_fixup_f64 v[192:193], v[192:193], v[190:191], v[188:189]
	v_fmac_f64_e32 v[190:191], v[188:189], v[192:193]
	v_div_scale_f64 v[188:189], s[10:11], v[190:191], v[190:191], 1.0
	v_rcp_f64_e32 v[194:195], v[188:189]
	s_nop 0
	v_fma_f64 v[196:197], -v[188:189], v[194:195], 1.0
	v_fmac_f64_e32 v[194:195], v[194:195], v[196:197]
	v_fma_f64 v[196:197], -v[188:189], v[194:195], 1.0
	v_fmac_f64_e32 v[194:195], v[194:195], v[196:197]
	v_div_scale_f64 v[196:197], vcc, 1.0, v[190:191], 1.0
	v_mul_f64 v[198:199], v[196:197], v[194:195]
	v_fma_f64 v[188:189], -v[188:189], v[198:199], v[196:197]
	s_nop 1
	v_div_fmas_f64 v[188:189], v[188:189], v[194:195], v[198:199]
	v_div_fixup_f64 v[194:195], v[188:189], v[190:191], 1.0
	v_mul_f64 v[192:193], v[192:193], v[194:195]
	v_xor_b32_e32 v195, 0x80000000, v195
                                        ; implicit-def: $vgpr188_vgpr189
.LBB93_302:
	s_andn2_saveexec_b64 s[2:3], s[2:3]
	s_cbranch_execz .LBB93_304
; %bb.303:
	v_div_scale_f64 v[192:193], s[10:11], v[188:189], v[188:189], v[190:191]
	v_rcp_f64_e32 v[194:195], v[192:193]
	v_div_scale_f64 v[196:197], vcc, v[190:191], v[188:189], v[190:191]
	v_fma_f64 v[198:199], -v[192:193], v[194:195], 1.0
	v_fmac_f64_e32 v[194:195], v[194:195], v[198:199]
	v_fma_f64 v[198:199], -v[192:193], v[194:195], 1.0
	v_fmac_f64_e32 v[194:195], v[194:195], v[198:199]
	v_mul_f64 v[198:199], v[196:197], v[194:195]
	v_fma_f64 v[192:193], -v[192:193], v[198:199], v[196:197]
	v_div_fmas_f64 v[192:193], v[192:193], v[194:195], v[198:199]
	v_div_fixup_f64 v[194:195], v[192:193], v[188:189], v[190:191]
	v_fmac_f64_e32 v[188:189], v[190:191], v[194:195]
	v_div_scale_f64 v[190:191], s[10:11], v[188:189], v[188:189], 1.0
	v_rcp_f64_e32 v[192:193], v[190:191]
	s_nop 0
	v_fma_f64 v[196:197], -v[190:191], v[192:193], 1.0
	v_fmac_f64_e32 v[192:193], v[192:193], v[196:197]
	v_fma_f64 v[196:197], -v[190:191], v[192:193], 1.0
	v_fmac_f64_e32 v[192:193], v[192:193], v[196:197]
	v_div_scale_f64 v[196:197], vcc, 1.0, v[188:189], 1.0
	v_mul_f64 v[198:199], v[196:197], v[192:193]
	v_fma_f64 v[190:191], -v[190:191], v[198:199], v[196:197]
	s_nop 1
	v_div_fmas_f64 v[190:191], v[190:191], v[192:193], v[198:199]
	v_div_fixup_f64 v[192:193], v[190:191], v[188:189], 1.0
	v_mul_f64 v[194:195], v[194:195], -v[192:193]
.LBB93_304:
	s_or_b64 exec, exec, s[2:3]
	ds_write2_b64 v255, v[192:193], v[194:195] offset1:1
.LBB93_305:
	s_or_b64 exec, exec, s[4:5]
	s_waitcnt lgkmcnt(0)
	s_barrier
	ds_read2_b64 v[188:191], v255 offset1:1
	v_cmp_lt_u32_e32 vcc, 33, v254
	s_waitcnt lgkmcnt(0)
	scratch_store_dwordx4 off, v[188:191], off offset:864 ; 16-byte Folded Spill
	s_and_saveexec_b64 s[2:3], vcc
	s_cbranch_execz .LBB93_307
; %bb.306:
	scratch_load_dwordx4 v[190:193], off, off offset:864 ; 16-byte Folded Reload
	s_waitcnt vmcnt(0)
	v_mul_f64 v[188:189], v[190:191], v[50:51]
	v_mul_f64 v[50:51], v[192:193], v[50:51]
	v_fmac_f64_e32 v[188:189], v[192:193], v[48:49]
	v_fma_f64 v[48:49], v[190:191], v[48:49], -v[50:51]
	ds_read2_b64 v[190:193], v241 offset0:68 offset1:69
	s_waitcnt lgkmcnt(0)
	v_mul_f64 v[50:51], v[192:193], v[188:189]
	v_fma_f64 v[50:51], v[190:191], v[48:49], -v[50:51]
	v_mul_f64 v[190:191], v[190:191], v[188:189]
	v_fmac_f64_e32 v[190:191], v[192:193], v[48:49]
	v_add_f64 v[46:47], v[46:47], -v[190:191]
	ds_read2_b64 v[190:193], v241 offset0:70 offset1:71
	v_add_f64 v[44:45], v[44:45], -v[50:51]
	s_waitcnt lgkmcnt(0)
	v_mul_f64 v[50:51], v[192:193], v[188:189]
	v_fma_f64 v[50:51], v[190:191], v[48:49], -v[50:51]
	v_mul_f64 v[190:191], v[190:191], v[188:189]
	v_fmac_f64_e32 v[190:191], v[192:193], v[48:49]
	v_add_f64 v[42:43], v[42:43], -v[190:191]
	ds_read2_b64 v[190:193], v241 offset0:72 offset1:73
	v_add_f64 v[40:41], v[40:41], -v[50:51]
	;; [unrolled: 8-line block ×12, first 2 shown]
	s_waitcnt lgkmcnt(0)
	v_mul_f64 v[50:51], v[192:193], v[188:189]
	v_fma_f64 v[50:51], v[190:191], v[48:49], -v[50:51]
	v_mul_f64 v[190:191], v[190:191], v[188:189]
	v_fmac_f64_e32 v[190:191], v[192:193], v[48:49]
	v_add_f64 v[184:185], v[184:185], -v[50:51]
	v_add_f64 v[186:187], v[186:187], -v[190:191]
	v_mov_b64_e32 v[50:51], v[188:189]
.LBB93_307:
	s_or_b64 exec, exec, s[2:3]
	v_cmp_eq_u32_e32 vcc, 34, v254
	s_waitcnt vmcnt(63) expcnt(7) lgkmcnt(15)
	s_barrier
	s_and_saveexec_b64 s[4:5], vcc
	s_cbranch_execz .LBB93_314
; %bb.308:
	s_waitcnt vmcnt(59)
	ds_write2_b64 v255, v[44:45], v[46:47] offset1:1
	s_waitcnt vmcnt(58)
	ds_write2_b64 v241, v[40:41], v[42:43] offset0:70 offset1:71
	s_waitcnt vmcnt(57)
	ds_write2_b64 v241, v[36:37], v[38:39] offset0:72 offset1:73
	;; [unrolled: 2-line block ×10, first 2 shown]
	ds_write2_b64 v241, v[0:1], v[2:3] offset0:90 offset1:91
	s_waitcnt vmcnt(47)
	ds_write2_b64 v241, v[184:185], v[186:187] offset0:92 offset1:93
	ds_read2_b64 v[188:191], v255 offset1:1
	s_waitcnt lgkmcnt(0)
	v_cmp_neq_f64_e32 vcc, 0, v[188:189]
	v_cmp_neq_f64_e64 s[2:3], 0, v[190:191]
	s_or_b64 s[2:3], vcc, s[2:3]
	s_and_b64 exec, exec, s[2:3]
	s_cbranch_execz .LBB93_314
; %bb.309:
	v_cmp_ngt_f64_e64 s[2:3], |v[188:189]|, |v[190:191]|
                                        ; implicit-def: $vgpr192_vgpr193
	s_and_saveexec_b64 s[10:11], s[2:3]
	s_xor_b64 s[2:3], exec, s[10:11]
                                        ; implicit-def: $vgpr194_vgpr195
	s_cbranch_execz .LBB93_311
; %bb.310:
	v_div_scale_f64 v[192:193], s[10:11], v[190:191], v[190:191], v[188:189]
	v_rcp_f64_e32 v[194:195], v[192:193]
	v_div_scale_f64 v[196:197], vcc, v[188:189], v[190:191], v[188:189]
	v_fma_f64 v[198:199], -v[192:193], v[194:195], 1.0
	v_fmac_f64_e32 v[194:195], v[194:195], v[198:199]
	v_fma_f64 v[198:199], -v[192:193], v[194:195], 1.0
	v_fmac_f64_e32 v[194:195], v[194:195], v[198:199]
	v_mul_f64 v[198:199], v[196:197], v[194:195]
	v_fma_f64 v[192:193], -v[192:193], v[198:199], v[196:197]
	v_div_fmas_f64 v[192:193], v[192:193], v[194:195], v[198:199]
	v_div_fixup_f64 v[192:193], v[192:193], v[190:191], v[188:189]
	v_fmac_f64_e32 v[190:191], v[188:189], v[192:193]
	v_div_scale_f64 v[188:189], s[10:11], v[190:191], v[190:191], 1.0
	v_rcp_f64_e32 v[194:195], v[188:189]
	s_nop 0
	v_fma_f64 v[196:197], -v[188:189], v[194:195], 1.0
	v_fmac_f64_e32 v[194:195], v[194:195], v[196:197]
	v_fma_f64 v[196:197], -v[188:189], v[194:195], 1.0
	v_fmac_f64_e32 v[194:195], v[194:195], v[196:197]
	v_div_scale_f64 v[196:197], vcc, 1.0, v[190:191], 1.0
	v_mul_f64 v[198:199], v[196:197], v[194:195]
	v_fma_f64 v[188:189], -v[188:189], v[198:199], v[196:197]
	s_nop 1
	v_div_fmas_f64 v[188:189], v[188:189], v[194:195], v[198:199]
	v_div_fixup_f64 v[194:195], v[188:189], v[190:191], 1.0
	v_mul_f64 v[192:193], v[192:193], v[194:195]
	v_xor_b32_e32 v195, 0x80000000, v195
                                        ; implicit-def: $vgpr188_vgpr189
.LBB93_311:
	s_andn2_saveexec_b64 s[2:3], s[2:3]
	s_cbranch_execz .LBB93_313
; %bb.312:
	v_div_scale_f64 v[192:193], s[10:11], v[188:189], v[188:189], v[190:191]
	v_rcp_f64_e32 v[194:195], v[192:193]
	v_div_scale_f64 v[196:197], vcc, v[190:191], v[188:189], v[190:191]
	v_fma_f64 v[198:199], -v[192:193], v[194:195], 1.0
	v_fmac_f64_e32 v[194:195], v[194:195], v[198:199]
	v_fma_f64 v[198:199], -v[192:193], v[194:195], 1.0
	v_fmac_f64_e32 v[194:195], v[194:195], v[198:199]
	v_mul_f64 v[198:199], v[196:197], v[194:195]
	v_fma_f64 v[192:193], -v[192:193], v[198:199], v[196:197]
	v_div_fmas_f64 v[192:193], v[192:193], v[194:195], v[198:199]
	v_div_fixup_f64 v[194:195], v[192:193], v[188:189], v[190:191]
	v_fmac_f64_e32 v[188:189], v[190:191], v[194:195]
	v_div_scale_f64 v[190:191], s[10:11], v[188:189], v[188:189], 1.0
	v_rcp_f64_e32 v[192:193], v[190:191]
	s_nop 0
	v_fma_f64 v[196:197], -v[190:191], v[192:193], 1.0
	v_fmac_f64_e32 v[192:193], v[192:193], v[196:197]
	v_fma_f64 v[196:197], -v[190:191], v[192:193], 1.0
	v_fmac_f64_e32 v[192:193], v[192:193], v[196:197]
	v_div_scale_f64 v[196:197], vcc, 1.0, v[188:189], 1.0
	v_mul_f64 v[198:199], v[196:197], v[192:193]
	v_fma_f64 v[190:191], -v[190:191], v[198:199], v[196:197]
	s_nop 1
	v_div_fmas_f64 v[190:191], v[190:191], v[192:193], v[198:199]
	v_div_fixup_f64 v[192:193], v[190:191], v[188:189], 1.0
	v_mul_f64 v[194:195], v[194:195], -v[192:193]
.LBB93_313:
	s_or_b64 exec, exec, s[2:3]
	ds_write2_b64 v255, v[192:193], v[194:195] offset1:1
.LBB93_314:
	s_or_b64 exec, exec, s[4:5]
	s_waitcnt lgkmcnt(0)
	s_barrier
	ds_read2_b64 v[188:191], v255 offset1:1
	v_cmp_lt_u32_e32 vcc, 34, v254
	s_waitcnt lgkmcnt(0)
	scratch_store_dwordx4 off, v[188:191], off offset:880 ; 16-byte Folded Spill
	s_and_saveexec_b64 s[2:3], vcc
	s_cbranch_execz .LBB93_316
; %bb.315:
	scratch_load_dwordx4 v[188:191], off, off offset:880 ; 16-byte Folded Reload
	ds_read2_b64 v[194:197], v241 offset0:70 offset1:71
	s_waitcnt vmcnt(0)
	v_mul_f64 v[192:193], v[188:189], v[46:47]
	v_fmac_f64_e32 v[192:193], v[190:191], v[44:45]
	v_mul_f64 v[46:47], v[190:191], v[46:47]
	v_fma_f64 v[44:45], v[188:189], v[44:45], -v[46:47]
	s_waitcnt lgkmcnt(0)
	v_mul_f64 v[46:47], v[196:197], v[192:193]
	v_fma_f64 v[46:47], v[194:195], v[44:45], -v[46:47]
	v_mul_f64 v[194:195], v[194:195], v[192:193]
	v_fmac_f64_e32 v[194:195], v[196:197], v[44:45]
	v_add_f64 v[42:43], v[42:43], -v[194:195]
	ds_read2_b64 v[194:197], v241 offset0:72 offset1:73
	v_add_f64 v[40:41], v[40:41], -v[46:47]
	s_waitcnt lgkmcnt(0)
	v_mul_f64 v[46:47], v[196:197], v[192:193]
	v_fma_f64 v[46:47], v[194:195], v[44:45], -v[46:47]
	v_mul_f64 v[194:195], v[194:195], v[192:193]
	v_fmac_f64_e32 v[194:195], v[196:197], v[44:45]
	v_add_f64 v[38:39], v[38:39], -v[194:195]
	ds_read2_b64 v[194:197], v241 offset0:74 offset1:75
	v_add_f64 v[36:37], v[36:37], -v[46:47]
	;; [unrolled: 8-line block ×11, first 2 shown]
	s_waitcnt lgkmcnt(0)
	v_mul_f64 v[46:47], v[196:197], v[192:193]
	v_fma_f64 v[46:47], v[194:195], v[44:45], -v[46:47]
	v_mul_f64 v[194:195], v[194:195], v[192:193]
	v_fmac_f64_e32 v[194:195], v[196:197], v[44:45]
	v_add_f64 v[184:185], v[184:185], -v[46:47]
	v_add_f64 v[186:187], v[186:187], -v[194:195]
	v_mov_b64_e32 v[46:47], v[192:193]
.LBB93_316:
	s_or_b64 exec, exec, s[2:3]
	v_cmp_eq_u32_e32 vcc, 35, v254
	s_waitcnt vmcnt(63) expcnt(7) lgkmcnt(15)
	s_barrier
	s_and_saveexec_b64 s[4:5], vcc
	s_cbranch_execz .LBB93_323
; %bb.317:
	s_waitcnt vmcnt(59)
	ds_write2_b64 v255, v[40:41], v[42:43] offset1:1
	s_waitcnt vmcnt(58)
	ds_write2_b64 v241, v[36:37], v[38:39] offset0:72 offset1:73
	s_waitcnt vmcnt(57)
	ds_write2_b64 v241, v[32:33], v[34:35] offset0:74 offset1:75
	;; [unrolled: 2-line block ×9, first 2 shown]
	ds_write2_b64 v241, v[0:1], v[2:3] offset0:90 offset1:91
	s_waitcnt vmcnt(48)
	ds_write2_b64 v241, v[184:185], v[186:187] offset0:92 offset1:93
	ds_read2_b64 v[192:195], v255 offset1:1
	s_waitcnt lgkmcnt(0)
	v_cmp_neq_f64_e32 vcc, 0, v[192:193]
	v_cmp_neq_f64_e64 s[2:3], 0, v[194:195]
	s_or_b64 s[2:3], vcc, s[2:3]
	s_and_b64 exec, exec, s[2:3]
	s_cbranch_execz .LBB93_323
; %bb.318:
	v_cmp_ngt_f64_e64 s[2:3], |v[192:193]|, |v[194:195]|
                                        ; implicit-def: $vgpr196_vgpr197
	s_and_saveexec_b64 s[10:11], s[2:3]
	s_xor_b64 s[2:3], exec, s[10:11]
                                        ; implicit-def: $vgpr198_vgpr199
	s_cbranch_execz .LBB93_320
; %bb.319:
	v_div_scale_f64 v[196:197], s[10:11], v[194:195], v[194:195], v[192:193]
	v_rcp_f64_e32 v[198:199], v[196:197]
	v_div_scale_f64 v[200:201], vcc, v[192:193], v[194:195], v[192:193]
	v_fma_f64 v[202:203], -v[196:197], v[198:199], 1.0
	v_fmac_f64_e32 v[198:199], v[198:199], v[202:203]
	v_fma_f64 v[202:203], -v[196:197], v[198:199], 1.0
	v_fmac_f64_e32 v[198:199], v[198:199], v[202:203]
	v_mul_f64 v[202:203], v[200:201], v[198:199]
	v_fma_f64 v[196:197], -v[196:197], v[202:203], v[200:201]
	v_div_fmas_f64 v[196:197], v[196:197], v[198:199], v[202:203]
	v_div_fixup_f64 v[196:197], v[196:197], v[194:195], v[192:193]
	v_fmac_f64_e32 v[194:195], v[192:193], v[196:197]
	v_div_scale_f64 v[192:193], s[10:11], v[194:195], v[194:195], 1.0
	v_rcp_f64_e32 v[198:199], v[192:193]
	s_nop 0
	v_fma_f64 v[200:201], -v[192:193], v[198:199], 1.0
	v_fmac_f64_e32 v[198:199], v[198:199], v[200:201]
	v_fma_f64 v[200:201], -v[192:193], v[198:199], 1.0
	v_fmac_f64_e32 v[198:199], v[198:199], v[200:201]
	v_div_scale_f64 v[200:201], vcc, 1.0, v[194:195], 1.0
	v_mul_f64 v[202:203], v[200:201], v[198:199]
	v_fma_f64 v[192:193], -v[192:193], v[202:203], v[200:201]
	s_nop 1
	v_div_fmas_f64 v[192:193], v[192:193], v[198:199], v[202:203]
	v_div_fixup_f64 v[198:199], v[192:193], v[194:195], 1.0
	v_mul_f64 v[196:197], v[196:197], v[198:199]
	v_xor_b32_e32 v199, 0x80000000, v199
                                        ; implicit-def: $vgpr192_vgpr193
.LBB93_320:
	s_andn2_saveexec_b64 s[2:3], s[2:3]
	s_cbranch_execz .LBB93_322
; %bb.321:
	v_div_scale_f64 v[196:197], s[10:11], v[192:193], v[192:193], v[194:195]
	v_rcp_f64_e32 v[198:199], v[196:197]
	v_div_scale_f64 v[200:201], vcc, v[194:195], v[192:193], v[194:195]
	v_fma_f64 v[202:203], -v[196:197], v[198:199], 1.0
	v_fmac_f64_e32 v[198:199], v[198:199], v[202:203]
	v_fma_f64 v[202:203], -v[196:197], v[198:199], 1.0
	v_fmac_f64_e32 v[198:199], v[198:199], v[202:203]
	v_mul_f64 v[202:203], v[200:201], v[198:199]
	v_fma_f64 v[196:197], -v[196:197], v[202:203], v[200:201]
	v_div_fmas_f64 v[196:197], v[196:197], v[198:199], v[202:203]
	v_div_fixup_f64 v[198:199], v[196:197], v[192:193], v[194:195]
	v_fmac_f64_e32 v[192:193], v[194:195], v[198:199]
	v_div_scale_f64 v[194:195], s[10:11], v[192:193], v[192:193], 1.0
	v_rcp_f64_e32 v[196:197], v[194:195]
	s_nop 0
	v_fma_f64 v[200:201], -v[194:195], v[196:197], 1.0
	v_fmac_f64_e32 v[196:197], v[196:197], v[200:201]
	v_fma_f64 v[200:201], -v[194:195], v[196:197], 1.0
	v_fmac_f64_e32 v[196:197], v[196:197], v[200:201]
	v_div_scale_f64 v[200:201], vcc, 1.0, v[192:193], 1.0
	v_mul_f64 v[202:203], v[200:201], v[196:197]
	v_fma_f64 v[194:195], -v[194:195], v[202:203], v[200:201]
	s_nop 1
	v_div_fmas_f64 v[194:195], v[194:195], v[196:197], v[202:203]
	v_div_fixup_f64 v[196:197], v[194:195], v[192:193], 1.0
	v_mul_f64 v[198:199], v[198:199], -v[196:197]
.LBB93_322:
	s_or_b64 exec, exec, s[2:3]
	ds_write2_b64 v255, v[196:197], v[198:199] offset1:1
.LBB93_323:
	s_or_b64 exec, exec, s[4:5]
	s_waitcnt lgkmcnt(0)
	s_barrier
	ds_read2_b64 v[192:195], v255 offset1:1
	v_cmp_lt_u32_e32 vcc, 35, v254
	s_and_saveexec_b64 s[2:3], vcc
	s_cbranch_execz .LBB93_325
; %bb.324:
	ds_read2_b64 v[198:201], v241 offset0:72 offset1:73
	s_waitcnt vmcnt(59) lgkmcnt(1)
	v_mul_f64 v[196:197], v[192:193], v[42:43]
	v_fmac_f64_e32 v[196:197], v[194:195], v[40:41]
	v_mul_f64 v[42:43], v[194:195], v[42:43]
	v_fma_f64 v[40:41], v[192:193], v[40:41], -v[42:43]
	s_waitcnt lgkmcnt(0)
	v_mul_f64 v[42:43], v[200:201], v[196:197]
	v_fma_f64 v[42:43], v[198:199], v[40:41], -v[42:43]
	v_mul_f64 v[198:199], v[198:199], v[196:197]
	v_fmac_f64_e32 v[198:199], v[200:201], v[40:41]
	s_waitcnt vmcnt(58)
	v_add_f64 v[38:39], v[38:39], -v[198:199]
	ds_read2_b64 v[198:201], v241 offset0:74 offset1:75
	v_add_f64 v[36:37], v[36:37], -v[42:43]
	s_waitcnt lgkmcnt(0)
	v_mul_f64 v[42:43], v[200:201], v[196:197]
	v_fma_f64 v[42:43], v[198:199], v[40:41], -v[42:43]
	v_mul_f64 v[198:199], v[198:199], v[196:197]
	v_fmac_f64_e32 v[198:199], v[200:201], v[40:41]
	s_waitcnt vmcnt(57)
	v_add_f64 v[34:35], v[34:35], -v[198:199]
	ds_read2_b64 v[198:201], v241 offset0:76 offset1:77
	v_add_f64 v[32:33], v[32:33], -v[42:43]
	;; [unrolled: 9-line block ×9, first 2 shown]
	s_waitcnt lgkmcnt(0)
	v_mul_f64 v[42:43], v[200:201], v[196:197]
	v_fma_f64 v[42:43], v[198:199], v[40:41], -v[42:43]
	v_mul_f64 v[198:199], v[198:199], v[196:197]
	v_fmac_f64_e32 v[198:199], v[200:201], v[40:41]
	v_add_f64 v[2:3], v[2:3], -v[198:199]
	ds_read2_b64 v[198:201], v241 offset0:92 offset1:93
	v_add_f64 v[0:1], v[0:1], -v[42:43]
	s_waitcnt lgkmcnt(0)
	v_mul_f64 v[42:43], v[200:201], v[196:197]
	v_fma_f64 v[42:43], v[198:199], v[40:41], -v[42:43]
	v_mul_f64 v[198:199], v[198:199], v[196:197]
	v_fmac_f64_e32 v[198:199], v[200:201], v[40:41]
	s_waitcnt vmcnt(48)
	v_add_f64 v[184:185], v[184:185], -v[42:43]
	v_add_f64 v[186:187], v[186:187], -v[198:199]
	v_mov_b64_e32 v[42:43], v[196:197]
.LBB93_325:
	s_or_b64 exec, exec, s[2:3]
	v_cmp_eq_u32_e32 vcc, 36, v254
	s_waitcnt lgkmcnt(0)
	s_barrier
	s_and_saveexec_b64 s[4:5], vcc
	s_cbranch_execz .LBB93_332
; %bb.326:
	s_waitcnt vmcnt(58)
	ds_write2_b64 v255, v[36:37], v[38:39] offset1:1
	s_waitcnt vmcnt(57)
	ds_write2_b64 v241, v[32:33], v[34:35] offset0:74 offset1:75
	s_waitcnt vmcnt(56)
	ds_write2_b64 v241, v[28:29], v[30:31] offset0:76 offset1:77
	;; [unrolled: 2-line block ×8, first 2 shown]
	ds_write2_b64 v241, v[0:1], v[2:3] offset0:90 offset1:91
	s_waitcnt vmcnt(48)
	ds_write2_b64 v241, v[184:185], v[186:187] offset0:92 offset1:93
	ds_read2_b64 v[196:199], v255 offset1:1
	s_waitcnt lgkmcnt(0)
	v_cmp_neq_f64_e32 vcc, 0, v[196:197]
	v_cmp_neq_f64_e64 s[2:3], 0, v[198:199]
	s_or_b64 s[2:3], vcc, s[2:3]
	s_and_b64 exec, exec, s[2:3]
	s_cbranch_execz .LBB93_332
; %bb.327:
	v_cmp_ngt_f64_e64 s[2:3], |v[196:197]|, |v[198:199]|
                                        ; implicit-def: $vgpr200_vgpr201
	s_and_saveexec_b64 s[10:11], s[2:3]
	s_xor_b64 s[2:3], exec, s[10:11]
                                        ; implicit-def: $vgpr202_vgpr203
	s_cbranch_execz .LBB93_329
; %bb.328:
	v_div_scale_f64 v[200:201], s[10:11], v[198:199], v[198:199], v[196:197]
	v_rcp_f64_e32 v[202:203], v[200:201]
	v_div_scale_f64 v[204:205], vcc, v[196:197], v[198:199], v[196:197]
	v_fma_f64 v[206:207], -v[200:201], v[202:203], 1.0
	v_fmac_f64_e32 v[202:203], v[202:203], v[206:207]
	v_fma_f64 v[206:207], -v[200:201], v[202:203], 1.0
	v_fmac_f64_e32 v[202:203], v[202:203], v[206:207]
	v_mul_f64 v[206:207], v[204:205], v[202:203]
	v_fma_f64 v[200:201], -v[200:201], v[206:207], v[204:205]
	v_div_fmas_f64 v[200:201], v[200:201], v[202:203], v[206:207]
	v_div_fixup_f64 v[200:201], v[200:201], v[198:199], v[196:197]
	v_fmac_f64_e32 v[198:199], v[196:197], v[200:201]
	v_div_scale_f64 v[196:197], s[10:11], v[198:199], v[198:199], 1.0
	v_rcp_f64_e32 v[202:203], v[196:197]
	s_nop 0
	v_fma_f64 v[204:205], -v[196:197], v[202:203], 1.0
	v_fmac_f64_e32 v[202:203], v[202:203], v[204:205]
	v_fma_f64 v[204:205], -v[196:197], v[202:203], 1.0
	v_fmac_f64_e32 v[202:203], v[202:203], v[204:205]
	v_div_scale_f64 v[204:205], vcc, 1.0, v[198:199], 1.0
	v_mul_f64 v[206:207], v[204:205], v[202:203]
	v_fma_f64 v[196:197], -v[196:197], v[206:207], v[204:205]
	s_nop 1
	v_div_fmas_f64 v[196:197], v[196:197], v[202:203], v[206:207]
	v_div_fixup_f64 v[202:203], v[196:197], v[198:199], 1.0
	v_mul_f64 v[200:201], v[200:201], v[202:203]
	v_xor_b32_e32 v203, 0x80000000, v203
                                        ; implicit-def: $vgpr196_vgpr197
.LBB93_329:
	s_andn2_saveexec_b64 s[2:3], s[2:3]
	s_cbranch_execz .LBB93_331
; %bb.330:
	v_div_scale_f64 v[200:201], s[10:11], v[196:197], v[196:197], v[198:199]
	v_rcp_f64_e32 v[202:203], v[200:201]
	v_div_scale_f64 v[204:205], vcc, v[198:199], v[196:197], v[198:199]
	v_fma_f64 v[206:207], -v[200:201], v[202:203], 1.0
	v_fmac_f64_e32 v[202:203], v[202:203], v[206:207]
	v_fma_f64 v[206:207], -v[200:201], v[202:203], 1.0
	v_fmac_f64_e32 v[202:203], v[202:203], v[206:207]
	v_mul_f64 v[206:207], v[204:205], v[202:203]
	v_fma_f64 v[200:201], -v[200:201], v[206:207], v[204:205]
	v_div_fmas_f64 v[200:201], v[200:201], v[202:203], v[206:207]
	v_div_fixup_f64 v[202:203], v[200:201], v[196:197], v[198:199]
	v_fmac_f64_e32 v[196:197], v[198:199], v[202:203]
	v_div_scale_f64 v[198:199], s[10:11], v[196:197], v[196:197], 1.0
	v_rcp_f64_e32 v[200:201], v[198:199]
	s_nop 0
	v_fma_f64 v[204:205], -v[198:199], v[200:201], 1.0
	v_fmac_f64_e32 v[200:201], v[200:201], v[204:205]
	v_fma_f64 v[204:205], -v[198:199], v[200:201], 1.0
	v_fmac_f64_e32 v[200:201], v[200:201], v[204:205]
	v_div_scale_f64 v[204:205], vcc, 1.0, v[196:197], 1.0
	v_mul_f64 v[206:207], v[204:205], v[200:201]
	v_fma_f64 v[198:199], -v[198:199], v[206:207], v[204:205]
	s_nop 1
	v_div_fmas_f64 v[198:199], v[198:199], v[200:201], v[206:207]
	v_div_fixup_f64 v[200:201], v[198:199], v[196:197], 1.0
	v_mul_f64 v[202:203], v[202:203], -v[200:201]
.LBB93_331:
	s_or_b64 exec, exec, s[2:3]
	ds_write2_b64 v255, v[200:201], v[202:203] offset1:1
.LBB93_332:
	s_or_b64 exec, exec, s[4:5]
	s_waitcnt lgkmcnt(0)
	s_barrier
	ds_read2_b64 v[180:183], v255 offset1:1
	v_cmp_lt_u32_e32 vcc, 36, v254
	s_and_saveexec_b64 s[2:3], vcc
	s_cbranch_execz .LBB93_334
; %bb.333:
	ds_read2_b64 v[202:205], v241 offset0:74 offset1:75
	s_waitcnt vmcnt(58) lgkmcnt(1)
	v_mul_f64 v[200:201], v[180:181], v[38:39]
	v_fmac_f64_e32 v[200:201], v[182:183], v[36:37]
	v_mul_f64 v[38:39], v[182:183], v[38:39]
	v_fma_f64 v[36:37], v[180:181], v[36:37], -v[38:39]
	s_waitcnt lgkmcnt(0)
	v_mul_f64 v[38:39], v[204:205], v[200:201]
	v_fma_f64 v[38:39], v[202:203], v[36:37], -v[38:39]
	v_mul_f64 v[202:203], v[202:203], v[200:201]
	v_fmac_f64_e32 v[202:203], v[204:205], v[36:37]
	s_waitcnt vmcnt(57)
	v_add_f64 v[34:35], v[34:35], -v[202:203]
	ds_read2_b64 v[202:205], v241 offset0:76 offset1:77
	v_add_f64 v[32:33], v[32:33], -v[38:39]
	s_waitcnt lgkmcnt(0)
	v_mul_f64 v[38:39], v[204:205], v[200:201]
	v_fma_f64 v[38:39], v[202:203], v[36:37], -v[38:39]
	v_mul_f64 v[202:203], v[202:203], v[200:201]
	v_fmac_f64_e32 v[202:203], v[204:205], v[36:37]
	s_waitcnt vmcnt(56)
	v_add_f64 v[30:31], v[30:31], -v[202:203]
	ds_read2_b64 v[202:205], v241 offset0:78 offset1:79
	v_add_f64 v[28:29], v[28:29], -v[38:39]
	;; [unrolled: 9-line block ×8, first 2 shown]
	s_waitcnt lgkmcnt(0)
	v_mul_f64 v[38:39], v[204:205], v[200:201]
	v_fma_f64 v[38:39], v[202:203], v[36:37], -v[38:39]
	v_mul_f64 v[202:203], v[202:203], v[200:201]
	v_fmac_f64_e32 v[202:203], v[204:205], v[36:37]
	v_add_f64 v[2:3], v[2:3], -v[202:203]
	ds_read2_b64 v[202:205], v241 offset0:92 offset1:93
	v_add_f64 v[0:1], v[0:1], -v[38:39]
	s_waitcnt lgkmcnt(0)
	v_mul_f64 v[38:39], v[204:205], v[200:201]
	v_fma_f64 v[38:39], v[202:203], v[36:37], -v[38:39]
	v_mul_f64 v[202:203], v[202:203], v[200:201]
	v_fmac_f64_e32 v[202:203], v[204:205], v[36:37]
	s_waitcnt vmcnt(48)
	v_add_f64 v[184:185], v[184:185], -v[38:39]
	v_add_f64 v[186:187], v[186:187], -v[202:203]
	v_mov_b64_e32 v[38:39], v[200:201]
.LBB93_334:
	s_or_b64 exec, exec, s[2:3]
	v_cmp_eq_u32_e32 vcc, 37, v254
	s_waitcnt lgkmcnt(0)
	s_barrier
	s_and_saveexec_b64 s[4:5], vcc
	s_cbranch_execz .LBB93_341
; %bb.335:
	s_waitcnt vmcnt(57)
	ds_write2_b64 v255, v[32:33], v[34:35] offset1:1
	s_waitcnt vmcnt(56)
	ds_write2_b64 v241, v[28:29], v[30:31] offset0:76 offset1:77
	s_waitcnt vmcnt(55)
	ds_write2_b64 v241, v[24:25], v[26:27] offset0:78 offset1:79
	;; [unrolled: 2-line block ×7, first 2 shown]
	ds_write2_b64 v241, v[0:1], v[2:3] offset0:90 offset1:91
	s_waitcnt vmcnt(48)
	ds_write2_b64 v241, v[184:185], v[186:187] offset0:92 offset1:93
	ds_read2_b64 v[200:203], v255 offset1:1
	s_waitcnt lgkmcnt(0)
	v_cmp_neq_f64_e32 vcc, 0, v[200:201]
	v_cmp_neq_f64_e64 s[2:3], 0, v[202:203]
	s_or_b64 s[2:3], vcc, s[2:3]
	s_and_b64 exec, exec, s[2:3]
	s_cbranch_execz .LBB93_341
; %bb.336:
	v_cmp_ngt_f64_e64 s[2:3], |v[200:201]|, |v[202:203]|
                                        ; implicit-def: $vgpr204_vgpr205
	s_and_saveexec_b64 s[10:11], s[2:3]
	s_xor_b64 s[2:3], exec, s[10:11]
                                        ; implicit-def: $vgpr206_vgpr207
	s_cbranch_execz .LBB93_338
; %bb.337:
	v_div_scale_f64 v[204:205], s[10:11], v[202:203], v[202:203], v[200:201]
	v_rcp_f64_e32 v[206:207], v[204:205]
	v_div_scale_f64 v[208:209], vcc, v[200:201], v[202:203], v[200:201]
	v_fma_f64 v[210:211], -v[204:205], v[206:207], 1.0
	v_fmac_f64_e32 v[206:207], v[206:207], v[210:211]
	v_fma_f64 v[210:211], -v[204:205], v[206:207], 1.0
	v_fmac_f64_e32 v[206:207], v[206:207], v[210:211]
	v_mul_f64 v[210:211], v[208:209], v[206:207]
	v_fma_f64 v[204:205], -v[204:205], v[210:211], v[208:209]
	v_div_fmas_f64 v[204:205], v[204:205], v[206:207], v[210:211]
	v_div_fixup_f64 v[204:205], v[204:205], v[202:203], v[200:201]
	v_fmac_f64_e32 v[202:203], v[200:201], v[204:205]
	v_div_scale_f64 v[200:201], s[10:11], v[202:203], v[202:203], 1.0
	v_rcp_f64_e32 v[206:207], v[200:201]
	s_nop 0
	v_fma_f64 v[208:209], -v[200:201], v[206:207], 1.0
	v_fmac_f64_e32 v[206:207], v[206:207], v[208:209]
	v_fma_f64 v[208:209], -v[200:201], v[206:207], 1.0
	v_fmac_f64_e32 v[206:207], v[206:207], v[208:209]
	v_div_scale_f64 v[208:209], vcc, 1.0, v[202:203], 1.0
	v_mul_f64 v[210:211], v[208:209], v[206:207]
	v_fma_f64 v[200:201], -v[200:201], v[210:211], v[208:209]
	s_nop 1
	v_div_fmas_f64 v[200:201], v[200:201], v[206:207], v[210:211]
	v_div_fixup_f64 v[206:207], v[200:201], v[202:203], 1.0
	v_mul_f64 v[204:205], v[204:205], v[206:207]
	v_xor_b32_e32 v207, 0x80000000, v207
                                        ; implicit-def: $vgpr200_vgpr201
.LBB93_338:
	s_andn2_saveexec_b64 s[2:3], s[2:3]
	s_cbranch_execz .LBB93_340
; %bb.339:
	v_div_scale_f64 v[204:205], s[10:11], v[200:201], v[200:201], v[202:203]
	v_rcp_f64_e32 v[206:207], v[204:205]
	v_div_scale_f64 v[208:209], vcc, v[202:203], v[200:201], v[202:203]
	v_fma_f64 v[210:211], -v[204:205], v[206:207], 1.0
	v_fmac_f64_e32 v[206:207], v[206:207], v[210:211]
	v_fma_f64 v[210:211], -v[204:205], v[206:207], 1.0
	v_fmac_f64_e32 v[206:207], v[206:207], v[210:211]
	v_mul_f64 v[210:211], v[208:209], v[206:207]
	v_fma_f64 v[204:205], -v[204:205], v[210:211], v[208:209]
	v_div_fmas_f64 v[204:205], v[204:205], v[206:207], v[210:211]
	v_div_fixup_f64 v[206:207], v[204:205], v[200:201], v[202:203]
	v_fmac_f64_e32 v[200:201], v[202:203], v[206:207]
	v_div_scale_f64 v[202:203], s[10:11], v[200:201], v[200:201], 1.0
	v_rcp_f64_e32 v[204:205], v[202:203]
	s_nop 0
	v_fma_f64 v[208:209], -v[202:203], v[204:205], 1.0
	v_fmac_f64_e32 v[204:205], v[204:205], v[208:209]
	v_fma_f64 v[208:209], -v[202:203], v[204:205], 1.0
	v_fmac_f64_e32 v[204:205], v[204:205], v[208:209]
	v_div_scale_f64 v[208:209], vcc, 1.0, v[200:201], 1.0
	v_mul_f64 v[210:211], v[208:209], v[204:205]
	v_fma_f64 v[202:203], -v[202:203], v[210:211], v[208:209]
	s_nop 1
	v_div_fmas_f64 v[202:203], v[202:203], v[204:205], v[210:211]
	v_div_fixup_f64 v[204:205], v[202:203], v[200:201], 1.0
	v_mul_f64 v[206:207], v[206:207], -v[204:205]
.LBB93_340:
	s_or_b64 exec, exec, s[2:3]
	ds_write2_b64 v255, v[204:205], v[206:207] offset1:1
.LBB93_341:
	s_or_b64 exec, exec, s[4:5]
	s_waitcnt lgkmcnt(0)
	s_barrier
	ds_read2_b64 v[196:199], v255 offset1:1
	v_cmp_lt_u32_e32 vcc, 37, v254
	s_and_saveexec_b64 s[2:3], vcc
	s_cbranch_execz .LBB93_343
; %bb.342:
	ds_read2_b64 v[206:209], v241 offset0:76 offset1:77
	s_waitcnt vmcnt(57) lgkmcnt(1)
	v_mul_f64 v[204:205], v[196:197], v[34:35]
	v_fmac_f64_e32 v[204:205], v[198:199], v[32:33]
	v_mul_f64 v[34:35], v[198:199], v[34:35]
	v_fma_f64 v[32:33], v[196:197], v[32:33], -v[34:35]
	s_waitcnt lgkmcnt(0)
	v_mul_f64 v[34:35], v[208:209], v[204:205]
	v_fma_f64 v[34:35], v[206:207], v[32:33], -v[34:35]
	v_mul_f64 v[206:207], v[206:207], v[204:205]
	v_fmac_f64_e32 v[206:207], v[208:209], v[32:33]
	s_waitcnt vmcnt(56)
	v_add_f64 v[30:31], v[30:31], -v[206:207]
	ds_read2_b64 v[206:209], v241 offset0:78 offset1:79
	v_add_f64 v[28:29], v[28:29], -v[34:35]
	s_waitcnt lgkmcnt(0)
	v_mul_f64 v[34:35], v[208:209], v[204:205]
	v_fma_f64 v[34:35], v[206:207], v[32:33], -v[34:35]
	v_mul_f64 v[206:207], v[206:207], v[204:205]
	v_fmac_f64_e32 v[206:207], v[208:209], v[32:33]
	s_waitcnt vmcnt(55)
	v_add_f64 v[26:27], v[26:27], -v[206:207]
	ds_read2_b64 v[206:209], v241 offset0:80 offset1:81
	v_add_f64 v[24:25], v[24:25], -v[34:35]
	;; [unrolled: 9-line block ×7, first 2 shown]
	s_waitcnt lgkmcnt(0)
	v_mul_f64 v[34:35], v[208:209], v[204:205]
	v_fma_f64 v[34:35], v[206:207], v[32:33], -v[34:35]
	v_mul_f64 v[206:207], v[206:207], v[204:205]
	v_fmac_f64_e32 v[206:207], v[208:209], v[32:33]
	v_add_f64 v[2:3], v[2:3], -v[206:207]
	ds_read2_b64 v[206:209], v241 offset0:92 offset1:93
	v_add_f64 v[0:1], v[0:1], -v[34:35]
	s_waitcnt lgkmcnt(0)
	v_mul_f64 v[34:35], v[208:209], v[204:205]
	v_fma_f64 v[34:35], v[206:207], v[32:33], -v[34:35]
	v_mul_f64 v[206:207], v[206:207], v[204:205]
	v_fmac_f64_e32 v[206:207], v[208:209], v[32:33]
	s_waitcnt vmcnt(48)
	v_add_f64 v[184:185], v[184:185], -v[34:35]
	v_add_f64 v[186:187], v[186:187], -v[206:207]
	v_mov_b64_e32 v[34:35], v[204:205]
.LBB93_343:
	s_or_b64 exec, exec, s[2:3]
	v_cmp_eq_u32_e32 vcc, 38, v254
	s_waitcnt lgkmcnt(0)
	s_barrier
	s_and_saveexec_b64 s[4:5], vcc
	s_cbranch_execz .LBB93_350
; %bb.344:
	s_waitcnt vmcnt(56)
	ds_write2_b64 v255, v[28:29], v[30:31] offset1:1
	s_waitcnt vmcnt(55)
	ds_write2_b64 v241, v[24:25], v[26:27] offset0:78 offset1:79
	s_waitcnt vmcnt(54)
	ds_write2_b64 v241, v[20:21], v[22:23] offset0:80 offset1:81
	;; [unrolled: 2-line block ×6, first 2 shown]
	ds_write2_b64 v241, v[0:1], v[2:3] offset0:90 offset1:91
	s_waitcnt vmcnt(48)
	ds_write2_b64 v241, v[184:185], v[186:187] offset0:92 offset1:93
	ds_read2_b64 v[204:207], v255 offset1:1
	s_waitcnt lgkmcnt(0)
	v_cmp_neq_f64_e32 vcc, 0, v[204:205]
	v_cmp_neq_f64_e64 s[2:3], 0, v[206:207]
	s_or_b64 s[2:3], vcc, s[2:3]
	s_and_b64 exec, exec, s[2:3]
	s_cbranch_execz .LBB93_350
; %bb.345:
	v_cmp_ngt_f64_e64 s[2:3], |v[204:205]|, |v[206:207]|
                                        ; implicit-def: $vgpr208_vgpr209
	s_and_saveexec_b64 s[10:11], s[2:3]
	s_xor_b64 s[2:3], exec, s[10:11]
                                        ; implicit-def: $vgpr210_vgpr211
	s_cbranch_execz .LBB93_347
; %bb.346:
	v_div_scale_f64 v[208:209], s[10:11], v[206:207], v[206:207], v[204:205]
	v_rcp_f64_e32 v[210:211], v[208:209]
	v_div_scale_f64 v[212:213], vcc, v[204:205], v[206:207], v[204:205]
	v_fma_f64 v[214:215], -v[208:209], v[210:211], 1.0
	v_fmac_f64_e32 v[210:211], v[210:211], v[214:215]
	v_fma_f64 v[214:215], -v[208:209], v[210:211], 1.0
	v_fmac_f64_e32 v[210:211], v[210:211], v[214:215]
	v_mul_f64 v[214:215], v[212:213], v[210:211]
	v_fma_f64 v[208:209], -v[208:209], v[214:215], v[212:213]
	v_div_fmas_f64 v[208:209], v[208:209], v[210:211], v[214:215]
	v_div_fixup_f64 v[208:209], v[208:209], v[206:207], v[204:205]
	v_fmac_f64_e32 v[206:207], v[204:205], v[208:209]
	v_div_scale_f64 v[204:205], s[10:11], v[206:207], v[206:207], 1.0
	v_rcp_f64_e32 v[210:211], v[204:205]
	s_nop 0
	v_fma_f64 v[212:213], -v[204:205], v[210:211], 1.0
	v_fmac_f64_e32 v[210:211], v[210:211], v[212:213]
	v_fma_f64 v[212:213], -v[204:205], v[210:211], 1.0
	v_fmac_f64_e32 v[210:211], v[210:211], v[212:213]
	v_div_scale_f64 v[212:213], vcc, 1.0, v[206:207], 1.0
	v_mul_f64 v[214:215], v[212:213], v[210:211]
	v_fma_f64 v[204:205], -v[204:205], v[214:215], v[212:213]
	s_nop 1
	v_div_fmas_f64 v[204:205], v[204:205], v[210:211], v[214:215]
	v_div_fixup_f64 v[210:211], v[204:205], v[206:207], 1.0
	v_mul_f64 v[208:209], v[208:209], v[210:211]
	v_xor_b32_e32 v211, 0x80000000, v211
                                        ; implicit-def: $vgpr204_vgpr205
.LBB93_347:
	s_andn2_saveexec_b64 s[2:3], s[2:3]
	s_cbranch_execz .LBB93_349
; %bb.348:
	v_div_scale_f64 v[208:209], s[10:11], v[204:205], v[204:205], v[206:207]
	v_rcp_f64_e32 v[210:211], v[208:209]
	v_div_scale_f64 v[212:213], vcc, v[206:207], v[204:205], v[206:207]
	v_fma_f64 v[214:215], -v[208:209], v[210:211], 1.0
	v_fmac_f64_e32 v[210:211], v[210:211], v[214:215]
	v_fma_f64 v[214:215], -v[208:209], v[210:211], 1.0
	v_fmac_f64_e32 v[210:211], v[210:211], v[214:215]
	v_mul_f64 v[214:215], v[212:213], v[210:211]
	v_fma_f64 v[208:209], -v[208:209], v[214:215], v[212:213]
	v_div_fmas_f64 v[208:209], v[208:209], v[210:211], v[214:215]
	v_div_fixup_f64 v[210:211], v[208:209], v[204:205], v[206:207]
	v_fmac_f64_e32 v[204:205], v[206:207], v[210:211]
	v_div_scale_f64 v[206:207], s[10:11], v[204:205], v[204:205], 1.0
	v_rcp_f64_e32 v[208:209], v[206:207]
	s_nop 0
	v_fma_f64 v[212:213], -v[206:207], v[208:209], 1.0
	v_fmac_f64_e32 v[208:209], v[208:209], v[212:213]
	v_fma_f64 v[212:213], -v[206:207], v[208:209], 1.0
	v_fmac_f64_e32 v[208:209], v[208:209], v[212:213]
	v_div_scale_f64 v[212:213], vcc, 1.0, v[204:205], 1.0
	v_mul_f64 v[214:215], v[212:213], v[208:209]
	v_fma_f64 v[206:207], -v[206:207], v[214:215], v[212:213]
	s_nop 1
	v_div_fmas_f64 v[206:207], v[206:207], v[208:209], v[214:215]
	v_div_fixup_f64 v[208:209], v[206:207], v[204:205], 1.0
	v_mul_f64 v[210:211], v[210:211], -v[208:209]
.LBB93_349:
	s_or_b64 exec, exec, s[2:3]
	ds_write2_b64 v255, v[208:209], v[210:211] offset1:1
.LBB93_350:
	s_or_b64 exec, exec, s[4:5]
	s_waitcnt lgkmcnt(0)
	s_barrier
	ds_read2_b64 v[200:203], v255 offset1:1
	v_cmp_lt_u32_e32 vcc, 38, v254
	s_and_saveexec_b64 s[2:3], vcc
	s_cbranch_execz .LBB93_352
; %bb.351:
	ds_read2_b64 v[210:213], v241 offset0:78 offset1:79
	s_waitcnt vmcnt(56) lgkmcnt(1)
	v_mul_f64 v[208:209], v[200:201], v[30:31]
	v_fmac_f64_e32 v[208:209], v[202:203], v[28:29]
	v_mul_f64 v[30:31], v[202:203], v[30:31]
	v_fma_f64 v[28:29], v[200:201], v[28:29], -v[30:31]
	s_waitcnt lgkmcnt(0)
	v_mul_f64 v[30:31], v[212:213], v[208:209]
	v_fma_f64 v[30:31], v[210:211], v[28:29], -v[30:31]
	v_mul_f64 v[210:211], v[210:211], v[208:209]
	v_fmac_f64_e32 v[210:211], v[212:213], v[28:29]
	s_waitcnt vmcnt(55)
	v_add_f64 v[26:27], v[26:27], -v[210:211]
	ds_read2_b64 v[210:213], v241 offset0:80 offset1:81
	v_add_f64 v[24:25], v[24:25], -v[30:31]
	s_waitcnt lgkmcnt(0)
	v_mul_f64 v[30:31], v[212:213], v[208:209]
	v_fma_f64 v[30:31], v[210:211], v[28:29], -v[30:31]
	v_mul_f64 v[210:211], v[210:211], v[208:209]
	v_fmac_f64_e32 v[210:211], v[212:213], v[28:29]
	s_waitcnt vmcnt(54)
	v_add_f64 v[22:23], v[22:23], -v[210:211]
	ds_read2_b64 v[210:213], v241 offset0:82 offset1:83
	v_add_f64 v[20:21], v[20:21], -v[30:31]
	;; [unrolled: 9-line block ×6, first 2 shown]
	s_waitcnt lgkmcnt(0)
	v_mul_f64 v[30:31], v[212:213], v[208:209]
	v_fma_f64 v[30:31], v[210:211], v[28:29], -v[30:31]
	v_mul_f64 v[210:211], v[210:211], v[208:209]
	v_fmac_f64_e32 v[210:211], v[212:213], v[28:29]
	v_add_f64 v[2:3], v[2:3], -v[210:211]
	ds_read2_b64 v[210:213], v241 offset0:92 offset1:93
	v_add_f64 v[0:1], v[0:1], -v[30:31]
	s_waitcnt lgkmcnt(0)
	v_mul_f64 v[30:31], v[212:213], v[208:209]
	v_fma_f64 v[30:31], v[210:211], v[28:29], -v[30:31]
	v_mul_f64 v[210:211], v[210:211], v[208:209]
	v_fmac_f64_e32 v[210:211], v[212:213], v[28:29]
	s_waitcnt vmcnt(48)
	v_add_f64 v[184:185], v[184:185], -v[30:31]
	v_add_f64 v[186:187], v[186:187], -v[210:211]
	v_mov_b64_e32 v[30:31], v[208:209]
.LBB93_352:
	s_or_b64 exec, exec, s[2:3]
	v_cmp_eq_u32_e32 vcc, 39, v254
	s_waitcnt lgkmcnt(0)
	s_barrier
	s_and_saveexec_b64 s[4:5], vcc
	s_cbranch_execz .LBB93_359
; %bb.353:
	s_waitcnt vmcnt(55)
	ds_write2_b64 v255, v[24:25], v[26:27] offset1:1
	s_waitcnt vmcnt(54)
	ds_write2_b64 v241, v[20:21], v[22:23] offset0:80 offset1:81
	s_waitcnt vmcnt(53)
	ds_write2_b64 v241, v[16:17], v[18:19] offset0:82 offset1:83
	;; [unrolled: 2-line block ×5, first 2 shown]
	ds_write2_b64 v241, v[0:1], v[2:3] offset0:90 offset1:91
	s_waitcnt vmcnt(48)
	ds_write2_b64 v241, v[184:185], v[186:187] offset0:92 offset1:93
	ds_read2_b64 v[208:211], v255 offset1:1
	s_waitcnt lgkmcnt(0)
	v_cmp_neq_f64_e32 vcc, 0, v[208:209]
	v_cmp_neq_f64_e64 s[2:3], 0, v[210:211]
	s_or_b64 s[2:3], vcc, s[2:3]
	s_and_b64 exec, exec, s[2:3]
	s_cbranch_execz .LBB93_359
; %bb.354:
	v_cmp_ngt_f64_e64 s[2:3], |v[208:209]|, |v[210:211]|
                                        ; implicit-def: $vgpr212_vgpr213
	s_and_saveexec_b64 s[10:11], s[2:3]
	s_xor_b64 s[2:3], exec, s[10:11]
                                        ; implicit-def: $vgpr214_vgpr215
	s_cbranch_execz .LBB93_356
; %bb.355:
	v_div_scale_f64 v[212:213], s[10:11], v[210:211], v[210:211], v[208:209]
	v_rcp_f64_e32 v[214:215], v[212:213]
	v_div_scale_f64 v[216:217], vcc, v[208:209], v[210:211], v[208:209]
	v_fma_f64 v[218:219], -v[212:213], v[214:215], 1.0
	v_fmac_f64_e32 v[214:215], v[214:215], v[218:219]
	v_fma_f64 v[218:219], -v[212:213], v[214:215], 1.0
	v_fmac_f64_e32 v[214:215], v[214:215], v[218:219]
	v_mul_f64 v[218:219], v[216:217], v[214:215]
	v_fma_f64 v[212:213], -v[212:213], v[218:219], v[216:217]
	v_div_fmas_f64 v[212:213], v[212:213], v[214:215], v[218:219]
	v_div_fixup_f64 v[212:213], v[212:213], v[210:211], v[208:209]
	v_fmac_f64_e32 v[210:211], v[208:209], v[212:213]
	v_div_scale_f64 v[208:209], s[10:11], v[210:211], v[210:211], 1.0
	v_rcp_f64_e32 v[214:215], v[208:209]
	s_nop 0
	v_fma_f64 v[216:217], -v[208:209], v[214:215], 1.0
	v_fmac_f64_e32 v[214:215], v[214:215], v[216:217]
	v_fma_f64 v[216:217], -v[208:209], v[214:215], 1.0
	v_fmac_f64_e32 v[214:215], v[214:215], v[216:217]
	v_div_scale_f64 v[216:217], vcc, 1.0, v[210:211], 1.0
	v_mul_f64 v[218:219], v[216:217], v[214:215]
	v_fma_f64 v[208:209], -v[208:209], v[218:219], v[216:217]
	s_nop 1
	v_div_fmas_f64 v[208:209], v[208:209], v[214:215], v[218:219]
	v_div_fixup_f64 v[214:215], v[208:209], v[210:211], 1.0
	v_mul_f64 v[212:213], v[212:213], v[214:215]
	v_xor_b32_e32 v215, 0x80000000, v215
                                        ; implicit-def: $vgpr208_vgpr209
.LBB93_356:
	s_andn2_saveexec_b64 s[2:3], s[2:3]
	s_cbranch_execz .LBB93_358
; %bb.357:
	v_div_scale_f64 v[212:213], s[10:11], v[208:209], v[208:209], v[210:211]
	v_rcp_f64_e32 v[214:215], v[212:213]
	v_div_scale_f64 v[216:217], vcc, v[210:211], v[208:209], v[210:211]
	v_fma_f64 v[218:219], -v[212:213], v[214:215], 1.0
	v_fmac_f64_e32 v[214:215], v[214:215], v[218:219]
	v_fma_f64 v[218:219], -v[212:213], v[214:215], 1.0
	v_fmac_f64_e32 v[214:215], v[214:215], v[218:219]
	v_mul_f64 v[218:219], v[216:217], v[214:215]
	v_fma_f64 v[212:213], -v[212:213], v[218:219], v[216:217]
	v_div_fmas_f64 v[212:213], v[212:213], v[214:215], v[218:219]
	v_div_fixup_f64 v[214:215], v[212:213], v[208:209], v[210:211]
	v_fmac_f64_e32 v[208:209], v[210:211], v[214:215]
	v_div_scale_f64 v[210:211], s[10:11], v[208:209], v[208:209], 1.0
	v_rcp_f64_e32 v[212:213], v[210:211]
	s_nop 0
	v_fma_f64 v[216:217], -v[210:211], v[212:213], 1.0
	v_fmac_f64_e32 v[212:213], v[212:213], v[216:217]
	v_fma_f64 v[216:217], -v[210:211], v[212:213], 1.0
	v_fmac_f64_e32 v[212:213], v[212:213], v[216:217]
	v_div_scale_f64 v[216:217], vcc, 1.0, v[208:209], 1.0
	v_mul_f64 v[218:219], v[216:217], v[212:213]
	v_fma_f64 v[210:211], -v[210:211], v[218:219], v[216:217]
	s_nop 1
	v_div_fmas_f64 v[210:211], v[210:211], v[212:213], v[218:219]
	v_div_fixup_f64 v[212:213], v[210:211], v[208:209], 1.0
	v_mul_f64 v[214:215], v[214:215], -v[212:213]
.LBB93_358:
	s_or_b64 exec, exec, s[2:3]
	ds_write2_b64 v255, v[212:213], v[214:215] offset1:1
.LBB93_359:
	s_or_b64 exec, exec, s[4:5]
	s_waitcnt lgkmcnt(0)
	s_barrier
	ds_read2_b64 v[204:207], v255 offset1:1
	v_cmp_lt_u32_e32 vcc, 39, v254
	s_and_saveexec_b64 s[2:3], vcc
	s_cbranch_execz .LBB93_361
; %bb.360:
	ds_read2_b64 v[214:217], v241 offset0:80 offset1:81
	s_waitcnt vmcnt(55) lgkmcnt(1)
	v_mul_f64 v[212:213], v[204:205], v[26:27]
	v_fmac_f64_e32 v[212:213], v[206:207], v[24:25]
	v_mul_f64 v[26:27], v[206:207], v[26:27]
	v_fma_f64 v[24:25], v[204:205], v[24:25], -v[26:27]
	s_waitcnt lgkmcnt(0)
	v_mul_f64 v[26:27], v[216:217], v[212:213]
	v_fma_f64 v[26:27], v[214:215], v[24:25], -v[26:27]
	v_mul_f64 v[214:215], v[214:215], v[212:213]
	v_fmac_f64_e32 v[214:215], v[216:217], v[24:25]
	s_waitcnt vmcnt(54)
	v_add_f64 v[22:23], v[22:23], -v[214:215]
	ds_read2_b64 v[214:217], v241 offset0:82 offset1:83
	v_add_f64 v[20:21], v[20:21], -v[26:27]
	s_waitcnt lgkmcnt(0)
	v_mul_f64 v[26:27], v[216:217], v[212:213]
	v_fma_f64 v[26:27], v[214:215], v[24:25], -v[26:27]
	v_mul_f64 v[214:215], v[214:215], v[212:213]
	v_fmac_f64_e32 v[214:215], v[216:217], v[24:25]
	s_waitcnt vmcnt(53)
	v_add_f64 v[18:19], v[18:19], -v[214:215]
	ds_read2_b64 v[214:217], v241 offset0:84 offset1:85
	v_add_f64 v[16:17], v[16:17], -v[26:27]
	;; [unrolled: 9-line block ×5, first 2 shown]
	s_waitcnt lgkmcnt(0)
	v_mul_f64 v[26:27], v[216:217], v[212:213]
	v_fma_f64 v[26:27], v[214:215], v[24:25], -v[26:27]
	v_mul_f64 v[214:215], v[214:215], v[212:213]
	v_fmac_f64_e32 v[214:215], v[216:217], v[24:25]
	v_add_f64 v[2:3], v[2:3], -v[214:215]
	ds_read2_b64 v[214:217], v241 offset0:92 offset1:93
	v_add_f64 v[0:1], v[0:1], -v[26:27]
	s_waitcnt lgkmcnt(0)
	v_mul_f64 v[26:27], v[216:217], v[212:213]
	v_fma_f64 v[26:27], v[214:215], v[24:25], -v[26:27]
	v_mul_f64 v[214:215], v[214:215], v[212:213]
	v_fmac_f64_e32 v[214:215], v[216:217], v[24:25]
	s_waitcnt vmcnt(48)
	v_add_f64 v[184:185], v[184:185], -v[26:27]
	v_add_f64 v[186:187], v[186:187], -v[214:215]
	v_mov_b64_e32 v[26:27], v[212:213]
.LBB93_361:
	s_or_b64 exec, exec, s[2:3]
	v_cmp_eq_u32_e32 vcc, 40, v254
	s_waitcnt lgkmcnt(0)
	s_barrier
	s_and_saveexec_b64 s[4:5], vcc
	s_cbranch_execz .LBB93_368
; %bb.362:
	s_waitcnt vmcnt(54)
	ds_write2_b64 v255, v[20:21], v[22:23] offset1:1
	s_waitcnt vmcnt(53)
	ds_write2_b64 v241, v[16:17], v[18:19] offset0:82 offset1:83
	s_waitcnt vmcnt(52)
	ds_write2_b64 v241, v[12:13], v[14:15] offset0:84 offset1:85
	;; [unrolled: 2-line block ×4, first 2 shown]
	ds_write2_b64 v241, v[0:1], v[2:3] offset0:90 offset1:91
	s_waitcnt vmcnt(48)
	ds_write2_b64 v241, v[184:185], v[186:187] offset0:92 offset1:93
	ds_read2_b64 v[212:215], v255 offset1:1
	s_waitcnt lgkmcnt(0)
	v_cmp_neq_f64_e32 vcc, 0, v[212:213]
	v_cmp_neq_f64_e64 s[2:3], 0, v[214:215]
	s_or_b64 s[2:3], vcc, s[2:3]
	s_and_b64 exec, exec, s[2:3]
	s_cbranch_execz .LBB93_368
; %bb.363:
	v_cmp_ngt_f64_e64 s[2:3], |v[212:213]|, |v[214:215]|
                                        ; implicit-def: $vgpr216_vgpr217
	s_and_saveexec_b64 s[10:11], s[2:3]
	s_xor_b64 s[2:3], exec, s[10:11]
                                        ; implicit-def: $vgpr218_vgpr219
	s_cbranch_execz .LBB93_365
; %bb.364:
	v_div_scale_f64 v[216:217], s[10:11], v[214:215], v[214:215], v[212:213]
	v_rcp_f64_e32 v[218:219], v[216:217]
	v_div_scale_f64 v[220:221], vcc, v[212:213], v[214:215], v[212:213]
	v_fma_f64 v[222:223], -v[216:217], v[218:219], 1.0
	v_fmac_f64_e32 v[218:219], v[218:219], v[222:223]
	v_fma_f64 v[222:223], -v[216:217], v[218:219], 1.0
	v_fmac_f64_e32 v[218:219], v[218:219], v[222:223]
	v_mul_f64 v[222:223], v[220:221], v[218:219]
	v_fma_f64 v[216:217], -v[216:217], v[222:223], v[220:221]
	v_div_fmas_f64 v[216:217], v[216:217], v[218:219], v[222:223]
	v_div_fixup_f64 v[216:217], v[216:217], v[214:215], v[212:213]
	v_fmac_f64_e32 v[214:215], v[212:213], v[216:217]
	v_div_scale_f64 v[212:213], s[10:11], v[214:215], v[214:215], 1.0
	v_rcp_f64_e32 v[218:219], v[212:213]
	s_nop 0
	v_fma_f64 v[220:221], -v[212:213], v[218:219], 1.0
	v_fmac_f64_e32 v[218:219], v[218:219], v[220:221]
	v_fma_f64 v[220:221], -v[212:213], v[218:219], 1.0
	v_fmac_f64_e32 v[218:219], v[218:219], v[220:221]
	v_div_scale_f64 v[220:221], vcc, 1.0, v[214:215], 1.0
	v_mul_f64 v[222:223], v[220:221], v[218:219]
	v_fma_f64 v[212:213], -v[212:213], v[222:223], v[220:221]
	s_nop 1
	v_div_fmas_f64 v[212:213], v[212:213], v[218:219], v[222:223]
	v_div_fixup_f64 v[218:219], v[212:213], v[214:215], 1.0
	v_mul_f64 v[216:217], v[216:217], v[218:219]
	v_xor_b32_e32 v219, 0x80000000, v219
                                        ; implicit-def: $vgpr212_vgpr213
.LBB93_365:
	s_andn2_saveexec_b64 s[2:3], s[2:3]
	s_cbranch_execz .LBB93_367
; %bb.366:
	v_div_scale_f64 v[216:217], s[10:11], v[212:213], v[212:213], v[214:215]
	v_rcp_f64_e32 v[218:219], v[216:217]
	v_div_scale_f64 v[220:221], vcc, v[214:215], v[212:213], v[214:215]
	v_fma_f64 v[222:223], -v[216:217], v[218:219], 1.0
	v_fmac_f64_e32 v[218:219], v[218:219], v[222:223]
	v_fma_f64 v[222:223], -v[216:217], v[218:219], 1.0
	v_fmac_f64_e32 v[218:219], v[218:219], v[222:223]
	v_mul_f64 v[222:223], v[220:221], v[218:219]
	v_fma_f64 v[216:217], -v[216:217], v[222:223], v[220:221]
	v_div_fmas_f64 v[216:217], v[216:217], v[218:219], v[222:223]
	v_div_fixup_f64 v[218:219], v[216:217], v[212:213], v[214:215]
	v_fmac_f64_e32 v[212:213], v[214:215], v[218:219]
	v_div_scale_f64 v[214:215], s[10:11], v[212:213], v[212:213], 1.0
	v_rcp_f64_e32 v[216:217], v[214:215]
	s_nop 0
	v_fma_f64 v[220:221], -v[214:215], v[216:217], 1.0
	v_fmac_f64_e32 v[216:217], v[216:217], v[220:221]
	v_fma_f64 v[220:221], -v[214:215], v[216:217], 1.0
	v_fmac_f64_e32 v[216:217], v[216:217], v[220:221]
	v_div_scale_f64 v[220:221], vcc, 1.0, v[212:213], 1.0
	v_mul_f64 v[222:223], v[220:221], v[216:217]
	v_fma_f64 v[214:215], -v[214:215], v[222:223], v[220:221]
	s_nop 1
	v_div_fmas_f64 v[214:215], v[214:215], v[216:217], v[222:223]
	v_div_fixup_f64 v[216:217], v[214:215], v[212:213], 1.0
	v_mul_f64 v[218:219], v[218:219], -v[216:217]
.LBB93_367:
	s_or_b64 exec, exec, s[2:3]
	ds_write2_b64 v255, v[216:217], v[218:219] offset1:1
.LBB93_368:
	s_or_b64 exec, exec, s[4:5]
	s_waitcnt lgkmcnt(0)
	s_barrier
	ds_read2_b64 v[208:211], v255 offset1:1
	v_cmp_lt_u32_e32 vcc, 40, v254
	s_and_saveexec_b64 s[2:3], vcc
	s_cbranch_execz .LBB93_370
; %bb.369:
	ds_read2_b64 v[216:219], v241 offset0:82 offset1:83
	s_waitcnt vmcnt(54) lgkmcnt(1)
	v_mul_f64 v[220:221], v[208:209], v[22:23]
	v_fmac_f64_e32 v[220:221], v[210:211], v[20:21]
	v_mul_f64 v[22:23], v[210:211], v[22:23]
	v_fma_f64 v[20:21], v[208:209], v[20:21], -v[22:23]
	s_waitcnt lgkmcnt(0)
	v_mul_f64 v[22:23], v[218:219], v[220:221]
	v_fma_f64 v[22:23], v[216:217], v[20:21], -v[22:23]
	v_mul_f64 v[216:217], v[216:217], v[220:221]
	v_fmac_f64_e32 v[216:217], v[218:219], v[20:21]
	s_waitcnt vmcnt(53)
	v_add_f64 v[18:19], v[18:19], -v[216:217]
	ds_read2_b64 v[216:219], v241 offset0:84 offset1:85
	v_add_f64 v[16:17], v[16:17], -v[22:23]
	s_waitcnt lgkmcnt(0)
	v_mul_f64 v[22:23], v[218:219], v[220:221]
	v_fma_f64 v[22:23], v[216:217], v[20:21], -v[22:23]
	v_mul_f64 v[216:217], v[216:217], v[220:221]
	v_fmac_f64_e32 v[216:217], v[218:219], v[20:21]
	s_waitcnt vmcnt(52)
	v_add_f64 v[14:15], v[14:15], -v[216:217]
	ds_read2_b64 v[216:219], v241 offset0:86 offset1:87
	v_add_f64 v[12:13], v[12:13], -v[22:23]
	;; [unrolled: 9-line block ×4, first 2 shown]
	s_waitcnt lgkmcnt(0)
	v_mul_f64 v[22:23], v[218:219], v[220:221]
	v_fma_f64 v[22:23], v[216:217], v[20:21], -v[22:23]
	v_mul_f64 v[216:217], v[216:217], v[220:221]
	v_fmac_f64_e32 v[216:217], v[218:219], v[20:21]
	v_add_f64 v[2:3], v[2:3], -v[216:217]
	ds_read2_b64 v[216:219], v241 offset0:92 offset1:93
	v_add_f64 v[0:1], v[0:1], -v[22:23]
	s_waitcnt lgkmcnt(0)
	v_mul_f64 v[22:23], v[218:219], v[220:221]
	v_fma_f64 v[22:23], v[216:217], v[20:21], -v[22:23]
	v_mul_f64 v[216:217], v[216:217], v[220:221]
	v_fmac_f64_e32 v[216:217], v[218:219], v[20:21]
	s_waitcnt vmcnt(48)
	v_add_f64 v[184:185], v[184:185], -v[22:23]
	v_add_f64 v[186:187], v[186:187], -v[216:217]
	v_mov_b64_e32 v[22:23], v[220:221]
.LBB93_370:
	s_or_b64 exec, exec, s[2:3]
	v_cmp_eq_u32_e32 vcc, 41, v254
	s_waitcnt lgkmcnt(0)
	s_barrier
	s_and_saveexec_b64 s[4:5], vcc
	s_cbranch_execz .LBB93_377
; %bb.371:
	s_waitcnt vmcnt(53)
	ds_write2_b64 v255, v[16:17], v[18:19] offset1:1
	s_waitcnt vmcnt(52)
	ds_write2_b64 v241, v[12:13], v[14:15] offset0:84 offset1:85
	s_waitcnt vmcnt(51)
	ds_write2_b64 v241, v[8:9], v[10:11] offset0:86 offset1:87
	;; [unrolled: 2-line block ×3, first 2 shown]
	ds_write2_b64 v241, v[0:1], v[2:3] offset0:90 offset1:91
	s_waitcnt vmcnt(48)
	ds_write2_b64 v241, v[184:185], v[186:187] offset0:92 offset1:93
	ds_read2_b64 v[216:219], v255 offset1:1
	s_waitcnt lgkmcnt(0)
	v_cmp_neq_f64_e32 vcc, 0, v[216:217]
	v_cmp_neq_f64_e64 s[2:3], 0, v[218:219]
	s_or_b64 s[2:3], vcc, s[2:3]
	s_and_b64 exec, exec, s[2:3]
	s_cbranch_execz .LBB93_377
; %bb.372:
	v_cmp_ngt_f64_e64 s[2:3], |v[216:217]|, |v[218:219]|
                                        ; implicit-def: $vgpr220_vgpr221
	s_and_saveexec_b64 s[10:11], s[2:3]
	s_xor_b64 s[2:3], exec, s[10:11]
                                        ; implicit-def: $vgpr222_vgpr223
	s_cbranch_execz .LBB93_374
; %bb.373:
	v_div_scale_f64 v[220:221], s[10:11], v[218:219], v[218:219], v[216:217]
	v_rcp_f64_e32 v[222:223], v[220:221]
	v_div_scale_f64 v[224:225], vcc, v[216:217], v[218:219], v[216:217]
	v_fma_f64 v[226:227], -v[220:221], v[222:223], 1.0
	v_fmac_f64_e32 v[222:223], v[222:223], v[226:227]
	v_fma_f64 v[226:227], -v[220:221], v[222:223], 1.0
	v_fmac_f64_e32 v[222:223], v[222:223], v[226:227]
	v_mul_f64 v[226:227], v[224:225], v[222:223]
	v_fma_f64 v[220:221], -v[220:221], v[226:227], v[224:225]
	v_div_fmas_f64 v[220:221], v[220:221], v[222:223], v[226:227]
	v_div_fixup_f64 v[220:221], v[220:221], v[218:219], v[216:217]
	v_fmac_f64_e32 v[218:219], v[216:217], v[220:221]
	v_div_scale_f64 v[216:217], s[10:11], v[218:219], v[218:219], 1.0
	v_rcp_f64_e32 v[222:223], v[216:217]
	s_nop 0
	v_fma_f64 v[224:225], -v[216:217], v[222:223], 1.0
	v_fmac_f64_e32 v[222:223], v[222:223], v[224:225]
	v_fma_f64 v[224:225], -v[216:217], v[222:223], 1.0
	v_fmac_f64_e32 v[222:223], v[222:223], v[224:225]
	v_div_scale_f64 v[224:225], vcc, 1.0, v[218:219], 1.0
	v_mul_f64 v[226:227], v[224:225], v[222:223]
	v_fma_f64 v[216:217], -v[216:217], v[226:227], v[224:225]
	s_nop 1
	v_div_fmas_f64 v[216:217], v[216:217], v[222:223], v[226:227]
	v_div_fixup_f64 v[222:223], v[216:217], v[218:219], 1.0
	v_mul_f64 v[220:221], v[220:221], v[222:223]
	v_xor_b32_e32 v223, 0x80000000, v223
                                        ; implicit-def: $vgpr216_vgpr217
.LBB93_374:
	s_andn2_saveexec_b64 s[2:3], s[2:3]
	s_cbranch_execz .LBB93_376
; %bb.375:
	v_div_scale_f64 v[220:221], s[10:11], v[216:217], v[216:217], v[218:219]
	v_rcp_f64_e32 v[222:223], v[220:221]
	v_div_scale_f64 v[224:225], vcc, v[218:219], v[216:217], v[218:219]
	v_fma_f64 v[226:227], -v[220:221], v[222:223], 1.0
	v_fmac_f64_e32 v[222:223], v[222:223], v[226:227]
	v_fma_f64 v[226:227], -v[220:221], v[222:223], 1.0
	v_fmac_f64_e32 v[222:223], v[222:223], v[226:227]
	v_mul_f64 v[226:227], v[224:225], v[222:223]
	v_fma_f64 v[220:221], -v[220:221], v[226:227], v[224:225]
	v_div_fmas_f64 v[220:221], v[220:221], v[222:223], v[226:227]
	v_div_fixup_f64 v[222:223], v[220:221], v[216:217], v[218:219]
	v_fmac_f64_e32 v[216:217], v[218:219], v[222:223]
	v_div_scale_f64 v[218:219], s[10:11], v[216:217], v[216:217], 1.0
	v_rcp_f64_e32 v[220:221], v[218:219]
	s_nop 0
	v_fma_f64 v[224:225], -v[218:219], v[220:221], 1.0
	v_fmac_f64_e32 v[220:221], v[220:221], v[224:225]
	v_fma_f64 v[224:225], -v[218:219], v[220:221], 1.0
	v_fmac_f64_e32 v[220:221], v[220:221], v[224:225]
	v_div_scale_f64 v[224:225], vcc, 1.0, v[216:217], 1.0
	v_mul_f64 v[226:227], v[224:225], v[220:221]
	v_fma_f64 v[218:219], -v[218:219], v[226:227], v[224:225]
	s_nop 1
	v_div_fmas_f64 v[218:219], v[218:219], v[220:221], v[226:227]
	v_div_fixup_f64 v[220:221], v[218:219], v[216:217], 1.0
	v_mul_f64 v[222:223], v[222:223], -v[220:221]
.LBB93_376:
	s_or_b64 exec, exec, s[2:3]
	ds_write2_b64 v255, v[220:221], v[222:223] offset1:1
.LBB93_377:
	s_or_b64 exec, exec, s[4:5]
	s_waitcnt lgkmcnt(0)
	s_barrier
	ds_read2_b64 v[216:219], v255 offset1:1
	v_cmp_lt_u32_e32 vcc, 41, v254
	s_and_saveexec_b64 s[2:3], vcc
	s_cbranch_execz .LBB93_379
; %bb.378:
	ds_read2_b64 v[220:223], v241 offset0:84 offset1:85
	s_waitcnt vmcnt(53) lgkmcnt(1)
	v_mul_f64 v[224:225], v[216:217], v[18:19]
	v_fmac_f64_e32 v[224:225], v[218:219], v[16:17]
	v_mul_f64 v[18:19], v[218:219], v[18:19]
	v_fma_f64 v[16:17], v[216:217], v[16:17], -v[18:19]
	s_waitcnt lgkmcnt(0)
	v_mul_f64 v[18:19], v[222:223], v[224:225]
	v_fma_f64 v[18:19], v[220:221], v[16:17], -v[18:19]
	v_mul_f64 v[220:221], v[220:221], v[224:225]
	v_fmac_f64_e32 v[220:221], v[222:223], v[16:17]
	s_waitcnt vmcnt(52)
	v_add_f64 v[14:15], v[14:15], -v[220:221]
	ds_read2_b64 v[220:223], v241 offset0:86 offset1:87
	v_add_f64 v[12:13], v[12:13], -v[18:19]
	s_waitcnt lgkmcnt(0)
	v_mul_f64 v[18:19], v[222:223], v[224:225]
	v_fma_f64 v[18:19], v[220:221], v[16:17], -v[18:19]
	v_mul_f64 v[220:221], v[220:221], v[224:225]
	v_fmac_f64_e32 v[220:221], v[222:223], v[16:17]
	s_waitcnt vmcnt(51)
	v_add_f64 v[10:11], v[10:11], -v[220:221]
	ds_read2_b64 v[220:223], v241 offset0:88 offset1:89
	v_add_f64 v[8:9], v[8:9], -v[18:19]
	;; [unrolled: 9-line block ×3, first 2 shown]
	s_waitcnt lgkmcnt(0)
	v_mul_f64 v[18:19], v[222:223], v[224:225]
	v_fma_f64 v[18:19], v[220:221], v[16:17], -v[18:19]
	v_mul_f64 v[220:221], v[220:221], v[224:225]
	v_fmac_f64_e32 v[220:221], v[222:223], v[16:17]
	v_add_f64 v[2:3], v[2:3], -v[220:221]
	ds_read2_b64 v[220:223], v241 offset0:92 offset1:93
	v_add_f64 v[0:1], v[0:1], -v[18:19]
	s_waitcnt lgkmcnt(0)
	v_mul_f64 v[18:19], v[222:223], v[224:225]
	v_fma_f64 v[18:19], v[220:221], v[16:17], -v[18:19]
	v_mul_f64 v[220:221], v[220:221], v[224:225]
	v_fmac_f64_e32 v[220:221], v[222:223], v[16:17]
	s_waitcnt vmcnt(48)
	v_add_f64 v[184:185], v[184:185], -v[18:19]
	v_add_f64 v[186:187], v[186:187], -v[220:221]
	v_mov_b64_e32 v[18:19], v[224:225]
.LBB93_379:
	s_or_b64 exec, exec, s[2:3]
	v_cmp_eq_u32_e32 vcc, 42, v254
	s_waitcnt lgkmcnt(0)
	s_barrier
	s_and_saveexec_b64 s[4:5], vcc
	s_cbranch_execz .LBB93_386
; %bb.380:
	s_waitcnt vmcnt(52)
	ds_write2_b64 v255, v[12:13], v[14:15] offset1:1
	s_waitcnt vmcnt(51)
	ds_write2_b64 v241, v[8:9], v[10:11] offset0:86 offset1:87
	s_waitcnt vmcnt(50)
	ds_write2_b64 v241, v[4:5], v[6:7] offset0:88 offset1:89
	ds_write2_b64 v241, v[0:1], v[2:3] offset0:90 offset1:91
	s_waitcnt vmcnt(48)
	ds_write2_b64 v241, v[184:185], v[186:187] offset0:92 offset1:93
	ds_read2_b64 v[220:223], v255 offset1:1
	s_waitcnt lgkmcnt(0)
	v_cmp_neq_f64_e32 vcc, 0, v[220:221]
	v_cmp_neq_f64_e64 s[2:3], 0, v[222:223]
	s_or_b64 s[2:3], vcc, s[2:3]
	s_and_b64 exec, exec, s[2:3]
	s_cbranch_execz .LBB93_386
; %bb.381:
	v_cmp_ngt_f64_e64 s[2:3], |v[220:221]|, |v[222:223]|
                                        ; implicit-def: $vgpr224_vgpr225
	s_and_saveexec_b64 s[10:11], s[2:3]
	s_xor_b64 s[2:3], exec, s[10:11]
                                        ; implicit-def: $vgpr226_vgpr227
	s_cbranch_execz .LBB93_383
; %bb.382:
	v_div_scale_f64 v[224:225], s[10:11], v[222:223], v[222:223], v[220:221]
	v_rcp_f64_e32 v[226:227], v[224:225]
	v_div_scale_f64 v[228:229], vcc, v[220:221], v[222:223], v[220:221]
	v_fma_f64 v[230:231], -v[224:225], v[226:227], 1.0
	v_fmac_f64_e32 v[226:227], v[226:227], v[230:231]
	v_fma_f64 v[230:231], -v[224:225], v[226:227], 1.0
	v_fmac_f64_e32 v[226:227], v[226:227], v[230:231]
	v_mul_f64 v[230:231], v[228:229], v[226:227]
	v_fma_f64 v[224:225], -v[224:225], v[230:231], v[228:229]
	v_div_fmas_f64 v[224:225], v[224:225], v[226:227], v[230:231]
	v_div_fixup_f64 v[224:225], v[224:225], v[222:223], v[220:221]
	v_fmac_f64_e32 v[222:223], v[220:221], v[224:225]
	v_div_scale_f64 v[220:221], s[10:11], v[222:223], v[222:223], 1.0
	v_rcp_f64_e32 v[226:227], v[220:221]
	s_nop 0
	v_fma_f64 v[228:229], -v[220:221], v[226:227], 1.0
	v_fmac_f64_e32 v[226:227], v[226:227], v[228:229]
	v_fma_f64 v[228:229], -v[220:221], v[226:227], 1.0
	v_fmac_f64_e32 v[226:227], v[226:227], v[228:229]
	v_div_scale_f64 v[228:229], vcc, 1.0, v[222:223], 1.0
	v_mul_f64 v[230:231], v[228:229], v[226:227]
	v_fma_f64 v[220:221], -v[220:221], v[230:231], v[228:229]
	s_nop 1
	v_div_fmas_f64 v[220:221], v[220:221], v[226:227], v[230:231]
	v_div_fixup_f64 v[226:227], v[220:221], v[222:223], 1.0
	v_mul_f64 v[224:225], v[224:225], v[226:227]
	v_xor_b32_e32 v227, 0x80000000, v227
                                        ; implicit-def: $vgpr220_vgpr221
.LBB93_383:
	s_andn2_saveexec_b64 s[2:3], s[2:3]
	s_cbranch_execz .LBB93_385
; %bb.384:
	v_div_scale_f64 v[224:225], s[10:11], v[220:221], v[220:221], v[222:223]
	v_rcp_f64_e32 v[226:227], v[224:225]
	v_div_scale_f64 v[228:229], vcc, v[222:223], v[220:221], v[222:223]
	v_fma_f64 v[230:231], -v[224:225], v[226:227], 1.0
	v_fmac_f64_e32 v[226:227], v[226:227], v[230:231]
	v_fma_f64 v[230:231], -v[224:225], v[226:227], 1.0
	v_fmac_f64_e32 v[226:227], v[226:227], v[230:231]
	v_mul_f64 v[230:231], v[228:229], v[226:227]
	v_fma_f64 v[224:225], -v[224:225], v[230:231], v[228:229]
	v_div_fmas_f64 v[224:225], v[224:225], v[226:227], v[230:231]
	v_div_fixup_f64 v[226:227], v[224:225], v[220:221], v[222:223]
	v_fmac_f64_e32 v[220:221], v[222:223], v[226:227]
	v_div_scale_f64 v[222:223], s[10:11], v[220:221], v[220:221], 1.0
	v_rcp_f64_e32 v[224:225], v[222:223]
	s_nop 0
	v_fma_f64 v[228:229], -v[222:223], v[224:225], 1.0
	v_fmac_f64_e32 v[224:225], v[224:225], v[228:229]
	v_fma_f64 v[228:229], -v[222:223], v[224:225], 1.0
	v_fmac_f64_e32 v[224:225], v[224:225], v[228:229]
	v_div_scale_f64 v[228:229], vcc, 1.0, v[220:221], 1.0
	v_mul_f64 v[230:231], v[228:229], v[224:225]
	v_fma_f64 v[222:223], -v[222:223], v[230:231], v[228:229]
	s_nop 1
	v_div_fmas_f64 v[222:223], v[222:223], v[224:225], v[230:231]
	v_div_fixup_f64 v[224:225], v[222:223], v[220:221], 1.0
	v_mul_f64 v[226:227], v[226:227], -v[224:225]
.LBB93_385:
	s_or_b64 exec, exec, s[2:3]
	ds_write2_b64 v255, v[224:225], v[226:227] offset1:1
.LBB93_386:
	s_or_b64 exec, exec, s[4:5]
	s_waitcnt lgkmcnt(0)
	s_barrier
	ds_read2_b64 v[220:223], v255 offset1:1
	v_cmp_lt_u32_e32 vcc, 42, v254
	s_and_saveexec_b64 s[2:3], vcc
	s_cbranch_execz .LBB93_388
; %bb.387:
	ds_read2_b64 v[224:227], v241 offset0:86 offset1:87
	s_waitcnt vmcnt(52) lgkmcnt(1)
	v_mul_f64 v[228:229], v[220:221], v[14:15]
	v_fmac_f64_e32 v[228:229], v[222:223], v[12:13]
	v_mul_f64 v[14:15], v[222:223], v[14:15]
	v_fma_f64 v[12:13], v[220:221], v[12:13], -v[14:15]
	s_waitcnt lgkmcnt(0)
	v_mul_f64 v[14:15], v[226:227], v[228:229]
	v_fma_f64 v[14:15], v[224:225], v[12:13], -v[14:15]
	v_mul_f64 v[224:225], v[224:225], v[228:229]
	v_fmac_f64_e32 v[224:225], v[226:227], v[12:13]
	s_waitcnt vmcnt(51)
	v_add_f64 v[10:11], v[10:11], -v[224:225]
	ds_read2_b64 v[224:227], v241 offset0:88 offset1:89
	v_add_f64 v[8:9], v[8:9], -v[14:15]
	s_waitcnt lgkmcnt(0)
	v_mul_f64 v[14:15], v[226:227], v[228:229]
	v_fma_f64 v[14:15], v[224:225], v[12:13], -v[14:15]
	v_mul_f64 v[224:225], v[224:225], v[228:229]
	v_fmac_f64_e32 v[224:225], v[226:227], v[12:13]
	s_waitcnt vmcnt(50)
	v_add_f64 v[6:7], v[6:7], -v[224:225]
	ds_read2_b64 v[224:227], v241 offset0:90 offset1:91
	v_add_f64 v[4:5], v[4:5], -v[14:15]
	s_waitcnt lgkmcnt(0)
	v_mul_f64 v[14:15], v[226:227], v[228:229]
	v_fma_f64 v[14:15], v[224:225], v[12:13], -v[14:15]
	v_mul_f64 v[224:225], v[224:225], v[228:229]
	v_fmac_f64_e32 v[224:225], v[226:227], v[12:13]
	v_add_f64 v[2:3], v[2:3], -v[224:225]
	ds_read2_b64 v[224:227], v241 offset0:92 offset1:93
	v_add_f64 v[0:1], v[0:1], -v[14:15]
	s_waitcnt lgkmcnt(0)
	v_mul_f64 v[14:15], v[226:227], v[228:229]
	v_fma_f64 v[14:15], v[224:225], v[12:13], -v[14:15]
	v_mul_f64 v[224:225], v[224:225], v[228:229]
	v_fmac_f64_e32 v[224:225], v[226:227], v[12:13]
	s_waitcnt vmcnt(48)
	v_add_f64 v[184:185], v[184:185], -v[14:15]
	v_add_f64 v[186:187], v[186:187], -v[224:225]
	v_mov_b64_e32 v[14:15], v[228:229]
.LBB93_388:
	s_or_b64 exec, exec, s[2:3]
	v_cmp_eq_u32_e32 vcc, 43, v254
	s_waitcnt lgkmcnt(0)
	s_barrier
	s_and_saveexec_b64 s[4:5], vcc
	s_cbranch_execz .LBB93_395
; %bb.389:
	s_waitcnt vmcnt(51)
	ds_write2_b64 v255, v[8:9], v[10:11] offset1:1
	s_waitcnt vmcnt(50)
	ds_write2_b64 v241, v[4:5], v[6:7] offset0:88 offset1:89
	ds_write2_b64 v241, v[0:1], v[2:3] offset0:90 offset1:91
	s_waitcnt vmcnt(48)
	ds_write2_b64 v241, v[184:185], v[186:187] offset0:92 offset1:93
	ds_read2_b64 v[224:227], v255 offset1:1
	s_waitcnt lgkmcnt(0)
	v_cmp_neq_f64_e32 vcc, 0, v[224:225]
	v_cmp_neq_f64_e64 s[2:3], 0, v[226:227]
	s_or_b64 s[2:3], vcc, s[2:3]
	s_and_b64 exec, exec, s[2:3]
	s_cbranch_execz .LBB93_395
; %bb.390:
	v_cmp_ngt_f64_e64 s[2:3], |v[224:225]|, |v[226:227]|
                                        ; implicit-def: $vgpr228_vgpr229
	s_and_saveexec_b64 s[10:11], s[2:3]
	s_xor_b64 s[2:3], exec, s[10:11]
                                        ; implicit-def: $vgpr230_vgpr231
	s_cbranch_execz .LBB93_392
; %bb.391:
	v_div_scale_f64 v[228:229], s[10:11], v[226:227], v[226:227], v[224:225]
	v_rcp_f64_e32 v[230:231], v[228:229]
	v_div_scale_f64 v[232:233], vcc, v[224:225], v[226:227], v[224:225]
	v_fma_f64 v[234:235], -v[228:229], v[230:231], 1.0
	v_fmac_f64_e32 v[230:231], v[230:231], v[234:235]
	v_fma_f64 v[234:235], -v[228:229], v[230:231], 1.0
	v_fmac_f64_e32 v[230:231], v[230:231], v[234:235]
	v_mul_f64 v[234:235], v[232:233], v[230:231]
	v_fma_f64 v[228:229], -v[228:229], v[234:235], v[232:233]
	v_div_fmas_f64 v[228:229], v[228:229], v[230:231], v[234:235]
	v_div_fixup_f64 v[228:229], v[228:229], v[226:227], v[224:225]
	v_fmac_f64_e32 v[226:227], v[224:225], v[228:229]
	v_div_scale_f64 v[224:225], s[10:11], v[226:227], v[226:227], 1.0
	v_rcp_f64_e32 v[230:231], v[224:225]
	s_nop 0
	v_fma_f64 v[232:233], -v[224:225], v[230:231], 1.0
	v_fmac_f64_e32 v[230:231], v[230:231], v[232:233]
	v_fma_f64 v[232:233], -v[224:225], v[230:231], 1.0
	v_fmac_f64_e32 v[230:231], v[230:231], v[232:233]
	v_div_scale_f64 v[232:233], vcc, 1.0, v[226:227], 1.0
	v_mul_f64 v[234:235], v[232:233], v[230:231]
	v_fma_f64 v[224:225], -v[224:225], v[234:235], v[232:233]
	s_nop 1
	v_div_fmas_f64 v[224:225], v[224:225], v[230:231], v[234:235]
	v_div_fixup_f64 v[230:231], v[224:225], v[226:227], 1.0
	v_mul_f64 v[228:229], v[228:229], v[230:231]
	v_xor_b32_e32 v231, 0x80000000, v231
                                        ; implicit-def: $vgpr224_vgpr225
.LBB93_392:
	s_andn2_saveexec_b64 s[2:3], s[2:3]
	s_cbranch_execz .LBB93_394
; %bb.393:
	v_div_scale_f64 v[228:229], s[10:11], v[224:225], v[224:225], v[226:227]
	v_rcp_f64_e32 v[230:231], v[228:229]
	v_div_scale_f64 v[232:233], vcc, v[226:227], v[224:225], v[226:227]
	v_fma_f64 v[234:235], -v[228:229], v[230:231], 1.0
	v_fmac_f64_e32 v[230:231], v[230:231], v[234:235]
	v_fma_f64 v[234:235], -v[228:229], v[230:231], 1.0
	v_fmac_f64_e32 v[230:231], v[230:231], v[234:235]
	v_mul_f64 v[234:235], v[232:233], v[230:231]
	v_fma_f64 v[228:229], -v[228:229], v[234:235], v[232:233]
	v_div_fmas_f64 v[228:229], v[228:229], v[230:231], v[234:235]
	v_div_fixup_f64 v[230:231], v[228:229], v[224:225], v[226:227]
	v_fmac_f64_e32 v[224:225], v[226:227], v[230:231]
	v_div_scale_f64 v[226:227], s[10:11], v[224:225], v[224:225], 1.0
	v_rcp_f64_e32 v[228:229], v[226:227]
	s_nop 0
	v_fma_f64 v[232:233], -v[226:227], v[228:229], 1.0
	v_fmac_f64_e32 v[228:229], v[228:229], v[232:233]
	v_fma_f64 v[232:233], -v[226:227], v[228:229], 1.0
	v_fmac_f64_e32 v[228:229], v[228:229], v[232:233]
	v_div_scale_f64 v[232:233], vcc, 1.0, v[224:225], 1.0
	v_mul_f64 v[234:235], v[232:233], v[228:229]
	v_fma_f64 v[226:227], -v[226:227], v[234:235], v[232:233]
	s_nop 1
	v_div_fmas_f64 v[226:227], v[226:227], v[228:229], v[234:235]
	v_div_fixup_f64 v[228:229], v[226:227], v[224:225], 1.0
	v_mul_f64 v[230:231], v[230:231], -v[228:229]
.LBB93_394:
	s_or_b64 exec, exec, s[2:3]
	ds_write2_b64 v255, v[228:229], v[230:231] offset1:1
.LBB93_395:
	s_or_b64 exec, exec, s[4:5]
	s_waitcnt lgkmcnt(0)
	s_barrier
	ds_read2_b64 v[224:227], v255 offset1:1
	v_cmp_lt_u32_e32 vcc, 43, v254
	s_and_saveexec_b64 s[2:3], vcc
	s_cbranch_execz .LBB93_397
; %bb.396:
	ds_read2_b64 v[228:231], v241 offset0:88 offset1:89
	s_waitcnt vmcnt(51) lgkmcnt(1)
	v_mul_f64 v[232:233], v[224:225], v[10:11]
	v_fmac_f64_e32 v[232:233], v[226:227], v[8:9]
	v_mul_f64 v[10:11], v[226:227], v[10:11]
	v_fma_f64 v[8:9], v[224:225], v[8:9], -v[10:11]
	s_waitcnt lgkmcnt(0)
	v_mul_f64 v[10:11], v[230:231], v[232:233]
	v_fma_f64 v[10:11], v[228:229], v[8:9], -v[10:11]
	v_mul_f64 v[228:229], v[228:229], v[232:233]
	v_fmac_f64_e32 v[228:229], v[230:231], v[8:9]
	s_waitcnt vmcnt(50)
	v_add_f64 v[6:7], v[6:7], -v[228:229]
	ds_read2_b64 v[228:231], v241 offset0:90 offset1:91
	v_add_f64 v[4:5], v[4:5], -v[10:11]
	s_waitcnt lgkmcnt(0)
	v_mul_f64 v[10:11], v[230:231], v[232:233]
	v_fma_f64 v[10:11], v[228:229], v[8:9], -v[10:11]
	v_mul_f64 v[228:229], v[228:229], v[232:233]
	v_fmac_f64_e32 v[228:229], v[230:231], v[8:9]
	v_add_f64 v[2:3], v[2:3], -v[228:229]
	ds_read2_b64 v[228:231], v241 offset0:92 offset1:93
	v_add_f64 v[0:1], v[0:1], -v[10:11]
	s_waitcnt lgkmcnt(0)
	v_mul_f64 v[10:11], v[230:231], v[232:233]
	v_fma_f64 v[10:11], v[228:229], v[8:9], -v[10:11]
	v_mul_f64 v[228:229], v[228:229], v[232:233]
	v_fmac_f64_e32 v[228:229], v[230:231], v[8:9]
	s_waitcnt vmcnt(48)
	v_add_f64 v[184:185], v[184:185], -v[10:11]
	v_add_f64 v[186:187], v[186:187], -v[228:229]
	v_mov_b64_e32 v[10:11], v[232:233]
.LBB93_397:
	s_or_b64 exec, exec, s[2:3]
	v_cmp_eq_u32_e32 vcc, 44, v254
	s_waitcnt lgkmcnt(0)
	s_barrier
	s_and_saveexec_b64 s[4:5], vcc
	s_cbranch_execz .LBB93_404
; %bb.398:
	s_waitcnt vmcnt(50)
	ds_write2_b64 v255, v[4:5], v[6:7] offset1:1
	ds_write2_b64 v241, v[0:1], v[2:3] offset0:90 offset1:91
	s_waitcnt vmcnt(48)
	ds_write2_b64 v241, v[184:185], v[186:187] offset0:92 offset1:93
	ds_read2_b64 v[228:231], v255 offset1:1
	s_waitcnt lgkmcnt(0)
	v_cmp_neq_f64_e32 vcc, 0, v[228:229]
	v_cmp_neq_f64_e64 s[2:3], 0, v[230:231]
	s_or_b64 s[2:3], vcc, s[2:3]
	s_and_b64 exec, exec, s[2:3]
	s_cbranch_execz .LBB93_404
; %bb.399:
	v_cmp_ngt_f64_e64 s[2:3], |v[228:229]|, |v[230:231]|
                                        ; implicit-def: $vgpr232_vgpr233
	s_and_saveexec_b64 s[10:11], s[2:3]
	s_xor_b64 s[2:3], exec, s[10:11]
                                        ; implicit-def: $vgpr234_vgpr235
	s_cbranch_execz .LBB93_401
; %bb.400:
	v_div_scale_f64 v[232:233], s[10:11], v[230:231], v[230:231], v[228:229]
	v_rcp_f64_e32 v[234:235], v[232:233]
	v_div_scale_f64 v[236:237], vcc, v[228:229], v[230:231], v[228:229]
	v_fma_f64 v[238:239], -v[232:233], v[234:235], 1.0
	v_fmac_f64_e32 v[234:235], v[234:235], v[238:239]
	v_fma_f64 v[238:239], -v[232:233], v[234:235], 1.0
	v_fmac_f64_e32 v[234:235], v[234:235], v[238:239]
	v_mul_f64 v[238:239], v[236:237], v[234:235]
	v_fma_f64 v[232:233], -v[232:233], v[238:239], v[236:237]
	v_div_fmas_f64 v[232:233], v[232:233], v[234:235], v[238:239]
	v_div_fixup_f64 v[232:233], v[232:233], v[230:231], v[228:229]
	v_fmac_f64_e32 v[230:231], v[228:229], v[232:233]
	v_div_scale_f64 v[228:229], s[10:11], v[230:231], v[230:231], 1.0
	v_rcp_f64_e32 v[234:235], v[228:229]
	s_nop 0
	v_fma_f64 v[236:237], -v[228:229], v[234:235], 1.0
	v_fmac_f64_e32 v[234:235], v[234:235], v[236:237]
	v_fma_f64 v[236:237], -v[228:229], v[234:235], 1.0
	v_fmac_f64_e32 v[234:235], v[234:235], v[236:237]
	v_div_scale_f64 v[236:237], vcc, 1.0, v[230:231], 1.0
	v_mul_f64 v[238:239], v[236:237], v[234:235]
	v_fma_f64 v[228:229], -v[228:229], v[238:239], v[236:237]
	s_nop 1
	v_div_fmas_f64 v[228:229], v[228:229], v[234:235], v[238:239]
	v_div_fixup_f64 v[234:235], v[228:229], v[230:231], 1.0
	v_mul_f64 v[232:233], v[232:233], v[234:235]
	v_xor_b32_e32 v235, 0x80000000, v235
                                        ; implicit-def: $vgpr228_vgpr229
.LBB93_401:
	s_andn2_saveexec_b64 s[2:3], s[2:3]
	s_cbranch_execz .LBB93_403
; %bb.402:
	v_div_scale_f64 v[232:233], s[10:11], v[228:229], v[228:229], v[230:231]
	v_rcp_f64_e32 v[234:235], v[232:233]
	v_div_scale_f64 v[236:237], vcc, v[230:231], v[228:229], v[230:231]
	v_fma_f64 v[238:239], -v[232:233], v[234:235], 1.0
	v_fmac_f64_e32 v[234:235], v[234:235], v[238:239]
	v_fma_f64 v[238:239], -v[232:233], v[234:235], 1.0
	v_fmac_f64_e32 v[234:235], v[234:235], v[238:239]
	v_mul_f64 v[238:239], v[236:237], v[234:235]
	v_fma_f64 v[232:233], -v[232:233], v[238:239], v[236:237]
	v_div_fmas_f64 v[232:233], v[232:233], v[234:235], v[238:239]
	v_div_fixup_f64 v[234:235], v[232:233], v[228:229], v[230:231]
	v_fmac_f64_e32 v[228:229], v[230:231], v[234:235]
	v_div_scale_f64 v[230:231], s[10:11], v[228:229], v[228:229], 1.0
	v_rcp_f64_e32 v[232:233], v[230:231]
	s_nop 0
	v_fma_f64 v[236:237], -v[230:231], v[232:233], 1.0
	v_fmac_f64_e32 v[232:233], v[232:233], v[236:237]
	v_fma_f64 v[236:237], -v[230:231], v[232:233], 1.0
	v_fmac_f64_e32 v[232:233], v[232:233], v[236:237]
	v_div_scale_f64 v[236:237], vcc, 1.0, v[228:229], 1.0
	v_mul_f64 v[238:239], v[236:237], v[232:233]
	v_fma_f64 v[230:231], -v[230:231], v[238:239], v[236:237]
	s_nop 1
	v_div_fmas_f64 v[230:231], v[230:231], v[232:233], v[238:239]
	v_div_fixup_f64 v[232:233], v[230:231], v[228:229], 1.0
	v_mul_f64 v[234:235], v[234:235], -v[232:233]
.LBB93_403:
	s_or_b64 exec, exec, s[2:3]
	ds_write2_b64 v255, v[232:233], v[234:235] offset1:1
.LBB93_404:
	s_or_b64 exec, exec, s[4:5]
	s_waitcnt lgkmcnt(0)
	s_barrier
	ds_read2_b64 v[228:231], v255 offset1:1
	v_cmp_lt_u32_e32 vcc, 44, v254
	s_and_saveexec_b64 s[2:3], vcc
	s_cbranch_execz .LBB93_406
; %bb.405:
	ds_read2_b64 v[232:235], v241 offset0:90 offset1:91
	s_waitcnt vmcnt(50) lgkmcnt(1)
	v_mul_f64 v[236:237], v[228:229], v[6:7]
	v_fmac_f64_e32 v[236:237], v[230:231], v[4:5]
	v_mul_f64 v[6:7], v[230:231], v[6:7]
	v_fma_f64 v[4:5], v[228:229], v[4:5], -v[6:7]
	s_waitcnt lgkmcnt(0)
	v_mul_f64 v[6:7], v[234:235], v[236:237]
	v_fma_f64 v[6:7], v[232:233], v[4:5], -v[6:7]
	v_mul_f64 v[232:233], v[232:233], v[236:237]
	v_fmac_f64_e32 v[232:233], v[234:235], v[4:5]
	v_add_f64 v[2:3], v[2:3], -v[232:233]
	ds_read2_b64 v[232:235], v241 offset0:92 offset1:93
	v_add_f64 v[0:1], v[0:1], -v[6:7]
	s_waitcnt lgkmcnt(0)
	v_mul_f64 v[6:7], v[234:235], v[236:237]
	v_fma_f64 v[6:7], v[232:233], v[4:5], -v[6:7]
	v_mul_f64 v[232:233], v[232:233], v[236:237]
	v_fmac_f64_e32 v[232:233], v[234:235], v[4:5]
	s_waitcnt vmcnt(48)
	v_add_f64 v[184:185], v[184:185], -v[6:7]
	v_add_f64 v[186:187], v[186:187], -v[232:233]
	v_mov_b64_e32 v[6:7], v[236:237]
.LBB93_406:
	s_or_b64 exec, exec, s[2:3]
	v_cmp_eq_u32_e32 vcc, 45, v254
	s_waitcnt lgkmcnt(0)
	s_barrier
	s_and_saveexec_b64 s[4:5], vcc
	s_cbranch_execz .LBB93_413
; %bb.407:
	ds_write2_b64 v255, v[0:1], v[2:3] offset1:1
	s_waitcnt vmcnt(48)
	ds_write2_b64 v241, v[184:185], v[186:187] offset0:92 offset1:93
	ds_read2_b64 v[232:235], v255 offset1:1
	s_waitcnt lgkmcnt(0)
	v_cmp_neq_f64_e32 vcc, 0, v[232:233]
	v_cmp_neq_f64_e64 s[2:3], 0, v[234:235]
	s_or_b64 s[2:3], vcc, s[2:3]
	s_and_b64 exec, exec, s[2:3]
	s_cbranch_execz .LBB93_413
; %bb.408:
	v_cmp_ngt_f64_e64 s[2:3], |v[232:233]|, |v[234:235]|
                                        ; implicit-def: $vgpr236_vgpr237
	s_and_saveexec_b64 s[10:11], s[2:3]
	s_xor_b64 s[2:3], exec, s[10:11]
                                        ; implicit-def: $vgpr238_vgpr239
	s_cbranch_execz .LBB93_410
; %bb.409:
	v_div_scale_f64 v[236:237], s[10:11], v[234:235], v[234:235], v[232:233]
	v_rcp_f64_e32 v[238:239], v[236:237]
	v_mov_b64_e32 v[188:189], v[246:247]
	v_div_scale_f64 v[244:245], vcc, v[232:233], v[234:235], v[232:233]
	v_fma_f64 v[246:247], -v[236:237], v[238:239], 1.0
	v_fmac_f64_e32 v[238:239], v[238:239], v[246:247]
	v_fma_f64 v[246:247], -v[236:237], v[238:239], 1.0
	v_fmac_f64_e32 v[238:239], v[238:239], v[246:247]
	v_mul_f64 v[246:247], v[244:245], v[238:239]
	v_fma_f64 v[236:237], -v[236:237], v[246:247], v[244:245]
	v_div_fmas_f64 v[236:237], v[236:237], v[238:239], v[246:247]
	v_div_fixup_f64 v[236:237], v[236:237], v[234:235], v[232:233]
	v_fmac_f64_e32 v[234:235], v[232:233], v[236:237]
	v_div_scale_f64 v[232:233], s[10:11], v[234:235], v[234:235], 1.0
	v_rcp_f64_e32 v[238:239], v[232:233]
	s_nop 0
	v_fma_f64 v[244:245], -v[232:233], v[238:239], 1.0
	v_fmac_f64_e32 v[238:239], v[238:239], v[244:245]
	v_fma_f64 v[244:245], -v[232:233], v[238:239], 1.0
	v_fmac_f64_e32 v[238:239], v[238:239], v[244:245]
	v_div_scale_f64 v[244:245], vcc, 1.0, v[234:235], 1.0
	v_mul_f64 v[246:247], v[244:245], v[238:239]
	v_fma_f64 v[232:233], -v[232:233], v[246:247], v[244:245]
	s_nop 1
	v_div_fmas_f64 v[232:233], v[232:233], v[238:239], v[246:247]
	v_div_fixup_f64 v[238:239], v[232:233], v[234:235], 1.0
	v_mov_b64_e32 v[246:247], v[188:189]
	v_mul_f64 v[236:237], v[236:237], v[238:239]
	v_xor_b32_e32 v239, 0x80000000, v239
                                        ; implicit-def: $vgpr232_vgpr233
.LBB93_410:
	s_andn2_saveexec_b64 s[2:3], s[2:3]
	s_cbranch_execz .LBB93_412
; %bb.411:
	v_div_scale_f64 v[236:237], s[10:11], v[232:233], v[232:233], v[234:235]
	v_rcp_f64_e32 v[238:239], v[236:237]
	v_mov_b64_e32 v[188:189], v[246:247]
	v_div_scale_f64 v[244:245], vcc, v[234:235], v[232:233], v[234:235]
	v_fma_f64 v[246:247], -v[236:237], v[238:239], 1.0
	v_fmac_f64_e32 v[238:239], v[238:239], v[246:247]
	v_fma_f64 v[246:247], -v[236:237], v[238:239], 1.0
	v_fmac_f64_e32 v[238:239], v[238:239], v[246:247]
	v_mul_f64 v[246:247], v[244:245], v[238:239]
	v_fma_f64 v[236:237], -v[236:237], v[246:247], v[244:245]
	v_div_fmas_f64 v[236:237], v[236:237], v[238:239], v[246:247]
	v_div_fixup_f64 v[238:239], v[236:237], v[232:233], v[234:235]
	v_fmac_f64_e32 v[232:233], v[234:235], v[238:239]
	v_div_scale_f64 v[234:235], s[10:11], v[232:233], v[232:233], 1.0
	v_rcp_f64_e32 v[236:237], v[234:235]
	s_nop 0
	v_fma_f64 v[244:245], -v[234:235], v[236:237], 1.0
	v_fmac_f64_e32 v[236:237], v[236:237], v[244:245]
	v_fma_f64 v[244:245], -v[234:235], v[236:237], 1.0
	v_fmac_f64_e32 v[236:237], v[236:237], v[244:245]
	v_div_scale_f64 v[244:245], vcc, 1.0, v[232:233], 1.0
	v_mul_f64 v[246:247], v[244:245], v[236:237]
	v_fma_f64 v[234:235], -v[234:235], v[246:247], v[244:245]
	s_nop 1
	v_div_fmas_f64 v[234:235], v[234:235], v[236:237], v[246:247]
	v_div_fixup_f64 v[236:237], v[234:235], v[232:233], 1.0
	v_mov_b64_e32 v[246:247], v[188:189]
	v_mul_f64 v[238:239], v[238:239], -v[236:237]
.LBB93_412:
	s_or_b64 exec, exec, s[2:3]
	ds_write2_b64 v255, v[236:237], v[238:239] offset1:1
.LBB93_413:
	s_or_b64 exec, exec, s[4:5]
	s_waitcnt lgkmcnt(0)
	s_barrier
	ds_read2_b64 v[232:235], v255 offset1:1
	v_cmp_lt_u32_e32 vcc, 45, v254
	s_and_saveexec_b64 s[2:3], vcc
	s_cbranch_execz .LBB93_415
; %bb.414:
	ds_read2_b64 v[236:239], v241 offset0:92 offset1:93
	s_waitcnt lgkmcnt(1)
	v_mul_f64 v[244:245], v[232:233], v[2:3]
	v_mul_f64 v[2:3], v[234:235], v[2:3]
	v_fmac_f64_e32 v[244:245], v[234:235], v[0:1]
	v_fma_f64 v[0:1], v[232:233], v[0:1], -v[2:3]
	s_waitcnt lgkmcnt(0)
	v_mul_f64 v[2:3], v[238:239], v[244:245]
	v_fma_f64 v[2:3], v[236:237], v[0:1], -v[2:3]
	v_mul_f64 v[236:237], v[236:237], v[244:245]
	v_fmac_f64_e32 v[236:237], v[238:239], v[0:1]
	s_waitcnt vmcnt(48)
	v_add_f64 v[184:185], v[184:185], -v[2:3]
	v_add_f64 v[186:187], v[186:187], -v[236:237]
	v_mov_b64_e32 v[2:3], v[244:245]
.LBB93_415:
	s_or_b64 exec, exec, s[2:3]
	v_cmp_eq_u32_e32 vcc, 46, v254
	s_waitcnt lgkmcnt(0)
	s_barrier
	s_and_saveexec_b64 s[4:5], vcc
	s_cbranch_execz .LBB93_422
; %bb.416:
	s_waitcnt vmcnt(48)
	v_cmp_neq_f64_e32 vcc, 0, v[184:185]
	v_cmp_neq_f64_e64 s[2:3], 0, v[186:187]
	s_or_b64 s[2:3], vcc, s[2:3]
	ds_write2_b64 v255, v[184:185], v[186:187] offset1:1
	s_and_b64 exec, exec, s[2:3]
	s_cbranch_execz .LBB93_422
; %bb.417:
	v_cmp_ngt_f64_e64 s[2:3], |v[184:185]|, |v[186:187]|
                                        ; implicit-def: $vgpr236_vgpr237
	s_and_saveexec_b64 s[10:11], s[2:3]
	s_xor_b64 s[2:3], exec, s[10:11]
                                        ; implicit-def: $vgpr238_vgpr239
	s_cbranch_execz .LBB93_419
; %bb.418:
	v_mov_b64_e32 v[242:243], v[38:39]
	v_mov_b64_e32 v[240:241], v[36:37]
	;; [unrolled: 1-line block ×61, first 2 shown]
	v_div_scale_f64 v[236:237], s[10:11], v[186:187], v[186:187], v[184:185]
	v_mov_b64_e32 v[142:143], v[146:147]
	v_mov_b64_e32 v[144:145], v[148:149]
	v_rcp_f64_e32 v[238:239], v[236:237]
	v_mov_b64_e32 v[146:147], v[150:151]
	v_mov_b64_e32 v[148:149], v[152:153]
	;; [unrolled: 1-line block ×10, first 2 shown]
	v_fma_f64 v[246:247], -v[236:237], v[238:239], 1.0
	v_fmac_f64_e32 v[238:239], v[238:239], v[246:247]
	v_fma_f64 v[246:247], -v[236:237], v[238:239], 1.0
	v_div_scale_f64 v[244:245], vcc, v[184:185], v[186:187], v[184:185]
	v_fmac_f64_e32 v[238:239], v[238:239], v[246:247]
	v_mul_f64 v[246:247], v[244:245], v[238:239]
	v_fma_f64 v[236:237], -v[236:237], v[246:247], v[244:245]
	s_nop 0
	v_div_fmas_f64 v[236:237], v[236:237], v[238:239], v[246:247]
	v_div_fixup_f64 v[236:237], v[236:237], v[186:187], v[184:185]
	v_mov_b64_e32 v[200:201], v[162:163]
	v_fma_f64 v[238:239], v[184:185], v[236:237], v[186:187]
	v_mov_b64_e32 v[198:199], v[160:161]
	v_mov_b64_e32 v[160:161], v[164:165]
	v_div_scale_f64 v[244:245], s[10:11], v[238:239], v[238:239], 1.0
	v_mov_b64_e32 v[162:163], v[166:167]
	v_mov_b64_e32 v[164:165], v[168:169]
	v_rcp_f64_e32 v[246:247], v[244:245]
	v_mov_b64_e32 v[166:167], v[170:171]
	v_mov_b64_e32 v[168:169], v[172:173]
	;; [unrolled: 1-line block ×8, first 2 shown]
	v_fma_f64 v[248:249], -v[244:245], v[246:247], 1.0
	v_fmac_f64_e32 v[246:247], v[246:247], v[248:249]
	v_fma_f64 v[248:249], -v[244:245], v[246:247], 1.0
	v_fmac_f64_e32 v[246:247], v[246:247], v[248:249]
	v_div_scale_f64 v[248:249], vcc, 1.0, v[238:239], 1.0
	v_mul_f64 v[250:251], v[248:249], v[246:247]
	v_fma_f64 v[244:245], -v[244:245], v[250:251], v[248:249]
	v_mov_b64_e32 v[248:249], v[252:253]
	s_nop 0
	v_div_fmas_f64 v[244:245], v[244:245], v[246:247], v[250:251]
	v_mov_b64_e32 v[252:253], v[178:179]
	v_mov_b64_e32 v[250:251], v[176:177]
	;; [unrolled: 1-line block ×84, first 2 shown]
	v_div_fixup_f64 v[238:239], v[244:245], v[238:239], 1.0
	v_mov_b64_e32 v[38:39], v[242:243]
	v_mul_f64 v[236:237], v[236:237], v[238:239]
	v_xor_b32_e32 v239, 0x80000000, v239
.LBB93_419:
	s_andn2_saveexec_b64 s[2:3], s[2:3]
	s_cbranch_execz .LBB93_421
; %bb.420:
	v_mov_b64_e32 v[190:191], v[38:39]
	v_mov_b64_e32 v[188:189], v[36:37]
	;; [unrolled: 1-line block ×61, first 2 shown]
	v_div_scale_f64 v[236:237], s[10:11], v[184:185], v[184:185], v[186:187]
	v_mov_b64_e32 v[142:143], v[146:147]
	v_mov_b64_e32 v[144:145], v[148:149]
	v_rcp_f64_e32 v[238:239], v[236:237]
	v_mov_b64_e32 v[146:147], v[150:151]
	v_mov_b64_e32 v[148:149], v[152:153]
	;; [unrolled: 1-line block ×10, first 2 shown]
	v_fma_f64 v[246:247], -v[236:237], v[238:239], 1.0
	v_fmac_f64_e32 v[238:239], v[238:239], v[246:247]
	v_fma_f64 v[246:247], -v[236:237], v[238:239], 1.0
	v_div_scale_f64 v[244:245], vcc, v[186:187], v[184:185], v[186:187]
	v_fmac_f64_e32 v[238:239], v[238:239], v[246:247]
	v_mul_f64 v[246:247], v[244:245], v[238:239]
	v_fma_f64 v[236:237], -v[236:237], v[246:247], v[244:245]
	s_nop 0
	v_div_fmas_f64 v[236:237], v[236:237], v[238:239], v[246:247]
	v_div_fixup_f64 v[238:239], v[236:237], v[184:185], v[186:187]
	v_mov_b64_e32 v[200:201], v[162:163]
	v_fma_f64 v[236:237], v[186:187], v[238:239], v[184:185]
	v_mov_b64_e32 v[198:199], v[160:161]
	v_mov_b64_e32 v[160:161], v[164:165]
	v_div_scale_f64 v[244:245], s[10:11], v[236:237], v[236:237], 1.0
	v_mov_b64_e32 v[162:163], v[166:167]
	v_mov_b64_e32 v[164:165], v[168:169]
	v_rcp_f64_e32 v[246:247], v[244:245]
	v_mov_b64_e32 v[166:167], v[170:171]
	v_mov_b64_e32 v[168:169], v[172:173]
	;; [unrolled: 1-line block ×8, first 2 shown]
	v_fma_f64 v[248:249], -v[244:245], v[246:247], 1.0
	v_fmac_f64_e32 v[246:247], v[246:247], v[248:249]
	v_fma_f64 v[248:249], -v[244:245], v[246:247], 1.0
	v_fmac_f64_e32 v[246:247], v[246:247], v[248:249]
	v_div_scale_f64 v[248:249], vcc, 1.0, v[236:237], 1.0
	v_mul_f64 v[250:251], v[248:249], v[246:247]
	v_fma_f64 v[244:245], -v[244:245], v[250:251], v[248:249]
	v_mov_b64_e32 v[248:249], v[252:253]
	s_nop 0
	v_div_fmas_f64 v[244:245], v[244:245], v[246:247], v[250:251]
	v_mov_b64_e32 v[252:253], v[178:179]
	v_mov_b64_e32 v[250:251], v[176:177]
	;; [unrolled: 1-line block ×84, first 2 shown]
	v_div_fixup_f64 v[236:237], v[244:245], v[236:237], 1.0
	v_mov_b64_e32 v[38:39], v[190:191]
	v_mul_f64 v[238:239], v[238:239], -v[236:237]
.LBB93_421:
	s_or_b64 exec, exec, s[2:3]
	ds_write2_b64 v255, v[236:237], v[238:239] offset1:1
.LBB93_422:
	s_or_b64 exec, exec, s[4:5]
	s_waitcnt lgkmcnt(0)
	s_barrier
	ds_read2_b64 v[236:239], v255 offset1:1
	s_waitcnt lgkmcnt(0)
	s_barrier
	s_and_saveexec_b64 s[2:3], s[0:1]
	s_cbranch_execz .LBB93_425
; %bb.423:
	scratch_load_dwordx4 v[188:191], off, off offset:336 ; 16-byte Folded Reload
	v_mov_b32_e32 v241, s7
	s_waitcnt vmcnt(0)
	v_cmp_eq_f64_e32 vcc, 0, v[188:189]
	v_cmp_eq_f64_e64 s[0:1], 0, v[190:191]
	scratch_load_dwordx4 v[188:191], off, off offset:352 ; 16-byte Folded Reload
	s_and_b64 s[4:5], vcc, s[0:1]
	v_cndmask_b32_e64 v240, 0, 1, s[4:5]
	s_waitcnt vmcnt(0)
	v_cmp_neq_f64_e32 vcc, 0, v[188:189]
	v_cmp_neq_f64_e64 s[0:1], 0, v[190:191]
	scratch_load_dwordx4 v[188:191], off, off offset:368 ; 16-byte Folded Reload
	s_or_b64 s[0:1], vcc, s[0:1]
	s_or_b64 vcc, s[0:1], s[4:5]
	v_cndmask_b32_e32 v240, 2, v240, vcc
	s_waitcnt vmcnt(0)
	v_cmp_eq_f64_e32 vcc, 0, v[188:189]
	v_cmp_eq_f64_e64 s[0:1], 0, v[190:191]
	scratch_load_dwordx4 v[188:191], off, off offset:384 ; 16-byte Folded Reload
	s_and_b64 s[0:1], vcc, s[0:1]
	v_cmp_eq_u32_e32 vcc, 0, v240
	s_and_b64 s[0:1], s[0:1], vcc
	v_cndmask_b32_e64 v240, v240, 3, s[0:1]
	s_waitcnt vmcnt(0)
	v_cmp_eq_f64_e32 vcc, 0, v[188:189]
	v_cmp_eq_f64_e64 s[0:1], 0, v[190:191]
	scratch_load_dwordx4 v[188:191], off, off offset:400 ; 16-byte Folded Reload
	s_and_b64 s[0:1], vcc, s[0:1]
	v_cmp_eq_u32_e32 vcc, 0, v240
	s_and_b64 s[0:1], s[0:1], vcc
	v_cndmask_b32_e64 v240, v240, 4, s[0:1]
	;; [unrolled: 8-line block ×31, first 2 shown]
	v_mov_b32_e32 v240, s6
	s_waitcnt vmcnt(0)
	v_cmp_eq_f64_e32 vcc, 0, v[188:189]
	scratch_load_dwordx2 v[188:189], off, off offset:920 ; 8-byte Folded Reload
	v_cmp_eq_f64_e64 s[0:1], 0, v[190:191]
	s_and_b64 s[0:1], vcc, s[0:1]
	v_cmp_eq_u32_e32 vcc, 0, v243
	s_and_b64 s[0:1], s[0:1], vcc
	v_cndmask_b32_e64 v243, v243, 34, s[0:1]
	s_waitcnt vmcnt(0)
	v_lshl_add_u64 v[240:241], v[188:189], 2, v[240:241]
	scratch_load_dwordx4 v[188:191], off, off offset:880 ; 16-byte Folded Reload
	global_load_dword v244, v[240:241], off
	s_waitcnt vmcnt(1)
	v_cmp_eq_f64_e32 vcc, 0, v[188:189]
	v_cmp_eq_f64_e64 s[0:1], 0, v[190:191]
	s_and_b64 s[0:1], vcc, s[0:1]
	v_cmp_eq_u32_e32 vcc, 0, v243
	s_and_b64 s[0:1], s[0:1], vcc
	v_cndmask_b32_e64 v188, v243, 35, s[0:1]
	v_cmp_eq_f64_e32 vcc, 0, v[192:193]
	v_cmp_eq_f64_e64 s[0:1], 0, v[194:195]
	s_and_b64 s[0:1], vcc, s[0:1]
	v_cmp_eq_u32_e32 vcc, 0, v188
	s_and_b64 s[0:1], s[0:1], vcc
	v_cndmask_b32_e64 v188, v188, 36, s[0:1]
	;; [unrolled: 6-line block ×13, first 2 shown]
	s_waitcnt vmcnt(0)
	v_cmp_eq_u32_e32 vcc, 0, v244
	v_cmp_ne_u32_e64 s[0:1], 0, v188
	s_and_b64 s[0:1], vcc, s[0:1]
	s_and_b64 exec, exec, s[0:1]
	s_cbranch_execz .LBB93_425
; %bb.424:
	v_add_u32_e32 v188, s9, v188
	global_store_dword v[240:241], v188, off
.LBB93_425:
	s_or_b64 exec, exec, s[2:3]
	scratch_load_dwordx2 v[180:181], off, off offset:328 ; 8-byte Folded Reload
	s_waitcnt vmcnt(49)
	v_mul_f64 v[188:189], v[238:239], v[186:187]
	global_store_dwordx4 v[248:249], v[250:253], off
	v_mul_f64 v[190:191], v[236:237], v[186:187]
	v_cmp_lt_u32_e32 vcc, 46, v254
	v_fma_f64 v[188:189], v[236:237], v[184:185], -v[188:189]
	v_fmac_f64_e32 v[190:191], v[238:239], v[184:185]
	v_cndmask_b32_e32 v187, v187, v191, vcc
	v_cndmask_b32_e32 v186, v186, v190, vcc
	;; [unrolled: 1-line block ×4, first 2 shown]
	s_waitcnt vmcnt(1)
	global_store_dwordx4 v[180:181], v[176:179], off
	scratch_load_dwordx2 v[176:177], off, off offset:904 ; 8-byte Folded Reload
	s_waitcnt vmcnt(0)
	global_store_dwordx4 v[176:177], v[172:175], off
	scratch_load_dwordx2 v[172:173], off, off offset:896 ; 8-byte Folded Reload
	;; [unrolled: 3-line block ×3, first 2 shown]
	s_waitcnt vmcnt(0)
	global_store_dwordx4 v[168:169], v[164:167], off
	global_store_dwordx4 v[246:247], v[160:163], off
	scratch_load_dwordx2 v[160:161], off, off ; 8-byte Folded Reload
	s_waitcnt vmcnt(0)
	global_store_dwordx4 v[160:161], v[156:159], off
	scratch_load_dwordx2 v[156:157], off, off offset:8 ; 8-byte Folded Reload
	s_waitcnt vmcnt(0)
	global_store_dwordx4 v[156:157], v[152:155], off
	scratch_load_dwordx2 v[152:153], off, off offset:16 ; 8-byte Folded Reload
	;; [unrolled: 3-line block ×40, first 2 shown]
	s_waitcnt vmcnt(0)
	global_store_dwordx4 v[0:1], v[184:187], off
.LBB93_426:
	s_endpgm
	.section	.rodata,"a",@progbits
	.p2align	6, 0x0
	.amdhsa_kernel _ZN9rocsolver6v33100L23getf2_npvt_small_kernelILi47E19rocblas_complex_numIdEiiPS3_EEvT1_T3_lS5_lPT2_S5_S5_
		.amdhsa_group_segment_fixed_size 0
		.amdhsa_private_segment_fixed_size 932
		.amdhsa_kernarg_size 312
		.amdhsa_user_sgpr_count 2
		.amdhsa_user_sgpr_dispatch_ptr 0
		.amdhsa_user_sgpr_queue_ptr 0
		.amdhsa_user_sgpr_kernarg_segment_ptr 1
		.amdhsa_user_sgpr_dispatch_id 0
		.amdhsa_user_sgpr_kernarg_preload_length 0
		.amdhsa_user_sgpr_kernarg_preload_offset 0
		.amdhsa_user_sgpr_private_segment_size 0
		.amdhsa_uses_dynamic_stack 0
		.amdhsa_enable_private_segment 1
		.amdhsa_system_sgpr_workgroup_id_x 1
		.amdhsa_system_sgpr_workgroup_id_y 1
		.amdhsa_system_sgpr_workgroup_id_z 0
		.amdhsa_system_sgpr_workgroup_info 0
		.amdhsa_system_vgpr_workitem_id 1
		.amdhsa_next_free_vgpr 256
		.amdhsa_next_free_sgpr 16
		.amdhsa_accum_offset 256
		.amdhsa_reserve_vcc 1
		.amdhsa_float_round_mode_32 0
		.amdhsa_float_round_mode_16_64 0
		.amdhsa_float_denorm_mode_32 3
		.amdhsa_float_denorm_mode_16_64 3
		.amdhsa_dx10_clamp 1
		.amdhsa_ieee_mode 1
		.amdhsa_fp16_overflow 0
		.amdhsa_tg_split 0
		.amdhsa_exception_fp_ieee_invalid_op 0
		.amdhsa_exception_fp_denorm_src 0
		.amdhsa_exception_fp_ieee_div_zero 0
		.amdhsa_exception_fp_ieee_overflow 0
		.amdhsa_exception_fp_ieee_underflow 0
		.amdhsa_exception_fp_ieee_inexact 0
		.amdhsa_exception_int_div_zero 0
	.end_amdhsa_kernel
	.section	.text._ZN9rocsolver6v33100L23getf2_npvt_small_kernelILi47E19rocblas_complex_numIdEiiPS3_EEvT1_T3_lS5_lPT2_S5_S5_,"axG",@progbits,_ZN9rocsolver6v33100L23getf2_npvt_small_kernelILi47E19rocblas_complex_numIdEiiPS3_EEvT1_T3_lS5_lPT2_S5_S5_,comdat
.Lfunc_end93:
	.size	_ZN9rocsolver6v33100L23getf2_npvt_small_kernelILi47E19rocblas_complex_numIdEiiPS3_EEvT1_T3_lS5_lPT2_S5_S5_, .Lfunc_end93-_ZN9rocsolver6v33100L23getf2_npvt_small_kernelILi47E19rocblas_complex_numIdEiiPS3_EEvT1_T3_lS5_lPT2_S5_S5_
                                        ; -- End function
	.set _ZN9rocsolver6v33100L23getf2_npvt_small_kernelILi47E19rocblas_complex_numIdEiiPS3_EEvT1_T3_lS5_lPT2_S5_S5_.num_vgpr, 256
	.set _ZN9rocsolver6v33100L23getf2_npvt_small_kernelILi47E19rocblas_complex_numIdEiiPS3_EEvT1_T3_lS5_lPT2_S5_S5_.num_agpr, 0
	.set _ZN9rocsolver6v33100L23getf2_npvt_small_kernelILi47E19rocblas_complex_numIdEiiPS3_EEvT1_T3_lS5_lPT2_S5_S5_.numbered_sgpr, 16
	.set _ZN9rocsolver6v33100L23getf2_npvt_small_kernelILi47E19rocblas_complex_numIdEiiPS3_EEvT1_T3_lS5_lPT2_S5_S5_.num_named_barrier, 0
	.set _ZN9rocsolver6v33100L23getf2_npvt_small_kernelILi47E19rocblas_complex_numIdEiiPS3_EEvT1_T3_lS5_lPT2_S5_S5_.private_seg_size, 932
	.set _ZN9rocsolver6v33100L23getf2_npvt_small_kernelILi47E19rocblas_complex_numIdEiiPS3_EEvT1_T3_lS5_lPT2_S5_S5_.uses_vcc, 1
	.set _ZN9rocsolver6v33100L23getf2_npvt_small_kernelILi47E19rocblas_complex_numIdEiiPS3_EEvT1_T3_lS5_lPT2_S5_S5_.uses_flat_scratch, 0
	.set _ZN9rocsolver6v33100L23getf2_npvt_small_kernelILi47E19rocblas_complex_numIdEiiPS3_EEvT1_T3_lS5_lPT2_S5_S5_.has_dyn_sized_stack, 0
	.set _ZN9rocsolver6v33100L23getf2_npvt_small_kernelILi47E19rocblas_complex_numIdEiiPS3_EEvT1_T3_lS5_lPT2_S5_S5_.has_recursion, 0
	.set _ZN9rocsolver6v33100L23getf2_npvt_small_kernelILi47E19rocblas_complex_numIdEiiPS3_EEvT1_T3_lS5_lPT2_S5_S5_.has_indirect_call, 0
	.section	.AMDGPU.csdata,"",@progbits
; Kernel info:
; codeLenInByte = 103344
; TotalNumSgprs: 22
; NumVgprs: 256
; NumAgprs: 0
; TotalNumVgprs: 256
; ScratchSize: 932
; MemoryBound: 1
; FloatMode: 240
; IeeeMode: 1
; LDSByteSize: 0 bytes/workgroup (compile time only)
; SGPRBlocks: 2
; VGPRBlocks: 31
; NumSGPRsForWavesPerEU: 22
; NumVGPRsForWavesPerEU: 256
; AccumOffset: 256
; Occupancy: 2
; WaveLimiterHint : 0
; COMPUTE_PGM_RSRC2:SCRATCH_EN: 1
; COMPUTE_PGM_RSRC2:USER_SGPR: 2
; COMPUTE_PGM_RSRC2:TRAP_HANDLER: 0
; COMPUTE_PGM_RSRC2:TGID_X_EN: 1
; COMPUTE_PGM_RSRC2:TGID_Y_EN: 1
; COMPUTE_PGM_RSRC2:TGID_Z_EN: 0
; COMPUTE_PGM_RSRC2:TIDIG_COMP_CNT: 1
; COMPUTE_PGM_RSRC3_GFX90A:ACCUM_OFFSET: 63
; COMPUTE_PGM_RSRC3_GFX90A:TG_SPLIT: 0
	.section	.text._ZN9rocsolver6v33100L18getf2_small_kernelILi48E19rocblas_complex_numIdEiiPS3_EEvT1_T3_lS5_lPS5_llPT2_S5_S5_S7_l,"axG",@progbits,_ZN9rocsolver6v33100L18getf2_small_kernelILi48E19rocblas_complex_numIdEiiPS3_EEvT1_T3_lS5_lPS5_llPT2_S5_S5_S7_l,comdat
	.globl	_ZN9rocsolver6v33100L18getf2_small_kernelILi48E19rocblas_complex_numIdEiiPS3_EEvT1_T3_lS5_lPS5_llPT2_S5_S5_S7_l ; -- Begin function _ZN9rocsolver6v33100L18getf2_small_kernelILi48E19rocblas_complex_numIdEiiPS3_EEvT1_T3_lS5_lPS5_llPT2_S5_S5_S7_l
	.p2align	8
	.type	_ZN9rocsolver6v33100L18getf2_small_kernelILi48E19rocblas_complex_numIdEiiPS3_EEvT1_T3_lS5_lPS5_llPT2_S5_S5_S7_l,@function
_ZN9rocsolver6v33100L18getf2_small_kernelILi48E19rocblas_complex_numIdEiiPS3_EEvT1_T3_lS5_lPS5_llPT2_S5_S5_S7_l: ; @_ZN9rocsolver6v33100L18getf2_small_kernelILi48E19rocblas_complex_numIdEiiPS3_EEvT1_T3_lS5_lPS5_llPT2_S5_S5_S7_l
; %bb.0:
	s_load_dword s2, s[0:1], 0x6c
	s_load_dwordx2 s[12:13], s[0:1], 0x48
	v_bfe_u32 v192, v0, 10, 10
	s_waitcnt lgkmcnt(0)
	s_lshr_b32 s2, s2, 16
	s_mul_i32 s3, s3, s2
	v_add_u32_e32 v198, s3, v192
	v_cmp_gt_i32_e32 vcc, s12, v198
	s_and_saveexec_b64 s[2:3], vcc
	s_cbranch_execz .LBB94_1009
; %bb.1:
	s_load_dwordx4 s[4:7], s[0:1], 0x50
	v_ashrrev_i32_e32 v199, 31, v198
	v_mov_b64_e32 v[200:201], 0
	s_waitcnt lgkmcnt(0)
	s_cmp_eq_u64 s[4:5], 0
	s_cselect_b64 s[14:15], -1, 0
	s_and_b64 vcc, exec, s[14:15]
	s_cbranch_vccnz .LBB94_3
; %bb.2:
	v_mul_lo_u32 v1, s7, v198
	v_mul_lo_u32 v4, s6, v199
	v_mad_u64_u32 v[2:3], s[2:3], s6, v198, 0
	v_add3_u32 v3, v3, v4, v1
	v_lshl_add_u64 v[200:201], v[2:3], 2, s[4:5]
.LBB94_3:
	s_load_dwordx4 s[16:19], s[0:1], 0x8
	s_load_dwordx8 s[4:11], s[0:1], 0x20
	s_load_dword s2, s[0:1], 0x18
	s_load_dword s20, s[0:1], 0x0
	v_and_b32_e32 v207, 0x3ff, v0
	s_waitcnt lgkmcnt(0)
	v_mov_b32_e32 v2, s16
	v_mul_lo_u32 v1, s5, v198
	v_mul_lo_u32 v6, s4, v199
	v_mad_u64_u32 v[4:5], s[4:5], s4, v198, 0
	v_mov_b32_e32 v3, s17
	v_add3_u32 v5, v5, v6, v1
	v_lshl_add_u64 v[2:3], v[4:5], 4, v[2:3]
	s_add_i32 s12, s2, s2
	v_lshl_add_u64 v[196:197], s[18:19], 4, v[2:3]
	v_add_u32_e32 v2, s12, v207
	v_add_u32_e32 v4, s2, v2
	;; [unrolled: 1-line block ×3, first 2 shown]
	v_lshlrev_b32_e32 v202, 4, v207
	v_mov_b32_e32 v203, 0
	v_add_u32_e32 v8, s2, v6
	v_lshl_add_u64 v[0:1], v[196:197], 0, v[202:203]
	s_ashr_i32 s3, s2, 31
	v_ashrrev_i32_e32 v9, 31, v8
	v_add_u32_e32 v12, s2, v8
	v_lshl_add_u64 v[10:11], s[2:3], 4, v[0:1]
	global_load_dwordx4 v[128:131], v[0:1], off
	global_load_dwordx4 v[120:123], v[10:11], off
	v_lshl_add_u64 v[0:1], v[8:9], 4, v[196:197]
	v_ashrrev_i32_e32 v13, 31, v12
	v_add_u32_e32 v8, s2, v12
	v_lshl_add_u64 v[10:11], v[12:13], 4, v[196:197]
	v_add_u32_e32 v12, s2, v8
	v_add_u32_e32 v14, s2, v12
	;; [unrolled: 1-line block ×15, first 2 shown]
	v_ashrrev_i32_e32 v41, 31, v40
	v_lshl_add_u64 v[42:43], v[40:41], 4, v[196:197]
	v_add_u32_e32 v40, s2, v40
	v_ashrrev_i32_e32 v41, 31, v40
	v_lshl_add_u64 v[44:45], v[40:41], 4, v[196:197]
	v_add_u32_e32 v40, s2, v40
	;; [unrolled: 3-line block ×24, first 2 shown]
	v_ashrrev_i32_e32 v41, 31, v40
	v_ashrrev_i32_e32 v3, 31, v2
	v_ashrrev_i32_e32 v5, 31, v4
	v_ashrrev_i32_e32 v7, 31, v6
	v_ashrrev_i32_e32 v9, 31, v8
	v_ashrrev_i32_e32 v13, 31, v12
	v_ashrrev_i32_e32 v15, 31, v14
	v_ashrrev_i32_e32 v17, 31, v16
	v_ashrrev_i32_e32 v19, 31, v18
	v_ashrrev_i32_e32 v21, 31, v20
	v_ashrrev_i32_e32 v23, 31, v22
	v_ashrrev_i32_e32 v25, 31, v24
	v_ashrrev_i32_e32 v27, 31, v26
	v_ashrrev_i32_e32 v29, 31, v28
	v_ashrrev_i32_e32 v31, 31, v30
	v_ashrrev_i32_e32 v33, 31, v32
	v_ashrrev_i32_e32 v35, 31, v34
	v_ashrrev_i32_e32 v37, 31, v36
	v_ashrrev_i32_e32 v39, 31, v38
	v_lshl_add_u64 v[228:229], v[40:41], 4, v[196:197]
	v_add_u32_e32 v40, s2, v40
	v_lshl_add_u64 v[2:3], v[2:3], 4, v[196:197]
	v_lshl_add_u64 v[4:5], v[4:5], 4, v[196:197]
	;; [unrolled: 1-line block ×18, first 2 shown]
	v_ashrrev_i32_e32 v41, 31, v40
	v_lshl_add_u64 v[230:231], v[40:41], 4, v[196:197]
	global_load_dwordx4 v[184:187], v[2:3], off
	global_load_dwordx4 v[180:183], v[4:5], off
	;; [unrolled: 1-line block ×4, first 2 shown]
                                        ; kill: killed $vgpr2_vgpr3
                                        ; kill: killed $vgpr4_vgpr5
                                        ; kill: killed $vgpr6_vgpr7
                                        ; kill: killed $vgpr0_vgpr1
	global_load_dwordx4 v[168:171], v[10:11], off
	global_load_dwordx4 v[164:167], v[8:9], off
                                        ; kill: killed $vgpr10_vgpr11
                                        ; kill: killed $vgpr8_vgpr9
	global_load_dwordx4 v[160:163], v[12:13], off
	global_load_dwordx4 v[156:159], v[14:15], off
	;; [unrolled: 1-line block ×23, first 2 shown]
	s_nop 0
	global_load_dwordx4 v[60:63], v[60:61], off
	s_nop 0
	global_load_dwordx4 v[56:59], v[188:189], off
	global_load_dwordx4 v[52:55], v[190:191], off
	;; [unrolled: 1-line block ×16, first 2 shown]
	s_load_dwordx2 s[4:5], s[0:1], 0x40
	s_max_i32 s0, s20, 48
	v_mul_lo_u32 v205, s0, v192
	v_lshl_add_u32 v204, v205, 4, 0
	v_add_u32_e32 v192, v204, v202
	s_waitcnt vmcnt(47)
	ds_write2_b64 v192, v[128:129], v[130:131] offset1:1
	s_waitcnt lgkmcnt(0)
	s_barrier
	ds_read2_b64 v[192:195], v204 offset1:1
	s_cmp_lt_i32 s20, 2
	v_lshlrev_b32_e32 v208, 4, v205
	s_cbranch_scc1 .LBB94_6
; %bb.4:
	v_add3_u32 v202, v208, 0, 16
	s_mov_b32 s16, 1
	v_mov_b32_e32 v203, 0
.LBB94_5:                               ; =>This Inner Loop Header: Depth=1
	ds_read2_b64 v[210:213], v202 offset1:1
	s_waitcnt lgkmcnt(1)
	v_xor_b32_e32 v205, 0x80000000, v193
	v_xor_b32_e32 v206, 0x80000000, v195
	v_cmp_gt_f64_e32 vcc, 0, v[194:195]
	v_cmp_gt_f64_e64 s[0:1], 0, v[192:193]
	v_mov_b32_e32 v214, v192
	v_mov_b32_e32 v216, v194
	v_cndmask_b32_e64 v215, v193, v205, s[0:1]
	v_cndmask_b32_e32 v217, v195, v206, vcc
	s_waitcnt lgkmcnt(0)
	v_xor_b32_e32 v205, 0x80000000, v211
	v_xor_b32_e32 v206, 0x80000000, v213
	v_cmp_gt_f64_e32 vcc, 0, v[212:213]
	v_cmp_gt_f64_e64 s[0:1], 0, v[210:211]
	v_add_f64 v[214:215], v[214:215], v[216:217]
	v_mov_b32_e32 v216, v210
	v_mov_b32_e32 v218, v212
	v_cndmask_b32_e64 v217, v211, v205, s[0:1]
	v_cndmask_b32_e32 v219, v213, v206, vcc
	v_add_f64 v[216:217], v[216:217], v[218:219]
	v_mov_b32_e32 v209, s16
	s_add_i32 s16, s16, 1
	v_cmp_lt_f64_e32 vcc, v[214:215], v[216:217]
	v_add_u32_e32 v202, 16, v202
	s_cmp_eq_u32 s20, s16
	v_cndmask_b32_e32 v193, v193, v211, vcc
	v_cndmask_b32_e32 v192, v192, v210, vcc
	;; [unrolled: 1-line block ×5, first 2 shown]
	s_cbranch_scc0 .LBB94_5
.LBB94_6:
	s_waitcnt lgkmcnt(0)
	v_cmp_neq_f64_e32 vcc, 0, v[192:193]
	v_cmp_neq_f64_e64 s[0:1], 0, v[194:195]
	s_or_b64 s[16:17], vcc, s[0:1]
	v_mov_b32_e32 v206, 1
	v_mov_b32_e32 v209, 1
	s_and_saveexec_b64 s[0:1], s[16:17]
	s_cbranch_execz .LBB94_12
; %bb.7:
	v_cmp_ngt_f64_e64 s[16:17], |v[192:193]|, |v[194:195]|
	s_and_saveexec_b64 s[18:19], s[16:17]
	s_xor_b64 s[16:17], exec, s[18:19]
	s_cbranch_execz .LBB94_9
; %bb.8:
	v_div_scale_f64 v[210:211], s[18:19], v[194:195], v[194:195], v[192:193]
	v_rcp_f64_e32 v[212:213], v[210:211]
	v_div_scale_f64 v[214:215], vcc, v[192:193], v[194:195], v[192:193]
	v_fma_f64 v[216:217], -v[210:211], v[212:213], 1.0
	v_fmac_f64_e32 v[212:213], v[212:213], v[216:217]
	v_fma_f64 v[216:217], -v[210:211], v[212:213], 1.0
	v_fmac_f64_e32 v[212:213], v[212:213], v[216:217]
	v_mul_f64 v[216:217], v[214:215], v[212:213]
	v_fma_f64 v[210:211], -v[210:211], v[216:217], v[214:215]
	v_div_fmas_f64 v[210:211], v[210:211], v[212:213], v[216:217]
	v_div_fixup_f64 v[210:211], v[210:211], v[194:195], v[192:193]
	v_fmac_f64_e32 v[194:195], v[192:193], v[210:211]
	v_div_scale_f64 v[192:193], s[18:19], v[194:195], v[194:195], 1.0
	v_rcp_f64_e32 v[212:213], v[192:193]
	s_nop 0
	v_fma_f64 v[214:215], -v[192:193], v[212:213], 1.0
	v_fmac_f64_e32 v[212:213], v[212:213], v[214:215]
	v_fma_f64 v[214:215], -v[192:193], v[212:213], 1.0
	v_fmac_f64_e32 v[212:213], v[212:213], v[214:215]
	v_div_scale_f64 v[214:215], vcc, 1.0, v[194:195], 1.0
	v_mul_f64 v[216:217], v[214:215], v[212:213]
	v_fma_f64 v[192:193], -v[192:193], v[216:217], v[214:215]
	s_nop 1
	v_div_fmas_f64 v[192:193], v[192:193], v[212:213], v[216:217]
	v_div_fixup_f64 v[194:195], v[192:193], v[194:195], 1.0
	v_mul_f64 v[192:193], v[210:211], v[194:195]
	v_xor_b32_e32 v195, 0x80000000, v195
.LBB94_9:
	s_andn2_saveexec_b64 s[16:17], s[16:17]
	s_cbranch_execz .LBB94_11
; %bb.10:
	v_div_scale_f64 v[210:211], s[18:19], v[192:193], v[192:193], v[194:195]
	v_rcp_f64_e32 v[212:213], v[210:211]
	v_div_scale_f64 v[214:215], vcc, v[194:195], v[192:193], v[194:195]
	v_fma_f64 v[216:217], -v[210:211], v[212:213], 1.0
	v_fmac_f64_e32 v[212:213], v[212:213], v[216:217]
	v_fma_f64 v[216:217], -v[210:211], v[212:213], 1.0
	v_fmac_f64_e32 v[212:213], v[212:213], v[216:217]
	v_mul_f64 v[216:217], v[214:215], v[212:213]
	v_fma_f64 v[210:211], -v[210:211], v[216:217], v[214:215]
	v_div_fmas_f64 v[210:211], v[210:211], v[212:213], v[216:217]
	v_div_fixup_f64 v[210:211], v[210:211], v[192:193], v[194:195]
	v_fmac_f64_e32 v[192:193], v[194:195], v[210:211]
	v_div_scale_f64 v[194:195], s[18:19], v[192:193], v[192:193], 1.0
	v_rcp_f64_e32 v[212:213], v[194:195]
	s_nop 0
	v_fma_f64 v[214:215], -v[194:195], v[212:213], 1.0
	v_fmac_f64_e32 v[212:213], v[212:213], v[214:215]
	v_fma_f64 v[214:215], -v[194:195], v[212:213], 1.0
	v_fmac_f64_e32 v[212:213], v[212:213], v[214:215]
	v_div_scale_f64 v[214:215], vcc, 1.0, v[192:193], 1.0
	v_mul_f64 v[216:217], v[214:215], v[212:213]
	v_fma_f64 v[194:195], -v[194:195], v[216:217], v[214:215]
	s_nop 1
	v_div_fmas_f64 v[194:195], v[194:195], v[212:213], v[216:217]
	v_div_fixup_f64 v[192:193], v[194:195], v[192:193], 1.0
	v_mul_f64 v[194:195], v[210:211], -v[192:193]
.LBB94_11:
	s_or_b64 exec, exec, s[16:17]
	v_mov_b32_e32 v209, 0
	v_mov_b32_e32 v206, 2
.LBB94_12:
	s_or_b64 exec, exec, s[0:1]
	v_cmp_ne_u32_e32 vcc, v207, v203
	s_and_saveexec_b64 s[0:1], vcc
	s_xor_b64 s[0:1], exec, s[0:1]
	s_cbranch_execz .LBB94_18
; %bb.13:
	v_cmp_eq_u32_e32 vcc, 0, v207
	s_and_saveexec_b64 s[16:17], vcc
	s_cbranch_execz .LBB94_17
; %bb.14:
	v_cmp_ne_u32_e32 vcc, 0, v203
	s_xor_b64 s[18:19], s[14:15], -1
	s_and_b64 s[22:23], s[18:19], vcc
	s_and_saveexec_b64 s[18:19], s[22:23]
	s_cbranch_execz .LBB94_16
; %bb.15:
	v_ashrrev_i32_e32 v211, 31, v203
	v_mov_b32_e32 v210, v203
	v_lshl_add_u64 v[210:211], v[210:211], 2, v[200:201]
	global_load_dword v202, v[210:211], off
	global_load_dword v205, v[200:201], off
	s_waitcnt vmcnt(1)
	global_store_dword v[200:201], v202, off
	s_waitcnt vmcnt(1)
	global_store_dword v[210:211], v205, off
.LBB94_16:
	s_or_b64 exec, exec, s[18:19]
	v_mov_b32_e32 v207, v203
.LBB94_17:
	s_or_b64 exec, exec, s[16:17]
.LBB94_18:
	s_or_saveexec_b64 s[0:1], s[0:1]
	v_mov_b32_e32 v205, v207
	s_xor_b64 exec, exec, s[0:1]
	s_cbranch_execz .LBB94_20
; %bb.19:
	v_mov_b32_e32 v205, 0
	s_waitcnt vmcnt(46)
	ds_write2_b64 v204, v[120:121], v[122:123] offset0:2 offset1:3
	s_waitcnt vmcnt(45)
	ds_write2_b64 v204, v[184:185], v[186:187] offset0:4 offset1:5
	s_waitcnt vmcnt(44)
	ds_write2_b64 v204, v[180:181], v[182:183] offset0:6 offset1:7
	s_waitcnt vmcnt(43)
	ds_write2_b64 v204, v[176:177], v[178:179] offset0:8 offset1:9
	s_waitcnt vmcnt(42)
	ds_write2_b64 v204, v[172:173], v[174:175] offset0:10 offset1:11
	s_waitcnt vmcnt(41)
	ds_write2_b64 v204, v[168:169], v[170:171] offset0:12 offset1:13
	s_waitcnt vmcnt(40)
	ds_write2_b64 v204, v[164:165], v[166:167] offset0:14 offset1:15
	s_waitcnt vmcnt(39)
	ds_write2_b64 v204, v[160:161], v[162:163] offset0:16 offset1:17
	s_waitcnt vmcnt(38)
	ds_write2_b64 v204, v[156:157], v[158:159] offset0:18 offset1:19
	s_waitcnt vmcnt(37)
	ds_write2_b64 v204, v[152:153], v[154:155] offset0:20 offset1:21
	s_waitcnt vmcnt(36)
	ds_write2_b64 v204, v[148:149], v[150:151] offset0:22 offset1:23
	s_waitcnt vmcnt(35)
	ds_write2_b64 v204, v[144:145], v[146:147] offset0:24 offset1:25
	s_waitcnt vmcnt(34)
	ds_write2_b64 v204, v[140:141], v[142:143] offset0:26 offset1:27
	s_waitcnt vmcnt(33)
	ds_write2_b64 v204, v[136:137], v[138:139] offset0:28 offset1:29
	s_waitcnt vmcnt(32)
	ds_write2_b64 v204, v[132:133], v[134:135] offset0:30 offset1:31
	s_waitcnt vmcnt(31)
	ds_write2_b64 v204, v[124:125], v[126:127] offset0:32 offset1:33
	s_waitcnt vmcnt(30)
	ds_write2_b64 v204, v[116:117], v[118:119] offset0:34 offset1:35
	s_waitcnt vmcnt(29)
	ds_write2_b64 v204, v[112:113], v[114:115] offset0:36 offset1:37
	s_waitcnt vmcnt(28)
	ds_write2_b64 v204, v[108:109], v[110:111] offset0:38 offset1:39
	s_waitcnt vmcnt(27)
	ds_write2_b64 v204, v[104:105], v[106:107] offset0:40 offset1:41
	s_waitcnt vmcnt(26)
	ds_write2_b64 v204, v[100:101], v[102:103] offset0:42 offset1:43
	s_waitcnt vmcnt(25)
	ds_write2_b64 v204, v[96:97], v[98:99] offset0:44 offset1:45
	s_waitcnt vmcnt(24)
	ds_write2_b64 v204, v[92:93], v[94:95] offset0:46 offset1:47
	s_waitcnt vmcnt(23)
	ds_write2_b64 v204, v[88:89], v[90:91] offset0:48 offset1:49
	s_waitcnt vmcnt(22)
	ds_write2_b64 v204, v[84:85], v[86:87] offset0:50 offset1:51
	s_waitcnt vmcnt(21)
	ds_write2_b64 v204, v[80:81], v[82:83] offset0:52 offset1:53
	s_waitcnt vmcnt(20)
	ds_write2_b64 v204, v[76:77], v[78:79] offset0:54 offset1:55
	s_waitcnt vmcnt(19)
	ds_write2_b64 v204, v[72:73], v[74:75] offset0:56 offset1:57
	s_waitcnt vmcnt(18)
	ds_write2_b64 v204, v[68:69], v[70:71] offset0:58 offset1:59
	s_waitcnt vmcnt(17)
	ds_write2_b64 v204, v[64:65], v[66:67] offset0:60 offset1:61
	s_waitcnt vmcnt(16)
	ds_write2_b64 v204, v[60:61], v[62:63] offset0:62 offset1:63
	s_waitcnt vmcnt(15)
	ds_write2_b64 v204, v[56:57], v[58:59] offset0:64 offset1:65
	s_waitcnt vmcnt(14)
	ds_write2_b64 v204, v[52:53], v[54:55] offset0:66 offset1:67
	s_waitcnt vmcnt(13)
	ds_write2_b64 v204, v[48:49], v[50:51] offset0:68 offset1:69
	s_waitcnt vmcnt(12)
	ds_write2_b64 v204, v[44:45], v[46:47] offset0:70 offset1:71
	s_waitcnt vmcnt(11)
	ds_write2_b64 v204, v[40:41], v[42:43] offset0:72 offset1:73
	s_waitcnt vmcnt(10)
	ds_write2_b64 v204, v[36:37], v[38:39] offset0:74 offset1:75
	s_waitcnt vmcnt(9)
	ds_write2_b64 v204, v[32:33], v[34:35] offset0:76 offset1:77
	s_waitcnt vmcnt(8)
	ds_write2_b64 v204, v[28:29], v[30:31] offset0:78 offset1:79
	s_waitcnt vmcnt(7)
	ds_write2_b64 v204, v[24:25], v[26:27] offset0:80 offset1:81
	s_waitcnt vmcnt(6)
	ds_write2_b64 v204, v[20:21], v[22:23] offset0:82 offset1:83
	s_waitcnt vmcnt(5)
	ds_write2_b64 v204, v[16:17], v[18:19] offset0:84 offset1:85
	s_waitcnt vmcnt(4)
	ds_write2_b64 v204, v[12:13], v[14:15] offset0:86 offset1:87
	s_waitcnt vmcnt(3)
	ds_write2_b64 v204, v[8:9], v[10:11] offset0:88 offset1:89
	s_waitcnt vmcnt(2)
	ds_write2_b64 v204, v[4:5], v[6:7] offset0:90 offset1:91
	s_waitcnt vmcnt(1)
	ds_write2_b64 v204, v[0:1], v[2:3] offset0:92 offset1:93
	s_waitcnt vmcnt(0)
	ds_write2_b64 v204, v[188:189], v[190:191] offset0:94 offset1:95
.LBB94_20:
	s_or_b64 exec, exec, s[0:1]
	v_cmp_lt_i32_e32 vcc, 0, v205
	s_waitcnt lgkmcnt(0)
	s_barrier
	s_and_saveexec_b64 s[0:1], vcc
	s_cbranch_execz .LBB94_22
; %bb.21:
	ds_read2_b64 v[210:213], v204 offset0:2 offset1:3
	v_mul_f64 v[202:203], v[194:195], v[130:131]
	v_mul_f64 v[130:131], v[192:193], v[130:131]
	v_fmac_f64_e32 v[130:131], v[194:195], v[128:129]
	v_fma_f64 v[202:203], v[192:193], v[128:129], -v[202:203]
	ds_read2_b64 v[192:195], v204 offset0:4 offset1:5
	s_waitcnt lgkmcnt(1)
	v_mul_f64 v[128:129], v[212:213], v[130:131]
	v_fma_f64 v[128:129], v[210:211], v[202:203], -v[128:129]
	v_mul_f64 v[210:211], v[210:211], v[130:131]
	v_fmac_f64_e32 v[210:211], v[212:213], v[202:203]
	s_waitcnt vmcnt(46)
	v_add_f64 v[122:123], v[122:123], -v[210:211]
	ds_read2_b64 v[210:213], v204 offset0:6 offset1:7
	v_add_f64 v[120:121], v[120:121], -v[128:129]
	s_waitcnt lgkmcnt(1)
	v_mul_f64 v[128:129], v[194:195], v[130:131]
	v_fma_f64 v[128:129], v[192:193], v[202:203], -v[128:129]
	v_mul_f64 v[192:193], v[192:193], v[130:131]
	v_fmac_f64_e32 v[192:193], v[194:195], v[202:203]
	s_waitcnt vmcnt(45)
	v_add_f64 v[184:185], v[184:185], -v[128:129]
	v_add_f64 v[186:187], v[186:187], -v[192:193]
	ds_read2_b64 v[192:195], v204 offset0:8 offset1:9
	s_waitcnt lgkmcnt(1)
	v_mul_f64 v[128:129], v[212:213], v[130:131]
	v_fma_f64 v[128:129], v[210:211], v[202:203], -v[128:129]
	v_mul_f64 v[210:211], v[210:211], v[130:131]
	v_fmac_f64_e32 v[210:211], v[212:213], v[202:203]
	s_waitcnt vmcnt(44)
	v_add_f64 v[182:183], v[182:183], -v[210:211]
	ds_read2_b64 v[210:213], v204 offset0:10 offset1:11
	v_add_f64 v[180:181], v[180:181], -v[128:129]
	s_waitcnt lgkmcnt(1)
	v_mul_f64 v[128:129], v[194:195], v[130:131]
	v_fma_f64 v[128:129], v[192:193], v[202:203], -v[128:129]
	v_mul_f64 v[192:193], v[192:193], v[130:131]
	v_fmac_f64_e32 v[192:193], v[194:195], v[202:203]
	s_waitcnt vmcnt(43)
	v_add_f64 v[176:177], v[176:177], -v[128:129]
	v_add_f64 v[178:179], v[178:179], -v[192:193]
	;; [unrolled: 18-line block ×23, first 2 shown]
	s_waitcnt lgkmcnt(0)
	v_mul_f64 v[128:129], v[212:213], v[130:131]
	v_mul_f64 v[192:193], v[210:211], v[130:131]
	v_fma_f64 v[128:129], v[210:211], v[202:203], -v[128:129]
	v_fmac_f64_e32 v[192:193], v[212:213], v[202:203]
	s_waitcnt vmcnt(0)
	v_add_f64 v[188:189], v[188:189], -v[128:129]
	v_add_f64 v[190:191], v[190:191], -v[192:193]
	v_mov_b64_e32 v[128:129], v[202:203]
.LBB94_22:
	s_or_b64 exec, exec, s[0:1]
	v_lshl_add_u32 v192, v205, 4, v204
	s_barrier
	s_waitcnt vmcnt(46)
	ds_write2_b64 v192, v[120:121], v[122:123] offset1:1
	s_waitcnt lgkmcnt(0)
	s_barrier
	ds_read2_b64 v[192:195], v204 offset0:2 offset1:3
	s_cmp_lt_i32 s20, 3
	v_mov_b32_e32 v202, 1
	s_cbranch_scc1 .LBB94_25
; %bb.23:
	v_add3_u32 v203, v208, 0, 32
	s_mov_b32 s16, 2
	v_mov_b32_e32 v202, 1
.LBB94_24:                              ; =>This Inner Loop Header: Depth=1
	ds_read2_b64 v[210:213], v203 offset1:1
	s_waitcnt lgkmcnt(1)
	v_xor_b32_e32 v215, 0x80000000, v193
	v_xor_b32_e32 v217, 0x80000000, v195
	v_cmp_gt_f64_e32 vcc, 0, v[194:195]
	v_cmp_gt_f64_e64 s[0:1], 0, v[192:193]
	v_mov_b32_e32 v214, v192
	v_mov_b32_e32 v216, v194
	v_cndmask_b32_e64 v215, v193, v215, s[0:1]
	v_cndmask_b32_e32 v217, v195, v217, vcc
	v_add_f64 v[214:215], v[214:215], v[216:217]
	s_waitcnt lgkmcnt(0)
	v_xor_b32_e32 v217, 0x80000000, v211
	v_xor_b32_e32 v219, 0x80000000, v213
	v_cmp_gt_f64_e32 vcc, 0, v[212:213]
	v_cmp_gt_f64_e64 s[0:1], 0, v[210:211]
	v_mov_b32_e32 v216, v210
	v_mov_b32_e32 v218, v212
	v_cndmask_b32_e64 v217, v211, v217, s[0:1]
	v_cndmask_b32_e32 v219, v213, v219, vcc
	v_add_f64 v[216:217], v[216:217], v[218:219]
	v_mov_b32_e32 v220, s16
	s_add_i32 s16, s16, 1
	v_cmp_lt_f64_e32 vcc, v[214:215], v[216:217]
	v_add_u32_e32 v203, 16, v203
	s_cmp_lg_u32 s20, s16
	v_cndmask_b32_e32 v193, v193, v211, vcc
	v_cndmask_b32_e32 v192, v192, v210, vcc
	;; [unrolled: 1-line block ×5, first 2 shown]
	s_cbranch_scc1 .LBB94_24
.LBB94_25:
	s_waitcnt lgkmcnt(0)
	v_cmp_neq_f64_e32 vcc, 0, v[192:193]
	v_cmp_neq_f64_e64 s[0:1], 0, v[194:195]
	s_or_b64 s[16:17], vcc, s[0:1]
	s_and_saveexec_b64 s[0:1], s[16:17]
	s_cbranch_execz .LBB94_31
; %bb.26:
	v_cmp_ngt_f64_e64 s[16:17], |v[192:193]|, |v[194:195]|
	s_and_saveexec_b64 s[18:19], s[16:17]
	s_xor_b64 s[16:17], exec, s[18:19]
	s_cbranch_execz .LBB94_28
; %bb.27:
	v_div_scale_f64 v[210:211], s[18:19], v[194:195], v[194:195], v[192:193]
	v_rcp_f64_e32 v[212:213], v[210:211]
	v_div_scale_f64 v[214:215], vcc, v[192:193], v[194:195], v[192:193]
	v_fma_f64 v[216:217], -v[210:211], v[212:213], 1.0
	v_fmac_f64_e32 v[212:213], v[212:213], v[216:217]
	v_fma_f64 v[216:217], -v[210:211], v[212:213], 1.0
	v_fmac_f64_e32 v[212:213], v[212:213], v[216:217]
	v_mul_f64 v[216:217], v[214:215], v[212:213]
	v_fma_f64 v[210:211], -v[210:211], v[216:217], v[214:215]
	v_div_fmas_f64 v[210:211], v[210:211], v[212:213], v[216:217]
	v_div_fixup_f64 v[210:211], v[210:211], v[194:195], v[192:193]
	v_fmac_f64_e32 v[194:195], v[192:193], v[210:211]
	v_div_scale_f64 v[192:193], s[18:19], v[194:195], v[194:195], 1.0
	v_rcp_f64_e32 v[212:213], v[192:193]
	s_nop 0
	v_fma_f64 v[214:215], -v[192:193], v[212:213], 1.0
	v_fmac_f64_e32 v[212:213], v[212:213], v[214:215]
	v_fma_f64 v[214:215], -v[192:193], v[212:213], 1.0
	v_fmac_f64_e32 v[212:213], v[212:213], v[214:215]
	v_div_scale_f64 v[214:215], vcc, 1.0, v[194:195], 1.0
	v_mul_f64 v[216:217], v[214:215], v[212:213]
	v_fma_f64 v[192:193], -v[192:193], v[216:217], v[214:215]
	s_nop 1
	v_div_fmas_f64 v[192:193], v[192:193], v[212:213], v[216:217]
	v_div_fixup_f64 v[194:195], v[192:193], v[194:195], 1.0
	v_mul_f64 v[192:193], v[210:211], v[194:195]
	v_xor_b32_e32 v195, 0x80000000, v195
.LBB94_28:
	s_andn2_saveexec_b64 s[16:17], s[16:17]
	s_cbranch_execz .LBB94_30
; %bb.29:
	v_div_scale_f64 v[210:211], s[18:19], v[192:193], v[192:193], v[194:195]
	v_rcp_f64_e32 v[212:213], v[210:211]
	v_div_scale_f64 v[214:215], vcc, v[194:195], v[192:193], v[194:195]
	v_fma_f64 v[216:217], -v[210:211], v[212:213], 1.0
	v_fmac_f64_e32 v[212:213], v[212:213], v[216:217]
	v_fma_f64 v[216:217], -v[210:211], v[212:213], 1.0
	v_fmac_f64_e32 v[212:213], v[212:213], v[216:217]
	v_mul_f64 v[216:217], v[214:215], v[212:213]
	v_fma_f64 v[210:211], -v[210:211], v[216:217], v[214:215]
	v_div_fmas_f64 v[210:211], v[210:211], v[212:213], v[216:217]
	v_div_fixup_f64 v[210:211], v[210:211], v[192:193], v[194:195]
	v_fmac_f64_e32 v[192:193], v[194:195], v[210:211]
	v_div_scale_f64 v[194:195], s[18:19], v[192:193], v[192:193], 1.0
	v_rcp_f64_e32 v[212:213], v[194:195]
	s_nop 0
	v_fma_f64 v[214:215], -v[194:195], v[212:213], 1.0
	v_fmac_f64_e32 v[212:213], v[212:213], v[214:215]
	v_fma_f64 v[214:215], -v[194:195], v[212:213], 1.0
	v_fmac_f64_e32 v[212:213], v[212:213], v[214:215]
	v_div_scale_f64 v[214:215], vcc, 1.0, v[192:193], 1.0
	v_mul_f64 v[216:217], v[214:215], v[212:213]
	v_fma_f64 v[194:195], -v[194:195], v[216:217], v[214:215]
	s_nop 1
	v_div_fmas_f64 v[194:195], v[194:195], v[212:213], v[216:217]
	v_div_fixup_f64 v[192:193], v[194:195], v[192:193], 1.0
	v_mul_f64 v[194:195], v[210:211], -v[192:193]
.LBB94_30:
	s_or_b64 exec, exec, s[16:17]
	v_mov_b32_e32 v206, v209
.LBB94_31:
	s_or_b64 exec, exec, s[0:1]
	v_cmp_ne_u32_e32 vcc, v205, v202
	s_and_saveexec_b64 s[0:1], vcc
	s_xor_b64 s[0:1], exec, s[0:1]
	s_cbranch_execz .LBB94_37
; %bb.32:
	v_cmp_eq_u32_e32 vcc, 1, v205
	s_and_saveexec_b64 s[16:17], vcc
	s_cbranch_execz .LBB94_36
; %bb.33:
	v_cmp_ne_u32_e32 vcc, 1, v202
	s_xor_b64 s[18:19], s[14:15], -1
	s_and_b64 s[22:23], s[18:19], vcc
	s_and_saveexec_b64 s[18:19], s[22:23]
	s_cbranch_execz .LBB94_35
; %bb.34:
	v_ashrrev_i32_e32 v203, 31, v202
	v_lshl_add_u64 v[210:211], v[202:203], 2, v[200:201]
	global_load_dword v203, v[210:211], off
	global_load_dword v205, v[200:201], off offset:4
	s_waitcnt vmcnt(1)
	global_store_dword v[200:201], v203, off offset:4
	s_waitcnt vmcnt(1)
	global_store_dword v[210:211], v205, off
.LBB94_35:
	s_or_b64 exec, exec, s[18:19]
	v_mov_b32_e32 v205, v202
	v_mov_b32_e32 v207, v202
.LBB94_36:
	s_or_b64 exec, exec, s[16:17]
.LBB94_37:
	s_andn2_saveexec_b64 s[0:1], s[0:1]
	s_cbranch_execz .LBB94_39
; %bb.38:
	v_mov_b32_e32 v205, 1
	s_waitcnt vmcnt(45)
	ds_write2_b64 v204, v[184:185], v[186:187] offset0:4 offset1:5
	s_waitcnt vmcnt(44)
	ds_write2_b64 v204, v[180:181], v[182:183] offset0:6 offset1:7
	;; [unrolled: 2-line block ×46, first 2 shown]
.LBB94_39:
	s_or_b64 exec, exec, s[0:1]
	v_cmp_lt_i32_e32 vcc, 1, v205
	s_waitcnt lgkmcnt(0)
	s_barrier
	s_and_saveexec_b64 s[0:1], vcc
	s_cbranch_execz .LBB94_41
; %bb.40:
	ds_read2_b64 v[210:213], v204 offset0:4 offset1:5
	v_mul_f64 v[202:203], v[194:195], v[122:123]
	v_mul_f64 v[122:123], v[192:193], v[122:123]
	v_fma_f64 v[202:203], v[192:193], v[120:121], -v[202:203]
	v_fmac_f64_e32 v[122:123], v[194:195], v[120:121]
	ds_read2_b64 v[192:195], v204 offset0:6 offset1:7
	s_waitcnt lgkmcnt(1)
	v_mul_f64 v[120:121], v[212:213], v[122:123]
	v_fma_f64 v[120:121], v[210:211], v[202:203], -v[120:121]
	v_mul_f64 v[210:211], v[210:211], v[122:123]
	v_fmac_f64_e32 v[210:211], v[212:213], v[202:203]
	s_waitcnt vmcnt(45)
	v_add_f64 v[184:185], v[184:185], -v[120:121]
	s_waitcnt lgkmcnt(0)
	v_mul_f64 v[120:121], v[194:195], v[122:123]
	v_add_f64 v[186:187], v[186:187], -v[210:211]
	v_fma_f64 v[120:121], v[192:193], v[202:203], -v[120:121]
	v_mul_f64 v[192:193], v[192:193], v[122:123]
	ds_read2_b64 v[210:213], v204 offset0:8 offset1:9
	v_fmac_f64_e32 v[192:193], v[194:195], v[202:203]
	s_waitcnt vmcnt(44)
	v_add_f64 v[182:183], v[182:183], -v[192:193]
	ds_read2_b64 v[192:195], v204 offset0:10 offset1:11
	v_add_f64 v[180:181], v[180:181], -v[120:121]
	s_waitcnt lgkmcnt(1)
	v_mul_f64 v[120:121], v[212:213], v[122:123]
	v_fma_f64 v[120:121], v[210:211], v[202:203], -v[120:121]
	v_mul_f64 v[210:211], v[210:211], v[122:123]
	v_fmac_f64_e32 v[210:211], v[212:213], v[202:203]
	s_waitcnt vmcnt(43)
	v_add_f64 v[176:177], v[176:177], -v[120:121]
	s_waitcnt lgkmcnt(0)
	v_mul_f64 v[120:121], v[194:195], v[122:123]
	v_add_f64 v[178:179], v[178:179], -v[210:211]
	v_fma_f64 v[120:121], v[192:193], v[202:203], -v[120:121]
	v_mul_f64 v[192:193], v[192:193], v[122:123]
	ds_read2_b64 v[210:213], v204 offset0:12 offset1:13
	v_fmac_f64_e32 v[192:193], v[194:195], v[202:203]
	s_waitcnt vmcnt(42)
	v_add_f64 v[174:175], v[174:175], -v[192:193]
	ds_read2_b64 v[192:195], v204 offset0:14 offset1:15
	v_add_f64 v[172:173], v[172:173], -v[120:121]
	;; [unrolled: 18-line block ×22, first 2 shown]
	s_waitcnt lgkmcnt(1)
	v_mul_f64 v[120:121], v[212:213], v[122:123]
	v_fma_f64 v[120:121], v[210:211], v[202:203], -v[120:121]
	s_waitcnt vmcnt(1)
	v_add_f64 v[0:1], v[0:1], -v[120:121]
	s_waitcnt lgkmcnt(0)
	v_mul_f64 v[120:121], v[194:195], v[122:123]
	v_mul_f64 v[210:211], v[210:211], v[122:123]
	v_fma_f64 v[120:121], v[192:193], v[202:203], -v[120:121]
	v_mul_f64 v[192:193], v[192:193], v[122:123]
	v_fmac_f64_e32 v[210:211], v[212:213], v[202:203]
	v_fmac_f64_e32 v[192:193], v[194:195], v[202:203]
	v_add_f64 v[2:3], v[2:3], -v[210:211]
	s_waitcnt vmcnt(0)
	v_add_f64 v[188:189], v[188:189], -v[120:121]
	v_add_f64 v[190:191], v[190:191], -v[192:193]
	v_mov_b64_e32 v[120:121], v[202:203]
.LBB94_41:
	s_or_b64 exec, exec, s[0:1]
	v_lshl_add_u32 v192, v205, 4, v204
	s_barrier
	s_waitcnt vmcnt(45)
	ds_write2_b64 v192, v[184:185], v[186:187] offset1:1
	s_waitcnt lgkmcnt(0)
	s_barrier
	ds_read2_b64 v[192:195], v204 offset0:4 offset1:5
	s_cmp_lt_i32 s20, 4
	v_mov_b32_e32 v202, 2
	s_cbranch_scc1 .LBB94_44
; %bb.42:
	v_add3_u32 v203, v208, 0, 48
	s_mov_b32 s16, 3
	v_mov_b32_e32 v202, 2
.LBB94_43:                              ; =>This Inner Loop Header: Depth=1
	ds_read2_b64 v[210:213], v203 offset1:1
	s_waitcnt lgkmcnt(1)
	v_xor_b32_e32 v209, 0x80000000, v193
	v_xor_b32_e32 v217, 0x80000000, v195
	v_cmp_gt_f64_e32 vcc, 0, v[194:195]
	v_cmp_gt_f64_e64 s[0:1], 0, v[192:193]
	v_mov_b32_e32 v214, v192
	v_mov_b32_e32 v216, v194
	v_cndmask_b32_e64 v215, v193, v209, s[0:1]
	v_cndmask_b32_e32 v217, v195, v217, vcc
	s_waitcnt lgkmcnt(0)
	v_xor_b32_e32 v209, 0x80000000, v211
	v_xor_b32_e32 v219, 0x80000000, v213
	v_cmp_gt_f64_e32 vcc, 0, v[212:213]
	v_cmp_gt_f64_e64 s[0:1], 0, v[210:211]
	v_add_f64 v[214:215], v[214:215], v[216:217]
	v_mov_b32_e32 v216, v210
	v_mov_b32_e32 v218, v212
	v_cndmask_b32_e64 v217, v211, v209, s[0:1]
	v_cndmask_b32_e32 v219, v213, v219, vcc
	v_add_f64 v[216:217], v[216:217], v[218:219]
	v_mov_b32_e32 v220, s16
	s_add_i32 s16, s16, 1
	v_cmp_lt_f64_e32 vcc, v[214:215], v[216:217]
	v_add_u32_e32 v203, 16, v203
	s_cmp_lg_u32 s20, s16
	v_cndmask_b32_e32 v193, v193, v211, vcc
	v_cndmask_b32_e32 v192, v192, v210, vcc
	;; [unrolled: 1-line block ×5, first 2 shown]
	s_cbranch_scc1 .LBB94_43
.LBB94_44:
	s_waitcnt lgkmcnt(0)
	v_cmp_eq_f64_e32 vcc, 0, v[192:193]
	v_cmp_eq_f64_e64 s[0:1], 0, v[194:195]
	s_and_b64 s[0:1], vcc, s[0:1]
	s_and_saveexec_b64 s[16:17], s[0:1]
	s_xor_b64 s[0:1], exec, s[16:17]
; %bb.45:
	v_cmp_ne_u32_e32 vcc, 0, v206
	s_nop 1
	v_cndmask_b32_e32 v206, 3, v206, vcc
; %bb.46:
	s_andn2_saveexec_b64 s[0:1], s[0:1]
	s_cbranch_execz .LBB94_52
; %bb.47:
	v_cmp_ngt_f64_e64 s[16:17], |v[192:193]|, |v[194:195]|
	s_and_saveexec_b64 s[18:19], s[16:17]
	s_xor_b64 s[16:17], exec, s[18:19]
	s_cbranch_execz .LBB94_49
; %bb.48:
	v_div_scale_f64 v[210:211], s[18:19], v[194:195], v[194:195], v[192:193]
	v_rcp_f64_e32 v[212:213], v[210:211]
	v_div_scale_f64 v[214:215], vcc, v[192:193], v[194:195], v[192:193]
	v_fma_f64 v[216:217], -v[210:211], v[212:213], 1.0
	v_fmac_f64_e32 v[212:213], v[212:213], v[216:217]
	v_fma_f64 v[216:217], -v[210:211], v[212:213], 1.0
	v_fmac_f64_e32 v[212:213], v[212:213], v[216:217]
	v_mul_f64 v[216:217], v[214:215], v[212:213]
	v_fma_f64 v[210:211], -v[210:211], v[216:217], v[214:215]
	v_div_fmas_f64 v[210:211], v[210:211], v[212:213], v[216:217]
	v_div_fixup_f64 v[210:211], v[210:211], v[194:195], v[192:193]
	v_fmac_f64_e32 v[194:195], v[192:193], v[210:211]
	v_div_scale_f64 v[192:193], s[18:19], v[194:195], v[194:195], 1.0
	v_rcp_f64_e32 v[212:213], v[192:193]
	s_nop 0
	v_fma_f64 v[214:215], -v[192:193], v[212:213], 1.0
	v_fmac_f64_e32 v[212:213], v[212:213], v[214:215]
	v_fma_f64 v[214:215], -v[192:193], v[212:213], 1.0
	v_fmac_f64_e32 v[212:213], v[212:213], v[214:215]
	v_div_scale_f64 v[214:215], vcc, 1.0, v[194:195], 1.0
	v_mul_f64 v[216:217], v[214:215], v[212:213]
	v_fma_f64 v[192:193], -v[192:193], v[216:217], v[214:215]
	s_nop 1
	v_div_fmas_f64 v[192:193], v[192:193], v[212:213], v[216:217]
	v_div_fixup_f64 v[194:195], v[192:193], v[194:195], 1.0
	v_mul_f64 v[192:193], v[210:211], v[194:195]
	v_xor_b32_e32 v195, 0x80000000, v195
.LBB94_49:
	s_andn2_saveexec_b64 s[16:17], s[16:17]
	s_cbranch_execz .LBB94_51
; %bb.50:
	v_div_scale_f64 v[210:211], s[18:19], v[192:193], v[192:193], v[194:195]
	v_rcp_f64_e32 v[212:213], v[210:211]
	v_div_scale_f64 v[214:215], vcc, v[194:195], v[192:193], v[194:195]
	v_fma_f64 v[216:217], -v[210:211], v[212:213], 1.0
	v_fmac_f64_e32 v[212:213], v[212:213], v[216:217]
	v_fma_f64 v[216:217], -v[210:211], v[212:213], 1.0
	v_fmac_f64_e32 v[212:213], v[212:213], v[216:217]
	v_mul_f64 v[216:217], v[214:215], v[212:213]
	v_fma_f64 v[210:211], -v[210:211], v[216:217], v[214:215]
	v_div_fmas_f64 v[210:211], v[210:211], v[212:213], v[216:217]
	v_div_fixup_f64 v[210:211], v[210:211], v[192:193], v[194:195]
	v_fmac_f64_e32 v[192:193], v[194:195], v[210:211]
	v_div_scale_f64 v[194:195], s[18:19], v[192:193], v[192:193], 1.0
	v_rcp_f64_e32 v[212:213], v[194:195]
	s_nop 0
	v_fma_f64 v[214:215], -v[194:195], v[212:213], 1.0
	v_fmac_f64_e32 v[212:213], v[212:213], v[214:215]
	v_fma_f64 v[214:215], -v[194:195], v[212:213], 1.0
	v_fmac_f64_e32 v[212:213], v[212:213], v[214:215]
	v_div_scale_f64 v[214:215], vcc, 1.0, v[192:193], 1.0
	v_mul_f64 v[216:217], v[214:215], v[212:213]
	v_fma_f64 v[194:195], -v[194:195], v[216:217], v[214:215]
	s_nop 1
	v_div_fmas_f64 v[194:195], v[194:195], v[212:213], v[216:217]
	v_div_fixup_f64 v[192:193], v[194:195], v[192:193], 1.0
	v_mul_f64 v[194:195], v[210:211], -v[192:193]
.LBB94_51:
	s_or_b64 exec, exec, s[16:17]
.LBB94_52:
	s_or_b64 exec, exec, s[0:1]
	v_cmp_ne_u32_e32 vcc, v205, v202
	s_and_saveexec_b64 s[0:1], vcc
	s_xor_b64 s[0:1], exec, s[0:1]
	s_cbranch_execz .LBB94_58
; %bb.53:
	v_cmp_eq_u32_e32 vcc, 2, v205
	s_and_saveexec_b64 s[16:17], vcc
	s_cbranch_execz .LBB94_57
; %bb.54:
	v_cmp_ne_u32_e32 vcc, 2, v202
	s_xor_b64 s[18:19], s[14:15], -1
	s_and_b64 s[22:23], s[18:19], vcc
	s_and_saveexec_b64 s[18:19], s[22:23]
	s_cbranch_execz .LBB94_56
; %bb.55:
	v_ashrrev_i32_e32 v203, 31, v202
	v_lshl_add_u64 v[210:211], v[202:203], 2, v[200:201]
	global_load_dword v203, v[210:211], off
	global_load_dword v205, v[200:201], off offset:8
	s_waitcnt vmcnt(1)
	global_store_dword v[200:201], v203, off offset:8
	s_waitcnt vmcnt(1)
	global_store_dword v[210:211], v205, off
.LBB94_56:
	s_or_b64 exec, exec, s[18:19]
	v_mov_b32_e32 v205, v202
	v_mov_b32_e32 v207, v202
.LBB94_57:
	s_or_b64 exec, exec, s[16:17]
.LBB94_58:
	s_andn2_saveexec_b64 s[0:1], s[0:1]
	s_cbranch_execz .LBB94_60
; %bb.59:
	v_mov_b32_e32 v205, 2
	s_waitcnt vmcnt(44)
	ds_write2_b64 v204, v[180:181], v[182:183] offset0:6 offset1:7
	s_waitcnt vmcnt(43)
	ds_write2_b64 v204, v[176:177], v[178:179] offset0:8 offset1:9
	;; [unrolled: 2-line block ×45, first 2 shown]
.LBB94_60:
	s_or_b64 exec, exec, s[0:1]
	v_cmp_lt_i32_e32 vcc, 2, v205
	s_waitcnt lgkmcnt(0)
	s_barrier
	s_and_saveexec_b64 s[0:1], vcc
	s_cbranch_execz .LBB94_62
; %bb.61:
	ds_read2_b64 v[210:213], v204 offset0:6 offset1:7
	v_mul_f64 v[202:203], v[194:195], v[186:187]
	v_mul_f64 v[186:187], v[192:193], v[186:187]
	v_fmac_f64_e32 v[186:187], v[194:195], v[184:185]
	v_fma_f64 v[202:203], v[192:193], v[184:185], -v[202:203]
	ds_read2_b64 v[192:195], v204 offset0:8 offset1:9
	s_waitcnt lgkmcnt(1)
	v_mul_f64 v[184:185], v[212:213], v[186:187]
	v_fma_f64 v[184:185], v[210:211], v[202:203], -v[184:185]
	v_mul_f64 v[210:211], v[210:211], v[186:187]
	v_fmac_f64_e32 v[210:211], v[212:213], v[202:203]
	s_waitcnt vmcnt(44)
	v_add_f64 v[182:183], v[182:183], -v[210:211]
	ds_read2_b64 v[210:213], v204 offset0:10 offset1:11
	v_add_f64 v[180:181], v[180:181], -v[184:185]
	s_waitcnt lgkmcnt(1)
	v_mul_f64 v[184:185], v[194:195], v[186:187]
	v_fma_f64 v[184:185], v[192:193], v[202:203], -v[184:185]
	v_mul_f64 v[192:193], v[192:193], v[186:187]
	v_fmac_f64_e32 v[192:193], v[194:195], v[202:203]
	s_waitcnt vmcnt(43)
	v_add_f64 v[176:177], v[176:177], -v[184:185]
	v_add_f64 v[178:179], v[178:179], -v[192:193]
	ds_read2_b64 v[192:195], v204 offset0:12 offset1:13
	s_waitcnt lgkmcnt(1)
	v_mul_f64 v[184:185], v[212:213], v[186:187]
	v_fma_f64 v[184:185], v[210:211], v[202:203], -v[184:185]
	v_mul_f64 v[210:211], v[210:211], v[186:187]
	v_fmac_f64_e32 v[210:211], v[212:213], v[202:203]
	s_waitcnt vmcnt(42)
	v_add_f64 v[174:175], v[174:175], -v[210:211]
	ds_read2_b64 v[210:213], v204 offset0:14 offset1:15
	v_add_f64 v[172:173], v[172:173], -v[184:185]
	s_waitcnt lgkmcnt(1)
	v_mul_f64 v[184:185], v[194:195], v[186:187]
	v_fma_f64 v[184:185], v[192:193], v[202:203], -v[184:185]
	v_mul_f64 v[192:193], v[192:193], v[186:187]
	v_fmac_f64_e32 v[192:193], v[194:195], v[202:203]
	s_waitcnt vmcnt(41)
	v_add_f64 v[168:169], v[168:169], -v[184:185]
	v_add_f64 v[170:171], v[170:171], -v[192:193]
	;; [unrolled: 18-line block ×22, first 2 shown]
	s_waitcnt lgkmcnt(0)
	v_mul_f64 v[184:185], v[212:213], v[186:187]
	v_mul_f64 v[192:193], v[210:211], v[186:187]
	v_fma_f64 v[184:185], v[210:211], v[202:203], -v[184:185]
	v_fmac_f64_e32 v[192:193], v[212:213], v[202:203]
	s_waitcnt vmcnt(0)
	v_add_f64 v[188:189], v[188:189], -v[184:185]
	v_add_f64 v[190:191], v[190:191], -v[192:193]
	v_mov_b64_e32 v[184:185], v[202:203]
.LBB94_62:
	s_or_b64 exec, exec, s[0:1]
	v_lshl_add_u32 v192, v205, 4, v204
	s_barrier
	s_waitcnt vmcnt(44)
	ds_write2_b64 v192, v[180:181], v[182:183] offset1:1
	s_waitcnt lgkmcnt(0)
	s_barrier
	ds_read2_b64 v[192:195], v204 offset0:6 offset1:7
	s_mov_b32 s16, 4
	s_cmp_lt_i32 s20, 5
	v_mov_b32_e32 v202, 3
	s_cbranch_scc1 .LBB94_65
; %bb.63:
	v_add3_u32 v203, v208, 0, 64
	v_mov_b32_e32 v202, 3
.LBB94_64:                              ; =>This Inner Loop Header: Depth=1
	ds_read2_b64 v[208:211], v203 offset1:1
	s_waitcnt lgkmcnt(1)
	v_xor_b32_e32 v213, 0x80000000, v193
	v_xor_b32_e32 v215, 0x80000000, v195
	v_cmp_gt_f64_e32 vcc, 0, v[194:195]
	v_cmp_gt_f64_e64 s[0:1], 0, v[192:193]
	v_mov_b32_e32 v212, v192
	v_mov_b32_e32 v214, v194
	v_cndmask_b32_e64 v213, v193, v213, s[0:1]
	v_cndmask_b32_e32 v215, v195, v215, vcc
	v_add_f64 v[212:213], v[212:213], v[214:215]
	s_waitcnt lgkmcnt(0)
	v_xor_b32_e32 v215, 0x80000000, v209
	v_xor_b32_e32 v217, 0x80000000, v211
	v_cmp_gt_f64_e32 vcc, 0, v[210:211]
	v_cmp_gt_f64_e64 s[0:1], 0, v[208:209]
	v_mov_b32_e32 v214, v208
	v_mov_b32_e32 v216, v210
	v_cndmask_b32_e64 v215, v209, v215, s[0:1]
	v_cndmask_b32_e32 v217, v211, v217, vcc
	v_add_f64 v[214:215], v[214:215], v[216:217]
	v_mov_b32_e32 v218, s16
	s_add_i32 s16, s16, 1
	v_cmp_lt_f64_e32 vcc, v[212:213], v[214:215]
	v_add_u32_e32 v203, 16, v203
	s_cmp_lg_u32 s20, s16
	v_cndmask_b32_e32 v193, v193, v209, vcc
	v_cndmask_b32_e32 v192, v192, v208, vcc
	;; [unrolled: 1-line block ×5, first 2 shown]
	s_cbranch_scc1 .LBB94_64
.LBB94_65:
	s_waitcnt lgkmcnt(0)
	v_cmp_eq_f64_e32 vcc, 0, v[192:193]
	v_cmp_eq_f64_e64 s[0:1], 0, v[194:195]
	s_and_b64 s[0:1], vcc, s[0:1]
	s_and_saveexec_b64 s[16:17], s[0:1]
	s_xor_b64 s[0:1], exec, s[16:17]
; %bb.66:
	v_cmp_ne_u32_e32 vcc, 0, v206
	s_nop 1
	v_cndmask_b32_e32 v206, 4, v206, vcc
; %bb.67:
	s_andn2_saveexec_b64 s[0:1], s[0:1]
	s_cbranch_execz .LBB94_73
; %bb.68:
	v_cmp_ngt_f64_e64 s[16:17], |v[192:193]|, |v[194:195]|
	s_and_saveexec_b64 s[18:19], s[16:17]
	s_xor_b64 s[16:17], exec, s[18:19]
	s_cbranch_execz .LBB94_70
; %bb.69:
	v_div_scale_f64 v[208:209], s[18:19], v[194:195], v[194:195], v[192:193]
	v_rcp_f64_e32 v[210:211], v[208:209]
	v_div_scale_f64 v[212:213], vcc, v[192:193], v[194:195], v[192:193]
	v_fma_f64 v[214:215], -v[208:209], v[210:211], 1.0
	v_fmac_f64_e32 v[210:211], v[210:211], v[214:215]
	v_fma_f64 v[214:215], -v[208:209], v[210:211], 1.0
	v_fmac_f64_e32 v[210:211], v[210:211], v[214:215]
	v_mul_f64 v[214:215], v[212:213], v[210:211]
	v_fma_f64 v[208:209], -v[208:209], v[214:215], v[212:213]
	v_div_fmas_f64 v[208:209], v[208:209], v[210:211], v[214:215]
	v_div_fixup_f64 v[208:209], v[208:209], v[194:195], v[192:193]
	v_fmac_f64_e32 v[194:195], v[192:193], v[208:209]
	v_div_scale_f64 v[192:193], s[18:19], v[194:195], v[194:195], 1.0
	v_rcp_f64_e32 v[210:211], v[192:193]
	s_nop 0
	v_fma_f64 v[212:213], -v[192:193], v[210:211], 1.0
	v_fmac_f64_e32 v[210:211], v[210:211], v[212:213]
	v_fma_f64 v[212:213], -v[192:193], v[210:211], 1.0
	v_fmac_f64_e32 v[210:211], v[210:211], v[212:213]
	v_div_scale_f64 v[212:213], vcc, 1.0, v[194:195], 1.0
	v_mul_f64 v[214:215], v[212:213], v[210:211]
	v_fma_f64 v[192:193], -v[192:193], v[214:215], v[212:213]
	s_nop 1
	v_div_fmas_f64 v[192:193], v[192:193], v[210:211], v[214:215]
	v_div_fixup_f64 v[194:195], v[192:193], v[194:195], 1.0
	v_mul_f64 v[192:193], v[208:209], v[194:195]
	v_xor_b32_e32 v195, 0x80000000, v195
.LBB94_70:
	s_andn2_saveexec_b64 s[16:17], s[16:17]
	s_cbranch_execz .LBB94_72
; %bb.71:
	v_div_scale_f64 v[208:209], s[18:19], v[192:193], v[192:193], v[194:195]
	v_rcp_f64_e32 v[210:211], v[208:209]
	v_div_scale_f64 v[212:213], vcc, v[194:195], v[192:193], v[194:195]
	v_fma_f64 v[214:215], -v[208:209], v[210:211], 1.0
	v_fmac_f64_e32 v[210:211], v[210:211], v[214:215]
	v_fma_f64 v[214:215], -v[208:209], v[210:211], 1.0
	v_fmac_f64_e32 v[210:211], v[210:211], v[214:215]
	v_mul_f64 v[214:215], v[212:213], v[210:211]
	v_fma_f64 v[208:209], -v[208:209], v[214:215], v[212:213]
	v_div_fmas_f64 v[208:209], v[208:209], v[210:211], v[214:215]
	v_div_fixup_f64 v[208:209], v[208:209], v[192:193], v[194:195]
	v_fmac_f64_e32 v[192:193], v[194:195], v[208:209]
	v_div_scale_f64 v[194:195], s[18:19], v[192:193], v[192:193], 1.0
	v_rcp_f64_e32 v[210:211], v[194:195]
	s_nop 0
	v_fma_f64 v[212:213], -v[194:195], v[210:211], 1.0
	v_fmac_f64_e32 v[210:211], v[210:211], v[212:213]
	v_fma_f64 v[212:213], -v[194:195], v[210:211], 1.0
	v_fmac_f64_e32 v[210:211], v[210:211], v[212:213]
	v_div_scale_f64 v[212:213], vcc, 1.0, v[192:193], 1.0
	v_mul_f64 v[214:215], v[212:213], v[210:211]
	v_fma_f64 v[194:195], -v[194:195], v[214:215], v[212:213]
	s_nop 1
	v_div_fmas_f64 v[194:195], v[194:195], v[210:211], v[214:215]
	v_div_fixup_f64 v[192:193], v[194:195], v[192:193], 1.0
	v_mul_f64 v[194:195], v[208:209], -v[192:193]
.LBB94_72:
	s_or_b64 exec, exec, s[16:17]
.LBB94_73:
	s_or_b64 exec, exec, s[0:1]
	v_cmp_ne_u32_e32 vcc, v205, v202
	s_and_saveexec_b64 s[0:1], vcc
	s_xor_b64 s[0:1], exec, s[0:1]
	s_cbranch_execz .LBB94_79
; %bb.74:
	v_cmp_eq_u32_e32 vcc, 3, v205
	s_and_saveexec_b64 s[16:17], vcc
	s_cbranch_execz .LBB94_78
; %bb.75:
	v_cmp_ne_u32_e32 vcc, 3, v202
	s_xor_b64 s[18:19], s[14:15], -1
	s_and_b64 s[22:23], s[18:19], vcc
	s_and_saveexec_b64 s[18:19], s[22:23]
	s_cbranch_execz .LBB94_77
; %bb.76:
	v_ashrrev_i32_e32 v203, 31, v202
	v_lshl_add_u64 v[208:209], v[202:203], 2, v[200:201]
	global_load_dword v203, v[208:209], off
	global_load_dword v205, v[200:201], off offset:12
	s_waitcnt vmcnt(1)
	global_store_dword v[200:201], v203, off offset:12
	s_waitcnt vmcnt(1)
	global_store_dword v[208:209], v205, off
.LBB94_77:
	s_or_b64 exec, exec, s[18:19]
	v_mov_b32_e32 v205, v202
	v_mov_b32_e32 v207, v202
.LBB94_78:
	s_or_b64 exec, exec, s[16:17]
.LBB94_79:
	s_andn2_saveexec_b64 s[0:1], s[0:1]
	s_cbranch_execz .LBB94_81
; %bb.80:
	v_mov_b32_e32 v205, 3
	s_waitcnt vmcnt(43)
	ds_write2_b64 v204, v[176:177], v[178:179] offset0:8 offset1:9
	s_waitcnt vmcnt(42)
	ds_write2_b64 v204, v[172:173], v[174:175] offset0:10 offset1:11
	;; [unrolled: 2-line block ×44, first 2 shown]
.LBB94_81:
	s_or_b64 exec, exec, s[0:1]
	v_cmp_lt_i32_e32 vcc, 3, v205
	s_waitcnt lgkmcnt(0)
	s_barrier
	s_and_saveexec_b64 s[0:1], vcc
	s_cbranch_execz .LBB94_83
; %bb.82:
	ds_read2_b64 v[208:211], v204 offset0:8 offset1:9
	v_mul_f64 v[202:203], v[194:195], v[182:183]
	v_mul_f64 v[182:183], v[192:193], v[182:183]
	v_fma_f64 v[202:203], v[192:193], v[180:181], -v[202:203]
	v_fmac_f64_e32 v[182:183], v[194:195], v[180:181]
	ds_read2_b64 v[192:195], v204 offset0:10 offset1:11
	s_waitcnt lgkmcnt(1)
	v_mul_f64 v[180:181], v[210:211], v[182:183]
	v_fma_f64 v[180:181], v[208:209], v[202:203], -v[180:181]
	v_mul_f64 v[208:209], v[208:209], v[182:183]
	v_fmac_f64_e32 v[208:209], v[210:211], v[202:203]
	s_waitcnt vmcnt(43)
	v_add_f64 v[176:177], v[176:177], -v[180:181]
	s_waitcnt lgkmcnt(0)
	v_mul_f64 v[180:181], v[194:195], v[182:183]
	v_add_f64 v[178:179], v[178:179], -v[208:209]
	v_fma_f64 v[180:181], v[192:193], v[202:203], -v[180:181]
	v_mul_f64 v[192:193], v[192:193], v[182:183]
	ds_read2_b64 v[208:211], v204 offset0:12 offset1:13
	v_fmac_f64_e32 v[192:193], v[194:195], v[202:203]
	s_waitcnt vmcnt(42)
	v_add_f64 v[174:175], v[174:175], -v[192:193]
	ds_read2_b64 v[192:195], v204 offset0:14 offset1:15
	v_add_f64 v[172:173], v[172:173], -v[180:181]
	s_waitcnt lgkmcnt(1)
	v_mul_f64 v[180:181], v[210:211], v[182:183]
	v_fma_f64 v[180:181], v[208:209], v[202:203], -v[180:181]
	v_mul_f64 v[208:209], v[208:209], v[182:183]
	v_fmac_f64_e32 v[208:209], v[210:211], v[202:203]
	s_waitcnt vmcnt(41)
	v_add_f64 v[168:169], v[168:169], -v[180:181]
	s_waitcnt lgkmcnt(0)
	v_mul_f64 v[180:181], v[194:195], v[182:183]
	v_add_f64 v[170:171], v[170:171], -v[208:209]
	v_fma_f64 v[180:181], v[192:193], v[202:203], -v[180:181]
	v_mul_f64 v[192:193], v[192:193], v[182:183]
	ds_read2_b64 v[208:211], v204 offset0:16 offset1:17
	v_fmac_f64_e32 v[192:193], v[194:195], v[202:203]
	s_waitcnt vmcnt(40)
	v_add_f64 v[166:167], v[166:167], -v[192:193]
	ds_read2_b64 v[192:195], v204 offset0:18 offset1:19
	v_add_f64 v[164:165], v[164:165], -v[180:181]
	;; [unrolled: 18-line block ×21, first 2 shown]
	s_waitcnt lgkmcnt(1)
	v_mul_f64 v[180:181], v[210:211], v[182:183]
	v_fma_f64 v[180:181], v[208:209], v[202:203], -v[180:181]
	s_waitcnt vmcnt(1)
	v_add_f64 v[0:1], v[0:1], -v[180:181]
	s_waitcnt lgkmcnt(0)
	v_mul_f64 v[180:181], v[194:195], v[182:183]
	v_mul_f64 v[208:209], v[208:209], v[182:183]
	v_fma_f64 v[180:181], v[192:193], v[202:203], -v[180:181]
	v_mul_f64 v[192:193], v[192:193], v[182:183]
	v_fmac_f64_e32 v[208:209], v[210:211], v[202:203]
	v_fmac_f64_e32 v[192:193], v[194:195], v[202:203]
	v_add_f64 v[2:3], v[2:3], -v[208:209]
	s_waitcnt vmcnt(0)
	v_add_f64 v[188:189], v[188:189], -v[180:181]
	v_add_f64 v[190:191], v[190:191], -v[192:193]
	v_mov_b64_e32 v[180:181], v[202:203]
.LBB94_83:
	s_or_b64 exec, exec, s[0:1]
	v_lshl_add_u32 v192, v205, 4, v204
	s_barrier
	s_waitcnt vmcnt(43)
	ds_write2_b64 v192, v[176:177], v[178:179] offset1:1
	s_waitcnt lgkmcnt(0)
	s_barrier
	ds_read2_b64 v[192:195], v204 offset0:8 offset1:9
	s_cmp_lt_i32 s20, 6
	v_mov_b32_e32 v202, 4
	s_cbranch_scc1 .LBB94_86
; %bb.84:
	v_mov_b32_e32 v202, 4
	v_add_u32_e32 v203, 0x50, v204
	s_mov_b32 s16, 5
.LBB94_85:                              ; =>This Inner Loop Header: Depth=1
	ds_read2_b64 v[208:211], v203 offset1:1
	s_waitcnt lgkmcnt(1)
	v_xor_b32_e32 v213, 0x80000000, v193
	v_xor_b32_e32 v215, 0x80000000, v195
	v_cmp_gt_f64_e32 vcc, 0, v[194:195]
	v_cmp_gt_f64_e64 s[0:1], 0, v[192:193]
	v_mov_b32_e32 v212, v192
	v_mov_b32_e32 v214, v194
	v_cndmask_b32_e64 v213, v193, v213, s[0:1]
	v_cndmask_b32_e32 v215, v195, v215, vcc
	v_add_f64 v[212:213], v[212:213], v[214:215]
	s_waitcnt lgkmcnt(0)
	v_xor_b32_e32 v215, 0x80000000, v209
	v_xor_b32_e32 v217, 0x80000000, v211
	v_cmp_gt_f64_e32 vcc, 0, v[210:211]
	v_cmp_gt_f64_e64 s[0:1], 0, v[208:209]
	v_mov_b32_e32 v214, v208
	v_mov_b32_e32 v216, v210
	v_cndmask_b32_e64 v215, v209, v215, s[0:1]
	v_cndmask_b32_e32 v217, v211, v217, vcc
	v_add_f64 v[214:215], v[214:215], v[216:217]
	v_mov_b32_e32 v218, s16
	s_add_i32 s16, s16, 1
	v_cmp_lt_f64_e32 vcc, v[212:213], v[214:215]
	v_add_u32_e32 v203, 16, v203
	s_cmp_lg_u32 s20, s16
	v_cndmask_b32_e32 v193, v193, v209, vcc
	v_cndmask_b32_e32 v192, v192, v208, vcc
	;; [unrolled: 1-line block ×5, first 2 shown]
	s_cbranch_scc1 .LBB94_85
.LBB94_86:
	s_waitcnt lgkmcnt(0)
	v_cmp_eq_f64_e32 vcc, 0, v[192:193]
	v_cmp_eq_f64_e64 s[0:1], 0, v[194:195]
	s_and_b64 s[0:1], vcc, s[0:1]
	s_and_saveexec_b64 s[16:17], s[0:1]
	s_xor_b64 s[0:1], exec, s[16:17]
; %bb.87:
	v_cmp_ne_u32_e32 vcc, 0, v206
	s_nop 1
	v_cndmask_b32_e32 v206, 5, v206, vcc
; %bb.88:
	s_andn2_saveexec_b64 s[0:1], s[0:1]
	s_cbranch_execz .LBB94_94
; %bb.89:
	v_cmp_ngt_f64_e64 s[16:17], |v[192:193]|, |v[194:195]|
	s_and_saveexec_b64 s[18:19], s[16:17]
	s_xor_b64 s[16:17], exec, s[18:19]
	s_cbranch_execz .LBB94_91
; %bb.90:
	v_div_scale_f64 v[208:209], s[18:19], v[194:195], v[194:195], v[192:193]
	v_rcp_f64_e32 v[210:211], v[208:209]
	v_div_scale_f64 v[212:213], vcc, v[192:193], v[194:195], v[192:193]
	v_fma_f64 v[214:215], -v[208:209], v[210:211], 1.0
	v_fmac_f64_e32 v[210:211], v[210:211], v[214:215]
	v_fma_f64 v[214:215], -v[208:209], v[210:211], 1.0
	v_fmac_f64_e32 v[210:211], v[210:211], v[214:215]
	v_mul_f64 v[214:215], v[212:213], v[210:211]
	v_fma_f64 v[208:209], -v[208:209], v[214:215], v[212:213]
	v_div_fmas_f64 v[208:209], v[208:209], v[210:211], v[214:215]
	v_div_fixup_f64 v[208:209], v[208:209], v[194:195], v[192:193]
	v_fmac_f64_e32 v[194:195], v[192:193], v[208:209]
	v_div_scale_f64 v[192:193], s[18:19], v[194:195], v[194:195], 1.0
	v_rcp_f64_e32 v[210:211], v[192:193]
	s_nop 0
	v_fma_f64 v[212:213], -v[192:193], v[210:211], 1.0
	v_fmac_f64_e32 v[210:211], v[210:211], v[212:213]
	v_fma_f64 v[212:213], -v[192:193], v[210:211], 1.0
	v_fmac_f64_e32 v[210:211], v[210:211], v[212:213]
	v_div_scale_f64 v[212:213], vcc, 1.0, v[194:195], 1.0
	v_mul_f64 v[214:215], v[212:213], v[210:211]
	v_fma_f64 v[192:193], -v[192:193], v[214:215], v[212:213]
	s_nop 1
	v_div_fmas_f64 v[192:193], v[192:193], v[210:211], v[214:215]
	v_div_fixup_f64 v[194:195], v[192:193], v[194:195], 1.0
	v_mul_f64 v[192:193], v[208:209], v[194:195]
	v_xor_b32_e32 v195, 0x80000000, v195
.LBB94_91:
	s_andn2_saveexec_b64 s[16:17], s[16:17]
	s_cbranch_execz .LBB94_93
; %bb.92:
	v_div_scale_f64 v[208:209], s[18:19], v[192:193], v[192:193], v[194:195]
	v_rcp_f64_e32 v[210:211], v[208:209]
	v_div_scale_f64 v[212:213], vcc, v[194:195], v[192:193], v[194:195]
	v_fma_f64 v[214:215], -v[208:209], v[210:211], 1.0
	v_fmac_f64_e32 v[210:211], v[210:211], v[214:215]
	v_fma_f64 v[214:215], -v[208:209], v[210:211], 1.0
	v_fmac_f64_e32 v[210:211], v[210:211], v[214:215]
	v_mul_f64 v[214:215], v[212:213], v[210:211]
	v_fma_f64 v[208:209], -v[208:209], v[214:215], v[212:213]
	v_div_fmas_f64 v[208:209], v[208:209], v[210:211], v[214:215]
	v_div_fixup_f64 v[208:209], v[208:209], v[192:193], v[194:195]
	v_fmac_f64_e32 v[192:193], v[194:195], v[208:209]
	v_div_scale_f64 v[194:195], s[18:19], v[192:193], v[192:193], 1.0
	v_rcp_f64_e32 v[210:211], v[194:195]
	s_nop 0
	v_fma_f64 v[212:213], -v[194:195], v[210:211], 1.0
	v_fmac_f64_e32 v[210:211], v[210:211], v[212:213]
	v_fma_f64 v[212:213], -v[194:195], v[210:211], 1.0
	v_fmac_f64_e32 v[210:211], v[210:211], v[212:213]
	v_div_scale_f64 v[212:213], vcc, 1.0, v[192:193], 1.0
	v_mul_f64 v[214:215], v[212:213], v[210:211]
	v_fma_f64 v[194:195], -v[194:195], v[214:215], v[212:213]
	s_nop 1
	v_div_fmas_f64 v[194:195], v[194:195], v[210:211], v[214:215]
	v_div_fixup_f64 v[192:193], v[194:195], v[192:193], 1.0
	v_mul_f64 v[194:195], v[208:209], -v[192:193]
.LBB94_93:
	s_or_b64 exec, exec, s[16:17]
.LBB94_94:
	s_or_b64 exec, exec, s[0:1]
	v_cmp_ne_u32_e32 vcc, v205, v202
	s_and_saveexec_b64 s[0:1], vcc
	s_xor_b64 s[0:1], exec, s[0:1]
	s_cbranch_execz .LBB94_100
; %bb.95:
	v_cmp_eq_u32_e32 vcc, 4, v205
	s_and_saveexec_b64 s[16:17], vcc
	s_cbranch_execz .LBB94_99
; %bb.96:
	v_cmp_ne_u32_e32 vcc, 4, v202
	s_xor_b64 s[18:19], s[14:15], -1
	s_and_b64 s[22:23], s[18:19], vcc
	s_and_saveexec_b64 s[18:19], s[22:23]
	s_cbranch_execz .LBB94_98
; %bb.97:
	v_ashrrev_i32_e32 v203, 31, v202
	v_lshl_add_u64 v[208:209], v[202:203], 2, v[200:201]
	global_load_dword v203, v[208:209], off
	global_load_dword v205, v[200:201], off offset:16
	s_waitcnt vmcnt(1)
	global_store_dword v[200:201], v203, off offset:16
	s_waitcnt vmcnt(1)
	global_store_dword v[208:209], v205, off
.LBB94_98:
	s_or_b64 exec, exec, s[18:19]
	v_mov_b32_e32 v205, v202
	v_mov_b32_e32 v207, v202
.LBB94_99:
	s_or_b64 exec, exec, s[16:17]
.LBB94_100:
	s_andn2_saveexec_b64 s[0:1], s[0:1]
	s_cbranch_execz .LBB94_102
; %bb.101:
	v_mov_b32_e32 v205, 4
	s_waitcnt vmcnt(42)
	ds_write2_b64 v204, v[172:173], v[174:175] offset0:10 offset1:11
	s_waitcnt vmcnt(41)
	ds_write2_b64 v204, v[168:169], v[170:171] offset0:12 offset1:13
	;; [unrolled: 2-line block ×43, first 2 shown]
.LBB94_102:
	s_or_b64 exec, exec, s[0:1]
	v_cmp_lt_i32_e32 vcc, 4, v205
	s_waitcnt lgkmcnt(0)
	s_barrier
	s_and_saveexec_b64 s[0:1], vcc
	s_cbranch_execz .LBB94_104
; %bb.103:
	ds_read2_b64 v[208:211], v204 offset0:10 offset1:11
	v_mul_f64 v[202:203], v[194:195], v[178:179]
	v_mul_f64 v[178:179], v[192:193], v[178:179]
	v_fmac_f64_e32 v[178:179], v[194:195], v[176:177]
	v_fma_f64 v[202:203], v[192:193], v[176:177], -v[202:203]
	ds_read2_b64 v[192:195], v204 offset0:12 offset1:13
	s_waitcnt lgkmcnt(1)
	v_mul_f64 v[176:177], v[210:211], v[178:179]
	v_fma_f64 v[176:177], v[208:209], v[202:203], -v[176:177]
	v_mul_f64 v[208:209], v[208:209], v[178:179]
	v_fmac_f64_e32 v[208:209], v[210:211], v[202:203]
	s_waitcnt vmcnt(42)
	v_add_f64 v[174:175], v[174:175], -v[208:209]
	ds_read2_b64 v[208:211], v204 offset0:14 offset1:15
	v_add_f64 v[172:173], v[172:173], -v[176:177]
	s_waitcnt lgkmcnt(1)
	v_mul_f64 v[176:177], v[194:195], v[178:179]
	v_fma_f64 v[176:177], v[192:193], v[202:203], -v[176:177]
	v_mul_f64 v[192:193], v[192:193], v[178:179]
	v_fmac_f64_e32 v[192:193], v[194:195], v[202:203]
	s_waitcnt vmcnt(41)
	v_add_f64 v[168:169], v[168:169], -v[176:177]
	v_add_f64 v[170:171], v[170:171], -v[192:193]
	ds_read2_b64 v[192:195], v204 offset0:16 offset1:17
	s_waitcnt lgkmcnt(1)
	v_mul_f64 v[176:177], v[210:211], v[178:179]
	v_fma_f64 v[176:177], v[208:209], v[202:203], -v[176:177]
	v_mul_f64 v[208:209], v[208:209], v[178:179]
	v_fmac_f64_e32 v[208:209], v[210:211], v[202:203]
	s_waitcnt vmcnt(40)
	v_add_f64 v[166:167], v[166:167], -v[208:209]
	ds_read2_b64 v[208:211], v204 offset0:18 offset1:19
	v_add_f64 v[164:165], v[164:165], -v[176:177]
	s_waitcnt lgkmcnt(1)
	v_mul_f64 v[176:177], v[194:195], v[178:179]
	v_fma_f64 v[176:177], v[192:193], v[202:203], -v[176:177]
	v_mul_f64 v[192:193], v[192:193], v[178:179]
	v_fmac_f64_e32 v[192:193], v[194:195], v[202:203]
	s_waitcnt vmcnt(39)
	v_add_f64 v[160:161], v[160:161], -v[176:177]
	v_add_f64 v[162:163], v[162:163], -v[192:193]
	;; [unrolled: 18-line block ×21, first 2 shown]
	s_waitcnt lgkmcnt(0)
	v_mul_f64 v[176:177], v[210:211], v[178:179]
	v_mul_f64 v[192:193], v[208:209], v[178:179]
	v_fma_f64 v[176:177], v[208:209], v[202:203], -v[176:177]
	v_fmac_f64_e32 v[192:193], v[210:211], v[202:203]
	s_waitcnt vmcnt(0)
	v_add_f64 v[188:189], v[188:189], -v[176:177]
	v_add_f64 v[190:191], v[190:191], -v[192:193]
	v_mov_b64_e32 v[176:177], v[202:203]
.LBB94_104:
	s_or_b64 exec, exec, s[0:1]
	v_lshl_add_u32 v192, v205, 4, v204
	s_barrier
	s_waitcnt vmcnt(42)
	ds_write2_b64 v192, v[172:173], v[174:175] offset1:1
	s_waitcnt lgkmcnt(0)
	s_barrier
	ds_read2_b64 v[192:195], v204 offset0:10 offset1:11
	s_cmp_lt_i32 s20, 7
	v_mov_b32_e32 v202, 5
	s_cbranch_scc1 .LBB94_107
; %bb.105:
	v_add_u32_e32 v203, 0x60, v204
	s_mov_b32 s16, 6
	v_mov_b32_e32 v202, 5
.LBB94_106:                             ; =>This Inner Loop Header: Depth=1
	ds_read2_b64 v[208:211], v203 offset1:1
	s_waitcnt lgkmcnt(1)
	v_xor_b32_e32 v213, 0x80000000, v193
	v_xor_b32_e32 v215, 0x80000000, v195
	v_cmp_gt_f64_e32 vcc, 0, v[194:195]
	v_cmp_gt_f64_e64 s[0:1], 0, v[192:193]
	v_mov_b32_e32 v212, v192
	v_mov_b32_e32 v214, v194
	v_cndmask_b32_e64 v213, v193, v213, s[0:1]
	v_cndmask_b32_e32 v215, v195, v215, vcc
	v_add_f64 v[212:213], v[212:213], v[214:215]
	s_waitcnt lgkmcnt(0)
	v_xor_b32_e32 v215, 0x80000000, v209
	v_xor_b32_e32 v217, 0x80000000, v211
	v_cmp_gt_f64_e32 vcc, 0, v[210:211]
	v_cmp_gt_f64_e64 s[0:1], 0, v[208:209]
	v_mov_b32_e32 v214, v208
	v_mov_b32_e32 v216, v210
	v_cndmask_b32_e64 v215, v209, v215, s[0:1]
	v_cndmask_b32_e32 v217, v211, v217, vcc
	v_add_f64 v[214:215], v[214:215], v[216:217]
	v_mov_b32_e32 v218, s16
	s_add_i32 s16, s16, 1
	v_cmp_lt_f64_e32 vcc, v[212:213], v[214:215]
	v_add_u32_e32 v203, 16, v203
	s_cmp_lg_u32 s20, s16
	v_cndmask_b32_e32 v193, v193, v209, vcc
	v_cndmask_b32_e32 v192, v192, v208, vcc
	;; [unrolled: 1-line block ×5, first 2 shown]
	s_cbranch_scc1 .LBB94_106
.LBB94_107:
	s_waitcnt lgkmcnt(0)
	v_cmp_eq_f64_e32 vcc, 0, v[192:193]
	v_cmp_eq_f64_e64 s[0:1], 0, v[194:195]
	s_and_b64 s[0:1], vcc, s[0:1]
	s_and_saveexec_b64 s[16:17], s[0:1]
	s_xor_b64 s[0:1], exec, s[16:17]
; %bb.108:
	v_cmp_ne_u32_e32 vcc, 0, v206
	s_nop 1
	v_cndmask_b32_e32 v206, 6, v206, vcc
; %bb.109:
	s_andn2_saveexec_b64 s[0:1], s[0:1]
	s_cbranch_execz .LBB94_115
; %bb.110:
	v_cmp_ngt_f64_e64 s[16:17], |v[192:193]|, |v[194:195]|
	s_and_saveexec_b64 s[18:19], s[16:17]
	s_xor_b64 s[16:17], exec, s[18:19]
	s_cbranch_execz .LBB94_112
; %bb.111:
	v_div_scale_f64 v[208:209], s[18:19], v[194:195], v[194:195], v[192:193]
	v_rcp_f64_e32 v[210:211], v[208:209]
	v_div_scale_f64 v[212:213], vcc, v[192:193], v[194:195], v[192:193]
	v_fma_f64 v[214:215], -v[208:209], v[210:211], 1.0
	v_fmac_f64_e32 v[210:211], v[210:211], v[214:215]
	v_fma_f64 v[214:215], -v[208:209], v[210:211], 1.0
	v_fmac_f64_e32 v[210:211], v[210:211], v[214:215]
	v_mul_f64 v[214:215], v[212:213], v[210:211]
	v_fma_f64 v[208:209], -v[208:209], v[214:215], v[212:213]
	v_div_fmas_f64 v[208:209], v[208:209], v[210:211], v[214:215]
	v_div_fixup_f64 v[208:209], v[208:209], v[194:195], v[192:193]
	v_fmac_f64_e32 v[194:195], v[192:193], v[208:209]
	v_div_scale_f64 v[192:193], s[18:19], v[194:195], v[194:195], 1.0
	v_rcp_f64_e32 v[210:211], v[192:193]
	s_nop 0
	v_fma_f64 v[212:213], -v[192:193], v[210:211], 1.0
	v_fmac_f64_e32 v[210:211], v[210:211], v[212:213]
	v_fma_f64 v[212:213], -v[192:193], v[210:211], 1.0
	v_fmac_f64_e32 v[210:211], v[210:211], v[212:213]
	v_div_scale_f64 v[212:213], vcc, 1.0, v[194:195], 1.0
	v_mul_f64 v[214:215], v[212:213], v[210:211]
	v_fma_f64 v[192:193], -v[192:193], v[214:215], v[212:213]
	s_nop 1
	v_div_fmas_f64 v[192:193], v[192:193], v[210:211], v[214:215]
	v_div_fixup_f64 v[194:195], v[192:193], v[194:195], 1.0
	v_mul_f64 v[192:193], v[208:209], v[194:195]
	v_xor_b32_e32 v195, 0x80000000, v195
.LBB94_112:
	s_andn2_saveexec_b64 s[16:17], s[16:17]
	s_cbranch_execz .LBB94_114
; %bb.113:
	v_div_scale_f64 v[208:209], s[18:19], v[192:193], v[192:193], v[194:195]
	v_rcp_f64_e32 v[210:211], v[208:209]
	v_div_scale_f64 v[212:213], vcc, v[194:195], v[192:193], v[194:195]
	v_fma_f64 v[214:215], -v[208:209], v[210:211], 1.0
	v_fmac_f64_e32 v[210:211], v[210:211], v[214:215]
	v_fma_f64 v[214:215], -v[208:209], v[210:211], 1.0
	v_fmac_f64_e32 v[210:211], v[210:211], v[214:215]
	v_mul_f64 v[214:215], v[212:213], v[210:211]
	v_fma_f64 v[208:209], -v[208:209], v[214:215], v[212:213]
	v_div_fmas_f64 v[208:209], v[208:209], v[210:211], v[214:215]
	v_div_fixup_f64 v[208:209], v[208:209], v[192:193], v[194:195]
	v_fmac_f64_e32 v[192:193], v[194:195], v[208:209]
	v_div_scale_f64 v[194:195], s[18:19], v[192:193], v[192:193], 1.0
	v_rcp_f64_e32 v[210:211], v[194:195]
	s_nop 0
	v_fma_f64 v[212:213], -v[194:195], v[210:211], 1.0
	v_fmac_f64_e32 v[210:211], v[210:211], v[212:213]
	v_fma_f64 v[212:213], -v[194:195], v[210:211], 1.0
	v_fmac_f64_e32 v[210:211], v[210:211], v[212:213]
	v_div_scale_f64 v[212:213], vcc, 1.0, v[192:193], 1.0
	v_mul_f64 v[214:215], v[212:213], v[210:211]
	v_fma_f64 v[194:195], -v[194:195], v[214:215], v[212:213]
	s_nop 1
	v_div_fmas_f64 v[194:195], v[194:195], v[210:211], v[214:215]
	v_div_fixup_f64 v[192:193], v[194:195], v[192:193], 1.0
	v_mul_f64 v[194:195], v[208:209], -v[192:193]
.LBB94_114:
	s_or_b64 exec, exec, s[16:17]
.LBB94_115:
	s_or_b64 exec, exec, s[0:1]
	v_cmp_ne_u32_e32 vcc, v205, v202
	s_and_saveexec_b64 s[0:1], vcc
	s_xor_b64 s[0:1], exec, s[0:1]
	s_cbranch_execz .LBB94_121
; %bb.116:
	v_cmp_eq_u32_e32 vcc, 5, v205
	s_and_saveexec_b64 s[16:17], vcc
	s_cbranch_execz .LBB94_120
; %bb.117:
	v_cmp_ne_u32_e32 vcc, 5, v202
	s_xor_b64 s[18:19], s[14:15], -1
	s_and_b64 s[22:23], s[18:19], vcc
	s_and_saveexec_b64 s[18:19], s[22:23]
	s_cbranch_execz .LBB94_119
; %bb.118:
	v_ashrrev_i32_e32 v203, 31, v202
	v_lshl_add_u64 v[208:209], v[202:203], 2, v[200:201]
	global_load_dword v203, v[208:209], off
	global_load_dword v205, v[200:201], off offset:20
	s_waitcnt vmcnt(1)
	global_store_dword v[200:201], v203, off offset:20
	s_waitcnt vmcnt(1)
	global_store_dword v[208:209], v205, off
.LBB94_119:
	s_or_b64 exec, exec, s[18:19]
	v_mov_b32_e32 v205, v202
	v_mov_b32_e32 v207, v202
.LBB94_120:
	s_or_b64 exec, exec, s[16:17]
.LBB94_121:
	s_andn2_saveexec_b64 s[0:1], s[0:1]
	s_cbranch_execz .LBB94_123
; %bb.122:
	v_mov_b32_e32 v205, 5
	s_waitcnt vmcnt(41)
	ds_write2_b64 v204, v[168:169], v[170:171] offset0:12 offset1:13
	s_waitcnt vmcnt(40)
	ds_write2_b64 v204, v[164:165], v[166:167] offset0:14 offset1:15
	;; [unrolled: 2-line block ×42, first 2 shown]
.LBB94_123:
	s_or_b64 exec, exec, s[0:1]
	v_cmp_lt_i32_e32 vcc, 5, v205
	s_waitcnt lgkmcnt(0)
	s_barrier
	s_and_saveexec_b64 s[0:1], vcc
	s_cbranch_execz .LBB94_125
; %bb.124:
	ds_read2_b64 v[208:211], v204 offset0:12 offset1:13
	v_mul_f64 v[202:203], v[194:195], v[174:175]
	v_mul_f64 v[174:175], v[192:193], v[174:175]
	v_fma_f64 v[202:203], v[192:193], v[172:173], -v[202:203]
	v_fmac_f64_e32 v[174:175], v[194:195], v[172:173]
	ds_read2_b64 v[192:195], v204 offset0:14 offset1:15
	s_waitcnt lgkmcnt(1)
	v_mul_f64 v[172:173], v[210:211], v[174:175]
	v_fma_f64 v[172:173], v[208:209], v[202:203], -v[172:173]
	v_mul_f64 v[208:209], v[208:209], v[174:175]
	v_fmac_f64_e32 v[208:209], v[210:211], v[202:203]
	s_waitcnt vmcnt(41)
	v_add_f64 v[168:169], v[168:169], -v[172:173]
	s_waitcnt lgkmcnt(0)
	v_mul_f64 v[172:173], v[194:195], v[174:175]
	v_add_f64 v[170:171], v[170:171], -v[208:209]
	v_fma_f64 v[172:173], v[192:193], v[202:203], -v[172:173]
	v_mul_f64 v[192:193], v[192:193], v[174:175]
	ds_read2_b64 v[208:211], v204 offset0:16 offset1:17
	v_fmac_f64_e32 v[192:193], v[194:195], v[202:203]
	s_waitcnt vmcnt(40)
	v_add_f64 v[166:167], v[166:167], -v[192:193]
	ds_read2_b64 v[192:195], v204 offset0:18 offset1:19
	v_add_f64 v[164:165], v[164:165], -v[172:173]
	s_waitcnt lgkmcnt(1)
	v_mul_f64 v[172:173], v[210:211], v[174:175]
	v_fma_f64 v[172:173], v[208:209], v[202:203], -v[172:173]
	v_mul_f64 v[208:209], v[208:209], v[174:175]
	v_fmac_f64_e32 v[208:209], v[210:211], v[202:203]
	s_waitcnt vmcnt(39)
	v_add_f64 v[160:161], v[160:161], -v[172:173]
	s_waitcnt lgkmcnt(0)
	v_mul_f64 v[172:173], v[194:195], v[174:175]
	v_add_f64 v[162:163], v[162:163], -v[208:209]
	v_fma_f64 v[172:173], v[192:193], v[202:203], -v[172:173]
	v_mul_f64 v[192:193], v[192:193], v[174:175]
	ds_read2_b64 v[208:211], v204 offset0:20 offset1:21
	v_fmac_f64_e32 v[192:193], v[194:195], v[202:203]
	s_waitcnt vmcnt(38)
	v_add_f64 v[158:159], v[158:159], -v[192:193]
	ds_read2_b64 v[192:195], v204 offset0:22 offset1:23
	v_add_f64 v[156:157], v[156:157], -v[172:173]
	s_waitcnt lgkmcnt(1)
	v_mul_f64 v[172:173], v[210:211], v[174:175]
	v_fma_f64 v[172:173], v[208:209], v[202:203], -v[172:173]
	v_mul_f64 v[208:209], v[208:209], v[174:175]
	v_fmac_f64_e32 v[208:209], v[210:211], v[202:203]
	s_waitcnt vmcnt(37)
	v_add_f64 v[152:153], v[152:153], -v[172:173]
	s_waitcnt lgkmcnt(0)
	v_mul_f64 v[172:173], v[194:195], v[174:175]
	v_add_f64 v[154:155], v[154:155], -v[208:209]
	v_fma_f64 v[172:173], v[192:193], v[202:203], -v[172:173]
	v_mul_f64 v[192:193], v[192:193], v[174:175]
	ds_read2_b64 v[208:211], v204 offset0:24 offset1:25
	v_fmac_f64_e32 v[192:193], v[194:195], v[202:203]
	s_waitcnt vmcnt(36)
	v_add_f64 v[150:151], v[150:151], -v[192:193]
	ds_read2_b64 v[192:195], v204 offset0:26 offset1:27
	v_add_f64 v[148:149], v[148:149], -v[172:173]
	s_waitcnt lgkmcnt(1)
	v_mul_f64 v[172:173], v[210:211], v[174:175]
	v_fma_f64 v[172:173], v[208:209], v[202:203], -v[172:173]
	v_mul_f64 v[208:209], v[208:209], v[174:175]
	v_fmac_f64_e32 v[208:209], v[210:211], v[202:203]
	s_waitcnt vmcnt(35)
	v_add_f64 v[144:145], v[144:145], -v[172:173]
	s_waitcnt lgkmcnt(0)
	v_mul_f64 v[172:173], v[194:195], v[174:175]
	v_add_f64 v[146:147], v[146:147], -v[208:209]
	v_fma_f64 v[172:173], v[192:193], v[202:203], -v[172:173]
	v_mul_f64 v[192:193], v[192:193], v[174:175]
	ds_read2_b64 v[208:211], v204 offset0:28 offset1:29
	v_fmac_f64_e32 v[192:193], v[194:195], v[202:203]
	s_waitcnt vmcnt(34)
	v_add_f64 v[142:143], v[142:143], -v[192:193]
	ds_read2_b64 v[192:195], v204 offset0:30 offset1:31
	v_add_f64 v[140:141], v[140:141], -v[172:173]
	s_waitcnt lgkmcnt(1)
	v_mul_f64 v[172:173], v[210:211], v[174:175]
	v_fma_f64 v[172:173], v[208:209], v[202:203], -v[172:173]
	v_mul_f64 v[208:209], v[208:209], v[174:175]
	v_fmac_f64_e32 v[208:209], v[210:211], v[202:203]
	s_waitcnt vmcnt(33)
	v_add_f64 v[136:137], v[136:137], -v[172:173]
	s_waitcnt lgkmcnt(0)
	v_mul_f64 v[172:173], v[194:195], v[174:175]
	v_add_f64 v[138:139], v[138:139], -v[208:209]
	v_fma_f64 v[172:173], v[192:193], v[202:203], -v[172:173]
	v_mul_f64 v[192:193], v[192:193], v[174:175]
	ds_read2_b64 v[208:211], v204 offset0:32 offset1:33
	v_fmac_f64_e32 v[192:193], v[194:195], v[202:203]
	s_waitcnt vmcnt(32)
	v_add_f64 v[134:135], v[134:135], -v[192:193]
	ds_read2_b64 v[192:195], v204 offset0:34 offset1:35
	v_add_f64 v[132:133], v[132:133], -v[172:173]
	s_waitcnt lgkmcnt(1)
	v_mul_f64 v[172:173], v[210:211], v[174:175]
	v_fma_f64 v[172:173], v[208:209], v[202:203], -v[172:173]
	v_mul_f64 v[208:209], v[208:209], v[174:175]
	v_fmac_f64_e32 v[208:209], v[210:211], v[202:203]
	s_waitcnt vmcnt(31)
	v_add_f64 v[124:125], v[124:125], -v[172:173]
	s_waitcnt lgkmcnt(0)
	v_mul_f64 v[172:173], v[194:195], v[174:175]
	v_add_f64 v[126:127], v[126:127], -v[208:209]
	v_fma_f64 v[172:173], v[192:193], v[202:203], -v[172:173]
	v_mul_f64 v[192:193], v[192:193], v[174:175]
	ds_read2_b64 v[208:211], v204 offset0:36 offset1:37
	v_fmac_f64_e32 v[192:193], v[194:195], v[202:203]
	s_waitcnt vmcnt(30)
	v_add_f64 v[118:119], v[118:119], -v[192:193]
	ds_read2_b64 v[192:195], v204 offset0:38 offset1:39
	v_add_f64 v[116:117], v[116:117], -v[172:173]
	s_waitcnt lgkmcnt(1)
	v_mul_f64 v[172:173], v[210:211], v[174:175]
	v_fma_f64 v[172:173], v[208:209], v[202:203], -v[172:173]
	v_mul_f64 v[208:209], v[208:209], v[174:175]
	v_fmac_f64_e32 v[208:209], v[210:211], v[202:203]
	s_waitcnt vmcnt(29)
	v_add_f64 v[112:113], v[112:113], -v[172:173]
	s_waitcnt lgkmcnt(0)
	v_mul_f64 v[172:173], v[194:195], v[174:175]
	v_add_f64 v[114:115], v[114:115], -v[208:209]
	v_fma_f64 v[172:173], v[192:193], v[202:203], -v[172:173]
	v_mul_f64 v[192:193], v[192:193], v[174:175]
	ds_read2_b64 v[208:211], v204 offset0:40 offset1:41
	v_fmac_f64_e32 v[192:193], v[194:195], v[202:203]
	s_waitcnt vmcnt(28)
	v_add_f64 v[110:111], v[110:111], -v[192:193]
	ds_read2_b64 v[192:195], v204 offset0:42 offset1:43
	v_add_f64 v[108:109], v[108:109], -v[172:173]
	s_waitcnt lgkmcnt(1)
	v_mul_f64 v[172:173], v[210:211], v[174:175]
	v_fma_f64 v[172:173], v[208:209], v[202:203], -v[172:173]
	v_mul_f64 v[208:209], v[208:209], v[174:175]
	v_fmac_f64_e32 v[208:209], v[210:211], v[202:203]
	s_waitcnt vmcnt(27)
	v_add_f64 v[104:105], v[104:105], -v[172:173]
	s_waitcnt lgkmcnt(0)
	v_mul_f64 v[172:173], v[194:195], v[174:175]
	v_add_f64 v[106:107], v[106:107], -v[208:209]
	v_fma_f64 v[172:173], v[192:193], v[202:203], -v[172:173]
	v_mul_f64 v[192:193], v[192:193], v[174:175]
	ds_read2_b64 v[208:211], v204 offset0:44 offset1:45
	v_fmac_f64_e32 v[192:193], v[194:195], v[202:203]
	s_waitcnt vmcnt(26)
	v_add_f64 v[102:103], v[102:103], -v[192:193]
	ds_read2_b64 v[192:195], v204 offset0:46 offset1:47
	v_add_f64 v[100:101], v[100:101], -v[172:173]
	s_waitcnt lgkmcnt(1)
	v_mul_f64 v[172:173], v[210:211], v[174:175]
	v_fma_f64 v[172:173], v[208:209], v[202:203], -v[172:173]
	v_mul_f64 v[208:209], v[208:209], v[174:175]
	v_fmac_f64_e32 v[208:209], v[210:211], v[202:203]
	s_waitcnt vmcnt(25)
	v_add_f64 v[96:97], v[96:97], -v[172:173]
	s_waitcnt lgkmcnt(0)
	v_mul_f64 v[172:173], v[194:195], v[174:175]
	v_add_f64 v[98:99], v[98:99], -v[208:209]
	v_fma_f64 v[172:173], v[192:193], v[202:203], -v[172:173]
	v_mul_f64 v[192:193], v[192:193], v[174:175]
	ds_read2_b64 v[208:211], v204 offset0:48 offset1:49
	v_fmac_f64_e32 v[192:193], v[194:195], v[202:203]
	s_waitcnt vmcnt(24)
	v_add_f64 v[94:95], v[94:95], -v[192:193]
	ds_read2_b64 v[192:195], v204 offset0:50 offset1:51
	v_add_f64 v[92:93], v[92:93], -v[172:173]
	s_waitcnt lgkmcnt(1)
	v_mul_f64 v[172:173], v[210:211], v[174:175]
	v_fma_f64 v[172:173], v[208:209], v[202:203], -v[172:173]
	v_mul_f64 v[208:209], v[208:209], v[174:175]
	v_fmac_f64_e32 v[208:209], v[210:211], v[202:203]
	s_waitcnt vmcnt(23)
	v_add_f64 v[88:89], v[88:89], -v[172:173]
	s_waitcnt lgkmcnt(0)
	v_mul_f64 v[172:173], v[194:195], v[174:175]
	v_add_f64 v[90:91], v[90:91], -v[208:209]
	v_fma_f64 v[172:173], v[192:193], v[202:203], -v[172:173]
	v_mul_f64 v[192:193], v[192:193], v[174:175]
	ds_read2_b64 v[208:211], v204 offset0:52 offset1:53
	v_fmac_f64_e32 v[192:193], v[194:195], v[202:203]
	s_waitcnt vmcnt(22)
	v_add_f64 v[86:87], v[86:87], -v[192:193]
	ds_read2_b64 v[192:195], v204 offset0:54 offset1:55
	v_add_f64 v[84:85], v[84:85], -v[172:173]
	s_waitcnt lgkmcnt(1)
	v_mul_f64 v[172:173], v[210:211], v[174:175]
	v_fma_f64 v[172:173], v[208:209], v[202:203], -v[172:173]
	v_mul_f64 v[208:209], v[208:209], v[174:175]
	v_fmac_f64_e32 v[208:209], v[210:211], v[202:203]
	s_waitcnt vmcnt(21)
	v_add_f64 v[80:81], v[80:81], -v[172:173]
	s_waitcnt lgkmcnt(0)
	v_mul_f64 v[172:173], v[194:195], v[174:175]
	v_add_f64 v[82:83], v[82:83], -v[208:209]
	v_fma_f64 v[172:173], v[192:193], v[202:203], -v[172:173]
	v_mul_f64 v[192:193], v[192:193], v[174:175]
	ds_read2_b64 v[208:211], v204 offset0:56 offset1:57
	v_fmac_f64_e32 v[192:193], v[194:195], v[202:203]
	s_waitcnt vmcnt(20)
	v_add_f64 v[78:79], v[78:79], -v[192:193]
	ds_read2_b64 v[192:195], v204 offset0:58 offset1:59
	v_add_f64 v[76:77], v[76:77], -v[172:173]
	s_waitcnt lgkmcnt(1)
	v_mul_f64 v[172:173], v[210:211], v[174:175]
	v_fma_f64 v[172:173], v[208:209], v[202:203], -v[172:173]
	v_mul_f64 v[208:209], v[208:209], v[174:175]
	v_fmac_f64_e32 v[208:209], v[210:211], v[202:203]
	s_waitcnt vmcnt(19)
	v_add_f64 v[72:73], v[72:73], -v[172:173]
	s_waitcnt lgkmcnt(0)
	v_mul_f64 v[172:173], v[194:195], v[174:175]
	v_add_f64 v[74:75], v[74:75], -v[208:209]
	v_fma_f64 v[172:173], v[192:193], v[202:203], -v[172:173]
	v_mul_f64 v[192:193], v[192:193], v[174:175]
	ds_read2_b64 v[208:211], v204 offset0:60 offset1:61
	v_fmac_f64_e32 v[192:193], v[194:195], v[202:203]
	s_waitcnt vmcnt(18)
	v_add_f64 v[70:71], v[70:71], -v[192:193]
	ds_read2_b64 v[192:195], v204 offset0:62 offset1:63
	v_add_f64 v[68:69], v[68:69], -v[172:173]
	s_waitcnt lgkmcnt(1)
	v_mul_f64 v[172:173], v[210:211], v[174:175]
	v_fma_f64 v[172:173], v[208:209], v[202:203], -v[172:173]
	v_mul_f64 v[208:209], v[208:209], v[174:175]
	v_fmac_f64_e32 v[208:209], v[210:211], v[202:203]
	s_waitcnt vmcnt(17)
	v_add_f64 v[64:65], v[64:65], -v[172:173]
	s_waitcnt lgkmcnt(0)
	v_mul_f64 v[172:173], v[194:195], v[174:175]
	v_add_f64 v[66:67], v[66:67], -v[208:209]
	v_fma_f64 v[172:173], v[192:193], v[202:203], -v[172:173]
	v_mul_f64 v[192:193], v[192:193], v[174:175]
	ds_read2_b64 v[208:211], v204 offset0:64 offset1:65
	v_fmac_f64_e32 v[192:193], v[194:195], v[202:203]
	s_waitcnt vmcnt(16)
	v_add_f64 v[62:63], v[62:63], -v[192:193]
	ds_read2_b64 v[192:195], v204 offset0:66 offset1:67
	v_add_f64 v[60:61], v[60:61], -v[172:173]
	s_waitcnt lgkmcnt(1)
	v_mul_f64 v[172:173], v[210:211], v[174:175]
	v_fma_f64 v[172:173], v[208:209], v[202:203], -v[172:173]
	v_mul_f64 v[208:209], v[208:209], v[174:175]
	v_fmac_f64_e32 v[208:209], v[210:211], v[202:203]
	s_waitcnt vmcnt(15)
	v_add_f64 v[56:57], v[56:57], -v[172:173]
	s_waitcnt lgkmcnt(0)
	v_mul_f64 v[172:173], v[194:195], v[174:175]
	v_add_f64 v[58:59], v[58:59], -v[208:209]
	v_fma_f64 v[172:173], v[192:193], v[202:203], -v[172:173]
	v_mul_f64 v[192:193], v[192:193], v[174:175]
	ds_read2_b64 v[208:211], v204 offset0:68 offset1:69
	v_fmac_f64_e32 v[192:193], v[194:195], v[202:203]
	s_waitcnt vmcnt(14)
	v_add_f64 v[54:55], v[54:55], -v[192:193]
	ds_read2_b64 v[192:195], v204 offset0:70 offset1:71
	v_add_f64 v[52:53], v[52:53], -v[172:173]
	s_waitcnt lgkmcnt(1)
	v_mul_f64 v[172:173], v[210:211], v[174:175]
	v_fma_f64 v[172:173], v[208:209], v[202:203], -v[172:173]
	v_mul_f64 v[208:209], v[208:209], v[174:175]
	v_fmac_f64_e32 v[208:209], v[210:211], v[202:203]
	s_waitcnt vmcnt(13)
	v_add_f64 v[48:49], v[48:49], -v[172:173]
	s_waitcnt lgkmcnt(0)
	v_mul_f64 v[172:173], v[194:195], v[174:175]
	v_add_f64 v[50:51], v[50:51], -v[208:209]
	v_fma_f64 v[172:173], v[192:193], v[202:203], -v[172:173]
	v_mul_f64 v[192:193], v[192:193], v[174:175]
	ds_read2_b64 v[208:211], v204 offset0:72 offset1:73
	v_fmac_f64_e32 v[192:193], v[194:195], v[202:203]
	s_waitcnt vmcnt(12)
	v_add_f64 v[46:47], v[46:47], -v[192:193]
	ds_read2_b64 v[192:195], v204 offset0:74 offset1:75
	v_add_f64 v[44:45], v[44:45], -v[172:173]
	s_waitcnt lgkmcnt(1)
	v_mul_f64 v[172:173], v[210:211], v[174:175]
	v_fma_f64 v[172:173], v[208:209], v[202:203], -v[172:173]
	v_mul_f64 v[208:209], v[208:209], v[174:175]
	v_fmac_f64_e32 v[208:209], v[210:211], v[202:203]
	s_waitcnt vmcnt(11)
	v_add_f64 v[40:41], v[40:41], -v[172:173]
	s_waitcnt lgkmcnt(0)
	v_mul_f64 v[172:173], v[194:195], v[174:175]
	v_add_f64 v[42:43], v[42:43], -v[208:209]
	v_fma_f64 v[172:173], v[192:193], v[202:203], -v[172:173]
	v_mul_f64 v[192:193], v[192:193], v[174:175]
	ds_read2_b64 v[208:211], v204 offset0:76 offset1:77
	v_fmac_f64_e32 v[192:193], v[194:195], v[202:203]
	s_waitcnt vmcnt(10)
	v_add_f64 v[38:39], v[38:39], -v[192:193]
	ds_read2_b64 v[192:195], v204 offset0:78 offset1:79
	v_add_f64 v[36:37], v[36:37], -v[172:173]
	s_waitcnt lgkmcnt(1)
	v_mul_f64 v[172:173], v[210:211], v[174:175]
	v_fma_f64 v[172:173], v[208:209], v[202:203], -v[172:173]
	v_mul_f64 v[208:209], v[208:209], v[174:175]
	v_fmac_f64_e32 v[208:209], v[210:211], v[202:203]
	s_waitcnt vmcnt(9)
	v_add_f64 v[32:33], v[32:33], -v[172:173]
	s_waitcnt lgkmcnt(0)
	v_mul_f64 v[172:173], v[194:195], v[174:175]
	v_add_f64 v[34:35], v[34:35], -v[208:209]
	v_fma_f64 v[172:173], v[192:193], v[202:203], -v[172:173]
	v_mul_f64 v[192:193], v[192:193], v[174:175]
	ds_read2_b64 v[208:211], v204 offset0:80 offset1:81
	v_fmac_f64_e32 v[192:193], v[194:195], v[202:203]
	s_waitcnt vmcnt(8)
	v_add_f64 v[30:31], v[30:31], -v[192:193]
	ds_read2_b64 v[192:195], v204 offset0:82 offset1:83
	v_add_f64 v[28:29], v[28:29], -v[172:173]
	s_waitcnt lgkmcnt(1)
	v_mul_f64 v[172:173], v[210:211], v[174:175]
	v_fma_f64 v[172:173], v[208:209], v[202:203], -v[172:173]
	v_mul_f64 v[208:209], v[208:209], v[174:175]
	v_fmac_f64_e32 v[208:209], v[210:211], v[202:203]
	s_waitcnt vmcnt(7)
	v_add_f64 v[24:25], v[24:25], -v[172:173]
	s_waitcnt lgkmcnt(0)
	v_mul_f64 v[172:173], v[194:195], v[174:175]
	v_add_f64 v[26:27], v[26:27], -v[208:209]
	v_fma_f64 v[172:173], v[192:193], v[202:203], -v[172:173]
	v_mul_f64 v[192:193], v[192:193], v[174:175]
	ds_read2_b64 v[208:211], v204 offset0:84 offset1:85
	v_fmac_f64_e32 v[192:193], v[194:195], v[202:203]
	s_waitcnt vmcnt(6)
	v_add_f64 v[22:23], v[22:23], -v[192:193]
	ds_read2_b64 v[192:195], v204 offset0:86 offset1:87
	v_add_f64 v[20:21], v[20:21], -v[172:173]
	s_waitcnt lgkmcnt(1)
	v_mul_f64 v[172:173], v[210:211], v[174:175]
	v_fma_f64 v[172:173], v[208:209], v[202:203], -v[172:173]
	v_mul_f64 v[208:209], v[208:209], v[174:175]
	v_fmac_f64_e32 v[208:209], v[210:211], v[202:203]
	s_waitcnt vmcnt(5)
	v_add_f64 v[16:17], v[16:17], -v[172:173]
	s_waitcnt lgkmcnt(0)
	v_mul_f64 v[172:173], v[194:195], v[174:175]
	v_add_f64 v[18:19], v[18:19], -v[208:209]
	v_fma_f64 v[172:173], v[192:193], v[202:203], -v[172:173]
	v_mul_f64 v[192:193], v[192:193], v[174:175]
	ds_read2_b64 v[208:211], v204 offset0:88 offset1:89
	v_fmac_f64_e32 v[192:193], v[194:195], v[202:203]
	s_waitcnt vmcnt(4)
	v_add_f64 v[14:15], v[14:15], -v[192:193]
	ds_read2_b64 v[192:195], v204 offset0:90 offset1:91
	v_add_f64 v[12:13], v[12:13], -v[172:173]
	s_waitcnt lgkmcnt(1)
	v_mul_f64 v[172:173], v[210:211], v[174:175]
	v_fma_f64 v[172:173], v[208:209], v[202:203], -v[172:173]
	v_mul_f64 v[208:209], v[208:209], v[174:175]
	v_fmac_f64_e32 v[208:209], v[210:211], v[202:203]
	s_waitcnt vmcnt(3)
	v_add_f64 v[8:9], v[8:9], -v[172:173]
	s_waitcnt lgkmcnt(0)
	v_mul_f64 v[172:173], v[194:195], v[174:175]
	v_add_f64 v[10:11], v[10:11], -v[208:209]
	v_fma_f64 v[172:173], v[192:193], v[202:203], -v[172:173]
	v_mul_f64 v[192:193], v[192:193], v[174:175]
	ds_read2_b64 v[208:211], v204 offset0:92 offset1:93
	v_fmac_f64_e32 v[192:193], v[194:195], v[202:203]
	s_waitcnt vmcnt(2)
	v_add_f64 v[6:7], v[6:7], -v[192:193]
	ds_read2_b64 v[192:195], v204 offset0:94 offset1:95
	v_add_f64 v[4:5], v[4:5], -v[172:173]
	s_waitcnt lgkmcnt(1)
	v_mul_f64 v[172:173], v[210:211], v[174:175]
	v_fma_f64 v[172:173], v[208:209], v[202:203], -v[172:173]
	s_waitcnt vmcnt(1)
	v_add_f64 v[0:1], v[0:1], -v[172:173]
	s_waitcnt lgkmcnt(0)
	v_mul_f64 v[172:173], v[194:195], v[174:175]
	v_mul_f64 v[208:209], v[208:209], v[174:175]
	v_fma_f64 v[172:173], v[192:193], v[202:203], -v[172:173]
	v_mul_f64 v[192:193], v[192:193], v[174:175]
	v_fmac_f64_e32 v[208:209], v[210:211], v[202:203]
	v_fmac_f64_e32 v[192:193], v[194:195], v[202:203]
	v_add_f64 v[2:3], v[2:3], -v[208:209]
	s_waitcnt vmcnt(0)
	v_add_f64 v[188:189], v[188:189], -v[172:173]
	v_add_f64 v[190:191], v[190:191], -v[192:193]
	v_mov_b64_e32 v[172:173], v[202:203]
.LBB94_125:
	s_or_b64 exec, exec, s[0:1]
	v_lshl_add_u32 v192, v205, 4, v204
	s_barrier
	s_waitcnt vmcnt(41)
	ds_write2_b64 v192, v[168:169], v[170:171] offset1:1
	s_waitcnt lgkmcnt(0)
	s_barrier
	ds_read2_b64 v[192:195], v204 offset0:12 offset1:13
	s_cmp_lt_i32 s20, 8
	v_mov_b32_e32 v202, 6
	s_cbranch_scc1 .LBB94_128
; %bb.126:
	v_add_u32_e32 v203, 0x70, v204
	s_mov_b32 s16, 7
	v_mov_b32_e32 v202, 6
.LBB94_127:                             ; =>This Inner Loop Header: Depth=1
	ds_read2_b64 v[208:211], v203 offset1:1
	s_waitcnt lgkmcnt(1)
	v_xor_b32_e32 v213, 0x80000000, v193
	v_xor_b32_e32 v215, 0x80000000, v195
	v_cmp_gt_f64_e32 vcc, 0, v[194:195]
	v_cmp_gt_f64_e64 s[0:1], 0, v[192:193]
	v_mov_b32_e32 v212, v192
	v_mov_b32_e32 v214, v194
	v_cndmask_b32_e64 v213, v193, v213, s[0:1]
	v_cndmask_b32_e32 v215, v195, v215, vcc
	v_add_f64 v[212:213], v[212:213], v[214:215]
	s_waitcnt lgkmcnt(0)
	v_xor_b32_e32 v215, 0x80000000, v209
	v_xor_b32_e32 v217, 0x80000000, v211
	v_cmp_gt_f64_e32 vcc, 0, v[210:211]
	v_cmp_gt_f64_e64 s[0:1], 0, v[208:209]
	v_mov_b32_e32 v214, v208
	v_mov_b32_e32 v216, v210
	v_cndmask_b32_e64 v215, v209, v215, s[0:1]
	v_cndmask_b32_e32 v217, v211, v217, vcc
	v_add_f64 v[214:215], v[214:215], v[216:217]
	v_mov_b32_e32 v218, s16
	s_add_i32 s16, s16, 1
	v_cmp_lt_f64_e32 vcc, v[212:213], v[214:215]
	v_add_u32_e32 v203, 16, v203
	s_cmp_lg_u32 s20, s16
	v_cndmask_b32_e32 v193, v193, v209, vcc
	v_cndmask_b32_e32 v192, v192, v208, vcc
	;; [unrolled: 1-line block ×5, first 2 shown]
	s_cbranch_scc1 .LBB94_127
.LBB94_128:
	s_waitcnt lgkmcnt(0)
	v_cmp_eq_f64_e32 vcc, 0, v[192:193]
	v_cmp_eq_f64_e64 s[0:1], 0, v[194:195]
	s_and_b64 s[0:1], vcc, s[0:1]
	s_and_saveexec_b64 s[16:17], s[0:1]
	s_xor_b64 s[0:1], exec, s[16:17]
; %bb.129:
	v_cmp_ne_u32_e32 vcc, 0, v206
	s_nop 1
	v_cndmask_b32_e32 v206, 7, v206, vcc
; %bb.130:
	s_andn2_saveexec_b64 s[0:1], s[0:1]
	s_cbranch_execz .LBB94_136
; %bb.131:
	v_cmp_ngt_f64_e64 s[16:17], |v[192:193]|, |v[194:195]|
	s_and_saveexec_b64 s[18:19], s[16:17]
	s_xor_b64 s[16:17], exec, s[18:19]
	s_cbranch_execz .LBB94_133
; %bb.132:
	v_div_scale_f64 v[208:209], s[18:19], v[194:195], v[194:195], v[192:193]
	v_rcp_f64_e32 v[210:211], v[208:209]
	v_div_scale_f64 v[212:213], vcc, v[192:193], v[194:195], v[192:193]
	v_fma_f64 v[214:215], -v[208:209], v[210:211], 1.0
	v_fmac_f64_e32 v[210:211], v[210:211], v[214:215]
	v_fma_f64 v[214:215], -v[208:209], v[210:211], 1.0
	v_fmac_f64_e32 v[210:211], v[210:211], v[214:215]
	v_mul_f64 v[214:215], v[212:213], v[210:211]
	v_fma_f64 v[208:209], -v[208:209], v[214:215], v[212:213]
	v_div_fmas_f64 v[208:209], v[208:209], v[210:211], v[214:215]
	v_div_fixup_f64 v[208:209], v[208:209], v[194:195], v[192:193]
	v_fmac_f64_e32 v[194:195], v[192:193], v[208:209]
	v_div_scale_f64 v[192:193], s[18:19], v[194:195], v[194:195], 1.0
	v_rcp_f64_e32 v[210:211], v[192:193]
	s_nop 0
	v_fma_f64 v[212:213], -v[192:193], v[210:211], 1.0
	v_fmac_f64_e32 v[210:211], v[210:211], v[212:213]
	v_fma_f64 v[212:213], -v[192:193], v[210:211], 1.0
	v_fmac_f64_e32 v[210:211], v[210:211], v[212:213]
	v_div_scale_f64 v[212:213], vcc, 1.0, v[194:195], 1.0
	v_mul_f64 v[214:215], v[212:213], v[210:211]
	v_fma_f64 v[192:193], -v[192:193], v[214:215], v[212:213]
	s_nop 1
	v_div_fmas_f64 v[192:193], v[192:193], v[210:211], v[214:215]
	v_div_fixup_f64 v[194:195], v[192:193], v[194:195], 1.0
	v_mul_f64 v[192:193], v[208:209], v[194:195]
	v_xor_b32_e32 v195, 0x80000000, v195
.LBB94_133:
	s_andn2_saveexec_b64 s[16:17], s[16:17]
	s_cbranch_execz .LBB94_135
; %bb.134:
	v_div_scale_f64 v[208:209], s[18:19], v[192:193], v[192:193], v[194:195]
	v_rcp_f64_e32 v[210:211], v[208:209]
	v_div_scale_f64 v[212:213], vcc, v[194:195], v[192:193], v[194:195]
	v_fma_f64 v[214:215], -v[208:209], v[210:211], 1.0
	v_fmac_f64_e32 v[210:211], v[210:211], v[214:215]
	v_fma_f64 v[214:215], -v[208:209], v[210:211], 1.0
	v_fmac_f64_e32 v[210:211], v[210:211], v[214:215]
	v_mul_f64 v[214:215], v[212:213], v[210:211]
	v_fma_f64 v[208:209], -v[208:209], v[214:215], v[212:213]
	v_div_fmas_f64 v[208:209], v[208:209], v[210:211], v[214:215]
	v_div_fixup_f64 v[208:209], v[208:209], v[192:193], v[194:195]
	v_fmac_f64_e32 v[192:193], v[194:195], v[208:209]
	v_div_scale_f64 v[194:195], s[18:19], v[192:193], v[192:193], 1.0
	v_rcp_f64_e32 v[210:211], v[194:195]
	s_nop 0
	v_fma_f64 v[212:213], -v[194:195], v[210:211], 1.0
	v_fmac_f64_e32 v[210:211], v[210:211], v[212:213]
	v_fma_f64 v[212:213], -v[194:195], v[210:211], 1.0
	v_fmac_f64_e32 v[210:211], v[210:211], v[212:213]
	v_div_scale_f64 v[212:213], vcc, 1.0, v[192:193], 1.0
	v_mul_f64 v[214:215], v[212:213], v[210:211]
	v_fma_f64 v[194:195], -v[194:195], v[214:215], v[212:213]
	s_nop 1
	v_div_fmas_f64 v[194:195], v[194:195], v[210:211], v[214:215]
	v_div_fixup_f64 v[192:193], v[194:195], v[192:193], 1.0
	v_mul_f64 v[194:195], v[208:209], -v[192:193]
.LBB94_135:
	s_or_b64 exec, exec, s[16:17]
.LBB94_136:
	s_or_b64 exec, exec, s[0:1]
	v_cmp_ne_u32_e32 vcc, v205, v202
	s_and_saveexec_b64 s[0:1], vcc
	s_xor_b64 s[0:1], exec, s[0:1]
	s_cbranch_execz .LBB94_142
; %bb.137:
	v_cmp_eq_u32_e32 vcc, 6, v205
	s_and_saveexec_b64 s[16:17], vcc
	s_cbranch_execz .LBB94_141
; %bb.138:
	v_cmp_ne_u32_e32 vcc, 6, v202
	s_xor_b64 s[18:19], s[14:15], -1
	s_and_b64 s[22:23], s[18:19], vcc
	s_and_saveexec_b64 s[18:19], s[22:23]
	s_cbranch_execz .LBB94_140
; %bb.139:
	v_ashrrev_i32_e32 v203, 31, v202
	v_lshl_add_u64 v[208:209], v[202:203], 2, v[200:201]
	global_load_dword v203, v[208:209], off
	global_load_dword v205, v[200:201], off offset:24
	s_waitcnt vmcnt(1)
	global_store_dword v[200:201], v203, off offset:24
	s_waitcnt vmcnt(1)
	global_store_dword v[208:209], v205, off
.LBB94_140:
	s_or_b64 exec, exec, s[18:19]
	v_mov_b32_e32 v205, v202
	v_mov_b32_e32 v207, v202
.LBB94_141:
	s_or_b64 exec, exec, s[16:17]
.LBB94_142:
	s_andn2_saveexec_b64 s[0:1], s[0:1]
	s_cbranch_execz .LBB94_144
; %bb.143:
	v_mov_b32_e32 v205, 6
	s_waitcnt vmcnt(40)
	ds_write2_b64 v204, v[164:165], v[166:167] offset0:14 offset1:15
	s_waitcnt vmcnt(39)
	ds_write2_b64 v204, v[160:161], v[162:163] offset0:16 offset1:17
	;; [unrolled: 2-line block ×41, first 2 shown]
.LBB94_144:
	s_or_b64 exec, exec, s[0:1]
	v_cmp_lt_i32_e32 vcc, 6, v205
	s_waitcnt lgkmcnt(0)
	s_barrier
	s_and_saveexec_b64 s[0:1], vcc
	s_cbranch_execz .LBB94_146
; %bb.145:
	ds_read2_b64 v[208:211], v204 offset0:14 offset1:15
	v_mul_f64 v[202:203], v[194:195], v[170:171]
	v_mul_f64 v[170:171], v[192:193], v[170:171]
	v_fmac_f64_e32 v[170:171], v[194:195], v[168:169]
	v_fma_f64 v[202:203], v[192:193], v[168:169], -v[202:203]
	ds_read2_b64 v[192:195], v204 offset0:16 offset1:17
	s_waitcnt lgkmcnt(1)
	v_mul_f64 v[168:169], v[210:211], v[170:171]
	v_fma_f64 v[168:169], v[208:209], v[202:203], -v[168:169]
	v_mul_f64 v[208:209], v[208:209], v[170:171]
	v_fmac_f64_e32 v[208:209], v[210:211], v[202:203]
	s_waitcnt vmcnt(40)
	v_add_f64 v[166:167], v[166:167], -v[208:209]
	ds_read2_b64 v[208:211], v204 offset0:18 offset1:19
	v_add_f64 v[164:165], v[164:165], -v[168:169]
	s_waitcnt lgkmcnt(1)
	v_mul_f64 v[168:169], v[194:195], v[170:171]
	v_fma_f64 v[168:169], v[192:193], v[202:203], -v[168:169]
	v_mul_f64 v[192:193], v[192:193], v[170:171]
	v_fmac_f64_e32 v[192:193], v[194:195], v[202:203]
	s_waitcnt vmcnt(39)
	v_add_f64 v[160:161], v[160:161], -v[168:169]
	v_add_f64 v[162:163], v[162:163], -v[192:193]
	ds_read2_b64 v[192:195], v204 offset0:20 offset1:21
	s_waitcnt lgkmcnt(1)
	v_mul_f64 v[168:169], v[210:211], v[170:171]
	v_fma_f64 v[168:169], v[208:209], v[202:203], -v[168:169]
	v_mul_f64 v[208:209], v[208:209], v[170:171]
	v_fmac_f64_e32 v[208:209], v[210:211], v[202:203]
	s_waitcnt vmcnt(38)
	v_add_f64 v[158:159], v[158:159], -v[208:209]
	ds_read2_b64 v[208:211], v204 offset0:22 offset1:23
	v_add_f64 v[156:157], v[156:157], -v[168:169]
	s_waitcnt lgkmcnt(1)
	v_mul_f64 v[168:169], v[194:195], v[170:171]
	v_fma_f64 v[168:169], v[192:193], v[202:203], -v[168:169]
	v_mul_f64 v[192:193], v[192:193], v[170:171]
	v_fmac_f64_e32 v[192:193], v[194:195], v[202:203]
	s_waitcnt vmcnt(37)
	v_add_f64 v[152:153], v[152:153], -v[168:169]
	v_add_f64 v[154:155], v[154:155], -v[192:193]
	;; [unrolled: 18-line block ×20, first 2 shown]
	s_waitcnt lgkmcnt(0)
	v_mul_f64 v[168:169], v[210:211], v[170:171]
	v_mul_f64 v[192:193], v[208:209], v[170:171]
	v_fma_f64 v[168:169], v[208:209], v[202:203], -v[168:169]
	v_fmac_f64_e32 v[192:193], v[210:211], v[202:203]
	s_waitcnt vmcnt(0)
	v_add_f64 v[188:189], v[188:189], -v[168:169]
	v_add_f64 v[190:191], v[190:191], -v[192:193]
	v_mov_b64_e32 v[168:169], v[202:203]
.LBB94_146:
	s_or_b64 exec, exec, s[0:1]
	v_lshl_add_u32 v192, v205, 4, v204
	s_barrier
	s_waitcnt vmcnt(40)
	ds_write2_b64 v192, v[164:165], v[166:167] offset1:1
	s_waitcnt lgkmcnt(0)
	s_barrier
	ds_read2_b64 v[192:195], v204 offset0:14 offset1:15
	s_cmp_lt_i32 s20, 9
	v_mov_b32_e32 v202, 7
	s_cbranch_scc1 .LBB94_149
; %bb.147:
	v_add_u32_e32 v203, 0x80, v204
	s_mov_b32 s16, 8
	v_mov_b32_e32 v202, 7
.LBB94_148:                             ; =>This Inner Loop Header: Depth=1
	ds_read2_b64 v[208:211], v203 offset1:1
	s_waitcnt lgkmcnt(1)
	v_xor_b32_e32 v213, 0x80000000, v193
	v_xor_b32_e32 v215, 0x80000000, v195
	v_cmp_gt_f64_e32 vcc, 0, v[194:195]
	v_cmp_gt_f64_e64 s[0:1], 0, v[192:193]
	v_mov_b32_e32 v212, v192
	v_mov_b32_e32 v214, v194
	v_cndmask_b32_e64 v213, v193, v213, s[0:1]
	v_cndmask_b32_e32 v215, v195, v215, vcc
	v_add_f64 v[212:213], v[212:213], v[214:215]
	s_waitcnt lgkmcnt(0)
	v_xor_b32_e32 v215, 0x80000000, v209
	v_xor_b32_e32 v217, 0x80000000, v211
	v_cmp_gt_f64_e32 vcc, 0, v[210:211]
	v_cmp_gt_f64_e64 s[0:1], 0, v[208:209]
	v_mov_b32_e32 v214, v208
	v_mov_b32_e32 v216, v210
	v_cndmask_b32_e64 v215, v209, v215, s[0:1]
	v_cndmask_b32_e32 v217, v211, v217, vcc
	v_add_f64 v[214:215], v[214:215], v[216:217]
	v_mov_b32_e32 v218, s16
	s_add_i32 s16, s16, 1
	v_cmp_lt_f64_e32 vcc, v[212:213], v[214:215]
	v_add_u32_e32 v203, 16, v203
	s_cmp_lg_u32 s20, s16
	v_cndmask_b32_e32 v193, v193, v209, vcc
	v_cndmask_b32_e32 v192, v192, v208, vcc
	;; [unrolled: 1-line block ×5, first 2 shown]
	s_cbranch_scc1 .LBB94_148
.LBB94_149:
	s_waitcnt lgkmcnt(0)
	v_cmp_eq_f64_e32 vcc, 0, v[192:193]
	v_cmp_eq_f64_e64 s[0:1], 0, v[194:195]
	s_and_b64 s[0:1], vcc, s[0:1]
	s_and_saveexec_b64 s[16:17], s[0:1]
	s_xor_b64 s[0:1], exec, s[16:17]
; %bb.150:
	v_cmp_ne_u32_e32 vcc, 0, v206
	s_nop 1
	v_cndmask_b32_e32 v206, 8, v206, vcc
; %bb.151:
	s_andn2_saveexec_b64 s[0:1], s[0:1]
	s_cbranch_execz .LBB94_157
; %bb.152:
	v_cmp_ngt_f64_e64 s[16:17], |v[192:193]|, |v[194:195]|
	s_and_saveexec_b64 s[18:19], s[16:17]
	s_xor_b64 s[16:17], exec, s[18:19]
	s_cbranch_execz .LBB94_154
; %bb.153:
	v_div_scale_f64 v[208:209], s[18:19], v[194:195], v[194:195], v[192:193]
	v_rcp_f64_e32 v[210:211], v[208:209]
	v_div_scale_f64 v[212:213], vcc, v[192:193], v[194:195], v[192:193]
	v_fma_f64 v[214:215], -v[208:209], v[210:211], 1.0
	v_fmac_f64_e32 v[210:211], v[210:211], v[214:215]
	v_fma_f64 v[214:215], -v[208:209], v[210:211], 1.0
	v_fmac_f64_e32 v[210:211], v[210:211], v[214:215]
	v_mul_f64 v[214:215], v[212:213], v[210:211]
	v_fma_f64 v[208:209], -v[208:209], v[214:215], v[212:213]
	v_div_fmas_f64 v[208:209], v[208:209], v[210:211], v[214:215]
	v_div_fixup_f64 v[208:209], v[208:209], v[194:195], v[192:193]
	v_fmac_f64_e32 v[194:195], v[192:193], v[208:209]
	v_div_scale_f64 v[192:193], s[18:19], v[194:195], v[194:195], 1.0
	v_rcp_f64_e32 v[210:211], v[192:193]
	s_nop 0
	v_fma_f64 v[212:213], -v[192:193], v[210:211], 1.0
	v_fmac_f64_e32 v[210:211], v[210:211], v[212:213]
	v_fma_f64 v[212:213], -v[192:193], v[210:211], 1.0
	v_fmac_f64_e32 v[210:211], v[210:211], v[212:213]
	v_div_scale_f64 v[212:213], vcc, 1.0, v[194:195], 1.0
	v_mul_f64 v[214:215], v[212:213], v[210:211]
	v_fma_f64 v[192:193], -v[192:193], v[214:215], v[212:213]
	s_nop 1
	v_div_fmas_f64 v[192:193], v[192:193], v[210:211], v[214:215]
	v_div_fixup_f64 v[194:195], v[192:193], v[194:195], 1.0
	v_mul_f64 v[192:193], v[208:209], v[194:195]
	v_xor_b32_e32 v195, 0x80000000, v195
.LBB94_154:
	s_andn2_saveexec_b64 s[16:17], s[16:17]
	s_cbranch_execz .LBB94_156
; %bb.155:
	v_div_scale_f64 v[208:209], s[18:19], v[192:193], v[192:193], v[194:195]
	v_rcp_f64_e32 v[210:211], v[208:209]
	v_div_scale_f64 v[212:213], vcc, v[194:195], v[192:193], v[194:195]
	v_fma_f64 v[214:215], -v[208:209], v[210:211], 1.0
	v_fmac_f64_e32 v[210:211], v[210:211], v[214:215]
	v_fma_f64 v[214:215], -v[208:209], v[210:211], 1.0
	v_fmac_f64_e32 v[210:211], v[210:211], v[214:215]
	v_mul_f64 v[214:215], v[212:213], v[210:211]
	v_fma_f64 v[208:209], -v[208:209], v[214:215], v[212:213]
	v_div_fmas_f64 v[208:209], v[208:209], v[210:211], v[214:215]
	v_div_fixup_f64 v[208:209], v[208:209], v[192:193], v[194:195]
	v_fmac_f64_e32 v[192:193], v[194:195], v[208:209]
	v_div_scale_f64 v[194:195], s[18:19], v[192:193], v[192:193], 1.0
	v_rcp_f64_e32 v[210:211], v[194:195]
	s_nop 0
	v_fma_f64 v[212:213], -v[194:195], v[210:211], 1.0
	v_fmac_f64_e32 v[210:211], v[210:211], v[212:213]
	v_fma_f64 v[212:213], -v[194:195], v[210:211], 1.0
	v_fmac_f64_e32 v[210:211], v[210:211], v[212:213]
	v_div_scale_f64 v[212:213], vcc, 1.0, v[192:193], 1.0
	v_mul_f64 v[214:215], v[212:213], v[210:211]
	v_fma_f64 v[194:195], -v[194:195], v[214:215], v[212:213]
	s_nop 1
	v_div_fmas_f64 v[194:195], v[194:195], v[210:211], v[214:215]
	v_div_fixup_f64 v[192:193], v[194:195], v[192:193], 1.0
	v_mul_f64 v[194:195], v[208:209], -v[192:193]
.LBB94_156:
	s_or_b64 exec, exec, s[16:17]
.LBB94_157:
	s_or_b64 exec, exec, s[0:1]
	v_cmp_ne_u32_e32 vcc, v205, v202
	s_and_saveexec_b64 s[0:1], vcc
	s_xor_b64 s[0:1], exec, s[0:1]
	s_cbranch_execz .LBB94_163
; %bb.158:
	v_cmp_eq_u32_e32 vcc, 7, v205
	s_and_saveexec_b64 s[16:17], vcc
	s_cbranch_execz .LBB94_162
; %bb.159:
	v_cmp_ne_u32_e32 vcc, 7, v202
	s_xor_b64 s[18:19], s[14:15], -1
	s_and_b64 s[22:23], s[18:19], vcc
	s_and_saveexec_b64 s[18:19], s[22:23]
	s_cbranch_execz .LBB94_161
; %bb.160:
	v_ashrrev_i32_e32 v203, 31, v202
	v_lshl_add_u64 v[208:209], v[202:203], 2, v[200:201]
	global_load_dword v203, v[208:209], off
	global_load_dword v205, v[200:201], off offset:28
	s_waitcnt vmcnt(1)
	global_store_dword v[200:201], v203, off offset:28
	s_waitcnt vmcnt(1)
	global_store_dword v[208:209], v205, off
.LBB94_161:
	s_or_b64 exec, exec, s[18:19]
	v_mov_b32_e32 v205, v202
	v_mov_b32_e32 v207, v202
.LBB94_162:
	s_or_b64 exec, exec, s[16:17]
.LBB94_163:
	s_andn2_saveexec_b64 s[0:1], s[0:1]
	s_cbranch_execz .LBB94_165
; %bb.164:
	v_mov_b32_e32 v205, 7
	s_waitcnt vmcnt(39)
	ds_write2_b64 v204, v[160:161], v[162:163] offset0:16 offset1:17
	s_waitcnt vmcnt(38)
	ds_write2_b64 v204, v[156:157], v[158:159] offset0:18 offset1:19
	;; [unrolled: 2-line block ×40, first 2 shown]
.LBB94_165:
	s_or_b64 exec, exec, s[0:1]
	v_cmp_lt_i32_e32 vcc, 7, v205
	s_waitcnt lgkmcnt(0)
	s_barrier
	s_and_saveexec_b64 s[0:1], vcc
	s_cbranch_execz .LBB94_167
; %bb.166:
	ds_read2_b64 v[208:211], v204 offset0:16 offset1:17
	v_mul_f64 v[202:203], v[194:195], v[166:167]
	v_mul_f64 v[166:167], v[192:193], v[166:167]
	v_fma_f64 v[202:203], v[192:193], v[164:165], -v[202:203]
	v_fmac_f64_e32 v[166:167], v[194:195], v[164:165]
	ds_read2_b64 v[192:195], v204 offset0:18 offset1:19
	s_waitcnt lgkmcnt(1)
	v_mul_f64 v[164:165], v[210:211], v[166:167]
	v_fma_f64 v[164:165], v[208:209], v[202:203], -v[164:165]
	v_mul_f64 v[208:209], v[208:209], v[166:167]
	v_fmac_f64_e32 v[208:209], v[210:211], v[202:203]
	s_waitcnt vmcnt(39)
	v_add_f64 v[160:161], v[160:161], -v[164:165]
	s_waitcnt lgkmcnt(0)
	v_mul_f64 v[164:165], v[194:195], v[166:167]
	v_add_f64 v[162:163], v[162:163], -v[208:209]
	v_fma_f64 v[164:165], v[192:193], v[202:203], -v[164:165]
	v_mul_f64 v[192:193], v[192:193], v[166:167]
	ds_read2_b64 v[208:211], v204 offset0:20 offset1:21
	v_fmac_f64_e32 v[192:193], v[194:195], v[202:203]
	s_waitcnt vmcnt(38)
	v_add_f64 v[158:159], v[158:159], -v[192:193]
	ds_read2_b64 v[192:195], v204 offset0:22 offset1:23
	v_add_f64 v[156:157], v[156:157], -v[164:165]
	s_waitcnt lgkmcnt(1)
	v_mul_f64 v[164:165], v[210:211], v[166:167]
	v_fma_f64 v[164:165], v[208:209], v[202:203], -v[164:165]
	v_mul_f64 v[208:209], v[208:209], v[166:167]
	v_fmac_f64_e32 v[208:209], v[210:211], v[202:203]
	s_waitcnt vmcnt(37)
	v_add_f64 v[152:153], v[152:153], -v[164:165]
	s_waitcnt lgkmcnt(0)
	v_mul_f64 v[164:165], v[194:195], v[166:167]
	v_add_f64 v[154:155], v[154:155], -v[208:209]
	v_fma_f64 v[164:165], v[192:193], v[202:203], -v[164:165]
	v_mul_f64 v[192:193], v[192:193], v[166:167]
	ds_read2_b64 v[208:211], v204 offset0:24 offset1:25
	v_fmac_f64_e32 v[192:193], v[194:195], v[202:203]
	s_waitcnt vmcnt(36)
	v_add_f64 v[150:151], v[150:151], -v[192:193]
	ds_read2_b64 v[192:195], v204 offset0:26 offset1:27
	v_add_f64 v[148:149], v[148:149], -v[164:165]
	;; [unrolled: 18-line block ×19, first 2 shown]
	s_waitcnt lgkmcnt(1)
	v_mul_f64 v[164:165], v[210:211], v[166:167]
	v_fma_f64 v[164:165], v[208:209], v[202:203], -v[164:165]
	s_waitcnt vmcnt(1)
	v_add_f64 v[0:1], v[0:1], -v[164:165]
	s_waitcnt lgkmcnt(0)
	v_mul_f64 v[164:165], v[194:195], v[166:167]
	v_mul_f64 v[208:209], v[208:209], v[166:167]
	v_fma_f64 v[164:165], v[192:193], v[202:203], -v[164:165]
	v_mul_f64 v[192:193], v[192:193], v[166:167]
	v_fmac_f64_e32 v[208:209], v[210:211], v[202:203]
	v_fmac_f64_e32 v[192:193], v[194:195], v[202:203]
	v_add_f64 v[2:3], v[2:3], -v[208:209]
	s_waitcnt vmcnt(0)
	v_add_f64 v[188:189], v[188:189], -v[164:165]
	v_add_f64 v[190:191], v[190:191], -v[192:193]
	v_mov_b64_e32 v[164:165], v[202:203]
.LBB94_167:
	s_or_b64 exec, exec, s[0:1]
	v_lshl_add_u32 v192, v205, 4, v204
	s_barrier
	s_waitcnt vmcnt(39)
	ds_write2_b64 v192, v[160:161], v[162:163] offset1:1
	s_waitcnt lgkmcnt(0)
	s_barrier
	ds_read2_b64 v[192:195], v204 offset0:16 offset1:17
	s_cmp_lt_i32 s20, 10
	v_mov_b32_e32 v202, 8
	s_cbranch_scc1 .LBB94_170
; %bb.168:
	v_add_u32_e32 v203, 0x90, v204
	s_mov_b32 s16, 9
	v_mov_b32_e32 v202, 8
.LBB94_169:                             ; =>This Inner Loop Header: Depth=1
	ds_read2_b64 v[208:211], v203 offset1:1
	s_waitcnt lgkmcnt(1)
	v_xor_b32_e32 v213, 0x80000000, v193
	v_xor_b32_e32 v215, 0x80000000, v195
	v_cmp_gt_f64_e32 vcc, 0, v[194:195]
	v_cmp_gt_f64_e64 s[0:1], 0, v[192:193]
	v_mov_b32_e32 v212, v192
	v_mov_b32_e32 v214, v194
	v_cndmask_b32_e64 v213, v193, v213, s[0:1]
	v_cndmask_b32_e32 v215, v195, v215, vcc
	v_add_f64 v[212:213], v[212:213], v[214:215]
	s_waitcnt lgkmcnt(0)
	v_xor_b32_e32 v215, 0x80000000, v209
	v_xor_b32_e32 v217, 0x80000000, v211
	v_cmp_gt_f64_e32 vcc, 0, v[210:211]
	v_cmp_gt_f64_e64 s[0:1], 0, v[208:209]
	v_mov_b32_e32 v214, v208
	v_mov_b32_e32 v216, v210
	v_cndmask_b32_e64 v215, v209, v215, s[0:1]
	v_cndmask_b32_e32 v217, v211, v217, vcc
	v_add_f64 v[214:215], v[214:215], v[216:217]
	v_mov_b32_e32 v218, s16
	s_add_i32 s16, s16, 1
	v_cmp_lt_f64_e32 vcc, v[212:213], v[214:215]
	v_add_u32_e32 v203, 16, v203
	s_cmp_lg_u32 s20, s16
	v_cndmask_b32_e32 v193, v193, v209, vcc
	v_cndmask_b32_e32 v192, v192, v208, vcc
	v_cndmask_b32_e32 v195, v195, v211, vcc
	v_cndmask_b32_e32 v194, v194, v210, vcc
	v_cndmask_b32_e32 v202, v202, v218, vcc
	s_cbranch_scc1 .LBB94_169
.LBB94_170:
	s_waitcnt lgkmcnt(0)
	v_cmp_eq_f64_e32 vcc, 0, v[192:193]
	v_cmp_eq_f64_e64 s[0:1], 0, v[194:195]
	s_and_b64 s[0:1], vcc, s[0:1]
	s_and_saveexec_b64 s[16:17], s[0:1]
	s_xor_b64 s[0:1], exec, s[16:17]
; %bb.171:
	v_cmp_ne_u32_e32 vcc, 0, v206
	s_nop 1
	v_cndmask_b32_e32 v206, 9, v206, vcc
; %bb.172:
	s_andn2_saveexec_b64 s[0:1], s[0:1]
	s_cbranch_execz .LBB94_178
; %bb.173:
	v_cmp_ngt_f64_e64 s[16:17], |v[192:193]|, |v[194:195]|
	s_and_saveexec_b64 s[18:19], s[16:17]
	s_xor_b64 s[16:17], exec, s[18:19]
	s_cbranch_execz .LBB94_175
; %bb.174:
	v_div_scale_f64 v[208:209], s[18:19], v[194:195], v[194:195], v[192:193]
	v_rcp_f64_e32 v[210:211], v[208:209]
	v_div_scale_f64 v[212:213], vcc, v[192:193], v[194:195], v[192:193]
	v_fma_f64 v[214:215], -v[208:209], v[210:211], 1.0
	v_fmac_f64_e32 v[210:211], v[210:211], v[214:215]
	v_fma_f64 v[214:215], -v[208:209], v[210:211], 1.0
	v_fmac_f64_e32 v[210:211], v[210:211], v[214:215]
	v_mul_f64 v[214:215], v[212:213], v[210:211]
	v_fma_f64 v[208:209], -v[208:209], v[214:215], v[212:213]
	v_div_fmas_f64 v[208:209], v[208:209], v[210:211], v[214:215]
	v_div_fixup_f64 v[208:209], v[208:209], v[194:195], v[192:193]
	v_fmac_f64_e32 v[194:195], v[192:193], v[208:209]
	v_div_scale_f64 v[192:193], s[18:19], v[194:195], v[194:195], 1.0
	v_rcp_f64_e32 v[210:211], v[192:193]
	s_nop 0
	v_fma_f64 v[212:213], -v[192:193], v[210:211], 1.0
	v_fmac_f64_e32 v[210:211], v[210:211], v[212:213]
	v_fma_f64 v[212:213], -v[192:193], v[210:211], 1.0
	v_fmac_f64_e32 v[210:211], v[210:211], v[212:213]
	v_div_scale_f64 v[212:213], vcc, 1.0, v[194:195], 1.0
	v_mul_f64 v[214:215], v[212:213], v[210:211]
	v_fma_f64 v[192:193], -v[192:193], v[214:215], v[212:213]
	s_nop 1
	v_div_fmas_f64 v[192:193], v[192:193], v[210:211], v[214:215]
	v_div_fixup_f64 v[194:195], v[192:193], v[194:195], 1.0
	v_mul_f64 v[192:193], v[208:209], v[194:195]
	v_xor_b32_e32 v195, 0x80000000, v195
.LBB94_175:
	s_andn2_saveexec_b64 s[16:17], s[16:17]
	s_cbranch_execz .LBB94_177
; %bb.176:
	v_div_scale_f64 v[208:209], s[18:19], v[192:193], v[192:193], v[194:195]
	v_rcp_f64_e32 v[210:211], v[208:209]
	v_div_scale_f64 v[212:213], vcc, v[194:195], v[192:193], v[194:195]
	v_fma_f64 v[214:215], -v[208:209], v[210:211], 1.0
	v_fmac_f64_e32 v[210:211], v[210:211], v[214:215]
	v_fma_f64 v[214:215], -v[208:209], v[210:211], 1.0
	v_fmac_f64_e32 v[210:211], v[210:211], v[214:215]
	v_mul_f64 v[214:215], v[212:213], v[210:211]
	v_fma_f64 v[208:209], -v[208:209], v[214:215], v[212:213]
	v_div_fmas_f64 v[208:209], v[208:209], v[210:211], v[214:215]
	v_div_fixup_f64 v[208:209], v[208:209], v[192:193], v[194:195]
	v_fmac_f64_e32 v[192:193], v[194:195], v[208:209]
	v_div_scale_f64 v[194:195], s[18:19], v[192:193], v[192:193], 1.0
	v_rcp_f64_e32 v[210:211], v[194:195]
	s_nop 0
	v_fma_f64 v[212:213], -v[194:195], v[210:211], 1.0
	v_fmac_f64_e32 v[210:211], v[210:211], v[212:213]
	v_fma_f64 v[212:213], -v[194:195], v[210:211], 1.0
	v_fmac_f64_e32 v[210:211], v[210:211], v[212:213]
	v_div_scale_f64 v[212:213], vcc, 1.0, v[192:193], 1.0
	v_mul_f64 v[214:215], v[212:213], v[210:211]
	v_fma_f64 v[194:195], -v[194:195], v[214:215], v[212:213]
	s_nop 1
	v_div_fmas_f64 v[194:195], v[194:195], v[210:211], v[214:215]
	v_div_fixup_f64 v[192:193], v[194:195], v[192:193], 1.0
	v_mul_f64 v[194:195], v[208:209], -v[192:193]
.LBB94_177:
	s_or_b64 exec, exec, s[16:17]
.LBB94_178:
	s_or_b64 exec, exec, s[0:1]
	v_cmp_ne_u32_e32 vcc, v205, v202
	s_and_saveexec_b64 s[0:1], vcc
	s_xor_b64 s[0:1], exec, s[0:1]
	s_cbranch_execz .LBB94_184
; %bb.179:
	v_cmp_eq_u32_e32 vcc, 8, v205
	s_and_saveexec_b64 s[16:17], vcc
	s_cbranch_execz .LBB94_183
; %bb.180:
	v_cmp_ne_u32_e32 vcc, 8, v202
	s_xor_b64 s[18:19], s[14:15], -1
	s_and_b64 s[22:23], s[18:19], vcc
	s_and_saveexec_b64 s[18:19], s[22:23]
	s_cbranch_execz .LBB94_182
; %bb.181:
	v_ashrrev_i32_e32 v203, 31, v202
	v_lshl_add_u64 v[208:209], v[202:203], 2, v[200:201]
	global_load_dword v203, v[208:209], off
	global_load_dword v205, v[200:201], off offset:32
	s_waitcnt vmcnt(1)
	global_store_dword v[200:201], v203, off offset:32
	s_waitcnt vmcnt(1)
	global_store_dword v[208:209], v205, off
.LBB94_182:
	s_or_b64 exec, exec, s[18:19]
	v_mov_b32_e32 v205, v202
	v_mov_b32_e32 v207, v202
.LBB94_183:
	s_or_b64 exec, exec, s[16:17]
.LBB94_184:
	s_andn2_saveexec_b64 s[0:1], s[0:1]
	s_cbranch_execz .LBB94_186
; %bb.185:
	v_mov_b32_e32 v205, 8
	s_waitcnt vmcnt(38)
	ds_write2_b64 v204, v[156:157], v[158:159] offset0:18 offset1:19
	s_waitcnt vmcnt(37)
	ds_write2_b64 v204, v[152:153], v[154:155] offset0:20 offset1:21
	;; [unrolled: 2-line block ×39, first 2 shown]
.LBB94_186:
	s_or_b64 exec, exec, s[0:1]
	v_cmp_lt_i32_e32 vcc, 8, v205
	s_waitcnt lgkmcnt(0)
	s_barrier
	s_and_saveexec_b64 s[0:1], vcc
	s_cbranch_execz .LBB94_188
; %bb.187:
	ds_read2_b64 v[208:211], v204 offset0:18 offset1:19
	v_mul_f64 v[202:203], v[194:195], v[162:163]
	v_mul_f64 v[162:163], v[192:193], v[162:163]
	v_fmac_f64_e32 v[162:163], v[194:195], v[160:161]
	v_fma_f64 v[202:203], v[192:193], v[160:161], -v[202:203]
	ds_read2_b64 v[192:195], v204 offset0:20 offset1:21
	s_waitcnt lgkmcnt(1)
	v_mul_f64 v[160:161], v[210:211], v[162:163]
	v_fma_f64 v[160:161], v[208:209], v[202:203], -v[160:161]
	v_mul_f64 v[208:209], v[208:209], v[162:163]
	v_fmac_f64_e32 v[208:209], v[210:211], v[202:203]
	s_waitcnt vmcnt(38)
	v_add_f64 v[158:159], v[158:159], -v[208:209]
	ds_read2_b64 v[208:211], v204 offset0:22 offset1:23
	v_add_f64 v[156:157], v[156:157], -v[160:161]
	s_waitcnt lgkmcnt(1)
	v_mul_f64 v[160:161], v[194:195], v[162:163]
	v_fma_f64 v[160:161], v[192:193], v[202:203], -v[160:161]
	v_mul_f64 v[192:193], v[192:193], v[162:163]
	v_fmac_f64_e32 v[192:193], v[194:195], v[202:203]
	s_waitcnt vmcnt(37)
	v_add_f64 v[152:153], v[152:153], -v[160:161]
	v_add_f64 v[154:155], v[154:155], -v[192:193]
	ds_read2_b64 v[192:195], v204 offset0:24 offset1:25
	s_waitcnt lgkmcnt(1)
	v_mul_f64 v[160:161], v[210:211], v[162:163]
	v_fma_f64 v[160:161], v[208:209], v[202:203], -v[160:161]
	v_mul_f64 v[208:209], v[208:209], v[162:163]
	v_fmac_f64_e32 v[208:209], v[210:211], v[202:203]
	s_waitcnt vmcnt(36)
	v_add_f64 v[150:151], v[150:151], -v[208:209]
	ds_read2_b64 v[208:211], v204 offset0:26 offset1:27
	v_add_f64 v[148:149], v[148:149], -v[160:161]
	s_waitcnt lgkmcnt(1)
	v_mul_f64 v[160:161], v[194:195], v[162:163]
	v_fma_f64 v[160:161], v[192:193], v[202:203], -v[160:161]
	v_mul_f64 v[192:193], v[192:193], v[162:163]
	v_fmac_f64_e32 v[192:193], v[194:195], v[202:203]
	s_waitcnt vmcnt(35)
	v_add_f64 v[144:145], v[144:145], -v[160:161]
	v_add_f64 v[146:147], v[146:147], -v[192:193]
	;; [unrolled: 18-line block ×19, first 2 shown]
	s_waitcnt lgkmcnt(0)
	v_mul_f64 v[160:161], v[210:211], v[162:163]
	v_mul_f64 v[192:193], v[208:209], v[162:163]
	v_fma_f64 v[160:161], v[208:209], v[202:203], -v[160:161]
	v_fmac_f64_e32 v[192:193], v[210:211], v[202:203]
	s_waitcnt vmcnt(0)
	v_add_f64 v[188:189], v[188:189], -v[160:161]
	v_add_f64 v[190:191], v[190:191], -v[192:193]
	v_mov_b64_e32 v[160:161], v[202:203]
.LBB94_188:
	s_or_b64 exec, exec, s[0:1]
	v_lshl_add_u32 v192, v205, 4, v204
	s_barrier
	s_waitcnt vmcnt(38)
	ds_write2_b64 v192, v[156:157], v[158:159] offset1:1
	s_waitcnt lgkmcnt(0)
	s_barrier
	ds_read2_b64 v[192:195], v204 offset0:18 offset1:19
	s_cmp_lt_i32 s20, 11
	v_mov_b32_e32 v202, 9
	s_cbranch_scc1 .LBB94_191
; %bb.189:
	v_add_u32_e32 v203, 0xa0, v204
	s_mov_b32 s16, 10
	v_mov_b32_e32 v202, 9
.LBB94_190:                             ; =>This Inner Loop Header: Depth=1
	ds_read2_b64 v[208:211], v203 offset1:1
	s_waitcnt lgkmcnt(1)
	v_xor_b32_e32 v213, 0x80000000, v193
	v_xor_b32_e32 v215, 0x80000000, v195
	v_cmp_gt_f64_e32 vcc, 0, v[194:195]
	v_cmp_gt_f64_e64 s[0:1], 0, v[192:193]
	v_mov_b32_e32 v212, v192
	v_mov_b32_e32 v214, v194
	v_cndmask_b32_e64 v213, v193, v213, s[0:1]
	v_cndmask_b32_e32 v215, v195, v215, vcc
	v_add_f64 v[212:213], v[212:213], v[214:215]
	s_waitcnt lgkmcnt(0)
	v_xor_b32_e32 v215, 0x80000000, v209
	v_xor_b32_e32 v217, 0x80000000, v211
	v_cmp_gt_f64_e32 vcc, 0, v[210:211]
	v_cmp_gt_f64_e64 s[0:1], 0, v[208:209]
	v_mov_b32_e32 v214, v208
	v_mov_b32_e32 v216, v210
	v_cndmask_b32_e64 v215, v209, v215, s[0:1]
	v_cndmask_b32_e32 v217, v211, v217, vcc
	v_add_f64 v[214:215], v[214:215], v[216:217]
	v_mov_b32_e32 v218, s16
	s_add_i32 s16, s16, 1
	v_cmp_lt_f64_e32 vcc, v[212:213], v[214:215]
	v_add_u32_e32 v203, 16, v203
	s_cmp_lg_u32 s20, s16
	v_cndmask_b32_e32 v193, v193, v209, vcc
	v_cndmask_b32_e32 v192, v192, v208, vcc
	;; [unrolled: 1-line block ×5, first 2 shown]
	s_cbranch_scc1 .LBB94_190
.LBB94_191:
	s_waitcnt lgkmcnt(0)
	v_cmp_eq_f64_e32 vcc, 0, v[192:193]
	v_cmp_eq_f64_e64 s[0:1], 0, v[194:195]
	s_and_b64 s[0:1], vcc, s[0:1]
	s_and_saveexec_b64 s[16:17], s[0:1]
	s_xor_b64 s[0:1], exec, s[16:17]
; %bb.192:
	v_cmp_ne_u32_e32 vcc, 0, v206
	s_nop 1
	v_cndmask_b32_e32 v206, 10, v206, vcc
; %bb.193:
	s_andn2_saveexec_b64 s[0:1], s[0:1]
	s_cbranch_execz .LBB94_199
; %bb.194:
	v_cmp_ngt_f64_e64 s[16:17], |v[192:193]|, |v[194:195]|
	s_and_saveexec_b64 s[18:19], s[16:17]
	s_xor_b64 s[16:17], exec, s[18:19]
	s_cbranch_execz .LBB94_196
; %bb.195:
	v_div_scale_f64 v[208:209], s[18:19], v[194:195], v[194:195], v[192:193]
	v_rcp_f64_e32 v[210:211], v[208:209]
	v_div_scale_f64 v[212:213], vcc, v[192:193], v[194:195], v[192:193]
	v_fma_f64 v[214:215], -v[208:209], v[210:211], 1.0
	v_fmac_f64_e32 v[210:211], v[210:211], v[214:215]
	v_fma_f64 v[214:215], -v[208:209], v[210:211], 1.0
	v_fmac_f64_e32 v[210:211], v[210:211], v[214:215]
	v_mul_f64 v[214:215], v[212:213], v[210:211]
	v_fma_f64 v[208:209], -v[208:209], v[214:215], v[212:213]
	v_div_fmas_f64 v[208:209], v[208:209], v[210:211], v[214:215]
	v_div_fixup_f64 v[208:209], v[208:209], v[194:195], v[192:193]
	v_fmac_f64_e32 v[194:195], v[192:193], v[208:209]
	v_div_scale_f64 v[192:193], s[18:19], v[194:195], v[194:195], 1.0
	v_rcp_f64_e32 v[210:211], v[192:193]
	s_nop 0
	v_fma_f64 v[212:213], -v[192:193], v[210:211], 1.0
	v_fmac_f64_e32 v[210:211], v[210:211], v[212:213]
	v_fma_f64 v[212:213], -v[192:193], v[210:211], 1.0
	v_fmac_f64_e32 v[210:211], v[210:211], v[212:213]
	v_div_scale_f64 v[212:213], vcc, 1.0, v[194:195], 1.0
	v_mul_f64 v[214:215], v[212:213], v[210:211]
	v_fma_f64 v[192:193], -v[192:193], v[214:215], v[212:213]
	s_nop 1
	v_div_fmas_f64 v[192:193], v[192:193], v[210:211], v[214:215]
	v_div_fixup_f64 v[194:195], v[192:193], v[194:195], 1.0
	v_mul_f64 v[192:193], v[208:209], v[194:195]
	v_xor_b32_e32 v195, 0x80000000, v195
.LBB94_196:
	s_andn2_saveexec_b64 s[16:17], s[16:17]
	s_cbranch_execz .LBB94_198
; %bb.197:
	v_div_scale_f64 v[208:209], s[18:19], v[192:193], v[192:193], v[194:195]
	v_rcp_f64_e32 v[210:211], v[208:209]
	v_div_scale_f64 v[212:213], vcc, v[194:195], v[192:193], v[194:195]
	v_fma_f64 v[214:215], -v[208:209], v[210:211], 1.0
	v_fmac_f64_e32 v[210:211], v[210:211], v[214:215]
	v_fma_f64 v[214:215], -v[208:209], v[210:211], 1.0
	v_fmac_f64_e32 v[210:211], v[210:211], v[214:215]
	v_mul_f64 v[214:215], v[212:213], v[210:211]
	v_fma_f64 v[208:209], -v[208:209], v[214:215], v[212:213]
	v_div_fmas_f64 v[208:209], v[208:209], v[210:211], v[214:215]
	v_div_fixup_f64 v[208:209], v[208:209], v[192:193], v[194:195]
	v_fmac_f64_e32 v[192:193], v[194:195], v[208:209]
	v_div_scale_f64 v[194:195], s[18:19], v[192:193], v[192:193], 1.0
	v_rcp_f64_e32 v[210:211], v[194:195]
	s_nop 0
	v_fma_f64 v[212:213], -v[194:195], v[210:211], 1.0
	v_fmac_f64_e32 v[210:211], v[210:211], v[212:213]
	v_fma_f64 v[212:213], -v[194:195], v[210:211], 1.0
	v_fmac_f64_e32 v[210:211], v[210:211], v[212:213]
	v_div_scale_f64 v[212:213], vcc, 1.0, v[192:193], 1.0
	v_mul_f64 v[214:215], v[212:213], v[210:211]
	v_fma_f64 v[194:195], -v[194:195], v[214:215], v[212:213]
	s_nop 1
	v_div_fmas_f64 v[194:195], v[194:195], v[210:211], v[214:215]
	v_div_fixup_f64 v[192:193], v[194:195], v[192:193], 1.0
	v_mul_f64 v[194:195], v[208:209], -v[192:193]
.LBB94_198:
	s_or_b64 exec, exec, s[16:17]
.LBB94_199:
	s_or_b64 exec, exec, s[0:1]
	v_cmp_ne_u32_e32 vcc, v205, v202
	s_and_saveexec_b64 s[0:1], vcc
	s_xor_b64 s[0:1], exec, s[0:1]
	s_cbranch_execz .LBB94_205
; %bb.200:
	v_cmp_eq_u32_e32 vcc, 9, v205
	s_and_saveexec_b64 s[16:17], vcc
	s_cbranch_execz .LBB94_204
; %bb.201:
	v_cmp_ne_u32_e32 vcc, 9, v202
	s_xor_b64 s[18:19], s[14:15], -1
	s_and_b64 s[22:23], s[18:19], vcc
	s_and_saveexec_b64 s[18:19], s[22:23]
	s_cbranch_execz .LBB94_203
; %bb.202:
	v_ashrrev_i32_e32 v203, 31, v202
	v_lshl_add_u64 v[208:209], v[202:203], 2, v[200:201]
	global_load_dword v203, v[208:209], off
	global_load_dword v205, v[200:201], off offset:36
	s_waitcnt vmcnt(1)
	global_store_dword v[200:201], v203, off offset:36
	s_waitcnt vmcnt(1)
	global_store_dword v[208:209], v205, off
.LBB94_203:
	s_or_b64 exec, exec, s[18:19]
	v_mov_b32_e32 v205, v202
	v_mov_b32_e32 v207, v202
.LBB94_204:
	s_or_b64 exec, exec, s[16:17]
.LBB94_205:
	s_andn2_saveexec_b64 s[0:1], s[0:1]
	s_cbranch_execz .LBB94_207
; %bb.206:
	v_mov_b32_e32 v205, 9
	s_waitcnt vmcnt(37)
	ds_write2_b64 v204, v[152:153], v[154:155] offset0:20 offset1:21
	s_waitcnt vmcnt(36)
	ds_write2_b64 v204, v[148:149], v[150:151] offset0:22 offset1:23
	;; [unrolled: 2-line block ×38, first 2 shown]
.LBB94_207:
	s_or_b64 exec, exec, s[0:1]
	v_cmp_lt_i32_e32 vcc, 9, v205
	s_waitcnt lgkmcnt(0)
	s_barrier
	s_and_saveexec_b64 s[0:1], vcc
	s_cbranch_execz .LBB94_209
; %bb.208:
	ds_read2_b64 v[208:211], v204 offset0:20 offset1:21
	v_mul_f64 v[202:203], v[194:195], v[158:159]
	v_mul_f64 v[158:159], v[192:193], v[158:159]
	v_fma_f64 v[202:203], v[192:193], v[156:157], -v[202:203]
	v_fmac_f64_e32 v[158:159], v[194:195], v[156:157]
	ds_read2_b64 v[192:195], v204 offset0:22 offset1:23
	s_waitcnt lgkmcnt(1)
	v_mul_f64 v[156:157], v[210:211], v[158:159]
	v_fma_f64 v[156:157], v[208:209], v[202:203], -v[156:157]
	v_mul_f64 v[208:209], v[208:209], v[158:159]
	v_fmac_f64_e32 v[208:209], v[210:211], v[202:203]
	s_waitcnt vmcnt(37)
	v_add_f64 v[152:153], v[152:153], -v[156:157]
	s_waitcnt lgkmcnt(0)
	v_mul_f64 v[156:157], v[194:195], v[158:159]
	v_add_f64 v[154:155], v[154:155], -v[208:209]
	v_fma_f64 v[156:157], v[192:193], v[202:203], -v[156:157]
	v_mul_f64 v[192:193], v[192:193], v[158:159]
	ds_read2_b64 v[208:211], v204 offset0:24 offset1:25
	v_fmac_f64_e32 v[192:193], v[194:195], v[202:203]
	s_waitcnt vmcnt(36)
	v_add_f64 v[150:151], v[150:151], -v[192:193]
	ds_read2_b64 v[192:195], v204 offset0:26 offset1:27
	v_add_f64 v[148:149], v[148:149], -v[156:157]
	s_waitcnt lgkmcnt(1)
	v_mul_f64 v[156:157], v[210:211], v[158:159]
	v_fma_f64 v[156:157], v[208:209], v[202:203], -v[156:157]
	v_mul_f64 v[208:209], v[208:209], v[158:159]
	v_fmac_f64_e32 v[208:209], v[210:211], v[202:203]
	s_waitcnt vmcnt(35)
	v_add_f64 v[144:145], v[144:145], -v[156:157]
	s_waitcnt lgkmcnt(0)
	v_mul_f64 v[156:157], v[194:195], v[158:159]
	v_add_f64 v[146:147], v[146:147], -v[208:209]
	v_fma_f64 v[156:157], v[192:193], v[202:203], -v[156:157]
	v_mul_f64 v[192:193], v[192:193], v[158:159]
	ds_read2_b64 v[208:211], v204 offset0:28 offset1:29
	v_fmac_f64_e32 v[192:193], v[194:195], v[202:203]
	s_waitcnt vmcnt(34)
	v_add_f64 v[142:143], v[142:143], -v[192:193]
	ds_read2_b64 v[192:195], v204 offset0:30 offset1:31
	v_add_f64 v[140:141], v[140:141], -v[156:157]
	;; [unrolled: 18-line block ×18, first 2 shown]
	s_waitcnt lgkmcnt(1)
	v_mul_f64 v[156:157], v[210:211], v[158:159]
	v_fma_f64 v[156:157], v[208:209], v[202:203], -v[156:157]
	s_waitcnt vmcnt(1)
	v_add_f64 v[0:1], v[0:1], -v[156:157]
	s_waitcnt lgkmcnt(0)
	v_mul_f64 v[156:157], v[194:195], v[158:159]
	v_mul_f64 v[208:209], v[208:209], v[158:159]
	v_fma_f64 v[156:157], v[192:193], v[202:203], -v[156:157]
	v_mul_f64 v[192:193], v[192:193], v[158:159]
	v_fmac_f64_e32 v[208:209], v[210:211], v[202:203]
	v_fmac_f64_e32 v[192:193], v[194:195], v[202:203]
	v_add_f64 v[2:3], v[2:3], -v[208:209]
	s_waitcnt vmcnt(0)
	v_add_f64 v[188:189], v[188:189], -v[156:157]
	v_add_f64 v[190:191], v[190:191], -v[192:193]
	v_mov_b64_e32 v[156:157], v[202:203]
.LBB94_209:
	s_or_b64 exec, exec, s[0:1]
	v_lshl_add_u32 v192, v205, 4, v204
	s_barrier
	s_waitcnt vmcnt(37)
	ds_write2_b64 v192, v[152:153], v[154:155] offset1:1
	s_waitcnt lgkmcnt(0)
	s_barrier
	ds_read2_b64 v[192:195], v204 offset0:20 offset1:21
	s_cmp_lt_i32 s20, 12
	v_mov_b32_e32 v202, 10
	s_cbranch_scc1 .LBB94_212
; %bb.210:
	v_add_u32_e32 v203, 0xb0, v204
	s_mov_b32 s16, 11
	v_mov_b32_e32 v202, 10
.LBB94_211:                             ; =>This Inner Loop Header: Depth=1
	ds_read2_b64 v[208:211], v203 offset1:1
	s_waitcnt lgkmcnt(1)
	v_xor_b32_e32 v213, 0x80000000, v193
	v_xor_b32_e32 v215, 0x80000000, v195
	v_cmp_gt_f64_e32 vcc, 0, v[194:195]
	v_cmp_gt_f64_e64 s[0:1], 0, v[192:193]
	v_mov_b32_e32 v212, v192
	v_mov_b32_e32 v214, v194
	v_cndmask_b32_e64 v213, v193, v213, s[0:1]
	v_cndmask_b32_e32 v215, v195, v215, vcc
	v_add_f64 v[212:213], v[212:213], v[214:215]
	s_waitcnt lgkmcnt(0)
	v_xor_b32_e32 v215, 0x80000000, v209
	v_xor_b32_e32 v217, 0x80000000, v211
	v_cmp_gt_f64_e32 vcc, 0, v[210:211]
	v_cmp_gt_f64_e64 s[0:1], 0, v[208:209]
	v_mov_b32_e32 v214, v208
	v_mov_b32_e32 v216, v210
	v_cndmask_b32_e64 v215, v209, v215, s[0:1]
	v_cndmask_b32_e32 v217, v211, v217, vcc
	v_add_f64 v[214:215], v[214:215], v[216:217]
	v_mov_b32_e32 v218, s16
	s_add_i32 s16, s16, 1
	v_cmp_lt_f64_e32 vcc, v[212:213], v[214:215]
	v_add_u32_e32 v203, 16, v203
	s_cmp_lg_u32 s20, s16
	v_cndmask_b32_e32 v193, v193, v209, vcc
	v_cndmask_b32_e32 v192, v192, v208, vcc
	;; [unrolled: 1-line block ×5, first 2 shown]
	s_cbranch_scc1 .LBB94_211
.LBB94_212:
	s_waitcnt lgkmcnt(0)
	v_cmp_eq_f64_e32 vcc, 0, v[192:193]
	v_cmp_eq_f64_e64 s[0:1], 0, v[194:195]
	s_and_b64 s[0:1], vcc, s[0:1]
	s_and_saveexec_b64 s[16:17], s[0:1]
	s_xor_b64 s[0:1], exec, s[16:17]
; %bb.213:
	v_cmp_ne_u32_e32 vcc, 0, v206
	s_nop 1
	v_cndmask_b32_e32 v206, 11, v206, vcc
; %bb.214:
	s_andn2_saveexec_b64 s[0:1], s[0:1]
	s_cbranch_execz .LBB94_220
; %bb.215:
	v_cmp_ngt_f64_e64 s[16:17], |v[192:193]|, |v[194:195]|
	s_and_saveexec_b64 s[18:19], s[16:17]
	s_xor_b64 s[16:17], exec, s[18:19]
	s_cbranch_execz .LBB94_217
; %bb.216:
	v_div_scale_f64 v[208:209], s[18:19], v[194:195], v[194:195], v[192:193]
	v_rcp_f64_e32 v[210:211], v[208:209]
	v_div_scale_f64 v[212:213], vcc, v[192:193], v[194:195], v[192:193]
	v_fma_f64 v[214:215], -v[208:209], v[210:211], 1.0
	v_fmac_f64_e32 v[210:211], v[210:211], v[214:215]
	v_fma_f64 v[214:215], -v[208:209], v[210:211], 1.0
	v_fmac_f64_e32 v[210:211], v[210:211], v[214:215]
	v_mul_f64 v[214:215], v[212:213], v[210:211]
	v_fma_f64 v[208:209], -v[208:209], v[214:215], v[212:213]
	v_div_fmas_f64 v[208:209], v[208:209], v[210:211], v[214:215]
	v_div_fixup_f64 v[208:209], v[208:209], v[194:195], v[192:193]
	v_fmac_f64_e32 v[194:195], v[192:193], v[208:209]
	v_div_scale_f64 v[192:193], s[18:19], v[194:195], v[194:195], 1.0
	v_rcp_f64_e32 v[210:211], v[192:193]
	s_nop 0
	v_fma_f64 v[212:213], -v[192:193], v[210:211], 1.0
	v_fmac_f64_e32 v[210:211], v[210:211], v[212:213]
	v_fma_f64 v[212:213], -v[192:193], v[210:211], 1.0
	v_fmac_f64_e32 v[210:211], v[210:211], v[212:213]
	v_div_scale_f64 v[212:213], vcc, 1.0, v[194:195], 1.0
	v_mul_f64 v[214:215], v[212:213], v[210:211]
	v_fma_f64 v[192:193], -v[192:193], v[214:215], v[212:213]
	s_nop 1
	v_div_fmas_f64 v[192:193], v[192:193], v[210:211], v[214:215]
	v_div_fixup_f64 v[194:195], v[192:193], v[194:195], 1.0
	v_mul_f64 v[192:193], v[208:209], v[194:195]
	v_xor_b32_e32 v195, 0x80000000, v195
.LBB94_217:
	s_andn2_saveexec_b64 s[16:17], s[16:17]
	s_cbranch_execz .LBB94_219
; %bb.218:
	v_div_scale_f64 v[208:209], s[18:19], v[192:193], v[192:193], v[194:195]
	v_rcp_f64_e32 v[210:211], v[208:209]
	v_div_scale_f64 v[212:213], vcc, v[194:195], v[192:193], v[194:195]
	v_fma_f64 v[214:215], -v[208:209], v[210:211], 1.0
	v_fmac_f64_e32 v[210:211], v[210:211], v[214:215]
	v_fma_f64 v[214:215], -v[208:209], v[210:211], 1.0
	v_fmac_f64_e32 v[210:211], v[210:211], v[214:215]
	v_mul_f64 v[214:215], v[212:213], v[210:211]
	v_fma_f64 v[208:209], -v[208:209], v[214:215], v[212:213]
	v_div_fmas_f64 v[208:209], v[208:209], v[210:211], v[214:215]
	v_div_fixup_f64 v[208:209], v[208:209], v[192:193], v[194:195]
	v_fmac_f64_e32 v[192:193], v[194:195], v[208:209]
	v_div_scale_f64 v[194:195], s[18:19], v[192:193], v[192:193], 1.0
	v_rcp_f64_e32 v[210:211], v[194:195]
	s_nop 0
	v_fma_f64 v[212:213], -v[194:195], v[210:211], 1.0
	v_fmac_f64_e32 v[210:211], v[210:211], v[212:213]
	v_fma_f64 v[212:213], -v[194:195], v[210:211], 1.0
	v_fmac_f64_e32 v[210:211], v[210:211], v[212:213]
	v_div_scale_f64 v[212:213], vcc, 1.0, v[192:193], 1.0
	v_mul_f64 v[214:215], v[212:213], v[210:211]
	v_fma_f64 v[194:195], -v[194:195], v[214:215], v[212:213]
	s_nop 1
	v_div_fmas_f64 v[194:195], v[194:195], v[210:211], v[214:215]
	v_div_fixup_f64 v[192:193], v[194:195], v[192:193], 1.0
	v_mul_f64 v[194:195], v[208:209], -v[192:193]
.LBB94_219:
	s_or_b64 exec, exec, s[16:17]
.LBB94_220:
	s_or_b64 exec, exec, s[0:1]
	v_cmp_ne_u32_e32 vcc, v205, v202
	s_and_saveexec_b64 s[0:1], vcc
	s_xor_b64 s[0:1], exec, s[0:1]
	s_cbranch_execz .LBB94_226
; %bb.221:
	v_cmp_eq_u32_e32 vcc, 10, v205
	s_and_saveexec_b64 s[16:17], vcc
	s_cbranch_execz .LBB94_225
; %bb.222:
	v_cmp_ne_u32_e32 vcc, 10, v202
	s_xor_b64 s[18:19], s[14:15], -1
	s_and_b64 s[22:23], s[18:19], vcc
	s_and_saveexec_b64 s[18:19], s[22:23]
	s_cbranch_execz .LBB94_224
; %bb.223:
	v_ashrrev_i32_e32 v203, 31, v202
	v_lshl_add_u64 v[208:209], v[202:203], 2, v[200:201]
	global_load_dword v203, v[208:209], off
	global_load_dword v205, v[200:201], off offset:40
	s_waitcnt vmcnt(1)
	global_store_dword v[200:201], v203, off offset:40
	s_waitcnt vmcnt(1)
	global_store_dword v[208:209], v205, off
.LBB94_224:
	s_or_b64 exec, exec, s[18:19]
	v_mov_b32_e32 v205, v202
	v_mov_b32_e32 v207, v202
.LBB94_225:
	s_or_b64 exec, exec, s[16:17]
.LBB94_226:
	s_andn2_saveexec_b64 s[0:1], s[0:1]
	s_cbranch_execz .LBB94_228
; %bb.227:
	v_mov_b32_e32 v205, 10
	s_waitcnt vmcnt(36)
	ds_write2_b64 v204, v[148:149], v[150:151] offset0:22 offset1:23
	s_waitcnt vmcnt(35)
	ds_write2_b64 v204, v[144:145], v[146:147] offset0:24 offset1:25
	;; [unrolled: 2-line block ×37, first 2 shown]
.LBB94_228:
	s_or_b64 exec, exec, s[0:1]
	v_cmp_lt_i32_e32 vcc, 10, v205
	s_waitcnt lgkmcnt(0)
	s_barrier
	s_and_saveexec_b64 s[0:1], vcc
	s_cbranch_execz .LBB94_230
; %bb.229:
	ds_read2_b64 v[208:211], v204 offset0:22 offset1:23
	v_mul_f64 v[202:203], v[194:195], v[154:155]
	v_mul_f64 v[154:155], v[192:193], v[154:155]
	v_fmac_f64_e32 v[154:155], v[194:195], v[152:153]
	v_fma_f64 v[202:203], v[192:193], v[152:153], -v[202:203]
	ds_read2_b64 v[192:195], v204 offset0:24 offset1:25
	s_waitcnt lgkmcnt(1)
	v_mul_f64 v[152:153], v[210:211], v[154:155]
	v_fma_f64 v[152:153], v[208:209], v[202:203], -v[152:153]
	v_mul_f64 v[208:209], v[208:209], v[154:155]
	v_fmac_f64_e32 v[208:209], v[210:211], v[202:203]
	s_waitcnt vmcnt(36)
	v_add_f64 v[150:151], v[150:151], -v[208:209]
	ds_read2_b64 v[208:211], v204 offset0:26 offset1:27
	v_add_f64 v[148:149], v[148:149], -v[152:153]
	s_waitcnt lgkmcnt(1)
	v_mul_f64 v[152:153], v[194:195], v[154:155]
	v_fma_f64 v[152:153], v[192:193], v[202:203], -v[152:153]
	v_mul_f64 v[192:193], v[192:193], v[154:155]
	v_fmac_f64_e32 v[192:193], v[194:195], v[202:203]
	s_waitcnt vmcnt(35)
	v_add_f64 v[144:145], v[144:145], -v[152:153]
	v_add_f64 v[146:147], v[146:147], -v[192:193]
	ds_read2_b64 v[192:195], v204 offset0:28 offset1:29
	s_waitcnt lgkmcnt(1)
	v_mul_f64 v[152:153], v[210:211], v[154:155]
	v_fma_f64 v[152:153], v[208:209], v[202:203], -v[152:153]
	v_mul_f64 v[208:209], v[208:209], v[154:155]
	v_fmac_f64_e32 v[208:209], v[210:211], v[202:203]
	s_waitcnt vmcnt(34)
	v_add_f64 v[142:143], v[142:143], -v[208:209]
	ds_read2_b64 v[208:211], v204 offset0:30 offset1:31
	v_add_f64 v[140:141], v[140:141], -v[152:153]
	s_waitcnt lgkmcnt(1)
	v_mul_f64 v[152:153], v[194:195], v[154:155]
	v_fma_f64 v[152:153], v[192:193], v[202:203], -v[152:153]
	v_mul_f64 v[192:193], v[192:193], v[154:155]
	v_fmac_f64_e32 v[192:193], v[194:195], v[202:203]
	s_waitcnt vmcnt(33)
	v_add_f64 v[136:137], v[136:137], -v[152:153]
	v_add_f64 v[138:139], v[138:139], -v[192:193]
	ds_read2_b64 v[192:195], v204 offset0:32 offset1:33
	s_waitcnt lgkmcnt(1)
	v_mul_f64 v[152:153], v[210:211], v[154:155]
	v_fma_f64 v[152:153], v[208:209], v[202:203], -v[152:153]
	v_mul_f64 v[208:209], v[208:209], v[154:155]
	v_fmac_f64_e32 v[208:209], v[210:211], v[202:203]
	s_waitcnt vmcnt(32)
	v_add_f64 v[134:135], v[134:135], -v[208:209]
	ds_read2_b64 v[208:211], v204 offset0:34 offset1:35
	v_add_f64 v[132:133], v[132:133], -v[152:153]
	s_waitcnt lgkmcnt(1)
	v_mul_f64 v[152:153], v[194:195], v[154:155]
	v_fma_f64 v[152:153], v[192:193], v[202:203], -v[152:153]
	v_mul_f64 v[192:193], v[192:193], v[154:155]
	v_fmac_f64_e32 v[192:193], v[194:195], v[202:203]
	s_waitcnt vmcnt(31)
	v_add_f64 v[124:125], v[124:125], -v[152:153]
	v_add_f64 v[126:127], v[126:127], -v[192:193]
	ds_read2_b64 v[192:195], v204 offset0:36 offset1:37
	s_waitcnt lgkmcnt(1)
	v_mul_f64 v[152:153], v[210:211], v[154:155]
	v_fma_f64 v[152:153], v[208:209], v[202:203], -v[152:153]
	v_mul_f64 v[208:209], v[208:209], v[154:155]
	v_fmac_f64_e32 v[208:209], v[210:211], v[202:203]
	s_waitcnt vmcnt(30)
	v_add_f64 v[118:119], v[118:119], -v[208:209]
	ds_read2_b64 v[208:211], v204 offset0:38 offset1:39
	v_add_f64 v[116:117], v[116:117], -v[152:153]
	s_waitcnt lgkmcnt(1)
	v_mul_f64 v[152:153], v[194:195], v[154:155]
	v_fma_f64 v[152:153], v[192:193], v[202:203], -v[152:153]
	v_mul_f64 v[192:193], v[192:193], v[154:155]
	v_fmac_f64_e32 v[192:193], v[194:195], v[202:203]
	s_waitcnt vmcnt(29)
	v_add_f64 v[112:113], v[112:113], -v[152:153]
	v_add_f64 v[114:115], v[114:115], -v[192:193]
	ds_read2_b64 v[192:195], v204 offset0:40 offset1:41
	s_waitcnt lgkmcnt(1)
	v_mul_f64 v[152:153], v[210:211], v[154:155]
	v_fma_f64 v[152:153], v[208:209], v[202:203], -v[152:153]
	v_mul_f64 v[208:209], v[208:209], v[154:155]
	v_fmac_f64_e32 v[208:209], v[210:211], v[202:203]
	s_waitcnt vmcnt(28)
	v_add_f64 v[110:111], v[110:111], -v[208:209]
	ds_read2_b64 v[208:211], v204 offset0:42 offset1:43
	v_add_f64 v[108:109], v[108:109], -v[152:153]
	s_waitcnt lgkmcnt(1)
	v_mul_f64 v[152:153], v[194:195], v[154:155]
	v_fma_f64 v[152:153], v[192:193], v[202:203], -v[152:153]
	v_mul_f64 v[192:193], v[192:193], v[154:155]
	v_fmac_f64_e32 v[192:193], v[194:195], v[202:203]
	s_waitcnt vmcnt(27)
	v_add_f64 v[104:105], v[104:105], -v[152:153]
	v_add_f64 v[106:107], v[106:107], -v[192:193]
	ds_read2_b64 v[192:195], v204 offset0:44 offset1:45
	s_waitcnt lgkmcnt(1)
	v_mul_f64 v[152:153], v[210:211], v[154:155]
	v_fma_f64 v[152:153], v[208:209], v[202:203], -v[152:153]
	v_mul_f64 v[208:209], v[208:209], v[154:155]
	v_fmac_f64_e32 v[208:209], v[210:211], v[202:203]
	s_waitcnt vmcnt(26)
	v_add_f64 v[102:103], v[102:103], -v[208:209]
	ds_read2_b64 v[208:211], v204 offset0:46 offset1:47
	v_add_f64 v[100:101], v[100:101], -v[152:153]
	s_waitcnt lgkmcnt(1)
	v_mul_f64 v[152:153], v[194:195], v[154:155]
	v_fma_f64 v[152:153], v[192:193], v[202:203], -v[152:153]
	v_mul_f64 v[192:193], v[192:193], v[154:155]
	v_fmac_f64_e32 v[192:193], v[194:195], v[202:203]
	s_waitcnt vmcnt(25)
	v_add_f64 v[96:97], v[96:97], -v[152:153]
	v_add_f64 v[98:99], v[98:99], -v[192:193]
	ds_read2_b64 v[192:195], v204 offset0:48 offset1:49
	s_waitcnt lgkmcnt(1)
	v_mul_f64 v[152:153], v[210:211], v[154:155]
	v_fma_f64 v[152:153], v[208:209], v[202:203], -v[152:153]
	v_mul_f64 v[208:209], v[208:209], v[154:155]
	v_fmac_f64_e32 v[208:209], v[210:211], v[202:203]
	s_waitcnt vmcnt(24)
	v_add_f64 v[94:95], v[94:95], -v[208:209]
	ds_read2_b64 v[208:211], v204 offset0:50 offset1:51
	v_add_f64 v[92:93], v[92:93], -v[152:153]
	s_waitcnt lgkmcnt(1)
	v_mul_f64 v[152:153], v[194:195], v[154:155]
	v_fma_f64 v[152:153], v[192:193], v[202:203], -v[152:153]
	v_mul_f64 v[192:193], v[192:193], v[154:155]
	v_fmac_f64_e32 v[192:193], v[194:195], v[202:203]
	s_waitcnt vmcnt(23)
	v_add_f64 v[88:89], v[88:89], -v[152:153]
	v_add_f64 v[90:91], v[90:91], -v[192:193]
	ds_read2_b64 v[192:195], v204 offset0:52 offset1:53
	s_waitcnt lgkmcnt(1)
	v_mul_f64 v[152:153], v[210:211], v[154:155]
	v_fma_f64 v[152:153], v[208:209], v[202:203], -v[152:153]
	v_mul_f64 v[208:209], v[208:209], v[154:155]
	v_fmac_f64_e32 v[208:209], v[210:211], v[202:203]
	s_waitcnt vmcnt(22)
	v_add_f64 v[86:87], v[86:87], -v[208:209]
	ds_read2_b64 v[208:211], v204 offset0:54 offset1:55
	v_add_f64 v[84:85], v[84:85], -v[152:153]
	s_waitcnt lgkmcnt(1)
	v_mul_f64 v[152:153], v[194:195], v[154:155]
	v_fma_f64 v[152:153], v[192:193], v[202:203], -v[152:153]
	v_mul_f64 v[192:193], v[192:193], v[154:155]
	v_fmac_f64_e32 v[192:193], v[194:195], v[202:203]
	s_waitcnt vmcnt(21)
	v_add_f64 v[80:81], v[80:81], -v[152:153]
	v_add_f64 v[82:83], v[82:83], -v[192:193]
	ds_read2_b64 v[192:195], v204 offset0:56 offset1:57
	s_waitcnt lgkmcnt(1)
	v_mul_f64 v[152:153], v[210:211], v[154:155]
	v_fma_f64 v[152:153], v[208:209], v[202:203], -v[152:153]
	v_mul_f64 v[208:209], v[208:209], v[154:155]
	v_fmac_f64_e32 v[208:209], v[210:211], v[202:203]
	s_waitcnt vmcnt(20)
	v_add_f64 v[78:79], v[78:79], -v[208:209]
	ds_read2_b64 v[208:211], v204 offset0:58 offset1:59
	v_add_f64 v[76:77], v[76:77], -v[152:153]
	s_waitcnt lgkmcnt(1)
	v_mul_f64 v[152:153], v[194:195], v[154:155]
	v_fma_f64 v[152:153], v[192:193], v[202:203], -v[152:153]
	v_mul_f64 v[192:193], v[192:193], v[154:155]
	v_fmac_f64_e32 v[192:193], v[194:195], v[202:203]
	s_waitcnt vmcnt(19)
	v_add_f64 v[72:73], v[72:73], -v[152:153]
	v_add_f64 v[74:75], v[74:75], -v[192:193]
	ds_read2_b64 v[192:195], v204 offset0:60 offset1:61
	s_waitcnt lgkmcnt(1)
	v_mul_f64 v[152:153], v[210:211], v[154:155]
	v_fma_f64 v[152:153], v[208:209], v[202:203], -v[152:153]
	v_mul_f64 v[208:209], v[208:209], v[154:155]
	v_fmac_f64_e32 v[208:209], v[210:211], v[202:203]
	s_waitcnt vmcnt(18)
	v_add_f64 v[70:71], v[70:71], -v[208:209]
	ds_read2_b64 v[208:211], v204 offset0:62 offset1:63
	v_add_f64 v[68:69], v[68:69], -v[152:153]
	s_waitcnt lgkmcnt(1)
	v_mul_f64 v[152:153], v[194:195], v[154:155]
	v_fma_f64 v[152:153], v[192:193], v[202:203], -v[152:153]
	v_mul_f64 v[192:193], v[192:193], v[154:155]
	v_fmac_f64_e32 v[192:193], v[194:195], v[202:203]
	s_waitcnt vmcnt(17)
	v_add_f64 v[64:65], v[64:65], -v[152:153]
	v_add_f64 v[66:67], v[66:67], -v[192:193]
	ds_read2_b64 v[192:195], v204 offset0:64 offset1:65
	s_waitcnt lgkmcnt(1)
	v_mul_f64 v[152:153], v[210:211], v[154:155]
	v_fma_f64 v[152:153], v[208:209], v[202:203], -v[152:153]
	v_mul_f64 v[208:209], v[208:209], v[154:155]
	v_fmac_f64_e32 v[208:209], v[210:211], v[202:203]
	s_waitcnt vmcnt(16)
	v_add_f64 v[62:63], v[62:63], -v[208:209]
	ds_read2_b64 v[208:211], v204 offset0:66 offset1:67
	v_add_f64 v[60:61], v[60:61], -v[152:153]
	s_waitcnt lgkmcnt(1)
	v_mul_f64 v[152:153], v[194:195], v[154:155]
	v_fma_f64 v[152:153], v[192:193], v[202:203], -v[152:153]
	v_mul_f64 v[192:193], v[192:193], v[154:155]
	v_fmac_f64_e32 v[192:193], v[194:195], v[202:203]
	s_waitcnt vmcnt(15)
	v_add_f64 v[56:57], v[56:57], -v[152:153]
	v_add_f64 v[58:59], v[58:59], -v[192:193]
	ds_read2_b64 v[192:195], v204 offset0:68 offset1:69
	s_waitcnt lgkmcnt(1)
	v_mul_f64 v[152:153], v[210:211], v[154:155]
	v_fma_f64 v[152:153], v[208:209], v[202:203], -v[152:153]
	v_mul_f64 v[208:209], v[208:209], v[154:155]
	v_fmac_f64_e32 v[208:209], v[210:211], v[202:203]
	s_waitcnt vmcnt(14)
	v_add_f64 v[54:55], v[54:55], -v[208:209]
	ds_read2_b64 v[208:211], v204 offset0:70 offset1:71
	v_add_f64 v[52:53], v[52:53], -v[152:153]
	s_waitcnt lgkmcnt(1)
	v_mul_f64 v[152:153], v[194:195], v[154:155]
	v_fma_f64 v[152:153], v[192:193], v[202:203], -v[152:153]
	v_mul_f64 v[192:193], v[192:193], v[154:155]
	v_fmac_f64_e32 v[192:193], v[194:195], v[202:203]
	s_waitcnt vmcnt(13)
	v_add_f64 v[48:49], v[48:49], -v[152:153]
	v_add_f64 v[50:51], v[50:51], -v[192:193]
	ds_read2_b64 v[192:195], v204 offset0:72 offset1:73
	s_waitcnt lgkmcnt(1)
	v_mul_f64 v[152:153], v[210:211], v[154:155]
	v_fma_f64 v[152:153], v[208:209], v[202:203], -v[152:153]
	v_mul_f64 v[208:209], v[208:209], v[154:155]
	v_fmac_f64_e32 v[208:209], v[210:211], v[202:203]
	s_waitcnt vmcnt(12)
	v_add_f64 v[46:47], v[46:47], -v[208:209]
	ds_read2_b64 v[208:211], v204 offset0:74 offset1:75
	v_add_f64 v[44:45], v[44:45], -v[152:153]
	s_waitcnt lgkmcnt(1)
	v_mul_f64 v[152:153], v[194:195], v[154:155]
	v_fma_f64 v[152:153], v[192:193], v[202:203], -v[152:153]
	v_mul_f64 v[192:193], v[192:193], v[154:155]
	v_fmac_f64_e32 v[192:193], v[194:195], v[202:203]
	s_waitcnt vmcnt(11)
	v_add_f64 v[40:41], v[40:41], -v[152:153]
	v_add_f64 v[42:43], v[42:43], -v[192:193]
	ds_read2_b64 v[192:195], v204 offset0:76 offset1:77
	s_waitcnt lgkmcnt(1)
	v_mul_f64 v[152:153], v[210:211], v[154:155]
	v_fma_f64 v[152:153], v[208:209], v[202:203], -v[152:153]
	v_mul_f64 v[208:209], v[208:209], v[154:155]
	v_fmac_f64_e32 v[208:209], v[210:211], v[202:203]
	s_waitcnt vmcnt(10)
	v_add_f64 v[38:39], v[38:39], -v[208:209]
	ds_read2_b64 v[208:211], v204 offset0:78 offset1:79
	v_add_f64 v[36:37], v[36:37], -v[152:153]
	s_waitcnt lgkmcnt(1)
	v_mul_f64 v[152:153], v[194:195], v[154:155]
	v_fma_f64 v[152:153], v[192:193], v[202:203], -v[152:153]
	v_mul_f64 v[192:193], v[192:193], v[154:155]
	v_fmac_f64_e32 v[192:193], v[194:195], v[202:203]
	s_waitcnt vmcnt(9)
	v_add_f64 v[32:33], v[32:33], -v[152:153]
	v_add_f64 v[34:35], v[34:35], -v[192:193]
	ds_read2_b64 v[192:195], v204 offset0:80 offset1:81
	s_waitcnt lgkmcnt(1)
	v_mul_f64 v[152:153], v[210:211], v[154:155]
	v_fma_f64 v[152:153], v[208:209], v[202:203], -v[152:153]
	v_mul_f64 v[208:209], v[208:209], v[154:155]
	v_fmac_f64_e32 v[208:209], v[210:211], v[202:203]
	s_waitcnt vmcnt(8)
	v_add_f64 v[30:31], v[30:31], -v[208:209]
	ds_read2_b64 v[208:211], v204 offset0:82 offset1:83
	v_add_f64 v[28:29], v[28:29], -v[152:153]
	s_waitcnt lgkmcnt(1)
	v_mul_f64 v[152:153], v[194:195], v[154:155]
	v_fma_f64 v[152:153], v[192:193], v[202:203], -v[152:153]
	v_mul_f64 v[192:193], v[192:193], v[154:155]
	v_fmac_f64_e32 v[192:193], v[194:195], v[202:203]
	s_waitcnt vmcnt(7)
	v_add_f64 v[24:25], v[24:25], -v[152:153]
	v_add_f64 v[26:27], v[26:27], -v[192:193]
	ds_read2_b64 v[192:195], v204 offset0:84 offset1:85
	s_waitcnt lgkmcnt(1)
	v_mul_f64 v[152:153], v[210:211], v[154:155]
	v_fma_f64 v[152:153], v[208:209], v[202:203], -v[152:153]
	v_mul_f64 v[208:209], v[208:209], v[154:155]
	v_fmac_f64_e32 v[208:209], v[210:211], v[202:203]
	s_waitcnt vmcnt(6)
	v_add_f64 v[22:23], v[22:23], -v[208:209]
	ds_read2_b64 v[208:211], v204 offset0:86 offset1:87
	v_add_f64 v[20:21], v[20:21], -v[152:153]
	s_waitcnt lgkmcnt(1)
	v_mul_f64 v[152:153], v[194:195], v[154:155]
	v_fma_f64 v[152:153], v[192:193], v[202:203], -v[152:153]
	v_mul_f64 v[192:193], v[192:193], v[154:155]
	v_fmac_f64_e32 v[192:193], v[194:195], v[202:203]
	s_waitcnt vmcnt(5)
	v_add_f64 v[16:17], v[16:17], -v[152:153]
	v_add_f64 v[18:19], v[18:19], -v[192:193]
	ds_read2_b64 v[192:195], v204 offset0:88 offset1:89
	s_waitcnt lgkmcnt(1)
	v_mul_f64 v[152:153], v[210:211], v[154:155]
	v_fma_f64 v[152:153], v[208:209], v[202:203], -v[152:153]
	v_mul_f64 v[208:209], v[208:209], v[154:155]
	v_fmac_f64_e32 v[208:209], v[210:211], v[202:203]
	s_waitcnt vmcnt(4)
	v_add_f64 v[14:15], v[14:15], -v[208:209]
	ds_read2_b64 v[208:211], v204 offset0:90 offset1:91
	v_add_f64 v[12:13], v[12:13], -v[152:153]
	s_waitcnt lgkmcnt(1)
	v_mul_f64 v[152:153], v[194:195], v[154:155]
	v_fma_f64 v[152:153], v[192:193], v[202:203], -v[152:153]
	v_mul_f64 v[192:193], v[192:193], v[154:155]
	v_fmac_f64_e32 v[192:193], v[194:195], v[202:203]
	s_waitcnt vmcnt(3)
	v_add_f64 v[8:9], v[8:9], -v[152:153]
	v_add_f64 v[10:11], v[10:11], -v[192:193]
	ds_read2_b64 v[192:195], v204 offset0:92 offset1:93
	s_waitcnt lgkmcnt(1)
	v_mul_f64 v[152:153], v[210:211], v[154:155]
	v_fma_f64 v[152:153], v[208:209], v[202:203], -v[152:153]
	v_mul_f64 v[208:209], v[208:209], v[154:155]
	v_fmac_f64_e32 v[208:209], v[210:211], v[202:203]
	s_waitcnt vmcnt(2)
	v_add_f64 v[6:7], v[6:7], -v[208:209]
	ds_read2_b64 v[208:211], v204 offset0:94 offset1:95
	v_add_f64 v[4:5], v[4:5], -v[152:153]
	s_waitcnt lgkmcnt(1)
	v_mul_f64 v[152:153], v[194:195], v[154:155]
	v_fma_f64 v[152:153], v[192:193], v[202:203], -v[152:153]
	v_mul_f64 v[192:193], v[192:193], v[154:155]
	v_fmac_f64_e32 v[192:193], v[194:195], v[202:203]
	s_waitcnt vmcnt(1)
	v_add_f64 v[0:1], v[0:1], -v[152:153]
	v_add_f64 v[2:3], v[2:3], -v[192:193]
	s_waitcnt lgkmcnt(0)
	v_mul_f64 v[152:153], v[210:211], v[154:155]
	v_mul_f64 v[192:193], v[208:209], v[154:155]
	v_fma_f64 v[152:153], v[208:209], v[202:203], -v[152:153]
	v_fmac_f64_e32 v[192:193], v[210:211], v[202:203]
	s_waitcnt vmcnt(0)
	v_add_f64 v[188:189], v[188:189], -v[152:153]
	v_add_f64 v[190:191], v[190:191], -v[192:193]
	v_mov_b64_e32 v[152:153], v[202:203]
.LBB94_230:
	s_or_b64 exec, exec, s[0:1]
	v_lshl_add_u32 v192, v205, 4, v204
	s_barrier
	s_waitcnt vmcnt(36)
	ds_write2_b64 v192, v[148:149], v[150:151] offset1:1
	s_waitcnt lgkmcnt(0)
	s_barrier
	ds_read2_b64 v[192:195], v204 offset0:22 offset1:23
	s_cmp_lt_i32 s20, 13
	v_mov_b32_e32 v202, 11
	s_cbranch_scc1 .LBB94_233
; %bb.231:
	v_add_u32_e32 v203, 0xc0, v204
	s_mov_b32 s16, 12
	v_mov_b32_e32 v202, 11
.LBB94_232:                             ; =>This Inner Loop Header: Depth=1
	ds_read2_b64 v[208:211], v203 offset1:1
	s_waitcnt lgkmcnt(1)
	v_xor_b32_e32 v213, 0x80000000, v193
	v_xor_b32_e32 v215, 0x80000000, v195
	v_cmp_gt_f64_e32 vcc, 0, v[194:195]
	v_cmp_gt_f64_e64 s[0:1], 0, v[192:193]
	v_mov_b32_e32 v212, v192
	v_mov_b32_e32 v214, v194
	v_cndmask_b32_e64 v213, v193, v213, s[0:1]
	v_cndmask_b32_e32 v215, v195, v215, vcc
	v_add_f64 v[212:213], v[212:213], v[214:215]
	s_waitcnt lgkmcnt(0)
	v_xor_b32_e32 v215, 0x80000000, v209
	v_xor_b32_e32 v217, 0x80000000, v211
	v_cmp_gt_f64_e32 vcc, 0, v[210:211]
	v_cmp_gt_f64_e64 s[0:1], 0, v[208:209]
	v_mov_b32_e32 v214, v208
	v_mov_b32_e32 v216, v210
	v_cndmask_b32_e64 v215, v209, v215, s[0:1]
	v_cndmask_b32_e32 v217, v211, v217, vcc
	v_add_f64 v[214:215], v[214:215], v[216:217]
	v_mov_b32_e32 v218, s16
	s_add_i32 s16, s16, 1
	v_cmp_lt_f64_e32 vcc, v[212:213], v[214:215]
	v_add_u32_e32 v203, 16, v203
	s_cmp_lg_u32 s20, s16
	v_cndmask_b32_e32 v193, v193, v209, vcc
	v_cndmask_b32_e32 v192, v192, v208, vcc
	;; [unrolled: 1-line block ×5, first 2 shown]
	s_cbranch_scc1 .LBB94_232
.LBB94_233:
	s_waitcnt lgkmcnt(0)
	v_cmp_eq_f64_e32 vcc, 0, v[192:193]
	v_cmp_eq_f64_e64 s[0:1], 0, v[194:195]
	s_and_b64 s[0:1], vcc, s[0:1]
	s_and_saveexec_b64 s[16:17], s[0:1]
	s_xor_b64 s[0:1], exec, s[16:17]
; %bb.234:
	v_cmp_ne_u32_e32 vcc, 0, v206
	s_nop 1
	v_cndmask_b32_e32 v206, 12, v206, vcc
; %bb.235:
	s_andn2_saveexec_b64 s[0:1], s[0:1]
	s_cbranch_execz .LBB94_241
; %bb.236:
	v_cmp_ngt_f64_e64 s[16:17], |v[192:193]|, |v[194:195]|
	s_and_saveexec_b64 s[18:19], s[16:17]
	s_xor_b64 s[16:17], exec, s[18:19]
	s_cbranch_execz .LBB94_238
; %bb.237:
	v_div_scale_f64 v[208:209], s[18:19], v[194:195], v[194:195], v[192:193]
	v_rcp_f64_e32 v[210:211], v[208:209]
	v_div_scale_f64 v[212:213], vcc, v[192:193], v[194:195], v[192:193]
	v_fma_f64 v[214:215], -v[208:209], v[210:211], 1.0
	v_fmac_f64_e32 v[210:211], v[210:211], v[214:215]
	v_fma_f64 v[214:215], -v[208:209], v[210:211], 1.0
	v_fmac_f64_e32 v[210:211], v[210:211], v[214:215]
	v_mul_f64 v[214:215], v[212:213], v[210:211]
	v_fma_f64 v[208:209], -v[208:209], v[214:215], v[212:213]
	v_div_fmas_f64 v[208:209], v[208:209], v[210:211], v[214:215]
	v_div_fixup_f64 v[208:209], v[208:209], v[194:195], v[192:193]
	v_fmac_f64_e32 v[194:195], v[192:193], v[208:209]
	v_div_scale_f64 v[192:193], s[18:19], v[194:195], v[194:195], 1.0
	v_rcp_f64_e32 v[210:211], v[192:193]
	s_nop 0
	v_fma_f64 v[212:213], -v[192:193], v[210:211], 1.0
	v_fmac_f64_e32 v[210:211], v[210:211], v[212:213]
	v_fma_f64 v[212:213], -v[192:193], v[210:211], 1.0
	v_fmac_f64_e32 v[210:211], v[210:211], v[212:213]
	v_div_scale_f64 v[212:213], vcc, 1.0, v[194:195], 1.0
	v_mul_f64 v[214:215], v[212:213], v[210:211]
	v_fma_f64 v[192:193], -v[192:193], v[214:215], v[212:213]
	s_nop 1
	v_div_fmas_f64 v[192:193], v[192:193], v[210:211], v[214:215]
	v_div_fixup_f64 v[194:195], v[192:193], v[194:195], 1.0
	v_mul_f64 v[192:193], v[208:209], v[194:195]
	v_xor_b32_e32 v195, 0x80000000, v195
.LBB94_238:
	s_andn2_saveexec_b64 s[16:17], s[16:17]
	s_cbranch_execz .LBB94_240
; %bb.239:
	v_div_scale_f64 v[208:209], s[18:19], v[192:193], v[192:193], v[194:195]
	v_rcp_f64_e32 v[210:211], v[208:209]
	v_div_scale_f64 v[212:213], vcc, v[194:195], v[192:193], v[194:195]
	v_fma_f64 v[214:215], -v[208:209], v[210:211], 1.0
	v_fmac_f64_e32 v[210:211], v[210:211], v[214:215]
	v_fma_f64 v[214:215], -v[208:209], v[210:211], 1.0
	v_fmac_f64_e32 v[210:211], v[210:211], v[214:215]
	v_mul_f64 v[214:215], v[212:213], v[210:211]
	v_fma_f64 v[208:209], -v[208:209], v[214:215], v[212:213]
	v_div_fmas_f64 v[208:209], v[208:209], v[210:211], v[214:215]
	v_div_fixup_f64 v[208:209], v[208:209], v[192:193], v[194:195]
	v_fmac_f64_e32 v[192:193], v[194:195], v[208:209]
	v_div_scale_f64 v[194:195], s[18:19], v[192:193], v[192:193], 1.0
	v_rcp_f64_e32 v[210:211], v[194:195]
	s_nop 0
	v_fma_f64 v[212:213], -v[194:195], v[210:211], 1.0
	v_fmac_f64_e32 v[210:211], v[210:211], v[212:213]
	v_fma_f64 v[212:213], -v[194:195], v[210:211], 1.0
	v_fmac_f64_e32 v[210:211], v[210:211], v[212:213]
	v_div_scale_f64 v[212:213], vcc, 1.0, v[192:193], 1.0
	v_mul_f64 v[214:215], v[212:213], v[210:211]
	v_fma_f64 v[194:195], -v[194:195], v[214:215], v[212:213]
	s_nop 1
	v_div_fmas_f64 v[194:195], v[194:195], v[210:211], v[214:215]
	v_div_fixup_f64 v[192:193], v[194:195], v[192:193], 1.0
	v_mul_f64 v[194:195], v[208:209], -v[192:193]
.LBB94_240:
	s_or_b64 exec, exec, s[16:17]
.LBB94_241:
	s_or_b64 exec, exec, s[0:1]
	v_cmp_ne_u32_e32 vcc, v205, v202
	s_and_saveexec_b64 s[0:1], vcc
	s_xor_b64 s[0:1], exec, s[0:1]
	s_cbranch_execz .LBB94_247
; %bb.242:
	v_cmp_eq_u32_e32 vcc, 11, v205
	s_and_saveexec_b64 s[16:17], vcc
	s_cbranch_execz .LBB94_246
; %bb.243:
	v_cmp_ne_u32_e32 vcc, 11, v202
	s_xor_b64 s[18:19], s[14:15], -1
	s_and_b64 s[22:23], s[18:19], vcc
	s_and_saveexec_b64 s[18:19], s[22:23]
	s_cbranch_execz .LBB94_245
; %bb.244:
	v_ashrrev_i32_e32 v203, 31, v202
	v_lshl_add_u64 v[208:209], v[202:203], 2, v[200:201]
	global_load_dword v203, v[208:209], off
	global_load_dword v205, v[200:201], off offset:44
	s_waitcnt vmcnt(1)
	global_store_dword v[200:201], v203, off offset:44
	s_waitcnt vmcnt(1)
	global_store_dword v[208:209], v205, off
.LBB94_245:
	s_or_b64 exec, exec, s[18:19]
	v_mov_b32_e32 v205, v202
	v_mov_b32_e32 v207, v202
.LBB94_246:
	s_or_b64 exec, exec, s[16:17]
.LBB94_247:
	s_andn2_saveexec_b64 s[0:1], s[0:1]
	s_cbranch_execz .LBB94_249
; %bb.248:
	v_mov_b32_e32 v205, 11
	s_waitcnt vmcnt(35)
	ds_write2_b64 v204, v[144:145], v[146:147] offset0:24 offset1:25
	s_waitcnt vmcnt(34)
	ds_write2_b64 v204, v[140:141], v[142:143] offset0:26 offset1:27
	;; [unrolled: 2-line block ×36, first 2 shown]
.LBB94_249:
	s_or_b64 exec, exec, s[0:1]
	v_cmp_lt_i32_e32 vcc, 11, v205
	s_waitcnt lgkmcnt(0)
	s_barrier
	s_and_saveexec_b64 s[0:1], vcc
	s_cbranch_execz .LBB94_251
; %bb.250:
	ds_read2_b64 v[208:211], v204 offset0:24 offset1:25
	v_mul_f64 v[202:203], v[194:195], v[150:151]
	v_mul_f64 v[150:151], v[192:193], v[150:151]
	v_fma_f64 v[202:203], v[192:193], v[148:149], -v[202:203]
	v_fmac_f64_e32 v[150:151], v[194:195], v[148:149]
	ds_read2_b64 v[192:195], v204 offset0:26 offset1:27
	s_waitcnt lgkmcnt(1)
	v_mul_f64 v[148:149], v[210:211], v[150:151]
	v_fma_f64 v[148:149], v[208:209], v[202:203], -v[148:149]
	v_mul_f64 v[208:209], v[208:209], v[150:151]
	v_fmac_f64_e32 v[208:209], v[210:211], v[202:203]
	s_waitcnt vmcnt(35)
	v_add_f64 v[144:145], v[144:145], -v[148:149]
	s_waitcnt lgkmcnt(0)
	v_mul_f64 v[148:149], v[194:195], v[150:151]
	v_add_f64 v[146:147], v[146:147], -v[208:209]
	v_fma_f64 v[148:149], v[192:193], v[202:203], -v[148:149]
	v_mul_f64 v[192:193], v[192:193], v[150:151]
	ds_read2_b64 v[208:211], v204 offset0:28 offset1:29
	v_fmac_f64_e32 v[192:193], v[194:195], v[202:203]
	s_waitcnt vmcnt(34)
	v_add_f64 v[142:143], v[142:143], -v[192:193]
	ds_read2_b64 v[192:195], v204 offset0:30 offset1:31
	v_add_f64 v[140:141], v[140:141], -v[148:149]
	s_waitcnt lgkmcnt(1)
	v_mul_f64 v[148:149], v[210:211], v[150:151]
	v_fma_f64 v[148:149], v[208:209], v[202:203], -v[148:149]
	v_mul_f64 v[208:209], v[208:209], v[150:151]
	v_fmac_f64_e32 v[208:209], v[210:211], v[202:203]
	s_waitcnt vmcnt(33)
	v_add_f64 v[136:137], v[136:137], -v[148:149]
	s_waitcnt lgkmcnt(0)
	v_mul_f64 v[148:149], v[194:195], v[150:151]
	v_add_f64 v[138:139], v[138:139], -v[208:209]
	v_fma_f64 v[148:149], v[192:193], v[202:203], -v[148:149]
	v_mul_f64 v[192:193], v[192:193], v[150:151]
	ds_read2_b64 v[208:211], v204 offset0:32 offset1:33
	v_fmac_f64_e32 v[192:193], v[194:195], v[202:203]
	s_waitcnt vmcnt(32)
	v_add_f64 v[134:135], v[134:135], -v[192:193]
	ds_read2_b64 v[192:195], v204 offset0:34 offset1:35
	v_add_f64 v[132:133], v[132:133], -v[148:149]
	;; [unrolled: 18-line block ×17, first 2 shown]
	s_waitcnt lgkmcnt(1)
	v_mul_f64 v[148:149], v[210:211], v[150:151]
	v_fma_f64 v[148:149], v[208:209], v[202:203], -v[148:149]
	s_waitcnt vmcnt(1)
	v_add_f64 v[0:1], v[0:1], -v[148:149]
	s_waitcnt lgkmcnt(0)
	v_mul_f64 v[148:149], v[194:195], v[150:151]
	v_mul_f64 v[208:209], v[208:209], v[150:151]
	v_fma_f64 v[148:149], v[192:193], v[202:203], -v[148:149]
	v_mul_f64 v[192:193], v[192:193], v[150:151]
	v_fmac_f64_e32 v[208:209], v[210:211], v[202:203]
	v_fmac_f64_e32 v[192:193], v[194:195], v[202:203]
	v_add_f64 v[2:3], v[2:3], -v[208:209]
	s_waitcnt vmcnt(0)
	v_add_f64 v[188:189], v[188:189], -v[148:149]
	v_add_f64 v[190:191], v[190:191], -v[192:193]
	v_mov_b64_e32 v[148:149], v[202:203]
.LBB94_251:
	s_or_b64 exec, exec, s[0:1]
	v_lshl_add_u32 v192, v205, 4, v204
	s_barrier
	s_waitcnt vmcnt(35)
	ds_write2_b64 v192, v[144:145], v[146:147] offset1:1
	s_waitcnt lgkmcnt(0)
	s_barrier
	ds_read2_b64 v[192:195], v204 offset0:24 offset1:25
	s_cmp_lt_i32 s20, 14
	v_mov_b32_e32 v202, 12
	s_cbranch_scc1 .LBB94_254
; %bb.252:
	v_add_u32_e32 v203, 0xd0, v204
	s_mov_b32 s16, 13
	v_mov_b32_e32 v202, 12
.LBB94_253:                             ; =>This Inner Loop Header: Depth=1
	ds_read2_b64 v[208:211], v203 offset1:1
	s_waitcnt lgkmcnt(1)
	v_xor_b32_e32 v213, 0x80000000, v193
	v_xor_b32_e32 v215, 0x80000000, v195
	v_cmp_gt_f64_e32 vcc, 0, v[194:195]
	v_cmp_gt_f64_e64 s[0:1], 0, v[192:193]
	v_mov_b32_e32 v212, v192
	v_mov_b32_e32 v214, v194
	v_cndmask_b32_e64 v213, v193, v213, s[0:1]
	v_cndmask_b32_e32 v215, v195, v215, vcc
	v_add_f64 v[212:213], v[212:213], v[214:215]
	s_waitcnt lgkmcnt(0)
	v_xor_b32_e32 v215, 0x80000000, v209
	v_xor_b32_e32 v217, 0x80000000, v211
	v_cmp_gt_f64_e32 vcc, 0, v[210:211]
	v_cmp_gt_f64_e64 s[0:1], 0, v[208:209]
	v_mov_b32_e32 v214, v208
	v_mov_b32_e32 v216, v210
	v_cndmask_b32_e64 v215, v209, v215, s[0:1]
	v_cndmask_b32_e32 v217, v211, v217, vcc
	v_add_f64 v[214:215], v[214:215], v[216:217]
	v_mov_b32_e32 v218, s16
	s_add_i32 s16, s16, 1
	v_cmp_lt_f64_e32 vcc, v[212:213], v[214:215]
	v_add_u32_e32 v203, 16, v203
	s_cmp_lg_u32 s20, s16
	v_cndmask_b32_e32 v193, v193, v209, vcc
	v_cndmask_b32_e32 v192, v192, v208, vcc
	;; [unrolled: 1-line block ×5, first 2 shown]
	s_cbranch_scc1 .LBB94_253
.LBB94_254:
	s_waitcnt lgkmcnt(0)
	v_cmp_eq_f64_e32 vcc, 0, v[192:193]
	v_cmp_eq_f64_e64 s[0:1], 0, v[194:195]
	s_and_b64 s[0:1], vcc, s[0:1]
	s_and_saveexec_b64 s[16:17], s[0:1]
	s_xor_b64 s[0:1], exec, s[16:17]
; %bb.255:
	v_cmp_ne_u32_e32 vcc, 0, v206
	s_nop 1
	v_cndmask_b32_e32 v206, 13, v206, vcc
; %bb.256:
	s_andn2_saveexec_b64 s[0:1], s[0:1]
	s_cbranch_execz .LBB94_262
; %bb.257:
	v_cmp_ngt_f64_e64 s[16:17], |v[192:193]|, |v[194:195]|
	s_and_saveexec_b64 s[18:19], s[16:17]
	s_xor_b64 s[16:17], exec, s[18:19]
	s_cbranch_execz .LBB94_259
; %bb.258:
	v_div_scale_f64 v[208:209], s[18:19], v[194:195], v[194:195], v[192:193]
	v_rcp_f64_e32 v[210:211], v[208:209]
	v_div_scale_f64 v[212:213], vcc, v[192:193], v[194:195], v[192:193]
	v_fma_f64 v[214:215], -v[208:209], v[210:211], 1.0
	v_fmac_f64_e32 v[210:211], v[210:211], v[214:215]
	v_fma_f64 v[214:215], -v[208:209], v[210:211], 1.0
	v_fmac_f64_e32 v[210:211], v[210:211], v[214:215]
	v_mul_f64 v[214:215], v[212:213], v[210:211]
	v_fma_f64 v[208:209], -v[208:209], v[214:215], v[212:213]
	v_div_fmas_f64 v[208:209], v[208:209], v[210:211], v[214:215]
	v_div_fixup_f64 v[208:209], v[208:209], v[194:195], v[192:193]
	v_fmac_f64_e32 v[194:195], v[192:193], v[208:209]
	v_div_scale_f64 v[192:193], s[18:19], v[194:195], v[194:195], 1.0
	v_rcp_f64_e32 v[210:211], v[192:193]
	s_nop 0
	v_fma_f64 v[212:213], -v[192:193], v[210:211], 1.0
	v_fmac_f64_e32 v[210:211], v[210:211], v[212:213]
	v_fma_f64 v[212:213], -v[192:193], v[210:211], 1.0
	v_fmac_f64_e32 v[210:211], v[210:211], v[212:213]
	v_div_scale_f64 v[212:213], vcc, 1.0, v[194:195], 1.0
	v_mul_f64 v[214:215], v[212:213], v[210:211]
	v_fma_f64 v[192:193], -v[192:193], v[214:215], v[212:213]
	s_nop 1
	v_div_fmas_f64 v[192:193], v[192:193], v[210:211], v[214:215]
	v_div_fixup_f64 v[194:195], v[192:193], v[194:195], 1.0
	v_mul_f64 v[192:193], v[208:209], v[194:195]
	v_xor_b32_e32 v195, 0x80000000, v195
.LBB94_259:
	s_andn2_saveexec_b64 s[16:17], s[16:17]
	s_cbranch_execz .LBB94_261
; %bb.260:
	v_div_scale_f64 v[208:209], s[18:19], v[192:193], v[192:193], v[194:195]
	v_rcp_f64_e32 v[210:211], v[208:209]
	v_div_scale_f64 v[212:213], vcc, v[194:195], v[192:193], v[194:195]
	v_fma_f64 v[214:215], -v[208:209], v[210:211], 1.0
	v_fmac_f64_e32 v[210:211], v[210:211], v[214:215]
	v_fma_f64 v[214:215], -v[208:209], v[210:211], 1.0
	v_fmac_f64_e32 v[210:211], v[210:211], v[214:215]
	v_mul_f64 v[214:215], v[212:213], v[210:211]
	v_fma_f64 v[208:209], -v[208:209], v[214:215], v[212:213]
	v_div_fmas_f64 v[208:209], v[208:209], v[210:211], v[214:215]
	v_div_fixup_f64 v[208:209], v[208:209], v[192:193], v[194:195]
	v_fmac_f64_e32 v[192:193], v[194:195], v[208:209]
	v_div_scale_f64 v[194:195], s[18:19], v[192:193], v[192:193], 1.0
	v_rcp_f64_e32 v[210:211], v[194:195]
	s_nop 0
	v_fma_f64 v[212:213], -v[194:195], v[210:211], 1.0
	v_fmac_f64_e32 v[210:211], v[210:211], v[212:213]
	v_fma_f64 v[212:213], -v[194:195], v[210:211], 1.0
	v_fmac_f64_e32 v[210:211], v[210:211], v[212:213]
	v_div_scale_f64 v[212:213], vcc, 1.0, v[192:193], 1.0
	v_mul_f64 v[214:215], v[212:213], v[210:211]
	v_fma_f64 v[194:195], -v[194:195], v[214:215], v[212:213]
	s_nop 1
	v_div_fmas_f64 v[194:195], v[194:195], v[210:211], v[214:215]
	v_div_fixup_f64 v[192:193], v[194:195], v[192:193], 1.0
	v_mul_f64 v[194:195], v[208:209], -v[192:193]
.LBB94_261:
	s_or_b64 exec, exec, s[16:17]
.LBB94_262:
	s_or_b64 exec, exec, s[0:1]
	v_cmp_ne_u32_e32 vcc, v205, v202
	s_and_saveexec_b64 s[0:1], vcc
	s_xor_b64 s[0:1], exec, s[0:1]
	s_cbranch_execz .LBB94_268
; %bb.263:
	v_cmp_eq_u32_e32 vcc, 12, v205
	s_and_saveexec_b64 s[16:17], vcc
	s_cbranch_execz .LBB94_267
; %bb.264:
	v_cmp_ne_u32_e32 vcc, 12, v202
	s_xor_b64 s[18:19], s[14:15], -1
	s_and_b64 s[22:23], s[18:19], vcc
	s_and_saveexec_b64 s[18:19], s[22:23]
	s_cbranch_execz .LBB94_266
; %bb.265:
	v_ashrrev_i32_e32 v203, 31, v202
	v_lshl_add_u64 v[208:209], v[202:203], 2, v[200:201]
	global_load_dword v203, v[208:209], off
	global_load_dword v205, v[200:201], off offset:48
	s_waitcnt vmcnt(1)
	global_store_dword v[200:201], v203, off offset:48
	s_waitcnt vmcnt(1)
	global_store_dword v[208:209], v205, off
.LBB94_266:
	s_or_b64 exec, exec, s[18:19]
	v_mov_b32_e32 v205, v202
	v_mov_b32_e32 v207, v202
.LBB94_267:
	s_or_b64 exec, exec, s[16:17]
.LBB94_268:
	s_andn2_saveexec_b64 s[0:1], s[0:1]
	s_cbranch_execz .LBB94_270
; %bb.269:
	v_mov_b32_e32 v205, 12
	s_waitcnt vmcnt(34)
	ds_write2_b64 v204, v[140:141], v[142:143] offset0:26 offset1:27
	s_waitcnt vmcnt(33)
	ds_write2_b64 v204, v[136:137], v[138:139] offset0:28 offset1:29
	;; [unrolled: 2-line block ×35, first 2 shown]
.LBB94_270:
	s_or_b64 exec, exec, s[0:1]
	v_cmp_lt_i32_e32 vcc, 12, v205
	s_waitcnt lgkmcnt(0)
	s_barrier
	s_and_saveexec_b64 s[0:1], vcc
	s_cbranch_execz .LBB94_272
; %bb.271:
	ds_read2_b64 v[208:211], v204 offset0:26 offset1:27
	v_mul_f64 v[202:203], v[194:195], v[146:147]
	v_mul_f64 v[146:147], v[192:193], v[146:147]
	v_fmac_f64_e32 v[146:147], v[194:195], v[144:145]
	v_fma_f64 v[202:203], v[192:193], v[144:145], -v[202:203]
	ds_read2_b64 v[192:195], v204 offset0:28 offset1:29
	s_waitcnt lgkmcnt(1)
	v_mul_f64 v[144:145], v[210:211], v[146:147]
	v_fma_f64 v[144:145], v[208:209], v[202:203], -v[144:145]
	v_mul_f64 v[208:209], v[208:209], v[146:147]
	v_fmac_f64_e32 v[208:209], v[210:211], v[202:203]
	s_waitcnt vmcnt(34)
	v_add_f64 v[142:143], v[142:143], -v[208:209]
	ds_read2_b64 v[208:211], v204 offset0:30 offset1:31
	v_add_f64 v[140:141], v[140:141], -v[144:145]
	s_waitcnt lgkmcnt(1)
	v_mul_f64 v[144:145], v[194:195], v[146:147]
	v_fma_f64 v[144:145], v[192:193], v[202:203], -v[144:145]
	v_mul_f64 v[192:193], v[192:193], v[146:147]
	v_fmac_f64_e32 v[192:193], v[194:195], v[202:203]
	s_waitcnt vmcnt(33)
	v_add_f64 v[136:137], v[136:137], -v[144:145]
	v_add_f64 v[138:139], v[138:139], -v[192:193]
	ds_read2_b64 v[192:195], v204 offset0:32 offset1:33
	s_waitcnt lgkmcnt(1)
	v_mul_f64 v[144:145], v[210:211], v[146:147]
	v_fma_f64 v[144:145], v[208:209], v[202:203], -v[144:145]
	v_mul_f64 v[208:209], v[208:209], v[146:147]
	v_fmac_f64_e32 v[208:209], v[210:211], v[202:203]
	s_waitcnt vmcnt(32)
	v_add_f64 v[134:135], v[134:135], -v[208:209]
	ds_read2_b64 v[208:211], v204 offset0:34 offset1:35
	v_add_f64 v[132:133], v[132:133], -v[144:145]
	s_waitcnt lgkmcnt(1)
	v_mul_f64 v[144:145], v[194:195], v[146:147]
	v_fma_f64 v[144:145], v[192:193], v[202:203], -v[144:145]
	v_mul_f64 v[192:193], v[192:193], v[146:147]
	v_fmac_f64_e32 v[192:193], v[194:195], v[202:203]
	s_waitcnt vmcnt(31)
	v_add_f64 v[124:125], v[124:125], -v[144:145]
	v_add_f64 v[126:127], v[126:127], -v[192:193]
	;; [unrolled: 18-line block ×17, first 2 shown]
	s_waitcnt lgkmcnt(0)
	v_mul_f64 v[144:145], v[210:211], v[146:147]
	v_mul_f64 v[192:193], v[208:209], v[146:147]
	v_fma_f64 v[144:145], v[208:209], v[202:203], -v[144:145]
	v_fmac_f64_e32 v[192:193], v[210:211], v[202:203]
	s_waitcnt vmcnt(0)
	v_add_f64 v[188:189], v[188:189], -v[144:145]
	v_add_f64 v[190:191], v[190:191], -v[192:193]
	v_mov_b64_e32 v[144:145], v[202:203]
.LBB94_272:
	s_or_b64 exec, exec, s[0:1]
	v_lshl_add_u32 v192, v205, 4, v204
	s_barrier
	s_waitcnt vmcnt(34)
	ds_write2_b64 v192, v[140:141], v[142:143] offset1:1
	s_waitcnt lgkmcnt(0)
	s_barrier
	ds_read2_b64 v[192:195], v204 offset0:26 offset1:27
	s_cmp_lt_i32 s20, 15
	v_mov_b32_e32 v202, 13
	s_cbranch_scc1 .LBB94_275
; %bb.273:
	v_add_u32_e32 v203, 0xe0, v204
	s_mov_b32 s16, 14
	v_mov_b32_e32 v202, 13
.LBB94_274:                             ; =>This Inner Loop Header: Depth=1
	ds_read2_b64 v[208:211], v203 offset1:1
	s_waitcnt lgkmcnt(1)
	v_xor_b32_e32 v213, 0x80000000, v193
	v_xor_b32_e32 v215, 0x80000000, v195
	v_cmp_gt_f64_e32 vcc, 0, v[194:195]
	v_cmp_gt_f64_e64 s[0:1], 0, v[192:193]
	v_mov_b32_e32 v212, v192
	v_mov_b32_e32 v214, v194
	v_cndmask_b32_e64 v213, v193, v213, s[0:1]
	v_cndmask_b32_e32 v215, v195, v215, vcc
	v_add_f64 v[212:213], v[212:213], v[214:215]
	s_waitcnt lgkmcnt(0)
	v_xor_b32_e32 v215, 0x80000000, v209
	v_xor_b32_e32 v217, 0x80000000, v211
	v_cmp_gt_f64_e32 vcc, 0, v[210:211]
	v_cmp_gt_f64_e64 s[0:1], 0, v[208:209]
	v_mov_b32_e32 v214, v208
	v_mov_b32_e32 v216, v210
	v_cndmask_b32_e64 v215, v209, v215, s[0:1]
	v_cndmask_b32_e32 v217, v211, v217, vcc
	v_add_f64 v[214:215], v[214:215], v[216:217]
	v_mov_b32_e32 v218, s16
	s_add_i32 s16, s16, 1
	v_cmp_lt_f64_e32 vcc, v[212:213], v[214:215]
	v_add_u32_e32 v203, 16, v203
	s_cmp_lg_u32 s20, s16
	v_cndmask_b32_e32 v193, v193, v209, vcc
	v_cndmask_b32_e32 v192, v192, v208, vcc
	;; [unrolled: 1-line block ×5, first 2 shown]
	s_cbranch_scc1 .LBB94_274
.LBB94_275:
	s_waitcnt lgkmcnt(0)
	v_cmp_eq_f64_e32 vcc, 0, v[192:193]
	v_cmp_eq_f64_e64 s[0:1], 0, v[194:195]
	s_and_b64 s[0:1], vcc, s[0:1]
	s_and_saveexec_b64 s[16:17], s[0:1]
	s_xor_b64 s[0:1], exec, s[16:17]
; %bb.276:
	v_cmp_ne_u32_e32 vcc, 0, v206
	s_nop 1
	v_cndmask_b32_e32 v206, 14, v206, vcc
; %bb.277:
	s_andn2_saveexec_b64 s[0:1], s[0:1]
	s_cbranch_execz .LBB94_283
; %bb.278:
	v_cmp_ngt_f64_e64 s[16:17], |v[192:193]|, |v[194:195]|
	s_and_saveexec_b64 s[18:19], s[16:17]
	s_xor_b64 s[16:17], exec, s[18:19]
	s_cbranch_execz .LBB94_280
; %bb.279:
	v_div_scale_f64 v[208:209], s[18:19], v[194:195], v[194:195], v[192:193]
	v_rcp_f64_e32 v[210:211], v[208:209]
	v_div_scale_f64 v[212:213], vcc, v[192:193], v[194:195], v[192:193]
	v_fma_f64 v[214:215], -v[208:209], v[210:211], 1.0
	v_fmac_f64_e32 v[210:211], v[210:211], v[214:215]
	v_fma_f64 v[214:215], -v[208:209], v[210:211], 1.0
	v_fmac_f64_e32 v[210:211], v[210:211], v[214:215]
	v_mul_f64 v[214:215], v[212:213], v[210:211]
	v_fma_f64 v[208:209], -v[208:209], v[214:215], v[212:213]
	v_div_fmas_f64 v[208:209], v[208:209], v[210:211], v[214:215]
	v_div_fixup_f64 v[208:209], v[208:209], v[194:195], v[192:193]
	v_fmac_f64_e32 v[194:195], v[192:193], v[208:209]
	v_div_scale_f64 v[192:193], s[18:19], v[194:195], v[194:195], 1.0
	v_rcp_f64_e32 v[210:211], v[192:193]
	s_nop 0
	v_fma_f64 v[212:213], -v[192:193], v[210:211], 1.0
	v_fmac_f64_e32 v[210:211], v[210:211], v[212:213]
	v_fma_f64 v[212:213], -v[192:193], v[210:211], 1.0
	v_fmac_f64_e32 v[210:211], v[210:211], v[212:213]
	v_div_scale_f64 v[212:213], vcc, 1.0, v[194:195], 1.0
	v_mul_f64 v[214:215], v[212:213], v[210:211]
	v_fma_f64 v[192:193], -v[192:193], v[214:215], v[212:213]
	s_nop 1
	v_div_fmas_f64 v[192:193], v[192:193], v[210:211], v[214:215]
	v_div_fixup_f64 v[194:195], v[192:193], v[194:195], 1.0
	v_mul_f64 v[192:193], v[208:209], v[194:195]
	v_xor_b32_e32 v195, 0x80000000, v195
.LBB94_280:
	s_andn2_saveexec_b64 s[16:17], s[16:17]
	s_cbranch_execz .LBB94_282
; %bb.281:
	v_div_scale_f64 v[208:209], s[18:19], v[192:193], v[192:193], v[194:195]
	v_rcp_f64_e32 v[210:211], v[208:209]
	v_div_scale_f64 v[212:213], vcc, v[194:195], v[192:193], v[194:195]
	v_fma_f64 v[214:215], -v[208:209], v[210:211], 1.0
	v_fmac_f64_e32 v[210:211], v[210:211], v[214:215]
	v_fma_f64 v[214:215], -v[208:209], v[210:211], 1.0
	v_fmac_f64_e32 v[210:211], v[210:211], v[214:215]
	v_mul_f64 v[214:215], v[212:213], v[210:211]
	v_fma_f64 v[208:209], -v[208:209], v[214:215], v[212:213]
	v_div_fmas_f64 v[208:209], v[208:209], v[210:211], v[214:215]
	v_div_fixup_f64 v[208:209], v[208:209], v[192:193], v[194:195]
	v_fmac_f64_e32 v[192:193], v[194:195], v[208:209]
	v_div_scale_f64 v[194:195], s[18:19], v[192:193], v[192:193], 1.0
	v_rcp_f64_e32 v[210:211], v[194:195]
	s_nop 0
	v_fma_f64 v[212:213], -v[194:195], v[210:211], 1.0
	v_fmac_f64_e32 v[210:211], v[210:211], v[212:213]
	v_fma_f64 v[212:213], -v[194:195], v[210:211], 1.0
	v_fmac_f64_e32 v[210:211], v[210:211], v[212:213]
	v_div_scale_f64 v[212:213], vcc, 1.0, v[192:193], 1.0
	v_mul_f64 v[214:215], v[212:213], v[210:211]
	v_fma_f64 v[194:195], -v[194:195], v[214:215], v[212:213]
	s_nop 1
	v_div_fmas_f64 v[194:195], v[194:195], v[210:211], v[214:215]
	v_div_fixup_f64 v[192:193], v[194:195], v[192:193], 1.0
	v_mul_f64 v[194:195], v[208:209], -v[192:193]
.LBB94_282:
	s_or_b64 exec, exec, s[16:17]
.LBB94_283:
	s_or_b64 exec, exec, s[0:1]
	v_cmp_ne_u32_e32 vcc, v205, v202
	s_and_saveexec_b64 s[0:1], vcc
	s_xor_b64 s[0:1], exec, s[0:1]
	s_cbranch_execz .LBB94_289
; %bb.284:
	v_cmp_eq_u32_e32 vcc, 13, v205
	s_and_saveexec_b64 s[16:17], vcc
	s_cbranch_execz .LBB94_288
; %bb.285:
	v_cmp_ne_u32_e32 vcc, 13, v202
	s_xor_b64 s[18:19], s[14:15], -1
	s_and_b64 s[22:23], s[18:19], vcc
	s_and_saveexec_b64 s[18:19], s[22:23]
	s_cbranch_execz .LBB94_287
; %bb.286:
	v_ashrrev_i32_e32 v203, 31, v202
	v_lshl_add_u64 v[208:209], v[202:203], 2, v[200:201]
	global_load_dword v203, v[208:209], off
	global_load_dword v205, v[200:201], off offset:52
	s_waitcnt vmcnt(1)
	global_store_dword v[200:201], v203, off offset:52
	s_waitcnt vmcnt(1)
	global_store_dword v[208:209], v205, off
.LBB94_287:
	s_or_b64 exec, exec, s[18:19]
	v_mov_b32_e32 v205, v202
	v_mov_b32_e32 v207, v202
.LBB94_288:
	s_or_b64 exec, exec, s[16:17]
.LBB94_289:
	s_andn2_saveexec_b64 s[0:1], s[0:1]
	s_cbranch_execz .LBB94_291
; %bb.290:
	v_mov_b32_e32 v205, 13
	s_waitcnt vmcnt(33)
	ds_write2_b64 v204, v[136:137], v[138:139] offset0:28 offset1:29
	s_waitcnt vmcnt(32)
	ds_write2_b64 v204, v[132:133], v[134:135] offset0:30 offset1:31
	;; [unrolled: 2-line block ×34, first 2 shown]
.LBB94_291:
	s_or_b64 exec, exec, s[0:1]
	v_cmp_lt_i32_e32 vcc, 13, v205
	s_waitcnt lgkmcnt(0)
	s_barrier
	s_and_saveexec_b64 s[0:1], vcc
	s_cbranch_execz .LBB94_293
; %bb.292:
	ds_read2_b64 v[208:211], v204 offset0:28 offset1:29
	v_mul_f64 v[202:203], v[194:195], v[142:143]
	v_mul_f64 v[142:143], v[192:193], v[142:143]
	v_fma_f64 v[202:203], v[192:193], v[140:141], -v[202:203]
	v_fmac_f64_e32 v[142:143], v[194:195], v[140:141]
	ds_read2_b64 v[192:195], v204 offset0:30 offset1:31
	s_waitcnt lgkmcnt(1)
	v_mul_f64 v[140:141], v[210:211], v[142:143]
	v_fma_f64 v[140:141], v[208:209], v[202:203], -v[140:141]
	v_mul_f64 v[208:209], v[208:209], v[142:143]
	v_fmac_f64_e32 v[208:209], v[210:211], v[202:203]
	s_waitcnt vmcnt(33)
	v_add_f64 v[136:137], v[136:137], -v[140:141]
	s_waitcnt lgkmcnt(0)
	v_mul_f64 v[140:141], v[194:195], v[142:143]
	v_add_f64 v[138:139], v[138:139], -v[208:209]
	v_fma_f64 v[140:141], v[192:193], v[202:203], -v[140:141]
	v_mul_f64 v[192:193], v[192:193], v[142:143]
	ds_read2_b64 v[208:211], v204 offset0:32 offset1:33
	v_fmac_f64_e32 v[192:193], v[194:195], v[202:203]
	s_waitcnt vmcnt(32)
	v_add_f64 v[134:135], v[134:135], -v[192:193]
	ds_read2_b64 v[192:195], v204 offset0:34 offset1:35
	v_add_f64 v[132:133], v[132:133], -v[140:141]
	s_waitcnt lgkmcnt(1)
	v_mul_f64 v[140:141], v[210:211], v[142:143]
	v_fma_f64 v[140:141], v[208:209], v[202:203], -v[140:141]
	v_mul_f64 v[208:209], v[208:209], v[142:143]
	v_fmac_f64_e32 v[208:209], v[210:211], v[202:203]
	s_waitcnt vmcnt(31)
	v_add_f64 v[124:125], v[124:125], -v[140:141]
	s_waitcnt lgkmcnt(0)
	v_mul_f64 v[140:141], v[194:195], v[142:143]
	v_add_f64 v[126:127], v[126:127], -v[208:209]
	v_fma_f64 v[140:141], v[192:193], v[202:203], -v[140:141]
	v_mul_f64 v[192:193], v[192:193], v[142:143]
	ds_read2_b64 v[208:211], v204 offset0:36 offset1:37
	v_fmac_f64_e32 v[192:193], v[194:195], v[202:203]
	s_waitcnt vmcnt(30)
	v_add_f64 v[118:119], v[118:119], -v[192:193]
	ds_read2_b64 v[192:195], v204 offset0:38 offset1:39
	v_add_f64 v[116:117], v[116:117], -v[140:141]
	;; [unrolled: 18-line block ×16, first 2 shown]
	s_waitcnt lgkmcnt(1)
	v_mul_f64 v[140:141], v[210:211], v[142:143]
	v_fma_f64 v[140:141], v[208:209], v[202:203], -v[140:141]
	s_waitcnt vmcnt(1)
	v_add_f64 v[0:1], v[0:1], -v[140:141]
	s_waitcnt lgkmcnt(0)
	v_mul_f64 v[140:141], v[194:195], v[142:143]
	v_mul_f64 v[208:209], v[208:209], v[142:143]
	v_fma_f64 v[140:141], v[192:193], v[202:203], -v[140:141]
	v_mul_f64 v[192:193], v[192:193], v[142:143]
	v_fmac_f64_e32 v[208:209], v[210:211], v[202:203]
	v_fmac_f64_e32 v[192:193], v[194:195], v[202:203]
	v_add_f64 v[2:3], v[2:3], -v[208:209]
	s_waitcnt vmcnt(0)
	v_add_f64 v[188:189], v[188:189], -v[140:141]
	v_add_f64 v[190:191], v[190:191], -v[192:193]
	v_mov_b64_e32 v[140:141], v[202:203]
.LBB94_293:
	s_or_b64 exec, exec, s[0:1]
	v_lshl_add_u32 v192, v205, 4, v204
	s_barrier
	s_waitcnt vmcnt(33)
	ds_write2_b64 v192, v[136:137], v[138:139] offset1:1
	s_waitcnt lgkmcnt(0)
	s_barrier
	ds_read2_b64 v[192:195], v204 offset0:28 offset1:29
	s_cmp_lt_i32 s20, 16
	v_mov_b32_e32 v202, 14
	s_cbranch_scc1 .LBB94_296
; %bb.294:
	v_add_u32_e32 v203, 0xf0, v204
	s_mov_b32 s16, 15
	v_mov_b32_e32 v202, 14
.LBB94_295:                             ; =>This Inner Loop Header: Depth=1
	ds_read2_b64 v[208:211], v203 offset1:1
	s_waitcnt lgkmcnt(1)
	v_xor_b32_e32 v213, 0x80000000, v193
	v_xor_b32_e32 v215, 0x80000000, v195
	v_cmp_gt_f64_e32 vcc, 0, v[194:195]
	v_cmp_gt_f64_e64 s[0:1], 0, v[192:193]
	v_mov_b32_e32 v212, v192
	v_mov_b32_e32 v214, v194
	v_cndmask_b32_e64 v213, v193, v213, s[0:1]
	v_cndmask_b32_e32 v215, v195, v215, vcc
	v_add_f64 v[212:213], v[212:213], v[214:215]
	s_waitcnt lgkmcnt(0)
	v_xor_b32_e32 v215, 0x80000000, v209
	v_xor_b32_e32 v217, 0x80000000, v211
	v_cmp_gt_f64_e32 vcc, 0, v[210:211]
	v_cmp_gt_f64_e64 s[0:1], 0, v[208:209]
	v_mov_b32_e32 v214, v208
	v_mov_b32_e32 v216, v210
	v_cndmask_b32_e64 v215, v209, v215, s[0:1]
	v_cndmask_b32_e32 v217, v211, v217, vcc
	v_add_f64 v[214:215], v[214:215], v[216:217]
	v_mov_b32_e32 v218, s16
	s_add_i32 s16, s16, 1
	v_cmp_lt_f64_e32 vcc, v[212:213], v[214:215]
	v_add_u32_e32 v203, 16, v203
	s_cmp_lg_u32 s20, s16
	v_cndmask_b32_e32 v193, v193, v209, vcc
	v_cndmask_b32_e32 v192, v192, v208, vcc
	;; [unrolled: 1-line block ×5, first 2 shown]
	s_cbranch_scc1 .LBB94_295
.LBB94_296:
	s_waitcnt lgkmcnt(0)
	v_cmp_eq_f64_e32 vcc, 0, v[192:193]
	v_cmp_eq_f64_e64 s[0:1], 0, v[194:195]
	s_and_b64 s[0:1], vcc, s[0:1]
	s_and_saveexec_b64 s[16:17], s[0:1]
	s_xor_b64 s[0:1], exec, s[16:17]
; %bb.297:
	v_cmp_ne_u32_e32 vcc, 0, v206
	s_nop 1
	v_cndmask_b32_e32 v206, 15, v206, vcc
; %bb.298:
	s_andn2_saveexec_b64 s[0:1], s[0:1]
	s_cbranch_execz .LBB94_304
; %bb.299:
	v_cmp_ngt_f64_e64 s[16:17], |v[192:193]|, |v[194:195]|
	s_and_saveexec_b64 s[18:19], s[16:17]
	s_xor_b64 s[16:17], exec, s[18:19]
	s_cbranch_execz .LBB94_301
; %bb.300:
	v_div_scale_f64 v[208:209], s[18:19], v[194:195], v[194:195], v[192:193]
	v_rcp_f64_e32 v[210:211], v[208:209]
	v_div_scale_f64 v[212:213], vcc, v[192:193], v[194:195], v[192:193]
	v_fma_f64 v[214:215], -v[208:209], v[210:211], 1.0
	v_fmac_f64_e32 v[210:211], v[210:211], v[214:215]
	v_fma_f64 v[214:215], -v[208:209], v[210:211], 1.0
	v_fmac_f64_e32 v[210:211], v[210:211], v[214:215]
	v_mul_f64 v[214:215], v[212:213], v[210:211]
	v_fma_f64 v[208:209], -v[208:209], v[214:215], v[212:213]
	v_div_fmas_f64 v[208:209], v[208:209], v[210:211], v[214:215]
	v_div_fixup_f64 v[208:209], v[208:209], v[194:195], v[192:193]
	v_fmac_f64_e32 v[194:195], v[192:193], v[208:209]
	v_div_scale_f64 v[192:193], s[18:19], v[194:195], v[194:195], 1.0
	v_rcp_f64_e32 v[210:211], v[192:193]
	s_nop 0
	v_fma_f64 v[212:213], -v[192:193], v[210:211], 1.0
	v_fmac_f64_e32 v[210:211], v[210:211], v[212:213]
	v_fma_f64 v[212:213], -v[192:193], v[210:211], 1.0
	v_fmac_f64_e32 v[210:211], v[210:211], v[212:213]
	v_div_scale_f64 v[212:213], vcc, 1.0, v[194:195], 1.0
	v_mul_f64 v[214:215], v[212:213], v[210:211]
	v_fma_f64 v[192:193], -v[192:193], v[214:215], v[212:213]
	s_nop 1
	v_div_fmas_f64 v[192:193], v[192:193], v[210:211], v[214:215]
	v_div_fixup_f64 v[194:195], v[192:193], v[194:195], 1.0
	v_mul_f64 v[192:193], v[208:209], v[194:195]
	v_xor_b32_e32 v195, 0x80000000, v195
.LBB94_301:
	s_andn2_saveexec_b64 s[16:17], s[16:17]
	s_cbranch_execz .LBB94_303
; %bb.302:
	v_div_scale_f64 v[208:209], s[18:19], v[192:193], v[192:193], v[194:195]
	v_rcp_f64_e32 v[210:211], v[208:209]
	v_div_scale_f64 v[212:213], vcc, v[194:195], v[192:193], v[194:195]
	v_fma_f64 v[214:215], -v[208:209], v[210:211], 1.0
	v_fmac_f64_e32 v[210:211], v[210:211], v[214:215]
	v_fma_f64 v[214:215], -v[208:209], v[210:211], 1.0
	v_fmac_f64_e32 v[210:211], v[210:211], v[214:215]
	v_mul_f64 v[214:215], v[212:213], v[210:211]
	v_fma_f64 v[208:209], -v[208:209], v[214:215], v[212:213]
	v_div_fmas_f64 v[208:209], v[208:209], v[210:211], v[214:215]
	v_div_fixup_f64 v[208:209], v[208:209], v[192:193], v[194:195]
	v_fmac_f64_e32 v[192:193], v[194:195], v[208:209]
	v_div_scale_f64 v[194:195], s[18:19], v[192:193], v[192:193], 1.0
	v_rcp_f64_e32 v[210:211], v[194:195]
	s_nop 0
	v_fma_f64 v[212:213], -v[194:195], v[210:211], 1.0
	v_fmac_f64_e32 v[210:211], v[210:211], v[212:213]
	v_fma_f64 v[212:213], -v[194:195], v[210:211], 1.0
	v_fmac_f64_e32 v[210:211], v[210:211], v[212:213]
	v_div_scale_f64 v[212:213], vcc, 1.0, v[192:193], 1.0
	v_mul_f64 v[214:215], v[212:213], v[210:211]
	v_fma_f64 v[194:195], -v[194:195], v[214:215], v[212:213]
	s_nop 1
	v_div_fmas_f64 v[194:195], v[194:195], v[210:211], v[214:215]
	v_div_fixup_f64 v[192:193], v[194:195], v[192:193], 1.0
	v_mul_f64 v[194:195], v[208:209], -v[192:193]
.LBB94_303:
	s_or_b64 exec, exec, s[16:17]
.LBB94_304:
	s_or_b64 exec, exec, s[0:1]
	v_cmp_ne_u32_e32 vcc, v205, v202
	s_and_saveexec_b64 s[0:1], vcc
	s_xor_b64 s[0:1], exec, s[0:1]
	s_cbranch_execz .LBB94_310
; %bb.305:
	v_cmp_eq_u32_e32 vcc, 14, v205
	s_and_saveexec_b64 s[16:17], vcc
	s_cbranch_execz .LBB94_309
; %bb.306:
	v_cmp_ne_u32_e32 vcc, 14, v202
	s_xor_b64 s[18:19], s[14:15], -1
	s_and_b64 s[22:23], s[18:19], vcc
	s_and_saveexec_b64 s[18:19], s[22:23]
	s_cbranch_execz .LBB94_308
; %bb.307:
	v_ashrrev_i32_e32 v203, 31, v202
	v_lshl_add_u64 v[208:209], v[202:203], 2, v[200:201]
	global_load_dword v203, v[208:209], off
	global_load_dword v205, v[200:201], off offset:56
	s_waitcnt vmcnt(1)
	global_store_dword v[200:201], v203, off offset:56
	s_waitcnt vmcnt(1)
	global_store_dword v[208:209], v205, off
.LBB94_308:
	s_or_b64 exec, exec, s[18:19]
	v_mov_b32_e32 v205, v202
	v_mov_b32_e32 v207, v202
.LBB94_309:
	s_or_b64 exec, exec, s[16:17]
.LBB94_310:
	s_andn2_saveexec_b64 s[0:1], s[0:1]
	s_cbranch_execz .LBB94_312
; %bb.311:
	v_mov_b32_e32 v205, 14
	s_waitcnt vmcnt(32)
	ds_write2_b64 v204, v[132:133], v[134:135] offset0:30 offset1:31
	s_waitcnt vmcnt(31)
	ds_write2_b64 v204, v[124:125], v[126:127] offset0:32 offset1:33
	;; [unrolled: 2-line block ×33, first 2 shown]
.LBB94_312:
	s_or_b64 exec, exec, s[0:1]
	v_cmp_lt_i32_e32 vcc, 14, v205
	s_waitcnt lgkmcnt(0)
	s_barrier
	s_and_saveexec_b64 s[0:1], vcc
	s_cbranch_execz .LBB94_314
; %bb.313:
	ds_read2_b64 v[208:211], v204 offset0:30 offset1:31
	v_mul_f64 v[202:203], v[194:195], v[138:139]
	v_mul_f64 v[138:139], v[192:193], v[138:139]
	v_fmac_f64_e32 v[138:139], v[194:195], v[136:137]
	v_fma_f64 v[202:203], v[192:193], v[136:137], -v[202:203]
	ds_read2_b64 v[192:195], v204 offset0:32 offset1:33
	s_waitcnt lgkmcnt(1)
	v_mul_f64 v[136:137], v[210:211], v[138:139]
	v_fma_f64 v[136:137], v[208:209], v[202:203], -v[136:137]
	v_mul_f64 v[208:209], v[208:209], v[138:139]
	v_fmac_f64_e32 v[208:209], v[210:211], v[202:203]
	s_waitcnt vmcnt(32)
	v_add_f64 v[134:135], v[134:135], -v[208:209]
	ds_read2_b64 v[208:211], v204 offset0:34 offset1:35
	v_add_f64 v[132:133], v[132:133], -v[136:137]
	s_waitcnt lgkmcnt(1)
	v_mul_f64 v[136:137], v[194:195], v[138:139]
	v_fma_f64 v[136:137], v[192:193], v[202:203], -v[136:137]
	v_mul_f64 v[192:193], v[192:193], v[138:139]
	v_fmac_f64_e32 v[192:193], v[194:195], v[202:203]
	s_waitcnt vmcnt(31)
	v_add_f64 v[124:125], v[124:125], -v[136:137]
	v_add_f64 v[126:127], v[126:127], -v[192:193]
	ds_read2_b64 v[192:195], v204 offset0:36 offset1:37
	s_waitcnt lgkmcnt(1)
	v_mul_f64 v[136:137], v[210:211], v[138:139]
	v_fma_f64 v[136:137], v[208:209], v[202:203], -v[136:137]
	v_mul_f64 v[208:209], v[208:209], v[138:139]
	v_fmac_f64_e32 v[208:209], v[210:211], v[202:203]
	s_waitcnt vmcnt(30)
	v_add_f64 v[118:119], v[118:119], -v[208:209]
	ds_read2_b64 v[208:211], v204 offset0:38 offset1:39
	v_add_f64 v[116:117], v[116:117], -v[136:137]
	s_waitcnt lgkmcnt(1)
	v_mul_f64 v[136:137], v[194:195], v[138:139]
	v_fma_f64 v[136:137], v[192:193], v[202:203], -v[136:137]
	v_mul_f64 v[192:193], v[192:193], v[138:139]
	v_fmac_f64_e32 v[192:193], v[194:195], v[202:203]
	s_waitcnt vmcnt(29)
	v_add_f64 v[112:113], v[112:113], -v[136:137]
	v_add_f64 v[114:115], v[114:115], -v[192:193]
	;; [unrolled: 18-line block ×16, first 2 shown]
	s_waitcnt lgkmcnt(0)
	v_mul_f64 v[136:137], v[210:211], v[138:139]
	v_mul_f64 v[192:193], v[208:209], v[138:139]
	v_fma_f64 v[136:137], v[208:209], v[202:203], -v[136:137]
	v_fmac_f64_e32 v[192:193], v[210:211], v[202:203]
	s_waitcnt vmcnt(0)
	v_add_f64 v[188:189], v[188:189], -v[136:137]
	v_add_f64 v[190:191], v[190:191], -v[192:193]
	v_mov_b64_e32 v[136:137], v[202:203]
.LBB94_314:
	s_or_b64 exec, exec, s[0:1]
	v_lshl_add_u32 v192, v205, 4, v204
	s_barrier
	s_waitcnt vmcnt(32)
	ds_write2_b64 v192, v[132:133], v[134:135] offset1:1
	s_waitcnt lgkmcnt(0)
	s_barrier
	ds_read2_b64 v[192:195], v204 offset0:30 offset1:31
	s_cmp_lt_i32 s20, 17
	v_mov_b32_e32 v202, 15
	s_cbranch_scc1 .LBB94_317
; %bb.315:
	v_add_u32_e32 v203, 0x100, v204
	s_mov_b32 s16, 16
	v_mov_b32_e32 v202, 15
.LBB94_316:                             ; =>This Inner Loop Header: Depth=1
	ds_read2_b64 v[208:211], v203 offset1:1
	s_waitcnt lgkmcnt(1)
	v_xor_b32_e32 v213, 0x80000000, v193
	v_xor_b32_e32 v215, 0x80000000, v195
	v_cmp_gt_f64_e32 vcc, 0, v[194:195]
	v_cmp_gt_f64_e64 s[0:1], 0, v[192:193]
	v_mov_b32_e32 v212, v192
	v_mov_b32_e32 v214, v194
	v_cndmask_b32_e64 v213, v193, v213, s[0:1]
	v_cndmask_b32_e32 v215, v195, v215, vcc
	v_add_f64 v[212:213], v[212:213], v[214:215]
	s_waitcnt lgkmcnt(0)
	v_xor_b32_e32 v215, 0x80000000, v209
	v_xor_b32_e32 v217, 0x80000000, v211
	v_cmp_gt_f64_e32 vcc, 0, v[210:211]
	v_cmp_gt_f64_e64 s[0:1], 0, v[208:209]
	v_mov_b32_e32 v214, v208
	v_mov_b32_e32 v216, v210
	v_cndmask_b32_e64 v215, v209, v215, s[0:1]
	v_cndmask_b32_e32 v217, v211, v217, vcc
	v_add_f64 v[214:215], v[214:215], v[216:217]
	v_mov_b32_e32 v218, s16
	s_add_i32 s16, s16, 1
	v_cmp_lt_f64_e32 vcc, v[212:213], v[214:215]
	v_add_u32_e32 v203, 16, v203
	s_cmp_lg_u32 s20, s16
	v_cndmask_b32_e32 v193, v193, v209, vcc
	v_cndmask_b32_e32 v192, v192, v208, vcc
	;; [unrolled: 1-line block ×5, first 2 shown]
	s_cbranch_scc1 .LBB94_316
.LBB94_317:
	s_waitcnt lgkmcnt(0)
	v_cmp_eq_f64_e32 vcc, 0, v[192:193]
	v_cmp_eq_f64_e64 s[0:1], 0, v[194:195]
	s_and_b64 s[0:1], vcc, s[0:1]
	s_and_saveexec_b64 s[16:17], s[0:1]
	s_xor_b64 s[0:1], exec, s[16:17]
; %bb.318:
	v_cmp_ne_u32_e32 vcc, 0, v206
	s_nop 1
	v_cndmask_b32_e32 v206, 16, v206, vcc
; %bb.319:
	s_andn2_saveexec_b64 s[0:1], s[0:1]
	s_cbranch_execz .LBB94_325
; %bb.320:
	v_cmp_ngt_f64_e64 s[16:17], |v[192:193]|, |v[194:195]|
	s_and_saveexec_b64 s[18:19], s[16:17]
	s_xor_b64 s[16:17], exec, s[18:19]
	s_cbranch_execz .LBB94_322
; %bb.321:
	v_div_scale_f64 v[208:209], s[18:19], v[194:195], v[194:195], v[192:193]
	v_rcp_f64_e32 v[210:211], v[208:209]
	v_div_scale_f64 v[212:213], vcc, v[192:193], v[194:195], v[192:193]
	v_fma_f64 v[214:215], -v[208:209], v[210:211], 1.0
	v_fmac_f64_e32 v[210:211], v[210:211], v[214:215]
	v_fma_f64 v[214:215], -v[208:209], v[210:211], 1.0
	v_fmac_f64_e32 v[210:211], v[210:211], v[214:215]
	v_mul_f64 v[214:215], v[212:213], v[210:211]
	v_fma_f64 v[208:209], -v[208:209], v[214:215], v[212:213]
	v_div_fmas_f64 v[208:209], v[208:209], v[210:211], v[214:215]
	v_div_fixup_f64 v[208:209], v[208:209], v[194:195], v[192:193]
	v_fmac_f64_e32 v[194:195], v[192:193], v[208:209]
	v_div_scale_f64 v[192:193], s[18:19], v[194:195], v[194:195], 1.0
	v_rcp_f64_e32 v[210:211], v[192:193]
	s_nop 0
	v_fma_f64 v[212:213], -v[192:193], v[210:211], 1.0
	v_fmac_f64_e32 v[210:211], v[210:211], v[212:213]
	v_fma_f64 v[212:213], -v[192:193], v[210:211], 1.0
	v_fmac_f64_e32 v[210:211], v[210:211], v[212:213]
	v_div_scale_f64 v[212:213], vcc, 1.0, v[194:195], 1.0
	v_mul_f64 v[214:215], v[212:213], v[210:211]
	v_fma_f64 v[192:193], -v[192:193], v[214:215], v[212:213]
	s_nop 1
	v_div_fmas_f64 v[192:193], v[192:193], v[210:211], v[214:215]
	v_div_fixup_f64 v[194:195], v[192:193], v[194:195], 1.0
	v_mul_f64 v[192:193], v[208:209], v[194:195]
	v_xor_b32_e32 v195, 0x80000000, v195
.LBB94_322:
	s_andn2_saveexec_b64 s[16:17], s[16:17]
	s_cbranch_execz .LBB94_324
; %bb.323:
	v_div_scale_f64 v[208:209], s[18:19], v[192:193], v[192:193], v[194:195]
	v_rcp_f64_e32 v[210:211], v[208:209]
	v_div_scale_f64 v[212:213], vcc, v[194:195], v[192:193], v[194:195]
	v_fma_f64 v[214:215], -v[208:209], v[210:211], 1.0
	v_fmac_f64_e32 v[210:211], v[210:211], v[214:215]
	v_fma_f64 v[214:215], -v[208:209], v[210:211], 1.0
	v_fmac_f64_e32 v[210:211], v[210:211], v[214:215]
	v_mul_f64 v[214:215], v[212:213], v[210:211]
	v_fma_f64 v[208:209], -v[208:209], v[214:215], v[212:213]
	v_div_fmas_f64 v[208:209], v[208:209], v[210:211], v[214:215]
	v_div_fixup_f64 v[208:209], v[208:209], v[192:193], v[194:195]
	v_fmac_f64_e32 v[192:193], v[194:195], v[208:209]
	v_div_scale_f64 v[194:195], s[18:19], v[192:193], v[192:193], 1.0
	v_rcp_f64_e32 v[210:211], v[194:195]
	s_nop 0
	v_fma_f64 v[212:213], -v[194:195], v[210:211], 1.0
	v_fmac_f64_e32 v[210:211], v[210:211], v[212:213]
	v_fma_f64 v[212:213], -v[194:195], v[210:211], 1.0
	v_fmac_f64_e32 v[210:211], v[210:211], v[212:213]
	v_div_scale_f64 v[212:213], vcc, 1.0, v[192:193], 1.0
	v_mul_f64 v[214:215], v[212:213], v[210:211]
	v_fma_f64 v[194:195], -v[194:195], v[214:215], v[212:213]
	s_nop 1
	v_div_fmas_f64 v[194:195], v[194:195], v[210:211], v[214:215]
	v_div_fixup_f64 v[192:193], v[194:195], v[192:193], 1.0
	v_mul_f64 v[194:195], v[208:209], -v[192:193]
.LBB94_324:
	s_or_b64 exec, exec, s[16:17]
.LBB94_325:
	s_or_b64 exec, exec, s[0:1]
	v_cmp_ne_u32_e32 vcc, v205, v202
	s_and_saveexec_b64 s[0:1], vcc
	s_xor_b64 s[0:1], exec, s[0:1]
	s_cbranch_execz .LBB94_331
; %bb.326:
	v_cmp_eq_u32_e32 vcc, 15, v205
	s_and_saveexec_b64 s[16:17], vcc
	s_cbranch_execz .LBB94_330
; %bb.327:
	v_cmp_ne_u32_e32 vcc, 15, v202
	s_xor_b64 s[18:19], s[14:15], -1
	s_and_b64 s[22:23], s[18:19], vcc
	s_and_saveexec_b64 s[18:19], s[22:23]
	s_cbranch_execz .LBB94_329
; %bb.328:
	v_ashrrev_i32_e32 v203, 31, v202
	v_lshl_add_u64 v[208:209], v[202:203], 2, v[200:201]
	global_load_dword v203, v[208:209], off
	global_load_dword v205, v[200:201], off offset:60
	s_waitcnt vmcnt(1)
	global_store_dword v[200:201], v203, off offset:60
	s_waitcnt vmcnt(1)
	global_store_dword v[208:209], v205, off
.LBB94_329:
	s_or_b64 exec, exec, s[18:19]
	v_mov_b32_e32 v205, v202
	v_mov_b32_e32 v207, v202
.LBB94_330:
	s_or_b64 exec, exec, s[16:17]
.LBB94_331:
	s_andn2_saveexec_b64 s[0:1], s[0:1]
	s_cbranch_execz .LBB94_333
; %bb.332:
	v_mov_b32_e32 v205, 15
	s_waitcnt vmcnt(31)
	ds_write2_b64 v204, v[124:125], v[126:127] offset0:32 offset1:33
	s_waitcnt vmcnt(30)
	ds_write2_b64 v204, v[116:117], v[118:119] offset0:34 offset1:35
	;; [unrolled: 2-line block ×32, first 2 shown]
.LBB94_333:
	s_or_b64 exec, exec, s[0:1]
	v_cmp_lt_i32_e32 vcc, 15, v205
	s_waitcnt lgkmcnt(0)
	s_barrier
	s_and_saveexec_b64 s[0:1], vcc
	s_cbranch_execz .LBB94_335
; %bb.334:
	ds_read2_b64 v[208:211], v204 offset0:32 offset1:33
	v_mul_f64 v[202:203], v[194:195], v[134:135]
	v_mul_f64 v[134:135], v[192:193], v[134:135]
	v_fma_f64 v[202:203], v[192:193], v[132:133], -v[202:203]
	v_fmac_f64_e32 v[134:135], v[194:195], v[132:133]
	ds_read2_b64 v[192:195], v204 offset0:34 offset1:35
	s_waitcnt lgkmcnt(1)
	v_mul_f64 v[132:133], v[210:211], v[134:135]
	v_fma_f64 v[132:133], v[208:209], v[202:203], -v[132:133]
	v_mul_f64 v[208:209], v[208:209], v[134:135]
	v_fmac_f64_e32 v[208:209], v[210:211], v[202:203]
	s_waitcnt vmcnt(31)
	v_add_f64 v[124:125], v[124:125], -v[132:133]
	s_waitcnt lgkmcnt(0)
	v_mul_f64 v[132:133], v[194:195], v[134:135]
	v_add_f64 v[126:127], v[126:127], -v[208:209]
	v_fma_f64 v[132:133], v[192:193], v[202:203], -v[132:133]
	v_mul_f64 v[192:193], v[192:193], v[134:135]
	ds_read2_b64 v[208:211], v204 offset0:36 offset1:37
	v_fmac_f64_e32 v[192:193], v[194:195], v[202:203]
	s_waitcnt vmcnt(30)
	v_add_f64 v[118:119], v[118:119], -v[192:193]
	ds_read2_b64 v[192:195], v204 offset0:38 offset1:39
	v_add_f64 v[116:117], v[116:117], -v[132:133]
	s_waitcnt lgkmcnt(1)
	v_mul_f64 v[132:133], v[210:211], v[134:135]
	v_fma_f64 v[132:133], v[208:209], v[202:203], -v[132:133]
	v_mul_f64 v[208:209], v[208:209], v[134:135]
	v_fmac_f64_e32 v[208:209], v[210:211], v[202:203]
	s_waitcnt vmcnt(29)
	v_add_f64 v[112:113], v[112:113], -v[132:133]
	s_waitcnt lgkmcnt(0)
	v_mul_f64 v[132:133], v[194:195], v[134:135]
	v_add_f64 v[114:115], v[114:115], -v[208:209]
	v_fma_f64 v[132:133], v[192:193], v[202:203], -v[132:133]
	v_mul_f64 v[192:193], v[192:193], v[134:135]
	ds_read2_b64 v[208:211], v204 offset0:40 offset1:41
	v_fmac_f64_e32 v[192:193], v[194:195], v[202:203]
	s_waitcnt vmcnt(28)
	v_add_f64 v[110:111], v[110:111], -v[192:193]
	ds_read2_b64 v[192:195], v204 offset0:42 offset1:43
	v_add_f64 v[108:109], v[108:109], -v[132:133]
	;; [unrolled: 18-line block ×15, first 2 shown]
	s_waitcnt lgkmcnt(1)
	v_mul_f64 v[132:133], v[210:211], v[134:135]
	v_fma_f64 v[132:133], v[208:209], v[202:203], -v[132:133]
	s_waitcnt vmcnt(1)
	v_add_f64 v[0:1], v[0:1], -v[132:133]
	s_waitcnt lgkmcnt(0)
	v_mul_f64 v[132:133], v[194:195], v[134:135]
	v_mul_f64 v[208:209], v[208:209], v[134:135]
	v_fma_f64 v[132:133], v[192:193], v[202:203], -v[132:133]
	v_mul_f64 v[192:193], v[192:193], v[134:135]
	v_fmac_f64_e32 v[208:209], v[210:211], v[202:203]
	v_fmac_f64_e32 v[192:193], v[194:195], v[202:203]
	v_add_f64 v[2:3], v[2:3], -v[208:209]
	s_waitcnt vmcnt(0)
	v_add_f64 v[188:189], v[188:189], -v[132:133]
	v_add_f64 v[190:191], v[190:191], -v[192:193]
	v_mov_b64_e32 v[132:133], v[202:203]
.LBB94_335:
	s_or_b64 exec, exec, s[0:1]
	v_lshl_add_u32 v192, v205, 4, v204
	s_barrier
	s_waitcnt vmcnt(31)
	ds_write2_b64 v192, v[124:125], v[126:127] offset1:1
	s_waitcnt lgkmcnt(0)
	s_barrier
	ds_read2_b64 v[192:195], v204 offset0:32 offset1:33
	s_cmp_lt_i32 s20, 18
	v_mov_b32_e32 v202, 16
	s_cbranch_scc1 .LBB94_338
; %bb.336:
	v_add_u32_e32 v203, 0x110, v204
	s_mov_b32 s16, 17
	v_mov_b32_e32 v202, 16
.LBB94_337:                             ; =>This Inner Loop Header: Depth=1
	ds_read2_b64 v[208:211], v203 offset1:1
	s_waitcnt lgkmcnt(1)
	v_xor_b32_e32 v213, 0x80000000, v193
	v_xor_b32_e32 v215, 0x80000000, v195
	v_cmp_gt_f64_e32 vcc, 0, v[194:195]
	v_cmp_gt_f64_e64 s[0:1], 0, v[192:193]
	v_mov_b32_e32 v212, v192
	v_mov_b32_e32 v214, v194
	v_cndmask_b32_e64 v213, v193, v213, s[0:1]
	v_cndmask_b32_e32 v215, v195, v215, vcc
	v_add_f64 v[212:213], v[212:213], v[214:215]
	s_waitcnt lgkmcnt(0)
	v_xor_b32_e32 v215, 0x80000000, v209
	v_xor_b32_e32 v217, 0x80000000, v211
	v_cmp_gt_f64_e32 vcc, 0, v[210:211]
	v_cmp_gt_f64_e64 s[0:1], 0, v[208:209]
	v_mov_b32_e32 v214, v208
	v_mov_b32_e32 v216, v210
	v_cndmask_b32_e64 v215, v209, v215, s[0:1]
	v_cndmask_b32_e32 v217, v211, v217, vcc
	v_add_f64 v[214:215], v[214:215], v[216:217]
	v_mov_b32_e32 v218, s16
	s_add_i32 s16, s16, 1
	v_cmp_lt_f64_e32 vcc, v[212:213], v[214:215]
	v_add_u32_e32 v203, 16, v203
	s_cmp_lg_u32 s20, s16
	v_cndmask_b32_e32 v193, v193, v209, vcc
	v_cndmask_b32_e32 v192, v192, v208, vcc
	;; [unrolled: 1-line block ×5, first 2 shown]
	s_cbranch_scc1 .LBB94_337
.LBB94_338:
	s_waitcnt lgkmcnt(0)
	v_cmp_eq_f64_e32 vcc, 0, v[192:193]
	v_cmp_eq_f64_e64 s[0:1], 0, v[194:195]
	s_and_b64 s[0:1], vcc, s[0:1]
	s_and_saveexec_b64 s[16:17], s[0:1]
	s_xor_b64 s[0:1], exec, s[16:17]
; %bb.339:
	v_cmp_ne_u32_e32 vcc, 0, v206
	s_nop 1
	v_cndmask_b32_e32 v206, 17, v206, vcc
; %bb.340:
	s_andn2_saveexec_b64 s[0:1], s[0:1]
	s_cbranch_execz .LBB94_346
; %bb.341:
	v_cmp_ngt_f64_e64 s[16:17], |v[192:193]|, |v[194:195]|
	s_and_saveexec_b64 s[18:19], s[16:17]
	s_xor_b64 s[16:17], exec, s[18:19]
	s_cbranch_execz .LBB94_343
; %bb.342:
	v_div_scale_f64 v[208:209], s[18:19], v[194:195], v[194:195], v[192:193]
	v_rcp_f64_e32 v[210:211], v[208:209]
	v_div_scale_f64 v[212:213], vcc, v[192:193], v[194:195], v[192:193]
	v_fma_f64 v[214:215], -v[208:209], v[210:211], 1.0
	v_fmac_f64_e32 v[210:211], v[210:211], v[214:215]
	v_fma_f64 v[214:215], -v[208:209], v[210:211], 1.0
	v_fmac_f64_e32 v[210:211], v[210:211], v[214:215]
	v_mul_f64 v[214:215], v[212:213], v[210:211]
	v_fma_f64 v[208:209], -v[208:209], v[214:215], v[212:213]
	v_div_fmas_f64 v[208:209], v[208:209], v[210:211], v[214:215]
	v_div_fixup_f64 v[208:209], v[208:209], v[194:195], v[192:193]
	v_fmac_f64_e32 v[194:195], v[192:193], v[208:209]
	v_div_scale_f64 v[192:193], s[18:19], v[194:195], v[194:195], 1.0
	v_rcp_f64_e32 v[210:211], v[192:193]
	s_nop 0
	v_fma_f64 v[212:213], -v[192:193], v[210:211], 1.0
	v_fmac_f64_e32 v[210:211], v[210:211], v[212:213]
	v_fma_f64 v[212:213], -v[192:193], v[210:211], 1.0
	v_fmac_f64_e32 v[210:211], v[210:211], v[212:213]
	v_div_scale_f64 v[212:213], vcc, 1.0, v[194:195], 1.0
	v_mul_f64 v[214:215], v[212:213], v[210:211]
	v_fma_f64 v[192:193], -v[192:193], v[214:215], v[212:213]
	s_nop 1
	v_div_fmas_f64 v[192:193], v[192:193], v[210:211], v[214:215]
	v_div_fixup_f64 v[194:195], v[192:193], v[194:195], 1.0
	v_mul_f64 v[192:193], v[208:209], v[194:195]
	v_xor_b32_e32 v195, 0x80000000, v195
.LBB94_343:
	s_andn2_saveexec_b64 s[16:17], s[16:17]
	s_cbranch_execz .LBB94_345
; %bb.344:
	v_div_scale_f64 v[208:209], s[18:19], v[192:193], v[192:193], v[194:195]
	v_rcp_f64_e32 v[210:211], v[208:209]
	v_div_scale_f64 v[212:213], vcc, v[194:195], v[192:193], v[194:195]
	v_fma_f64 v[214:215], -v[208:209], v[210:211], 1.0
	v_fmac_f64_e32 v[210:211], v[210:211], v[214:215]
	v_fma_f64 v[214:215], -v[208:209], v[210:211], 1.0
	v_fmac_f64_e32 v[210:211], v[210:211], v[214:215]
	v_mul_f64 v[214:215], v[212:213], v[210:211]
	v_fma_f64 v[208:209], -v[208:209], v[214:215], v[212:213]
	v_div_fmas_f64 v[208:209], v[208:209], v[210:211], v[214:215]
	v_div_fixup_f64 v[208:209], v[208:209], v[192:193], v[194:195]
	v_fmac_f64_e32 v[192:193], v[194:195], v[208:209]
	v_div_scale_f64 v[194:195], s[18:19], v[192:193], v[192:193], 1.0
	v_rcp_f64_e32 v[210:211], v[194:195]
	s_nop 0
	v_fma_f64 v[212:213], -v[194:195], v[210:211], 1.0
	v_fmac_f64_e32 v[210:211], v[210:211], v[212:213]
	v_fma_f64 v[212:213], -v[194:195], v[210:211], 1.0
	v_fmac_f64_e32 v[210:211], v[210:211], v[212:213]
	v_div_scale_f64 v[212:213], vcc, 1.0, v[192:193], 1.0
	v_mul_f64 v[214:215], v[212:213], v[210:211]
	v_fma_f64 v[194:195], -v[194:195], v[214:215], v[212:213]
	s_nop 1
	v_div_fmas_f64 v[194:195], v[194:195], v[210:211], v[214:215]
	v_div_fixup_f64 v[192:193], v[194:195], v[192:193], 1.0
	v_mul_f64 v[194:195], v[208:209], -v[192:193]
.LBB94_345:
	s_or_b64 exec, exec, s[16:17]
.LBB94_346:
	s_or_b64 exec, exec, s[0:1]
	v_cmp_ne_u32_e32 vcc, v205, v202
	s_and_saveexec_b64 s[0:1], vcc
	s_xor_b64 s[0:1], exec, s[0:1]
	s_cbranch_execz .LBB94_352
; %bb.347:
	v_cmp_eq_u32_e32 vcc, 16, v205
	s_and_saveexec_b64 s[16:17], vcc
	s_cbranch_execz .LBB94_351
; %bb.348:
	v_cmp_ne_u32_e32 vcc, 16, v202
	s_xor_b64 s[18:19], s[14:15], -1
	s_and_b64 s[22:23], s[18:19], vcc
	s_and_saveexec_b64 s[18:19], s[22:23]
	s_cbranch_execz .LBB94_350
; %bb.349:
	v_ashrrev_i32_e32 v203, 31, v202
	v_lshl_add_u64 v[208:209], v[202:203], 2, v[200:201]
	global_load_dword v203, v[208:209], off
	global_load_dword v205, v[200:201], off offset:64
	s_waitcnt vmcnt(1)
	global_store_dword v[200:201], v203, off offset:64
	s_waitcnt vmcnt(1)
	global_store_dword v[208:209], v205, off
.LBB94_350:
	s_or_b64 exec, exec, s[18:19]
	v_mov_b32_e32 v205, v202
	v_mov_b32_e32 v207, v202
.LBB94_351:
	s_or_b64 exec, exec, s[16:17]
.LBB94_352:
	s_andn2_saveexec_b64 s[0:1], s[0:1]
	s_cbranch_execz .LBB94_354
; %bb.353:
	v_mov_b32_e32 v205, 16
	s_waitcnt vmcnt(30)
	ds_write2_b64 v204, v[116:117], v[118:119] offset0:34 offset1:35
	s_waitcnt vmcnt(29)
	ds_write2_b64 v204, v[112:113], v[114:115] offset0:36 offset1:37
	;; [unrolled: 2-line block ×31, first 2 shown]
.LBB94_354:
	s_or_b64 exec, exec, s[0:1]
	v_cmp_lt_i32_e32 vcc, 16, v205
	s_waitcnt lgkmcnt(0)
	s_barrier
	s_and_saveexec_b64 s[0:1], vcc
	s_cbranch_execz .LBB94_356
; %bb.355:
	ds_read2_b64 v[208:211], v204 offset0:34 offset1:35
	v_mul_f64 v[202:203], v[194:195], v[126:127]
	v_mul_f64 v[126:127], v[192:193], v[126:127]
	v_fmac_f64_e32 v[126:127], v[194:195], v[124:125]
	v_fma_f64 v[202:203], v[192:193], v[124:125], -v[202:203]
	ds_read2_b64 v[192:195], v204 offset0:36 offset1:37
	s_waitcnt lgkmcnt(1)
	v_mul_f64 v[124:125], v[210:211], v[126:127]
	v_fma_f64 v[124:125], v[208:209], v[202:203], -v[124:125]
	v_mul_f64 v[208:209], v[208:209], v[126:127]
	v_fmac_f64_e32 v[208:209], v[210:211], v[202:203]
	s_waitcnt vmcnt(30)
	v_add_f64 v[118:119], v[118:119], -v[208:209]
	ds_read2_b64 v[208:211], v204 offset0:38 offset1:39
	v_add_f64 v[116:117], v[116:117], -v[124:125]
	s_waitcnt lgkmcnt(1)
	v_mul_f64 v[124:125], v[194:195], v[126:127]
	v_fma_f64 v[124:125], v[192:193], v[202:203], -v[124:125]
	v_mul_f64 v[192:193], v[192:193], v[126:127]
	v_fmac_f64_e32 v[192:193], v[194:195], v[202:203]
	s_waitcnt vmcnt(29)
	v_add_f64 v[112:113], v[112:113], -v[124:125]
	v_add_f64 v[114:115], v[114:115], -v[192:193]
	ds_read2_b64 v[192:195], v204 offset0:40 offset1:41
	s_waitcnt lgkmcnt(1)
	v_mul_f64 v[124:125], v[210:211], v[126:127]
	v_fma_f64 v[124:125], v[208:209], v[202:203], -v[124:125]
	v_mul_f64 v[208:209], v[208:209], v[126:127]
	v_fmac_f64_e32 v[208:209], v[210:211], v[202:203]
	s_waitcnt vmcnt(28)
	v_add_f64 v[110:111], v[110:111], -v[208:209]
	ds_read2_b64 v[208:211], v204 offset0:42 offset1:43
	v_add_f64 v[108:109], v[108:109], -v[124:125]
	s_waitcnt lgkmcnt(1)
	v_mul_f64 v[124:125], v[194:195], v[126:127]
	v_fma_f64 v[124:125], v[192:193], v[202:203], -v[124:125]
	v_mul_f64 v[192:193], v[192:193], v[126:127]
	v_fmac_f64_e32 v[192:193], v[194:195], v[202:203]
	s_waitcnt vmcnt(27)
	v_add_f64 v[104:105], v[104:105], -v[124:125]
	v_add_f64 v[106:107], v[106:107], -v[192:193]
	;; [unrolled: 18-line block ×15, first 2 shown]
	s_waitcnt lgkmcnt(0)
	v_mul_f64 v[124:125], v[210:211], v[126:127]
	v_mul_f64 v[192:193], v[208:209], v[126:127]
	v_fma_f64 v[124:125], v[208:209], v[202:203], -v[124:125]
	v_fmac_f64_e32 v[192:193], v[210:211], v[202:203]
	s_waitcnt vmcnt(0)
	v_add_f64 v[188:189], v[188:189], -v[124:125]
	v_add_f64 v[190:191], v[190:191], -v[192:193]
	v_mov_b64_e32 v[124:125], v[202:203]
.LBB94_356:
	s_or_b64 exec, exec, s[0:1]
	v_lshl_add_u32 v192, v205, 4, v204
	s_barrier
	s_waitcnt vmcnt(30)
	ds_write2_b64 v192, v[116:117], v[118:119] offset1:1
	s_waitcnt lgkmcnt(0)
	s_barrier
	ds_read2_b64 v[192:195], v204 offset0:34 offset1:35
	s_cmp_lt_i32 s20, 19
	v_mov_b32_e32 v202, 17
	s_cbranch_scc1 .LBB94_359
; %bb.357:
	v_add_u32_e32 v203, 0x120, v204
	s_mov_b32 s16, 18
	v_mov_b32_e32 v202, 17
.LBB94_358:                             ; =>This Inner Loop Header: Depth=1
	ds_read2_b64 v[208:211], v203 offset1:1
	s_waitcnt lgkmcnt(1)
	v_xor_b32_e32 v213, 0x80000000, v193
	v_xor_b32_e32 v215, 0x80000000, v195
	v_cmp_gt_f64_e32 vcc, 0, v[194:195]
	v_cmp_gt_f64_e64 s[0:1], 0, v[192:193]
	v_mov_b32_e32 v212, v192
	v_mov_b32_e32 v214, v194
	v_cndmask_b32_e64 v213, v193, v213, s[0:1]
	v_cndmask_b32_e32 v215, v195, v215, vcc
	v_add_f64 v[212:213], v[212:213], v[214:215]
	s_waitcnt lgkmcnt(0)
	v_xor_b32_e32 v215, 0x80000000, v209
	v_xor_b32_e32 v217, 0x80000000, v211
	v_cmp_gt_f64_e32 vcc, 0, v[210:211]
	v_cmp_gt_f64_e64 s[0:1], 0, v[208:209]
	v_mov_b32_e32 v214, v208
	v_mov_b32_e32 v216, v210
	v_cndmask_b32_e64 v215, v209, v215, s[0:1]
	v_cndmask_b32_e32 v217, v211, v217, vcc
	v_add_f64 v[214:215], v[214:215], v[216:217]
	v_mov_b32_e32 v218, s16
	s_add_i32 s16, s16, 1
	v_cmp_lt_f64_e32 vcc, v[212:213], v[214:215]
	v_add_u32_e32 v203, 16, v203
	s_cmp_lg_u32 s20, s16
	v_cndmask_b32_e32 v193, v193, v209, vcc
	v_cndmask_b32_e32 v192, v192, v208, vcc
	v_cndmask_b32_e32 v195, v195, v211, vcc
	v_cndmask_b32_e32 v194, v194, v210, vcc
	v_cndmask_b32_e32 v202, v202, v218, vcc
	s_cbranch_scc1 .LBB94_358
.LBB94_359:
	s_waitcnt lgkmcnt(0)
	v_cmp_eq_f64_e32 vcc, 0, v[192:193]
	v_cmp_eq_f64_e64 s[0:1], 0, v[194:195]
	s_and_b64 s[0:1], vcc, s[0:1]
	s_and_saveexec_b64 s[16:17], s[0:1]
	s_xor_b64 s[0:1], exec, s[16:17]
; %bb.360:
	v_cmp_ne_u32_e32 vcc, 0, v206
	s_nop 1
	v_cndmask_b32_e32 v206, 18, v206, vcc
; %bb.361:
	s_andn2_saveexec_b64 s[0:1], s[0:1]
	s_cbranch_execz .LBB94_367
; %bb.362:
	v_cmp_ngt_f64_e64 s[16:17], |v[192:193]|, |v[194:195]|
	s_and_saveexec_b64 s[18:19], s[16:17]
	s_xor_b64 s[16:17], exec, s[18:19]
	s_cbranch_execz .LBB94_364
; %bb.363:
	v_div_scale_f64 v[208:209], s[18:19], v[194:195], v[194:195], v[192:193]
	v_rcp_f64_e32 v[210:211], v[208:209]
	v_div_scale_f64 v[212:213], vcc, v[192:193], v[194:195], v[192:193]
	v_fma_f64 v[214:215], -v[208:209], v[210:211], 1.0
	v_fmac_f64_e32 v[210:211], v[210:211], v[214:215]
	v_fma_f64 v[214:215], -v[208:209], v[210:211], 1.0
	v_fmac_f64_e32 v[210:211], v[210:211], v[214:215]
	v_mul_f64 v[214:215], v[212:213], v[210:211]
	v_fma_f64 v[208:209], -v[208:209], v[214:215], v[212:213]
	v_div_fmas_f64 v[208:209], v[208:209], v[210:211], v[214:215]
	v_div_fixup_f64 v[208:209], v[208:209], v[194:195], v[192:193]
	v_fmac_f64_e32 v[194:195], v[192:193], v[208:209]
	v_div_scale_f64 v[192:193], s[18:19], v[194:195], v[194:195], 1.0
	v_rcp_f64_e32 v[210:211], v[192:193]
	s_nop 0
	v_fma_f64 v[212:213], -v[192:193], v[210:211], 1.0
	v_fmac_f64_e32 v[210:211], v[210:211], v[212:213]
	v_fma_f64 v[212:213], -v[192:193], v[210:211], 1.0
	v_fmac_f64_e32 v[210:211], v[210:211], v[212:213]
	v_div_scale_f64 v[212:213], vcc, 1.0, v[194:195], 1.0
	v_mul_f64 v[214:215], v[212:213], v[210:211]
	v_fma_f64 v[192:193], -v[192:193], v[214:215], v[212:213]
	s_nop 1
	v_div_fmas_f64 v[192:193], v[192:193], v[210:211], v[214:215]
	v_div_fixup_f64 v[194:195], v[192:193], v[194:195], 1.0
	v_mul_f64 v[192:193], v[208:209], v[194:195]
	v_xor_b32_e32 v195, 0x80000000, v195
.LBB94_364:
	s_andn2_saveexec_b64 s[16:17], s[16:17]
	s_cbranch_execz .LBB94_366
; %bb.365:
	v_div_scale_f64 v[208:209], s[18:19], v[192:193], v[192:193], v[194:195]
	v_rcp_f64_e32 v[210:211], v[208:209]
	v_div_scale_f64 v[212:213], vcc, v[194:195], v[192:193], v[194:195]
	v_fma_f64 v[214:215], -v[208:209], v[210:211], 1.0
	v_fmac_f64_e32 v[210:211], v[210:211], v[214:215]
	v_fma_f64 v[214:215], -v[208:209], v[210:211], 1.0
	v_fmac_f64_e32 v[210:211], v[210:211], v[214:215]
	v_mul_f64 v[214:215], v[212:213], v[210:211]
	v_fma_f64 v[208:209], -v[208:209], v[214:215], v[212:213]
	v_div_fmas_f64 v[208:209], v[208:209], v[210:211], v[214:215]
	v_div_fixup_f64 v[208:209], v[208:209], v[192:193], v[194:195]
	v_fmac_f64_e32 v[192:193], v[194:195], v[208:209]
	v_div_scale_f64 v[194:195], s[18:19], v[192:193], v[192:193], 1.0
	v_rcp_f64_e32 v[210:211], v[194:195]
	s_nop 0
	v_fma_f64 v[212:213], -v[194:195], v[210:211], 1.0
	v_fmac_f64_e32 v[210:211], v[210:211], v[212:213]
	v_fma_f64 v[212:213], -v[194:195], v[210:211], 1.0
	v_fmac_f64_e32 v[210:211], v[210:211], v[212:213]
	v_div_scale_f64 v[212:213], vcc, 1.0, v[192:193], 1.0
	v_mul_f64 v[214:215], v[212:213], v[210:211]
	v_fma_f64 v[194:195], -v[194:195], v[214:215], v[212:213]
	s_nop 1
	v_div_fmas_f64 v[194:195], v[194:195], v[210:211], v[214:215]
	v_div_fixup_f64 v[192:193], v[194:195], v[192:193], 1.0
	v_mul_f64 v[194:195], v[208:209], -v[192:193]
.LBB94_366:
	s_or_b64 exec, exec, s[16:17]
.LBB94_367:
	s_or_b64 exec, exec, s[0:1]
	v_cmp_ne_u32_e32 vcc, v205, v202
	s_and_saveexec_b64 s[0:1], vcc
	s_xor_b64 s[0:1], exec, s[0:1]
	s_cbranch_execz .LBB94_373
; %bb.368:
	v_cmp_eq_u32_e32 vcc, 17, v205
	s_and_saveexec_b64 s[16:17], vcc
	s_cbranch_execz .LBB94_372
; %bb.369:
	v_cmp_ne_u32_e32 vcc, 17, v202
	s_xor_b64 s[18:19], s[14:15], -1
	s_and_b64 s[22:23], s[18:19], vcc
	s_and_saveexec_b64 s[18:19], s[22:23]
	s_cbranch_execz .LBB94_371
; %bb.370:
	v_ashrrev_i32_e32 v203, 31, v202
	v_lshl_add_u64 v[208:209], v[202:203], 2, v[200:201]
	global_load_dword v203, v[208:209], off
	global_load_dword v205, v[200:201], off offset:68
	s_waitcnt vmcnt(1)
	global_store_dword v[200:201], v203, off offset:68
	s_waitcnt vmcnt(1)
	global_store_dword v[208:209], v205, off
.LBB94_371:
	s_or_b64 exec, exec, s[18:19]
	v_mov_b32_e32 v205, v202
	v_mov_b32_e32 v207, v202
.LBB94_372:
	s_or_b64 exec, exec, s[16:17]
.LBB94_373:
	s_andn2_saveexec_b64 s[0:1], s[0:1]
	s_cbranch_execz .LBB94_375
; %bb.374:
	v_mov_b32_e32 v205, 17
	s_waitcnt vmcnt(29)
	ds_write2_b64 v204, v[112:113], v[114:115] offset0:36 offset1:37
	s_waitcnt vmcnt(28)
	ds_write2_b64 v204, v[108:109], v[110:111] offset0:38 offset1:39
	;; [unrolled: 2-line block ×30, first 2 shown]
.LBB94_375:
	s_or_b64 exec, exec, s[0:1]
	v_cmp_lt_i32_e32 vcc, 17, v205
	s_waitcnt lgkmcnt(0)
	s_barrier
	s_and_saveexec_b64 s[0:1], vcc
	s_cbranch_execz .LBB94_377
; %bb.376:
	ds_read2_b64 v[208:211], v204 offset0:36 offset1:37
	v_mul_f64 v[202:203], v[194:195], v[118:119]
	v_mul_f64 v[118:119], v[192:193], v[118:119]
	v_fma_f64 v[202:203], v[192:193], v[116:117], -v[202:203]
	v_fmac_f64_e32 v[118:119], v[194:195], v[116:117]
	ds_read2_b64 v[192:195], v204 offset0:38 offset1:39
	s_waitcnt lgkmcnt(1)
	v_mul_f64 v[116:117], v[210:211], v[118:119]
	v_fma_f64 v[116:117], v[208:209], v[202:203], -v[116:117]
	v_mul_f64 v[208:209], v[208:209], v[118:119]
	v_fmac_f64_e32 v[208:209], v[210:211], v[202:203]
	s_waitcnt vmcnt(29)
	v_add_f64 v[112:113], v[112:113], -v[116:117]
	s_waitcnt lgkmcnt(0)
	v_mul_f64 v[116:117], v[194:195], v[118:119]
	v_add_f64 v[114:115], v[114:115], -v[208:209]
	v_fma_f64 v[116:117], v[192:193], v[202:203], -v[116:117]
	v_mul_f64 v[192:193], v[192:193], v[118:119]
	ds_read2_b64 v[208:211], v204 offset0:40 offset1:41
	v_fmac_f64_e32 v[192:193], v[194:195], v[202:203]
	s_waitcnt vmcnt(28)
	v_add_f64 v[110:111], v[110:111], -v[192:193]
	ds_read2_b64 v[192:195], v204 offset0:42 offset1:43
	v_add_f64 v[108:109], v[108:109], -v[116:117]
	s_waitcnt lgkmcnt(1)
	v_mul_f64 v[116:117], v[210:211], v[118:119]
	v_fma_f64 v[116:117], v[208:209], v[202:203], -v[116:117]
	v_mul_f64 v[208:209], v[208:209], v[118:119]
	v_fmac_f64_e32 v[208:209], v[210:211], v[202:203]
	s_waitcnt vmcnt(27)
	v_add_f64 v[104:105], v[104:105], -v[116:117]
	s_waitcnt lgkmcnt(0)
	v_mul_f64 v[116:117], v[194:195], v[118:119]
	v_add_f64 v[106:107], v[106:107], -v[208:209]
	v_fma_f64 v[116:117], v[192:193], v[202:203], -v[116:117]
	v_mul_f64 v[192:193], v[192:193], v[118:119]
	ds_read2_b64 v[208:211], v204 offset0:44 offset1:45
	v_fmac_f64_e32 v[192:193], v[194:195], v[202:203]
	s_waitcnt vmcnt(26)
	v_add_f64 v[102:103], v[102:103], -v[192:193]
	ds_read2_b64 v[192:195], v204 offset0:46 offset1:47
	v_add_f64 v[100:101], v[100:101], -v[116:117]
	;; [unrolled: 18-line block ×14, first 2 shown]
	s_waitcnt lgkmcnt(1)
	v_mul_f64 v[116:117], v[210:211], v[118:119]
	v_fma_f64 v[116:117], v[208:209], v[202:203], -v[116:117]
	s_waitcnt vmcnt(1)
	v_add_f64 v[0:1], v[0:1], -v[116:117]
	s_waitcnt lgkmcnt(0)
	v_mul_f64 v[116:117], v[194:195], v[118:119]
	v_mul_f64 v[208:209], v[208:209], v[118:119]
	v_fma_f64 v[116:117], v[192:193], v[202:203], -v[116:117]
	v_mul_f64 v[192:193], v[192:193], v[118:119]
	v_fmac_f64_e32 v[208:209], v[210:211], v[202:203]
	v_fmac_f64_e32 v[192:193], v[194:195], v[202:203]
	v_add_f64 v[2:3], v[2:3], -v[208:209]
	s_waitcnt vmcnt(0)
	v_add_f64 v[188:189], v[188:189], -v[116:117]
	v_add_f64 v[190:191], v[190:191], -v[192:193]
	v_mov_b64_e32 v[116:117], v[202:203]
.LBB94_377:
	s_or_b64 exec, exec, s[0:1]
	v_lshl_add_u32 v192, v205, 4, v204
	s_barrier
	s_waitcnt vmcnt(29)
	ds_write2_b64 v192, v[112:113], v[114:115] offset1:1
	s_waitcnt lgkmcnt(0)
	s_barrier
	ds_read2_b64 v[192:195], v204 offset0:36 offset1:37
	s_cmp_lt_i32 s20, 20
	v_mov_b32_e32 v202, 18
	s_cbranch_scc1 .LBB94_380
; %bb.378:
	v_add_u32_e32 v203, 0x130, v204
	s_mov_b32 s16, 19
	v_mov_b32_e32 v202, 18
.LBB94_379:                             ; =>This Inner Loop Header: Depth=1
	ds_read2_b64 v[208:211], v203 offset1:1
	s_waitcnt lgkmcnt(1)
	v_xor_b32_e32 v213, 0x80000000, v193
	v_xor_b32_e32 v215, 0x80000000, v195
	v_cmp_gt_f64_e32 vcc, 0, v[194:195]
	v_cmp_gt_f64_e64 s[0:1], 0, v[192:193]
	v_mov_b32_e32 v212, v192
	v_mov_b32_e32 v214, v194
	v_cndmask_b32_e64 v213, v193, v213, s[0:1]
	v_cndmask_b32_e32 v215, v195, v215, vcc
	v_add_f64 v[212:213], v[212:213], v[214:215]
	s_waitcnt lgkmcnt(0)
	v_xor_b32_e32 v215, 0x80000000, v209
	v_xor_b32_e32 v217, 0x80000000, v211
	v_cmp_gt_f64_e32 vcc, 0, v[210:211]
	v_cmp_gt_f64_e64 s[0:1], 0, v[208:209]
	v_mov_b32_e32 v214, v208
	v_mov_b32_e32 v216, v210
	v_cndmask_b32_e64 v215, v209, v215, s[0:1]
	v_cndmask_b32_e32 v217, v211, v217, vcc
	v_add_f64 v[214:215], v[214:215], v[216:217]
	v_mov_b32_e32 v218, s16
	s_add_i32 s16, s16, 1
	v_cmp_lt_f64_e32 vcc, v[212:213], v[214:215]
	v_add_u32_e32 v203, 16, v203
	s_cmp_lg_u32 s20, s16
	v_cndmask_b32_e32 v193, v193, v209, vcc
	v_cndmask_b32_e32 v192, v192, v208, vcc
	;; [unrolled: 1-line block ×5, first 2 shown]
	s_cbranch_scc1 .LBB94_379
.LBB94_380:
	s_waitcnt lgkmcnt(0)
	v_cmp_eq_f64_e32 vcc, 0, v[192:193]
	v_cmp_eq_f64_e64 s[0:1], 0, v[194:195]
	s_and_b64 s[0:1], vcc, s[0:1]
	s_and_saveexec_b64 s[16:17], s[0:1]
	s_xor_b64 s[0:1], exec, s[16:17]
; %bb.381:
	v_cmp_ne_u32_e32 vcc, 0, v206
	s_nop 1
	v_cndmask_b32_e32 v206, 19, v206, vcc
; %bb.382:
	s_andn2_saveexec_b64 s[0:1], s[0:1]
	s_cbranch_execz .LBB94_388
; %bb.383:
	v_cmp_ngt_f64_e64 s[16:17], |v[192:193]|, |v[194:195]|
	s_and_saveexec_b64 s[18:19], s[16:17]
	s_xor_b64 s[16:17], exec, s[18:19]
	s_cbranch_execz .LBB94_385
; %bb.384:
	v_div_scale_f64 v[208:209], s[18:19], v[194:195], v[194:195], v[192:193]
	v_rcp_f64_e32 v[210:211], v[208:209]
	v_div_scale_f64 v[212:213], vcc, v[192:193], v[194:195], v[192:193]
	v_fma_f64 v[214:215], -v[208:209], v[210:211], 1.0
	v_fmac_f64_e32 v[210:211], v[210:211], v[214:215]
	v_fma_f64 v[214:215], -v[208:209], v[210:211], 1.0
	v_fmac_f64_e32 v[210:211], v[210:211], v[214:215]
	v_mul_f64 v[214:215], v[212:213], v[210:211]
	v_fma_f64 v[208:209], -v[208:209], v[214:215], v[212:213]
	v_div_fmas_f64 v[208:209], v[208:209], v[210:211], v[214:215]
	v_div_fixup_f64 v[208:209], v[208:209], v[194:195], v[192:193]
	v_fmac_f64_e32 v[194:195], v[192:193], v[208:209]
	v_div_scale_f64 v[192:193], s[18:19], v[194:195], v[194:195], 1.0
	v_rcp_f64_e32 v[210:211], v[192:193]
	s_nop 0
	v_fma_f64 v[212:213], -v[192:193], v[210:211], 1.0
	v_fmac_f64_e32 v[210:211], v[210:211], v[212:213]
	v_fma_f64 v[212:213], -v[192:193], v[210:211], 1.0
	v_fmac_f64_e32 v[210:211], v[210:211], v[212:213]
	v_div_scale_f64 v[212:213], vcc, 1.0, v[194:195], 1.0
	v_mul_f64 v[214:215], v[212:213], v[210:211]
	v_fma_f64 v[192:193], -v[192:193], v[214:215], v[212:213]
	s_nop 1
	v_div_fmas_f64 v[192:193], v[192:193], v[210:211], v[214:215]
	v_div_fixup_f64 v[194:195], v[192:193], v[194:195], 1.0
	v_mul_f64 v[192:193], v[208:209], v[194:195]
	v_xor_b32_e32 v195, 0x80000000, v195
.LBB94_385:
	s_andn2_saveexec_b64 s[16:17], s[16:17]
	s_cbranch_execz .LBB94_387
; %bb.386:
	v_div_scale_f64 v[208:209], s[18:19], v[192:193], v[192:193], v[194:195]
	v_rcp_f64_e32 v[210:211], v[208:209]
	v_div_scale_f64 v[212:213], vcc, v[194:195], v[192:193], v[194:195]
	v_fma_f64 v[214:215], -v[208:209], v[210:211], 1.0
	v_fmac_f64_e32 v[210:211], v[210:211], v[214:215]
	v_fma_f64 v[214:215], -v[208:209], v[210:211], 1.0
	v_fmac_f64_e32 v[210:211], v[210:211], v[214:215]
	v_mul_f64 v[214:215], v[212:213], v[210:211]
	v_fma_f64 v[208:209], -v[208:209], v[214:215], v[212:213]
	v_div_fmas_f64 v[208:209], v[208:209], v[210:211], v[214:215]
	v_div_fixup_f64 v[208:209], v[208:209], v[192:193], v[194:195]
	v_fmac_f64_e32 v[192:193], v[194:195], v[208:209]
	v_div_scale_f64 v[194:195], s[18:19], v[192:193], v[192:193], 1.0
	v_rcp_f64_e32 v[210:211], v[194:195]
	s_nop 0
	v_fma_f64 v[212:213], -v[194:195], v[210:211], 1.0
	v_fmac_f64_e32 v[210:211], v[210:211], v[212:213]
	v_fma_f64 v[212:213], -v[194:195], v[210:211], 1.0
	v_fmac_f64_e32 v[210:211], v[210:211], v[212:213]
	v_div_scale_f64 v[212:213], vcc, 1.0, v[192:193], 1.0
	v_mul_f64 v[214:215], v[212:213], v[210:211]
	v_fma_f64 v[194:195], -v[194:195], v[214:215], v[212:213]
	s_nop 1
	v_div_fmas_f64 v[194:195], v[194:195], v[210:211], v[214:215]
	v_div_fixup_f64 v[192:193], v[194:195], v[192:193], 1.0
	v_mul_f64 v[194:195], v[208:209], -v[192:193]
.LBB94_387:
	s_or_b64 exec, exec, s[16:17]
.LBB94_388:
	s_or_b64 exec, exec, s[0:1]
	v_cmp_ne_u32_e32 vcc, v205, v202
	s_and_saveexec_b64 s[0:1], vcc
	s_xor_b64 s[0:1], exec, s[0:1]
	s_cbranch_execz .LBB94_394
; %bb.389:
	v_cmp_eq_u32_e32 vcc, 18, v205
	s_and_saveexec_b64 s[16:17], vcc
	s_cbranch_execz .LBB94_393
; %bb.390:
	v_cmp_ne_u32_e32 vcc, 18, v202
	s_xor_b64 s[18:19], s[14:15], -1
	s_and_b64 s[22:23], s[18:19], vcc
	s_and_saveexec_b64 s[18:19], s[22:23]
	s_cbranch_execz .LBB94_392
; %bb.391:
	v_ashrrev_i32_e32 v203, 31, v202
	v_lshl_add_u64 v[208:209], v[202:203], 2, v[200:201]
	global_load_dword v203, v[208:209], off
	global_load_dword v205, v[200:201], off offset:72
	s_waitcnt vmcnt(1)
	global_store_dword v[200:201], v203, off offset:72
	s_waitcnt vmcnt(1)
	global_store_dword v[208:209], v205, off
.LBB94_392:
	s_or_b64 exec, exec, s[18:19]
	v_mov_b32_e32 v205, v202
	v_mov_b32_e32 v207, v202
.LBB94_393:
	s_or_b64 exec, exec, s[16:17]
.LBB94_394:
	s_andn2_saveexec_b64 s[0:1], s[0:1]
	s_cbranch_execz .LBB94_396
; %bb.395:
	v_mov_b32_e32 v205, 18
	s_waitcnt vmcnt(28)
	ds_write2_b64 v204, v[108:109], v[110:111] offset0:38 offset1:39
	s_waitcnt vmcnt(27)
	ds_write2_b64 v204, v[104:105], v[106:107] offset0:40 offset1:41
	;; [unrolled: 2-line block ×29, first 2 shown]
.LBB94_396:
	s_or_b64 exec, exec, s[0:1]
	v_cmp_lt_i32_e32 vcc, 18, v205
	s_waitcnt lgkmcnt(0)
	s_barrier
	s_and_saveexec_b64 s[0:1], vcc
	s_cbranch_execz .LBB94_398
; %bb.397:
	ds_read2_b64 v[208:211], v204 offset0:38 offset1:39
	v_mul_f64 v[202:203], v[194:195], v[114:115]
	v_mul_f64 v[114:115], v[192:193], v[114:115]
	v_fmac_f64_e32 v[114:115], v[194:195], v[112:113]
	v_fma_f64 v[202:203], v[192:193], v[112:113], -v[202:203]
	ds_read2_b64 v[192:195], v204 offset0:40 offset1:41
	s_waitcnt lgkmcnt(1)
	v_mul_f64 v[112:113], v[210:211], v[114:115]
	v_fma_f64 v[112:113], v[208:209], v[202:203], -v[112:113]
	v_mul_f64 v[208:209], v[208:209], v[114:115]
	v_fmac_f64_e32 v[208:209], v[210:211], v[202:203]
	s_waitcnt vmcnt(28)
	v_add_f64 v[110:111], v[110:111], -v[208:209]
	ds_read2_b64 v[208:211], v204 offset0:42 offset1:43
	v_add_f64 v[108:109], v[108:109], -v[112:113]
	s_waitcnt lgkmcnt(1)
	v_mul_f64 v[112:113], v[194:195], v[114:115]
	v_fma_f64 v[112:113], v[192:193], v[202:203], -v[112:113]
	v_mul_f64 v[192:193], v[192:193], v[114:115]
	v_fmac_f64_e32 v[192:193], v[194:195], v[202:203]
	s_waitcnt vmcnt(27)
	v_add_f64 v[104:105], v[104:105], -v[112:113]
	v_add_f64 v[106:107], v[106:107], -v[192:193]
	ds_read2_b64 v[192:195], v204 offset0:44 offset1:45
	s_waitcnt lgkmcnt(1)
	v_mul_f64 v[112:113], v[210:211], v[114:115]
	v_fma_f64 v[112:113], v[208:209], v[202:203], -v[112:113]
	v_mul_f64 v[208:209], v[208:209], v[114:115]
	v_fmac_f64_e32 v[208:209], v[210:211], v[202:203]
	s_waitcnt vmcnt(26)
	v_add_f64 v[102:103], v[102:103], -v[208:209]
	ds_read2_b64 v[208:211], v204 offset0:46 offset1:47
	v_add_f64 v[100:101], v[100:101], -v[112:113]
	s_waitcnt lgkmcnt(1)
	v_mul_f64 v[112:113], v[194:195], v[114:115]
	v_fma_f64 v[112:113], v[192:193], v[202:203], -v[112:113]
	v_mul_f64 v[192:193], v[192:193], v[114:115]
	v_fmac_f64_e32 v[192:193], v[194:195], v[202:203]
	s_waitcnt vmcnt(25)
	v_add_f64 v[96:97], v[96:97], -v[112:113]
	v_add_f64 v[98:99], v[98:99], -v[192:193]
	;; [unrolled: 18-line block ×14, first 2 shown]
	s_waitcnt lgkmcnt(0)
	v_mul_f64 v[112:113], v[210:211], v[114:115]
	v_mul_f64 v[192:193], v[208:209], v[114:115]
	v_fma_f64 v[112:113], v[208:209], v[202:203], -v[112:113]
	v_fmac_f64_e32 v[192:193], v[210:211], v[202:203]
	s_waitcnt vmcnt(0)
	v_add_f64 v[188:189], v[188:189], -v[112:113]
	v_add_f64 v[190:191], v[190:191], -v[192:193]
	v_mov_b64_e32 v[112:113], v[202:203]
.LBB94_398:
	s_or_b64 exec, exec, s[0:1]
	v_lshl_add_u32 v192, v205, 4, v204
	s_barrier
	s_waitcnt vmcnt(28)
	ds_write2_b64 v192, v[108:109], v[110:111] offset1:1
	s_waitcnt lgkmcnt(0)
	s_barrier
	ds_read2_b64 v[192:195], v204 offset0:38 offset1:39
	s_cmp_lt_i32 s20, 21
	v_mov_b32_e32 v202, 19
	s_cbranch_scc1 .LBB94_401
; %bb.399:
	v_add_u32_e32 v203, 0x140, v204
	s_mov_b32 s16, 20
	v_mov_b32_e32 v202, 19
.LBB94_400:                             ; =>This Inner Loop Header: Depth=1
	ds_read2_b64 v[208:211], v203 offset1:1
	s_waitcnt lgkmcnt(1)
	v_xor_b32_e32 v213, 0x80000000, v193
	v_xor_b32_e32 v215, 0x80000000, v195
	v_cmp_gt_f64_e32 vcc, 0, v[194:195]
	v_cmp_gt_f64_e64 s[0:1], 0, v[192:193]
	v_mov_b32_e32 v212, v192
	v_mov_b32_e32 v214, v194
	v_cndmask_b32_e64 v213, v193, v213, s[0:1]
	v_cndmask_b32_e32 v215, v195, v215, vcc
	v_add_f64 v[212:213], v[212:213], v[214:215]
	s_waitcnt lgkmcnt(0)
	v_xor_b32_e32 v215, 0x80000000, v209
	v_xor_b32_e32 v217, 0x80000000, v211
	v_cmp_gt_f64_e32 vcc, 0, v[210:211]
	v_cmp_gt_f64_e64 s[0:1], 0, v[208:209]
	v_mov_b32_e32 v214, v208
	v_mov_b32_e32 v216, v210
	v_cndmask_b32_e64 v215, v209, v215, s[0:1]
	v_cndmask_b32_e32 v217, v211, v217, vcc
	v_add_f64 v[214:215], v[214:215], v[216:217]
	v_mov_b32_e32 v218, s16
	s_add_i32 s16, s16, 1
	v_cmp_lt_f64_e32 vcc, v[212:213], v[214:215]
	v_add_u32_e32 v203, 16, v203
	s_cmp_lg_u32 s20, s16
	v_cndmask_b32_e32 v193, v193, v209, vcc
	v_cndmask_b32_e32 v192, v192, v208, vcc
	v_cndmask_b32_e32 v195, v195, v211, vcc
	v_cndmask_b32_e32 v194, v194, v210, vcc
	v_cndmask_b32_e32 v202, v202, v218, vcc
	s_cbranch_scc1 .LBB94_400
.LBB94_401:
	s_waitcnt lgkmcnt(0)
	v_cmp_eq_f64_e32 vcc, 0, v[192:193]
	v_cmp_eq_f64_e64 s[0:1], 0, v[194:195]
	s_and_b64 s[0:1], vcc, s[0:1]
	s_and_saveexec_b64 s[16:17], s[0:1]
	s_xor_b64 s[0:1], exec, s[16:17]
; %bb.402:
	v_cmp_ne_u32_e32 vcc, 0, v206
	s_nop 1
	v_cndmask_b32_e32 v206, 20, v206, vcc
; %bb.403:
	s_andn2_saveexec_b64 s[0:1], s[0:1]
	s_cbranch_execz .LBB94_409
; %bb.404:
	v_cmp_ngt_f64_e64 s[16:17], |v[192:193]|, |v[194:195]|
	s_and_saveexec_b64 s[18:19], s[16:17]
	s_xor_b64 s[16:17], exec, s[18:19]
	s_cbranch_execz .LBB94_406
; %bb.405:
	v_div_scale_f64 v[208:209], s[18:19], v[194:195], v[194:195], v[192:193]
	v_rcp_f64_e32 v[210:211], v[208:209]
	v_div_scale_f64 v[212:213], vcc, v[192:193], v[194:195], v[192:193]
	v_fma_f64 v[214:215], -v[208:209], v[210:211], 1.0
	v_fmac_f64_e32 v[210:211], v[210:211], v[214:215]
	v_fma_f64 v[214:215], -v[208:209], v[210:211], 1.0
	v_fmac_f64_e32 v[210:211], v[210:211], v[214:215]
	v_mul_f64 v[214:215], v[212:213], v[210:211]
	v_fma_f64 v[208:209], -v[208:209], v[214:215], v[212:213]
	v_div_fmas_f64 v[208:209], v[208:209], v[210:211], v[214:215]
	v_div_fixup_f64 v[208:209], v[208:209], v[194:195], v[192:193]
	v_fmac_f64_e32 v[194:195], v[192:193], v[208:209]
	v_div_scale_f64 v[192:193], s[18:19], v[194:195], v[194:195], 1.0
	v_rcp_f64_e32 v[210:211], v[192:193]
	s_nop 0
	v_fma_f64 v[212:213], -v[192:193], v[210:211], 1.0
	v_fmac_f64_e32 v[210:211], v[210:211], v[212:213]
	v_fma_f64 v[212:213], -v[192:193], v[210:211], 1.0
	v_fmac_f64_e32 v[210:211], v[210:211], v[212:213]
	v_div_scale_f64 v[212:213], vcc, 1.0, v[194:195], 1.0
	v_mul_f64 v[214:215], v[212:213], v[210:211]
	v_fma_f64 v[192:193], -v[192:193], v[214:215], v[212:213]
	s_nop 1
	v_div_fmas_f64 v[192:193], v[192:193], v[210:211], v[214:215]
	v_div_fixup_f64 v[194:195], v[192:193], v[194:195], 1.0
	v_mul_f64 v[192:193], v[208:209], v[194:195]
	v_xor_b32_e32 v195, 0x80000000, v195
.LBB94_406:
	s_andn2_saveexec_b64 s[16:17], s[16:17]
	s_cbranch_execz .LBB94_408
; %bb.407:
	v_div_scale_f64 v[208:209], s[18:19], v[192:193], v[192:193], v[194:195]
	v_rcp_f64_e32 v[210:211], v[208:209]
	v_div_scale_f64 v[212:213], vcc, v[194:195], v[192:193], v[194:195]
	v_fma_f64 v[214:215], -v[208:209], v[210:211], 1.0
	v_fmac_f64_e32 v[210:211], v[210:211], v[214:215]
	v_fma_f64 v[214:215], -v[208:209], v[210:211], 1.0
	v_fmac_f64_e32 v[210:211], v[210:211], v[214:215]
	v_mul_f64 v[214:215], v[212:213], v[210:211]
	v_fma_f64 v[208:209], -v[208:209], v[214:215], v[212:213]
	v_div_fmas_f64 v[208:209], v[208:209], v[210:211], v[214:215]
	v_div_fixup_f64 v[208:209], v[208:209], v[192:193], v[194:195]
	v_fmac_f64_e32 v[192:193], v[194:195], v[208:209]
	v_div_scale_f64 v[194:195], s[18:19], v[192:193], v[192:193], 1.0
	v_rcp_f64_e32 v[210:211], v[194:195]
	s_nop 0
	v_fma_f64 v[212:213], -v[194:195], v[210:211], 1.0
	v_fmac_f64_e32 v[210:211], v[210:211], v[212:213]
	v_fma_f64 v[212:213], -v[194:195], v[210:211], 1.0
	v_fmac_f64_e32 v[210:211], v[210:211], v[212:213]
	v_div_scale_f64 v[212:213], vcc, 1.0, v[192:193], 1.0
	v_mul_f64 v[214:215], v[212:213], v[210:211]
	v_fma_f64 v[194:195], -v[194:195], v[214:215], v[212:213]
	s_nop 1
	v_div_fmas_f64 v[194:195], v[194:195], v[210:211], v[214:215]
	v_div_fixup_f64 v[192:193], v[194:195], v[192:193], 1.0
	v_mul_f64 v[194:195], v[208:209], -v[192:193]
.LBB94_408:
	s_or_b64 exec, exec, s[16:17]
.LBB94_409:
	s_or_b64 exec, exec, s[0:1]
	v_cmp_ne_u32_e32 vcc, v205, v202
	s_and_saveexec_b64 s[0:1], vcc
	s_xor_b64 s[0:1], exec, s[0:1]
	s_cbranch_execz .LBB94_415
; %bb.410:
	v_cmp_eq_u32_e32 vcc, 19, v205
	s_and_saveexec_b64 s[16:17], vcc
	s_cbranch_execz .LBB94_414
; %bb.411:
	v_cmp_ne_u32_e32 vcc, 19, v202
	s_xor_b64 s[18:19], s[14:15], -1
	s_and_b64 s[22:23], s[18:19], vcc
	s_and_saveexec_b64 s[18:19], s[22:23]
	s_cbranch_execz .LBB94_413
; %bb.412:
	v_ashrrev_i32_e32 v203, 31, v202
	v_lshl_add_u64 v[208:209], v[202:203], 2, v[200:201]
	global_load_dword v203, v[208:209], off
	global_load_dword v205, v[200:201], off offset:76
	s_waitcnt vmcnt(1)
	global_store_dword v[200:201], v203, off offset:76
	s_waitcnt vmcnt(1)
	global_store_dword v[208:209], v205, off
.LBB94_413:
	s_or_b64 exec, exec, s[18:19]
	v_mov_b32_e32 v205, v202
	v_mov_b32_e32 v207, v202
.LBB94_414:
	s_or_b64 exec, exec, s[16:17]
.LBB94_415:
	s_andn2_saveexec_b64 s[0:1], s[0:1]
	s_cbranch_execz .LBB94_417
; %bb.416:
	v_mov_b32_e32 v205, 19
	s_waitcnt vmcnt(27)
	ds_write2_b64 v204, v[104:105], v[106:107] offset0:40 offset1:41
	s_waitcnt vmcnt(26)
	ds_write2_b64 v204, v[100:101], v[102:103] offset0:42 offset1:43
	;; [unrolled: 2-line block ×28, first 2 shown]
.LBB94_417:
	s_or_b64 exec, exec, s[0:1]
	v_cmp_lt_i32_e32 vcc, 19, v205
	s_waitcnt lgkmcnt(0)
	s_barrier
	s_and_saveexec_b64 s[0:1], vcc
	s_cbranch_execz .LBB94_419
; %bb.418:
	ds_read2_b64 v[208:211], v204 offset0:40 offset1:41
	v_mul_f64 v[202:203], v[194:195], v[110:111]
	v_mul_f64 v[110:111], v[192:193], v[110:111]
	v_fma_f64 v[202:203], v[192:193], v[108:109], -v[202:203]
	v_fmac_f64_e32 v[110:111], v[194:195], v[108:109]
	ds_read2_b64 v[192:195], v204 offset0:42 offset1:43
	s_waitcnt lgkmcnt(1)
	v_mul_f64 v[108:109], v[210:211], v[110:111]
	v_fma_f64 v[108:109], v[208:209], v[202:203], -v[108:109]
	v_mul_f64 v[208:209], v[208:209], v[110:111]
	v_fmac_f64_e32 v[208:209], v[210:211], v[202:203]
	s_waitcnt vmcnt(27)
	v_add_f64 v[104:105], v[104:105], -v[108:109]
	s_waitcnt lgkmcnt(0)
	v_mul_f64 v[108:109], v[194:195], v[110:111]
	v_add_f64 v[106:107], v[106:107], -v[208:209]
	v_fma_f64 v[108:109], v[192:193], v[202:203], -v[108:109]
	v_mul_f64 v[192:193], v[192:193], v[110:111]
	ds_read2_b64 v[208:211], v204 offset0:44 offset1:45
	v_fmac_f64_e32 v[192:193], v[194:195], v[202:203]
	s_waitcnt vmcnt(26)
	v_add_f64 v[102:103], v[102:103], -v[192:193]
	ds_read2_b64 v[192:195], v204 offset0:46 offset1:47
	v_add_f64 v[100:101], v[100:101], -v[108:109]
	s_waitcnt lgkmcnt(1)
	v_mul_f64 v[108:109], v[210:211], v[110:111]
	v_fma_f64 v[108:109], v[208:209], v[202:203], -v[108:109]
	v_mul_f64 v[208:209], v[208:209], v[110:111]
	v_fmac_f64_e32 v[208:209], v[210:211], v[202:203]
	s_waitcnt vmcnt(25)
	v_add_f64 v[96:97], v[96:97], -v[108:109]
	s_waitcnt lgkmcnt(0)
	v_mul_f64 v[108:109], v[194:195], v[110:111]
	v_add_f64 v[98:99], v[98:99], -v[208:209]
	v_fma_f64 v[108:109], v[192:193], v[202:203], -v[108:109]
	v_mul_f64 v[192:193], v[192:193], v[110:111]
	ds_read2_b64 v[208:211], v204 offset0:48 offset1:49
	v_fmac_f64_e32 v[192:193], v[194:195], v[202:203]
	s_waitcnt vmcnt(24)
	v_add_f64 v[94:95], v[94:95], -v[192:193]
	ds_read2_b64 v[192:195], v204 offset0:50 offset1:51
	v_add_f64 v[92:93], v[92:93], -v[108:109]
	;; [unrolled: 18-line block ×13, first 2 shown]
	s_waitcnt lgkmcnt(1)
	v_mul_f64 v[108:109], v[210:211], v[110:111]
	v_fma_f64 v[108:109], v[208:209], v[202:203], -v[108:109]
	s_waitcnt vmcnt(1)
	v_add_f64 v[0:1], v[0:1], -v[108:109]
	s_waitcnt lgkmcnt(0)
	v_mul_f64 v[108:109], v[194:195], v[110:111]
	v_mul_f64 v[208:209], v[208:209], v[110:111]
	v_fma_f64 v[108:109], v[192:193], v[202:203], -v[108:109]
	v_mul_f64 v[192:193], v[192:193], v[110:111]
	v_fmac_f64_e32 v[208:209], v[210:211], v[202:203]
	v_fmac_f64_e32 v[192:193], v[194:195], v[202:203]
	v_add_f64 v[2:3], v[2:3], -v[208:209]
	s_waitcnt vmcnt(0)
	v_add_f64 v[188:189], v[188:189], -v[108:109]
	v_add_f64 v[190:191], v[190:191], -v[192:193]
	v_mov_b64_e32 v[108:109], v[202:203]
.LBB94_419:
	s_or_b64 exec, exec, s[0:1]
	v_lshl_add_u32 v192, v205, 4, v204
	s_barrier
	s_waitcnt vmcnt(27)
	ds_write2_b64 v192, v[104:105], v[106:107] offset1:1
	s_waitcnt lgkmcnt(0)
	s_barrier
	ds_read2_b64 v[192:195], v204 offset0:40 offset1:41
	s_cmp_lt_i32 s20, 22
	v_mov_b32_e32 v202, 20
	s_cbranch_scc1 .LBB94_422
; %bb.420:
	v_add_u32_e32 v203, 0x150, v204
	s_mov_b32 s16, 21
	v_mov_b32_e32 v202, 20
.LBB94_421:                             ; =>This Inner Loop Header: Depth=1
	ds_read2_b64 v[208:211], v203 offset1:1
	s_waitcnt lgkmcnt(1)
	v_xor_b32_e32 v213, 0x80000000, v193
	v_xor_b32_e32 v215, 0x80000000, v195
	v_cmp_gt_f64_e32 vcc, 0, v[194:195]
	v_cmp_gt_f64_e64 s[0:1], 0, v[192:193]
	v_mov_b32_e32 v212, v192
	v_mov_b32_e32 v214, v194
	v_cndmask_b32_e64 v213, v193, v213, s[0:1]
	v_cndmask_b32_e32 v215, v195, v215, vcc
	v_add_f64 v[212:213], v[212:213], v[214:215]
	s_waitcnt lgkmcnt(0)
	v_xor_b32_e32 v215, 0x80000000, v209
	v_xor_b32_e32 v217, 0x80000000, v211
	v_cmp_gt_f64_e32 vcc, 0, v[210:211]
	v_cmp_gt_f64_e64 s[0:1], 0, v[208:209]
	v_mov_b32_e32 v214, v208
	v_mov_b32_e32 v216, v210
	v_cndmask_b32_e64 v215, v209, v215, s[0:1]
	v_cndmask_b32_e32 v217, v211, v217, vcc
	v_add_f64 v[214:215], v[214:215], v[216:217]
	v_mov_b32_e32 v218, s16
	s_add_i32 s16, s16, 1
	v_cmp_lt_f64_e32 vcc, v[212:213], v[214:215]
	v_add_u32_e32 v203, 16, v203
	s_cmp_lg_u32 s20, s16
	v_cndmask_b32_e32 v193, v193, v209, vcc
	v_cndmask_b32_e32 v192, v192, v208, vcc
	;; [unrolled: 1-line block ×5, first 2 shown]
	s_cbranch_scc1 .LBB94_421
.LBB94_422:
	s_waitcnt lgkmcnt(0)
	v_cmp_eq_f64_e32 vcc, 0, v[192:193]
	v_cmp_eq_f64_e64 s[0:1], 0, v[194:195]
	s_and_b64 s[0:1], vcc, s[0:1]
	s_and_saveexec_b64 s[16:17], s[0:1]
	s_xor_b64 s[0:1], exec, s[16:17]
; %bb.423:
	v_cmp_ne_u32_e32 vcc, 0, v206
	s_nop 1
	v_cndmask_b32_e32 v206, 21, v206, vcc
; %bb.424:
	s_andn2_saveexec_b64 s[0:1], s[0:1]
	s_cbranch_execz .LBB94_430
; %bb.425:
	v_cmp_ngt_f64_e64 s[16:17], |v[192:193]|, |v[194:195]|
	s_and_saveexec_b64 s[18:19], s[16:17]
	s_xor_b64 s[16:17], exec, s[18:19]
	s_cbranch_execz .LBB94_427
; %bb.426:
	v_div_scale_f64 v[208:209], s[18:19], v[194:195], v[194:195], v[192:193]
	v_rcp_f64_e32 v[210:211], v[208:209]
	v_div_scale_f64 v[212:213], vcc, v[192:193], v[194:195], v[192:193]
	v_fma_f64 v[214:215], -v[208:209], v[210:211], 1.0
	v_fmac_f64_e32 v[210:211], v[210:211], v[214:215]
	v_fma_f64 v[214:215], -v[208:209], v[210:211], 1.0
	v_fmac_f64_e32 v[210:211], v[210:211], v[214:215]
	v_mul_f64 v[214:215], v[212:213], v[210:211]
	v_fma_f64 v[208:209], -v[208:209], v[214:215], v[212:213]
	v_div_fmas_f64 v[208:209], v[208:209], v[210:211], v[214:215]
	v_div_fixup_f64 v[208:209], v[208:209], v[194:195], v[192:193]
	v_fmac_f64_e32 v[194:195], v[192:193], v[208:209]
	v_div_scale_f64 v[192:193], s[18:19], v[194:195], v[194:195], 1.0
	v_rcp_f64_e32 v[210:211], v[192:193]
	s_nop 0
	v_fma_f64 v[212:213], -v[192:193], v[210:211], 1.0
	v_fmac_f64_e32 v[210:211], v[210:211], v[212:213]
	v_fma_f64 v[212:213], -v[192:193], v[210:211], 1.0
	v_fmac_f64_e32 v[210:211], v[210:211], v[212:213]
	v_div_scale_f64 v[212:213], vcc, 1.0, v[194:195], 1.0
	v_mul_f64 v[214:215], v[212:213], v[210:211]
	v_fma_f64 v[192:193], -v[192:193], v[214:215], v[212:213]
	s_nop 1
	v_div_fmas_f64 v[192:193], v[192:193], v[210:211], v[214:215]
	v_div_fixup_f64 v[194:195], v[192:193], v[194:195], 1.0
	v_mul_f64 v[192:193], v[208:209], v[194:195]
	v_xor_b32_e32 v195, 0x80000000, v195
.LBB94_427:
	s_andn2_saveexec_b64 s[16:17], s[16:17]
	s_cbranch_execz .LBB94_429
; %bb.428:
	v_div_scale_f64 v[208:209], s[18:19], v[192:193], v[192:193], v[194:195]
	v_rcp_f64_e32 v[210:211], v[208:209]
	v_div_scale_f64 v[212:213], vcc, v[194:195], v[192:193], v[194:195]
	v_fma_f64 v[214:215], -v[208:209], v[210:211], 1.0
	v_fmac_f64_e32 v[210:211], v[210:211], v[214:215]
	v_fma_f64 v[214:215], -v[208:209], v[210:211], 1.0
	v_fmac_f64_e32 v[210:211], v[210:211], v[214:215]
	v_mul_f64 v[214:215], v[212:213], v[210:211]
	v_fma_f64 v[208:209], -v[208:209], v[214:215], v[212:213]
	v_div_fmas_f64 v[208:209], v[208:209], v[210:211], v[214:215]
	v_div_fixup_f64 v[208:209], v[208:209], v[192:193], v[194:195]
	v_fmac_f64_e32 v[192:193], v[194:195], v[208:209]
	v_div_scale_f64 v[194:195], s[18:19], v[192:193], v[192:193], 1.0
	v_rcp_f64_e32 v[210:211], v[194:195]
	s_nop 0
	v_fma_f64 v[212:213], -v[194:195], v[210:211], 1.0
	v_fmac_f64_e32 v[210:211], v[210:211], v[212:213]
	v_fma_f64 v[212:213], -v[194:195], v[210:211], 1.0
	v_fmac_f64_e32 v[210:211], v[210:211], v[212:213]
	v_div_scale_f64 v[212:213], vcc, 1.0, v[192:193], 1.0
	v_mul_f64 v[214:215], v[212:213], v[210:211]
	v_fma_f64 v[194:195], -v[194:195], v[214:215], v[212:213]
	s_nop 1
	v_div_fmas_f64 v[194:195], v[194:195], v[210:211], v[214:215]
	v_div_fixup_f64 v[192:193], v[194:195], v[192:193], 1.0
	v_mul_f64 v[194:195], v[208:209], -v[192:193]
.LBB94_429:
	s_or_b64 exec, exec, s[16:17]
.LBB94_430:
	s_or_b64 exec, exec, s[0:1]
	v_cmp_ne_u32_e32 vcc, v205, v202
	s_and_saveexec_b64 s[0:1], vcc
	s_xor_b64 s[0:1], exec, s[0:1]
	s_cbranch_execz .LBB94_436
; %bb.431:
	v_cmp_eq_u32_e32 vcc, 20, v205
	s_and_saveexec_b64 s[16:17], vcc
	s_cbranch_execz .LBB94_435
; %bb.432:
	v_cmp_ne_u32_e32 vcc, 20, v202
	s_xor_b64 s[18:19], s[14:15], -1
	s_and_b64 s[22:23], s[18:19], vcc
	s_and_saveexec_b64 s[18:19], s[22:23]
	s_cbranch_execz .LBB94_434
; %bb.433:
	v_ashrrev_i32_e32 v203, 31, v202
	v_lshl_add_u64 v[208:209], v[202:203], 2, v[200:201]
	global_load_dword v203, v[208:209], off
	global_load_dword v205, v[200:201], off offset:80
	s_waitcnt vmcnt(1)
	global_store_dword v[200:201], v203, off offset:80
	s_waitcnt vmcnt(1)
	global_store_dword v[208:209], v205, off
.LBB94_434:
	s_or_b64 exec, exec, s[18:19]
	v_mov_b32_e32 v205, v202
	v_mov_b32_e32 v207, v202
.LBB94_435:
	s_or_b64 exec, exec, s[16:17]
.LBB94_436:
	s_andn2_saveexec_b64 s[0:1], s[0:1]
	s_cbranch_execz .LBB94_438
; %bb.437:
	v_mov_b32_e32 v205, 20
	s_waitcnt vmcnt(26)
	ds_write2_b64 v204, v[100:101], v[102:103] offset0:42 offset1:43
	s_waitcnt vmcnt(25)
	ds_write2_b64 v204, v[96:97], v[98:99] offset0:44 offset1:45
	;; [unrolled: 2-line block ×27, first 2 shown]
.LBB94_438:
	s_or_b64 exec, exec, s[0:1]
	v_cmp_lt_i32_e32 vcc, 20, v205
	s_waitcnt lgkmcnt(0)
	s_barrier
	s_and_saveexec_b64 s[0:1], vcc
	s_cbranch_execz .LBB94_440
; %bb.439:
	ds_read2_b64 v[208:211], v204 offset0:42 offset1:43
	v_mul_f64 v[202:203], v[194:195], v[106:107]
	v_mul_f64 v[106:107], v[192:193], v[106:107]
	v_fmac_f64_e32 v[106:107], v[194:195], v[104:105]
	v_fma_f64 v[202:203], v[192:193], v[104:105], -v[202:203]
	ds_read2_b64 v[192:195], v204 offset0:44 offset1:45
	s_waitcnt lgkmcnt(1)
	v_mul_f64 v[104:105], v[210:211], v[106:107]
	v_fma_f64 v[104:105], v[208:209], v[202:203], -v[104:105]
	v_mul_f64 v[208:209], v[208:209], v[106:107]
	v_fmac_f64_e32 v[208:209], v[210:211], v[202:203]
	s_waitcnt vmcnt(26)
	v_add_f64 v[102:103], v[102:103], -v[208:209]
	ds_read2_b64 v[208:211], v204 offset0:46 offset1:47
	v_add_f64 v[100:101], v[100:101], -v[104:105]
	s_waitcnt lgkmcnt(1)
	v_mul_f64 v[104:105], v[194:195], v[106:107]
	v_fma_f64 v[104:105], v[192:193], v[202:203], -v[104:105]
	v_mul_f64 v[192:193], v[192:193], v[106:107]
	v_fmac_f64_e32 v[192:193], v[194:195], v[202:203]
	s_waitcnt vmcnt(25)
	v_add_f64 v[96:97], v[96:97], -v[104:105]
	v_add_f64 v[98:99], v[98:99], -v[192:193]
	ds_read2_b64 v[192:195], v204 offset0:48 offset1:49
	s_waitcnt lgkmcnt(1)
	v_mul_f64 v[104:105], v[210:211], v[106:107]
	v_fma_f64 v[104:105], v[208:209], v[202:203], -v[104:105]
	v_mul_f64 v[208:209], v[208:209], v[106:107]
	v_fmac_f64_e32 v[208:209], v[210:211], v[202:203]
	s_waitcnt vmcnt(24)
	v_add_f64 v[94:95], v[94:95], -v[208:209]
	ds_read2_b64 v[208:211], v204 offset0:50 offset1:51
	v_add_f64 v[92:93], v[92:93], -v[104:105]
	s_waitcnt lgkmcnt(1)
	v_mul_f64 v[104:105], v[194:195], v[106:107]
	v_fma_f64 v[104:105], v[192:193], v[202:203], -v[104:105]
	v_mul_f64 v[192:193], v[192:193], v[106:107]
	v_fmac_f64_e32 v[192:193], v[194:195], v[202:203]
	s_waitcnt vmcnt(23)
	v_add_f64 v[88:89], v[88:89], -v[104:105]
	v_add_f64 v[90:91], v[90:91], -v[192:193]
	;; [unrolled: 18-line block ×13, first 2 shown]
	s_waitcnt lgkmcnt(0)
	v_mul_f64 v[104:105], v[210:211], v[106:107]
	v_mul_f64 v[192:193], v[208:209], v[106:107]
	v_fma_f64 v[104:105], v[208:209], v[202:203], -v[104:105]
	v_fmac_f64_e32 v[192:193], v[210:211], v[202:203]
	s_waitcnt vmcnt(0)
	v_add_f64 v[188:189], v[188:189], -v[104:105]
	v_add_f64 v[190:191], v[190:191], -v[192:193]
	v_mov_b64_e32 v[104:105], v[202:203]
.LBB94_440:
	s_or_b64 exec, exec, s[0:1]
	v_lshl_add_u32 v192, v205, 4, v204
	s_barrier
	s_waitcnt vmcnt(26)
	ds_write2_b64 v192, v[100:101], v[102:103] offset1:1
	s_waitcnt lgkmcnt(0)
	s_barrier
	ds_read2_b64 v[192:195], v204 offset0:42 offset1:43
	s_cmp_lt_i32 s20, 23
	v_mov_b32_e32 v202, 21
	s_cbranch_scc1 .LBB94_443
; %bb.441:
	v_add_u32_e32 v203, 0x160, v204
	s_mov_b32 s16, 22
	v_mov_b32_e32 v202, 21
.LBB94_442:                             ; =>This Inner Loop Header: Depth=1
	ds_read2_b64 v[208:211], v203 offset1:1
	s_waitcnt lgkmcnt(1)
	v_xor_b32_e32 v213, 0x80000000, v193
	v_xor_b32_e32 v215, 0x80000000, v195
	v_cmp_gt_f64_e32 vcc, 0, v[194:195]
	v_cmp_gt_f64_e64 s[0:1], 0, v[192:193]
	v_mov_b32_e32 v212, v192
	v_mov_b32_e32 v214, v194
	v_cndmask_b32_e64 v213, v193, v213, s[0:1]
	v_cndmask_b32_e32 v215, v195, v215, vcc
	v_add_f64 v[212:213], v[212:213], v[214:215]
	s_waitcnt lgkmcnt(0)
	v_xor_b32_e32 v215, 0x80000000, v209
	v_xor_b32_e32 v217, 0x80000000, v211
	v_cmp_gt_f64_e32 vcc, 0, v[210:211]
	v_cmp_gt_f64_e64 s[0:1], 0, v[208:209]
	v_mov_b32_e32 v214, v208
	v_mov_b32_e32 v216, v210
	v_cndmask_b32_e64 v215, v209, v215, s[0:1]
	v_cndmask_b32_e32 v217, v211, v217, vcc
	v_add_f64 v[214:215], v[214:215], v[216:217]
	v_mov_b32_e32 v218, s16
	s_add_i32 s16, s16, 1
	v_cmp_lt_f64_e32 vcc, v[212:213], v[214:215]
	v_add_u32_e32 v203, 16, v203
	s_cmp_lg_u32 s20, s16
	v_cndmask_b32_e32 v193, v193, v209, vcc
	v_cndmask_b32_e32 v192, v192, v208, vcc
	;; [unrolled: 1-line block ×5, first 2 shown]
	s_cbranch_scc1 .LBB94_442
.LBB94_443:
	s_waitcnt lgkmcnt(0)
	v_cmp_eq_f64_e32 vcc, 0, v[192:193]
	v_cmp_eq_f64_e64 s[0:1], 0, v[194:195]
	s_and_b64 s[0:1], vcc, s[0:1]
	s_and_saveexec_b64 s[16:17], s[0:1]
	s_xor_b64 s[0:1], exec, s[16:17]
; %bb.444:
	v_cmp_ne_u32_e32 vcc, 0, v206
	s_nop 1
	v_cndmask_b32_e32 v206, 22, v206, vcc
; %bb.445:
	s_andn2_saveexec_b64 s[0:1], s[0:1]
	s_cbranch_execz .LBB94_451
; %bb.446:
	v_cmp_ngt_f64_e64 s[16:17], |v[192:193]|, |v[194:195]|
	s_and_saveexec_b64 s[18:19], s[16:17]
	s_xor_b64 s[16:17], exec, s[18:19]
	s_cbranch_execz .LBB94_448
; %bb.447:
	v_div_scale_f64 v[208:209], s[18:19], v[194:195], v[194:195], v[192:193]
	v_rcp_f64_e32 v[210:211], v[208:209]
	v_div_scale_f64 v[212:213], vcc, v[192:193], v[194:195], v[192:193]
	v_fma_f64 v[214:215], -v[208:209], v[210:211], 1.0
	v_fmac_f64_e32 v[210:211], v[210:211], v[214:215]
	v_fma_f64 v[214:215], -v[208:209], v[210:211], 1.0
	v_fmac_f64_e32 v[210:211], v[210:211], v[214:215]
	v_mul_f64 v[214:215], v[212:213], v[210:211]
	v_fma_f64 v[208:209], -v[208:209], v[214:215], v[212:213]
	v_div_fmas_f64 v[208:209], v[208:209], v[210:211], v[214:215]
	v_div_fixup_f64 v[208:209], v[208:209], v[194:195], v[192:193]
	v_fmac_f64_e32 v[194:195], v[192:193], v[208:209]
	v_div_scale_f64 v[192:193], s[18:19], v[194:195], v[194:195], 1.0
	v_rcp_f64_e32 v[210:211], v[192:193]
	s_nop 0
	v_fma_f64 v[212:213], -v[192:193], v[210:211], 1.0
	v_fmac_f64_e32 v[210:211], v[210:211], v[212:213]
	v_fma_f64 v[212:213], -v[192:193], v[210:211], 1.0
	v_fmac_f64_e32 v[210:211], v[210:211], v[212:213]
	v_div_scale_f64 v[212:213], vcc, 1.0, v[194:195], 1.0
	v_mul_f64 v[214:215], v[212:213], v[210:211]
	v_fma_f64 v[192:193], -v[192:193], v[214:215], v[212:213]
	s_nop 1
	v_div_fmas_f64 v[192:193], v[192:193], v[210:211], v[214:215]
	v_div_fixup_f64 v[194:195], v[192:193], v[194:195], 1.0
	v_mul_f64 v[192:193], v[208:209], v[194:195]
	v_xor_b32_e32 v195, 0x80000000, v195
.LBB94_448:
	s_andn2_saveexec_b64 s[16:17], s[16:17]
	s_cbranch_execz .LBB94_450
; %bb.449:
	v_div_scale_f64 v[208:209], s[18:19], v[192:193], v[192:193], v[194:195]
	v_rcp_f64_e32 v[210:211], v[208:209]
	v_div_scale_f64 v[212:213], vcc, v[194:195], v[192:193], v[194:195]
	v_fma_f64 v[214:215], -v[208:209], v[210:211], 1.0
	v_fmac_f64_e32 v[210:211], v[210:211], v[214:215]
	v_fma_f64 v[214:215], -v[208:209], v[210:211], 1.0
	v_fmac_f64_e32 v[210:211], v[210:211], v[214:215]
	v_mul_f64 v[214:215], v[212:213], v[210:211]
	v_fma_f64 v[208:209], -v[208:209], v[214:215], v[212:213]
	v_div_fmas_f64 v[208:209], v[208:209], v[210:211], v[214:215]
	v_div_fixup_f64 v[208:209], v[208:209], v[192:193], v[194:195]
	v_fmac_f64_e32 v[192:193], v[194:195], v[208:209]
	v_div_scale_f64 v[194:195], s[18:19], v[192:193], v[192:193], 1.0
	v_rcp_f64_e32 v[210:211], v[194:195]
	s_nop 0
	v_fma_f64 v[212:213], -v[194:195], v[210:211], 1.0
	v_fmac_f64_e32 v[210:211], v[210:211], v[212:213]
	v_fma_f64 v[212:213], -v[194:195], v[210:211], 1.0
	v_fmac_f64_e32 v[210:211], v[210:211], v[212:213]
	v_div_scale_f64 v[212:213], vcc, 1.0, v[192:193], 1.0
	v_mul_f64 v[214:215], v[212:213], v[210:211]
	v_fma_f64 v[194:195], -v[194:195], v[214:215], v[212:213]
	s_nop 1
	v_div_fmas_f64 v[194:195], v[194:195], v[210:211], v[214:215]
	v_div_fixup_f64 v[192:193], v[194:195], v[192:193], 1.0
	v_mul_f64 v[194:195], v[208:209], -v[192:193]
.LBB94_450:
	s_or_b64 exec, exec, s[16:17]
.LBB94_451:
	s_or_b64 exec, exec, s[0:1]
	v_cmp_ne_u32_e32 vcc, v205, v202
	s_and_saveexec_b64 s[0:1], vcc
	s_xor_b64 s[0:1], exec, s[0:1]
	s_cbranch_execz .LBB94_457
; %bb.452:
	v_cmp_eq_u32_e32 vcc, 21, v205
	s_and_saveexec_b64 s[16:17], vcc
	s_cbranch_execz .LBB94_456
; %bb.453:
	v_cmp_ne_u32_e32 vcc, 21, v202
	s_xor_b64 s[18:19], s[14:15], -1
	s_and_b64 s[22:23], s[18:19], vcc
	s_and_saveexec_b64 s[18:19], s[22:23]
	s_cbranch_execz .LBB94_455
; %bb.454:
	v_ashrrev_i32_e32 v203, 31, v202
	v_lshl_add_u64 v[208:209], v[202:203], 2, v[200:201]
	global_load_dword v203, v[208:209], off
	global_load_dword v205, v[200:201], off offset:84
	s_waitcnt vmcnt(1)
	global_store_dword v[200:201], v203, off offset:84
	s_waitcnt vmcnt(1)
	global_store_dword v[208:209], v205, off
.LBB94_455:
	s_or_b64 exec, exec, s[18:19]
	v_mov_b32_e32 v205, v202
	v_mov_b32_e32 v207, v202
.LBB94_456:
	s_or_b64 exec, exec, s[16:17]
.LBB94_457:
	s_andn2_saveexec_b64 s[0:1], s[0:1]
	s_cbranch_execz .LBB94_459
; %bb.458:
	v_mov_b32_e32 v205, 21
	s_waitcnt vmcnt(25)
	ds_write2_b64 v204, v[96:97], v[98:99] offset0:44 offset1:45
	s_waitcnt vmcnt(24)
	ds_write2_b64 v204, v[92:93], v[94:95] offset0:46 offset1:47
	;; [unrolled: 2-line block ×26, first 2 shown]
.LBB94_459:
	s_or_b64 exec, exec, s[0:1]
	v_cmp_lt_i32_e32 vcc, 21, v205
	s_waitcnt lgkmcnt(0)
	s_barrier
	s_and_saveexec_b64 s[0:1], vcc
	s_cbranch_execz .LBB94_461
; %bb.460:
	ds_read2_b64 v[208:211], v204 offset0:44 offset1:45
	v_mul_f64 v[202:203], v[194:195], v[102:103]
	v_mul_f64 v[102:103], v[192:193], v[102:103]
	v_fma_f64 v[202:203], v[192:193], v[100:101], -v[202:203]
	v_fmac_f64_e32 v[102:103], v[194:195], v[100:101]
	ds_read2_b64 v[192:195], v204 offset0:46 offset1:47
	s_waitcnt lgkmcnt(1)
	v_mul_f64 v[100:101], v[210:211], v[102:103]
	v_fma_f64 v[100:101], v[208:209], v[202:203], -v[100:101]
	v_mul_f64 v[208:209], v[208:209], v[102:103]
	v_fmac_f64_e32 v[208:209], v[210:211], v[202:203]
	s_waitcnt vmcnt(25)
	v_add_f64 v[96:97], v[96:97], -v[100:101]
	s_waitcnt lgkmcnt(0)
	v_mul_f64 v[100:101], v[194:195], v[102:103]
	v_add_f64 v[98:99], v[98:99], -v[208:209]
	v_fma_f64 v[100:101], v[192:193], v[202:203], -v[100:101]
	v_mul_f64 v[192:193], v[192:193], v[102:103]
	ds_read2_b64 v[208:211], v204 offset0:48 offset1:49
	v_fmac_f64_e32 v[192:193], v[194:195], v[202:203]
	s_waitcnt vmcnt(24)
	v_add_f64 v[94:95], v[94:95], -v[192:193]
	ds_read2_b64 v[192:195], v204 offset0:50 offset1:51
	v_add_f64 v[92:93], v[92:93], -v[100:101]
	s_waitcnt lgkmcnt(1)
	v_mul_f64 v[100:101], v[210:211], v[102:103]
	v_fma_f64 v[100:101], v[208:209], v[202:203], -v[100:101]
	v_mul_f64 v[208:209], v[208:209], v[102:103]
	v_fmac_f64_e32 v[208:209], v[210:211], v[202:203]
	s_waitcnt vmcnt(23)
	v_add_f64 v[88:89], v[88:89], -v[100:101]
	s_waitcnt lgkmcnt(0)
	v_mul_f64 v[100:101], v[194:195], v[102:103]
	v_add_f64 v[90:91], v[90:91], -v[208:209]
	v_fma_f64 v[100:101], v[192:193], v[202:203], -v[100:101]
	v_mul_f64 v[192:193], v[192:193], v[102:103]
	ds_read2_b64 v[208:211], v204 offset0:52 offset1:53
	v_fmac_f64_e32 v[192:193], v[194:195], v[202:203]
	s_waitcnt vmcnt(22)
	v_add_f64 v[86:87], v[86:87], -v[192:193]
	ds_read2_b64 v[192:195], v204 offset0:54 offset1:55
	v_add_f64 v[84:85], v[84:85], -v[100:101]
	;; [unrolled: 18-line block ×12, first 2 shown]
	s_waitcnt lgkmcnt(1)
	v_mul_f64 v[100:101], v[210:211], v[102:103]
	v_fma_f64 v[100:101], v[208:209], v[202:203], -v[100:101]
	s_waitcnt vmcnt(1)
	v_add_f64 v[0:1], v[0:1], -v[100:101]
	s_waitcnt lgkmcnt(0)
	v_mul_f64 v[100:101], v[194:195], v[102:103]
	v_mul_f64 v[208:209], v[208:209], v[102:103]
	v_fma_f64 v[100:101], v[192:193], v[202:203], -v[100:101]
	v_mul_f64 v[192:193], v[192:193], v[102:103]
	v_fmac_f64_e32 v[208:209], v[210:211], v[202:203]
	v_fmac_f64_e32 v[192:193], v[194:195], v[202:203]
	v_add_f64 v[2:3], v[2:3], -v[208:209]
	s_waitcnt vmcnt(0)
	v_add_f64 v[188:189], v[188:189], -v[100:101]
	v_add_f64 v[190:191], v[190:191], -v[192:193]
	v_mov_b64_e32 v[100:101], v[202:203]
.LBB94_461:
	s_or_b64 exec, exec, s[0:1]
	v_lshl_add_u32 v192, v205, 4, v204
	s_barrier
	s_waitcnt vmcnt(25)
	ds_write2_b64 v192, v[96:97], v[98:99] offset1:1
	s_waitcnt lgkmcnt(0)
	s_barrier
	ds_read2_b64 v[192:195], v204 offset0:44 offset1:45
	s_cmp_lt_i32 s20, 24
	v_mov_b32_e32 v202, 22
	s_cbranch_scc1 .LBB94_464
; %bb.462:
	v_add_u32_e32 v203, 0x170, v204
	s_mov_b32 s16, 23
	v_mov_b32_e32 v202, 22
.LBB94_463:                             ; =>This Inner Loop Header: Depth=1
	ds_read2_b64 v[208:211], v203 offset1:1
	s_waitcnt lgkmcnt(1)
	v_xor_b32_e32 v213, 0x80000000, v193
	v_xor_b32_e32 v215, 0x80000000, v195
	v_cmp_gt_f64_e32 vcc, 0, v[194:195]
	v_cmp_gt_f64_e64 s[0:1], 0, v[192:193]
	v_mov_b32_e32 v212, v192
	v_mov_b32_e32 v214, v194
	v_cndmask_b32_e64 v213, v193, v213, s[0:1]
	v_cndmask_b32_e32 v215, v195, v215, vcc
	v_add_f64 v[212:213], v[212:213], v[214:215]
	s_waitcnt lgkmcnt(0)
	v_xor_b32_e32 v215, 0x80000000, v209
	v_xor_b32_e32 v217, 0x80000000, v211
	v_cmp_gt_f64_e32 vcc, 0, v[210:211]
	v_cmp_gt_f64_e64 s[0:1], 0, v[208:209]
	v_mov_b32_e32 v214, v208
	v_mov_b32_e32 v216, v210
	v_cndmask_b32_e64 v215, v209, v215, s[0:1]
	v_cndmask_b32_e32 v217, v211, v217, vcc
	v_add_f64 v[214:215], v[214:215], v[216:217]
	v_mov_b32_e32 v218, s16
	s_add_i32 s16, s16, 1
	v_cmp_lt_f64_e32 vcc, v[212:213], v[214:215]
	v_add_u32_e32 v203, 16, v203
	s_cmp_lg_u32 s20, s16
	v_cndmask_b32_e32 v193, v193, v209, vcc
	v_cndmask_b32_e32 v192, v192, v208, vcc
	;; [unrolled: 1-line block ×5, first 2 shown]
	s_cbranch_scc1 .LBB94_463
.LBB94_464:
	s_waitcnt lgkmcnt(0)
	v_cmp_eq_f64_e32 vcc, 0, v[192:193]
	v_cmp_eq_f64_e64 s[0:1], 0, v[194:195]
	s_and_b64 s[0:1], vcc, s[0:1]
	s_and_saveexec_b64 s[16:17], s[0:1]
	s_xor_b64 s[0:1], exec, s[16:17]
; %bb.465:
	v_cmp_ne_u32_e32 vcc, 0, v206
	s_nop 1
	v_cndmask_b32_e32 v206, 23, v206, vcc
; %bb.466:
	s_andn2_saveexec_b64 s[0:1], s[0:1]
	s_cbranch_execz .LBB94_472
; %bb.467:
	v_cmp_ngt_f64_e64 s[16:17], |v[192:193]|, |v[194:195]|
	s_and_saveexec_b64 s[18:19], s[16:17]
	s_xor_b64 s[16:17], exec, s[18:19]
	s_cbranch_execz .LBB94_469
; %bb.468:
	v_div_scale_f64 v[208:209], s[18:19], v[194:195], v[194:195], v[192:193]
	v_rcp_f64_e32 v[210:211], v[208:209]
	v_div_scale_f64 v[212:213], vcc, v[192:193], v[194:195], v[192:193]
	v_fma_f64 v[214:215], -v[208:209], v[210:211], 1.0
	v_fmac_f64_e32 v[210:211], v[210:211], v[214:215]
	v_fma_f64 v[214:215], -v[208:209], v[210:211], 1.0
	v_fmac_f64_e32 v[210:211], v[210:211], v[214:215]
	v_mul_f64 v[214:215], v[212:213], v[210:211]
	v_fma_f64 v[208:209], -v[208:209], v[214:215], v[212:213]
	v_div_fmas_f64 v[208:209], v[208:209], v[210:211], v[214:215]
	v_div_fixup_f64 v[208:209], v[208:209], v[194:195], v[192:193]
	v_fmac_f64_e32 v[194:195], v[192:193], v[208:209]
	v_div_scale_f64 v[192:193], s[18:19], v[194:195], v[194:195], 1.0
	v_rcp_f64_e32 v[210:211], v[192:193]
	s_nop 0
	v_fma_f64 v[212:213], -v[192:193], v[210:211], 1.0
	v_fmac_f64_e32 v[210:211], v[210:211], v[212:213]
	v_fma_f64 v[212:213], -v[192:193], v[210:211], 1.0
	v_fmac_f64_e32 v[210:211], v[210:211], v[212:213]
	v_div_scale_f64 v[212:213], vcc, 1.0, v[194:195], 1.0
	v_mul_f64 v[214:215], v[212:213], v[210:211]
	v_fma_f64 v[192:193], -v[192:193], v[214:215], v[212:213]
	s_nop 1
	v_div_fmas_f64 v[192:193], v[192:193], v[210:211], v[214:215]
	v_div_fixup_f64 v[194:195], v[192:193], v[194:195], 1.0
	v_mul_f64 v[192:193], v[208:209], v[194:195]
	v_xor_b32_e32 v195, 0x80000000, v195
.LBB94_469:
	s_andn2_saveexec_b64 s[16:17], s[16:17]
	s_cbranch_execz .LBB94_471
; %bb.470:
	v_div_scale_f64 v[208:209], s[18:19], v[192:193], v[192:193], v[194:195]
	v_rcp_f64_e32 v[210:211], v[208:209]
	v_div_scale_f64 v[212:213], vcc, v[194:195], v[192:193], v[194:195]
	v_fma_f64 v[214:215], -v[208:209], v[210:211], 1.0
	v_fmac_f64_e32 v[210:211], v[210:211], v[214:215]
	v_fma_f64 v[214:215], -v[208:209], v[210:211], 1.0
	v_fmac_f64_e32 v[210:211], v[210:211], v[214:215]
	v_mul_f64 v[214:215], v[212:213], v[210:211]
	v_fma_f64 v[208:209], -v[208:209], v[214:215], v[212:213]
	v_div_fmas_f64 v[208:209], v[208:209], v[210:211], v[214:215]
	v_div_fixup_f64 v[208:209], v[208:209], v[192:193], v[194:195]
	v_fmac_f64_e32 v[192:193], v[194:195], v[208:209]
	v_div_scale_f64 v[194:195], s[18:19], v[192:193], v[192:193], 1.0
	v_rcp_f64_e32 v[210:211], v[194:195]
	s_nop 0
	v_fma_f64 v[212:213], -v[194:195], v[210:211], 1.0
	v_fmac_f64_e32 v[210:211], v[210:211], v[212:213]
	v_fma_f64 v[212:213], -v[194:195], v[210:211], 1.0
	v_fmac_f64_e32 v[210:211], v[210:211], v[212:213]
	v_div_scale_f64 v[212:213], vcc, 1.0, v[192:193], 1.0
	v_mul_f64 v[214:215], v[212:213], v[210:211]
	v_fma_f64 v[194:195], -v[194:195], v[214:215], v[212:213]
	s_nop 1
	v_div_fmas_f64 v[194:195], v[194:195], v[210:211], v[214:215]
	v_div_fixup_f64 v[192:193], v[194:195], v[192:193], 1.0
	v_mul_f64 v[194:195], v[208:209], -v[192:193]
.LBB94_471:
	s_or_b64 exec, exec, s[16:17]
.LBB94_472:
	s_or_b64 exec, exec, s[0:1]
	v_cmp_ne_u32_e32 vcc, v205, v202
	s_and_saveexec_b64 s[0:1], vcc
	s_xor_b64 s[0:1], exec, s[0:1]
	s_cbranch_execz .LBB94_478
; %bb.473:
	v_cmp_eq_u32_e32 vcc, 22, v205
	s_and_saveexec_b64 s[16:17], vcc
	s_cbranch_execz .LBB94_477
; %bb.474:
	v_cmp_ne_u32_e32 vcc, 22, v202
	s_xor_b64 s[18:19], s[14:15], -1
	s_and_b64 s[22:23], s[18:19], vcc
	s_and_saveexec_b64 s[18:19], s[22:23]
	s_cbranch_execz .LBB94_476
; %bb.475:
	v_ashrrev_i32_e32 v203, 31, v202
	v_lshl_add_u64 v[208:209], v[202:203], 2, v[200:201]
	global_load_dword v203, v[208:209], off
	global_load_dword v205, v[200:201], off offset:88
	s_waitcnt vmcnt(1)
	global_store_dword v[200:201], v203, off offset:88
	s_waitcnt vmcnt(1)
	global_store_dword v[208:209], v205, off
.LBB94_476:
	s_or_b64 exec, exec, s[18:19]
	v_mov_b32_e32 v205, v202
	v_mov_b32_e32 v207, v202
.LBB94_477:
	s_or_b64 exec, exec, s[16:17]
.LBB94_478:
	s_andn2_saveexec_b64 s[0:1], s[0:1]
	s_cbranch_execz .LBB94_480
; %bb.479:
	v_mov_b32_e32 v205, 22
	s_waitcnt vmcnt(24)
	ds_write2_b64 v204, v[92:93], v[94:95] offset0:46 offset1:47
	s_waitcnt vmcnt(23)
	ds_write2_b64 v204, v[88:89], v[90:91] offset0:48 offset1:49
	;; [unrolled: 2-line block ×25, first 2 shown]
.LBB94_480:
	s_or_b64 exec, exec, s[0:1]
	v_cmp_lt_i32_e32 vcc, 22, v205
	s_waitcnt lgkmcnt(0)
	s_barrier
	s_and_saveexec_b64 s[0:1], vcc
	s_cbranch_execz .LBB94_482
; %bb.481:
	ds_read2_b64 v[208:211], v204 offset0:46 offset1:47
	v_mul_f64 v[202:203], v[194:195], v[98:99]
	v_mul_f64 v[98:99], v[192:193], v[98:99]
	v_fmac_f64_e32 v[98:99], v[194:195], v[96:97]
	v_fma_f64 v[202:203], v[192:193], v[96:97], -v[202:203]
	ds_read2_b64 v[192:195], v204 offset0:48 offset1:49
	s_waitcnt lgkmcnt(1)
	v_mul_f64 v[96:97], v[210:211], v[98:99]
	v_fma_f64 v[96:97], v[208:209], v[202:203], -v[96:97]
	v_mul_f64 v[208:209], v[208:209], v[98:99]
	v_fmac_f64_e32 v[208:209], v[210:211], v[202:203]
	s_waitcnt vmcnt(24)
	v_add_f64 v[94:95], v[94:95], -v[208:209]
	ds_read2_b64 v[208:211], v204 offset0:50 offset1:51
	v_add_f64 v[92:93], v[92:93], -v[96:97]
	s_waitcnt lgkmcnt(1)
	v_mul_f64 v[96:97], v[194:195], v[98:99]
	v_fma_f64 v[96:97], v[192:193], v[202:203], -v[96:97]
	v_mul_f64 v[192:193], v[192:193], v[98:99]
	v_fmac_f64_e32 v[192:193], v[194:195], v[202:203]
	s_waitcnt vmcnt(23)
	v_add_f64 v[88:89], v[88:89], -v[96:97]
	v_add_f64 v[90:91], v[90:91], -v[192:193]
	ds_read2_b64 v[192:195], v204 offset0:52 offset1:53
	s_waitcnt lgkmcnt(1)
	v_mul_f64 v[96:97], v[210:211], v[98:99]
	v_fma_f64 v[96:97], v[208:209], v[202:203], -v[96:97]
	v_mul_f64 v[208:209], v[208:209], v[98:99]
	v_fmac_f64_e32 v[208:209], v[210:211], v[202:203]
	s_waitcnt vmcnt(22)
	v_add_f64 v[86:87], v[86:87], -v[208:209]
	ds_read2_b64 v[208:211], v204 offset0:54 offset1:55
	v_add_f64 v[84:85], v[84:85], -v[96:97]
	s_waitcnt lgkmcnt(1)
	v_mul_f64 v[96:97], v[194:195], v[98:99]
	v_fma_f64 v[96:97], v[192:193], v[202:203], -v[96:97]
	v_mul_f64 v[192:193], v[192:193], v[98:99]
	v_fmac_f64_e32 v[192:193], v[194:195], v[202:203]
	s_waitcnt vmcnt(21)
	v_add_f64 v[80:81], v[80:81], -v[96:97]
	v_add_f64 v[82:83], v[82:83], -v[192:193]
	;; [unrolled: 18-line block ×12, first 2 shown]
	s_waitcnt lgkmcnt(0)
	v_mul_f64 v[96:97], v[210:211], v[98:99]
	v_mul_f64 v[192:193], v[208:209], v[98:99]
	v_fma_f64 v[96:97], v[208:209], v[202:203], -v[96:97]
	v_fmac_f64_e32 v[192:193], v[210:211], v[202:203]
	s_waitcnt vmcnt(0)
	v_add_f64 v[188:189], v[188:189], -v[96:97]
	v_add_f64 v[190:191], v[190:191], -v[192:193]
	v_mov_b64_e32 v[96:97], v[202:203]
.LBB94_482:
	s_or_b64 exec, exec, s[0:1]
	v_lshl_add_u32 v192, v205, 4, v204
	s_barrier
	s_waitcnt vmcnt(24)
	ds_write2_b64 v192, v[92:93], v[94:95] offset1:1
	s_waitcnt lgkmcnt(0)
	s_barrier
	ds_read2_b64 v[192:195], v204 offset0:46 offset1:47
	s_cmp_lt_i32 s20, 25
	v_mov_b32_e32 v202, 23
	s_cbranch_scc1 .LBB94_485
; %bb.483:
	v_add_u32_e32 v203, 0x180, v204
	s_mov_b32 s16, 24
	v_mov_b32_e32 v202, 23
.LBB94_484:                             ; =>This Inner Loop Header: Depth=1
	ds_read2_b64 v[208:211], v203 offset1:1
	s_waitcnt lgkmcnt(1)
	v_xor_b32_e32 v213, 0x80000000, v193
	v_xor_b32_e32 v215, 0x80000000, v195
	v_cmp_gt_f64_e32 vcc, 0, v[194:195]
	v_cmp_gt_f64_e64 s[0:1], 0, v[192:193]
	v_mov_b32_e32 v212, v192
	v_mov_b32_e32 v214, v194
	v_cndmask_b32_e64 v213, v193, v213, s[0:1]
	v_cndmask_b32_e32 v215, v195, v215, vcc
	v_add_f64 v[212:213], v[212:213], v[214:215]
	s_waitcnt lgkmcnt(0)
	v_xor_b32_e32 v215, 0x80000000, v209
	v_xor_b32_e32 v217, 0x80000000, v211
	v_cmp_gt_f64_e32 vcc, 0, v[210:211]
	v_cmp_gt_f64_e64 s[0:1], 0, v[208:209]
	v_mov_b32_e32 v214, v208
	v_mov_b32_e32 v216, v210
	v_cndmask_b32_e64 v215, v209, v215, s[0:1]
	v_cndmask_b32_e32 v217, v211, v217, vcc
	v_add_f64 v[214:215], v[214:215], v[216:217]
	v_mov_b32_e32 v218, s16
	s_add_i32 s16, s16, 1
	v_cmp_lt_f64_e32 vcc, v[212:213], v[214:215]
	v_add_u32_e32 v203, 16, v203
	s_cmp_lg_u32 s20, s16
	v_cndmask_b32_e32 v193, v193, v209, vcc
	v_cndmask_b32_e32 v192, v192, v208, vcc
	;; [unrolled: 1-line block ×5, first 2 shown]
	s_cbranch_scc1 .LBB94_484
.LBB94_485:
	s_waitcnt lgkmcnt(0)
	v_cmp_eq_f64_e32 vcc, 0, v[192:193]
	v_cmp_eq_f64_e64 s[0:1], 0, v[194:195]
	s_and_b64 s[0:1], vcc, s[0:1]
	s_and_saveexec_b64 s[16:17], s[0:1]
	s_xor_b64 s[0:1], exec, s[16:17]
; %bb.486:
	v_cmp_ne_u32_e32 vcc, 0, v206
	s_nop 1
	v_cndmask_b32_e32 v206, 24, v206, vcc
; %bb.487:
	s_andn2_saveexec_b64 s[0:1], s[0:1]
	s_cbranch_execz .LBB94_493
; %bb.488:
	v_cmp_ngt_f64_e64 s[16:17], |v[192:193]|, |v[194:195]|
	s_and_saveexec_b64 s[18:19], s[16:17]
	s_xor_b64 s[16:17], exec, s[18:19]
	s_cbranch_execz .LBB94_490
; %bb.489:
	v_div_scale_f64 v[208:209], s[18:19], v[194:195], v[194:195], v[192:193]
	v_rcp_f64_e32 v[210:211], v[208:209]
	v_div_scale_f64 v[212:213], vcc, v[192:193], v[194:195], v[192:193]
	v_fma_f64 v[214:215], -v[208:209], v[210:211], 1.0
	v_fmac_f64_e32 v[210:211], v[210:211], v[214:215]
	v_fma_f64 v[214:215], -v[208:209], v[210:211], 1.0
	v_fmac_f64_e32 v[210:211], v[210:211], v[214:215]
	v_mul_f64 v[214:215], v[212:213], v[210:211]
	v_fma_f64 v[208:209], -v[208:209], v[214:215], v[212:213]
	v_div_fmas_f64 v[208:209], v[208:209], v[210:211], v[214:215]
	v_div_fixup_f64 v[208:209], v[208:209], v[194:195], v[192:193]
	v_fmac_f64_e32 v[194:195], v[192:193], v[208:209]
	v_div_scale_f64 v[192:193], s[18:19], v[194:195], v[194:195], 1.0
	v_rcp_f64_e32 v[210:211], v[192:193]
	s_nop 0
	v_fma_f64 v[212:213], -v[192:193], v[210:211], 1.0
	v_fmac_f64_e32 v[210:211], v[210:211], v[212:213]
	v_fma_f64 v[212:213], -v[192:193], v[210:211], 1.0
	v_fmac_f64_e32 v[210:211], v[210:211], v[212:213]
	v_div_scale_f64 v[212:213], vcc, 1.0, v[194:195], 1.0
	v_mul_f64 v[214:215], v[212:213], v[210:211]
	v_fma_f64 v[192:193], -v[192:193], v[214:215], v[212:213]
	s_nop 1
	v_div_fmas_f64 v[192:193], v[192:193], v[210:211], v[214:215]
	v_div_fixup_f64 v[194:195], v[192:193], v[194:195], 1.0
	v_mul_f64 v[192:193], v[208:209], v[194:195]
	v_xor_b32_e32 v195, 0x80000000, v195
.LBB94_490:
	s_andn2_saveexec_b64 s[16:17], s[16:17]
	s_cbranch_execz .LBB94_492
; %bb.491:
	v_div_scale_f64 v[208:209], s[18:19], v[192:193], v[192:193], v[194:195]
	v_rcp_f64_e32 v[210:211], v[208:209]
	v_div_scale_f64 v[212:213], vcc, v[194:195], v[192:193], v[194:195]
	v_fma_f64 v[214:215], -v[208:209], v[210:211], 1.0
	v_fmac_f64_e32 v[210:211], v[210:211], v[214:215]
	v_fma_f64 v[214:215], -v[208:209], v[210:211], 1.0
	v_fmac_f64_e32 v[210:211], v[210:211], v[214:215]
	v_mul_f64 v[214:215], v[212:213], v[210:211]
	v_fma_f64 v[208:209], -v[208:209], v[214:215], v[212:213]
	v_div_fmas_f64 v[208:209], v[208:209], v[210:211], v[214:215]
	v_div_fixup_f64 v[208:209], v[208:209], v[192:193], v[194:195]
	v_fmac_f64_e32 v[192:193], v[194:195], v[208:209]
	v_div_scale_f64 v[194:195], s[18:19], v[192:193], v[192:193], 1.0
	v_rcp_f64_e32 v[210:211], v[194:195]
	s_nop 0
	v_fma_f64 v[212:213], -v[194:195], v[210:211], 1.0
	v_fmac_f64_e32 v[210:211], v[210:211], v[212:213]
	v_fma_f64 v[212:213], -v[194:195], v[210:211], 1.0
	v_fmac_f64_e32 v[210:211], v[210:211], v[212:213]
	v_div_scale_f64 v[212:213], vcc, 1.0, v[192:193], 1.0
	v_mul_f64 v[214:215], v[212:213], v[210:211]
	v_fma_f64 v[194:195], -v[194:195], v[214:215], v[212:213]
	s_nop 1
	v_div_fmas_f64 v[194:195], v[194:195], v[210:211], v[214:215]
	v_div_fixup_f64 v[192:193], v[194:195], v[192:193], 1.0
	v_mul_f64 v[194:195], v[208:209], -v[192:193]
.LBB94_492:
	s_or_b64 exec, exec, s[16:17]
.LBB94_493:
	s_or_b64 exec, exec, s[0:1]
	v_cmp_ne_u32_e32 vcc, v205, v202
	s_and_saveexec_b64 s[0:1], vcc
	s_xor_b64 s[0:1], exec, s[0:1]
	s_cbranch_execz .LBB94_499
; %bb.494:
	v_cmp_eq_u32_e32 vcc, 23, v205
	s_and_saveexec_b64 s[16:17], vcc
	s_cbranch_execz .LBB94_498
; %bb.495:
	v_cmp_ne_u32_e32 vcc, 23, v202
	s_xor_b64 s[18:19], s[14:15], -1
	s_and_b64 s[22:23], s[18:19], vcc
	s_and_saveexec_b64 s[18:19], s[22:23]
	s_cbranch_execz .LBB94_497
; %bb.496:
	v_ashrrev_i32_e32 v203, 31, v202
	v_lshl_add_u64 v[208:209], v[202:203], 2, v[200:201]
	global_load_dword v203, v[208:209], off
	global_load_dword v205, v[200:201], off offset:92
	s_waitcnt vmcnt(1)
	global_store_dword v[200:201], v203, off offset:92
	s_waitcnt vmcnt(1)
	global_store_dword v[208:209], v205, off
.LBB94_497:
	s_or_b64 exec, exec, s[18:19]
	v_mov_b32_e32 v205, v202
	v_mov_b32_e32 v207, v202
.LBB94_498:
	s_or_b64 exec, exec, s[16:17]
.LBB94_499:
	s_andn2_saveexec_b64 s[0:1], s[0:1]
	s_cbranch_execz .LBB94_501
; %bb.500:
	v_mov_b32_e32 v205, 23
	s_waitcnt vmcnt(23)
	ds_write2_b64 v204, v[88:89], v[90:91] offset0:48 offset1:49
	s_waitcnt vmcnt(22)
	ds_write2_b64 v204, v[84:85], v[86:87] offset0:50 offset1:51
	;; [unrolled: 2-line block ×24, first 2 shown]
.LBB94_501:
	s_or_b64 exec, exec, s[0:1]
	v_cmp_lt_i32_e32 vcc, 23, v205
	s_waitcnt lgkmcnt(0)
	s_barrier
	s_and_saveexec_b64 s[0:1], vcc
	s_cbranch_execz .LBB94_503
; %bb.502:
	ds_read2_b64 v[208:211], v204 offset0:48 offset1:49
	v_mul_f64 v[202:203], v[194:195], v[94:95]
	v_mul_f64 v[94:95], v[192:193], v[94:95]
	v_fma_f64 v[202:203], v[192:193], v[92:93], -v[202:203]
	v_fmac_f64_e32 v[94:95], v[194:195], v[92:93]
	ds_read2_b64 v[192:195], v204 offset0:50 offset1:51
	s_waitcnt lgkmcnt(1)
	v_mul_f64 v[92:93], v[210:211], v[94:95]
	v_fma_f64 v[92:93], v[208:209], v[202:203], -v[92:93]
	v_mul_f64 v[208:209], v[208:209], v[94:95]
	v_fmac_f64_e32 v[208:209], v[210:211], v[202:203]
	s_waitcnt vmcnt(23)
	v_add_f64 v[88:89], v[88:89], -v[92:93]
	s_waitcnt lgkmcnt(0)
	v_mul_f64 v[92:93], v[194:195], v[94:95]
	v_add_f64 v[90:91], v[90:91], -v[208:209]
	v_fma_f64 v[92:93], v[192:193], v[202:203], -v[92:93]
	v_mul_f64 v[192:193], v[192:193], v[94:95]
	ds_read2_b64 v[208:211], v204 offset0:52 offset1:53
	v_fmac_f64_e32 v[192:193], v[194:195], v[202:203]
	s_waitcnt vmcnt(22)
	v_add_f64 v[86:87], v[86:87], -v[192:193]
	ds_read2_b64 v[192:195], v204 offset0:54 offset1:55
	v_add_f64 v[84:85], v[84:85], -v[92:93]
	s_waitcnt lgkmcnt(1)
	v_mul_f64 v[92:93], v[210:211], v[94:95]
	v_fma_f64 v[92:93], v[208:209], v[202:203], -v[92:93]
	v_mul_f64 v[208:209], v[208:209], v[94:95]
	v_fmac_f64_e32 v[208:209], v[210:211], v[202:203]
	s_waitcnt vmcnt(21)
	v_add_f64 v[80:81], v[80:81], -v[92:93]
	s_waitcnt lgkmcnt(0)
	v_mul_f64 v[92:93], v[194:195], v[94:95]
	v_add_f64 v[82:83], v[82:83], -v[208:209]
	v_fma_f64 v[92:93], v[192:193], v[202:203], -v[92:93]
	v_mul_f64 v[192:193], v[192:193], v[94:95]
	ds_read2_b64 v[208:211], v204 offset0:56 offset1:57
	v_fmac_f64_e32 v[192:193], v[194:195], v[202:203]
	s_waitcnt vmcnt(20)
	v_add_f64 v[78:79], v[78:79], -v[192:193]
	ds_read2_b64 v[192:195], v204 offset0:58 offset1:59
	v_add_f64 v[76:77], v[76:77], -v[92:93]
	;; [unrolled: 18-line block ×11, first 2 shown]
	s_waitcnt lgkmcnt(1)
	v_mul_f64 v[92:93], v[210:211], v[94:95]
	v_fma_f64 v[92:93], v[208:209], v[202:203], -v[92:93]
	s_waitcnt vmcnt(1)
	v_add_f64 v[0:1], v[0:1], -v[92:93]
	s_waitcnt lgkmcnt(0)
	v_mul_f64 v[92:93], v[194:195], v[94:95]
	v_mul_f64 v[208:209], v[208:209], v[94:95]
	v_fma_f64 v[92:93], v[192:193], v[202:203], -v[92:93]
	v_mul_f64 v[192:193], v[192:193], v[94:95]
	v_fmac_f64_e32 v[208:209], v[210:211], v[202:203]
	v_fmac_f64_e32 v[192:193], v[194:195], v[202:203]
	v_add_f64 v[2:3], v[2:3], -v[208:209]
	s_waitcnt vmcnt(0)
	v_add_f64 v[188:189], v[188:189], -v[92:93]
	v_add_f64 v[190:191], v[190:191], -v[192:193]
	v_mov_b64_e32 v[92:93], v[202:203]
.LBB94_503:
	s_or_b64 exec, exec, s[0:1]
	v_lshl_add_u32 v192, v205, 4, v204
	s_barrier
	s_waitcnt vmcnt(23)
	ds_write2_b64 v192, v[88:89], v[90:91] offset1:1
	s_waitcnt lgkmcnt(0)
	s_barrier
	ds_read2_b64 v[192:195], v204 offset0:48 offset1:49
	s_cmp_lt_i32 s20, 26
	v_mov_b32_e32 v202, 24
	s_cbranch_scc1 .LBB94_506
; %bb.504:
	v_add_u32_e32 v203, 0x190, v204
	s_mov_b32 s16, 25
	v_mov_b32_e32 v202, 24
.LBB94_505:                             ; =>This Inner Loop Header: Depth=1
	ds_read2_b64 v[208:211], v203 offset1:1
	s_waitcnt lgkmcnt(1)
	v_xor_b32_e32 v213, 0x80000000, v193
	v_xor_b32_e32 v215, 0x80000000, v195
	v_cmp_gt_f64_e32 vcc, 0, v[194:195]
	v_cmp_gt_f64_e64 s[0:1], 0, v[192:193]
	v_mov_b32_e32 v212, v192
	v_mov_b32_e32 v214, v194
	v_cndmask_b32_e64 v213, v193, v213, s[0:1]
	v_cndmask_b32_e32 v215, v195, v215, vcc
	v_add_f64 v[212:213], v[212:213], v[214:215]
	s_waitcnt lgkmcnt(0)
	v_xor_b32_e32 v215, 0x80000000, v209
	v_xor_b32_e32 v217, 0x80000000, v211
	v_cmp_gt_f64_e32 vcc, 0, v[210:211]
	v_cmp_gt_f64_e64 s[0:1], 0, v[208:209]
	v_mov_b32_e32 v214, v208
	v_mov_b32_e32 v216, v210
	v_cndmask_b32_e64 v215, v209, v215, s[0:1]
	v_cndmask_b32_e32 v217, v211, v217, vcc
	v_add_f64 v[214:215], v[214:215], v[216:217]
	v_mov_b32_e32 v218, s16
	s_add_i32 s16, s16, 1
	v_cmp_lt_f64_e32 vcc, v[212:213], v[214:215]
	v_add_u32_e32 v203, 16, v203
	s_cmp_lg_u32 s20, s16
	v_cndmask_b32_e32 v193, v193, v209, vcc
	v_cndmask_b32_e32 v192, v192, v208, vcc
	;; [unrolled: 1-line block ×5, first 2 shown]
	s_cbranch_scc1 .LBB94_505
.LBB94_506:
	s_waitcnt lgkmcnt(0)
	v_cmp_eq_f64_e32 vcc, 0, v[192:193]
	v_cmp_eq_f64_e64 s[0:1], 0, v[194:195]
	s_and_b64 s[0:1], vcc, s[0:1]
	s_and_saveexec_b64 s[16:17], s[0:1]
	s_xor_b64 s[0:1], exec, s[16:17]
; %bb.507:
	v_cmp_ne_u32_e32 vcc, 0, v206
	s_nop 1
	v_cndmask_b32_e32 v206, 25, v206, vcc
; %bb.508:
	s_andn2_saveexec_b64 s[0:1], s[0:1]
	s_cbranch_execz .LBB94_514
; %bb.509:
	v_cmp_ngt_f64_e64 s[16:17], |v[192:193]|, |v[194:195]|
	s_and_saveexec_b64 s[18:19], s[16:17]
	s_xor_b64 s[16:17], exec, s[18:19]
	s_cbranch_execz .LBB94_511
; %bb.510:
	v_div_scale_f64 v[208:209], s[18:19], v[194:195], v[194:195], v[192:193]
	v_rcp_f64_e32 v[210:211], v[208:209]
	v_div_scale_f64 v[212:213], vcc, v[192:193], v[194:195], v[192:193]
	v_fma_f64 v[214:215], -v[208:209], v[210:211], 1.0
	v_fmac_f64_e32 v[210:211], v[210:211], v[214:215]
	v_fma_f64 v[214:215], -v[208:209], v[210:211], 1.0
	v_fmac_f64_e32 v[210:211], v[210:211], v[214:215]
	v_mul_f64 v[214:215], v[212:213], v[210:211]
	v_fma_f64 v[208:209], -v[208:209], v[214:215], v[212:213]
	v_div_fmas_f64 v[208:209], v[208:209], v[210:211], v[214:215]
	v_div_fixup_f64 v[208:209], v[208:209], v[194:195], v[192:193]
	v_fmac_f64_e32 v[194:195], v[192:193], v[208:209]
	v_div_scale_f64 v[192:193], s[18:19], v[194:195], v[194:195], 1.0
	v_rcp_f64_e32 v[210:211], v[192:193]
	s_nop 0
	v_fma_f64 v[212:213], -v[192:193], v[210:211], 1.0
	v_fmac_f64_e32 v[210:211], v[210:211], v[212:213]
	v_fma_f64 v[212:213], -v[192:193], v[210:211], 1.0
	v_fmac_f64_e32 v[210:211], v[210:211], v[212:213]
	v_div_scale_f64 v[212:213], vcc, 1.0, v[194:195], 1.0
	v_mul_f64 v[214:215], v[212:213], v[210:211]
	v_fma_f64 v[192:193], -v[192:193], v[214:215], v[212:213]
	s_nop 1
	v_div_fmas_f64 v[192:193], v[192:193], v[210:211], v[214:215]
	v_div_fixup_f64 v[194:195], v[192:193], v[194:195], 1.0
	v_mul_f64 v[192:193], v[208:209], v[194:195]
	v_xor_b32_e32 v195, 0x80000000, v195
.LBB94_511:
	s_andn2_saveexec_b64 s[16:17], s[16:17]
	s_cbranch_execz .LBB94_513
; %bb.512:
	v_div_scale_f64 v[208:209], s[18:19], v[192:193], v[192:193], v[194:195]
	v_rcp_f64_e32 v[210:211], v[208:209]
	v_div_scale_f64 v[212:213], vcc, v[194:195], v[192:193], v[194:195]
	v_fma_f64 v[214:215], -v[208:209], v[210:211], 1.0
	v_fmac_f64_e32 v[210:211], v[210:211], v[214:215]
	v_fma_f64 v[214:215], -v[208:209], v[210:211], 1.0
	v_fmac_f64_e32 v[210:211], v[210:211], v[214:215]
	v_mul_f64 v[214:215], v[212:213], v[210:211]
	v_fma_f64 v[208:209], -v[208:209], v[214:215], v[212:213]
	v_div_fmas_f64 v[208:209], v[208:209], v[210:211], v[214:215]
	v_div_fixup_f64 v[208:209], v[208:209], v[192:193], v[194:195]
	v_fmac_f64_e32 v[192:193], v[194:195], v[208:209]
	v_div_scale_f64 v[194:195], s[18:19], v[192:193], v[192:193], 1.0
	v_rcp_f64_e32 v[210:211], v[194:195]
	s_nop 0
	v_fma_f64 v[212:213], -v[194:195], v[210:211], 1.0
	v_fmac_f64_e32 v[210:211], v[210:211], v[212:213]
	v_fma_f64 v[212:213], -v[194:195], v[210:211], 1.0
	v_fmac_f64_e32 v[210:211], v[210:211], v[212:213]
	v_div_scale_f64 v[212:213], vcc, 1.0, v[192:193], 1.0
	v_mul_f64 v[214:215], v[212:213], v[210:211]
	v_fma_f64 v[194:195], -v[194:195], v[214:215], v[212:213]
	s_nop 1
	v_div_fmas_f64 v[194:195], v[194:195], v[210:211], v[214:215]
	v_div_fixup_f64 v[192:193], v[194:195], v[192:193], 1.0
	v_mul_f64 v[194:195], v[208:209], -v[192:193]
.LBB94_513:
	s_or_b64 exec, exec, s[16:17]
.LBB94_514:
	s_or_b64 exec, exec, s[0:1]
	v_cmp_ne_u32_e32 vcc, v205, v202
	s_and_saveexec_b64 s[0:1], vcc
	s_xor_b64 s[0:1], exec, s[0:1]
	s_cbranch_execz .LBB94_520
; %bb.515:
	v_cmp_eq_u32_e32 vcc, 24, v205
	s_and_saveexec_b64 s[16:17], vcc
	s_cbranch_execz .LBB94_519
; %bb.516:
	v_cmp_ne_u32_e32 vcc, 24, v202
	s_xor_b64 s[18:19], s[14:15], -1
	s_and_b64 s[22:23], s[18:19], vcc
	s_and_saveexec_b64 s[18:19], s[22:23]
	s_cbranch_execz .LBB94_518
; %bb.517:
	v_ashrrev_i32_e32 v203, 31, v202
	v_lshl_add_u64 v[208:209], v[202:203], 2, v[200:201]
	global_load_dword v203, v[208:209], off
	global_load_dword v205, v[200:201], off offset:96
	s_waitcnt vmcnt(1)
	global_store_dword v[200:201], v203, off offset:96
	s_waitcnt vmcnt(1)
	global_store_dword v[208:209], v205, off
.LBB94_518:
	s_or_b64 exec, exec, s[18:19]
	v_mov_b32_e32 v205, v202
	v_mov_b32_e32 v207, v202
.LBB94_519:
	s_or_b64 exec, exec, s[16:17]
.LBB94_520:
	s_andn2_saveexec_b64 s[0:1], s[0:1]
	s_cbranch_execz .LBB94_522
; %bb.521:
	v_mov_b32_e32 v205, 24
	s_waitcnt vmcnt(22)
	ds_write2_b64 v204, v[84:85], v[86:87] offset0:50 offset1:51
	s_waitcnt vmcnt(21)
	ds_write2_b64 v204, v[80:81], v[82:83] offset0:52 offset1:53
	;; [unrolled: 2-line block ×23, first 2 shown]
.LBB94_522:
	s_or_b64 exec, exec, s[0:1]
	v_cmp_lt_i32_e32 vcc, 24, v205
	s_waitcnt lgkmcnt(0)
	s_barrier
	s_and_saveexec_b64 s[0:1], vcc
	s_cbranch_execz .LBB94_524
; %bb.523:
	ds_read2_b64 v[208:211], v204 offset0:50 offset1:51
	v_mul_f64 v[202:203], v[194:195], v[90:91]
	v_mul_f64 v[90:91], v[192:193], v[90:91]
	v_fmac_f64_e32 v[90:91], v[194:195], v[88:89]
	v_fma_f64 v[202:203], v[192:193], v[88:89], -v[202:203]
	ds_read2_b64 v[192:195], v204 offset0:52 offset1:53
	s_waitcnt lgkmcnt(1)
	v_mul_f64 v[88:89], v[210:211], v[90:91]
	v_fma_f64 v[88:89], v[208:209], v[202:203], -v[88:89]
	v_mul_f64 v[208:209], v[208:209], v[90:91]
	v_fmac_f64_e32 v[208:209], v[210:211], v[202:203]
	s_waitcnt vmcnt(22)
	v_add_f64 v[86:87], v[86:87], -v[208:209]
	ds_read2_b64 v[208:211], v204 offset0:54 offset1:55
	v_add_f64 v[84:85], v[84:85], -v[88:89]
	s_waitcnt lgkmcnt(1)
	v_mul_f64 v[88:89], v[194:195], v[90:91]
	v_fma_f64 v[88:89], v[192:193], v[202:203], -v[88:89]
	v_mul_f64 v[192:193], v[192:193], v[90:91]
	v_fmac_f64_e32 v[192:193], v[194:195], v[202:203]
	s_waitcnt vmcnt(21)
	v_add_f64 v[80:81], v[80:81], -v[88:89]
	v_add_f64 v[82:83], v[82:83], -v[192:193]
	ds_read2_b64 v[192:195], v204 offset0:56 offset1:57
	s_waitcnt lgkmcnt(1)
	v_mul_f64 v[88:89], v[210:211], v[90:91]
	v_fma_f64 v[88:89], v[208:209], v[202:203], -v[88:89]
	v_mul_f64 v[208:209], v[208:209], v[90:91]
	v_fmac_f64_e32 v[208:209], v[210:211], v[202:203]
	s_waitcnt vmcnt(20)
	v_add_f64 v[78:79], v[78:79], -v[208:209]
	ds_read2_b64 v[208:211], v204 offset0:58 offset1:59
	v_add_f64 v[76:77], v[76:77], -v[88:89]
	s_waitcnt lgkmcnt(1)
	v_mul_f64 v[88:89], v[194:195], v[90:91]
	v_fma_f64 v[88:89], v[192:193], v[202:203], -v[88:89]
	v_mul_f64 v[192:193], v[192:193], v[90:91]
	v_fmac_f64_e32 v[192:193], v[194:195], v[202:203]
	s_waitcnt vmcnt(19)
	v_add_f64 v[72:73], v[72:73], -v[88:89]
	v_add_f64 v[74:75], v[74:75], -v[192:193]
	;; [unrolled: 18-line block ×11, first 2 shown]
	s_waitcnt lgkmcnt(0)
	v_mul_f64 v[88:89], v[210:211], v[90:91]
	v_mul_f64 v[192:193], v[208:209], v[90:91]
	v_fma_f64 v[88:89], v[208:209], v[202:203], -v[88:89]
	v_fmac_f64_e32 v[192:193], v[210:211], v[202:203]
	s_waitcnt vmcnt(0)
	v_add_f64 v[188:189], v[188:189], -v[88:89]
	v_add_f64 v[190:191], v[190:191], -v[192:193]
	v_mov_b64_e32 v[88:89], v[202:203]
.LBB94_524:
	s_or_b64 exec, exec, s[0:1]
	v_lshl_add_u32 v192, v205, 4, v204
	s_barrier
	s_waitcnt vmcnt(22)
	ds_write2_b64 v192, v[84:85], v[86:87] offset1:1
	s_waitcnt lgkmcnt(0)
	s_barrier
	ds_read2_b64 v[192:195], v204 offset0:50 offset1:51
	s_cmp_lt_i32 s20, 27
	v_mov_b32_e32 v202, 25
	s_cbranch_scc1 .LBB94_527
; %bb.525:
	v_add_u32_e32 v203, 0x1a0, v204
	s_mov_b32 s16, 26
	v_mov_b32_e32 v202, 25
.LBB94_526:                             ; =>This Inner Loop Header: Depth=1
	ds_read2_b64 v[208:211], v203 offset1:1
	s_waitcnt lgkmcnt(1)
	v_xor_b32_e32 v213, 0x80000000, v193
	v_xor_b32_e32 v215, 0x80000000, v195
	v_cmp_gt_f64_e32 vcc, 0, v[194:195]
	v_cmp_gt_f64_e64 s[0:1], 0, v[192:193]
	v_mov_b32_e32 v212, v192
	v_mov_b32_e32 v214, v194
	v_cndmask_b32_e64 v213, v193, v213, s[0:1]
	v_cndmask_b32_e32 v215, v195, v215, vcc
	v_add_f64 v[212:213], v[212:213], v[214:215]
	s_waitcnt lgkmcnt(0)
	v_xor_b32_e32 v215, 0x80000000, v209
	v_xor_b32_e32 v217, 0x80000000, v211
	v_cmp_gt_f64_e32 vcc, 0, v[210:211]
	v_cmp_gt_f64_e64 s[0:1], 0, v[208:209]
	v_mov_b32_e32 v214, v208
	v_mov_b32_e32 v216, v210
	v_cndmask_b32_e64 v215, v209, v215, s[0:1]
	v_cndmask_b32_e32 v217, v211, v217, vcc
	v_add_f64 v[214:215], v[214:215], v[216:217]
	v_mov_b32_e32 v218, s16
	s_add_i32 s16, s16, 1
	v_cmp_lt_f64_e32 vcc, v[212:213], v[214:215]
	v_add_u32_e32 v203, 16, v203
	s_cmp_lg_u32 s20, s16
	v_cndmask_b32_e32 v193, v193, v209, vcc
	v_cndmask_b32_e32 v192, v192, v208, vcc
	;; [unrolled: 1-line block ×5, first 2 shown]
	s_cbranch_scc1 .LBB94_526
.LBB94_527:
	s_waitcnt lgkmcnt(0)
	v_cmp_eq_f64_e32 vcc, 0, v[192:193]
	v_cmp_eq_f64_e64 s[0:1], 0, v[194:195]
	s_and_b64 s[0:1], vcc, s[0:1]
	s_and_saveexec_b64 s[16:17], s[0:1]
	s_xor_b64 s[0:1], exec, s[16:17]
; %bb.528:
	v_cmp_ne_u32_e32 vcc, 0, v206
	s_nop 1
	v_cndmask_b32_e32 v206, 26, v206, vcc
; %bb.529:
	s_andn2_saveexec_b64 s[0:1], s[0:1]
	s_cbranch_execz .LBB94_535
; %bb.530:
	v_cmp_ngt_f64_e64 s[16:17], |v[192:193]|, |v[194:195]|
	s_and_saveexec_b64 s[18:19], s[16:17]
	s_xor_b64 s[16:17], exec, s[18:19]
	s_cbranch_execz .LBB94_532
; %bb.531:
	v_div_scale_f64 v[208:209], s[18:19], v[194:195], v[194:195], v[192:193]
	v_rcp_f64_e32 v[210:211], v[208:209]
	v_div_scale_f64 v[212:213], vcc, v[192:193], v[194:195], v[192:193]
	v_fma_f64 v[214:215], -v[208:209], v[210:211], 1.0
	v_fmac_f64_e32 v[210:211], v[210:211], v[214:215]
	v_fma_f64 v[214:215], -v[208:209], v[210:211], 1.0
	v_fmac_f64_e32 v[210:211], v[210:211], v[214:215]
	v_mul_f64 v[214:215], v[212:213], v[210:211]
	v_fma_f64 v[208:209], -v[208:209], v[214:215], v[212:213]
	v_div_fmas_f64 v[208:209], v[208:209], v[210:211], v[214:215]
	v_div_fixup_f64 v[208:209], v[208:209], v[194:195], v[192:193]
	v_fmac_f64_e32 v[194:195], v[192:193], v[208:209]
	v_div_scale_f64 v[192:193], s[18:19], v[194:195], v[194:195], 1.0
	v_rcp_f64_e32 v[210:211], v[192:193]
	s_nop 0
	v_fma_f64 v[212:213], -v[192:193], v[210:211], 1.0
	v_fmac_f64_e32 v[210:211], v[210:211], v[212:213]
	v_fma_f64 v[212:213], -v[192:193], v[210:211], 1.0
	v_fmac_f64_e32 v[210:211], v[210:211], v[212:213]
	v_div_scale_f64 v[212:213], vcc, 1.0, v[194:195], 1.0
	v_mul_f64 v[214:215], v[212:213], v[210:211]
	v_fma_f64 v[192:193], -v[192:193], v[214:215], v[212:213]
	s_nop 1
	v_div_fmas_f64 v[192:193], v[192:193], v[210:211], v[214:215]
	v_div_fixup_f64 v[194:195], v[192:193], v[194:195], 1.0
	v_mul_f64 v[192:193], v[208:209], v[194:195]
	v_xor_b32_e32 v195, 0x80000000, v195
.LBB94_532:
	s_andn2_saveexec_b64 s[16:17], s[16:17]
	s_cbranch_execz .LBB94_534
; %bb.533:
	v_div_scale_f64 v[208:209], s[18:19], v[192:193], v[192:193], v[194:195]
	v_rcp_f64_e32 v[210:211], v[208:209]
	v_div_scale_f64 v[212:213], vcc, v[194:195], v[192:193], v[194:195]
	v_fma_f64 v[214:215], -v[208:209], v[210:211], 1.0
	v_fmac_f64_e32 v[210:211], v[210:211], v[214:215]
	v_fma_f64 v[214:215], -v[208:209], v[210:211], 1.0
	v_fmac_f64_e32 v[210:211], v[210:211], v[214:215]
	v_mul_f64 v[214:215], v[212:213], v[210:211]
	v_fma_f64 v[208:209], -v[208:209], v[214:215], v[212:213]
	v_div_fmas_f64 v[208:209], v[208:209], v[210:211], v[214:215]
	v_div_fixup_f64 v[208:209], v[208:209], v[192:193], v[194:195]
	v_fmac_f64_e32 v[192:193], v[194:195], v[208:209]
	v_div_scale_f64 v[194:195], s[18:19], v[192:193], v[192:193], 1.0
	v_rcp_f64_e32 v[210:211], v[194:195]
	s_nop 0
	v_fma_f64 v[212:213], -v[194:195], v[210:211], 1.0
	v_fmac_f64_e32 v[210:211], v[210:211], v[212:213]
	v_fma_f64 v[212:213], -v[194:195], v[210:211], 1.0
	v_fmac_f64_e32 v[210:211], v[210:211], v[212:213]
	v_div_scale_f64 v[212:213], vcc, 1.0, v[192:193], 1.0
	v_mul_f64 v[214:215], v[212:213], v[210:211]
	v_fma_f64 v[194:195], -v[194:195], v[214:215], v[212:213]
	s_nop 1
	v_div_fmas_f64 v[194:195], v[194:195], v[210:211], v[214:215]
	v_div_fixup_f64 v[192:193], v[194:195], v[192:193], 1.0
	v_mul_f64 v[194:195], v[208:209], -v[192:193]
.LBB94_534:
	s_or_b64 exec, exec, s[16:17]
.LBB94_535:
	s_or_b64 exec, exec, s[0:1]
	v_cmp_ne_u32_e32 vcc, v205, v202
	s_and_saveexec_b64 s[0:1], vcc
	s_xor_b64 s[0:1], exec, s[0:1]
	s_cbranch_execz .LBB94_541
; %bb.536:
	v_cmp_eq_u32_e32 vcc, 25, v205
	s_and_saveexec_b64 s[16:17], vcc
	s_cbranch_execz .LBB94_540
; %bb.537:
	v_cmp_ne_u32_e32 vcc, 25, v202
	s_xor_b64 s[18:19], s[14:15], -1
	s_and_b64 s[22:23], s[18:19], vcc
	s_and_saveexec_b64 s[18:19], s[22:23]
	s_cbranch_execz .LBB94_539
; %bb.538:
	v_ashrrev_i32_e32 v203, 31, v202
	v_lshl_add_u64 v[208:209], v[202:203], 2, v[200:201]
	global_load_dword v203, v[208:209], off
	global_load_dword v205, v[200:201], off offset:100
	s_waitcnt vmcnt(1)
	global_store_dword v[200:201], v203, off offset:100
	s_waitcnt vmcnt(1)
	global_store_dword v[208:209], v205, off
.LBB94_539:
	s_or_b64 exec, exec, s[18:19]
	v_mov_b32_e32 v205, v202
	v_mov_b32_e32 v207, v202
.LBB94_540:
	s_or_b64 exec, exec, s[16:17]
.LBB94_541:
	s_andn2_saveexec_b64 s[0:1], s[0:1]
	s_cbranch_execz .LBB94_543
; %bb.542:
	v_mov_b32_e32 v205, 25
	s_waitcnt vmcnt(21)
	ds_write2_b64 v204, v[80:81], v[82:83] offset0:52 offset1:53
	s_waitcnt vmcnt(20)
	ds_write2_b64 v204, v[76:77], v[78:79] offset0:54 offset1:55
	s_waitcnt vmcnt(19)
	ds_write2_b64 v204, v[72:73], v[74:75] offset0:56 offset1:57
	s_waitcnt vmcnt(18)
	ds_write2_b64 v204, v[68:69], v[70:71] offset0:58 offset1:59
	s_waitcnt vmcnt(17)
	ds_write2_b64 v204, v[64:65], v[66:67] offset0:60 offset1:61
	s_waitcnt vmcnt(16)
	ds_write2_b64 v204, v[60:61], v[62:63] offset0:62 offset1:63
	s_waitcnt vmcnt(15)
	ds_write2_b64 v204, v[56:57], v[58:59] offset0:64 offset1:65
	s_waitcnt vmcnt(14)
	ds_write2_b64 v204, v[52:53], v[54:55] offset0:66 offset1:67
	s_waitcnt vmcnt(13)
	ds_write2_b64 v204, v[48:49], v[50:51] offset0:68 offset1:69
	s_waitcnt vmcnt(12)
	ds_write2_b64 v204, v[44:45], v[46:47] offset0:70 offset1:71
	s_waitcnt vmcnt(11)
	ds_write2_b64 v204, v[40:41], v[42:43] offset0:72 offset1:73
	s_waitcnt vmcnt(10)
	ds_write2_b64 v204, v[36:37], v[38:39] offset0:74 offset1:75
	s_waitcnt vmcnt(9)
	ds_write2_b64 v204, v[32:33], v[34:35] offset0:76 offset1:77
	s_waitcnt vmcnt(8)
	ds_write2_b64 v204, v[28:29], v[30:31] offset0:78 offset1:79
	s_waitcnt vmcnt(7)
	ds_write2_b64 v204, v[24:25], v[26:27] offset0:80 offset1:81
	s_waitcnt vmcnt(6)
	ds_write2_b64 v204, v[20:21], v[22:23] offset0:82 offset1:83
	s_waitcnt vmcnt(5)
	ds_write2_b64 v204, v[16:17], v[18:19] offset0:84 offset1:85
	s_waitcnt vmcnt(4)
	ds_write2_b64 v204, v[12:13], v[14:15] offset0:86 offset1:87
	s_waitcnt vmcnt(3)
	ds_write2_b64 v204, v[8:9], v[10:11] offset0:88 offset1:89
	s_waitcnt vmcnt(2)
	ds_write2_b64 v204, v[4:5], v[6:7] offset0:90 offset1:91
	s_waitcnt vmcnt(1)
	ds_write2_b64 v204, v[0:1], v[2:3] offset0:92 offset1:93
	s_waitcnt vmcnt(0)
	ds_write2_b64 v204, v[188:189], v[190:191] offset0:94 offset1:95
.LBB94_543:
	s_or_b64 exec, exec, s[0:1]
	v_cmp_lt_i32_e32 vcc, 25, v205
	s_waitcnt lgkmcnt(0)
	s_barrier
	s_and_saveexec_b64 s[0:1], vcc
	s_cbranch_execz .LBB94_545
; %bb.544:
	ds_read2_b64 v[208:211], v204 offset0:52 offset1:53
	v_mul_f64 v[202:203], v[194:195], v[86:87]
	v_mul_f64 v[86:87], v[192:193], v[86:87]
	v_fma_f64 v[202:203], v[192:193], v[84:85], -v[202:203]
	v_fmac_f64_e32 v[86:87], v[194:195], v[84:85]
	ds_read2_b64 v[192:195], v204 offset0:54 offset1:55
	s_waitcnt lgkmcnt(1)
	v_mul_f64 v[84:85], v[210:211], v[86:87]
	v_fma_f64 v[84:85], v[208:209], v[202:203], -v[84:85]
	v_mul_f64 v[208:209], v[208:209], v[86:87]
	v_fmac_f64_e32 v[208:209], v[210:211], v[202:203]
	s_waitcnt vmcnt(21)
	v_add_f64 v[80:81], v[80:81], -v[84:85]
	s_waitcnt lgkmcnt(0)
	v_mul_f64 v[84:85], v[194:195], v[86:87]
	v_add_f64 v[82:83], v[82:83], -v[208:209]
	v_fma_f64 v[84:85], v[192:193], v[202:203], -v[84:85]
	v_mul_f64 v[192:193], v[192:193], v[86:87]
	ds_read2_b64 v[208:211], v204 offset0:56 offset1:57
	v_fmac_f64_e32 v[192:193], v[194:195], v[202:203]
	s_waitcnt vmcnt(20)
	v_add_f64 v[78:79], v[78:79], -v[192:193]
	ds_read2_b64 v[192:195], v204 offset0:58 offset1:59
	v_add_f64 v[76:77], v[76:77], -v[84:85]
	s_waitcnt lgkmcnt(1)
	v_mul_f64 v[84:85], v[210:211], v[86:87]
	v_fma_f64 v[84:85], v[208:209], v[202:203], -v[84:85]
	v_mul_f64 v[208:209], v[208:209], v[86:87]
	v_fmac_f64_e32 v[208:209], v[210:211], v[202:203]
	s_waitcnt vmcnt(19)
	v_add_f64 v[72:73], v[72:73], -v[84:85]
	s_waitcnt lgkmcnt(0)
	v_mul_f64 v[84:85], v[194:195], v[86:87]
	v_add_f64 v[74:75], v[74:75], -v[208:209]
	v_fma_f64 v[84:85], v[192:193], v[202:203], -v[84:85]
	v_mul_f64 v[192:193], v[192:193], v[86:87]
	ds_read2_b64 v[208:211], v204 offset0:60 offset1:61
	v_fmac_f64_e32 v[192:193], v[194:195], v[202:203]
	s_waitcnt vmcnt(18)
	v_add_f64 v[70:71], v[70:71], -v[192:193]
	ds_read2_b64 v[192:195], v204 offset0:62 offset1:63
	v_add_f64 v[68:69], v[68:69], -v[84:85]
	;; [unrolled: 18-line block ×10, first 2 shown]
	s_waitcnt lgkmcnt(1)
	v_mul_f64 v[84:85], v[210:211], v[86:87]
	v_fma_f64 v[84:85], v[208:209], v[202:203], -v[84:85]
	s_waitcnt vmcnt(1)
	v_add_f64 v[0:1], v[0:1], -v[84:85]
	s_waitcnt lgkmcnt(0)
	v_mul_f64 v[84:85], v[194:195], v[86:87]
	v_mul_f64 v[208:209], v[208:209], v[86:87]
	v_fma_f64 v[84:85], v[192:193], v[202:203], -v[84:85]
	v_mul_f64 v[192:193], v[192:193], v[86:87]
	v_fmac_f64_e32 v[208:209], v[210:211], v[202:203]
	v_fmac_f64_e32 v[192:193], v[194:195], v[202:203]
	v_add_f64 v[2:3], v[2:3], -v[208:209]
	s_waitcnt vmcnt(0)
	v_add_f64 v[188:189], v[188:189], -v[84:85]
	v_add_f64 v[190:191], v[190:191], -v[192:193]
	v_mov_b64_e32 v[84:85], v[202:203]
.LBB94_545:
	s_or_b64 exec, exec, s[0:1]
	v_lshl_add_u32 v192, v205, 4, v204
	s_barrier
	s_waitcnt vmcnt(21)
	ds_write2_b64 v192, v[80:81], v[82:83] offset1:1
	s_waitcnt lgkmcnt(0)
	s_barrier
	ds_read2_b64 v[192:195], v204 offset0:52 offset1:53
	s_cmp_lt_i32 s20, 28
	v_mov_b32_e32 v202, 26
	s_cbranch_scc1 .LBB94_548
; %bb.546:
	v_add_u32_e32 v203, 0x1b0, v204
	s_mov_b32 s16, 27
	v_mov_b32_e32 v202, 26
.LBB94_547:                             ; =>This Inner Loop Header: Depth=1
	ds_read2_b64 v[208:211], v203 offset1:1
	s_waitcnt lgkmcnt(1)
	v_xor_b32_e32 v213, 0x80000000, v193
	v_xor_b32_e32 v215, 0x80000000, v195
	v_cmp_gt_f64_e32 vcc, 0, v[194:195]
	v_cmp_gt_f64_e64 s[0:1], 0, v[192:193]
	v_mov_b32_e32 v212, v192
	v_mov_b32_e32 v214, v194
	v_cndmask_b32_e64 v213, v193, v213, s[0:1]
	v_cndmask_b32_e32 v215, v195, v215, vcc
	v_add_f64 v[212:213], v[212:213], v[214:215]
	s_waitcnt lgkmcnt(0)
	v_xor_b32_e32 v215, 0x80000000, v209
	v_xor_b32_e32 v217, 0x80000000, v211
	v_cmp_gt_f64_e32 vcc, 0, v[210:211]
	v_cmp_gt_f64_e64 s[0:1], 0, v[208:209]
	v_mov_b32_e32 v214, v208
	v_mov_b32_e32 v216, v210
	v_cndmask_b32_e64 v215, v209, v215, s[0:1]
	v_cndmask_b32_e32 v217, v211, v217, vcc
	v_add_f64 v[214:215], v[214:215], v[216:217]
	v_mov_b32_e32 v218, s16
	s_add_i32 s16, s16, 1
	v_cmp_lt_f64_e32 vcc, v[212:213], v[214:215]
	v_add_u32_e32 v203, 16, v203
	s_cmp_lg_u32 s20, s16
	v_cndmask_b32_e32 v193, v193, v209, vcc
	v_cndmask_b32_e32 v192, v192, v208, vcc
	;; [unrolled: 1-line block ×5, first 2 shown]
	s_cbranch_scc1 .LBB94_547
.LBB94_548:
	s_waitcnt lgkmcnt(0)
	v_cmp_eq_f64_e32 vcc, 0, v[192:193]
	v_cmp_eq_f64_e64 s[0:1], 0, v[194:195]
	s_and_b64 s[0:1], vcc, s[0:1]
	s_and_saveexec_b64 s[16:17], s[0:1]
	s_xor_b64 s[0:1], exec, s[16:17]
; %bb.549:
	v_cmp_ne_u32_e32 vcc, 0, v206
	s_nop 1
	v_cndmask_b32_e32 v206, 27, v206, vcc
; %bb.550:
	s_andn2_saveexec_b64 s[0:1], s[0:1]
	s_cbranch_execz .LBB94_556
; %bb.551:
	v_cmp_ngt_f64_e64 s[16:17], |v[192:193]|, |v[194:195]|
	s_and_saveexec_b64 s[18:19], s[16:17]
	s_xor_b64 s[16:17], exec, s[18:19]
	s_cbranch_execz .LBB94_553
; %bb.552:
	v_div_scale_f64 v[208:209], s[18:19], v[194:195], v[194:195], v[192:193]
	v_rcp_f64_e32 v[210:211], v[208:209]
	v_div_scale_f64 v[212:213], vcc, v[192:193], v[194:195], v[192:193]
	v_fma_f64 v[214:215], -v[208:209], v[210:211], 1.0
	v_fmac_f64_e32 v[210:211], v[210:211], v[214:215]
	v_fma_f64 v[214:215], -v[208:209], v[210:211], 1.0
	v_fmac_f64_e32 v[210:211], v[210:211], v[214:215]
	v_mul_f64 v[214:215], v[212:213], v[210:211]
	v_fma_f64 v[208:209], -v[208:209], v[214:215], v[212:213]
	v_div_fmas_f64 v[208:209], v[208:209], v[210:211], v[214:215]
	v_div_fixup_f64 v[208:209], v[208:209], v[194:195], v[192:193]
	v_fmac_f64_e32 v[194:195], v[192:193], v[208:209]
	v_div_scale_f64 v[192:193], s[18:19], v[194:195], v[194:195], 1.0
	v_rcp_f64_e32 v[210:211], v[192:193]
	s_nop 0
	v_fma_f64 v[212:213], -v[192:193], v[210:211], 1.0
	v_fmac_f64_e32 v[210:211], v[210:211], v[212:213]
	v_fma_f64 v[212:213], -v[192:193], v[210:211], 1.0
	v_fmac_f64_e32 v[210:211], v[210:211], v[212:213]
	v_div_scale_f64 v[212:213], vcc, 1.0, v[194:195], 1.0
	v_mul_f64 v[214:215], v[212:213], v[210:211]
	v_fma_f64 v[192:193], -v[192:193], v[214:215], v[212:213]
	s_nop 1
	v_div_fmas_f64 v[192:193], v[192:193], v[210:211], v[214:215]
	v_div_fixup_f64 v[194:195], v[192:193], v[194:195], 1.0
	v_mul_f64 v[192:193], v[208:209], v[194:195]
	v_xor_b32_e32 v195, 0x80000000, v195
.LBB94_553:
	s_andn2_saveexec_b64 s[16:17], s[16:17]
	s_cbranch_execz .LBB94_555
; %bb.554:
	v_div_scale_f64 v[208:209], s[18:19], v[192:193], v[192:193], v[194:195]
	v_rcp_f64_e32 v[210:211], v[208:209]
	v_div_scale_f64 v[212:213], vcc, v[194:195], v[192:193], v[194:195]
	v_fma_f64 v[214:215], -v[208:209], v[210:211], 1.0
	v_fmac_f64_e32 v[210:211], v[210:211], v[214:215]
	v_fma_f64 v[214:215], -v[208:209], v[210:211], 1.0
	v_fmac_f64_e32 v[210:211], v[210:211], v[214:215]
	v_mul_f64 v[214:215], v[212:213], v[210:211]
	v_fma_f64 v[208:209], -v[208:209], v[214:215], v[212:213]
	v_div_fmas_f64 v[208:209], v[208:209], v[210:211], v[214:215]
	v_div_fixup_f64 v[208:209], v[208:209], v[192:193], v[194:195]
	v_fmac_f64_e32 v[192:193], v[194:195], v[208:209]
	v_div_scale_f64 v[194:195], s[18:19], v[192:193], v[192:193], 1.0
	v_rcp_f64_e32 v[210:211], v[194:195]
	s_nop 0
	v_fma_f64 v[212:213], -v[194:195], v[210:211], 1.0
	v_fmac_f64_e32 v[210:211], v[210:211], v[212:213]
	v_fma_f64 v[212:213], -v[194:195], v[210:211], 1.0
	v_fmac_f64_e32 v[210:211], v[210:211], v[212:213]
	v_div_scale_f64 v[212:213], vcc, 1.0, v[192:193], 1.0
	v_mul_f64 v[214:215], v[212:213], v[210:211]
	v_fma_f64 v[194:195], -v[194:195], v[214:215], v[212:213]
	s_nop 1
	v_div_fmas_f64 v[194:195], v[194:195], v[210:211], v[214:215]
	v_div_fixup_f64 v[192:193], v[194:195], v[192:193], 1.0
	v_mul_f64 v[194:195], v[208:209], -v[192:193]
.LBB94_555:
	s_or_b64 exec, exec, s[16:17]
.LBB94_556:
	s_or_b64 exec, exec, s[0:1]
	v_cmp_ne_u32_e32 vcc, v205, v202
	s_and_saveexec_b64 s[0:1], vcc
	s_xor_b64 s[0:1], exec, s[0:1]
	s_cbranch_execz .LBB94_562
; %bb.557:
	v_cmp_eq_u32_e32 vcc, 26, v205
	s_and_saveexec_b64 s[16:17], vcc
	s_cbranch_execz .LBB94_561
; %bb.558:
	v_cmp_ne_u32_e32 vcc, 26, v202
	s_xor_b64 s[18:19], s[14:15], -1
	s_and_b64 s[22:23], s[18:19], vcc
	s_and_saveexec_b64 s[18:19], s[22:23]
	s_cbranch_execz .LBB94_560
; %bb.559:
	v_ashrrev_i32_e32 v203, 31, v202
	v_lshl_add_u64 v[208:209], v[202:203], 2, v[200:201]
	global_load_dword v203, v[208:209], off
	global_load_dword v205, v[200:201], off offset:104
	s_waitcnt vmcnt(1)
	global_store_dword v[200:201], v203, off offset:104
	s_waitcnt vmcnt(1)
	global_store_dword v[208:209], v205, off
.LBB94_560:
	s_or_b64 exec, exec, s[18:19]
	v_mov_b32_e32 v205, v202
	v_mov_b32_e32 v207, v202
.LBB94_561:
	s_or_b64 exec, exec, s[16:17]
.LBB94_562:
	s_andn2_saveexec_b64 s[0:1], s[0:1]
	s_cbranch_execz .LBB94_564
; %bb.563:
	v_mov_b32_e32 v205, 26
	s_waitcnt vmcnt(20)
	ds_write2_b64 v204, v[76:77], v[78:79] offset0:54 offset1:55
	s_waitcnt vmcnt(19)
	ds_write2_b64 v204, v[72:73], v[74:75] offset0:56 offset1:57
	;; [unrolled: 2-line block ×21, first 2 shown]
.LBB94_564:
	s_or_b64 exec, exec, s[0:1]
	v_cmp_lt_i32_e32 vcc, 26, v205
	s_waitcnt lgkmcnt(0)
	s_barrier
	s_and_saveexec_b64 s[0:1], vcc
	s_cbranch_execz .LBB94_566
; %bb.565:
	ds_read2_b64 v[208:211], v204 offset0:54 offset1:55
	v_mul_f64 v[202:203], v[194:195], v[82:83]
	v_mul_f64 v[82:83], v[192:193], v[82:83]
	v_fmac_f64_e32 v[82:83], v[194:195], v[80:81]
	v_fma_f64 v[202:203], v[192:193], v[80:81], -v[202:203]
	ds_read2_b64 v[192:195], v204 offset0:56 offset1:57
	s_waitcnt lgkmcnt(1)
	v_mul_f64 v[80:81], v[210:211], v[82:83]
	v_fma_f64 v[80:81], v[208:209], v[202:203], -v[80:81]
	v_mul_f64 v[208:209], v[208:209], v[82:83]
	v_fmac_f64_e32 v[208:209], v[210:211], v[202:203]
	s_waitcnt vmcnt(20)
	v_add_f64 v[78:79], v[78:79], -v[208:209]
	ds_read2_b64 v[208:211], v204 offset0:58 offset1:59
	v_add_f64 v[76:77], v[76:77], -v[80:81]
	s_waitcnt lgkmcnt(1)
	v_mul_f64 v[80:81], v[194:195], v[82:83]
	v_fma_f64 v[80:81], v[192:193], v[202:203], -v[80:81]
	v_mul_f64 v[192:193], v[192:193], v[82:83]
	v_fmac_f64_e32 v[192:193], v[194:195], v[202:203]
	s_waitcnt vmcnt(19)
	v_add_f64 v[72:73], v[72:73], -v[80:81]
	v_add_f64 v[74:75], v[74:75], -v[192:193]
	ds_read2_b64 v[192:195], v204 offset0:60 offset1:61
	s_waitcnt lgkmcnt(1)
	v_mul_f64 v[80:81], v[210:211], v[82:83]
	v_fma_f64 v[80:81], v[208:209], v[202:203], -v[80:81]
	v_mul_f64 v[208:209], v[208:209], v[82:83]
	v_fmac_f64_e32 v[208:209], v[210:211], v[202:203]
	s_waitcnt vmcnt(18)
	v_add_f64 v[70:71], v[70:71], -v[208:209]
	ds_read2_b64 v[208:211], v204 offset0:62 offset1:63
	v_add_f64 v[68:69], v[68:69], -v[80:81]
	s_waitcnt lgkmcnt(1)
	v_mul_f64 v[80:81], v[194:195], v[82:83]
	v_fma_f64 v[80:81], v[192:193], v[202:203], -v[80:81]
	v_mul_f64 v[192:193], v[192:193], v[82:83]
	v_fmac_f64_e32 v[192:193], v[194:195], v[202:203]
	s_waitcnt vmcnt(17)
	v_add_f64 v[64:65], v[64:65], -v[80:81]
	v_add_f64 v[66:67], v[66:67], -v[192:193]
	;; [unrolled: 18-line block ×10, first 2 shown]
	s_waitcnt lgkmcnt(0)
	v_mul_f64 v[80:81], v[210:211], v[82:83]
	v_mul_f64 v[192:193], v[208:209], v[82:83]
	v_fma_f64 v[80:81], v[208:209], v[202:203], -v[80:81]
	v_fmac_f64_e32 v[192:193], v[210:211], v[202:203]
	s_waitcnt vmcnt(0)
	v_add_f64 v[188:189], v[188:189], -v[80:81]
	v_add_f64 v[190:191], v[190:191], -v[192:193]
	v_mov_b64_e32 v[80:81], v[202:203]
.LBB94_566:
	s_or_b64 exec, exec, s[0:1]
	v_lshl_add_u32 v192, v205, 4, v204
	s_barrier
	s_waitcnt vmcnt(20)
	ds_write2_b64 v192, v[76:77], v[78:79] offset1:1
	s_waitcnt lgkmcnt(0)
	s_barrier
	ds_read2_b64 v[192:195], v204 offset0:54 offset1:55
	s_cmp_lt_i32 s20, 29
	v_mov_b32_e32 v202, 27
	s_cbranch_scc1 .LBB94_569
; %bb.567:
	v_add_u32_e32 v203, 0x1c0, v204
	s_mov_b32 s16, 28
	v_mov_b32_e32 v202, 27
.LBB94_568:                             ; =>This Inner Loop Header: Depth=1
	ds_read2_b64 v[208:211], v203 offset1:1
	s_waitcnt lgkmcnt(1)
	v_xor_b32_e32 v213, 0x80000000, v193
	v_xor_b32_e32 v215, 0x80000000, v195
	v_cmp_gt_f64_e32 vcc, 0, v[194:195]
	v_cmp_gt_f64_e64 s[0:1], 0, v[192:193]
	v_mov_b32_e32 v212, v192
	v_mov_b32_e32 v214, v194
	v_cndmask_b32_e64 v213, v193, v213, s[0:1]
	v_cndmask_b32_e32 v215, v195, v215, vcc
	v_add_f64 v[212:213], v[212:213], v[214:215]
	s_waitcnt lgkmcnt(0)
	v_xor_b32_e32 v215, 0x80000000, v209
	v_xor_b32_e32 v217, 0x80000000, v211
	v_cmp_gt_f64_e32 vcc, 0, v[210:211]
	v_cmp_gt_f64_e64 s[0:1], 0, v[208:209]
	v_mov_b32_e32 v214, v208
	v_mov_b32_e32 v216, v210
	v_cndmask_b32_e64 v215, v209, v215, s[0:1]
	v_cndmask_b32_e32 v217, v211, v217, vcc
	v_add_f64 v[214:215], v[214:215], v[216:217]
	v_mov_b32_e32 v218, s16
	s_add_i32 s16, s16, 1
	v_cmp_lt_f64_e32 vcc, v[212:213], v[214:215]
	v_add_u32_e32 v203, 16, v203
	s_cmp_lg_u32 s20, s16
	v_cndmask_b32_e32 v193, v193, v209, vcc
	v_cndmask_b32_e32 v192, v192, v208, vcc
	;; [unrolled: 1-line block ×5, first 2 shown]
	s_cbranch_scc1 .LBB94_568
.LBB94_569:
	s_waitcnt lgkmcnt(0)
	v_cmp_eq_f64_e32 vcc, 0, v[192:193]
	v_cmp_eq_f64_e64 s[0:1], 0, v[194:195]
	s_and_b64 s[0:1], vcc, s[0:1]
	s_and_saveexec_b64 s[16:17], s[0:1]
	s_xor_b64 s[0:1], exec, s[16:17]
; %bb.570:
	v_cmp_ne_u32_e32 vcc, 0, v206
	s_nop 1
	v_cndmask_b32_e32 v206, 28, v206, vcc
; %bb.571:
	s_andn2_saveexec_b64 s[0:1], s[0:1]
	s_cbranch_execz .LBB94_577
; %bb.572:
	v_cmp_ngt_f64_e64 s[16:17], |v[192:193]|, |v[194:195]|
	s_and_saveexec_b64 s[18:19], s[16:17]
	s_xor_b64 s[16:17], exec, s[18:19]
	s_cbranch_execz .LBB94_574
; %bb.573:
	v_div_scale_f64 v[208:209], s[18:19], v[194:195], v[194:195], v[192:193]
	v_rcp_f64_e32 v[210:211], v[208:209]
	v_div_scale_f64 v[212:213], vcc, v[192:193], v[194:195], v[192:193]
	v_fma_f64 v[214:215], -v[208:209], v[210:211], 1.0
	v_fmac_f64_e32 v[210:211], v[210:211], v[214:215]
	v_fma_f64 v[214:215], -v[208:209], v[210:211], 1.0
	v_fmac_f64_e32 v[210:211], v[210:211], v[214:215]
	v_mul_f64 v[214:215], v[212:213], v[210:211]
	v_fma_f64 v[208:209], -v[208:209], v[214:215], v[212:213]
	v_div_fmas_f64 v[208:209], v[208:209], v[210:211], v[214:215]
	v_div_fixup_f64 v[208:209], v[208:209], v[194:195], v[192:193]
	v_fmac_f64_e32 v[194:195], v[192:193], v[208:209]
	v_div_scale_f64 v[192:193], s[18:19], v[194:195], v[194:195], 1.0
	v_rcp_f64_e32 v[210:211], v[192:193]
	s_nop 0
	v_fma_f64 v[212:213], -v[192:193], v[210:211], 1.0
	v_fmac_f64_e32 v[210:211], v[210:211], v[212:213]
	v_fma_f64 v[212:213], -v[192:193], v[210:211], 1.0
	v_fmac_f64_e32 v[210:211], v[210:211], v[212:213]
	v_div_scale_f64 v[212:213], vcc, 1.0, v[194:195], 1.0
	v_mul_f64 v[214:215], v[212:213], v[210:211]
	v_fma_f64 v[192:193], -v[192:193], v[214:215], v[212:213]
	s_nop 1
	v_div_fmas_f64 v[192:193], v[192:193], v[210:211], v[214:215]
	v_div_fixup_f64 v[194:195], v[192:193], v[194:195], 1.0
	v_mul_f64 v[192:193], v[208:209], v[194:195]
	v_xor_b32_e32 v195, 0x80000000, v195
.LBB94_574:
	s_andn2_saveexec_b64 s[16:17], s[16:17]
	s_cbranch_execz .LBB94_576
; %bb.575:
	v_div_scale_f64 v[208:209], s[18:19], v[192:193], v[192:193], v[194:195]
	v_rcp_f64_e32 v[210:211], v[208:209]
	v_div_scale_f64 v[212:213], vcc, v[194:195], v[192:193], v[194:195]
	v_fma_f64 v[214:215], -v[208:209], v[210:211], 1.0
	v_fmac_f64_e32 v[210:211], v[210:211], v[214:215]
	v_fma_f64 v[214:215], -v[208:209], v[210:211], 1.0
	v_fmac_f64_e32 v[210:211], v[210:211], v[214:215]
	v_mul_f64 v[214:215], v[212:213], v[210:211]
	v_fma_f64 v[208:209], -v[208:209], v[214:215], v[212:213]
	v_div_fmas_f64 v[208:209], v[208:209], v[210:211], v[214:215]
	v_div_fixup_f64 v[208:209], v[208:209], v[192:193], v[194:195]
	v_fmac_f64_e32 v[192:193], v[194:195], v[208:209]
	v_div_scale_f64 v[194:195], s[18:19], v[192:193], v[192:193], 1.0
	v_rcp_f64_e32 v[210:211], v[194:195]
	s_nop 0
	v_fma_f64 v[212:213], -v[194:195], v[210:211], 1.0
	v_fmac_f64_e32 v[210:211], v[210:211], v[212:213]
	v_fma_f64 v[212:213], -v[194:195], v[210:211], 1.0
	v_fmac_f64_e32 v[210:211], v[210:211], v[212:213]
	v_div_scale_f64 v[212:213], vcc, 1.0, v[192:193], 1.0
	v_mul_f64 v[214:215], v[212:213], v[210:211]
	v_fma_f64 v[194:195], -v[194:195], v[214:215], v[212:213]
	s_nop 1
	v_div_fmas_f64 v[194:195], v[194:195], v[210:211], v[214:215]
	v_div_fixup_f64 v[192:193], v[194:195], v[192:193], 1.0
	v_mul_f64 v[194:195], v[208:209], -v[192:193]
.LBB94_576:
	s_or_b64 exec, exec, s[16:17]
.LBB94_577:
	s_or_b64 exec, exec, s[0:1]
	v_cmp_ne_u32_e32 vcc, v205, v202
	s_and_saveexec_b64 s[0:1], vcc
	s_xor_b64 s[0:1], exec, s[0:1]
	s_cbranch_execz .LBB94_583
; %bb.578:
	v_cmp_eq_u32_e32 vcc, 27, v205
	s_and_saveexec_b64 s[16:17], vcc
	s_cbranch_execz .LBB94_582
; %bb.579:
	v_cmp_ne_u32_e32 vcc, 27, v202
	s_xor_b64 s[18:19], s[14:15], -1
	s_and_b64 s[22:23], s[18:19], vcc
	s_and_saveexec_b64 s[18:19], s[22:23]
	s_cbranch_execz .LBB94_581
; %bb.580:
	v_ashrrev_i32_e32 v203, 31, v202
	v_lshl_add_u64 v[208:209], v[202:203], 2, v[200:201]
	global_load_dword v203, v[208:209], off
	global_load_dword v205, v[200:201], off offset:108
	s_waitcnt vmcnt(1)
	global_store_dword v[200:201], v203, off offset:108
	s_waitcnt vmcnt(1)
	global_store_dword v[208:209], v205, off
.LBB94_581:
	s_or_b64 exec, exec, s[18:19]
	v_mov_b32_e32 v205, v202
	v_mov_b32_e32 v207, v202
.LBB94_582:
	s_or_b64 exec, exec, s[16:17]
.LBB94_583:
	s_andn2_saveexec_b64 s[0:1], s[0:1]
	s_cbranch_execz .LBB94_585
; %bb.584:
	v_mov_b32_e32 v205, 27
	s_waitcnt vmcnt(19)
	ds_write2_b64 v204, v[72:73], v[74:75] offset0:56 offset1:57
	s_waitcnt vmcnt(18)
	ds_write2_b64 v204, v[68:69], v[70:71] offset0:58 offset1:59
	;; [unrolled: 2-line block ×20, first 2 shown]
.LBB94_585:
	s_or_b64 exec, exec, s[0:1]
	v_cmp_lt_i32_e32 vcc, 27, v205
	s_waitcnt lgkmcnt(0)
	s_barrier
	s_and_saveexec_b64 s[0:1], vcc
	s_cbranch_execz .LBB94_587
; %bb.586:
	ds_read2_b64 v[208:211], v204 offset0:56 offset1:57
	v_mul_f64 v[202:203], v[194:195], v[78:79]
	v_mul_f64 v[78:79], v[192:193], v[78:79]
	v_fma_f64 v[202:203], v[192:193], v[76:77], -v[202:203]
	v_fmac_f64_e32 v[78:79], v[194:195], v[76:77]
	ds_read2_b64 v[192:195], v204 offset0:58 offset1:59
	s_waitcnt lgkmcnt(1)
	v_mul_f64 v[76:77], v[210:211], v[78:79]
	v_fma_f64 v[76:77], v[208:209], v[202:203], -v[76:77]
	v_mul_f64 v[208:209], v[208:209], v[78:79]
	v_fmac_f64_e32 v[208:209], v[210:211], v[202:203]
	s_waitcnt vmcnt(19)
	v_add_f64 v[72:73], v[72:73], -v[76:77]
	s_waitcnt lgkmcnt(0)
	v_mul_f64 v[76:77], v[194:195], v[78:79]
	v_add_f64 v[74:75], v[74:75], -v[208:209]
	v_fma_f64 v[76:77], v[192:193], v[202:203], -v[76:77]
	v_mul_f64 v[192:193], v[192:193], v[78:79]
	ds_read2_b64 v[208:211], v204 offset0:60 offset1:61
	v_fmac_f64_e32 v[192:193], v[194:195], v[202:203]
	s_waitcnt vmcnt(18)
	v_add_f64 v[70:71], v[70:71], -v[192:193]
	ds_read2_b64 v[192:195], v204 offset0:62 offset1:63
	v_add_f64 v[68:69], v[68:69], -v[76:77]
	s_waitcnt lgkmcnt(1)
	v_mul_f64 v[76:77], v[210:211], v[78:79]
	v_fma_f64 v[76:77], v[208:209], v[202:203], -v[76:77]
	v_mul_f64 v[208:209], v[208:209], v[78:79]
	v_fmac_f64_e32 v[208:209], v[210:211], v[202:203]
	s_waitcnt vmcnt(17)
	v_add_f64 v[64:65], v[64:65], -v[76:77]
	s_waitcnt lgkmcnt(0)
	v_mul_f64 v[76:77], v[194:195], v[78:79]
	v_add_f64 v[66:67], v[66:67], -v[208:209]
	v_fma_f64 v[76:77], v[192:193], v[202:203], -v[76:77]
	v_mul_f64 v[192:193], v[192:193], v[78:79]
	ds_read2_b64 v[208:211], v204 offset0:64 offset1:65
	v_fmac_f64_e32 v[192:193], v[194:195], v[202:203]
	s_waitcnt vmcnt(16)
	v_add_f64 v[62:63], v[62:63], -v[192:193]
	ds_read2_b64 v[192:195], v204 offset0:66 offset1:67
	v_add_f64 v[60:61], v[60:61], -v[76:77]
	;; [unrolled: 18-line block ×9, first 2 shown]
	s_waitcnt lgkmcnt(1)
	v_mul_f64 v[76:77], v[210:211], v[78:79]
	v_fma_f64 v[76:77], v[208:209], v[202:203], -v[76:77]
	s_waitcnt vmcnt(1)
	v_add_f64 v[0:1], v[0:1], -v[76:77]
	s_waitcnt lgkmcnt(0)
	v_mul_f64 v[76:77], v[194:195], v[78:79]
	v_mul_f64 v[208:209], v[208:209], v[78:79]
	v_fma_f64 v[76:77], v[192:193], v[202:203], -v[76:77]
	v_mul_f64 v[192:193], v[192:193], v[78:79]
	v_fmac_f64_e32 v[208:209], v[210:211], v[202:203]
	v_fmac_f64_e32 v[192:193], v[194:195], v[202:203]
	v_add_f64 v[2:3], v[2:3], -v[208:209]
	s_waitcnt vmcnt(0)
	v_add_f64 v[188:189], v[188:189], -v[76:77]
	v_add_f64 v[190:191], v[190:191], -v[192:193]
	v_mov_b64_e32 v[76:77], v[202:203]
.LBB94_587:
	s_or_b64 exec, exec, s[0:1]
	v_lshl_add_u32 v192, v205, 4, v204
	s_barrier
	s_waitcnt vmcnt(19)
	ds_write2_b64 v192, v[72:73], v[74:75] offset1:1
	s_waitcnt lgkmcnt(0)
	s_barrier
	ds_read2_b64 v[192:195], v204 offset0:56 offset1:57
	s_cmp_lt_i32 s20, 30
	v_mov_b32_e32 v202, 28
	s_cbranch_scc1 .LBB94_590
; %bb.588:
	v_add_u32_e32 v203, 0x1d0, v204
	s_mov_b32 s16, 29
	v_mov_b32_e32 v202, 28
.LBB94_589:                             ; =>This Inner Loop Header: Depth=1
	ds_read2_b64 v[208:211], v203 offset1:1
	s_waitcnt lgkmcnt(1)
	v_xor_b32_e32 v213, 0x80000000, v193
	v_xor_b32_e32 v215, 0x80000000, v195
	v_cmp_gt_f64_e32 vcc, 0, v[194:195]
	v_cmp_gt_f64_e64 s[0:1], 0, v[192:193]
	v_mov_b32_e32 v212, v192
	v_mov_b32_e32 v214, v194
	v_cndmask_b32_e64 v213, v193, v213, s[0:1]
	v_cndmask_b32_e32 v215, v195, v215, vcc
	v_add_f64 v[212:213], v[212:213], v[214:215]
	s_waitcnt lgkmcnt(0)
	v_xor_b32_e32 v215, 0x80000000, v209
	v_xor_b32_e32 v217, 0x80000000, v211
	v_cmp_gt_f64_e32 vcc, 0, v[210:211]
	v_cmp_gt_f64_e64 s[0:1], 0, v[208:209]
	v_mov_b32_e32 v214, v208
	v_mov_b32_e32 v216, v210
	v_cndmask_b32_e64 v215, v209, v215, s[0:1]
	v_cndmask_b32_e32 v217, v211, v217, vcc
	v_add_f64 v[214:215], v[214:215], v[216:217]
	v_mov_b32_e32 v218, s16
	s_add_i32 s16, s16, 1
	v_cmp_lt_f64_e32 vcc, v[212:213], v[214:215]
	v_add_u32_e32 v203, 16, v203
	s_cmp_lg_u32 s20, s16
	v_cndmask_b32_e32 v193, v193, v209, vcc
	v_cndmask_b32_e32 v192, v192, v208, vcc
	;; [unrolled: 1-line block ×5, first 2 shown]
	s_cbranch_scc1 .LBB94_589
.LBB94_590:
	s_waitcnt lgkmcnt(0)
	v_cmp_eq_f64_e32 vcc, 0, v[192:193]
	v_cmp_eq_f64_e64 s[0:1], 0, v[194:195]
	s_and_b64 s[0:1], vcc, s[0:1]
	s_and_saveexec_b64 s[16:17], s[0:1]
	s_xor_b64 s[0:1], exec, s[16:17]
; %bb.591:
	v_cmp_ne_u32_e32 vcc, 0, v206
	s_nop 1
	v_cndmask_b32_e32 v206, 29, v206, vcc
; %bb.592:
	s_andn2_saveexec_b64 s[0:1], s[0:1]
	s_cbranch_execz .LBB94_598
; %bb.593:
	v_cmp_ngt_f64_e64 s[16:17], |v[192:193]|, |v[194:195]|
	s_and_saveexec_b64 s[18:19], s[16:17]
	s_xor_b64 s[16:17], exec, s[18:19]
	s_cbranch_execz .LBB94_595
; %bb.594:
	v_div_scale_f64 v[208:209], s[18:19], v[194:195], v[194:195], v[192:193]
	v_rcp_f64_e32 v[210:211], v[208:209]
	v_div_scale_f64 v[212:213], vcc, v[192:193], v[194:195], v[192:193]
	v_fma_f64 v[214:215], -v[208:209], v[210:211], 1.0
	v_fmac_f64_e32 v[210:211], v[210:211], v[214:215]
	v_fma_f64 v[214:215], -v[208:209], v[210:211], 1.0
	v_fmac_f64_e32 v[210:211], v[210:211], v[214:215]
	v_mul_f64 v[214:215], v[212:213], v[210:211]
	v_fma_f64 v[208:209], -v[208:209], v[214:215], v[212:213]
	v_div_fmas_f64 v[208:209], v[208:209], v[210:211], v[214:215]
	v_div_fixup_f64 v[208:209], v[208:209], v[194:195], v[192:193]
	v_fmac_f64_e32 v[194:195], v[192:193], v[208:209]
	v_div_scale_f64 v[192:193], s[18:19], v[194:195], v[194:195], 1.0
	v_rcp_f64_e32 v[210:211], v[192:193]
	s_nop 0
	v_fma_f64 v[212:213], -v[192:193], v[210:211], 1.0
	v_fmac_f64_e32 v[210:211], v[210:211], v[212:213]
	v_fma_f64 v[212:213], -v[192:193], v[210:211], 1.0
	v_fmac_f64_e32 v[210:211], v[210:211], v[212:213]
	v_div_scale_f64 v[212:213], vcc, 1.0, v[194:195], 1.0
	v_mul_f64 v[214:215], v[212:213], v[210:211]
	v_fma_f64 v[192:193], -v[192:193], v[214:215], v[212:213]
	s_nop 1
	v_div_fmas_f64 v[192:193], v[192:193], v[210:211], v[214:215]
	v_div_fixup_f64 v[194:195], v[192:193], v[194:195], 1.0
	v_mul_f64 v[192:193], v[208:209], v[194:195]
	v_xor_b32_e32 v195, 0x80000000, v195
.LBB94_595:
	s_andn2_saveexec_b64 s[16:17], s[16:17]
	s_cbranch_execz .LBB94_597
; %bb.596:
	v_div_scale_f64 v[208:209], s[18:19], v[192:193], v[192:193], v[194:195]
	v_rcp_f64_e32 v[210:211], v[208:209]
	v_div_scale_f64 v[212:213], vcc, v[194:195], v[192:193], v[194:195]
	v_fma_f64 v[214:215], -v[208:209], v[210:211], 1.0
	v_fmac_f64_e32 v[210:211], v[210:211], v[214:215]
	v_fma_f64 v[214:215], -v[208:209], v[210:211], 1.0
	v_fmac_f64_e32 v[210:211], v[210:211], v[214:215]
	v_mul_f64 v[214:215], v[212:213], v[210:211]
	v_fma_f64 v[208:209], -v[208:209], v[214:215], v[212:213]
	v_div_fmas_f64 v[208:209], v[208:209], v[210:211], v[214:215]
	v_div_fixup_f64 v[208:209], v[208:209], v[192:193], v[194:195]
	v_fmac_f64_e32 v[192:193], v[194:195], v[208:209]
	v_div_scale_f64 v[194:195], s[18:19], v[192:193], v[192:193], 1.0
	v_rcp_f64_e32 v[210:211], v[194:195]
	s_nop 0
	v_fma_f64 v[212:213], -v[194:195], v[210:211], 1.0
	v_fmac_f64_e32 v[210:211], v[210:211], v[212:213]
	v_fma_f64 v[212:213], -v[194:195], v[210:211], 1.0
	v_fmac_f64_e32 v[210:211], v[210:211], v[212:213]
	v_div_scale_f64 v[212:213], vcc, 1.0, v[192:193], 1.0
	v_mul_f64 v[214:215], v[212:213], v[210:211]
	v_fma_f64 v[194:195], -v[194:195], v[214:215], v[212:213]
	s_nop 1
	v_div_fmas_f64 v[194:195], v[194:195], v[210:211], v[214:215]
	v_div_fixup_f64 v[192:193], v[194:195], v[192:193], 1.0
	v_mul_f64 v[194:195], v[208:209], -v[192:193]
.LBB94_597:
	s_or_b64 exec, exec, s[16:17]
.LBB94_598:
	s_or_b64 exec, exec, s[0:1]
	v_cmp_ne_u32_e32 vcc, v205, v202
	s_and_saveexec_b64 s[0:1], vcc
	s_xor_b64 s[0:1], exec, s[0:1]
	s_cbranch_execz .LBB94_604
; %bb.599:
	v_cmp_eq_u32_e32 vcc, 28, v205
	s_and_saveexec_b64 s[16:17], vcc
	s_cbranch_execz .LBB94_603
; %bb.600:
	v_cmp_ne_u32_e32 vcc, 28, v202
	s_xor_b64 s[18:19], s[14:15], -1
	s_and_b64 s[22:23], s[18:19], vcc
	s_and_saveexec_b64 s[18:19], s[22:23]
	s_cbranch_execz .LBB94_602
; %bb.601:
	v_ashrrev_i32_e32 v203, 31, v202
	v_lshl_add_u64 v[208:209], v[202:203], 2, v[200:201]
	global_load_dword v203, v[208:209], off
	global_load_dword v205, v[200:201], off offset:112
	s_waitcnt vmcnt(1)
	global_store_dword v[200:201], v203, off offset:112
	s_waitcnt vmcnt(1)
	global_store_dword v[208:209], v205, off
.LBB94_602:
	s_or_b64 exec, exec, s[18:19]
	v_mov_b32_e32 v205, v202
	v_mov_b32_e32 v207, v202
.LBB94_603:
	s_or_b64 exec, exec, s[16:17]
.LBB94_604:
	s_andn2_saveexec_b64 s[0:1], s[0:1]
	s_cbranch_execz .LBB94_606
; %bb.605:
	v_mov_b32_e32 v205, 28
	s_waitcnt vmcnt(18)
	ds_write2_b64 v204, v[68:69], v[70:71] offset0:58 offset1:59
	s_waitcnt vmcnt(17)
	ds_write2_b64 v204, v[64:65], v[66:67] offset0:60 offset1:61
	;; [unrolled: 2-line block ×19, first 2 shown]
.LBB94_606:
	s_or_b64 exec, exec, s[0:1]
	v_cmp_lt_i32_e32 vcc, 28, v205
	s_waitcnt lgkmcnt(0)
	s_barrier
	s_and_saveexec_b64 s[0:1], vcc
	s_cbranch_execz .LBB94_608
; %bb.607:
	ds_read2_b64 v[208:211], v204 offset0:58 offset1:59
	v_mul_f64 v[202:203], v[194:195], v[74:75]
	v_mul_f64 v[74:75], v[192:193], v[74:75]
	v_fmac_f64_e32 v[74:75], v[194:195], v[72:73]
	v_fma_f64 v[202:203], v[192:193], v[72:73], -v[202:203]
	ds_read2_b64 v[192:195], v204 offset0:60 offset1:61
	s_waitcnt lgkmcnt(1)
	v_mul_f64 v[72:73], v[210:211], v[74:75]
	v_fma_f64 v[72:73], v[208:209], v[202:203], -v[72:73]
	v_mul_f64 v[208:209], v[208:209], v[74:75]
	v_fmac_f64_e32 v[208:209], v[210:211], v[202:203]
	s_waitcnt vmcnt(18)
	v_add_f64 v[70:71], v[70:71], -v[208:209]
	ds_read2_b64 v[208:211], v204 offset0:62 offset1:63
	v_add_f64 v[68:69], v[68:69], -v[72:73]
	s_waitcnt lgkmcnt(1)
	v_mul_f64 v[72:73], v[194:195], v[74:75]
	v_fma_f64 v[72:73], v[192:193], v[202:203], -v[72:73]
	v_mul_f64 v[192:193], v[192:193], v[74:75]
	v_fmac_f64_e32 v[192:193], v[194:195], v[202:203]
	s_waitcnt vmcnt(17)
	v_add_f64 v[64:65], v[64:65], -v[72:73]
	v_add_f64 v[66:67], v[66:67], -v[192:193]
	ds_read2_b64 v[192:195], v204 offset0:64 offset1:65
	s_waitcnt lgkmcnt(1)
	v_mul_f64 v[72:73], v[210:211], v[74:75]
	v_fma_f64 v[72:73], v[208:209], v[202:203], -v[72:73]
	v_mul_f64 v[208:209], v[208:209], v[74:75]
	v_fmac_f64_e32 v[208:209], v[210:211], v[202:203]
	s_waitcnt vmcnt(16)
	v_add_f64 v[62:63], v[62:63], -v[208:209]
	ds_read2_b64 v[208:211], v204 offset0:66 offset1:67
	v_add_f64 v[60:61], v[60:61], -v[72:73]
	s_waitcnt lgkmcnt(1)
	v_mul_f64 v[72:73], v[194:195], v[74:75]
	v_fma_f64 v[72:73], v[192:193], v[202:203], -v[72:73]
	v_mul_f64 v[192:193], v[192:193], v[74:75]
	v_fmac_f64_e32 v[192:193], v[194:195], v[202:203]
	s_waitcnt vmcnt(15)
	v_add_f64 v[56:57], v[56:57], -v[72:73]
	v_add_f64 v[58:59], v[58:59], -v[192:193]
	;; [unrolled: 18-line block ×9, first 2 shown]
	s_waitcnt lgkmcnt(0)
	v_mul_f64 v[72:73], v[210:211], v[74:75]
	v_mul_f64 v[192:193], v[208:209], v[74:75]
	v_fma_f64 v[72:73], v[208:209], v[202:203], -v[72:73]
	v_fmac_f64_e32 v[192:193], v[210:211], v[202:203]
	s_waitcnt vmcnt(0)
	v_add_f64 v[188:189], v[188:189], -v[72:73]
	v_add_f64 v[190:191], v[190:191], -v[192:193]
	v_mov_b64_e32 v[72:73], v[202:203]
.LBB94_608:
	s_or_b64 exec, exec, s[0:1]
	v_lshl_add_u32 v192, v205, 4, v204
	s_barrier
	s_waitcnt vmcnt(18)
	ds_write2_b64 v192, v[68:69], v[70:71] offset1:1
	s_waitcnt lgkmcnt(0)
	s_barrier
	ds_read2_b64 v[192:195], v204 offset0:58 offset1:59
	s_cmp_lt_i32 s20, 31
	v_mov_b32_e32 v202, 29
	s_cbranch_scc1 .LBB94_611
; %bb.609:
	v_add_u32_e32 v203, 0x1e0, v204
	s_mov_b32 s16, 30
	v_mov_b32_e32 v202, 29
.LBB94_610:                             ; =>This Inner Loop Header: Depth=1
	ds_read2_b64 v[208:211], v203 offset1:1
	s_waitcnt lgkmcnt(1)
	v_xor_b32_e32 v213, 0x80000000, v193
	v_xor_b32_e32 v215, 0x80000000, v195
	v_cmp_gt_f64_e32 vcc, 0, v[194:195]
	v_cmp_gt_f64_e64 s[0:1], 0, v[192:193]
	v_mov_b32_e32 v212, v192
	v_mov_b32_e32 v214, v194
	v_cndmask_b32_e64 v213, v193, v213, s[0:1]
	v_cndmask_b32_e32 v215, v195, v215, vcc
	v_add_f64 v[212:213], v[212:213], v[214:215]
	s_waitcnt lgkmcnt(0)
	v_xor_b32_e32 v215, 0x80000000, v209
	v_xor_b32_e32 v217, 0x80000000, v211
	v_cmp_gt_f64_e32 vcc, 0, v[210:211]
	v_cmp_gt_f64_e64 s[0:1], 0, v[208:209]
	v_mov_b32_e32 v214, v208
	v_mov_b32_e32 v216, v210
	v_cndmask_b32_e64 v215, v209, v215, s[0:1]
	v_cndmask_b32_e32 v217, v211, v217, vcc
	v_add_f64 v[214:215], v[214:215], v[216:217]
	v_mov_b32_e32 v218, s16
	s_add_i32 s16, s16, 1
	v_cmp_lt_f64_e32 vcc, v[212:213], v[214:215]
	v_add_u32_e32 v203, 16, v203
	s_cmp_lg_u32 s20, s16
	v_cndmask_b32_e32 v193, v193, v209, vcc
	v_cndmask_b32_e32 v192, v192, v208, vcc
	;; [unrolled: 1-line block ×5, first 2 shown]
	s_cbranch_scc1 .LBB94_610
.LBB94_611:
	s_waitcnt lgkmcnt(0)
	v_cmp_eq_f64_e32 vcc, 0, v[192:193]
	v_cmp_eq_f64_e64 s[0:1], 0, v[194:195]
	s_and_b64 s[0:1], vcc, s[0:1]
	s_and_saveexec_b64 s[16:17], s[0:1]
	s_xor_b64 s[0:1], exec, s[16:17]
; %bb.612:
	v_cmp_ne_u32_e32 vcc, 0, v206
	s_nop 1
	v_cndmask_b32_e32 v206, 30, v206, vcc
; %bb.613:
	s_andn2_saveexec_b64 s[0:1], s[0:1]
	s_cbranch_execz .LBB94_619
; %bb.614:
	v_cmp_ngt_f64_e64 s[16:17], |v[192:193]|, |v[194:195]|
	s_and_saveexec_b64 s[18:19], s[16:17]
	s_xor_b64 s[16:17], exec, s[18:19]
	s_cbranch_execz .LBB94_616
; %bb.615:
	v_div_scale_f64 v[208:209], s[18:19], v[194:195], v[194:195], v[192:193]
	v_rcp_f64_e32 v[210:211], v[208:209]
	v_div_scale_f64 v[212:213], vcc, v[192:193], v[194:195], v[192:193]
	v_fma_f64 v[214:215], -v[208:209], v[210:211], 1.0
	v_fmac_f64_e32 v[210:211], v[210:211], v[214:215]
	v_fma_f64 v[214:215], -v[208:209], v[210:211], 1.0
	v_fmac_f64_e32 v[210:211], v[210:211], v[214:215]
	v_mul_f64 v[214:215], v[212:213], v[210:211]
	v_fma_f64 v[208:209], -v[208:209], v[214:215], v[212:213]
	v_div_fmas_f64 v[208:209], v[208:209], v[210:211], v[214:215]
	v_div_fixup_f64 v[208:209], v[208:209], v[194:195], v[192:193]
	v_fmac_f64_e32 v[194:195], v[192:193], v[208:209]
	v_div_scale_f64 v[192:193], s[18:19], v[194:195], v[194:195], 1.0
	v_rcp_f64_e32 v[210:211], v[192:193]
	s_nop 0
	v_fma_f64 v[212:213], -v[192:193], v[210:211], 1.0
	v_fmac_f64_e32 v[210:211], v[210:211], v[212:213]
	v_fma_f64 v[212:213], -v[192:193], v[210:211], 1.0
	v_fmac_f64_e32 v[210:211], v[210:211], v[212:213]
	v_div_scale_f64 v[212:213], vcc, 1.0, v[194:195], 1.0
	v_mul_f64 v[214:215], v[212:213], v[210:211]
	v_fma_f64 v[192:193], -v[192:193], v[214:215], v[212:213]
	s_nop 1
	v_div_fmas_f64 v[192:193], v[192:193], v[210:211], v[214:215]
	v_div_fixup_f64 v[194:195], v[192:193], v[194:195], 1.0
	v_mul_f64 v[192:193], v[208:209], v[194:195]
	v_xor_b32_e32 v195, 0x80000000, v195
.LBB94_616:
	s_andn2_saveexec_b64 s[16:17], s[16:17]
	s_cbranch_execz .LBB94_618
; %bb.617:
	v_div_scale_f64 v[208:209], s[18:19], v[192:193], v[192:193], v[194:195]
	v_rcp_f64_e32 v[210:211], v[208:209]
	v_div_scale_f64 v[212:213], vcc, v[194:195], v[192:193], v[194:195]
	v_fma_f64 v[214:215], -v[208:209], v[210:211], 1.0
	v_fmac_f64_e32 v[210:211], v[210:211], v[214:215]
	v_fma_f64 v[214:215], -v[208:209], v[210:211], 1.0
	v_fmac_f64_e32 v[210:211], v[210:211], v[214:215]
	v_mul_f64 v[214:215], v[212:213], v[210:211]
	v_fma_f64 v[208:209], -v[208:209], v[214:215], v[212:213]
	v_div_fmas_f64 v[208:209], v[208:209], v[210:211], v[214:215]
	v_div_fixup_f64 v[208:209], v[208:209], v[192:193], v[194:195]
	v_fmac_f64_e32 v[192:193], v[194:195], v[208:209]
	v_div_scale_f64 v[194:195], s[18:19], v[192:193], v[192:193], 1.0
	v_rcp_f64_e32 v[210:211], v[194:195]
	s_nop 0
	v_fma_f64 v[212:213], -v[194:195], v[210:211], 1.0
	v_fmac_f64_e32 v[210:211], v[210:211], v[212:213]
	v_fma_f64 v[212:213], -v[194:195], v[210:211], 1.0
	v_fmac_f64_e32 v[210:211], v[210:211], v[212:213]
	v_div_scale_f64 v[212:213], vcc, 1.0, v[192:193], 1.0
	v_mul_f64 v[214:215], v[212:213], v[210:211]
	v_fma_f64 v[194:195], -v[194:195], v[214:215], v[212:213]
	s_nop 1
	v_div_fmas_f64 v[194:195], v[194:195], v[210:211], v[214:215]
	v_div_fixup_f64 v[192:193], v[194:195], v[192:193], 1.0
	v_mul_f64 v[194:195], v[208:209], -v[192:193]
.LBB94_618:
	s_or_b64 exec, exec, s[16:17]
.LBB94_619:
	s_or_b64 exec, exec, s[0:1]
	v_cmp_ne_u32_e32 vcc, v205, v202
	s_and_saveexec_b64 s[0:1], vcc
	s_xor_b64 s[0:1], exec, s[0:1]
	s_cbranch_execz .LBB94_625
; %bb.620:
	v_cmp_eq_u32_e32 vcc, 29, v205
	s_and_saveexec_b64 s[16:17], vcc
	s_cbranch_execz .LBB94_624
; %bb.621:
	v_cmp_ne_u32_e32 vcc, 29, v202
	s_xor_b64 s[18:19], s[14:15], -1
	s_and_b64 s[22:23], s[18:19], vcc
	s_and_saveexec_b64 s[18:19], s[22:23]
	s_cbranch_execz .LBB94_623
; %bb.622:
	v_ashrrev_i32_e32 v203, 31, v202
	v_lshl_add_u64 v[208:209], v[202:203], 2, v[200:201]
	global_load_dword v203, v[208:209], off
	global_load_dword v205, v[200:201], off offset:116
	s_waitcnt vmcnt(1)
	global_store_dword v[200:201], v203, off offset:116
	s_waitcnt vmcnt(1)
	global_store_dword v[208:209], v205, off
.LBB94_623:
	s_or_b64 exec, exec, s[18:19]
	v_mov_b32_e32 v205, v202
	v_mov_b32_e32 v207, v202
.LBB94_624:
	s_or_b64 exec, exec, s[16:17]
.LBB94_625:
	s_andn2_saveexec_b64 s[0:1], s[0:1]
	s_cbranch_execz .LBB94_627
; %bb.626:
	v_mov_b32_e32 v205, 29
	s_waitcnt vmcnt(17)
	ds_write2_b64 v204, v[64:65], v[66:67] offset0:60 offset1:61
	s_waitcnt vmcnt(16)
	ds_write2_b64 v204, v[60:61], v[62:63] offset0:62 offset1:63
	;; [unrolled: 2-line block ×18, first 2 shown]
.LBB94_627:
	s_or_b64 exec, exec, s[0:1]
	v_cmp_lt_i32_e32 vcc, 29, v205
	s_waitcnt lgkmcnt(0)
	s_barrier
	s_and_saveexec_b64 s[0:1], vcc
	s_cbranch_execz .LBB94_629
; %bb.628:
	ds_read2_b64 v[208:211], v204 offset0:60 offset1:61
	v_mul_f64 v[202:203], v[194:195], v[70:71]
	v_mul_f64 v[70:71], v[192:193], v[70:71]
	v_fma_f64 v[202:203], v[192:193], v[68:69], -v[202:203]
	v_fmac_f64_e32 v[70:71], v[194:195], v[68:69]
	ds_read2_b64 v[192:195], v204 offset0:62 offset1:63
	s_waitcnt lgkmcnt(1)
	v_mul_f64 v[68:69], v[210:211], v[70:71]
	v_fma_f64 v[68:69], v[208:209], v[202:203], -v[68:69]
	v_mul_f64 v[208:209], v[208:209], v[70:71]
	v_fmac_f64_e32 v[208:209], v[210:211], v[202:203]
	s_waitcnt vmcnt(17)
	v_add_f64 v[64:65], v[64:65], -v[68:69]
	s_waitcnt lgkmcnt(0)
	v_mul_f64 v[68:69], v[194:195], v[70:71]
	v_add_f64 v[66:67], v[66:67], -v[208:209]
	v_fma_f64 v[68:69], v[192:193], v[202:203], -v[68:69]
	v_mul_f64 v[192:193], v[192:193], v[70:71]
	ds_read2_b64 v[208:211], v204 offset0:64 offset1:65
	v_fmac_f64_e32 v[192:193], v[194:195], v[202:203]
	s_waitcnt vmcnt(16)
	v_add_f64 v[62:63], v[62:63], -v[192:193]
	ds_read2_b64 v[192:195], v204 offset0:66 offset1:67
	v_add_f64 v[60:61], v[60:61], -v[68:69]
	s_waitcnt lgkmcnt(1)
	v_mul_f64 v[68:69], v[210:211], v[70:71]
	v_fma_f64 v[68:69], v[208:209], v[202:203], -v[68:69]
	v_mul_f64 v[208:209], v[208:209], v[70:71]
	v_fmac_f64_e32 v[208:209], v[210:211], v[202:203]
	s_waitcnt vmcnt(15)
	v_add_f64 v[56:57], v[56:57], -v[68:69]
	s_waitcnt lgkmcnt(0)
	v_mul_f64 v[68:69], v[194:195], v[70:71]
	v_add_f64 v[58:59], v[58:59], -v[208:209]
	v_fma_f64 v[68:69], v[192:193], v[202:203], -v[68:69]
	v_mul_f64 v[192:193], v[192:193], v[70:71]
	ds_read2_b64 v[208:211], v204 offset0:68 offset1:69
	v_fmac_f64_e32 v[192:193], v[194:195], v[202:203]
	s_waitcnt vmcnt(14)
	v_add_f64 v[54:55], v[54:55], -v[192:193]
	ds_read2_b64 v[192:195], v204 offset0:70 offset1:71
	v_add_f64 v[52:53], v[52:53], -v[68:69]
	;; [unrolled: 18-line block ×8, first 2 shown]
	s_waitcnt lgkmcnt(1)
	v_mul_f64 v[68:69], v[210:211], v[70:71]
	v_fma_f64 v[68:69], v[208:209], v[202:203], -v[68:69]
	s_waitcnt vmcnt(1)
	v_add_f64 v[0:1], v[0:1], -v[68:69]
	s_waitcnt lgkmcnt(0)
	v_mul_f64 v[68:69], v[194:195], v[70:71]
	v_mul_f64 v[208:209], v[208:209], v[70:71]
	v_fma_f64 v[68:69], v[192:193], v[202:203], -v[68:69]
	v_mul_f64 v[192:193], v[192:193], v[70:71]
	v_fmac_f64_e32 v[208:209], v[210:211], v[202:203]
	v_fmac_f64_e32 v[192:193], v[194:195], v[202:203]
	v_add_f64 v[2:3], v[2:3], -v[208:209]
	s_waitcnt vmcnt(0)
	v_add_f64 v[188:189], v[188:189], -v[68:69]
	v_add_f64 v[190:191], v[190:191], -v[192:193]
	v_mov_b64_e32 v[68:69], v[202:203]
.LBB94_629:
	s_or_b64 exec, exec, s[0:1]
	v_lshl_add_u32 v192, v205, 4, v204
	s_barrier
	s_waitcnt vmcnt(17)
	ds_write2_b64 v192, v[64:65], v[66:67] offset1:1
	s_waitcnt lgkmcnt(0)
	s_barrier
	ds_read2_b64 v[192:195], v204 offset0:60 offset1:61
	s_cmp_lt_i32 s20, 32
	v_mov_b32_e32 v202, 30
	s_cbranch_scc1 .LBB94_632
; %bb.630:
	v_add_u32_e32 v203, 0x1f0, v204
	s_mov_b32 s16, 31
	v_mov_b32_e32 v202, 30
.LBB94_631:                             ; =>This Inner Loop Header: Depth=1
	ds_read2_b64 v[208:211], v203 offset1:1
	s_waitcnt lgkmcnt(1)
	v_xor_b32_e32 v213, 0x80000000, v193
	v_xor_b32_e32 v215, 0x80000000, v195
	v_cmp_gt_f64_e32 vcc, 0, v[194:195]
	v_cmp_gt_f64_e64 s[0:1], 0, v[192:193]
	v_mov_b32_e32 v212, v192
	v_mov_b32_e32 v214, v194
	v_cndmask_b32_e64 v213, v193, v213, s[0:1]
	v_cndmask_b32_e32 v215, v195, v215, vcc
	v_add_f64 v[212:213], v[212:213], v[214:215]
	s_waitcnt lgkmcnt(0)
	v_xor_b32_e32 v215, 0x80000000, v209
	v_xor_b32_e32 v217, 0x80000000, v211
	v_cmp_gt_f64_e32 vcc, 0, v[210:211]
	v_cmp_gt_f64_e64 s[0:1], 0, v[208:209]
	v_mov_b32_e32 v214, v208
	v_mov_b32_e32 v216, v210
	v_cndmask_b32_e64 v215, v209, v215, s[0:1]
	v_cndmask_b32_e32 v217, v211, v217, vcc
	v_add_f64 v[214:215], v[214:215], v[216:217]
	v_mov_b32_e32 v218, s16
	s_add_i32 s16, s16, 1
	v_cmp_lt_f64_e32 vcc, v[212:213], v[214:215]
	v_add_u32_e32 v203, 16, v203
	s_cmp_lg_u32 s20, s16
	v_cndmask_b32_e32 v193, v193, v209, vcc
	v_cndmask_b32_e32 v192, v192, v208, vcc
	;; [unrolled: 1-line block ×5, first 2 shown]
	s_cbranch_scc1 .LBB94_631
.LBB94_632:
	s_waitcnt lgkmcnt(0)
	v_cmp_eq_f64_e32 vcc, 0, v[192:193]
	v_cmp_eq_f64_e64 s[0:1], 0, v[194:195]
	s_and_b64 s[0:1], vcc, s[0:1]
	s_and_saveexec_b64 s[16:17], s[0:1]
	s_xor_b64 s[0:1], exec, s[16:17]
; %bb.633:
	v_cmp_ne_u32_e32 vcc, 0, v206
	s_nop 1
	v_cndmask_b32_e32 v206, 31, v206, vcc
; %bb.634:
	s_andn2_saveexec_b64 s[0:1], s[0:1]
	s_cbranch_execz .LBB94_640
; %bb.635:
	v_cmp_ngt_f64_e64 s[16:17], |v[192:193]|, |v[194:195]|
	s_and_saveexec_b64 s[18:19], s[16:17]
	s_xor_b64 s[16:17], exec, s[18:19]
	s_cbranch_execz .LBB94_637
; %bb.636:
	v_div_scale_f64 v[208:209], s[18:19], v[194:195], v[194:195], v[192:193]
	v_rcp_f64_e32 v[210:211], v[208:209]
	v_div_scale_f64 v[212:213], vcc, v[192:193], v[194:195], v[192:193]
	v_fma_f64 v[214:215], -v[208:209], v[210:211], 1.0
	v_fmac_f64_e32 v[210:211], v[210:211], v[214:215]
	v_fma_f64 v[214:215], -v[208:209], v[210:211], 1.0
	v_fmac_f64_e32 v[210:211], v[210:211], v[214:215]
	v_mul_f64 v[214:215], v[212:213], v[210:211]
	v_fma_f64 v[208:209], -v[208:209], v[214:215], v[212:213]
	v_div_fmas_f64 v[208:209], v[208:209], v[210:211], v[214:215]
	v_div_fixup_f64 v[208:209], v[208:209], v[194:195], v[192:193]
	v_fmac_f64_e32 v[194:195], v[192:193], v[208:209]
	v_div_scale_f64 v[192:193], s[18:19], v[194:195], v[194:195], 1.0
	v_rcp_f64_e32 v[210:211], v[192:193]
	s_nop 0
	v_fma_f64 v[212:213], -v[192:193], v[210:211], 1.0
	v_fmac_f64_e32 v[210:211], v[210:211], v[212:213]
	v_fma_f64 v[212:213], -v[192:193], v[210:211], 1.0
	v_fmac_f64_e32 v[210:211], v[210:211], v[212:213]
	v_div_scale_f64 v[212:213], vcc, 1.0, v[194:195], 1.0
	v_mul_f64 v[214:215], v[212:213], v[210:211]
	v_fma_f64 v[192:193], -v[192:193], v[214:215], v[212:213]
	s_nop 1
	v_div_fmas_f64 v[192:193], v[192:193], v[210:211], v[214:215]
	v_div_fixup_f64 v[194:195], v[192:193], v[194:195], 1.0
	v_mul_f64 v[192:193], v[208:209], v[194:195]
	v_xor_b32_e32 v195, 0x80000000, v195
.LBB94_637:
	s_andn2_saveexec_b64 s[16:17], s[16:17]
	s_cbranch_execz .LBB94_639
; %bb.638:
	v_div_scale_f64 v[208:209], s[18:19], v[192:193], v[192:193], v[194:195]
	v_rcp_f64_e32 v[210:211], v[208:209]
	v_div_scale_f64 v[212:213], vcc, v[194:195], v[192:193], v[194:195]
	v_fma_f64 v[214:215], -v[208:209], v[210:211], 1.0
	v_fmac_f64_e32 v[210:211], v[210:211], v[214:215]
	v_fma_f64 v[214:215], -v[208:209], v[210:211], 1.0
	v_fmac_f64_e32 v[210:211], v[210:211], v[214:215]
	v_mul_f64 v[214:215], v[212:213], v[210:211]
	v_fma_f64 v[208:209], -v[208:209], v[214:215], v[212:213]
	v_div_fmas_f64 v[208:209], v[208:209], v[210:211], v[214:215]
	v_div_fixup_f64 v[208:209], v[208:209], v[192:193], v[194:195]
	v_fmac_f64_e32 v[192:193], v[194:195], v[208:209]
	v_div_scale_f64 v[194:195], s[18:19], v[192:193], v[192:193], 1.0
	v_rcp_f64_e32 v[210:211], v[194:195]
	s_nop 0
	v_fma_f64 v[212:213], -v[194:195], v[210:211], 1.0
	v_fmac_f64_e32 v[210:211], v[210:211], v[212:213]
	v_fma_f64 v[212:213], -v[194:195], v[210:211], 1.0
	v_fmac_f64_e32 v[210:211], v[210:211], v[212:213]
	v_div_scale_f64 v[212:213], vcc, 1.0, v[192:193], 1.0
	v_mul_f64 v[214:215], v[212:213], v[210:211]
	v_fma_f64 v[194:195], -v[194:195], v[214:215], v[212:213]
	s_nop 1
	v_div_fmas_f64 v[194:195], v[194:195], v[210:211], v[214:215]
	v_div_fixup_f64 v[192:193], v[194:195], v[192:193], 1.0
	v_mul_f64 v[194:195], v[208:209], -v[192:193]
.LBB94_639:
	s_or_b64 exec, exec, s[16:17]
.LBB94_640:
	s_or_b64 exec, exec, s[0:1]
	v_cmp_ne_u32_e32 vcc, v205, v202
	s_and_saveexec_b64 s[0:1], vcc
	s_xor_b64 s[0:1], exec, s[0:1]
	s_cbranch_execz .LBB94_646
; %bb.641:
	v_cmp_eq_u32_e32 vcc, 30, v205
	s_and_saveexec_b64 s[16:17], vcc
	s_cbranch_execz .LBB94_645
; %bb.642:
	v_cmp_ne_u32_e32 vcc, 30, v202
	s_xor_b64 s[18:19], s[14:15], -1
	s_and_b64 s[22:23], s[18:19], vcc
	s_and_saveexec_b64 s[18:19], s[22:23]
	s_cbranch_execz .LBB94_644
; %bb.643:
	v_ashrrev_i32_e32 v203, 31, v202
	v_lshl_add_u64 v[208:209], v[202:203], 2, v[200:201]
	global_load_dword v203, v[208:209], off
	global_load_dword v205, v[200:201], off offset:120
	s_waitcnt vmcnt(1)
	global_store_dword v[200:201], v203, off offset:120
	s_waitcnt vmcnt(1)
	global_store_dword v[208:209], v205, off
.LBB94_644:
	s_or_b64 exec, exec, s[18:19]
	v_mov_b32_e32 v205, v202
	v_mov_b32_e32 v207, v202
.LBB94_645:
	s_or_b64 exec, exec, s[16:17]
.LBB94_646:
	s_andn2_saveexec_b64 s[0:1], s[0:1]
	s_cbranch_execz .LBB94_648
; %bb.647:
	v_mov_b32_e32 v205, 30
	s_waitcnt vmcnt(16)
	ds_write2_b64 v204, v[60:61], v[62:63] offset0:62 offset1:63
	s_waitcnt vmcnt(15)
	ds_write2_b64 v204, v[56:57], v[58:59] offset0:64 offset1:65
	;; [unrolled: 2-line block ×17, first 2 shown]
.LBB94_648:
	s_or_b64 exec, exec, s[0:1]
	v_cmp_lt_i32_e32 vcc, 30, v205
	s_waitcnt lgkmcnt(0)
	s_barrier
	s_and_saveexec_b64 s[0:1], vcc
	s_cbranch_execz .LBB94_650
; %bb.649:
	ds_read2_b64 v[208:211], v204 offset0:62 offset1:63
	v_mul_f64 v[202:203], v[194:195], v[66:67]
	v_mul_f64 v[66:67], v[192:193], v[66:67]
	v_fmac_f64_e32 v[66:67], v[194:195], v[64:65]
	v_fma_f64 v[202:203], v[192:193], v[64:65], -v[202:203]
	ds_read2_b64 v[192:195], v204 offset0:64 offset1:65
	s_waitcnt lgkmcnt(1)
	v_mul_f64 v[64:65], v[210:211], v[66:67]
	v_fma_f64 v[64:65], v[208:209], v[202:203], -v[64:65]
	v_mul_f64 v[208:209], v[208:209], v[66:67]
	v_fmac_f64_e32 v[208:209], v[210:211], v[202:203]
	s_waitcnt vmcnt(16)
	v_add_f64 v[62:63], v[62:63], -v[208:209]
	ds_read2_b64 v[208:211], v204 offset0:66 offset1:67
	v_add_f64 v[60:61], v[60:61], -v[64:65]
	s_waitcnt lgkmcnt(1)
	v_mul_f64 v[64:65], v[194:195], v[66:67]
	v_fma_f64 v[64:65], v[192:193], v[202:203], -v[64:65]
	v_mul_f64 v[192:193], v[192:193], v[66:67]
	v_fmac_f64_e32 v[192:193], v[194:195], v[202:203]
	s_waitcnt vmcnt(15)
	v_add_f64 v[56:57], v[56:57], -v[64:65]
	v_add_f64 v[58:59], v[58:59], -v[192:193]
	ds_read2_b64 v[192:195], v204 offset0:68 offset1:69
	s_waitcnt lgkmcnt(1)
	v_mul_f64 v[64:65], v[210:211], v[66:67]
	v_fma_f64 v[64:65], v[208:209], v[202:203], -v[64:65]
	v_mul_f64 v[208:209], v[208:209], v[66:67]
	v_fmac_f64_e32 v[208:209], v[210:211], v[202:203]
	s_waitcnt vmcnt(14)
	v_add_f64 v[54:55], v[54:55], -v[208:209]
	ds_read2_b64 v[208:211], v204 offset0:70 offset1:71
	v_add_f64 v[52:53], v[52:53], -v[64:65]
	s_waitcnt lgkmcnt(1)
	v_mul_f64 v[64:65], v[194:195], v[66:67]
	v_fma_f64 v[64:65], v[192:193], v[202:203], -v[64:65]
	v_mul_f64 v[192:193], v[192:193], v[66:67]
	v_fmac_f64_e32 v[192:193], v[194:195], v[202:203]
	s_waitcnt vmcnt(13)
	v_add_f64 v[48:49], v[48:49], -v[64:65]
	v_add_f64 v[50:51], v[50:51], -v[192:193]
	;; [unrolled: 18-line block ×8, first 2 shown]
	s_waitcnt lgkmcnt(0)
	v_mul_f64 v[64:65], v[210:211], v[66:67]
	v_mul_f64 v[192:193], v[208:209], v[66:67]
	v_fma_f64 v[64:65], v[208:209], v[202:203], -v[64:65]
	v_fmac_f64_e32 v[192:193], v[210:211], v[202:203]
	s_waitcnt vmcnt(0)
	v_add_f64 v[188:189], v[188:189], -v[64:65]
	v_add_f64 v[190:191], v[190:191], -v[192:193]
	v_mov_b64_e32 v[64:65], v[202:203]
.LBB94_650:
	s_or_b64 exec, exec, s[0:1]
	v_lshl_add_u32 v192, v205, 4, v204
	s_barrier
	s_waitcnt vmcnt(16)
	ds_write2_b64 v192, v[60:61], v[62:63] offset1:1
	s_waitcnt lgkmcnt(0)
	s_barrier
	ds_read2_b64 v[192:195], v204 offset0:62 offset1:63
	s_cmp_lt_i32 s20, 33
	v_mov_b32_e32 v202, 31
	s_cbranch_scc1 .LBB94_653
; %bb.651:
	v_add_u32_e32 v203, 0x200, v204
	s_mov_b32 s16, 32
	v_mov_b32_e32 v202, 31
.LBB94_652:                             ; =>This Inner Loop Header: Depth=1
	ds_read2_b64 v[208:211], v203 offset1:1
	s_waitcnt lgkmcnt(1)
	v_xor_b32_e32 v213, 0x80000000, v193
	v_xor_b32_e32 v215, 0x80000000, v195
	v_cmp_gt_f64_e32 vcc, 0, v[194:195]
	v_cmp_gt_f64_e64 s[0:1], 0, v[192:193]
	v_mov_b32_e32 v212, v192
	v_mov_b32_e32 v214, v194
	v_cndmask_b32_e64 v213, v193, v213, s[0:1]
	v_cndmask_b32_e32 v215, v195, v215, vcc
	v_add_f64 v[212:213], v[212:213], v[214:215]
	s_waitcnt lgkmcnt(0)
	v_xor_b32_e32 v215, 0x80000000, v209
	v_xor_b32_e32 v217, 0x80000000, v211
	v_cmp_gt_f64_e32 vcc, 0, v[210:211]
	v_cmp_gt_f64_e64 s[0:1], 0, v[208:209]
	v_mov_b32_e32 v214, v208
	v_mov_b32_e32 v216, v210
	v_cndmask_b32_e64 v215, v209, v215, s[0:1]
	v_cndmask_b32_e32 v217, v211, v217, vcc
	v_add_f64 v[214:215], v[214:215], v[216:217]
	v_mov_b32_e32 v218, s16
	s_add_i32 s16, s16, 1
	v_cmp_lt_f64_e32 vcc, v[212:213], v[214:215]
	v_add_u32_e32 v203, 16, v203
	s_cmp_lg_u32 s20, s16
	v_cndmask_b32_e32 v193, v193, v209, vcc
	v_cndmask_b32_e32 v192, v192, v208, vcc
	;; [unrolled: 1-line block ×5, first 2 shown]
	s_cbranch_scc1 .LBB94_652
.LBB94_653:
	s_waitcnt lgkmcnt(0)
	v_cmp_eq_f64_e32 vcc, 0, v[192:193]
	v_cmp_eq_f64_e64 s[0:1], 0, v[194:195]
	s_and_b64 s[0:1], vcc, s[0:1]
	s_and_saveexec_b64 s[16:17], s[0:1]
	s_xor_b64 s[0:1], exec, s[16:17]
; %bb.654:
	v_cmp_ne_u32_e32 vcc, 0, v206
	s_nop 1
	v_cndmask_b32_e32 v206, 32, v206, vcc
; %bb.655:
	s_andn2_saveexec_b64 s[0:1], s[0:1]
	s_cbranch_execz .LBB94_661
; %bb.656:
	v_cmp_ngt_f64_e64 s[16:17], |v[192:193]|, |v[194:195]|
	s_and_saveexec_b64 s[18:19], s[16:17]
	s_xor_b64 s[16:17], exec, s[18:19]
	s_cbranch_execz .LBB94_658
; %bb.657:
	v_div_scale_f64 v[208:209], s[18:19], v[194:195], v[194:195], v[192:193]
	v_rcp_f64_e32 v[210:211], v[208:209]
	v_div_scale_f64 v[212:213], vcc, v[192:193], v[194:195], v[192:193]
	v_fma_f64 v[214:215], -v[208:209], v[210:211], 1.0
	v_fmac_f64_e32 v[210:211], v[210:211], v[214:215]
	v_fma_f64 v[214:215], -v[208:209], v[210:211], 1.0
	v_fmac_f64_e32 v[210:211], v[210:211], v[214:215]
	v_mul_f64 v[214:215], v[212:213], v[210:211]
	v_fma_f64 v[208:209], -v[208:209], v[214:215], v[212:213]
	v_div_fmas_f64 v[208:209], v[208:209], v[210:211], v[214:215]
	v_div_fixup_f64 v[208:209], v[208:209], v[194:195], v[192:193]
	v_fmac_f64_e32 v[194:195], v[192:193], v[208:209]
	v_div_scale_f64 v[192:193], s[18:19], v[194:195], v[194:195], 1.0
	v_rcp_f64_e32 v[210:211], v[192:193]
	s_nop 0
	v_fma_f64 v[212:213], -v[192:193], v[210:211], 1.0
	v_fmac_f64_e32 v[210:211], v[210:211], v[212:213]
	v_fma_f64 v[212:213], -v[192:193], v[210:211], 1.0
	v_fmac_f64_e32 v[210:211], v[210:211], v[212:213]
	v_div_scale_f64 v[212:213], vcc, 1.0, v[194:195], 1.0
	v_mul_f64 v[214:215], v[212:213], v[210:211]
	v_fma_f64 v[192:193], -v[192:193], v[214:215], v[212:213]
	s_nop 1
	v_div_fmas_f64 v[192:193], v[192:193], v[210:211], v[214:215]
	v_div_fixup_f64 v[194:195], v[192:193], v[194:195], 1.0
	v_mul_f64 v[192:193], v[208:209], v[194:195]
	v_xor_b32_e32 v195, 0x80000000, v195
.LBB94_658:
	s_andn2_saveexec_b64 s[16:17], s[16:17]
	s_cbranch_execz .LBB94_660
; %bb.659:
	v_div_scale_f64 v[208:209], s[18:19], v[192:193], v[192:193], v[194:195]
	v_rcp_f64_e32 v[210:211], v[208:209]
	v_div_scale_f64 v[212:213], vcc, v[194:195], v[192:193], v[194:195]
	v_fma_f64 v[214:215], -v[208:209], v[210:211], 1.0
	v_fmac_f64_e32 v[210:211], v[210:211], v[214:215]
	v_fma_f64 v[214:215], -v[208:209], v[210:211], 1.0
	v_fmac_f64_e32 v[210:211], v[210:211], v[214:215]
	v_mul_f64 v[214:215], v[212:213], v[210:211]
	v_fma_f64 v[208:209], -v[208:209], v[214:215], v[212:213]
	v_div_fmas_f64 v[208:209], v[208:209], v[210:211], v[214:215]
	v_div_fixup_f64 v[208:209], v[208:209], v[192:193], v[194:195]
	v_fmac_f64_e32 v[192:193], v[194:195], v[208:209]
	v_div_scale_f64 v[194:195], s[18:19], v[192:193], v[192:193], 1.0
	v_rcp_f64_e32 v[210:211], v[194:195]
	s_nop 0
	v_fma_f64 v[212:213], -v[194:195], v[210:211], 1.0
	v_fmac_f64_e32 v[210:211], v[210:211], v[212:213]
	v_fma_f64 v[212:213], -v[194:195], v[210:211], 1.0
	v_fmac_f64_e32 v[210:211], v[210:211], v[212:213]
	v_div_scale_f64 v[212:213], vcc, 1.0, v[192:193], 1.0
	v_mul_f64 v[214:215], v[212:213], v[210:211]
	v_fma_f64 v[194:195], -v[194:195], v[214:215], v[212:213]
	s_nop 1
	v_div_fmas_f64 v[194:195], v[194:195], v[210:211], v[214:215]
	v_div_fixup_f64 v[192:193], v[194:195], v[192:193], 1.0
	v_mul_f64 v[194:195], v[208:209], -v[192:193]
.LBB94_660:
	s_or_b64 exec, exec, s[16:17]
.LBB94_661:
	s_or_b64 exec, exec, s[0:1]
	v_cmp_ne_u32_e32 vcc, v205, v202
	s_and_saveexec_b64 s[0:1], vcc
	s_xor_b64 s[0:1], exec, s[0:1]
	s_cbranch_execz .LBB94_667
; %bb.662:
	v_cmp_eq_u32_e32 vcc, 31, v205
	s_and_saveexec_b64 s[16:17], vcc
	s_cbranch_execz .LBB94_666
; %bb.663:
	v_cmp_ne_u32_e32 vcc, 31, v202
	s_xor_b64 s[18:19], s[14:15], -1
	s_and_b64 s[22:23], s[18:19], vcc
	s_and_saveexec_b64 s[18:19], s[22:23]
	s_cbranch_execz .LBB94_665
; %bb.664:
	v_ashrrev_i32_e32 v203, 31, v202
	v_lshl_add_u64 v[208:209], v[202:203], 2, v[200:201]
	global_load_dword v203, v[208:209], off
	global_load_dword v205, v[200:201], off offset:124
	s_waitcnt vmcnt(1)
	global_store_dword v[200:201], v203, off offset:124
	s_waitcnt vmcnt(1)
	global_store_dword v[208:209], v205, off
.LBB94_665:
	s_or_b64 exec, exec, s[18:19]
	v_mov_b32_e32 v205, v202
	v_mov_b32_e32 v207, v202
.LBB94_666:
	s_or_b64 exec, exec, s[16:17]
.LBB94_667:
	s_andn2_saveexec_b64 s[0:1], s[0:1]
	s_cbranch_execz .LBB94_669
; %bb.668:
	v_mov_b32_e32 v205, 31
	s_waitcnt vmcnt(15)
	ds_write2_b64 v204, v[56:57], v[58:59] offset0:64 offset1:65
	s_waitcnt vmcnt(14)
	ds_write2_b64 v204, v[52:53], v[54:55] offset0:66 offset1:67
	;; [unrolled: 2-line block ×16, first 2 shown]
.LBB94_669:
	s_or_b64 exec, exec, s[0:1]
	v_cmp_lt_i32_e32 vcc, 31, v205
	s_waitcnt lgkmcnt(0)
	s_barrier
	s_and_saveexec_b64 s[0:1], vcc
	s_cbranch_execz .LBB94_671
; %bb.670:
	ds_read2_b64 v[208:211], v204 offset0:64 offset1:65
	v_mul_f64 v[202:203], v[192:193], v[62:63]
	v_mul_f64 v[62:63], v[194:195], v[62:63]
	v_fmac_f64_e32 v[202:203], v[194:195], v[60:61]
	v_fma_f64 v[60:61], v[192:193], v[60:61], -v[62:63]
	ds_read2_b64 v[192:195], v204 offset0:66 offset1:67
	s_waitcnt lgkmcnt(1)
	v_mul_f64 v[62:63], v[210:211], v[202:203]
	v_fma_f64 v[62:63], v[208:209], v[60:61], -v[62:63]
	v_mul_f64 v[208:209], v[208:209], v[202:203]
	v_fmac_f64_e32 v[208:209], v[210:211], v[60:61]
	s_waitcnt vmcnt(15)
	v_add_f64 v[56:57], v[56:57], -v[62:63]
	s_waitcnt lgkmcnt(0)
	v_mul_f64 v[62:63], v[194:195], v[202:203]
	v_add_f64 v[58:59], v[58:59], -v[208:209]
	v_fma_f64 v[62:63], v[192:193], v[60:61], -v[62:63]
	v_mul_f64 v[192:193], v[192:193], v[202:203]
	ds_read2_b64 v[208:211], v204 offset0:68 offset1:69
	v_fmac_f64_e32 v[192:193], v[194:195], v[60:61]
	s_waitcnt vmcnt(14)
	v_add_f64 v[54:55], v[54:55], -v[192:193]
	ds_read2_b64 v[192:195], v204 offset0:70 offset1:71
	v_add_f64 v[52:53], v[52:53], -v[62:63]
	s_waitcnt lgkmcnt(1)
	v_mul_f64 v[62:63], v[210:211], v[202:203]
	v_fma_f64 v[62:63], v[208:209], v[60:61], -v[62:63]
	v_mul_f64 v[208:209], v[208:209], v[202:203]
	v_fmac_f64_e32 v[208:209], v[210:211], v[60:61]
	s_waitcnt vmcnt(13)
	v_add_f64 v[48:49], v[48:49], -v[62:63]
	s_waitcnt lgkmcnt(0)
	v_mul_f64 v[62:63], v[194:195], v[202:203]
	v_add_f64 v[50:51], v[50:51], -v[208:209]
	v_fma_f64 v[62:63], v[192:193], v[60:61], -v[62:63]
	v_mul_f64 v[192:193], v[192:193], v[202:203]
	ds_read2_b64 v[208:211], v204 offset0:72 offset1:73
	v_fmac_f64_e32 v[192:193], v[194:195], v[60:61]
	s_waitcnt vmcnt(12)
	v_add_f64 v[46:47], v[46:47], -v[192:193]
	ds_read2_b64 v[192:195], v204 offset0:74 offset1:75
	v_add_f64 v[44:45], v[44:45], -v[62:63]
	;; [unrolled: 18-line block ×7, first 2 shown]
	s_waitcnt lgkmcnt(1)
	v_mul_f64 v[62:63], v[210:211], v[202:203]
	v_fma_f64 v[62:63], v[208:209], v[60:61], -v[62:63]
	s_waitcnt vmcnt(1)
	v_add_f64 v[0:1], v[0:1], -v[62:63]
	s_waitcnt lgkmcnt(0)
	v_mul_f64 v[62:63], v[194:195], v[202:203]
	v_mul_f64 v[208:209], v[208:209], v[202:203]
	v_fma_f64 v[62:63], v[192:193], v[60:61], -v[62:63]
	v_mul_f64 v[192:193], v[192:193], v[202:203]
	v_fmac_f64_e32 v[208:209], v[210:211], v[60:61]
	v_fmac_f64_e32 v[192:193], v[194:195], v[60:61]
	v_add_f64 v[2:3], v[2:3], -v[208:209]
	s_waitcnt vmcnt(0)
	v_add_f64 v[188:189], v[188:189], -v[62:63]
	v_add_f64 v[190:191], v[190:191], -v[192:193]
	v_mov_b64_e32 v[62:63], v[202:203]
.LBB94_671:
	s_or_b64 exec, exec, s[0:1]
	v_lshl_add_u32 v192, v205, 4, v204
	s_barrier
	s_waitcnt vmcnt(15)
	ds_write2_b64 v192, v[56:57], v[58:59] offset1:1
	s_waitcnt lgkmcnt(0)
	s_barrier
	ds_read2_b64 v[192:195], v204 offset0:64 offset1:65
	s_cmp_lt_i32 s20, 34
	v_mov_b32_e32 v202, 32
	s_cbranch_scc1 .LBB94_674
; %bb.672:
	v_add_u32_e32 v203, 0x210, v204
	s_mov_b32 s16, 33
	v_mov_b32_e32 v202, 32
.LBB94_673:                             ; =>This Inner Loop Header: Depth=1
	ds_read2_b64 v[208:211], v203 offset1:1
	s_waitcnt lgkmcnt(1)
	v_xor_b32_e32 v213, 0x80000000, v193
	v_xor_b32_e32 v215, 0x80000000, v195
	v_cmp_gt_f64_e32 vcc, 0, v[194:195]
	v_cmp_gt_f64_e64 s[0:1], 0, v[192:193]
	v_mov_b32_e32 v212, v192
	v_mov_b32_e32 v214, v194
	v_cndmask_b32_e64 v213, v193, v213, s[0:1]
	v_cndmask_b32_e32 v215, v195, v215, vcc
	v_add_f64 v[212:213], v[212:213], v[214:215]
	s_waitcnt lgkmcnt(0)
	v_xor_b32_e32 v215, 0x80000000, v209
	v_xor_b32_e32 v217, 0x80000000, v211
	v_cmp_gt_f64_e32 vcc, 0, v[210:211]
	v_cmp_gt_f64_e64 s[0:1], 0, v[208:209]
	v_mov_b32_e32 v214, v208
	v_mov_b32_e32 v216, v210
	v_cndmask_b32_e64 v215, v209, v215, s[0:1]
	v_cndmask_b32_e32 v217, v211, v217, vcc
	v_add_f64 v[214:215], v[214:215], v[216:217]
	v_mov_b32_e32 v218, s16
	s_add_i32 s16, s16, 1
	v_cmp_lt_f64_e32 vcc, v[212:213], v[214:215]
	v_add_u32_e32 v203, 16, v203
	s_cmp_lg_u32 s20, s16
	v_cndmask_b32_e32 v193, v193, v209, vcc
	v_cndmask_b32_e32 v192, v192, v208, vcc
	;; [unrolled: 1-line block ×5, first 2 shown]
	s_cbranch_scc1 .LBB94_673
.LBB94_674:
	s_waitcnt lgkmcnt(0)
	v_cmp_eq_f64_e32 vcc, 0, v[192:193]
	v_cmp_eq_f64_e64 s[0:1], 0, v[194:195]
	s_and_b64 s[0:1], vcc, s[0:1]
	s_and_saveexec_b64 s[16:17], s[0:1]
	s_xor_b64 s[0:1], exec, s[16:17]
; %bb.675:
	v_cmp_ne_u32_e32 vcc, 0, v206
	s_nop 1
	v_cndmask_b32_e32 v206, 33, v206, vcc
; %bb.676:
	s_andn2_saveexec_b64 s[0:1], s[0:1]
	s_cbranch_execz .LBB94_682
; %bb.677:
	v_cmp_ngt_f64_e64 s[16:17], |v[192:193]|, |v[194:195]|
	s_and_saveexec_b64 s[18:19], s[16:17]
	s_xor_b64 s[16:17], exec, s[18:19]
	s_cbranch_execz .LBB94_679
; %bb.678:
	v_div_scale_f64 v[208:209], s[18:19], v[194:195], v[194:195], v[192:193]
	v_rcp_f64_e32 v[210:211], v[208:209]
	v_div_scale_f64 v[212:213], vcc, v[192:193], v[194:195], v[192:193]
	v_fma_f64 v[214:215], -v[208:209], v[210:211], 1.0
	v_fmac_f64_e32 v[210:211], v[210:211], v[214:215]
	v_fma_f64 v[214:215], -v[208:209], v[210:211], 1.0
	v_fmac_f64_e32 v[210:211], v[210:211], v[214:215]
	v_mul_f64 v[214:215], v[212:213], v[210:211]
	v_fma_f64 v[208:209], -v[208:209], v[214:215], v[212:213]
	v_div_fmas_f64 v[208:209], v[208:209], v[210:211], v[214:215]
	v_div_fixup_f64 v[208:209], v[208:209], v[194:195], v[192:193]
	v_fmac_f64_e32 v[194:195], v[192:193], v[208:209]
	v_div_scale_f64 v[192:193], s[18:19], v[194:195], v[194:195], 1.0
	v_rcp_f64_e32 v[210:211], v[192:193]
	s_nop 0
	v_fma_f64 v[212:213], -v[192:193], v[210:211], 1.0
	v_fmac_f64_e32 v[210:211], v[210:211], v[212:213]
	v_fma_f64 v[212:213], -v[192:193], v[210:211], 1.0
	v_fmac_f64_e32 v[210:211], v[210:211], v[212:213]
	v_div_scale_f64 v[212:213], vcc, 1.0, v[194:195], 1.0
	v_mul_f64 v[214:215], v[212:213], v[210:211]
	v_fma_f64 v[192:193], -v[192:193], v[214:215], v[212:213]
	s_nop 1
	v_div_fmas_f64 v[192:193], v[192:193], v[210:211], v[214:215]
	v_div_fixup_f64 v[194:195], v[192:193], v[194:195], 1.0
	v_mul_f64 v[192:193], v[208:209], v[194:195]
	v_xor_b32_e32 v195, 0x80000000, v195
.LBB94_679:
	s_andn2_saveexec_b64 s[16:17], s[16:17]
	s_cbranch_execz .LBB94_681
; %bb.680:
	v_div_scale_f64 v[208:209], s[18:19], v[192:193], v[192:193], v[194:195]
	v_rcp_f64_e32 v[210:211], v[208:209]
	v_div_scale_f64 v[212:213], vcc, v[194:195], v[192:193], v[194:195]
	v_fma_f64 v[214:215], -v[208:209], v[210:211], 1.0
	v_fmac_f64_e32 v[210:211], v[210:211], v[214:215]
	v_fma_f64 v[214:215], -v[208:209], v[210:211], 1.0
	v_fmac_f64_e32 v[210:211], v[210:211], v[214:215]
	v_mul_f64 v[214:215], v[212:213], v[210:211]
	v_fma_f64 v[208:209], -v[208:209], v[214:215], v[212:213]
	v_div_fmas_f64 v[208:209], v[208:209], v[210:211], v[214:215]
	v_div_fixup_f64 v[208:209], v[208:209], v[192:193], v[194:195]
	v_fmac_f64_e32 v[192:193], v[194:195], v[208:209]
	v_div_scale_f64 v[194:195], s[18:19], v[192:193], v[192:193], 1.0
	v_rcp_f64_e32 v[210:211], v[194:195]
	s_nop 0
	v_fma_f64 v[212:213], -v[194:195], v[210:211], 1.0
	v_fmac_f64_e32 v[210:211], v[210:211], v[212:213]
	v_fma_f64 v[212:213], -v[194:195], v[210:211], 1.0
	v_fmac_f64_e32 v[210:211], v[210:211], v[212:213]
	v_div_scale_f64 v[212:213], vcc, 1.0, v[192:193], 1.0
	v_mul_f64 v[214:215], v[212:213], v[210:211]
	v_fma_f64 v[194:195], -v[194:195], v[214:215], v[212:213]
	s_nop 1
	v_div_fmas_f64 v[194:195], v[194:195], v[210:211], v[214:215]
	v_div_fixup_f64 v[192:193], v[194:195], v[192:193], 1.0
	v_mul_f64 v[194:195], v[208:209], -v[192:193]
.LBB94_681:
	s_or_b64 exec, exec, s[16:17]
.LBB94_682:
	s_or_b64 exec, exec, s[0:1]
	v_cmp_ne_u32_e32 vcc, v205, v202
	s_and_saveexec_b64 s[0:1], vcc
	s_xor_b64 s[0:1], exec, s[0:1]
	s_cbranch_execz .LBB94_688
; %bb.683:
	v_cmp_eq_u32_e32 vcc, 32, v205
	s_and_saveexec_b64 s[16:17], vcc
	s_cbranch_execz .LBB94_687
; %bb.684:
	v_cmp_ne_u32_e32 vcc, 32, v202
	s_xor_b64 s[18:19], s[14:15], -1
	s_and_b64 s[22:23], s[18:19], vcc
	s_and_saveexec_b64 s[18:19], s[22:23]
	s_cbranch_execz .LBB94_686
; %bb.685:
	v_ashrrev_i32_e32 v203, 31, v202
	v_lshl_add_u64 v[208:209], v[202:203], 2, v[200:201]
	global_load_dword v203, v[208:209], off
	global_load_dword v205, v[200:201], off offset:128
	s_waitcnt vmcnt(1)
	global_store_dword v[200:201], v203, off offset:128
	s_waitcnt vmcnt(1)
	global_store_dword v[208:209], v205, off
.LBB94_686:
	s_or_b64 exec, exec, s[18:19]
	v_mov_b32_e32 v205, v202
	v_mov_b32_e32 v207, v202
.LBB94_687:
	s_or_b64 exec, exec, s[16:17]
.LBB94_688:
	s_andn2_saveexec_b64 s[0:1], s[0:1]
	s_cbranch_execz .LBB94_690
; %bb.689:
	v_mov_b32_e32 v205, 32
	s_waitcnt vmcnt(14)
	ds_write2_b64 v204, v[52:53], v[54:55] offset0:66 offset1:67
	s_waitcnt vmcnt(13)
	ds_write2_b64 v204, v[48:49], v[50:51] offset0:68 offset1:69
	;; [unrolled: 2-line block ×15, first 2 shown]
.LBB94_690:
	s_or_b64 exec, exec, s[0:1]
	v_cmp_lt_i32_e32 vcc, 32, v205
	s_waitcnt lgkmcnt(0)
	s_barrier
	s_and_saveexec_b64 s[0:1], vcc
	s_cbranch_execz .LBB94_692
; %bb.691:
	ds_read2_b64 v[208:211], v204 offset0:66 offset1:67
	v_mul_f64 v[202:203], v[192:193], v[58:59]
	v_fmac_f64_e32 v[202:203], v[194:195], v[56:57]
	v_mul_f64 v[58:59], v[194:195], v[58:59]
	v_fma_f64 v[56:57], v[192:193], v[56:57], -v[58:59]
	ds_read2_b64 v[192:195], v204 offset0:68 offset1:69
	s_waitcnt lgkmcnt(1)
	v_mul_f64 v[58:59], v[210:211], v[202:203]
	v_fma_f64 v[58:59], v[208:209], v[56:57], -v[58:59]
	v_mul_f64 v[208:209], v[208:209], v[202:203]
	v_fmac_f64_e32 v[208:209], v[210:211], v[56:57]
	s_waitcnt vmcnt(14)
	v_add_f64 v[54:55], v[54:55], -v[208:209]
	ds_read2_b64 v[208:211], v204 offset0:70 offset1:71
	v_add_f64 v[52:53], v[52:53], -v[58:59]
	s_waitcnt lgkmcnt(1)
	v_mul_f64 v[58:59], v[194:195], v[202:203]
	v_fma_f64 v[58:59], v[192:193], v[56:57], -v[58:59]
	v_mul_f64 v[192:193], v[192:193], v[202:203]
	v_fmac_f64_e32 v[192:193], v[194:195], v[56:57]
	s_waitcnt vmcnt(13)
	v_add_f64 v[48:49], v[48:49], -v[58:59]
	v_add_f64 v[50:51], v[50:51], -v[192:193]
	ds_read2_b64 v[192:195], v204 offset0:72 offset1:73
	s_waitcnt lgkmcnt(1)
	v_mul_f64 v[58:59], v[210:211], v[202:203]
	v_fma_f64 v[58:59], v[208:209], v[56:57], -v[58:59]
	v_mul_f64 v[208:209], v[208:209], v[202:203]
	v_fmac_f64_e32 v[208:209], v[210:211], v[56:57]
	s_waitcnt vmcnt(12)
	v_add_f64 v[46:47], v[46:47], -v[208:209]
	ds_read2_b64 v[208:211], v204 offset0:74 offset1:75
	v_add_f64 v[44:45], v[44:45], -v[58:59]
	s_waitcnt lgkmcnt(1)
	v_mul_f64 v[58:59], v[194:195], v[202:203]
	v_fma_f64 v[58:59], v[192:193], v[56:57], -v[58:59]
	v_mul_f64 v[192:193], v[192:193], v[202:203]
	v_fmac_f64_e32 v[192:193], v[194:195], v[56:57]
	s_waitcnt vmcnt(11)
	v_add_f64 v[40:41], v[40:41], -v[58:59]
	v_add_f64 v[42:43], v[42:43], -v[192:193]
	;; [unrolled: 18-line block ×7, first 2 shown]
	s_waitcnt lgkmcnt(0)
	v_mul_f64 v[58:59], v[210:211], v[202:203]
	v_mul_f64 v[192:193], v[208:209], v[202:203]
	v_fma_f64 v[58:59], v[208:209], v[56:57], -v[58:59]
	v_fmac_f64_e32 v[192:193], v[210:211], v[56:57]
	s_waitcnt vmcnt(0)
	v_add_f64 v[188:189], v[188:189], -v[58:59]
	v_add_f64 v[190:191], v[190:191], -v[192:193]
	v_mov_b64_e32 v[58:59], v[202:203]
.LBB94_692:
	s_or_b64 exec, exec, s[0:1]
	v_lshl_add_u32 v192, v205, 4, v204
	s_barrier
	s_waitcnt vmcnt(14)
	ds_write2_b64 v192, v[52:53], v[54:55] offset1:1
	s_waitcnt lgkmcnt(0)
	s_barrier
	ds_read2_b64 v[192:195], v204 offset0:66 offset1:67
	s_cmp_lt_i32 s20, 35
	v_mov_b32_e32 v202, 33
	s_cbranch_scc1 .LBB94_695
; %bb.693:
	v_add_u32_e32 v203, 0x220, v204
	s_mov_b32 s16, 34
	v_mov_b32_e32 v202, 33
.LBB94_694:                             ; =>This Inner Loop Header: Depth=1
	ds_read2_b64 v[208:211], v203 offset1:1
	s_waitcnt lgkmcnt(1)
	v_xor_b32_e32 v213, 0x80000000, v193
	v_xor_b32_e32 v215, 0x80000000, v195
	v_cmp_gt_f64_e32 vcc, 0, v[194:195]
	v_cmp_gt_f64_e64 s[0:1], 0, v[192:193]
	v_mov_b32_e32 v212, v192
	v_mov_b32_e32 v214, v194
	v_cndmask_b32_e64 v213, v193, v213, s[0:1]
	v_cndmask_b32_e32 v215, v195, v215, vcc
	v_add_f64 v[212:213], v[212:213], v[214:215]
	s_waitcnt lgkmcnt(0)
	v_xor_b32_e32 v215, 0x80000000, v209
	v_xor_b32_e32 v217, 0x80000000, v211
	v_cmp_gt_f64_e32 vcc, 0, v[210:211]
	v_cmp_gt_f64_e64 s[0:1], 0, v[208:209]
	v_mov_b32_e32 v214, v208
	v_mov_b32_e32 v216, v210
	v_cndmask_b32_e64 v215, v209, v215, s[0:1]
	v_cndmask_b32_e32 v217, v211, v217, vcc
	v_add_f64 v[214:215], v[214:215], v[216:217]
	v_mov_b32_e32 v218, s16
	s_add_i32 s16, s16, 1
	v_cmp_lt_f64_e32 vcc, v[212:213], v[214:215]
	v_add_u32_e32 v203, 16, v203
	s_cmp_lg_u32 s20, s16
	v_cndmask_b32_e32 v193, v193, v209, vcc
	v_cndmask_b32_e32 v192, v192, v208, vcc
	;; [unrolled: 1-line block ×5, first 2 shown]
	s_cbranch_scc1 .LBB94_694
.LBB94_695:
	s_waitcnt lgkmcnt(0)
	v_cmp_eq_f64_e32 vcc, 0, v[192:193]
	v_cmp_eq_f64_e64 s[0:1], 0, v[194:195]
	s_and_b64 s[0:1], vcc, s[0:1]
	s_and_saveexec_b64 s[16:17], s[0:1]
	s_xor_b64 s[0:1], exec, s[16:17]
; %bb.696:
	v_cmp_ne_u32_e32 vcc, 0, v206
	s_nop 1
	v_cndmask_b32_e32 v206, 34, v206, vcc
; %bb.697:
	s_andn2_saveexec_b64 s[0:1], s[0:1]
	s_cbranch_execz .LBB94_703
; %bb.698:
	v_cmp_ngt_f64_e64 s[16:17], |v[192:193]|, |v[194:195]|
	s_and_saveexec_b64 s[18:19], s[16:17]
	s_xor_b64 s[16:17], exec, s[18:19]
	s_cbranch_execz .LBB94_700
; %bb.699:
	v_div_scale_f64 v[208:209], s[18:19], v[194:195], v[194:195], v[192:193]
	v_rcp_f64_e32 v[210:211], v[208:209]
	v_div_scale_f64 v[212:213], vcc, v[192:193], v[194:195], v[192:193]
	v_fma_f64 v[214:215], -v[208:209], v[210:211], 1.0
	v_fmac_f64_e32 v[210:211], v[210:211], v[214:215]
	v_fma_f64 v[214:215], -v[208:209], v[210:211], 1.0
	v_fmac_f64_e32 v[210:211], v[210:211], v[214:215]
	v_mul_f64 v[214:215], v[212:213], v[210:211]
	v_fma_f64 v[208:209], -v[208:209], v[214:215], v[212:213]
	v_div_fmas_f64 v[208:209], v[208:209], v[210:211], v[214:215]
	v_div_fixup_f64 v[208:209], v[208:209], v[194:195], v[192:193]
	v_fmac_f64_e32 v[194:195], v[192:193], v[208:209]
	v_div_scale_f64 v[192:193], s[18:19], v[194:195], v[194:195], 1.0
	v_rcp_f64_e32 v[210:211], v[192:193]
	s_nop 0
	v_fma_f64 v[212:213], -v[192:193], v[210:211], 1.0
	v_fmac_f64_e32 v[210:211], v[210:211], v[212:213]
	v_fma_f64 v[212:213], -v[192:193], v[210:211], 1.0
	v_fmac_f64_e32 v[210:211], v[210:211], v[212:213]
	v_div_scale_f64 v[212:213], vcc, 1.0, v[194:195], 1.0
	v_mul_f64 v[214:215], v[212:213], v[210:211]
	v_fma_f64 v[192:193], -v[192:193], v[214:215], v[212:213]
	s_nop 1
	v_div_fmas_f64 v[192:193], v[192:193], v[210:211], v[214:215]
	v_div_fixup_f64 v[194:195], v[192:193], v[194:195], 1.0
	v_mul_f64 v[192:193], v[208:209], v[194:195]
	v_xor_b32_e32 v195, 0x80000000, v195
.LBB94_700:
	s_andn2_saveexec_b64 s[16:17], s[16:17]
	s_cbranch_execz .LBB94_702
; %bb.701:
	v_div_scale_f64 v[208:209], s[18:19], v[192:193], v[192:193], v[194:195]
	v_rcp_f64_e32 v[210:211], v[208:209]
	v_div_scale_f64 v[212:213], vcc, v[194:195], v[192:193], v[194:195]
	v_fma_f64 v[214:215], -v[208:209], v[210:211], 1.0
	v_fmac_f64_e32 v[210:211], v[210:211], v[214:215]
	v_fma_f64 v[214:215], -v[208:209], v[210:211], 1.0
	v_fmac_f64_e32 v[210:211], v[210:211], v[214:215]
	v_mul_f64 v[214:215], v[212:213], v[210:211]
	v_fma_f64 v[208:209], -v[208:209], v[214:215], v[212:213]
	v_div_fmas_f64 v[208:209], v[208:209], v[210:211], v[214:215]
	v_div_fixup_f64 v[208:209], v[208:209], v[192:193], v[194:195]
	v_fmac_f64_e32 v[192:193], v[194:195], v[208:209]
	v_div_scale_f64 v[194:195], s[18:19], v[192:193], v[192:193], 1.0
	v_rcp_f64_e32 v[210:211], v[194:195]
	s_nop 0
	v_fma_f64 v[212:213], -v[194:195], v[210:211], 1.0
	v_fmac_f64_e32 v[210:211], v[210:211], v[212:213]
	v_fma_f64 v[212:213], -v[194:195], v[210:211], 1.0
	v_fmac_f64_e32 v[210:211], v[210:211], v[212:213]
	v_div_scale_f64 v[212:213], vcc, 1.0, v[192:193], 1.0
	v_mul_f64 v[214:215], v[212:213], v[210:211]
	v_fma_f64 v[194:195], -v[194:195], v[214:215], v[212:213]
	s_nop 1
	v_div_fmas_f64 v[194:195], v[194:195], v[210:211], v[214:215]
	v_div_fixup_f64 v[192:193], v[194:195], v[192:193], 1.0
	v_mul_f64 v[194:195], v[208:209], -v[192:193]
.LBB94_702:
	s_or_b64 exec, exec, s[16:17]
.LBB94_703:
	s_or_b64 exec, exec, s[0:1]
	v_cmp_ne_u32_e32 vcc, v205, v202
	s_and_saveexec_b64 s[0:1], vcc
	s_xor_b64 s[0:1], exec, s[0:1]
	s_cbranch_execz .LBB94_709
; %bb.704:
	v_cmp_eq_u32_e32 vcc, 33, v205
	s_and_saveexec_b64 s[16:17], vcc
	s_cbranch_execz .LBB94_708
; %bb.705:
	v_cmp_ne_u32_e32 vcc, 33, v202
	s_xor_b64 s[18:19], s[14:15], -1
	s_and_b64 s[22:23], s[18:19], vcc
	s_and_saveexec_b64 s[18:19], s[22:23]
	s_cbranch_execz .LBB94_707
; %bb.706:
	v_ashrrev_i32_e32 v203, 31, v202
	v_lshl_add_u64 v[208:209], v[202:203], 2, v[200:201]
	global_load_dword v203, v[208:209], off
	global_load_dword v205, v[200:201], off offset:132
	s_waitcnt vmcnt(1)
	global_store_dword v[200:201], v203, off offset:132
	s_waitcnt vmcnt(1)
	global_store_dword v[208:209], v205, off
.LBB94_707:
	s_or_b64 exec, exec, s[18:19]
	v_mov_b32_e32 v205, v202
	v_mov_b32_e32 v207, v202
.LBB94_708:
	s_or_b64 exec, exec, s[16:17]
.LBB94_709:
	s_andn2_saveexec_b64 s[0:1], s[0:1]
	s_cbranch_execz .LBB94_711
; %bb.710:
	v_mov_b32_e32 v205, 33
	s_waitcnt vmcnt(13)
	ds_write2_b64 v204, v[48:49], v[50:51] offset0:68 offset1:69
	s_waitcnt vmcnt(12)
	ds_write2_b64 v204, v[44:45], v[46:47] offset0:70 offset1:71
	;; [unrolled: 2-line block ×14, first 2 shown]
.LBB94_711:
	s_or_b64 exec, exec, s[0:1]
	v_cmp_lt_i32_e32 vcc, 33, v205
	s_waitcnt lgkmcnt(0)
	s_barrier
	s_and_saveexec_b64 s[0:1], vcc
	s_cbranch_execz .LBB94_713
; %bb.712:
	ds_read2_b64 v[208:211], v204 offset0:68 offset1:69
	v_mul_f64 v[202:203], v[192:193], v[54:55]
	v_mul_f64 v[54:55], v[194:195], v[54:55]
	v_fmac_f64_e32 v[202:203], v[194:195], v[52:53]
	v_fma_f64 v[52:53], v[192:193], v[52:53], -v[54:55]
	ds_read2_b64 v[192:195], v204 offset0:70 offset1:71
	s_waitcnt lgkmcnt(1)
	v_mul_f64 v[54:55], v[210:211], v[202:203]
	v_fma_f64 v[54:55], v[208:209], v[52:53], -v[54:55]
	v_mul_f64 v[208:209], v[208:209], v[202:203]
	v_fmac_f64_e32 v[208:209], v[210:211], v[52:53]
	s_waitcnt vmcnt(13)
	v_add_f64 v[48:49], v[48:49], -v[54:55]
	s_waitcnt lgkmcnt(0)
	v_mul_f64 v[54:55], v[194:195], v[202:203]
	v_add_f64 v[50:51], v[50:51], -v[208:209]
	v_fma_f64 v[54:55], v[192:193], v[52:53], -v[54:55]
	v_mul_f64 v[192:193], v[192:193], v[202:203]
	ds_read2_b64 v[208:211], v204 offset0:72 offset1:73
	v_fmac_f64_e32 v[192:193], v[194:195], v[52:53]
	s_waitcnt vmcnt(12)
	v_add_f64 v[46:47], v[46:47], -v[192:193]
	ds_read2_b64 v[192:195], v204 offset0:74 offset1:75
	v_add_f64 v[44:45], v[44:45], -v[54:55]
	s_waitcnt lgkmcnt(1)
	v_mul_f64 v[54:55], v[210:211], v[202:203]
	v_fma_f64 v[54:55], v[208:209], v[52:53], -v[54:55]
	v_mul_f64 v[208:209], v[208:209], v[202:203]
	v_fmac_f64_e32 v[208:209], v[210:211], v[52:53]
	s_waitcnt vmcnt(11)
	v_add_f64 v[40:41], v[40:41], -v[54:55]
	s_waitcnt lgkmcnt(0)
	v_mul_f64 v[54:55], v[194:195], v[202:203]
	v_add_f64 v[42:43], v[42:43], -v[208:209]
	v_fma_f64 v[54:55], v[192:193], v[52:53], -v[54:55]
	v_mul_f64 v[192:193], v[192:193], v[202:203]
	ds_read2_b64 v[208:211], v204 offset0:76 offset1:77
	v_fmac_f64_e32 v[192:193], v[194:195], v[52:53]
	s_waitcnt vmcnt(10)
	v_add_f64 v[38:39], v[38:39], -v[192:193]
	ds_read2_b64 v[192:195], v204 offset0:78 offset1:79
	v_add_f64 v[36:37], v[36:37], -v[54:55]
	;; [unrolled: 18-line block ×6, first 2 shown]
	s_waitcnt lgkmcnt(1)
	v_mul_f64 v[54:55], v[210:211], v[202:203]
	v_fma_f64 v[54:55], v[208:209], v[52:53], -v[54:55]
	s_waitcnt vmcnt(1)
	v_add_f64 v[0:1], v[0:1], -v[54:55]
	s_waitcnt lgkmcnt(0)
	v_mul_f64 v[54:55], v[194:195], v[202:203]
	v_mul_f64 v[208:209], v[208:209], v[202:203]
	v_fma_f64 v[54:55], v[192:193], v[52:53], -v[54:55]
	v_mul_f64 v[192:193], v[192:193], v[202:203]
	v_fmac_f64_e32 v[208:209], v[210:211], v[52:53]
	v_fmac_f64_e32 v[192:193], v[194:195], v[52:53]
	v_add_f64 v[2:3], v[2:3], -v[208:209]
	s_waitcnt vmcnt(0)
	v_add_f64 v[188:189], v[188:189], -v[54:55]
	v_add_f64 v[190:191], v[190:191], -v[192:193]
	v_mov_b64_e32 v[54:55], v[202:203]
.LBB94_713:
	s_or_b64 exec, exec, s[0:1]
	v_lshl_add_u32 v192, v205, 4, v204
	s_barrier
	s_waitcnt vmcnt(13)
	ds_write2_b64 v192, v[48:49], v[50:51] offset1:1
	s_waitcnt lgkmcnt(0)
	s_barrier
	ds_read2_b64 v[192:195], v204 offset0:68 offset1:69
	s_cmp_lt_i32 s20, 36
	v_mov_b32_e32 v202, 34
	s_cbranch_scc1 .LBB94_716
; %bb.714:
	v_add_u32_e32 v203, 0x230, v204
	s_mov_b32 s16, 35
	v_mov_b32_e32 v202, 34
.LBB94_715:                             ; =>This Inner Loop Header: Depth=1
	ds_read2_b64 v[208:211], v203 offset1:1
	s_waitcnt lgkmcnt(1)
	v_xor_b32_e32 v213, 0x80000000, v193
	v_xor_b32_e32 v215, 0x80000000, v195
	v_cmp_gt_f64_e32 vcc, 0, v[194:195]
	v_cmp_gt_f64_e64 s[0:1], 0, v[192:193]
	v_mov_b32_e32 v212, v192
	v_mov_b32_e32 v214, v194
	v_cndmask_b32_e64 v213, v193, v213, s[0:1]
	v_cndmask_b32_e32 v215, v195, v215, vcc
	v_add_f64 v[212:213], v[212:213], v[214:215]
	s_waitcnt lgkmcnt(0)
	v_xor_b32_e32 v215, 0x80000000, v209
	v_xor_b32_e32 v217, 0x80000000, v211
	v_cmp_gt_f64_e32 vcc, 0, v[210:211]
	v_cmp_gt_f64_e64 s[0:1], 0, v[208:209]
	v_mov_b32_e32 v214, v208
	v_mov_b32_e32 v216, v210
	v_cndmask_b32_e64 v215, v209, v215, s[0:1]
	v_cndmask_b32_e32 v217, v211, v217, vcc
	v_add_f64 v[214:215], v[214:215], v[216:217]
	v_mov_b32_e32 v218, s16
	s_add_i32 s16, s16, 1
	v_cmp_lt_f64_e32 vcc, v[212:213], v[214:215]
	v_add_u32_e32 v203, 16, v203
	s_cmp_lg_u32 s20, s16
	v_cndmask_b32_e32 v193, v193, v209, vcc
	v_cndmask_b32_e32 v192, v192, v208, vcc
	;; [unrolled: 1-line block ×5, first 2 shown]
	s_cbranch_scc1 .LBB94_715
.LBB94_716:
	s_waitcnt lgkmcnt(0)
	v_cmp_eq_f64_e32 vcc, 0, v[192:193]
	v_cmp_eq_f64_e64 s[0:1], 0, v[194:195]
	s_and_b64 s[0:1], vcc, s[0:1]
	s_and_saveexec_b64 s[16:17], s[0:1]
	s_xor_b64 s[0:1], exec, s[16:17]
; %bb.717:
	v_cmp_ne_u32_e32 vcc, 0, v206
	s_nop 1
	v_cndmask_b32_e32 v206, 35, v206, vcc
; %bb.718:
	s_andn2_saveexec_b64 s[0:1], s[0:1]
	s_cbranch_execz .LBB94_724
; %bb.719:
	v_cmp_ngt_f64_e64 s[16:17], |v[192:193]|, |v[194:195]|
	s_and_saveexec_b64 s[18:19], s[16:17]
	s_xor_b64 s[16:17], exec, s[18:19]
	s_cbranch_execz .LBB94_721
; %bb.720:
	v_div_scale_f64 v[208:209], s[18:19], v[194:195], v[194:195], v[192:193]
	v_rcp_f64_e32 v[210:211], v[208:209]
	v_div_scale_f64 v[212:213], vcc, v[192:193], v[194:195], v[192:193]
	v_fma_f64 v[214:215], -v[208:209], v[210:211], 1.0
	v_fmac_f64_e32 v[210:211], v[210:211], v[214:215]
	v_fma_f64 v[214:215], -v[208:209], v[210:211], 1.0
	v_fmac_f64_e32 v[210:211], v[210:211], v[214:215]
	v_mul_f64 v[214:215], v[212:213], v[210:211]
	v_fma_f64 v[208:209], -v[208:209], v[214:215], v[212:213]
	v_div_fmas_f64 v[208:209], v[208:209], v[210:211], v[214:215]
	v_div_fixup_f64 v[208:209], v[208:209], v[194:195], v[192:193]
	v_fmac_f64_e32 v[194:195], v[192:193], v[208:209]
	v_div_scale_f64 v[192:193], s[18:19], v[194:195], v[194:195], 1.0
	v_rcp_f64_e32 v[210:211], v[192:193]
	s_nop 0
	v_fma_f64 v[212:213], -v[192:193], v[210:211], 1.0
	v_fmac_f64_e32 v[210:211], v[210:211], v[212:213]
	v_fma_f64 v[212:213], -v[192:193], v[210:211], 1.0
	v_fmac_f64_e32 v[210:211], v[210:211], v[212:213]
	v_div_scale_f64 v[212:213], vcc, 1.0, v[194:195], 1.0
	v_mul_f64 v[214:215], v[212:213], v[210:211]
	v_fma_f64 v[192:193], -v[192:193], v[214:215], v[212:213]
	s_nop 1
	v_div_fmas_f64 v[192:193], v[192:193], v[210:211], v[214:215]
	v_div_fixup_f64 v[194:195], v[192:193], v[194:195], 1.0
	v_mul_f64 v[192:193], v[208:209], v[194:195]
	v_xor_b32_e32 v195, 0x80000000, v195
.LBB94_721:
	s_andn2_saveexec_b64 s[16:17], s[16:17]
	s_cbranch_execz .LBB94_723
; %bb.722:
	v_div_scale_f64 v[208:209], s[18:19], v[192:193], v[192:193], v[194:195]
	v_rcp_f64_e32 v[210:211], v[208:209]
	v_div_scale_f64 v[212:213], vcc, v[194:195], v[192:193], v[194:195]
	v_fma_f64 v[214:215], -v[208:209], v[210:211], 1.0
	v_fmac_f64_e32 v[210:211], v[210:211], v[214:215]
	v_fma_f64 v[214:215], -v[208:209], v[210:211], 1.0
	v_fmac_f64_e32 v[210:211], v[210:211], v[214:215]
	v_mul_f64 v[214:215], v[212:213], v[210:211]
	v_fma_f64 v[208:209], -v[208:209], v[214:215], v[212:213]
	v_div_fmas_f64 v[208:209], v[208:209], v[210:211], v[214:215]
	v_div_fixup_f64 v[208:209], v[208:209], v[192:193], v[194:195]
	v_fmac_f64_e32 v[192:193], v[194:195], v[208:209]
	v_div_scale_f64 v[194:195], s[18:19], v[192:193], v[192:193], 1.0
	v_rcp_f64_e32 v[210:211], v[194:195]
	s_nop 0
	v_fma_f64 v[212:213], -v[194:195], v[210:211], 1.0
	v_fmac_f64_e32 v[210:211], v[210:211], v[212:213]
	v_fma_f64 v[212:213], -v[194:195], v[210:211], 1.0
	v_fmac_f64_e32 v[210:211], v[210:211], v[212:213]
	v_div_scale_f64 v[212:213], vcc, 1.0, v[192:193], 1.0
	v_mul_f64 v[214:215], v[212:213], v[210:211]
	v_fma_f64 v[194:195], -v[194:195], v[214:215], v[212:213]
	s_nop 1
	v_div_fmas_f64 v[194:195], v[194:195], v[210:211], v[214:215]
	v_div_fixup_f64 v[192:193], v[194:195], v[192:193], 1.0
	v_mul_f64 v[194:195], v[208:209], -v[192:193]
.LBB94_723:
	s_or_b64 exec, exec, s[16:17]
.LBB94_724:
	s_or_b64 exec, exec, s[0:1]
	v_cmp_ne_u32_e32 vcc, v205, v202
	s_and_saveexec_b64 s[0:1], vcc
	s_xor_b64 s[0:1], exec, s[0:1]
	s_cbranch_execz .LBB94_730
; %bb.725:
	v_cmp_eq_u32_e32 vcc, 34, v205
	s_and_saveexec_b64 s[16:17], vcc
	s_cbranch_execz .LBB94_729
; %bb.726:
	v_cmp_ne_u32_e32 vcc, 34, v202
	s_xor_b64 s[18:19], s[14:15], -1
	s_and_b64 s[22:23], s[18:19], vcc
	s_and_saveexec_b64 s[18:19], s[22:23]
	s_cbranch_execz .LBB94_728
; %bb.727:
	v_ashrrev_i32_e32 v203, 31, v202
	v_lshl_add_u64 v[208:209], v[202:203], 2, v[200:201]
	global_load_dword v203, v[208:209], off
	global_load_dword v205, v[200:201], off offset:136
	s_waitcnt vmcnt(1)
	global_store_dword v[200:201], v203, off offset:136
	s_waitcnt vmcnt(1)
	global_store_dword v[208:209], v205, off
.LBB94_728:
	s_or_b64 exec, exec, s[18:19]
	v_mov_b32_e32 v205, v202
	v_mov_b32_e32 v207, v202
.LBB94_729:
	s_or_b64 exec, exec, s[16:17]
.LBB94_730:
	s_andn2_saveexec_b64 s[0:1], s[0:1]
	s_cbranch_execz .LBB94_732
; %bb.731:
	v_mov_b32_e32 v205, 34
	s_waitcnt vmcnt(12)
	ds_write2_b64 v204, v[44:45], v[46:47] offset0:70 offset1:71
	s_waitcnt vmcnt(11)
	ds_write2_b64 v204, v[40:41], v[42:43] offset0:72 offset1:73
	;; [unrolled: 2-line block ×13, first 2 shown]
.LBB94_732:
	s_or_b64 exec, exec, s[0:1]
	v_cmp_lt_i32_e32 vcc, 34, v205
	s_waitcnt lgkmcnt(0)
	s_barrier
	s_and_saveexec_b64 s[0:1], vcc
	s_cbranch_execz .LBB94_734
; %bb.733:
	ds_read2_b64 v[208:211], v204 offset0:70 offset1:71
	v_mul_f64 v[202:203], v[192:193], v[50:51]
	v_fmac_f64_e32 v[202:203], v[194:195], v[48:49]
	v_mul_f64 v[50:51], v[194:195], v[50:51]
	v_fma_f64 v[48:49], v[192:193], v[48:49], -v[50:51]
	ds_read2_b64 v[192:195], v204 offset0:72 offset1:73
	s_waitcnt lgkmcnt(1)
	v_mul_f64 v[50:51], v[210:211], v[202:203]
	v_fma_f64 v[50:51], v[208:209], v[48:49], -v[50:51]
	v_mul_f64 v[208:209], v[208:209], v[202:203]
	v_fmac_f64_e32 v[208:209], v[210:211], v[48:49]
	s_waitcnt vmcnt(12)
	v_add_f64 v[46:47], v[46:47], -v[208:209]
	ds_read2_b64 v[208:211], v204 offset0:74 offset1:75
	v_add_f64 v[44:45], v[44:45], -v[50:51]
	s_waitcnt lgkmcnt(1)
	v_mul_f64 v[50:51], v[194:195], v[202:203]
	v_fma_f64 v[50:51], v[192:193], v[48:49], -v[50:51]
	v_mul_f64 v[192:193], v[192:193], v[202:203]
	v_fmac_f64_e32 v[192:193], v[194:195], v[48:49]
	s_waitcnt vmcnt(11)
	v_add_f64 v[40:41], v[40:41], -v[50:51]
	v_add_f64 v[42:43], v[42:43], -v[192:193]
	ds_read2_b64 v[192:195], v204 offset0:76 offset1:77
	s_waitcnt lgkmcnt(1)
	v_mul_f64 v[50:51], v[210:211], v[202:203]
	v_fma_f64 v[50:51], v[208:209], v[48:49], -v[50:51]
	v_mul_f64 v[208:209], v[208:209], v[202:203]
	v_fmac_f64_e32 v[208:209], v[210:211], v[48:49]
	s_waitcnt vmcnt(10)
	v_add_f64 v[38:39], v[38:39], -v[208:209]
	ds_read2_b64 v[208:211], v204 offset0:78 offset1:79
	v_add_f64 v[36:37], v[36:37], -v[50:51]
	s_waitcnt lgkmcnt(1)
	v_mul_f64 v[50:51], v[194:195], v[202:203]
	v_fma_f64 v[50:51], v[192:193], v[48:49], -v[50:51]
	v_mul_f64 v[192:193], v[192:193], v[202:203]
	v_fmac_f64_e32 v[192:193], v[194:195], v[48:49]
	s_waitcnt vmcnt(9)
	v_add_f64 v[32:33], v[32:33], -v[50:51]
	v_add_f64 v[34:35], v[34:35], -v[192:193]
	;; [unrolled: 18-line block ×6, first 2 shown]
	s_waitcnt lgkmcnt(0)
	v_mul_f64 v[50:51], v[210:211], v[202:203]
	v_mul_f64 v[192:193], v[208:209], v[202:203]
	v_fma_f64 v[50:51], v[208:209], v[48:49], -v[50:51]
	v_fmac_f64_e32 v[192:193], v[210:211], v[48:49]
	s_waitcnt vmcnt(0)
	v_add_f64 v[188:189], v[188:189], -v[50:51]
	v_add_f64 v[190:191], v[190:191], -v[192:193]
	v_mov_b64_e32 v[50:51], v[202:203]
.LBB94_734:
	s_or_b64 exec, exec, s[0:1]
	v_lshl_add_u32 v192, v205, 4, v204
	s_barrier
	s_waitcnt vmcnt(12)
	ds_write2_b64 v192, v[44:45], v[46:47] offset1:1
	s_waitcnt lgkmcnt(0)
	s_barrier
	ds_read2_b64 v[192:195], v204 offset0:70 offset1:71
	s_cmp_lt_i32 s20, 37
	v_mov_b32_e32 v202, 35
	s_cbranch_scc1 .LBB94_737
; %bb.735:
	v_add_u32_e32 v203, 0x240, v204
	s_mov_b32 s16, 36
	v_mov_b32_e32 v202, 35
.LBB94_736:                             ; =>This Inner Loop Header: Depth=1
	ds_read2_b64 v[208:211], v203 offset1:1
	s_waitcnt lgkmcnt(1)
	v_xor_b32_e32 v213, 0x80000000, v193
	v_xor_b32_e32 v215, 0x80000000, v195
	v_cmp_gt_f64_e32 vcc, 0, v[194:195]
	v_cmp_gt_f64_e64 s[0:1], 0, v[192:193]
	v_mov_b32_e32 v212, v192
	v_mov_b32_e32 v214, v194
	v_cndmask_b32_e64 v213, v193, v213, s[0:1]
	v_cndmask_b32_e32 v215, v195, v215, vcc
	v_add_f64 v[212:213], v[212:213], v[214:215]
	s_waitcnt lgkmcnt(0)
	v_xor_b32_e32 v215, 0x80000000, v209
	v_xor_b32_e32 v217, 0x80000000, v211
	v_cmp_gt_f64_e32 vcc, 0, v[210:211]
	v_cmp_gt_f64_e64 s[0:1], 0, v[208:209]
	v_mov_b32_e32 v214, v208
	v_mov_b32_e32 v216, v210
	v_cndmask_b32_e64 v215, v209, v215, s[0:1]
	v_cndmask_b32_e32 v217, v211, v217, vcc
	v_add_f64 v[214:215], v[214:215], v[216:217]
	v_mov_b32_e32 v218, s16
	s_add_i32 s16, s16, 1
	v_cmp_lt_f64_e32 vcc, v[212:213], v[214:215]
	v_add_u32_e32 v203, 16, v203
	s_cmp_lg_u32 s20, s16
	v_cndmask_b32_e32 v193, v193, v209, vcc
	v_cndmask_b32_e32 v192, v192, v208, vcc
	;; [unrolled: 1-line block ×5, first 2 shown]
	s_cbranch_scc1 .LBB94_736
.LBB94_737:
	s_waitcnt lgkmcnt(0)
	v_cmp_eq_f64_e32 vcc, 0, v[192:193]
	v_cmp_eq_f64_e64 s[0:1], 0, v[194:195]
	s_and_b64 s[0:1], vcc, s[0:1]
	s_and_saveexec_b64 s[16:17], s[0:1]
	s_xor_b64 s[0:1], exec, s[16:17]
; %bb.738:
	v_cmp_ne_u32_e32 vcc, 0, v206
	s_nop 1
	v_cndmask_b32_e32 v206, 36, v206, vcc
; %bb.739:
	s_andn2_saveexec_b64 s[0:1], s[0:1]
	s_cbranch_execz .LBB94_745
; %bb.740:
	v_cmp_ngt_f64_e64 s[16:17], |v[192:193]|, |v[194:195]|
	s_and_saveexec_b64 s[18:19], s[16:17]
	s_xor_b64 s[16:17], exec, s[18:19]
	s_cbranch_execz .LBB94_742
; %bb.741:
	v_div_scale_f64 v[208:209], s[18:19], v[194:195], v[194:195], v[192:193]
	v_rcp_f64_e32 v[210:211], v[208:209]
	v_div_scale_f64 v[212:213], vcc, v[192:193], v[194:195], v[192:193]
	v_fma_f64 v[214:215], -v[208:209], v[210:211], 1.0
	v_fmac_f64_e32 v[210:211], v[210:211], v[214:215]
	v_fma_f64 v[214:215], -v[208:209], v[210:211], 1.0
	v_fmac_f64_e32 v[210:211], v[210:211], v[214:215]
	v_mul_f64 v[214:215], v[212:213], v[210:211]
	v_fma_f64 v[208:209], -v[208:209], v[214:215], v[212:213]
	v_div_fmas_f64 v[208:209], v[208:209], v[210:211], v[214:215]
	v_div_fixup_f64 v[208:209], v[208:209], v[194:195], v[192:193]
	v_fmac_f64_e32 v[194:195], v[192:193], v[208:209]
	v_div_scale_f64 v[192:193], s[18:19], v[194:195], v[194:195], 1.0
	v_rcp_f64_e32 v[210:211], v[192:193]
	s_nop 0
	v_fma_f64 v[212:213], -v[192:193], v[210:211], 1.0
	v_fmac_f64_e32 v[210:211], v[210:211], v[212:213]
	v_fma_f64 v[212:213], -v[192:193], v[210:211], 1.0
	v_fmac_f64_e32 v[210:211], v[210:211], v[212:213]
	v_div_scale_f64 v[212:213], vcc, 1.0, v[194:195], 1.0
	v_mul_f64 v[214:215], v[212:213], v[210:211]
	v_fma_f64 v[192:193], -v[192:193], v[214:215], v[212:213]
	s_nop 1
	v_div_fmas_f64 v[192:193], v[192:193], v[210:211], v[214:215]
	v_div_fixup_f64 v[194:195], v[192:193], v[194:195], 1.0
	v_mul_f64 v[192:193], v[208:209], v[194:195]
	v_xor_b32_e32 v195, 0x80000000, v195
.LBB94_742:
	s_andn2_saveexec_b64 s[16:17], s[16:17]
	s_cbranch_execz .LBB94_744
; %bb.743:
	v_div_scale_f64 v[208:209], s[18:19], v[192:193], v[192:193], v[194:195]
	v_rcp_f64_e32 v[210:211], v[208:209]
	v_div_scale_f64 v[212:213], vcc, v[194:195], v[192:193], v[194:195]
	v_fma_f64 v[214:215], -v[208:209], v[210:211], 1.0
	v_fmac_f64_e32 v[210:211], v[210:211], v[214:215]
	v_fma_f64 v[214:215], -v[208:209], v[210:211], 1.0
	v_fmac_f64_e32 v[210:211], v[210:211], v[214:215]
	v_mul_f64 v[214:215], v[212:213], v[210:211]
	v_fma_f64 v[208:209], -v[208:209], v[214:215], v[212:213]
	v_div_fmas_f64 v[208:209], v[208:209], v[210:211], v[214:215]
	v_div_fixup_f64 v[208:209], v[208:209], v[192:193], v[194:195]
	v_fmac_f64_e32 v[192:193], v[194:195], v[208:209]
	v_div_scale_f64 v[194:195], s[18:19], v[192:193], v[192:193], 1.0
	v_rcp_f64_e32 v[210:211], v[194:195]
	s_nop 0
	v_fma_f64 v[212:213], -v[194:195], v[210:211], 1.0
	v_fmac_f64_e32 v[210:211], v[210:211], v[212:213]
	v_fma_f64 v[212:213], -v[194:195], v[210:211], 1.0
	v_fmac_f64_e32 v[210:211], v[210:211], v[212:213]
	v_div_scale_f64 v[212:213], vcc, 1.0, v[192:193], 1.0
	v_mul_f64 v[214:215], v[212:213], v[210:211]
	v_fma_f64 v[194:195], -v[194:195], v[214:215], v[212:213]
	s_nop 1
	v_div_fmas_f64 v[194:195], v[194:195], v[210:211], v[214:215]
	v_div_fixup_f64 v[192:193], v[194:195], v[192:193], 1.0
	v_mul_f64 v[194:195], v[208:209], -v[192:193]
.LBB94_744:
	s_or_b64 exec, exec, s[16:17]
.LBB94_745:
	s_or_b64 exec, exec, s[0:1]
	v_cmp_ne_u32_e32 vcc, v205, v202
	s_and_saveexec_b64 s[0:1], vcc
	s_xor_b64 s[0:1], exec, s[0:1]
	s_cbranch_execz .LBB94_751
; %bb.746:
	v_cmp_eq_u32_e32 vcc, 35, v205
	s_and_saveexec_b64 s[16:17], vcc
	s_cbranch_execz .LBB94_750
; %bb.747:
	v_cmp_ne_u32_e32 vcc, 35, v202
	s_xor_b64 s[18:19], s[14:15], -1
	s_and_b64 s[22:23], s[18:19], vcc
	s_and_saveexec_b64 s[18:19], s[22:23]
	s_cbranch_execz .LBB94_749
; %bb.748:
	v_ashrrev_i32_e32 v203, 31, v202
	v_lshl_add_u64 v[208:209], v[202:203], 2, v[200:201]
	global_load_dword v203, v[208:209], off
	global_load_dword v205, v[200:201], off offset:140
	s_waitcnt vmcnt(1)
	global_store_dword v[200:201], v203, off offset:140
	s_waitcnt vmcnt(1)
	global_store_dword v[208:209], v205, off
.LBB94_749:
	s_or_b64 exec, exec, s[18:19]
	v_mov_b32_e32 v205, v202
	v_mov_b32_e32 v207, v202
.LBB94_750:
	s_or_b64 exec, exec, s[16:17]
.LBB94_751:
	s_andn2_saveexec_b64 s[0:1], s[0:1]
	s_cbranch_execz .LBB94_753
; %bb.752:
	v_mov_b32_e32 v205, 35
	s_waitcnt vmcnt(11)
	ds_write2_b64 v204, v[40:41], v[42:43] offset0:72 offset1:73
	s_waitcnt vmcnt(10)
	ds_write2_b64 v204, v[36:37], v[38:39] offset0:74 offset1:75
	;; [unrolled: 2-line block ×12, first 2 shown]
.LBB94_753:
	s_or_b64 exec, exec, s[0:1]
	v_cmp_lt_i32_e32 vcc, 35, v205
	s_waitcnt lgkmcnt(0)
	s_barrier
	s_and_saveexec_b64 s[0:1], vcc
	s_cbranch_execz .LBB94_755
; %bb.754:
	ds_read2_b64 v[208:211], v204 offset0:72 offset1:73
	v_mul_f64 v[202:203], v[192:193], v[46:47]
	v_mul_f64 v[46:47], v[194:195], v[46:47]
	v_fmac_f64_e32 v[202:203], v[194:195], v[44:45]
	v_fma_f64 v[44:45], v[192:193], v[44:45], -v[46:47]
	ds_read2_b64 v[192:195], v204 offset0:74 offset1:75
	s_waitcnt lgkmcnt(1)
	v_mul_f64 v[46:47], v[210:211], v[202:203]
	v_fma_f64 v[46:47], v[208:209], v[44:45], -v[46:47]
	v_mul_f64 v[208:209], v[208:209], v[202:203]
	v_fmac_f64_e32 v[208:209], v[210:211], v[44:45]
	s_waitcnt vmcnt(11)
	v_add_f64 v[40:41], v[40:41], -v[46:47]
	s_waitcnt lgkmcnt(0)
	v_mul_f64 v[46:47], v[194:195], v[202:203]
	v_add_f64 v[42:43], v[42:43], -v[208:209]
	v_fma_f64 v[46:47], v[192:193], v[44:45], -v[46:47]
	v_mul_f64 v[192:193], v[192:193], v[202:203]
	ds_read2_b64 v[208:211], v204 offset0:76 offset1:77
	v_fmac_f64_e32 v[192:193], v[194:195], v[44:45]
	s_waitcnt vmcnt(10)
	v_add_f64 v[38:39], v[38:39], -v[192:193]
	ds_read2_b64 v[192:195], v204 offset0:78 offset1:79
	v_add_f64 v[36:37], v[36:37], -v[46:47]
	s_waitcnt lgkmcnt(1)
	v_mul_f64 v[46:47], v[210:211], v[202:203]
	v_fma_f64 v[46:47], v[208:209], v[44:45], -v[46:47]
	v_mul_f64 v[208:209], v[208:209], v[202:203]
	v_fmac_f64_e32 v[208:209], v[210:211], v[44:45]
	s_waitcnt vmcnt(9)
	v_add_f64 v[32:33], v[32:33], -v[46:47]
	s_waitcnt lgkmcnt(0)
	v_mul_f64 v[46:47], v[194:195], v[202:203]
	v_add_f64 v[34:35], v[34:35], -v[208:209]
	v_fma_f64 v[46:47], v[192:193], v[44:45], -v[46:47]
	v_mul_f64 v[192:193], v[192:193], v[202:203]
	ds_read2_b64 v[208:211], v204 offset0:80 offset1:81
	v_fmac_f64_e32 v[192:193], v[194:195], v[44:45]
	s_waitcnt vmcnt(8)
	v_add_f64 v[30:31], v[30:31], -v[192:193]
	ds_read2_b64 v[192:195], v204 offset0:82 offset1:83
	v_add_f64 v[28:29], v[28:29], -v[46:47]
	;; [unrolled: 18-line block ×5, first 2 shown]
	s_waitcnt lgkmcnt(1)
	v_mul_f64 v[46:47], v[210:211], v[202:203]
	v_fma_f64 v[46:47], v[208:209], v[44:45], -v[46:47]
	s_waitcnt vmcnt(1)
	v_add_f64 v[0:1], v[0:1], -v[46:47]
	s_waitcnt lgkmcnt(0)
	v_mul_f64 v[46:47], v[194:195], v[202:203]
	v_mul_f64 v[208:209], v[208:209], v[202:203]
	v_fma_f64 v[46:47], v[192:193], v[44:45], -v[46:47]
	v_mul_f64 v[192:193], v[192:193], v[202:203]
	v_fmac_f64_e32 v[208:209], v[210:211], v[44:45]
	v_fmac_f64_e32 v[192:193], v[194:195], v[44:45]
	v_add_f64 v[2:3], v[2:3], -v[208:209]
	s_waitcnt vmcnt(0)
	v_add_f64 v[188:189], v[188:189], -v[46:47]
	v_add_f64 v[190:191], v[190:191], -v[192:193]
	v_mov_b64_e32 v[46:47], v[202:203]
.LBB94_755:
	s_or_b64 exec, exec, s[0:1]
	v_lshl_add_u32 v192, v205, 4, v204
	s_barrier
	s_waitcnt vmcnt(11)
	ds_write2_b64 v192, v[40:41], v[42:43] offset1:1
	s_waitcnt lgkmcnt(0)
	s_barrier
	ds_read2_b64 v[192:195], v204 offset0:72 offset1:73
	s_cmp_lt_i32 s20, 38
	v_mov_b32_e32 v202, 36
	s_cbranch_scc1 .LBB94_758
; %bb.756:
	v_add_u32_e32 v203, 0x250, v204
	s_mov_b32 s16, 37
	v_mov_b32_e32 v202, 36
.LBB94_757:                             ; =>This Inner Loop Header: Depth=1
	ds_read2_b64 v[208:211], v203 offset1:1
	s_waitcnt lgkmcnt(1)
	v_xor_b32_e32 v213, 0x80000000, v193
	v_xor_b32_e32 v215, 0x80000000, v195
	v_cmp_gt_f64_e32 vcc, 0, v[194:195]
	v_cmp_gt_f64_e64 s[0:1], 0, v[192:193]
	v_mov_b32_e32 v212, v192
	v_mov_b32_e32 v214, v194
	v_cndmask_b32_e64 v213, v193, v213, s[0:1]
	v_cndmask_b32_e32 v215, v195, v215, vcc
	v_add_f64 v[212:213], v[212:213], v[214:215]
	s_waitcnt lgkmcnt(0)
	v_xor_b32_e32 v215, 0x80000000, v209
	v_xor_b32_e32 v217, 0x80000000, v211
	v_cmp_gt_f64_e32 vcc, 0, v[210:211]
	v_cmp_gt_f64_e64 s[0:1], 0, v[208:209]
	v_mov_b32_e32 v214, v208
	v_mov_b32_e32 v216, v210
	v_cndmask_b32_e64 v215, v209, v215, s[0:1]
	v_cndmask_b32_e32 v217, v211, v217, vcc
	v_add_f64 v[214:215], v[214:215], v[216:217]
	v_mov_b32_e32 v218, s16
	s_add_i32 s16, s16, 1
	v_cmp_lt_f64_e32 vcc, v[212:213], v[214:215]
	v_add_u32_e32 v203, 16, v203
	s_cmp_lg_u32 s20, s16
	v_cndmask_b32_e32 v193, v193, v209, vcc
	v_cndmask_b32_e32 v192, v192, v208, vcc
	;; [unrolled: 1-line block ×5, first 2 shown]
	s_cbranch_scc1 .LBB94_757
.LBB94_758:
	s_waitcnt lgkmcnt(0)
	v_cmp_eq_f64_e32 vcc, 0, v[192:193]
	v_cmp_eq_f64_e64 s[0:1], 0, v[194:195]
	s_and_b64 s[0:1], vcc, s[0:1]
	s_and_saveexec_b64 s[16:17], s[0:1]
	s_xor_b64 s[0:1], exec, s[16:17]
; %bb.759:
	v_cmp_ne_u32_e32 vcc, 0, v206
	s_nop 1
	v_cndmask_b32_e32 v206, 37, v206, vcc
; %bb.760:
	s_andn2_saveexec_b64 s[0:1], s[0:1]
	s_cbranch_execz .LBB94_766
; %bb.761:
	v_cmp_ngt_f64_e64 s[16:17], |v[192:193]|, |v[194:195]|
	s_and_saveexec_b64 s[18:19], s[16:17]
	s_xor_b64 s[16:17], exec, s[18:19]
	s_cbranch_execz .LBB94_763
; %bb.762:
	v_div_scale_f64 v[208:209], s[18:19], v[194:195], v[194:195], v[192:193]
	v_rcp_f64_e32 v[210:211], v[208:209]
	v_div_scale_f64 v[212:213], vcc, v[192:193], v[194:195], v[192:193]
	v_fma_f64 v[214:215], -v[208:209], v[210:211], 1.0
	v_fmac_f64_e32 v[210:211], v[210:211], v[214:215]
	v_fma_f64 v[214:215], -v[208:209], v[210:211], 1.0
	v_fmac_f64_e32 v[210:211], v[210:211], v[214:215]
	v_mul_f64 v[214:215], v[212:213], v[210:211]
	v_fma_f64 v[208:209], -v[208:209], v[214:215], v[212:213]
	v_div_fmas_f64 v[208:209], v[208:209], v[210:211], v[214:215]
	v_div_fixup_f64 v[208:209], v[208:209], v[194:195], v[192:193]
	v_fmac_f64_e32 v[194:195], v[192:193], v[208:209]
	v_div_scale_f64 v[192:193], s[18:19], v[194:195], v[194:195], 1.0
	v_rcp_f64_e32 v[210:211], v[192:193]
	s_nop 0
	v_fma_f64 v[212:213], -v[192:193], v[210:211], 1.0
	v_fmac_f64_e32 v[210:211], v[210:211], v[212:213]
	v_fma_f64 v[212:213], -v[192:193], v[210:211], 1.0
	v_fmac_f64_e32 v[210:211], v[210:211], v[212:213]
	v_div_scale_f64 v[212:213], vcc, 1.0, v[194:195], 1.0
	v_mul_f64 v[214:215], v[212:213], v[210:211]
	v_fma_f64 v[192:193], -v[192:193], v[214:215], v[212:213]
	s_nop 1
	v_div_fmas_f64 v[192:193], v[192:193], v[210:211], v[214:215]
	v_div_fixup_f64 v[194:195], v[192:193], v[194:195], 1.0
	v_mul_f64 v[192:193], v[208:209], v[194:195]
	v_xor_b32_e32 v195, 0x80000000, v195
.LBB94_763:
	s_andn2_saveexec_b64 s[16:17], s[16:17]
	s_cbranch_execz .LBB94_765
; %bb.764:
	v_div_scale_f64 v[208:209], s[18:19], v[192:193], v[192:193], v[194:195]
	v_rcp_f64_e32 v[210:211], v[208:209]
	v_div_scale_f64 v[212:213], vcc, v[194:195], v[192:193], v[194:195]
	v_fma_f64 v[214:215], -v[208:209], v[210:211], 1.0
	v_fmac_f64_e32 v[210:211], v[210:211], v[214:215]
	v_fma_f64 v[214:215], -v[208:209], v[210:211], 1.0
	v_fmac_f64_e32 v[210:211], v[210:211], v[214:215]
	v_mul_f64 v[214:215], v[212:213], v[210:211]
	v_fma_f64 v[208:209], -v[208:209], v[214:215], v[212:213]
	v_div_fmas_f64 v[208:209], v[208:209], v[210:211], v[214:215]
	v_div_fixup_f64 v[208:209], v[208:209], v[192:193], v[194:195]
	v_fmac_f64_e32 v[192:193], v[194:195], v[208:209]
	v_div_scale_f64 v[194:195], s[18:19], v[192:193], v[192:193], 1.0
	v_rcp_f64_e32 v[210:211], v[194:195]
	s_nop 0
	v_fma_f64 v[212:213], -v[194:195], v[210:211], 1.0
	v_fmac_f64_e32 v[210:211], v[210:211], v[212:213]
	v_fma_f64 v[212:213], -v[194:195], v[210:211], 1.0
	v_fmac_f64_e32 v[210:211], v[210:211], v[212:213]
	v_div_scale_f64 v[212:213], vcc, 1.0, v[192:193], 1.0
	v_mul_f64 v[214:215], v[212:213], v[210:211]
	v_fma_f64 v[194:195], -v[194:195], v[214:215], v[212:213]
	s_nop 1
	v_div_fmas_f64 v[194:195], v[194:195], v[210:211], v[214:215]
	v_div_fixup_f64 v[192:193], v[194:195], v[192:193], 1.0
	v_mul_f64 v[194:195], v[208:209], -v[192:193]
.LBB94_765:
	s_or_b64 exec, exec, s[16:17]
.LBB94_766:
	s_or_b64 exec, exec, s[0:1]
	v_cmp_ne_u32_e32 vcc, v205, v202
	s_and_saveexec_b64 s[0:1], vcc
	s_xor_b64 s[0:1], exec, s[0:1]
	s_cbranch_execz .LBB94_772
; %bb.767:
	v_cmp_eq_u32_e32 vcc, 36, v205
	s_and_saveexec_b64 s[16:17], vcc
	s_cbranch_execz .LBB94_771
; %bb.768:
	v_cmp_ne_u32_e32 vcc, 36, v202
	s_xor_b64 s[18:19], s[14:15], -1
	s_and_b64 s[22:23], s[18:19], vcc
	s_and_saveexec_b64 s[18:19], s[22:23]
	s_cbranch_execz .LBB94_770
; %bb.769:
	v_ashrrev_i32_e32 v203, 31, v202
	v_lshl_add_u64 v[208:209], v[202:203], 2, v[200:201]
	global_load_dword v203, v[208:209], off
	global_load_dword v205, v[200:201], off offset:144
	s_waitcnt vmcnt(1)
	global_store_dword v[200:201], v203, off offset:144
	s_waitcnt vmcnt(1)
	global_store_dword v[208:209], v205, off
.LBB94_770:
	s_or_b64 exec, exec, s[18:19]
	v_mov_b32_e32 v205, v202
	v_mov_b32_e32 v207, v202
.LBB94_771:
	s_or_b64 exec, exec, s[16:17]
.LBB94_772:
	s_andn2_saveexec_b64 s[0:1], s[0:1]
	s_cbranch_execz .LBB94_774
; %bb.773:
	v_mov_b32_e32 v205, 36
	s_waitcnt vmcnt(10)
	ds_write2_b64 v204, v[36:37], v[38:39] offset0:74 offset1:75
	s_waitcnt vmcnt(9)
	ds_write2_b64 v204, v[32:33], v[34:35] offset0:76 offset1:77
	s_waitcnt vmcnt(8)
	ds_write2_b64 v204, v[28:29], v[30:31] offset0:78 offset1:79
	s_waitcnt vmcnt(7)
	ds_write2_b64 v204, v[24:25], v[26:27] offset0:80 offset1:81
	s_waitcnt vmcnt(6)
	ds_write2_b64 v204, v[20:21], v[22:23] offset0:82 offset1:83
	s_waitcnt vmcnt(5)
	ds_write2_b64 v204, v[16:17], v[18:19] offset0:84 offset1:85
	s_waitcnt vmcnt(4)
	ds_write2_b64 v204, v[12:13], v[14:15] offset0:86 offset1:87
	s_waitcnt vmcnt(3)
	ds_write2_b64 v204, v[8:9], v[10:11] offset0:88 offset1:89
	s_waitcnt vmcnt(2)
	ds_write2_b64 v204, v[4:5], v[6:7] offset0:90 offset1:91
	s_waitcnt vmcnt(1)
	ds_write2_b64 v204, v[0:1], v[2:3] offset0:92 offset1:93
	s_waitcnt vmcnt(0)
	ds_write2_b64 v204, v[188:189], v[190:191] offset0:94 offset1:95
.LBB94_774:
	s_or_b64 exec, exec, s[0:1]
	v_cmp_lt_i32_e32 vcc, 36, v205
	s_waitcnt lgkmcnt(0)
	s_barrier
	s_and_saveexec_b64 s[0:1], vcc
	s_cbranch_execz .LBB94_776
; %bb.775:
	ds_read2_b64 v[208:211], v204 offset0:74 offset1:75
	v_mul_f64 v[202:203], v[192:193], v[42:43]
	v_fmac_f64_e32 v[202:203], v[194:195], v[40:41]
	v_mul_f64 v[42:43], v[194:195], v[42:43]
	v_fma_f64 v[40:41], v[192:193], v[40:41], -v[42:43]
	ds_read2_b64 v[192:195], v204 offset0:76 offset1:77
	s_waitcnt lgkmcnt(1)
	v_mul_f64 v[42:43], v[210:211], v[202:203]
	v_fma_f64 v[42:43], v[208:209], v[40:41], -v[42:43]
	v_mul_f64 v[208:209], v[208:209], v[202:203]
	v_fmac_f64_e32 v[208:209], v[210:211], v[40:41]
	s_waitcnt vmcnt(10)
	v_add_f64 v[38:39], v[38:39], -v[208:209]
	ds_read2_b64 v[208:211], v204 offset0:78 offset1:79
	v_add_f64 v[36:37], v[36:37], -v[42:43]
	s_waitcnt lgkmcnt(1)
	v_mul_f64 v[42:43], v[194:195], v[202:203]
	v_fma_f64 v[42:43], v[192:193], v[40:41], -v[42:43]
	v_mul_f64 v[192:193], v[192:193], v[202:203]
	v_fmac_f64_e32 v[192:193], v[194:195], v[40:41]
	s_waitcnt vmcnt(9)
	v_add_f64 v[32:33], v[32:33], -v[42:43]
	v_add_f64 v[34:35], v[34:35], -v[192:193]
	ds_read2_b64 v[192:195], v204 offset0:80 offset1:81
	s_waitcnt lgkmcnt(1)
	v_mul_f64 v[42:43], v[210:211], v[202:203]
	v_fma_f64 v[42:43], v[208:209], v[40:41], -v[42:43]
	v_mul_f64 v[208:209], v[208:209], v[202:203]
	v_fmac_f64_e32 v[208:209], v[210:211], v[40:41]
	s_waitcnt vmcnt(8)
	v_add_f64 v[30:31], v[30:31], -v[208:209]
	ds_read2_b64 v[208:211], v204 offset0:82 offset1:83
	v_add_f64 v[28:29], v[28:29], -v[42:43]
	s_waitcnt lgkmcnt(1)
	v_mul_f64 v[42:43], v[194:195], v[202:203]
	v_fma_f64 v[42:43], v[192:193], v[40:41], -v[42:43]
	v_mul_f64 v[192:193], v[192:193], v[202:203]
	v_fmac_f64_e32 v[192:193], v[194:195], v[40:41]
	s_waitcnt vmcnt(7)
	v_add_f64 v[24:25], v[24:25], -v[42:43]
	v_add_f64 v[26:27], v[26:27], -v[192:193]
	;; [unrolled: 18-line block ×5, first 2 shown]
	s_waitcnt lgkmcnt(0)
	v_mul_f64 v[42:43], v[210:211], v[202:203]
	v_mul_f64 v[192:193], v[208:209], v[202:203]
	v_fma_f64 v[42:43], v[208:209], v[40:41], -v[42:43]
	v_fmac_f64_e32 v[192:193], v[210:211], v[40:41]
	s_waitcnt vmcnt(0)
	v_add_f64 v[188:189], v[188:189], -v[42:43]
	v_add_f64 v[190:191], v[190:191], -v[192:193]
	v_mov_b64_e32 v[42:43], v[202:203]
.LBB94_776:
	s_or_b64 exec, exec, s[0:1]
	v_lshl_add_u32 v192, v205, 4, v204
	s_barrier
	s_waitcnt vmcnt(10)
	ds_write2_b64 v192, v[36:37], v[38:39] offset1:1
	s_waitcnt lgkmcnt(0)
	s_barrier
	ds_read2_b64 v[192:195], v204 offset0:74 offset1:75
	s_cmp_lt_i32 s20, 39
	v_mov_b32_e32 v202, 37
	s_cbranch_scc1 .LBB94_779
; %bb.777:
	v_add_u32_e32 v203, 0x260, v204
	s_mov_b32 s16, 38
	v_mov_b32_e32 v202, 37
.LBB94_778:                             ; =>This Inner Loop Header: Depth=1
	ds_read2_b64 v[208:211], v203 offset1:1
	s_waitcnt lgkmcnt(1)
	v_xor_b32_e32 v213, 0x80000000, v193
	v_xor_b32_e32 v215, 0x80000000, v195
	v_cmp_gt_f64_e32 vcc, 0, v[194:195]
	v_cmp_gt_f64_e64 s[0:1], 0, v[192:193]
	v_mov_b32_e32 v212, v192
	v_mov_b32_e32 v214, v194
	v_cndmask_b32_e64 v213, v193, v213, s[0:1]
	v_cndmask_b32_e32 v215, v195, v215, vcc
	v_add_f64 v[212:213], v[212:213], v[214:215]
	s_waitcnt lgkmcnt(0)
	v_xor_b32_e32 v215, 0x80000000, v209
	v_xor_b32_e32 v217, 0x80000000, v211
	v_cmp_gt_f64_e32 vcc, 0, v[210:211]
	v_cmp_gt_f64_e64 s[0:1], 0, v[208:209]
	v_mov_b32_e32 v214, v208
	v_mov_b32_e32 v216, v210
	v_cndmask_b32_e64 v215, v209, v215, s[0:1]
	v_cndmask_b32_e32 v217, v211, v217, vcc
	v_add_f64 v[214:215], v[214:215], v[216:217]
	v_mov_b32_e32 v218, s16
	s_add_i32 s16, s16, 1
	v_cmp_lt_f64_e32 vcc, v[212:213], v[214:215]
	v_add_u32_e32 v203, 16, v203
	s_cmp_lg_u32 s20, s16
	v_cndmask_b32_e32 v193, v193, v209, vcc
	v_cndmask_b32_e32 v192, v192, v208, vcc
	;; [unrolled: 1-line block ×5, first 2 shown]
	s_cbranch_scc1 .LBB94_778
.LBB94_779:
	s_waitcnt lgkmcnt(0)
	v_cmp_eq_f64_e32 vcc, 0, v[192:193]
	v_cmp_eq_f64_e64 s[0:1], 0, v[194:195]
	s_and_b64 s[0:1], vcc, s[0:1]
	s_and_saveexec_b64 s[16:17], s[0:1]
	s_xor_b64 s[0:1], exec, s[16:17]
; %bb.780:
	v_cmp_ne_u32_e32 vcc, 0, v206
	s_nop 1
	v_cndmask_b32_e32 v206, 38, v206, vcc
; %bb.781:
	s_andn2_saveexec_b64 s[0:1], s[0:1]
	s_cbranch_execz .LBB94_787
; %bb.782:
	v_cmp_ngt_f64_e64 s[16:17], |v[192:193]|, |v[194:195]|
	s_and_saveexec_b64 s[18:19], s[16:17]
	s_xor_b64 s[16:17], exec, s[18:19]
	s_cbranch_execz .LBB94_784
; %bb.783:
	v_div_scale_f64 v[208:209], s[18:19], v[194:195], v[194:195], v[192:193]
	v_rcp_f64_e32 v[210:211], v[208:209]
	v_div_scale_f64 v[212:213], vcc, v[192:193], v[194:195], v[192:193]
	v_fma_f64 v[214:215], -v[208:209], v[210:211], 1.0
	v_fmac_f64_e32 v[210:211], v[210:211], v[214:215]
	v_fma_f64 v[214:215], -v[208:209], v[210:211], 1.0
	v_fmac_f64_e32 v[210:211], v[210:211], v[214:215]
	v_mul_f64 v[214:215], v[212:213], v[210:211]
	v_fma_f64 v[208:209], -v[208:209], v[214:215], v[212:213]
	v_div_fmas_f64 v[208:209], v[208:209], v[210:211], v[214:215]
	v_div_fixup_f64 v[208:209], v[208:209], v[194:195], v[192:193]
	v_fmac_f64_e32 v[194:195], v[192:193], v[208:209]
	v_div_scale_f64 v[192:193], s[18:19], v[194:195], v[194:195], 1.0
	v_rcp_f64_e32 v[210:211], v[192:193]
	s_nop 0
	v_fma_f64 v[212:213], -v[192:193], v[210:211], 1.0
	v_fmac_f64_e32 v[210:211], v[210:211], v[212:213]
	v_fma_f64 v[212:213], -v[192:193], v[210:211], 1.0
	v_fmac_f64_e32 v[210:211], v[210:211], v[212:213]
	v_div_scale_f64 v[212:213], vcc, 1.0, v[194:195], 1.0
	v_mul_f64 v[214:215], v[212:213], v[210:211]
	v_fma_f64 v[192:193], -v[192:193], v[214:215], v[212:213]
	s_nop 1
	v_div_fmas_f64 v[192:193], v[192:193], v[210:211], v[214:215]
	v_div_fixup_f64 v[194:195], v[192:193], v[194:195], 1.0
	v_mul_f64 v[192:193], v[208:209], v[194:195]
	v_xor_b32_e32 v195, 0x80000000, v195
.LBB94_784:
	s_andn2_saveexec_b64 s[16:17], s[16:17]
	s_cbranch_execz .LBB94_786
; %bb.785:
	v_div_scale_f64 v[208:209], s[18:19], v[192:193], v[192:193], v[194:195]
	v_rcp_f64_e32 v[210:211], v[208:209]
	v_div_scale_f64 v[212:213], vcc, v[194:195], v[192:193], v[194:195]
	v_fma_f64 v[214:215], -v[208:209], v[210:211], 1.0
	v_fmac_f64_e32 v[210:211], v[210:211], v[214:215]
	v_fma_f64 v[214:215], -v[208:209], v[210:211], 1.0
	v_fmac_f64_e32 v[210:211], v[210:211], v[214:215]
	v_mul_f64 v[214:215], v[212:213], v[210:211]
	v_fma_f64 v[208:209], -v[208:209], v[214:215], v[212:213]
	v_div_fmas_f64 v[208:209], v[208:209], v[210:211], v[214:215]
	v_div_fixup_f64 v[208:209], v[208:209], v[192:193], v[194:195]
	v_fmac_f64_e32 v[192:193], v[194:195], v[208:209]
	v_div_scale_f64 v[194:195], s[18:19], v[192:193], v[192:193], 1.0
	v_rcp_f64_e32 v[210:211], v[194:195]
	s_nop 0
	v_fma_f64 v[212:213], -v[194:195], v[210:211], 1.0
	v_fmac_f64_e32 v[210:211], v[210:211], v[212:213]
	v_fma_f64 v[212:213], -v[194:195], v[210:211], 1.0
	v_fmac_f64_e32 v[210:211], v[210:211], v[212:213]
	v_div_scale_f64 v[212:213], vcc, 1.0, v[192:193], 1.0
	v_mul_f64 v[214:215], v[212:213], v[210:211]
	v_fma_f64 v[194:195], -v[194:195], v[214:215], v[212:213]
	s_nop 1
	v_div_fmas_f64 v[194:195], v[194:195], v[210:211], v[214:215]
	v_div_fixup_f64 v[192:193], v[194:195], v[192:193], 1.0
	v_mul_f64 v[194:195], v[208:209], -v[192:193]
.LBB94_786:
	s_or_b64 exec, exec, s[16:17]
.LBB94_787:
	s_or_b64 exec, exec, s[0:1]
	v_cmp_ne_u32_e32 vcc, v205, v202
	s_and_saveexec_b64 s[0:1], vcc
	s_xor_b64 s[0:1], exec, s[0:1]
	s_cbranch_execz .LBB94_793
; %bb.788:
	v_cmp_eq_u32_e32 vcc, 37, v205
	s_and_saveexec_b64 s[16:17], vcc
	s_cbranch_execz .LBB94_792
; %bb.789:
	v_cmp_ne_u32_e32 vcc, 37, v202
	s_xor_b64 s[18:19], s[14:15], -1
	s_and_b64 s[22:23], s[18:19], vcc
	s_and_saveexec_b64 s[18:19], s[22:23]
	s_cbranch_execz .LBB94_791
; %bb.790:
	v_ashrrev_i32_e32 v203, 31, v202
	v_lshl_add_u64 v[208:209], v[202:203], 2, v[200:201]
	global_load_dword v203, v[208:209], off
	global_load_dword v205, v[200:201], off offset:148
	s_waitcnt vmcnt(1)
	global_store_dword v[200:201], v203, off offset:148
	s_waitcnt vmcnt(1)
	global_store_dword v[208:209], v205, off
.LBB94_791:
	s_or_b64 exec, exec, s[18:19]
	v_mov_b32_e32 v205, v202
	v_mov_b32_e32 v207, v202
.LBB94_792:
	s_or_b64 exec, exec, s[16:17]
.LBB94_793:
	s_andn2_saveexec_b64 s[0:1], s[0:1]
	s_cbranch_execz .LBB94_795
; %bb.794:
	v_mov_b32_e32 v205, 37
	s_waitcnt vmcnt(9)
	ds_write2_b64 v204, v[32:33], v[34:35] offset0:76 offset1:77
	s_waitcnt vmcnt(8)
	ds_write2_b64 v204, v[28:29], v[30:31] offset0:78 offset1:79
	;; [unrolled: 2-line block ×10, first 2 shown]
.LBB94_795:
	s_or_b64 exec, exec, s[0:1]
	v_cmp_lt_i32_e32 vcc, 37, v205
	s_waitcnt lgkmcnt(0)
	s_barrier
	s_and_saveexec_b64 s[0:1], vcc
	s_cbranch_execz .LBB94_797
; %bb.796:
	ds_read2_b64 v[208:211], v204 offset0:76 offset1:77
	v_mul_f64 v[202:203], v[192:193], v[38:39]
	v_mul_f64 v[38:39], v[194:195], v[38:39]
	v_fmac_f64_e32 v[202:203], v[194:195], v[36:37]
	v_fma_f64 v[36:37], v[192:193], v[36:37], -v[38:39]
	ds_read2_b64 v[192:195], v204 offset0:78 offset1:79
	s_waitcnt lgkmcnt(1)
	v_mul_f64 v[38:39], v[210:211], v[202:203]
	v_fma_f64 v[38:39], v[208:209], v[36:37], -v[38:39]
	v_mul_f64 v[208:209], v[208:209], v[202:203]
	v_fmac_f64_e32 v[208:209], v[210:211], v[36:37]
	s_waitcnt vmcnt(9)
	v_add_f64 v[32:33], v[32:33], -v[38:39]
	s_waitcnt lgkmcnt(0)
	v_mul_f64 v[38:39], v[194:195], v[202:203]
	v_add_f64 v[34:35], v[34:35], -v[208:209]
	v_fma_f64 v[38:39], v[192:193], v[36:37], -v[38:39]
	v_mul_f64 v[192:193], v[192:193], v[202:203]
	ds_read2_b64 v[208:211], v204 offset0:80 offset1:81
	v_fmac_f64_e32 v[192:193], v[194:195], v[36:37]
	s_waitcnt vmcnt(8)
	v_add_f64 v[30:31], v[30:31], -v[192:193]
	ds_read2_b64 v[192:195], v204 offset0:82 offset1:83
	v_add_f64 v[28:29], v[28:29], -v[38:39]
	s_waitcnt lgkmcnt(1)
	v_mul_f64 v[38:39], v[210:211], v[202:203]
	v_fma_f64 v[38:39], v[208:209], v[36:37], -v[38:39]
	v_mul_f64 v[208:209], v[208:209], v[202:203]
	v_fmac_f64_e32 v[208:209], v[210:211], v[36:37]
	s_waitcnt vmcnt(7)
	v_add_f64 v[24:25], v[24:25], -v[38:39]
	s_waitcnt lgkmcnt(0)
	v_mul_f64 v[38:39], v[194:195], v[202:203]
	v_add_f64 v[26:27], v[26:27], -v[208:209]
	v_fma_f64 v[38:39], v[192:193], v[36:37], -v[38:39]
	v_mul_f64 v[192:193], v[192:193], v[202:203]
	ds_read2_b64 v[208:211], v204 offset0:84 offset1:85
	v_fmac_f64_e32 v[192:193], v[194:195], v[36:37]
	s_waitcnt vmcnt(6)
	v_add_f64 v[22:23], v[22:23], -v[192:193]
	ds_read2_b64 v[192:195], v204 offset0:86 offset1:87
	v_add_f64 v[20:21], v[20:21], -v[38:39]
	;; [unrolled: 18-line block ×4, first 2 shown]
	s_waitcnt lgkmcnt(1)
	v_mul_f64 v[38:39], v[210:211], v[202:203]
	v_fma_f64 v[38:39], v[208:209], v[36:37], -v[38:39]
	s_waitcnt vmcnt(1)
	v_add_f64 v[0:1], v[0:1], -v[38:39]
	s_waitcnt lgkmcnt(0)
	v_mul_f64 v[38:39], v[194:195], v[202:203]
	v_mul_f64 v[208:209], v[208:209], v[202:203]
	v_fma_f64 v[38:39], v[192:193], v[36:37], -v[38:39]
	v_mul_f64 v[192:193], v[192:193], v[202:203]
	v_fmac_f64_e32 v[208:209], v[210:211], v[36:37]
	v_fmac_f64_e32 v[192:193], v[194:195], v[36:37]
	v_add_f64 v[2:3], v[2:3], -v[208:209]
	s_waitcnt vmcnt(0)
	v_add_f64 v[188:189], v[188:189], -v[38:39]
	v_add_f64 v[190:191], v[190:191], -v[192:193]
	v_mov_b64_e32 v[38:39], v[202:203]
.LBB94_797:
	s_or_b64 exec, exec, s[0:1]
	v_lshl_add_u32 v192, v205, 4, v204
	s_barrier
	s_waitcnt vmcnt(9)
	ds_write2_b64 v192, v[32:33], v[34:35] offset1:1
	s_waitcnt lgkmcnt(0)
	s_barrier
	ds_read2_b64 v[192:195], v204 offset0:76 offset1:77
	s_cmp_lt_i32 s20, 40
	v_mov_b32_e32 v202, 38
	s_cbranch_scc1 .LBB94_800
; %bb.798:
	v_add_u32_e32 v203, 0x270, v204
	s_mov_b32 s16, 39
	v_mov_b32_e32 v202, 38
.LBB94_799:                             ; =>This Inner Loop Header: Depth=1
	ds_read2_b64 v[208:211], v203 offset1:1
	s_waitcnt lgkmcnt(1)
	v_xor_b32_e32 v213, 0x80000000, v193
	v_xor_b32_e32 v215, 0x80000000, v195
	v_cmp_gt_f64_e32 vcc, 0, v[194:195]
	v_cmp_gt_f64_e64 s[0:1], 0, v[192:193]
	v_mov_b32_e32 v212, v192
	v_mov_b32_e32 v214, v194
	v_cndmask_b32_e64 v213, v193, v213, s[0:1]
	v_cndmask_b32_e32 v215, v195, v215, vcc
	v_add_f64 v[212:213], v[212:213], v[214:215]
	s_waitcnt lgkmcnt(0)
	v_xor_b32_e32 v215, 0x80000000, v209
	v_xor_b32_e32 v217, 0x80000000, v211
	v_cmp_gt_f64_e32 vcc, 0, v[210:211]
	v_cmp_gt_f64_e64 s[0:1], 0, v[208:209]
	v_mov_b32_e32 v214, v208
	v_mov_b32_e32 v216, v210
	v_cndmask_b32_e64 v215, v209, v215, s[0:1]
	v_cndmask_b32_e32 v217, v211, v217, vcc
	v_add_f64 v[214:215], v[214:215], v[216:217]
	v_mov_b32_e32 v218, s16
	s_add_i32 s16, s16, 1
	v_cmp_lt_f64_e32 vcc, v[212:213], v[214:215]
	v_add_u32_e32 v203, 16, v203
	s_cmp_lg_u32 s20, s16
	v_cndmask_b32_e32 v193, v193, v209, vcc
	v_cndmask_b32_e32 v192, v192, v208, vcc
	;; [unrolled: 1-line block ×5, first 2 shown]
	s_cbranch_scc1 .LBB94_799
.LBB94_800:
	s_waitcnt lgkmcnt(0)
	v_cmp_eq_f64_e32 vcc, 0, v[192:193]
	v_cmp_eq_f64_e64 s[0:1], 0, v[194:195]
	s_and_b64 s[0:1], vcc, s[0:1]
	s_and_saveexec_b64 s[16:17], s[0:1]
	s_xor_b64 s[0:1], exec, s[16:17]
; %bb.801:
	v_cmp_ne_u32_e32 vcc, 0, v206
	s_nop 1
	v_cndmask_b32_e32 v206, 39, v206, vcc
; %bb.802:
	s_andn2_saveexec_b64 s[0:1], s[0:1]
	s_cbranch_execz .LBB94_808
; %bb.803:
	v_cmp_ngt_f64_e64 s[16:17], |v[192:193]|, |v[194:195]|
	s_and_saveexec_b64 s[18:19], s[16:17]
	s_xor_b64 s[16:17], exec, s[18:19]
	s_cbranch_execz .LBB94_805
; %bb.804:
	v_div_scale_f64 v[208:209], s[18:19], v[194:195], v[194:195], v[192:193]
	v_rcp_f64_e32 v[210:211], v[208:209]
	v_div_scale_f64 v[212:213], vcc, v[192:193], v[194:195], v[192:193]
	v_fma_f64 v[214:215], -v[208:209], v[210:211], 1.0
	v_fmac_f64_e32 v[210:211], v[210:211], v[214:215]
	v_fma_f64 v[214:215], -v[208:209], v[210:211], 1.0
	v_fmac_f64_e32 v[210:211], v[210:211], v[214:215]
	v_mul_f64 v[214:215], v[212:213], v[210:211]
	v_fma_f64 v[208:209], -v[208:209], v[214:215], v[212:213]
	v_div_fmas_f64 v[208:209], v[208:209], v[210:211], v[214:215]
	v_div_fixup_f64 v[208:209], v[208:209], v[194:195], v[192:193]
	v_fmac_f64_e32 v[194:195], v[192:193], v[208:209]
	v_div_scale_f64 v[192:193], s[18:19], v[194:195], v[194:195], 1.0
	v_rcp_f64_e32 v[210:211], v[192:193]
	s_nop 0
	v_fma_f64 v[212:213], -v[192:193], v[210:211], 1.0
	v_fmac_f64_e32 v[210:211], v[210:211], v[212:213]
	v_fma_f64 v[212:213], -v[192:193], v[210:211], 1.0
	v_fmac_f64_e32 v[210:211], v[210:211], v[212:213]
	v_div_scale_f64 v[212:213], vcc, 1.0, v[194:195], 1.0
	v_mul_f64 v[214:215], v[212:213], v[210:211]
	v_fma_f64 v[192:193], -v[192:193], v[214:215], v[212:213]
	s_nop 1
	v_div_fmas_f64 v[192:193], v[192:193], v[210:211], v[214:215]
	v_div_fixup_f64 v[194:195], v[192:193], v[194:195], 1.0
	v_mul_f64 v[192:193], v[208:209], v[194:195]
	v_xor_b32_e32 v195, 0x80000000, v195
.LBB94_805:
	s_andn2_saveexec_b64 s[16:17], s[16:17]
	s_cbranch_execz .LBB94_807
; %bb.806:
	v_div_scale_f64 v[208:209], s[18:19], v[192:193], v[192:193], v[194:195]
	v_rcp_f64_e32 v[210:211], v[208:209]
	v_div_scale_f64 v[212:213], vcc, v[194:195], v[192:193], v[194:195]
	v_fma_f64 v[214:215], -v[208:209], v[210:211], 1.0
	v_fmac_f64_e32 v[210:211], v[210:211], v[214:215]
	v_fma_f64 v[214:215], -v[208:209], v[210:211], 1.0
	v_fmac_f64_e32 v[210:211], v[210:211], v[214:215]
	v_mul_f64 v[214:215], v[212:213], v[210:211]
	v_fma_f64 v[208:209], -v[208:209], v[214:215], v[212:213]
	v_div_fmas_f64 v[208:209], v[208:209], v[210:211], v[214:215]
	v_div_fixup_f64 v[208:209], v[208:209], v[192:193], v[194:195]
	v_fmac_f64_e32 v[192:193], v[194:195], v[208:209]
	v_div_scale_f64 v[194:195], s[18:19], v[192:193], v[192:193], 1.0
	v_rcp_f64_e32 v[210:211], v[194:195]
	s_nop 0
	v_fma_f64 v[212:213], -v[194:195], v[210:211], 1.0
	v_fmac_f64_e32 v[210:211], v[210:211], v[212:213]
	v_fma_f64 v[212:213], -v[194:195], v[210:211], 1.0
	v_fmac_f64_e32 v[210:211], v[210:211], v[212:213]
	v_div_scale_f64 v[212:213], vcc, 1.0, v[192:193], 1.0
	v_mul_f64 v[214:215], v[212:213], v[210:211]
	v_fma_f64 v[194:195], -v[194:195], v[214:215], v[212:213]
	s_nop 1
	v_div_fmas_f64 v[194:195], v[194:195], v[210:211], v[214:215]
	v_div_fixup_f64 v[192:193], v[194:195], v[192:193], 1.0
	v_mul_f64 v[194:195], v[208:209], -v[192:193]
.LBB94_807:
	s_or_b64 exec, exec, s[16:17]
.LBB94_808:
	s_or_b64 exec, exec, s[0:1]
	v_cmp_ne_u32_e32 vcc, v205, v202
	s_and_saveexec_b64 s[0:1], vcc
	s_xor_b64 s[0:1], exec, s[0:1]
	s_cbranch_execz .LBB94_814
; %bb.809:
	v_cmp_eq_u32_e32 vcc, 38, v205
	s_and_saveexec_b64 s[16:17], vcc
	s_cbranch_execz .LBB94_813
; %bb.810:
	v_cmp_ne_u32_e32 vcc, 38, v202
	s_xor_b64 s[18:19], s[14:15], -1
	s_and_b64 s[22:23], s[18:19], vcc
	s_and_saveexec_b64 s[18:19], s[22:23]
	s_cbranch_execz .LBB94_812
; %bb.811:
	v_ashrrev_i32_e32 v203, 31, v202
	v_lshl_add_u64 v[208:209], v[202:203], 2, v[200:201]
	global_load_dword v203, v[208:209], off
	global_load_dword v205, v[200:201], off offset:152
	s_waitcnt vmcnt(1)
	global_store_dword v[200:201], v203, off offset:152
	s_waitcnt vmcnt(1)
	global_store_dword v[208:209], v205, off
.LBB94_812:
	s_or_b64 exec, exec, s[18:19]
	v_mov_b32_e32 v205, v202
	v_mov_b32_e32 v207, v202
.LBB94_813:
	s_or_b64 exec, exec, s[16:17]
.LBB94_814:
	s_andn2_saveexec_b64 s[0:1], s[0:1]
	s_cbranch_execz .LBB94_816
; %bb.815:
	v_mov_b32_e32 v205, 38
	s_waitcnt vmcnt(8)
	ds_write2_b64 v204, v[28:29], v[30:31] offset0:78 offset1:79
	s_waitcnt vmcnt(7)
	ds_write2_b64 v204, v[24:25], v[26:27] offset0:80 offset1:81
	;; [unrolled: 2-line block ×9, first 2 shown]
.LBB94_816:
	s_or_b64 exec, exec, s[0:1]
	v_cmp_lt_i32_e32 vcc, 38, v205
	s_waitcnt lgkmcnt(0)
	s_barrier
	s_and_saveexec_b64 s[0:1], vcc
	s_cbranch_execz .LBB94_818
; %bb.817:
	ds_read2_b64 v[208:211], v204 offset0:78 offset1:79
	v_mul_f64 v[202:203], v[192:193], v[34:35]
	v_fmac_f64_e32 v[202:203], v[194:195], v[32:33]
	v_mul_f64 v[34:35], v[194:195], v[34:35]
	v_fma_f64 v[32:33], v[192:193], v[32:33], -v[34:35]
	ds_read2_b64 v[192:195], v204 offset0:80 offset1:81
	s_waitcnt lgkmcnt(1)
	v_mul_f64 v[34:35], v[210:211], v[202:203]
	v_fma_f64 v[34:35], v[208:209], v[32:33], -v[34:35]
	v_mul_f64 v[208:209], v[208:209], v[202:203]
	v_fmac_f64_e32 v[208:209], v[210:211], v[32:33]
	s_waitcnt vmcnt(8)
	v_add_f64 v[30:31], v[30:31], -v[208:209]
	ds_read2_b64 v[208:211], v204 offset0:82 offset1:83
	v_add_f64 v[28:29], v[28:29], -v[34:35]
	s_waitcnt lgkmcnt(1)
	v_mul_f64 v[34:35], v[194:195], v[202:203]
	v_fma_f64 v[34:35], v[192:193], v[32:33], -v[34:35]
	v_mul_f64 v[192:193], v[192:193], v[202:203]
	v_fmac_f64_e32 v[192:193], v[194:195], v[32:33]
	s_waitcnt vmcnt(7)
	v_add_f64 v[24:25], v[24:25], -v[34:35]
	v_add_f64 v[26:27], v[26:27], -v[192:193]
	ds_read2_b64 v[192:195], v204 offset0:84 offset1:85
	s_waitcnt lgkmcnt(1)
	v_mul_f64 v[34:35], v[210:211], v[202:203]
	v_fma_f64 v[34:35], v[208:209], v[32:33], -v[34:35]
	v_mul_f64 v[208:209], v[208:209], v[202:203]
	v_fmac_f64_e32 v[208:209], v[210:211], v[32:33]
	s_waitcnt vmcnt(6)
	v_add_f64 v[22:23], v[22:23], -v[208:209]
	ds_read2_b64 v[208:211], v204 offset0:86 offset1:87
	v_add_f64 v[20:21], v[20:21], -v[34:35]
	s_waitcnt lgkmcnt(1)
	v_mul_f64 v[34:35], v[194:195], v[202:203]
	v_fma_f64 v[34:35], v[192:193], v[32:33], -v[34:35]
	v_mul_f64 v[192:193], v[192:193], v[202:203]
	v_fmac_f64_e32 v[192:193], v[194:195], v[32:33]
	s_waitcnt vmcnt(5)
	v_add_f64 v[16:17], v[16:17], -v[34:35]
	v_add_f64 v[18:19], v[18:19], -v[192:193]
	;; [unrolled: 18-line block ×4, first 2 shown]
	s_waitcnt lgkmcnt(0)
	v_mul_f64 v[34:35], v[210:211], v[202:203]
	v_mul_f64 v[192:193], v[208:209], v[202:203]
	v_fma_f64 v[34:35], v[208:209], v[32:33], -v[34:35]
	v_fmac_f64_e32 v[192:193], v[210:211], v[32:33]
	s_waitcnt vmcnt(0)
	v_add_f64 v[188:189], v[188:189], -v[34:35]
	v_add_f64 v[190:191], v[190:191], -v[192:193]
	v_mov_b64_e32 v[34:35], v[202:203]
.LBB94_818:
	s_or_b64 exec, exec, s[0:1]
	v_lshl_add_u32 v192, v205, 4, v204
	s_barrier
	s_waitcnt vmcnt(8)
	ds_write2_b64 v192, v[28:29], v[30:31] offset1:1
	s_waitcnt lgkmcnt(0)
	s_barrier
	ds_read2_b64 v[192:195], v204 offset0:78 offset1:79
	s_cmp_lt_i32 s20, 41
	v_mov_b32_e32 v202, 39
	s_cbranch_scc1 .LBB94_821
; %bb.819:
	v_add_u32_e32 v203, 0x280, v204
	s_mov_b32 s16, 40
	v_mov_b32_e32 v202, 39
.LBB94_820:                             ; =>This Inner Loop Header: Depth=1
	ds_read2_b64 v[208:211], v203 offset1:1
	s_waitcnt lgkmcnt(1)
	v_xor_b32_e32 v213, 0x80000000, v193
	v_xor_b32_e32 v215, 0x80000000, v195
	v_cmp_gt_f64_e32 vcc, 0, v[194:195]
	v_cmp_gt_f64_e64 s[0:1], 0, v[192:193]
	v_mov_b32_e32 v212, v192
	v_mov_b32_e32 v214, v194
	v_cndmask_b32_e64 v213, v193, v213, s[0:1]
	v_cndmask_b32_e32 v215, v195, v215, vcc
	v_add_f64 v[212:213], v[212:213], v[214:215]
	s_waitcnt lgkmcnt(0)
	v_xor_b32_e32 v215, 0x80000000, v209
	v_xor_b32_e32 v217, 0x80000000, v211
	v_cmp_gt_f64_e32 vcc, 0, v[210:211]
	v_cmp_gt_f64_e64 s[0:1], 0, v[208:209]
	v_mov_b32_e32 v214, v208
	v_mov_b32_e32 v216, v210
	v_cndmask_b32_e64 v215, v209, v215, s[0:1]
	v_cndmask_b32_e32 v217, v211, v217, vcc
	v_add_f64 v[214:215], v[214:215], v[216:217]
	v_mov_b32_e32 v218, s16
	s_add_i32 s16, s16, 1
	v_cmp_lt_f64_e32 vcc, v[212:213], v[214:215]
	v_add_u32_e32 v203, 16, v203
	s_cmp_lg_u32 s20, s16
	v_cndmask_b32_e32 v193, v193, v209, vcc
	v_cndmask_b32_e32 v192, v192, v208, vcc
	v_cndmask_b32_e32 v195, v195, v211, vcc
	v_cndmask_b32_e32 v194, v194, v210, vcc
	v_cndmask_b32_e32 v202, v202, v218, vcc
	s_cbranch_scc1 .LBB94_820
.LBB94_821:
	s_waitcnt lgkmcnt(0)
	v_cmp_eq_f64_e32 vcc, 0, v[192:193]
	v_cmp_eq_f64_e64 s[0:1], 0, v[194:195]
	s_and_b64 s[0:1], vcc, s[0:1]
	s_and_saveexec_b64 s[16:17], s[0:1]
	s_xor_b64 s[0:1], exec, s[16:17]
; %bb.822:
	v_cmp_ne_u32_e32 vcc, 0, v206
	s_nop 1
	v_cndmask_b32_e32 v206, 40, v206, vcc
; %bb.823:
	s_andn2_saveexec_b64 s[0:1], s[0:1]
	s_cbranch_execz .LBB94_829
; %bb.824:
	v_cmp_ngt_f64_e64 s[16:17], |v[192:193]|, |v[194:195]|
	s_and_saveexec_b64 s[18:19], s[16:17]
	s_xor_b64 s[16:17], exec, s[18:19]
	s_cbranch_execz .LBB94_826
; %bb.825:
	v_div_scale_f64 v[208:209], s[18:19], v[194:195], v[194:195], v[192:193]
	v_rcp_f64_e32 v[210:211], v[208:209]
	v_div_scale_f64 v[212:213], vcc, v[192:193], v[194:195], v[192:193]
	v_fma_f64 v[214:215], -v[208:209], v[210:211], 1.0
	v_fmac_f64_e32 v[210:211], v[210:211], v[214:215]
	v_fma_f64 v[214:215], -v[208:209], v[210:211], 1.0
	v_fmac_f64_e32 v[210:211], v[210:211], v[214:215]
	v_mul_f64 v[214:215], v[212:213], v[210:211]
	v_fma_f64 v[208:209], -v[208:209], v[214:215], v[212:213]
	v_div_fmas_f64 v[208:209], v[208:209], v[210:211], v[214:215]
	v_div_fixup_f64 v[208:209], v[208:209], v[194:195], v[192:193]
	v_fmac_f64_e32 v[194:195], v[192:193], v[208:209]
	v_div_scale_f64 v[192:193], s[18:19], v[194:195], v[194:195], 1.0
	v_rcp_f64_e32 v[210:211], v[192:193]
	s_nop 0
	v_fma_f64 v[212:213], -v[192:193], v[210:211], 1.0
	v_fmac_f64_e32 v[210:211], v[210:211], v[212:213]
	v_fma_f64 v[212:213], -v[192:193], v[210:211], 1.0
	v_fmac_f64_e32 v[210:211], v[210:211], v[212:213]
	v_div_scale_f64 v[212:213], vcc, 1.0, v[194:195], 1.0
	v_mul_f64 v[214:215], v[212:213], v[210:211]
	v_fma_f64 v[192:193], -v[192:193], v[214:215], v[212:213]
	s_nop 1
	v_div_fmas_f64 v[192:193], v[192:193], v[210:211], v[214:215]
	v_div_fixup_f64 v[194:195], v[192:193], v[194:195], 1.0
	v_mul_f64 v[192:193], v[208:209], v[194:195]
	v_xor_b32_e32 v195, 0x80000000, v195
.LBB94_826:
	s_andn2_saveexec_b64 s[16:17], s[16:17]
	s_cbranch_execz .LBB94_828
; %bb.827:
	v_div_scale_f64 v[208:209], s[18:19], v[192:193], v[192:193], v[194:195]
	v_rcp_f64_e32 v[210:211], v[208:209]
	v_div_scale_f64 v[212:213], vcc, v[194:195], v[192:193], v[194:195]
	v_fma_f64 v[214:215], -v[208:209], v[210:211], 1.0
	v_fmac_f64_e32 v[210:211], v[210:211], v[214:215]
	v_fma_f64 v[214:215], -v[208:209], v[210:211], 1.0
	v_fmac_f64_e32 v[210:211], v[210:211], v[214:215]
	v_mul_f64 v[214:215], v[212:213], v[210:211]
	v_fma_f64 v[208:209], -v[208:209], v[214:215], v[212:213]
	v_div_fmas_f64 v[208:209], v[208:209], v[210:211], v[214:215]
	v_div_fixup_f64 v[208:209], v[208:209], v[192:193], v[194:195]
	v_fmac_f64_e32 v[192:193], v[194:195], v[208:209]
	v_div_scale_f64 v[194:195], s[18:19], v[192:193], v[192:193], 1.0
	v_rcp_f64_e32 v[210:211], v[194:195]
	s_nop 0
	v_fma_f64 v[212:213], -v[194:195], v[210:211], 1.0
	v_fmac_f64_e32 v[210:211], v[210:211], v[212:213]
	v_fma_f64 v[212:213], -v[194:195], v[210:211], 1.0
	v_fmac_f64_e32 v[210:211], v[210:211], v[212:213]
	v_div_scale_f64 v[212:213], vcc, 1.0, v[192:193], 1.0
	v_mul_f64 v[214:215], v[212:213], v[210:211]
	v_fma_f64 v[194:195], -v[194:195], v[214:215], v[212:213]
	s_nop 1
	v_div_fmas_f64 v[194:195], v[194:195], v[210:211], v[214:215]
	v_div_fixup_f64 v[192:193], v[194:195], v[192:193], 1.0
	v_mul_f64 v[194:195], v[208:209], -v[192:193]
.LBB94_828:
	s_or_b64 exec, exec, s[16:17]
.LBB94_829:
	s_or_b64 exec, exec, s[0:1]
	v_cmp_ne_u32_e32 vcc, v205, v202
	s_and_saveexec_b64 s[0:1], vcc
	s_xor_b64 s[0:1], exec, s[0:1]
	s_cbranch_execz .LBB94_835
; %bb.830:
	v_cmp_eq_u32_e32 vcc, 39, v205
	s_and_saveexec_b64 s[16:17], vcc
	s_cbranch_execz .LBB94_834
; %bb.831:
	v_cmp_ne_u32_e32 vcc, 39, v202
	s_xor_b64 s[18:19], s[14:15], -1
	s_and_b64 s[22:23], s[18:19], vcc
	s_and_saveexec_b64 s[18:19], s[22:23]
	s_cbranch_execz .LBB94_833
; %bb.832:
	v_ashrrev_i32_e32 v203, 31, v202
	v_lshl_add_u64 v[208:209], v[202:203], 2, v[200:201]
	global_load_dword v203, v[208:209], off
	global_load_dword v205, v[200:201], off offset:156
	s_waitcnt vmcnt(1)
	global_store_dword v[200:201], v203, off offset:156
	s_waitcnt vmcnt(1)
	global_store_dword v[208:209], v205, off
.LBB94_833:
	s_or_b64 exec, exec, s[18:19]
	v_mov_b32_e32 v205, v202
	v_mov_b32_e32 v207, v202
.LBB94_834:
	s_or_b64 exec, exec, s[16:17]
.LBB94_835:
	s_andn2_saveexec_b64 s[0:1], s[0:1]
	s_cbranch_execz .LBB94_837
; %bb.836:
	v_mov_b32_e32 v205, 39
	s_waitcnt vmcnt(7)
	ds_write2_b64 v204, v[24:25], v[26:27] offset0:80 offset1:81
	s_waitcnt vmcnt(6)
	ds_write2_b64 v204, v[20:21], v[22:23] offset0:82 offset1:83
	;; [unrolled: 2-line block ×8, first 2 shown]
.LBB94_837:
	s_or_b64 exec, exec, s[0:1]
	v_cmp_lt_i32_e32 vcc, 39, v205
	s_waitcnt lgkmcnt(0)
	s_barrier
	s_and_saveexec_b64 s[0:1], vcc
	s_cbranch_execz .LBB94_839
; %bb.838:
	ds_read2_b64 v[208:211], v204 offset0:80 offset1:81
	v_mul_f64 v[202:203], v[192:193], v[30:31]
	v_mul_f64 v[30:31], v[194:195], v[30:31]
	v_fmac_f64_e32 v[202:203], v[194:195], v[28:29]
	v_fma_f64 v[28:29], v[192:193], v[28:29], -v[30:31]
	ds_read2_b64 v[192:195], v204 offset0:82 offset1:83
	s_waitcnt lgkmcnt(1)
	v_mul_f64 v[30:31], v[210:211], v[202:203]
	v_fma_f64 v[30:31], v[208:209], v[28:29], -v[30:31]
	v_mul_f64 v[208:209], v[208:209], v[202:203]
	v_fmac_f64_e32 v[208:209], v[210:211], v[28:29]
	s_waitcnt vmcnt(7)
	v_add_f64 v[24:25], v[24:25], -v[30:31]
	s_waitcnt lgkmcnt(0)
	v_mul_f64 v[30:31], v[194:195], v[202:203]
	v_add_f64 v[26:27], v[26:27], -v[208:209]
	v_fma_f64 v[30:31], v[192:193], v[28:29], -v[30:31]
	v_mul_f64 v[192:193], v[192:193], v[202:203]
	ds_read2_b64 v[208:211], v204 offset0:84 offset1:85
	v_fmac_f64_e32 v[192:193], v[194:195], v[28:29]
	s_waitcnt vmcnt(6)
	v_add_f64 v[22:23], v[22:23], -v[192:193]
	ds_read2_b64 v[192:195], v204 offset0:86 offset1:87
	v_add_f64 v[20:21], v[20:21], -v[30:31]
	s_waitcnt lgkmcnt(1)
	v_mul_f64 v[30:31], v[210:211], v[202:203]
	v_fma_f64 v[30:31], v[208:209], v[28:29], -v[30:31]
	v_mul_f64 v[208:209], v[208:209], v[202:203]
	v_fmac_f64_e32 v[208:209], v[210:211], v[28:29]
	s_waitcnt vmcnt(5)
	v_add_f64 v[16:17], v[16:17], -v[30:31]
	s_waitcnt lgkmcnt(0)
	v_mul_f64 v[30:31], v[194:195], v[202:203]
	v_add_f64 v[18:19], v[18:19], -v[208:209]
	v_fma_f64 v[30:31], v[192:193], v[28:29], -v[30:31]
	v_mul_f64 v[192:193], v[192:193], v[202:203]
	ds_read2_b64 v[208:211], v204 offset0:88 offset1:89
	v_fmac_f64_e32 v[192:193], v[194:195], v[28:29]
	s_waitcnt vmcnt(4)
	v_add_f64 v[14:15], v[14:15], -v[192:193]
	ds_read2_b64 v[192:195], v204 offset0:90 offset1:91
	v_add_f64 v[12:13], v[12:13], -v[30:31]
	;; [unrolled: 18-line block ×3, first 2 shown]
	s_waitcnt lgkmcnt(1)
	v_mul_f64 v[30:31], v[210:211], v[202:203]
	v_fma_f64 v[30:31], v[208:209], v[28:29], -v[30:31]
	s_waitcnt vmcnt(1)
	v_add_f64 v[0:1], v[0:1], -v[30:31]
	s_waitcnt lgkmcnt(0)
	v_mul_f64 v[30:31], v[194:195], v[202:203]
	v_mul_f64 v[208:209], v[208:209], v[202:203]
	v_fma_f64 v[30:31], v[192:193], v[28:29], -v[30:31]
	v_mul_f64 v[192:193], v[192:193], v[202:203]
	v_fmac_f64_e32 v[208:209], v[210:211], v[28:29]
	v_fmac_f64_e32 v[192:193], v[194:195], v[28:29]
	v_add_f64 v[2:3], v[2:3], -v[208:209]
	s_waitcnt vmcnt(0)
	v_add_f64 v[188:189], v[188:189], -v[30:31]
	v_add_f64 v[190:191], v[190:191], -v[192:193]
	v_mov_b64_e32 v[30:31], v[202:203]
.LBB94_839:
	s_or_b64 exec, exec, s[0:1]
	v_lshl_add_u32 v192, v205, 4, v204
	s_barrier
	s_waitcnt vmcnt(7)
	ds_write2_b64 v192, v[24:25], v[26:27] offset1:1
	s_waitcnt lgkmcnt(0)
	s_barrier
	ds_read2_b64 v[192:195], v204 offset0:80 offset1:81
	s_cmp_lt_i32 s20, 42
	v_mov_b32_e32 v202, 40
	s_cbranch_scc1 .LBB94_842
; %bb.840:
	v_add_u32_e32 v203, 0x290, v204
	s_mov_b32 s16, 41
	v_mov_b32_e32 v202, 40
.LBB94_841:                             ; =>This Inner Loop Header: Depth=1
	ds_read2_b64 v[208:211], v203 offset1:1
	s_waitcnt lgkmcnt(1)
	v_xor_b32_e32 v213, 0x80000000, v193
	v_xor_b32_e32 v215, 0x80000000, v195
	v_cmp_gt_f64_e32 vcc, 0, v[194:195]
	v_cmp_gt_f64_e64 s[0:1], 0, v[192:193]
	v_mov_b32_e32 v212, v192
	v_mov_b32_e32 v214, v194
	v_cndmask_b32_e64 v213, v193, v213, s[0:1]
	v_cndmask_b32_e32 v215, v195, v215, vcc
	v_add_f64 v[212:213], v[212:213], v[214:215]
	s_waitcnt lgkmcnt(0)
	v_xor_b32_e32 v215, 0x80000000, v209
	v_xor_b32_e32 v217, 0x80000000, v211
	v_cmp_gt_f64_e32 vcc, 0, v[210:211]
	v_cmp_gt_f64_e64 s[0:1], 0, v[208:209]
	v_mov_b32_e32 v214, v208
	v_mov_b32_e32 v216, v210
	v_cndmask_b32_e64 v215, v209, v215, s[0:1]
	v_cndmask_b32_e32 v217, v211, v217, vcc
	v_add_f64 v[214:215], v[214:215], v[216:217]
	v_mov_b32_e32 v218, s16
	s_add_i32 s16, s16, 1
	v_cmp_lt_f64_e32 vcc, v[212:213], v[214:215]
	v_add_u32_e32 v203, 16, v203
	s_cmp_lg_u32 s20, s16
	v_cndmask_b32_e32 v193, v193, v209, vcc
	v_cndmask_b32_e32 v192, v192, v208, vcc
	;; [unrolled: 1-line block ×5, first 2 shown]
	s_cbranch_scc1 .LBB94_841
.LBB94_842:
	s_waitcnt lgkmcnt(0)
	v_cmp_eq_f64_e32 vcc, 0, v[192:193]
	v_cmp_eq_f64_e64 s[0:1], 0, v[194:195]
	s_and_b64 s[0:1], vcc, s[0:1]
	s_and_saveexec_b64 s[16:17], s[0:1]
	s_xor_b64 s[0:1], exec, s[16:17]
; %bb.843:
	v_cmp_ne_u32_e32 vcc, 0, v206
	s_nop 1
	v_cndmask_b32_e32 v206, 41, v206, vcc
; %bb.844:
	s_andn2_saveexec_b64 s[0:1], s[0:1]
	s_cbranch_execz .LBB94_850
; %bb.845:
	v_cmp_ngt_f64_e64 s[16:17], |v[192:193]|, |v[194:195]|
	s_and_saveexec_b64 s[18:19], s[16:17]
	s_xor_b64 s[16:17], exec, s[18:19]
	s_cbranch_execz .LBB94_847
; %bb.846:
	v_div_scale_f64 v[208:209], s[18:19], v[194:195], v[194:195], v[192:193]
	v_rcp_f64_e32 v[210:211], v[208:209]
	v_div_scale_f64 v[212:213], vcc, v[192:193], v[194:195], v[192:193]
	v_fma_f64 v[214:215], -v[208:209], v[210:211], 1.0
	v_fmac_f64_e32 v[210:211], v[210:211], v[214:215]
	v_fma_f64 v[214:215], -v[208:209], v[210:211], 1.0
	v_fmac_f64_e32 v[210:211], v[210:211], v[214:215]
	v_mul_f64 v[214:215], v[212:213], v[210:211]
	v_fma_f64 v[208:209], -v[208:209], v[214:215], v[212:213]
	v_div_fmas_f64 v[208:209], v[208:209], v[210:211], v[214:215]
	v_div_fixup_f64 v[208:209], v[208:209], v[194:195], v[192:193]
	v_fmac_f64_e32 v[194:195], v[192:193], v[208:209]
	v_div_scale_f64 v[192:193], s[18:19], v[194:195], v[194:195], 1.0
	v_rcp_f64_e32 v[210:211], v[192:193]
	s_nop 0
	v_fma_f64 v[212:213], -v[192:193], v[210:211], 1.0
	v_fmac_f64_e32 v[210:211], v[210:211], v[212:213]
	v_fma_f64 v[212:213], -v[192:193], v[210:211], 1.0
	v_fmac_f64_e32 v[210:211], v[210:211], v[212:213]
	v_div_scale_f64 v[212:213], vcc, 1.0, v[194:195], 1.0
	v_mul_f64 v[214:215], v[212:213], v[210:211]
	v_fma_f64 v[192:193], -v[192:193], v[214:215], v[212:213]
	s_nop 1
	v_div_fmas_f64 v[192:193], v[192:193], v[210:211], v[214:215]
	v_div_fixup_f64 v[194:195], v[192:193], v[194:195], 1.0
	v_mul_f64 v[192:193], v[208:209], v[194:195]
	v_xor_b32_e32 v195, 0x80000000, v195
.LBB94_847:
	s_andn2_saveexec_b64 s[16:17], s[16:17]
	s_cbranch_execz .LBB94_849
; %bb.848:
	v_div_scale_f64 v[208:209], s[18:19], v[192:193], v[192:193], v[194:195]
	v_rcp_f64_e32 v[210:211], v[208:209]
	v_div_scale_f64 v[212:213], vcc, v[194:195], v[192:193], v[194:195]
	v_fma_f64 v[214:215], -v[208:209], v[210:211], 1.0
	v_fmac_f64_e32 v[210:211], v[210:211], v[214:215]
	v_fma_f64 v[214:215], -v[208:209], v[210:211], 1.0
	v_fmac_f64_e32 v[210:211], v[210:211], v[214:215]
	v_mul_f64 v[214:215], v[212:213], v[210:211]
	v_fma_f64 v[208:209], -v[208:209], v[214:215], v[212:213]
	v_div_fmas_f64 v[208:209], v[208:209], v[210:211], v[214:215]
	v_div_fixup_f64 v[208:209], v[208:209], v[192:193], v[194:195]
	v_fmac_f64_e32 v[192:193], v[194:195], v[208:209]
	v_div_scale_f64 v[194:195], s[18:19], v[192:193], v[192:193], 1.0
	v_rcp_f64_e32 v[210:211], v[194:195]
	s_nop 0
	v_fma_f64 v[212:213], -v[194:195], v[210:211], 1.0
	v_fmac_f64_e32 v[210:211], v[210:211], v[212:213]
	v_fma_f64 v[212:213], -v[194:195], v[210:211], 1.0
	v_fmac_f64_e32 v[210:211], v[210:211], v[212:213]
	v_div_scale_f64 v[212:213], vcc, 1.0, v[192:193], 1.0
	v_mul_f64 v[214:215], v[212:213], v[210:211]
	v_fma_f64 v[194:195], -v[194:195], v[214:215], v[212:213]
	s_nop 1
	v_div_fmas_f64 v[194:195], v[194:195], v[210:211], v[214:215]
	v_div_fixup_f64 v[192:193], v[194:195], v[192:193], 1.0
	v_mul_f64 v[194:195], v[208:209], -v[192:193]
.LBB94_849:
	s_or_b64 exec, exec, s[16:17]
.LBB94_850:
	s_or_b64 exec, exec, s[0:1]
	v_cmp_ne_u32_e32 vcc, v205, v202
	s_and_saveexec_b64 s[0:1], vcc
	s_xor_b64 s[0:1], exec, s[0:1]
	s_cbranch_execz .LBB94_856
; %bb.851:
	v_cmp_eq_u32_e32 vcc, 40, v205
	s_and_saveexec_b64 s[16:17], vcc
	s_cbranch_execz .LBB94_855
; %bb.852:
	v_cmp_ne_u32_e32 vcc, 40, v202
	s_xor_b64 s[18:19], s[14:15], -1
	s_and_b64 s[22:23], s[18:19], vcc
	s_and_saveexec_b64 s[18:19], s[22:23]
	s_cbranch_execz .LBB94_854
; %bb.853:
	v_ashrrev_i32_e32 v203, 31, v202
	v_lshl_add_u64 v[208:209], v[202:203], 2, v[200:201]
	global_load_dword v203, v[208:209], off
	global_load_dword v205, v[200:201], off offset:160
	s_waitcnt vmcnt(1)
	global_store_dword v[200:201], v203, off offset:160
	s_waitcnt vmcnt(1)
	global_store_dword v[208:209], v205, off
.LBB94_854:
	s_or_b64 exec, exec, s[18:19]
	v_mov_b32_e32 v205, v202
	v_mov_b32_e32 v207, v202
.LBB94_855:
	s_or_b64 exec, exec, s[16:17]
.LBB94_856:
	s_andn2_saveexec_b64 s[0:1], s[0:1]
	s_cbranch_execz .LBB94_858
; %bb.857:
	v_mov_b32_e32 v205, 40
	s_waitcnt vmcnt(6)
	ds_write2_b64 v204, v[20:21], v[22:23] offset0:82 offset1:83
	s_waitcnt vmcnt(5)
	ds_write2_b64 v204, v[16:17], v[18:19] offset0:84 offset1:85
	s_waitcnt vmcnt(4)
	ds_write2_b64 v204, v[12:13], v[14:15] offset0:86 offset1:87
	s_waitcnt vmcnt(3)
	ds_write2_b64 v204, v[8:9], v[10:11] offset0:88 offset1:89
	s_waitcnt vmcnt(2)
	ds_write2_b64 v204, v[4:5], v[6:7] offset0:90 offset1:91
	s_waitcnt vmcnt(1)
	ds_write2_b64 v204, v[0:1], v[2:3] offset0:92 offset1:93
	s_waitcnt vmcnt(0)
	ds_write2_b64 v204, v[188:189], v[190:191] offset0:94 offset1:95
.LBB94_858:
	s_or_b64 exec, exec, s[0:1]
	v_cmp_lt_i32_e32 vcc, 40, v205
	s_waitcnt lgkmcnt(0)
	s_barrier
	s_and_saveexec_b64 s[0:1], vcc
	s_cbranch_execz .LBB94_860
; %bb.859:
	ds_read2_b64 v[208:211], v204 offset0:82 offset1:83
	v_mul_f64 v[202:203], v[192:193], v[26:27]
	v_fmac_f64_e32 v[202:203], v[194:195], v[24:25]
	v_mul_f64 v[26:27], v[194:195], v[26:27]
	v_fma_f64 v[24:25], v[192:193], v[24:25], -v[26:27]
	ds_read2_b64 v[192:195], v204 offset0:84 offset1:85
	s_waitcnt lgkmcnt(1)
	v_mul_f64 v[26:27], v[210:211], v[202:203]
	v_fma_f64 v[26:27], v[208:209], v[24:25], -v[26:27]
	v_mul_f64 v[208:209], v[208:209], v[202:203]
	v_fmac_f64_e32 v[208:209], v[210:211], v[24:25]
	s_waitcnt vmcnt(6)
	v_add_f64 v[22:23], v[22:23], -v[208:209]
	ds_read2_b64 v[208:211], v204 offset0:86 offset1:87
	v_add_f64 v[20:21], v[20:21], -v[26:27]
	s_waitcnt lgkmcnt(1)
	v_mul_f64 v[26:27], v[194:195], v[202:203]
	v_fma_f64 v[26:27], v[192:193], v[24:25], -v[26:27]
	v_mul_f64 v[192:193], v[192:193], v[202:203]
	v_fmac_f64_e32 v[192:193], v[194:195], v[24:25]
	s_waitcnt vmcnt(5)
	v_add_f64 v[16:17], v[16:17], -v[26:27]
	v_add_f64 v[18:19], v[18:19], -v[192:193]
	ds_read2_b64 v[192:195], v204 offset0:88 offset1:89
	s_waitcnt lgkmcnt(1)
	v_mul_f64 v[26:27], v[210:211], v[202:203]
	v_fma_f64 v[26:27], v[208:209], v[24:25], -v[26:27]
	v_mul_f64 v[208:209], v[208:209], v[202:203]
	v_fmac_f64_e32 v[208:209], v[210:211], v[24:25]
	s_waitcnt vmcnt(4)
	v_add_f64 v[14:15], v[14:15], -v[208:209]
	ds_read2_b64 v[208:211], v204 offset0:90 offset1:91
	v_add_f64 v[12:13], v[12:13], -v[26:27]
	s_waitcnt lgkmcnt(1)
	v_mul_f64 v[26:27], v[194:195], v[202:203]
	v_fma_f64 v[26:27], v[192:193], v[24:25], -v[26:27]
	v_mul_f64 v[192:193], v[192:193], v[202:203]
	v_fmac_f64_e32 v[192:193], v[194:195], v[24:25]
	s_waitcnt vmcnt(3)
	v_add_f64 v[8:9], v[8:9], -v[26:27]
	v_add_f64 v[10:11], v[10:11], -v[192:193]
	;; [unrolled: 18-line block ×3, first 2 shown]
	s_waitcnt lgkmcnt(0)
	v_mul_f64 v[26:27], v[210:211], v[202:203]
	v_mul_f64 v[192:193], v[208:209], v[202:203]
	v_fma_f64 v[26:27], v[208:209], v[24:25], -v[26:27]
	v_fmac_f64_e32 v[192:193], v[210:211], v[24:25]
	s_waitcnt vmcnt(0)
	v_add_f64 v[188:189], v[188:189], -v[26:27]
	v_add_f64 v[190:191], v[190:191], -v[192:193]
	v_mov_b64_e32 v[26:27], v[202:203]
.LBB94_860:
	s_or_b64 exec, exec, s[0:1]
	v_lshl_add_u32 v192, v205, 4, v204
	s_barrier
	s_waitcnt vmcnt(6)
	ds_write2_b64 v192, v[20:21], v[22:23] offset1:1
	s_waitcnt lgkmcnt(0)
	s_barrier
	ds_read2_b64 v[192:195], v204 offset0:82 offset1:83
	s_cmp_lt_i32 s20, 43
	v_mov_b32_e32 v202, 41
	s_cbranch_scc1 .LBB94_863
; %bb.861:
	v_add_u32_e32 v203, 0x2a0, v204
	s_mov_b32 s16, 42
	v_mov_b32_e32 v202, 41
.LBB94_862:                             ; =>This Inner Loop Header: Depth=1
	ds_read2_b64 v[208:211], v203 offset1:1
	s_waitcnt lgkmcnt(1)
	v_xor_b32_e32 v213, 0x80000000, v193
	v_xor_b32_e32 v215, 0x80000000, v195
	v_cmp_gt_f64_e32 vcc, 0, v[194:195]
	v_cmp_gt_f64_e64 s[0:1], 0, v[192:193]
	v_mov_b32_e32 v212, v192
	v_mov_b32_e32 v214, v194
	v_cndmask_b32_e64 v213, v193, v213, s[0:1]
	v_cndmask_b32_e32 v215, v195, v215, vcc
	v_add_f64 v[212:213], v[212:213], v[214:215]
	s_waitcnt lgkmcnt(0)
	v_xor_b32_e32 v215, 0x80000000, v209
	v_xor_b32_e32 v217, 0x80000000, v211
	v_cmp_gt_f64_e32 vcc, 0, v[210:211]
	v_cmp_gt_f64_e64 s[0:1], 0, v[208:209]
	v_mov_b32_e32 v214, v208
	v_mov_b32_e32 v216, v210
	v_cndmask_b32_e64 v215, v209, v215, s[0:1]
	v_cndmask_b32_e32 v217, v211, v217, vcc
	v_add_f64 v[214:215], v[214:215], v[216:217]
	v_mov_b32_e32 v218, s16
	s_add_i32 s16, s16, 1
	v_cmp_lt_f64_e32 vcc, v[212:213], v[214:215]
	v_add_u32_e32 v203, 16, v203
	s_cmp_lg_u32 s20, s16
	v_cndmask_b32_e32 v193, v193, v209, vcc
	v_cndmask_b32_e32 v192, v192, v208, vcc
	;; [unrolled: 1-line block ×5, first 2 shown]
	s_cbranch_scc1 .LBB94_862
.LBB94_863:
	s_waitcnt lgkmcnt(0)
	v_cmp_eq_f64_e32 vcc, 0, v[192:193]
	v_cmp_eq_f64_e64 s[0:1], 0, v[194:195]
	s_and_b64 s[0:1], vcc, s[0:1]
	s_and_saveexec_b64 s[16:17], s[0:1]
	s_xor_b64 s[0:1], exec, s[16:17]
; %bb.864:
	v_cmp_ne_u32_e32 vcc, 0, v206
	s_nop 1
	v_cndmask_b32_e32 v206, 42, v206, vcc
; %bb.865:
	s_andn2_saveexec_b64 s[0:1], s[0:1]
	s_cbranch_execz .LBB94_871
; %bb.866:
	v_cmp_ngt_f64_e64 s[16:17], |v[192:193]|, |v[194:195]|
	s_and_saveexec_b64 s[18:19], s[16:17]
	s_xor_b64 s[16:17], exec, s[18:19]
	s_cbranch_execz .LBB94_868
; %bb.867:
	v_div_scale_f64 v[208:209], s[18:19], v[194:195], v[194:195], v[192:193]
	v_rcp_f64_e32 v[210:211], v[208:209]
	v_div_scale_f64 v[212:213], vcc, v[192:193], v[194:195], v[192:193]
	v_fma_f64 v[214:215], -v[208:209], v[210:211], 1.0
	v_fmac_f64_e32 v[210:211], v[210:211], v[214:215]
	v_fma_f64 v[214:215], -v[208:209], v[210:211], 1.0
	v_fmac_f64_e32 v[210:211], v[210:211], v[214:215]
	v_mul_f64 v[214:215], v[212:213], v[210:211]
	v_fma_f64 v[208:209], -v[208:209], v[214:215], v[212:213]
	v_div_fmas_f64 v[208:209], v[208:209], v[210:211], v[214:215]
	v_div_fixup_f64 v[208:209], v[208:209], v[194:195], v[192:193]
	v_fmac_f64_e32 v[194:195], v[192:193], v[208:209]
	v_div_scale_f64 v[192:193], s[18:19], v[194:195], v[194:195], 1.0
	v_rcp_f64_e32 v[210:211], v[192:193]
	s_nop 0
	v_fma_f64 v[212:213], -v[192:193], v[210:211], 1.0
	v_fmac_f64_e32 v[210:211], v[210:211], v[212:213]
	v_fma_f64 v[212:213], -v[192:193], v[210:211], 1.0
	v_fmac_f64_e32 v[210:211], v[210:211], v[212:213]
	v_div_scale_f64 v[212:213], vcc, 1.0, v[194:195], 1.0
	v_mul_f64 v[214:215], v[212:213], v[210:211]
	v_fma_f64 v[192:193], -v[192:193], v[214:215], v[212:213]
	s_nop 1
	v_div_fmas_f64 v[192:193], v[192:193], v[210:211], v[214:215]
	v_div_fixup_f64 v[194:195], v[192:193], v[194:195], 1.0
	v_mul_f64 v[192:193], v[208:209], v[194:195]
	v_xor_b32_e32 v195, 0x80000000, v195
.LBB94_868:
	s_andn2_saveexec_b64 s[16:17], s[16:17]
	s_cbranch_execz .LBB94_870
; %bb.869:
	v_div_scale_f64 v[208:209], s[18:19], v[192:193], v[192:193], v[194:195]
	v_rcp_f64_e32 v[210:211], v[208:209]
	v_div_scale_f64 v[212:213], vcc, v[194:195], v[192:193], v[194:195]
	v_fma_f64 v[214:215], -v[208:209], v[210:211], 1.0
	v_fmac_f64_e32 v[210:211], v[210:211], v[214:215]
	v_fma_f64 v[214:215], -v[208:209], v[210:211], 1.0
	v_fmac_f64_e32 v[210:211], v[210:211], v[214:215]
	v_mul_f64 v[214:215], v[212:213], v[210:211]
	v_fma_f64 v[208:209], -v[208:209], v[214:215], v[212:213]
	v_div_fmas_f64 v[208:209], v[208:209], v[210:211], v[214:215]
	v_div_fixup_f64 v[208:209], v[208:209], v[192:193], v[194:195]
	v_fmac_f64_e32 v[192:193], v[194:195], v[208:209]
	v_div_scale_f64 v[194:195], s[18:19], v[192:193], v[192:193], 1.0
	v_rcp_f64_e32 v[210:211], v[194:195]
	s_nop 0
	v_fma_f64 v[212:213], -v[194:195], v[210:211], 1.0
	v_fmac_f64_e32 v[210:211], v[210:211], v[212:213]
	v_fma_f64 v[212:213], -v[194:195], v[210:211], 1.0
	v_fmac_f64_e32 v[210:211], v[210:211], v[212:213]
	v_div_scale_f64 v[212:213], vcc, 1.0, v[192:193], 1.0
	v_mul_f64 v[214:215], v[212:213], v[210:211]
	v_fma_f64 v[194:195], -v[194:195], v[214:215], v[212:213]
	s_nop 1
	v_div_fmas_f64 v[194:195], v[194:195], v[210:211], v[214:215]
	v_div_fixup_f64 v[192:193], v[194:195], v[192:193], 1.0
	v_mul_f64 v[194:195], v[208:209], -v[192:193]
.LBB94_870:
	s_or_b64 exec, exec, s[16:17]
.LBB94_871:
	s_or_b64 exec, exec, s[0:1]
	v_cmp_ne_u32_e32 vcc, v205, v202
	s_and_saveexec_b64 s[0:1], vcc
	s_xor_b64 s[0:1], exec, s[0:1]
	s_cbranch_execz .LBB94_877
; %bb.872:
	v_cmp_eq_u32_e32 vcc, 41, v205
	s_and_saveexec_b64 s[16:17], vcc
	s_cbranch_execz .LBB94_876
; %bb.873:
	v_cmp_ne_u32_e32 vcc, 41, v202
	s_xor_b64 s[18:19], s[14:15], -1
	s_and_b64 s[22:23], s[18:19], vcc
	s_and_saveexec_b64 s[18:19], s[22:23]
	s_cbranch_execz .LBB94_875
; %bb.874:
	v_ashrrev_i32_e32 v203, 31, v202
	v_lshl_add_u64 v[208:209], v[202:203], 2, v[200:201]
	global_load_dword v203, v[208:209], off
	global_load_dword v205, v[200:201], off offset:164
	s_waitcnt vmcnt(1)
	global_store_dword v[200:201], v203, off offset:164
	s_waitcnt vmcnt(1)
	global_store_dword v[208:209], v205, off
.LBB94_875:
	s_or_b64 exec, exec, s[18:19]
	v_mov_b32_e32 v205, v202
	v_mov_b32_e32 v207, v202
.LBB94_876:
	s_or_b64 exec, exec, s[16:17]
.LBB94_877:
	s_andn2_saveexec_b64 s[0:1], s[0:1]
	s_cbranch_execz .LBB94_879
; %bb.878:
	v_mov_b32_e32 v205, 41
	s_waitcnt vmcnt(5)
	ds_write2_b64 v204, v[16:17], v[18:19] offset0:84 offset1:85
	s_waitcnt vmcnt(4)
	ds_write2_b64 v204, v[12:13], v[14:15] offset0:86 offset1:87
	;; [unrolled: 2-line block ×6, first 2 shown]
.LBB94_879:
	s_or_b64 exec, exec, s[0:1]
	v_cmp_lt_i32_e32 vcc, 41, v205
	s_waitcnt lgkmcnt(0)
	s_barrier
	s_and_saveexec_b64 s[0:1], vcc
	s_cbranch_execz .LBB94_881
; %bb.880:
	ds_read2_b64 v[208:211], v204 offset0:84 offset1:85
	v_mul_f64 v[202:203], v[192:193], v[22:23]
	v_mul_f64 v[22:23], v[194:195], v[22:23]
	v_fmac_f64_e32 v[202:203], v[194:195], v[20:21]
	v_fma_f64 v[20:21], v[192:193], v[20:21], -v[22:23]
	ds_read2_b64 v[192:195], v204 offset0:86 offset1:87
	s_waitcnt lgkmcnt(1)
	v_mul_f64 v[22:23], v[210:211], v[202:203]
	v_fma_f64 v[22:23], v[208:209], v[20:21], -v[22:23]
	v_mul_f64 v[208:209], v[208:209], v[202:203]
	v_fmac_f64_e32 v[208:209], v[210:211], v[20:21]
	s_waitcnt vmcnt(5)
	v_add_f64 v[16:17], v[16:17], -v[22:23]
	s_waitcnt lgkmcnt(0)
	v_mul_f64 v[22:23], v[194:195], v[202:203]
	v_add_f64 v[18:19], v[18:19], -v[208:209]
	v_fma_f64 v[22:23], v[192:193], v[20:21], -v[22:23]
	v_mul_f64 v[192:193], v[192:193], v[202:203]
	ds_read2_b64 v[208:211], v204 offset0:88 offset1:89
	v_fmac_f64_e32 v[192:193], v[194:195], v[20:21]
	s_waitcnt vmcnt(4)
	v_add_f64 v[14:15], v[14:15], -v[192:193]
	ds_read2_b64 v[192:195], v204 offset0:90 offset1:91
	v_add_f64 v[12:13], v[12:13], -v[22:23]
	s_waitcnt lgkmcnt(1)
	v_mul_f64 v[22:23], v[210:211], v[202:203]
	v_fma_f64 v[22:23], v[208:209], v[20:21], -v[22:23]
	v_mul_f64 v[208:209], v[208:209], v[202:203]
	v_fmac_f64_e32 v[208:209], v[210:211], v[20:21]
	s_waitcnt vmcnt(3)
	v_add_f64 v[8:9], v[8:9], -v[22:23]
	s_waitcnt lgkmcnt(0)
	v_mul_f64 v[22:23], v[194:195], v[202:203]
	v_add_f64 v[10:11], v[10:11], -v[208:209]
	v_fma_f64 v[22:23], v[192:193], v[20:21], -v[22:23]
	v_mul_f64 v[192:193], v[192:193], v[202:203]
	ds_read2_b64 v[208:211], v204 offset0:92 offset1:93
	v_fmac_f64_e32 v[192:193], v[194:195], v[20:21]
	s_waitcnt vmcnt(2)
	v_add_f64 v[6:7], v[6:7], -v[192:193]
	ds_read2_b64 v[192:195], v204 offset0:94 offset1:95
	v_add_f64 v[4:5], v[4:5], -v[22:23]
	s_waitcnt lgkmcnt(1)
	v_mul_f64 v[22:23], v[210:211], v[202:203]
	v_fma_f64 v[22:23], v[208:209], v[20:21], -v[22:23]
	s_waitcnt vmcnt(1)
	v_add_f64 v[0:1], v[0:1], -v[22:23]
	s_waitcnt lgkmcnt(0)
	v_mul_f64 v[22:23], v[194:195], v[202:203]
	v_mul_f64 v[208:209], v[208:209], v[202:203]
	v_fma_f64 v[22:23], v[192:193], v[20:21], -v[22:23]
	v_mul_f64 v[192:193], v[192:193], v[202:203]
	v_fmac_f64_e32 v[208:209], v[210:211], v[20:21]
	v_fmac_f64_e32 v[192:193], v[194:195], v[20:21]
	v_add_f64 v[2:3], v[2:3], -v[208:209]
	s_waitcnt vmcnt(0)
	v_add_f64 v[188:189], v[188:189], -v[22:23]
	v_add_f64 v[190:191], v[190:191], -v[192:193]
	v_mov_b64_e32 v[22:23], v[202:203]
.LBB94_881:
	s_or_b64 exec, exec, s[0:1]
	v_lshl_add_u32 v192, v205, 4, v204
	s_barrier
	s_waitcnt vmcnt(5)
	ds_write2_b64 v192, v[16:17], v[18:19] offset1:1
	s_waitcnt lgkmcnt(0)
	s_barrier
	ds_read2_b64 v[192:195], v204 offset0:84 offset1:85
	s_cmp_lt_i32 s20, 44
	v_mov_b32_e32 v202, 42
	s_cbranch_scc1 .LBB94_884
; %bb.882:
	v_add_u32_e32 v203, 0x2b0, v204
	s_mov_b32 s16, 43
	v_mov_b32_e32 v202, 42
.LBB94_883:                             ; =>This Inner Loop Header: Depth=1
	ds_read2_b64 v[208:211], v203 offset1:1
	s_waitcnt lgkmcnt(1)
	v_xor_b32_e32 v213, 0x80000000, v193
	v_xor_b32_e32 v215, 0x80000000, v195
	v_cmp_gt_f64_e32 vcc, 0, v[194:195]
	v_cmp_gt_f64_e64 s[0:1], 0, v[192:193]
	v_mov_b32_e32 v212, v192
	v_mov_b32_e32 v214, v194
	v_cndmask_b32_e64 v213, v193, v213, s[0:1]
	v_cndmask_b32_e32 v215, v195, v215, vcc
	v_add_f64 v[212:213], v[212:213], v[214:215]
	s_waitcnt lgkmcnt(0)
	v_xor_b32_e32 v215, 0x80000000, v209
	v_xor_b32_e32 v217, 0x80000000, v211
	v_cmp_gt_f64_e32 vcc, 0, v[210:211]
	v_cmp_gt_f64_e64 s[0:1], 0, v[208:209]
	v_mov_b32_e32 v214, v208
	v_mov_b32_e32 v216, v210
	v_cndmask_b32_e64 v215, v209, v215, s[0:1]
	v_cndmask_b32_e32 v217, v211, v217, vcc
	v_add_f64 v[214:215], v[214:215], v[216:217]
	v_mov_b32_e32 v218, s16
	s_add_i32 s16, s16, 1
	v_cmp_lt_f64_e32 vcc, v[212:213], v[214:215]
	v_add_u32_e32 v203, 16, v203
	s_cmp_lg_u32 s20, s16
	v_cndmask_b32_e32 v193, v193, v209, vcc
	v_cndmask_b32_e32 v192, v192, v208, vcc
	v_cndmask_b32_e32 v195, v195, v211, vcc
	v_cndmask_b32_e32 v194, v194, v210, vcc
	v_cndmask_b32_e32 v202, v202, v218, vcc
	s_cbranch_scc1 .LBB94_883
.LBB94_884:
	s_waitcnt lgkmcnt(0)
	v_cmp_eq_f64_e32 vcc, 0, v[192:193]
	v_cmp_eq_f64_e64 s[0:1], 0, v[194:195]
	s_and_b64 s[0:1], vcc, s[0:1]
	s_and_saveexec_b64 s[16:17], s[0:1]
	s_xor_b64 s[0:1], exec, s[16:17]
; %bb.885:
	v_cmp_ne_u32_e32 vcc, 0, v206
	s_nop 1
	v_cndmask_b32_e32 v206, 43, v206, vcc
; %bb.886:
	s_andn2_saveexec_b64 s[0:1], s[0:1]
	s_cbranch_execz .LBB94_892
; %bb.887:
	v_cmp_ngt_f64_e64 s[16:17], |v[192:193]|, |v[194:195]|
	s_and_saveexec_b64 s[18:19], s[16:17]
	s_xor_b64 s[16:17], exec, s[18:19]
	s_cbranch_execz .LBB94_889
; %bb.888:
	v_div_scale_f64 v[208:209], s[18:19], v[194:195], v[194:195], v[192:193]
	v_rcp_f64_e32 v[210:211], v[208:209]
	v_div_scale_f64 v[212:213], vcc, v[192:193], v[194:195], v[192:193]
	v_fma_f64 v[214:215], -v[208:209], v[210:211], 1.0
	v_fmac_f64_e32 v[210:211], v[210:211], v[214:215]
	v_fma_f64 v[214:215], -v[208:209], v[210:211], 1.0
	v_fmac_f64_e32 v[210:211], v[210:211], v[214:215]
	v_mul_f64 v[214:215], v[212:213], v[210:211]
	v_fma_f64 v[208:209], -v[208:209], v[214:215], v[212:213]
	v_div_fmas_f64 v[208:209], v[208:209], v[210:211], v[214:215]
	v_div_fixup_f64 v[208:209], v[208:209], v[194:195], v[192:193]
	v_fmac_f64_e32 v[194:195], v[192:193], v[208:209]
	v_div_scale_f64 v[192:193], s[18:19], v[194:195], v[194:195], 1.0
	v_rcp_f64_e32 v[210:211], v[192:193]
	s_nop 0
	v_fma_f64 v[212:213], -v[192:193], v[210:211], 1.0
	v_fmac_f64_e32 v[210:211], v[210:211], v[212:213]
	v_fma_f64 v[212:213], -v[192:193], v[210:211], 1.0
	v_fmac_f64_e32 v[210:211], v[210:211], v[212:213]
	v_div_scale_f64 v[212:213], vcc, 1.0, v[194:195], 1.0
	v_mul_f64 v[214:215], v[212:213], v[210:211]
	v_fma_f64 v[192:193], -v[192:193], v[214:215], v[212:213]
	s_nop 1
	v_div_fmas_f64 v[192:193], v[192:193], v[210:211], v[214:215]
	v_div_fixup_f64 v[194:195], v[192:193], v[194:195], 1.0
	v_mul_f64 v[192:193], v[208:209], v[194:195]
	v_xor_b32_e32 v195, 0x80000000, v195
.LBB94_889:
	s_andn2_saveexec_b64 s[16:17], s[16:17]
	s_cbranch_execz .LBB94_891
; %bb.890:
	v_div_scale_f64 v[208:209], s[18:19], v[192:193], v[192:193], v[194:195]
	v_rcp_f64_e32 v[210:211], v[208:209]
	v_div_scale_f64 v[212:213], vcc, v[194:195], v[192:193], v[194:195]
	v_fma_f64 v[214:215], -v[208:209], v[210:211], 1.0
	v_fmac_f64_e32 v[210:211], v[210:211], v[214:215]
	v_fma_f64 v[214:215], -v[208:209], v[210:211], 1.0
	v_fmac_f64_e32 v[210:211], v[210:211], v[214:215]
	v_mul_f64 v[214:215], v[212:213], v[210:211]
	v_fma_f64 v[208:209], -v[208:209], v[214:215], v[212:213]
	v_div_fmas_f64 v[208:209], v[208:209], v[210:211], v[214:215]
	v_div_fixup_f64 v[208:209], v[208:209], v[192:193], v[194:195]
	v_fmac_f64_e32 v[192:193], v[194:195], v[208:209]
	v_div_scale_f64 v[194:195], s[18:19], v[192:193], v[192:193], 1.0
	v_rcp_f64_e32 v[210:211], v[194:195]
	s_nop 0
	v_fma_f64 v[212:213], -v[194:195], v[210:211], 1.0
	v_fmac_f64_e32 v[210:211], v[210:211], v[212:213]
	v_fma_f64 v[212:213], -v[194:195], v[210:211], 1.0
	v_fmac_f64_e32 v[210:211], v[210:211], v[212:213]
	v_div_scale_f64 v[212:213], vcc, 1.0, v[192:193], 1.0
	v_mul_f64 v[214:215], v[212:213], v[210:211]
	v_fma_f64 v[194:195], -v[194:195], v[214:215], v[212:213]
	s_nop 1
	v_div_fmas_f64 v[194:195], v[194:195], v[210:211], v[214:215]
	v_div_fixup_f64 v[192:193], v[194:195], v[192:193], 1.0
	v_mul_f64 v[194:195], v[208:209], -v[192:193]
.LBB94_891:
	s_or_b64 exec, exec, s[16:17]
.LBB94_892:
	s_or_b64 exec, exec, s[0:1]
	v_cmp_ne_u32_e32 vcc, v205, v202
	s_and_saveexec_b64 s[0:1], vcc
	s_xor_b64 s[0:1], exec, s[0:1]
	s_cbranch_execz .LBB94_898
; %bb.893:
	v_cmp_eq_u32_e32 vcc, 42, v205
	s_and_saveexec_b64 s[16:17], vcc
	s_cbranch_execz .LBB94_897
; %bb.894:
	v_cmp_ne_u32_e32 vcc, 42, v202
	s_xor_b64 s[18:19], s[14:15], -1
	s_and_b64 s[22:23], s[18:19], vcc
	s_and_saveexec_b64 s[18:19], s[22:23]
	s_cbranch_execz .LBB94_896
; %bb.895:
	v_ashrrev_i32_e32 v203, 31, v202
	v_lshl_add_u64 v[208:209], v[202:203], 2, v[200:201]
	global_load_dword v203, v[208:209], off
	global_load_dword v205, v[200:201], off offset:168
	s_waitcnt vmcnt(1)
	global_store_dword v[200:201], v203, off offset:168
	s_waitcnt vmcnt(1)
	global_store_dword v[208:209], v205, off
.LBB94_896:
	s_or_b64 exec, exec, s[18:19]
	v_mov_b32_e32 v205, v202
	v_mov_b32_e32 v207, v202
.LBB94_897:
	s_or_b64 exec, exec, s[16:17]
.LBB94_898:
	s_andn2_saveexec_b64 s[0:1], s[0:1]
	s_cbranch_execz .LBB94_900
; %bb.899:
	v_mov_b32_e32 v205, 42
	s_waitcnt vmcnt(4)
	ds_write2_b64 v204, v[12:13], v[14:15] offset0:86 offset1:87
	s_waitcnt vmcnt(3)
	ds_write2_b64 v204, v[8:9], v[10:11] offset0:88 offset1:89
	;; [unrolled: 2-line block ×5, first 2 shown]
.LBB94_900:
	s_or_b64 exec, exec, s[0:1]
	v_cmp_lt_i32_e32 vcc, 42, v205
	s_waitcnt lgkmcnt(0)
	s_barrier
	s_and_saveexec_b64 s[0:1], vcc
	s_cbranch_execz .LBB94_902
; %bb.901:
	ds_read2_b64 v[208:211], v204 offset0:86 offset1:87
	v_mul_f64 v[202:203], v[192:193], v[18:19]
	v_fmac_f64_e32 v[202:203], v[194:195], v[16:17]
	v_mul_f64 v[18:19], v[194:195], v[18:19]
	v_fma_f64 v[16:17], v[192:193], v[16:17], -v[18:19]
	ds_read2_b64 v[192:195], v204 offset0:88 offset1:89
	s_waitcnt lgkmcnt(1)
	v_mul_f64 v[18:19], v[210:211], v[202:203]
	v_fma_f64 v[18:19], v[208:209], v[16:17], -v[18:19]
	v_mul_f64 v[208:209], v[208:209], v[202:203]
	v_fmac_f64_e32 v[208:209], v[210:211], v[16:17]
	s_waitcnt vmcnt(4)
	v_add_f64 v[14:15], v[14:15], -v[208:209]
	ds_read2_b64 v[208:211], v204 offset0:90 offset1:91
	v_add_f64 v[12:13], v[12:13], -v[18:19]
	s_waitcnt lgkmcnt(1)
	v_mul_f64 v[18:19], v[194:195], v[202:203]
	v_fma_f64 v[18:19], v[192:193], v[16:17], -v[18:19]
	v_mul_f64 v[192:193], v[192:193], v[202:203]
	v_fmac_f64_e32 v[192:193], v[194:195], v[16:17]
	s_waitcnt vmcnt(3)
	v_add_f64 v[8:9], v[8:9], -v[18:19]
	v_add_f64 v[10:11], v[10:11], -v[192:193]
	ds_read2_b64 v[192:195], v204 offset0:92 offset1:93
	s_waitcnt lgkmcnt(1)
	v_mul_f64 v[18:19], v[210:211], v[202:203]
	v_fma_f64 v[18:19], v[208:209], v[16:17], -v[18:19]
	v_mul_f64 v[208:209], v[208:209], v[202:203]
	v_fmac_f64_e32 v[208:209], v[210:211], v[16:17]
	s_waitcnt vmcnt(2)
	v_add_f64 v[6:7], v[6:7], -v[208:209]
	ds_read2_b64 v[208:211], v204 offset0:94 offset1:95
	v_add_f64 v[4:5], v[4:5], -v[18:19]
	s_waitcnt lgkmcnt(1)
	v_mul_f64 v[18:19], v[194:195], v[202:203]
	v_fma_f64 v[18:19], v[192:193], v[16:17], -v[18:19]
	v_mul_f64 v[192:193], v[192:193], v[202:203]
	v_fmac_f64_e32 v[192:193], v[194:195], v[16:17]
	s_waitcnt vmcnt(1)
	v_add_f64 v[0:1], v[0:1], -v[18:19]
	v_add_f64 v[2:3], v[2:3], -v[192:193]
	s_waitcnt lgkmcnt(0)
	v_mul_f64 v[18:19], v[210:211], v[202:203]
	v_mul_f64 v[192:193], v[208:209], v[202:203]
	v_fma_f64 v[18:19], v[208:209], v[16:17], -v[18:19]
	v_fmac_f64_e32 v[192:193], v[210:211], v[16:17]
	s_waitcnt vmcnt(0)
	v_add_f64 v[188:189], v[188:189], -v[18:19]
	v_add_f64 v[190:191], v[190:191], -v[192:193]
	v_mov_b64_e32 v[18:19], v[202:203]
.LBB94_902:
	s_or_b64 exec, exec, s[0:1]
	v_lshl_add_u32 v192, v205, 4, v204
	s_barrier
	s_waitcnt vmcnt(4)
	ds_write2_b64 v192, v[12:13], v[14:15] offset1:1
	s_waitcnt lgkmcnt(0)
	s_barrier
	ds_read2_b64 v[192:195], v204 offset0:86 offset1:87
	s_cmp_lt_i32 s20, 45
	v_mov_b32_e32 v202, 43
	s_cbranch_scc1 .LBB94_905
; %bb.903:
	v_add_u32_e32 v203, 0x2c0, v204
	s_mov_b32 s16, 44
	v_mov_b32_e32 v202, 43
.LBB94_904:                             ; =>This Inner Loop Header: Depth=1
	ds_read2_b64 v[208:211], v203 offset1:1
	s_waitcnt lgkmcnt(1)
	v_xor_b32_e32 v213, 0x80000000, v193
	v_xor_b32_e32 v215, 0x80000000, v195
	v_cmp_gt_f64_e32 vcc, 0, v[194:195]
	v_cmp_gt_f64_e64 s[0:1], 0, v[192:193]
	v_mov_b32_e32 v212, v192
	v_mov_b32_e32 v214, v194
	v_cndmask_b32_e64 v213, v193, v213, s[0:1]
	v_cndmask_b32_e32 v215, v195, v215, vcc
	v_add_f64 v[212:213], v[212:213], v[214:215]
	s_waitcnt lgkmcnt(0)
	v_xor_b32_e32 v215, 0x80000000, v209
	v_xor_b32_e32 v217, 0x80000000, v211
	v_cmp_gt_f64_e32 vcc, 0, v[210:211]
	v_cmp_gt_f64_e64 s[0:1], 0, v[208:209]
	v_mov_b32_e32 v214, v208
	v_mov_b32_e32 v216, v210
	v_cndmask_b32_e64 v215, v209, v215, s[0:1]
	v_cndmask_b32_e32 v217, v211, v217, vcc
	v_add_f64 v[214:215], v[214:215], v[216:217]
	v_mov_b32_e32 v218, s16
	s_add_i32 s16, s16, 1
	v_cmp_lt_f64_e32 vcc, v[212:213], v[214:215]
	v_add_u32_e32 v203, 16, v203
	s_cmp_lg_u32 s20, s16
	v_cndmask_b32_e32 v193, v193, v209, vcc
	v_cndmask_b32_e32 v192, v192, v208, vcc
	;; [unrolled: 1-line block ×5, first 2 shown]
	s_cbranch_scc1 .LBB94_904
.LBB94_905:
	s_waitcnt lgkmcnt(0)
	v_cmp_eq_f64_e32 vcc, 0, v[192:193]
	v_cmp_eq_f64_e64 s[0:1], 0, v[194:195]
	s_and_b64 s[0:1], vcc, s[0:1]
	s_and_saveexec_b64 s[16:17], s[0:1]
	s_xor_b64 s[0:1], exec, s[16:17]
; %bb.906:
	v_cmp_ne_u32_e32 vcc, 0, v206
	s_nop 1
	v_cndmask_b32_e32 v206, 44, v206, vcc
; %bb.907:
	s_andn2_saveexec_b64 s[0:1], s[0:1]
	s_cbranch_execz .LBB94_913
; %bb.908:
	v_cmp_ngt_f64_e64 s[16:17], |v[192:193]|, |v[194:195]|
	s_and_saveexec_b64 s[18:19], s[16:17]
	s_xor_b64 s[16:17], exec, s[18:19]
	s_cbranch_execz .LBB94_910
; %bb.909:
	v_div_scale_f64 v[208:209], s[18:19], v[194:195], v[194:195], v[192:193]
	v_rcp_f64_e32 v[210:211], v[208:209]
	v_div_scale_f64 v[212:213], vcc, v[192:193], v[194:195], v[192:193]
	v_fma_f64 v[214:215], -v[208:209], v[210:211], 1.0
	v_fmac_f64_e32 v[210:211], v[210:211], v[214:215]
	v_fma_f64 v[214:215], -v[208:209], v[210:211], 1.0
	v_fmac_f64_e32 v[210:211], v[210:211], v[214:215]
	v_mul_f64 v[214:215], v[212:213], v[210:211]
	v_fma_f64 v[208:209], -v[208:209], v[214:215], v[212:213]
	v_div_fmas_f64 v[208:209], v[208:209], v[210:211], v[214:215]
	v_div_fixup_f64 v[208:209], v[208:209], v[194:195], v[192:193]
	v_fmac_f64_e32 v[194:195], v[192:193], v[208:209]
	v_div_scale_f64 v[192:193], s[18:19], v[194:195], v[194:195], 1.0
	v_rcp_f64_e32 v[210:211], v[192:193]
	s_nop 0
	v_fma_f64 v[212:213], -v[192:193], v[210:211], 1.0
	v_fmac_f64_e32 v[210:211], v[210:211], v[212:213]
	v_fma_f64 v[212:213], -v[192:193], v[210:211], 1.0
	v_fmac_f64_e32 v[210:211], v[210:211], v[212:213]
	v_div_scale_f64 v[212:213], vcc, 1.0, v[194:195], 1.0
	v_mul_f64 v[214:215], v[212:213], v[210:211]
	v_fma_f64 v[192:193], -v[192:193], v[214:215], v[212:213]
	s_nop 1
	v_div_fmas_f64 v[192:193], v[192:193], v[210:211], v[214:215]
	v_div_fixup_f64 v[194:195], v[192:193], v[194:195], 1.0
	v_mul_f64 v[192:193], v[208:209], v[194:195]
	v_xor_b32_e32 v195, 0x80000000, v195
.LBB94_910:
	s_andn2_saveexec_b64 s[16:17], s[16:17]
	s_cbranch_execz .LBB94_912
; %bb.911:
	v_div_scale_f64 v[208:209], s[18:19], v[192:193], v[192:193], v[194:195]
	v_rcp_f64_e32 v[210:211], v[208:209]
	v_div_scale_f64 v[212:213], vcc, v[194:195], v[192:193], v[194:195]
	v_fma_f64 v[214:215], -v[208:209], v[210:211], 1.0
	v_fmac_f64_e32 v[210:211], v[210:211], v[214:215]
	v_fma_f64 v[214:215], -v[208:209], v[210:211], 1.0
	v_fmac_f64_e32 v[210:211], v[210:211], v[214:215]
	v_mul_f64 v[214:215], v[212:213], v[210:211]
	v_fma_f64 v[208:209], -v[208:209], v[214:215], v[212:213]
	v_div_fmas_f64 v[208:209], v[208:209], v[210:211], v[214:215]
	v_div_fixup_f64 v[208:209], v[208:209], v[192:193], v[194:195]
	v_fmac_f64_e32 v[192:193], v[194:195], v[208:209]
	v_div_scale_f64 v[194:195], s[18:19], v[192:193], v[192:193], 1.0
	v_rcp_f64_e32 v[210:211], v[194:195]
	s_nop 0
	v_fma_f64 v[212:213], -v[194:195], v[210:211], 1.0
	v_fmac_f64_e32 v[210:211], v[210:211], v[212:213]
	v_fma_f64 v[212:213], -v[194:195], v[210:211], 1.0
	v_fmac_f64_e32 v[210:211], v[210:211], v[212:213]
	v_div_scale_f64 v[212:213], vcc, 1.0, v[192:193], 1.0
	v_mul_f64 v[214:215], v[212:213], v[210:211]
	v_fma_f64 v[194:195], -v[194:195], v[214:215], v[212:213]
	s_nop 1
	v_div_fmas_f64 v[194:195], v[194:195], v[210:211], v[214:215]
	v_div_fixup_f64 v[192:193], v[194:195], v[192:193], 1.0
	v_mul_f64 v[194:195], v[208:209], -v[192:193]
.LBB94_912:
	s_or_b64 exec, exec, s[16:17]
.LBB94_913:
	s_or_b64 exec, exec, s[0:1]
	v_cmp_ne_u32_e32 vcc, v205, v202
	s_and_saveexec_b64 s[0:1], vcc
	s_xor_b64 s[0:1], exec, s[0:1]
	s_cbranch_execz .LBB94_919
; %bb.914:
	v_cmp_eq_u32_e32 vcc, 43, v205
	s_and_saveexec_b64 s[16:17], vcc
	s_cbranch_execz .LBB94_918
; %bb.915:
	v_cmp_ne_u32_e32 vcc, 43, v202
	s_xor_b64 s[18:19], s[14:15], -1
	s_and_b64 s[22:23], s[18:19], vcc
	s_and_saveexec_b64 s[18:19], s[22:23]
	s_cbranch_execz .LBB94_917
; %bb.916:
	v_ashrrev_i32_e32 v203, 31, v202
	v_lshl_add_u64 v[208:209], v[202:203], 2, v[200:201]
	global_load_dword v203, v[208:209], off
	global_load_dword v205, v[200:201], off offset:172
	s_waitcnt vmcnt(1)
	global_store_dword v[200:201], v203, off offset:172
	s_waitcnt vmcnt(1)
	global_store_dword v[208:209], v205, off
.LBB94_917:
	s_or_b64 exec, exec, s[18:19]
	v_mov_b32_e32 v205, v202
	v_mov_b32_e32 v207, v202
.LBB94_918:
	s_or_b64 exec, exec, s[16:17]
.LBB94_919:
	s_andn2_saveexec_b64 s[0:1], s[0:1]
	s_cbranch_execz .LBB94_921
; %bb.920:
	v_mov_b32_e32 v205, 43
	s_waitcnt vmcnt(3)
	ds_write2_b64 v204, v[8:9], v[10:11] offset0:88 offset1:89
	s_waitcnt vmcnt(2)
	ds_write2_b64 v204, v[4:5], v[6:7] offset0:90 offset1:91
	;; [unrolled: 2-line block ×4, first 2 shown]
.LBB94_921:
	s_or_b64 exec, exec, s[0:1]
	v_cmp_lt_i32_e32 vcc, 43, v205
	s_waitcnt lgkmcnt(0)
	s_barrier
	s_and_saveexec_b64 s[0:1], vcc
	s_cbranch_execz .LBB94_923
; %bb.922:
	ds_read2_b64 v[208:211], v204 offset0:88 offset1:89
	v_mul_f64 v[202:203], v[192:193], v[14:15]
	v_mul_f64 v[14:15], v[194:195], v[14:15]
	v_fmac_f64_e32 v[202:203], v[194:195], v[12:13]
	v_fma_f64 v[12:13], v[192:193], v[12:13], -v[14:15]
	ds_read2_b64 v[192:195], v204 offset0:90 offset1:91
	s_waitcnt lgkmcnt(1)
	v_mul_f64 v[14:15], v[210:211], v[202:203]
	v_fma_f64 v[14:15], v[208:209], v[12:13], -v[14:15]
	v_mul_f64 v[208:209], v[208:209], v[202:203]
	v_fmac_f64_e32 v[208:209], v[210:211], v[12:13]
	s_waitcnt vmcnt(3)
	v_add_f64 v[8:9], v[8:9], -v[14:15]
	s_waitcnt lgkmcnt(0)
	v_mul_f64 v[14:15], v[194:195], v[202:203]
	v_add_f64 v[10:11], v[10:11], -v[208:209]
	v_fma_f64 v[14:15], v[192:193], v[12:13], -v[14:15]
	v_mul_f64 v[192:193], v[192:193], v[202:203]
	ds_read2_b64 v[208:211], v204 offset0:92 offset1:93
	v_fmac_f64_e32 v[192:193], v[194:195], v[12:13]
	s_waitcnt vmcnt(2)
	v_add_f64 v[6:7], v[6:7], -v[192:193]
	ds_read2_b64 v[192:195], v204 offset0:94 offset1:95
	v_add_f64 v[4:5], v[4:5], -v[14:15]
	s_waitcnt lgkmcnt(1)
	v_mul_f64 v[14:15], v[210:211], v[202:203]
	v_fma_f64 v[14:15], v[208:209], v[12:13], -v[14:15]
	s_waitcnt vmcnt(1)
	v_add_f64 v[0:1], v[0:1], -v[14:15]
	s_waitcnt lgkmcnt(0)
	v_mul_f64 v[14:15], v[194:195], v[202:203]
	v_mul_f64 v[208:209], v[208:209], v[202:203]
	v_fma_f64 v[14:15], v[192:193], v[12:13], -v[14:15]
	v_mul_f64 v[192:193], v[192:193], v[202:203]
	v_fmac_f64_e32 v[208:209], v[210:211], v[12:13]
	v_fmac_f64_e32 v[192:193], v[194:195], v[12:13]
	v_add_f64 v[2:3], v[2:3], -v[208:209]
	s_waitcnt vmcnt(0)
	v_add_f64 v[188:189], v[188:189], -v[14:15]
	v_add_f64 v[190:191], v[190:191], -v[192:193]
	v_mov_b64_e32 v[14:15], v[202:203]
.LBB94_923:
	s_or_b64 exec, exec, s[0:1]
	v_lshl_add_u32 v192, v205, 4, v204
	s_barrier
	s_waitcnt vmcnt(3)
	ds_write2_b64 v192, v[8:9], v[10:11] offset1:1
	s_waitcnt lgkmcnt(0)
	s_barrier
	ds_read2_b64 v[192:195], v204 offset0:88 offset1:89
	s_cmp_lt_i32 s20, 46
	v_mov_b32_e32 v202, 44
	s_cbranch_scc1 .LBB94_926
; %bb.924:
	v_add_u32_e32 v203, 0x2d0, v204
	s_mov_b32 s16, 45
	v_mov_b32_e32 v202, 44
.LBB94_925:                             ; =>This Inner Loop Header: Depth=1
	ds_read2_b64 v[208:211], v203 offset1:1
	s_waitcnt lgkmcnt(1)
	v_xor_b32_e32 v213, 0x80000000, v193
	v_xor_b32_e32 v215, 0x80000000, v195
	v_cmp_gt_f64_e32 vcc, 0, v[194:195]
	v_cmp_gt_f64_e64 s[0:1], 0, v[192:193]
	v_mov_b32_e32 v212, v192
	v_mov_b32_e32 v214, v194
	v_cndmask_b32_e64 v213, v193, v213, s[0:1]
	v_cndmask_b32_e32 v215, v195, v215, vcc
	v_add_f64 v[212:213], v[212:213], v[214:215]
	s_waitcnt lgkmcnt(0)
	v_xor_b32_e32 v215, 0x80000000, v209
	v_xor_b32_e32 v217, 0x80000000, v211
	v_cmp_gt_f64_e32 vcc, 0, v[210:211]
	v_cmp_gt_f64_e64 s[0:1], 0, v[208:209]
	v_mov_b32_e32 v214, v208
	v_mov_b32_e32 v216, v210
	v_cndmask_b32_e64 v215, v209, v215, s[0:1]
	v_cndmask_b32_e32 v217, v211, v217, vcc
	v_add_f64 v[214:215], v[214:215], v[216:217]
	v_mov_b32_e32 v218, s16
	s_add_i32 s16, s16, 1
	v_cmp_lt_f64_e32 vcc, v[212:213], v[214:215]
	v_add_u32_e32 v203, 16, v203
	s_cmp_lg_u32 s20, s16
	v_cndmask_b32_e32 v193, v193, v209, vcc
	v_cndmask_b32_e32 v192, v192, v208, vcc
	;; [unrolled: 1-line block ×5, first 2 shown]
	s_cbranch_scc1 .LBB94_925
.LBB94_926:
	s_waitcnt lgkmcnt(0)
	v_cmp_eq_f64_e32 vcc, 0, v[192:193]
	v_cmp_eq_f64_e64 s[0:1], 0, v[194:195]
	s_and_b64 s[0:1], vcc, s[0:1]
	s_and_saveexec_b64 s[16:17], s[0:1]
	s_xor_b64 s[0:1], exec, s[16:17]
; %bb.927:
	v_cmp_ne_u32_e32 vcc, 0, v206
	s_nop 1
	v_cndmask_b32_e32 v206, 45, v206, vcc
; %bb.928:
	s_andn2_saveexec_b64 s[0:1], s[0:1]
	s_cbranch_execz .LBB94_934
; %bb.929:
	v_cmp_ngt_f64_e64 s[16:17], |v[192:193]|, |v[194:195]|
	s_and_saveexec_b64 s[18:19], s[16:17]
	s_xor_b64 s[16:17], exec, s[18:19]
	s_cbranch_execz .LBB94_931
; %bb.930:
	v_div_scale_f64 v[208:209], s[18:19], v[194:195], v[194:195], v[192:193]
	v_rcp_f64_e32 v[210:211], v[208:209]
	v_div_scale_f64 v[212:213], vcc, v[192:193], v[194:195], v[192:193]
	v_fma_f64 v[214:215], -v[208:209], v[210:211], 1.0
	v_fmac_f64_e32 v[210:211], v[210:211], v[214:215]
	v_fma_f64 v[214:215], -v[208:209], v[210:211], 1.0
	v_fmac_f64_e32 v[210:211], v[210:211], v[214:215]
	v_mul_f64 v[214:215], v[212:213], v[210:211]
	v_fma_f64 v[208:209], -v[208:209], v[214:215], v[212:213]
	v_div_fmas_f64 v[208:209], v[208:209], v[210:211], v[214:215]
	v_div_fixup_f64 v[208:209], v[208:209], v[194:195], v[192:193]
	v_fmac_f64_e32 v[194:195], v[192:193], v[208:209]
	v_div_scale_f64 v[192:193], s[18:19], v[194:195], v[194:195], 1.0
	v_rcp_f64_e32 v[210:211], v[192:193]
	s_nop 0
	v_fma_f64 v[212:213], -v[192:193], v[210:211], 1.0
	v_fmac_f64_e32 v[210:211], v[210:211], v[212:213]
	v_fma_f64 v[212:213], -v[192:193], v[210:211], 1.0
	v_fmac_f64_e32 v[210:211], v[210:211], v[212:213]
	v_div_scale_f64 v[212:213], vcc, 1.0, v[194:195], 1.0
	v_mul_f64 v[214:215], v[212:213], v[210:211]
	v_fma_f64 v[192:193], -v[192:193], v[214:215], v[212:213]
	s_nop 1
	v_div_fmas_f64 v[192:193], v[192:193], v[210:211], v[214:215]
	v_div_fixup_f64 v[194:195], v[192:193], v[194:195], 1.0
	v_mul_f64 v[192:193], v[208:209], v[194:195]
	v_xor_b32_e32 v195, 0x80000000, v195
.LBB94_931:
	s_andn2_saveexec_b64 s[16:17], s[16:17]
	s_cbranch_execz .LBB94_933
; %bb.932:
	v_div_scale_f64 v[208:209], s[18:19], v[192:193], v[192:193], v[194:195]
	v_rcp_f64_e32 v[210:211], v[208:209]
	v_div_scale_f64 v[212:213], vcc, v[194:195], v[192:193], v[194:195]
	v_fma_f64 v[214:215], -v[208:209], v[210:211], 1.0
	v_fmac_f64_e32 v[210:211], v[210:211], v[214:215]
	v_fma_f64 v[214:215], -v[208:209], v[210:211], 1.0
	v_fmac_f64_e32 v[210:211], v[210:211], v[214:215]
	v_mul_f64 v[214:215], v[212:213], v[210:211]
	v_fma_f64 v[208:209], -v[208:209], v[214:215], v[212:213]
	v_div_fmas_f64 v[208:209], v[208:209], v[210:211], v[214:215]
	v_div_fixup_f64 v[208:209], v[208:209], v[192:193], v[194:195]
	v_fmac_f64_e32 v[192:193], v[194:195], v[208:209]
	v_div_scale_f64 v[194:195], s[18:19], v[192:193], v[192:193], 1.0
	v_rcp_f64_e32 v[210:211], v[194:195]
	s_nop 0
	v_fma_f64 v[212:213], -v[194:195], v[210:211], 1.0
	v_fmac_f64_e32 v[210:211], v[210:211], v[212:213]
	v_fma_f64 v[212:213], -v[194:195], v[210:211], 1.0
	v_fmac_f64_e32 v[210:211], v[210:211], v[212:213]
	v_div_scale_f64 v[212:213], vcc, 1.0, v[192:193], 1.0
	v_mul_f64 v[214:215], v[212:213], v[210:211]
	v_fma_f64 v[194:195], -v[194:195], v[214:215], v[212:213]
	s_nop 1
	v_div_fmas_f64 v[194:195], v[194:195], v[210:211], v[214:215]
	v_div_fixup_f64 v[192:193], v[194:195], v[192:193], 1.0
	v_mul_f64 v[194:195], v[208:209], -v[192:193]
.LBB94_933:
	s_or_b64 exec, exec, s[16:17]
.LBB94_934:
	s_or_b64 exec, exec, s[0:1]
	v_cmp_ne_u32_e32 vcc, v205, v202
	s_and_saveexec_b64 s[0:1], vcc
	s_xor_b64 s[0:1], exec, s[0:1]
	s_cbranch_execz .LBB94_940
; %bb.935:
	v_cmp_eq_u32_e32 vcc, 44, v205
	s_and_saveexec_b64 s[16:17], vcc
	s_cbranch_execz .LBB94_939
; %bb.936:
	v_cmp_ne_u32_e32 vcc, 44, v202
	s_xor_b64 s[18:19], s[14:15], -1
	s_and_b64 s[22:23], s[18:19], vcc
	s_and_saveexec_b64 s[18:19], s[22:23]
	s_cbranch_execz .LBB94_938
; %bb.937:
	v_ashrrev_i32_e32 v203, 31, v202
	v_lshl_add_u64 v[208:209], v[202:203], 2, v[200:201]
	global_load_dword v203, v[208:209], off
	global_load_dword v205, v[200:201], off offset:176
	s_waitcnt vmcnt(1)
	global_store_dword v[200:201], v203, off offset:176
	s_waitcnt vmcnt(1)
	global_store_dword v[208:209], v205, off
.LBB94_938:
	s_or_b64 exec, exec, s[18:19]
	v_mov_b32_e32 v205, v202
	v_mov_b32_e32 v207, v202
.LBB94_939:
	s_or_b64 exec, exec, s[16:17]
.LBB94_940:
	s_andn2_saveexec_b64 s[0:1], s[0:1]
	s_cbranch_execz .LBB94_942
; %bb.941:
	v_mov_b32_e32 v205, 44
	s_waitcnt vmcnt(2)
	ds_write2_b64 v204, v[4:5], v[6:7] offset0:90 offset1:91
	s_waitcnt vmcnt(1)
	ds_write2_b64 v204, v[0:1], v[2:3] offset0:92 offset1:93
	;; [unrolled: 2-line block ×3, first 2 shown]
.LBB94_942:
	s_or_b64 exec, exec, s[0:1]
	v_cmp_lt_i32_e32 vcc, 44, v205
	s_waitcnt lgkmcnt(0)
	s_barrier
	s_and_saveexec_b64 s[0:1], vcc
	s_cbranch_execz .LBB94_944
; %bb.943:
	ds_read2_b64 v[208:211], v204 offset0:90 offset1:91
	v_mul_f64 v[202:203], v[192:193], v[10:11]
	v_fmac_f64_e32 v[202:203], v[194:195], v[8:9]
	v_mul_f64 v[10:11], v[194:195], v[10:11]
	v_fma_f64 v[8:9], v[192:193], v[8:9], -v[10:11]
	ds_read2_b64 v[192:195], v204 offset0:92 offset1:93
	s_waitcnt lgkmcnt(1)
	v_mul_f64 v[10:11], v[210:211], v[202:203]
	v_fma_f64 v[10:11], v[208:209], v[8:9], -v[10:11]
	v_mul_f64 v[208:209], v[208:209], v[202:203]
	v_fmac_f64_e32 v[208:209], v[210:211], v[8:9]
	s_waitcnt vmcnt(2)
	v_add_f64 v[6:7], v[6:7], -v[208:209]
	ds_read2_b64 v[208:211], v204 offset0:94 offset1:95
	v_add_f64 v[4:5], v[4:5], -v[10:11]
	s_waitcnt lgkmcnt(1)
	v_mul_f64 v[10:11], v[194:195], v[202:203]
	v_fma_f64 v[10:11], v[192:193], v[8:9], -v[10:11]
	v_mul_f64 v[192:193], v[192:193], v[202:203]
	v_fmac_f64_e32 v[192:193], v[194:195], v[8:9]
	s_waitcnt vmcnt(1)
	v_add_f64 v[0:1], v[0:1], -v[10:11]
	v_add_f64 v[2:3], v[2:3], -v[192:193]
	s_waitcnt lgkmcnt(0)
	v_mul_f64 v[10:11], v[210:211], v[202:203]
	v_mul_f64 v[192:193], v[208:209], v[202:203]
	v_fma_f64 v[10:11], v[208:209], v[8:9], -v[10:11]
	v_fmac_f64_e32 v[192:193], v[210:211], v[8:9]
	s_waitcnt vmcnt(0)
	v_add_f64 v[188:189], v[188:189], -v[10:11]
	v_add_f64 v[190:191], v[190:191], -v[192:193]
	v_mov_b64_e32 v[10:11], v[202:203]
.LBB94_944:
	s_or_b64 exec, exec, s[0:1]
	v_lshl_add_u32 v192, v205, 4, v204
	s_barrier
	s_waitcnt vmcnt(2)
	ds_write2_b64 v192, v[4:5], v[6:7] offset1:1
	s_waitcnt lgkmcnt(0)
	s_barrier
	ds_read2_b64 v[192:195], v204 offset0:90 offset1:91
	s_cmp_lt_i32 s20, 47
	v_mov_b32_e32 v202, 45
	s_cbranch_scc1 .LBB94_947
; %bb.945:
	v_add_u32_e32 v203, 0x2e0, v204
	s_mov_b32 s16, 46
	v_mov_b32_e32 v202, 45
.LBB94_946:                             ; =>This Inner Loop Header: Depth=1
	ds_read2_b64 v[208:211], v203 offset1:1
	s_waitcnt lgkmcnt(1)
	v_xor_b32_e32 v213, 0x80000000, v193
	v_xor_b32_e32 v215, 0x80000000, v195
	v_cmp_gt_f64_e32 vcc, 0, v[194:195]
	v_cmp_gt_f64_e64 s[0:1], 0, v[192:193]
	v_mov_b32_e32 v212, v192
	v_mov_b32_e32 v214, v194
	v_cndmask_b32_e64 v213, v193, v213, s[0:1]
	v_cndmask_b32_e32 v215, v195, v215, vcc
	v_add_f64 v[212:213], v[212:213], v[214:215]
	s_waitcnt lgkmcnt(0)
	v_xor_b32_e32 v215, 0x80000000, v209
	v_xor_b32_e32 v217, 0x80000000, v211
	v_cmp_gt_f64_e32 vcc, 0, v[210:211]
	v_cmp_gt_f64_e64 s[0:1], 0, v[208:209]
	v_mov_b32_e32 v214, v208
	v_mov_b32_e32 v216, v210
	v_cndmask_b32_e64 v215, v209, v215, s[0:1]
	v_cndmask_b32_e32 v217, v211, v217, vcc
	v_add_f64 v[214:215], v[214:215], v[216:217]
	v_mov_b32_e32 v218, s16
	s_add_i32 s16, s16, 1
	v_cmp_lt_f64_e32 vcc, v[212:213], v[214:215]
	v_add_u32_e32 v203, 16, v203
	s_cmp_lg_u32 s20, s16
	v_cndmask_b32_e32 v193, v193, v209, vcc
	v_cndmask_b32_e32 v192, v192, v208, vcc
	;; [unrolled: 1-line block ×5, first 2 shown]
	s_cbranch_scc1 .LBB94_946
.LBB94_947:
	s_waitcnt lgkmcnt(0)
	v_cmp_eq_f64_e32 vcc, 0, v[192:193]
	v_cmp_eq_f64_e64 s[0:1], 0, v[194:195]
	s_and_b64 s[0:1], vcc, s[0:1]
	s_and_saveexec_b64 s[16:17], s[0:1]
	s_xor_b64 s[0:1], exec, s[16:17]
; %bb.948:
	v_cmp_ne_u32_e32 vcc, 0, v206
	s_nop 1
	v_cndmask_b32_e32 v206, 46, v206, vcc
; %bb.949:
	s_andn2_saveexec_b64 s[0:1], s[0:1]
	s_cbranch_execz .LBB94_955
; %bb.950:
	v_cmp_ngt_f64_e64 s[16:17], |v[192:193]|, |v[194:195]|
	s_and_saveexec_b64 s[18:19], s[16:17]
	s_xor_b64 s[16:17], exec, s[18:19]
	s_cbranch_execz .LBB94_952
; %bb.951:
	v_div_scale_f64 v[208:209], s[18:19], v[194:195], v[194:195], v[192:193]
	v_rcp_f64_e32 v[210:211], v[208:209]
	v_div_scale_f64 v[212:213], vcc, v[192:193], v[194:195], v[192:193]
	v_fma_f64 v[214:215], -v[208:209], v[210:211], 1.0
	v_fmac_f64_e32 v[210:211], v[210:211], v[214:215]
	v_fma_f64 v[214:215], -v[208:209], v[210:211], 1.0
	v_fmac_f64_e32 v[210:211], v[210:211], v[214:215]
	v_mul_f64 v[214:215], v[212:213], v[210:211]
	v_fma_f64 v[208:209], -v[208:209], v[214:215], v[212:213]
	v_div_fmas_f64 v[208:209], v[208:209], v[210:211], v[214:215]
	v_div_fixup_f64 v[208:209], v[208:209], v[194:195], v[192:193]
	v_fmac_f64_e32 v[194:195], v[192:193], v[208:209]
	v_div_scale_f64 v[192:193], s[18:19], v[194:195], v[194:195], 1.0
	v_rcp_f64_e32 v[210:211], v[192:193]
	s_nop 0
	v_fma_f64 v[212:213], -v[192:193], v[210:211], 1.0
	v_fmac_f64_e32 v[210:211], v[210:211], v[212:213]
	v_fma_f64 v[212:213], -v[192:193], v[210:211], 1.0
	v_fmac_f64_e32 v[210:211], v[210:211], v[212:213]
	v_div_scale_f64 v[212:213], vcc, 1.0, v[194:195], 1.0
	v_mul_f64 v[214:215], v[212:213], v[210:211]
	v_fma_f64 v[192:193], -v[192:193], v[214:215], v[212:213]
	s_nop 1
	v_div_fmas_f64 v[192:193], v[192:193], v[210:211], v[214:215]
	v_div_fixup_f64 v[194:195], v[192:193], v[194:195], 1.0
	v_mul_f64 v[192:193], v[208:209], v[194:195]
	v_xor_b32_e32 v195, 0x80000000, v195
.LBB94_952:
	s_andn2_saveexec_b64 s[16:17], s[16:17]
	s_cbranch_execz .LBB94_954
; %bb.953:
	v_div_scale_f64 v[208:209], s[18:19], v[192:193], v[192:193], v[194:195]
	v_rcp_f64_e32 v[210:211], v[208:209]
	v_div_scale_f64 v[212:213], vcc, v[194:195], v[192:193], v[194:195]
	v_fma_f64 v[214:215], -v[208:209], v[210:211], 1.0
	v_fmac_f64_e32 v[210:211], v[210:211], v[214:215]
	v_fma_f64 v[214:215], -v[208:209], v[210:211], 1.0
	v_fmac_f64_e32 v[210:211], v[210:211], v[214:215]
	v_mul_f64 v[214:215], v[212:213], v[210:211]
	v_fma_f64 v[208:209], -v[208:209], v[214:215], v[212:213]
	v_div_fmas_f64 v[208:209], v[208:209], v[210:211], v[214:215]
	v_div_fixup_f64 v[208:209], v[208:209], v[192:193], v[194:195]
	v_fmac_f64_e32 v[192:193], v[194:195], v[208:209]
	v_div_scale_f64 v[194:195], s[18:19], v[192:193], v[192:193], 1.0
	v_rcp_f64_e32 v[210:211], v[194:195]
	s_nop 0
	v_fma_f64 v[212:213], -v[194:195], v[210:211], 1.0
	v_fmac_f64_e32 v[210:211], v[210:211], v[212:213]
	v_fma_f64 v[212:213], -v[194:195], v[210:211], 1.0
	v_fmac_f64_e32 v[210:211], v[210:211], v[212:213]
	v_div_scale_f64 v[212:213], vcc, 1.0, v[192:193], 1.0
	v_mul_f64 v[214:215], v[212:213], v[210:211]
	v_fma_f64 v[194:195], -v[194:195], v[214:215], v[212:213]
	s_nop 1
	v_div_fmas_f64 v[194:195], v[194:195], v[210:211], v[214:215]
	v_div_fixup_f64 v[192:193], v[194:195], v[192:193], 1.0
	v_mul_f64 v[194:195], v[208:209], -v[192:193]
.LBB94_954:
	s_or_b64 exec, exec, s[16:17]
.LBB94_955:
	s_or_b64 exec, exec, s[0:1]
	v_cmp_ne_u32_e32 vcc, v205, v202
	s_and_saveexec_b64 s[0:1], vcc
	s_xor_b64 s[0:1], exec, s[0:1]
	s_cbranch_execz .LBB94_961
; %bb.956:
	v_cmp_eq_u32_e32 vcc, 45, v205
	s_and_saveexec_b64 s[16:17], vcc
	s_cbranch_execz .LBB94_960
; %bb.957:
	v_cmp_ne_u32_e32 vcc, 45, v202
	s_xor_b64 s[18:19], s[14:15], -1
	s_and_b64 s[22:23], s[18:19], vcc
	s_and_saveexec_b64 s[18:19], s[22:23]
	s_cbranch_execz .LBB94_959
; %bb.958:
	v_ashrrev_i32_e32 v203, 31, v202
	v_lshl_add_u64 v[208:209], v[202:203], 2, v[200:201]
	global_load_dword v203, v[208:209], off
	global_load_dword v205, v[200:201], off offset:180
	s_waitcnt vmcnt(1)
	global_store_dword v[200:201], v203, off offset:180
	s_waitcnt vmcnt(1)
	global_store_dword v[208:209], v205, off
.LBB94_959:
	s_or_b64 exec, exec, s[18:19]
	v_mov_b32_e32 v205, v202
	v_mov_b32_e32 v207, v202
.LBB94_960:
	s_or_b64 exec, exec, s[16:17]
.LBB94_961:
	s_andn2_saveexec_b64 s[0:1], s[0:1]
	s_cbranch_execz .LBB94_963
; %bb.962:
	v_mov_b32_e32 v205, 45
	s_waitcnt vmcnt(1)
	ds_write2_b64 v204, v[0:1], v[2:3] offset0:92 offset1:93
	s_waitcnt vmcnt(0)
	ds_write2_b64 v204, v[188:189], v[190:191] offset0:94 offset1:95
.LBB94_963:
	s_or_b64 exec, exec, s[0:1]
	v_cmp_lt_i32_e32 vcc, 45, v205
	s_waitcnt lgkmcnt(0)
	s_barrier
	s_and_saveexec_b64 s[0:1], vcc
	s_cbranch_execz .LBB94_965
; %bb.964:
	ds_read2_b64 v[208:211], v204 offset0:92 offset1:93
	v_mul_f64 v[202:203], v[192:193], v[6:7]
	v_mul_f64 v[6:7], v[194:195], v[6:7]
	v_fmac_f64_e32 v[202:203], v[194:195], v[4:5]
	v_fma_f64 v[4:5], v[192:193], v[4:5], -v[6:7]
	ds_read2_b64 v[192:195], v204 offset0:94 offset1:95
	s_waitcnt lgkmcnt(1)
	v_mul_f64 v[6:7], v[210:211], v[202:203]
	v_fma_f64 v[6:7], v[208:209], v[4:5], -v[6:7]
	s_waitcnt vmcnt(1)
	v_add_f64 v[0:1], v[0:1], -v[6:7]
	v_mul_f64 v[208:209], v[208:209], v[202:203]
	s_waitcnt lgkmcnt(0)
	v_mul_f64 v[6:7], v[194:195], v[202:203]
	v_fma_f64 v[6:7], v[192:193], v[4:5], -v[6:7]
	v_mul_f64 v[192:193], v[192:193], v[202:203]
	v_fmac_f64_e32 v[208:209], v[210:211], v[4:5]
	v_fmac_f64_e32 v[192:193], v[194:195], v[4:5]
	v_add_f64 v[2:3], v[2:3], -v[208:209]
	s_waitcnt vmcnt(0)
	v_add_f64 v[188:189], v[188:189], -v[6:7]
	v_add_f64 v[190:191], v[190:191], -v[192:193]
	v_mov_b64_e32 v[6:7], v[202:203]
.LBB94_965:
	s_or_b64 exec, exec, s[0:1]
	v_lshl_add_u32 v192, v205, 4, v204
	s_barrier
	s_waitcnt vmcnt(1)
	ds_write2_b64 v192, v[0:1], v[2:3] offset1:1
	s_waitcnt lgkmcnt(0)
	s_barrier
	ds_read2_b64 v[192:195], v204 offset0:92 offset1:93
	s_cmp_lt_i32 s20, 48
	v_mov_b32_e32 v202, 46
	s_cbranch_scc1 .LBB94_968
; %bb.966:
	v_add_u32_e32 v203, 0x2f0, v204
	s_mov_b32 s16, 47
	v_mov_b32_e32 v202, 46
.LBB94_967:                             ; =>This Inner Loop Header: Depth=1
	ds_read2_b64 v[208:211], v203 offset1:1
	s_waitcnt lgkmcnt(1)
	v_xor_b32_e32 v213, 0x80000000, v193
	v_xor_b32_e32 v215, 0x80000000, v195
	v_cmp_gt_f64_e32 vcc, 0, v[194:195]
	v_cmp_gt_f64_e64 s[0:1], 0, v[192:193]
	v_mov_b32_e32 v212, v192
	v_mov_b32_e32 v214, v194
	v_cndmask_b32_e64 v213, v193, v213, s[0:1]
	v_cndmask_b32_e32 v215, v195, v215, vcc
	v_add_f64 v[212:213], v[212:213], v[214:215]
	s_waitcnt lgkmcnt(0)
	v_xor_b32_e32 v215, 0x80000000, v209
	v_xor_b32_e32 v217, 0x80000000, v211
	v_cmp_gt_f64_e32 vcc, 0, v[210:211]
	v_cmp_gt_f64_e64 s[0:1], 0, v[208:209]
	v_mov_b32_e32 v214, v208
	v_mov_b32_e32 v216, v210
	v_cndmask_b32_e64 v215, v209, v215, s[0:1]
	v_cndmask_b32_e32 v217, v211, v217, vcc
	v_add_f64 v[214:215], v[214:215], v[216:217]
	v_mov_b32_e32 v218, s16
	s_add_i32 s16, s16, 1
	v_cmp_lt_f64_e32 vcc, v[212:213], v[214:215]
	v_add_u32_e32 v203, 16, v203
	s_cmp_lg_u32 s20, s16
	v_cndmask_b32_e32 v193, v193, v209, vcc
	v_cndmask_b32_e32 v192, v192, v208, vcc
	;; [unrolled: 1-line block ×5, first 2 shown]
	s_cbranch_scc1 .LBB94_967
.LBB94_968:
	s_waitcnt lgkmcnt(0)
	v_cmp_eq_f64_e32 vcc, 0, v[192:193]
	v_cmp_eq_f64_e64 s[0:1], 0, v[194:195]
	s_and_b64 s[0:1], vcc, s[0:1]
	s_and_saveexec_b64 s[16:17], s[0:1]
	s_xor_b64 s[0:1], exec, s[16:17]
; %bb.969:
	v_cmp_ne_u32_e32 vcc, 0, v206
	s_nop 1
	v_cndmask_b32_e32 v206, 47, v206, vcc
; %bb.970:
	s_andn2_saveexec_b64 s[0:1], s[0:1]
	s_cbranch_execz .LBB94_976
; %bb.971:
	v_cmp_ngt_f64_e64 s[16:17], |v[192:193]|, |v[194:195]|
	s_and_saveexec_b64 s[18:19], s[16:17]
	s_xor_b64 s[16:17], exec, s[18:19]
	s_cbranch_execz .LBB94_973
; %bb.972:
	v_div_scale_f64 v[208:209], s[18:19], v[194:195], v[194:195], v[192:193]
	v_rcp_f64_e32 v[210:211], v[208:209]
	v_div_scale_f64 v[212:213], vcc, v[192:193], v[194:195], v[192:193]
	v_fma_f64 v[214:215], -v[208:209], v[210:211], 1.0
	v_fmac_f64_e32 v[210:211], v[210:211], v[214:215]
	v_fma_f64 v[214:215], -v[208:209], v[210:211], 1.0
	v_fmac_f64_e32 v[210:211], v[210:211], v[214:215]
	v_mul_f64 v[214:215], v[212:213], v[210:211]
	v_fma_f64 v[208:209], -v[208:209], v[214:215], v[212:213]
	v_div_fmas_f64 v[208:209], v[208:209], v[210:211], v[214:215]
	v_div_fixup_f64 v[208:209], v[208:209], v[194:195], v[192:193]
	v_fmac_f64_e32 v[194:195], v[192:193], v[208:209]
	v_div_scale_f64 v[192:193], s[18:19], v[194:195], v[194:195], 1.0
	v_rcp_f64_e32 v[210:211], v[192:193]
	s_nop 0
	v_fma_f64 v[212:213], -v[192:193], v[210:211], 1.0
	v_fmac_f64_e32 v[210:211], v[210:211], v[212:213]
	v_fma_f64 v[212:213], -v[192:193], v[210:211], 1.0
	v_fmac_f64_e32 v[210:211], v[210:211], v[212:213]
	v_div_scale_f64 v[212:213], vcc, 1.0, v[194:195], 1.0
	v_mul_f64 v[214:215], v[212:213], v[210:211]
	v_fma_f64 v[192:193], -v[192:193], v[214:215], v[212:213]
	s_nop 1
	v_div_fmas_f64 v[192:193], v[192:193], v[210:211], v[214:215]
	v_div_fixup_f64 v[194:195], v[192:193], v[194:195], 1.0
	v_mul_f64 v[192:193], v[208:209], v[194:195]
	v_xor_b32_e32 v195, 0x80000000, v195
.LBB94_973:
	s_andn2_saveexec_b64 s[16:17], s[16:17]
	s_cbranch_execz .LBB94_975
; %bb.974:
	v_div_scale_f64 v[208:209], s[18:19], v[192:193], v[192:193], v[194:195]
	v_rcp_f64_e32 v[210:211], v[208:209]
	v_div_scale_f64 v[212:213], vcc, v[194:195], v[192:193], v[194:195]
	v_fma_f64 v[214:215], -v[208:209], v[210:211], 1.0
	v_fmac_f64_e32 v[210:211], v[210:211], v[214:215]
	v_fma_f64 v[214:215], -v[208:209], v[210:211], 1.0
	v_fmac_f64_e32 v[210:211], v[210:211], v[214:215]
	v_mul_f64 v[214:215], v[212:213], v[210:211]
	v_fma_f64 v[208:209], -v[208:209], v[214:215], v[212:213]
	v_div_fmas_f64 v[208:209], v[208:209], v[210:211], v[214:215]
	v_div_fixup_f64 v[208:209], v[208:209], v[192:193], v[194:195]
	v_fmac_f64_e32 v[192:193], v[194:195], v[208:209]
	v_div_scale_f64 v[194:195], s[18:19], v[192:193], v[192:193], 1.0
	v_rcp_f64_e32 v[210:211], v[194:195]
	s_nop 0
	v_fma_f64 v[212:213], -v[194:195], v[210:211], 1.0
	v_fmac_f64_e32 v[210:211], v[210:211], v[212:213]
	v_fma_f64 v[212:213], -v[194:195], v[210:211], 1.0
	v_fmac_f64_e32 v[210:211], v[210:211], v[212:213]
	v_div_scale_f64 v[212:213], vcc, 1.0, v[192:193], 1.0
	v_mul_f64 v[214:215], v[212:213], v[210:211]
	v_fma_f64 v[194:195], -v[194:195], v[214:215], v[212:213]
	s_nop 1
	v_div_fmas_f64 v[194:195], v[194:195], v[210:211], v[214:215]
	v_div_fixup_f64 v[192:193], v[194:195], v[192:193], 1.0
	v_mul_f64 v[194:195], v[208:209], -v[192:193]
.LBB94_975:
	s_or_b64 exec, exec, s[16:17]
.LBB94_976:
	s_or_b64 exec, exec, s[0:1]
	v_cmp_ne_u32_e32 vcc, v205, v202
	s_and_saveexec_b64 s[0:1], vcc
	s_xor_b64 s[0:1], exec, s[0:1]
	s_cbranch_execz .LBB94_982
; %bb.977:
	v_cmp_eq_u32_e32 vcc, 46, v205
	s_and_saveexec_b64 s[16:17], vcc
	s_cbranch_execz .LBB94_981
; %bb.978:
	v_cmp_ne_u32_e32 vcc, 46, v202
	s_xor_b64 s[18:19], s[14:15], -1
	s_and_b64 s[22:23], s[18:19], vcc
	s_and_saveexec_b64 s[18:19], s[22:23]
	s_cbranch_execz .LBB94_980
; %bb.979:
	v_ashrrev_i32_e32 v203, 31, v202
	v_lshl_add_u64 v[208:209], v[202:203], 2, v[200:201]
	global_load_dword v203, v[208:209], off
	global_load_dword v205, v[200:201], off offset:184
	s_waitcnt vmcnt(1)
	global_store_dword v[200:201], v203, off offset:184
	s_waitcnt vmcnt(1)
	global_store_dword v[208:209], v205, off
.LBB94_980:
	s_or_b64 exec, exec, s[18:19]
	v_mov_b32_e32 v205, v202
	v_mov_b32_e32 v207, v202
.LBB94_981:
	s_or_b64 exec, exec, s[16:17]
.LBB94_982:
	s_andn2_saveexec_b64 s[0:1], s[0:1]
	s_cbranch_execz .LBB94_984
; %bb.983:
	v_mov_b32_e32 v205, 46
	s_waitcnt vmcnt(0)
	ds_write2_b64 v204, v[188:189], v[190:191] offset0:94 offset1:95
.LBB94_984:
	s_or_b64 exec, exec, s[0:1]
	v_cmp_lt_i32_e32 vcc, 46, v205
	s_waitcnt lgkmcnt(0)
	s_barrier
	s_and_saveexec_b64 s[0:1], vcc
	s_cbranch_execz .LBB94_986
; %bb.985:
	ds_read2_b64 v[208:211], v204 offset0:94 offset1:95
	v_mul_f64 v[202:203], v[192:193], v[2:3]
	v_mul_f64 v[2:3], v[194:195], v[2:3]
	v_fmac_f64_e32 v[202:203], v[194:195], v[0:1]
	v_fma_f64 v[0:1], v[192:193], v[0:1], -v[2:3]
	s_waitcnt lgkmcnt(0)
	v_mul_f64 v[2:3], v[210:211], v[202:203]
	v_mul_f64 v[192:193], v[208:209], v[202:203]
	v_fma_f64 v[2:3], v[208:209], v[0:1], -v[2:3]
	v_fmac_f64_e32 v[192:193], v[210:211], v[0:1]
	s_waitcnt vmcnt(0)
	v_add_f64 v[188:189], v[188:189], -v[2:3]
	v_add_f64 v[190:191], v[190:191], -v[192:193]
	v_mov_b64_e32 v[2:3], v[202:203]
.LBB94_986:
	s_or_b64 exec, exec, s[0:1]
	v_lshl_add_u32 v192, v205, 4, v204
	s_barrier
	s_waitcnt vmcnt(0)
	ds_write2_b64 v192, v[188:189], v[190:191] offset1:1
	s_waitcnt lgkmcnt(0)
	s_barrier
	ds_read2_b64 v[192:195], v204 offset0:94 offset1:95
	s_cmp_lt_i32 s20, 49
	v_mov_b32_e32 v202, 47
	s_cbranch_scc1 .LBB94_989
; %bb.987:
	v_add_u32_e32 v203, 0x300, v204
	s_mov_b32 s16, 48
	v_mov_b32_e32 v202, 47
.LBB94_988:                             ; =>This Inner Loop Header: Depth=1
	ds_read2_b64 v[208:211], v203 offset1:1
	s_waitcnt lgkmcnt(1)
	v_xor_b32_e32 v204, 0x80000000, v193
	v_xor_b32_e32 v215, 0x80000000, v195
	v_cmp_gt_f64_e32 vcc, 0, v[194:195]
	v_cmp_gt_f64_e64 s[0:1], 0, v[192:193]
	v_mov_b32_e32 v212, v192
	v_mov_b32_e32 v214, v194
	v_cndmask_b32_e64 v213, v193, v204, s[0:1]
	v_cndmask_b32_e32 v215, v195, v215, vcc
	s_waitcnt lgkmcnt(0)
	v_xor_b32_e32 v204, 0x80000000, v209
	v_xor_b32_e32 v217, 0x80000000, v211
	v_cmp_gt_f64_e32 vcc, 0, v[210:211]
	v_cmp_gt_f64_e64 s[0:1], 0, v[208:209]
	v_add_f64 v[212:213], v[212:213], v[214:215]
	v_mov_b32_e32 v214, v208
	v_mov_b32_e32 v216, v210
	v_cndmask_b32_e64 v215, v209, v204, s[0:1]
	v_cndmask_b32_e32 v217, v211, v217, vcc
	v_add_f64 v[214:215], v[214:215], v[216:217]
	v_mov_b32_e32 v218, s16
	s_add_i32 s16, s16, 1
	v_cmp_lt_f64_e32 vcc, v[212:213], v[214:215]
	v_add_u32_e32 v203, 16, v203
	s_cmp_lg_u32 s20, s16
	v_cndmask_b32_e32 v193, v193, v209, vcc
	v_cndmask_b32_e32 v192, v192, v208, vcc
	;; [unrolled: 1-line block ×5, first 2 shown]
	s_cbranch_scc1 .LBB94_988
.LBB94_989:
	s_waitcnt lgkmcnt(0)
	v_cmp_eq_f64_e32 vcc, 0, v[192:193]
	v_cmp_eq_f64_e64 s[0:1], 0, v[194:195]
	s_and_b64 s[0:1], vcc, s[0:1]
	s_and_saveexec_b64 s[16:17], s[0:1]
	s_xor_b64 s[0:1], exec, s[16:17]
; %bb.990:
	v_cmp_ne_u32_e32 vcc, 0, v206
	s_nop 1
	v_cndmask_b32_e32 v206, 48, v206, vcc
; %bb.991:
	s_andn2_saveexec_b64 s[0:1], s[0:1]
	s_cbranch_execz .LBB94_997
; %bb.992:
	v_cmp_ngt_f64_e64 s[16:17], |v[192:193]|, |v[194:195]|
	s_and_saveexec_b64 s[18:19], s[16:17]
	s_xor_b64 s[16:17], exec, s[18:19]
	s_cbranch_execz .LBB94_994
; %bb.993:
	v_div_scale_f64 v[208:209], s[18:19], v[194:195], v[194:195], v[192:193]
	v_rcp_f64_e32 v[210:211], v[208:209]
	v_div_scale_f64 v[212:213], vcc, v[192:193], v[194:195], v[192:193]
	v_fma_f64 v[214:215], -v[208:209], v[210:211], 1.0
	v_fmac_f64_e32 v[210:211], v[210:211], v[214:215]
	v_fma_f64 v[214:215], -v[208:209], v[210:211], 1.0
	v_fmac_f64_e32 v[210:211], v[210:211], v[214:215]
	v_mul_f64 v[214:215], v[212:213], v[210:211]
	v_fma_f64 v[208:209], -v[208:209], v[214:215], v[212:213]
	v_div_fmas_f64 v[208:209], v[208:209], v[210:211], v[214:215]
	v_div_fixup_f64 v[208:209], v[208:209], v[194:195], v[192:193]
	v_fmac_f64_e32 v[194:195], v[192:193], v[208:209]
	v_div_scale_f64 v[192:193], s[18:19], v[194:195], v[194:195], 1.0
	v_rcp_f64_e32 v[210:211], v[192:193]
	s_nop 0
	v_fma_f64 v[212:213], -v[192:193], v[210:211], 1.0
	v_fmac_f64_e32 v[210:211], v[210:211], v[212:213]
	v_fma_f64 v[212:213], -v[192:193], v[210:211], 1.0
	v_fmac_f64_e32 v[210:211], v[210:211], v[212:213]
	v_div_scale_f64 v[212:213], vcc, 1.0, v[194:195], 1.0
	v_mul_f64 v[214:215], v[212:213], v[210:211]
	v_fma_f64 v[192:193], -v[192:193], v[214:215], v[212:213]
	s_nop 1
	v_div_fmas_f64 v[192:193], v[192:193], v[210:211], v[214:215]
	v_div_fixup_f64 v[194:195], v[192:193], v[194:195], 1.0
	v_mul_f64 v[192:193], v[208:209], v[194:195]
	v_xor_b32_e32 v195, 0x80000000, v195
.LBB94_994:
	s_andn2_saveexec_b64 s[16:17], s[16:17]
	s_cbranch_execz .LBB94_996
; %bb.995:
	v_div_scale_f64 v[208:209], s[18:19], v[192:193], v[192:193], v[194:195]
	v_rcp_f64_e32 v[210:211], v[208:209]
	v_div_scale_f64 v[212:213], vcc, v[194:195], v[192:193], v[194:195]
	v_fma_f64 v[214:215], -v[208:209], v[210:211], 1.0
	v_fmac_f64_e32 v[210:211], v[210:211], v[214:215]
	v_fma_f64 v[214:215], -v[208:209], v[210:211], 1.0
	v_fmac_f64_e32 v[210:211], v[210:211], v[214:215]
	v_mul_f64 v[214:215], v[212:213], v[210:211]
	v_fma_f64 v[208:209], -v[208:209], v[214:215], v[212:213]
	v_div_fmas_f64 v[208:209], v[208:209], v[210:211], v[214:215]
	v_div_fixup_f64 v[208:209], v[208:209], v[192:193], v[194:195]
	v_fmac_f64_e32 v[192:193], v[194:195], v[208:209]
	v_div_scale_f64 v[194:195], s[18:19], v[192:193], v[192:193], 1.0
	v_rcp_f64_e32 v[210:211], v[194:195]
	s_nop 0
	v_fma_f64 v[212:213], -v[194:195], v[210:211], 1.0
	v_fmac_f64_e32 v[210:211], v[210:211], v[212:213]
	v_fma_f64 v[212:213], -v[194:195], v[210:211], 1.0
	v_fmac_f64_e32 v[210:211], v[210:211], v[212:213]
	v_div_scale_f64 v[212:213], vcc, 1.0, v[192:193], 1.0
	v_mul_f64 v[214:215], v[212:213], v[210:211]
	v_fma_f64 v[194:195], -v[194:195], v[214:215], v[212:213]
	s_nop 1
	v_div_fmas_f64 v[194:195], v[194:195], v[210:211], v[214:215]
	v_div_fixup_f64 v[192:193], v[194:195], v[192:193], 1.0
	v_mul_f64 v[194:195], v[208:209], -v[192:193]
.LBB94_996:
	s_or_b64 exec, exec, s[16:17]
.LBB94_997:
	s_or_b64 exec, exec, s[0:1]
	v_cmp_ne_u32_e32 vcc, v205, v202
	v_mov_b32_e32 v204, 47
	s_and_saveexec_b64 s[0:1], vcc
	s_cbranch_execz .LBB94_1003
; %bb.998:
	v_cmp_eq_u32_e32 vcc, 47, v205
	s_and_saveexec_b64 s[16:17], vcc
	s_cbranch_execz .LBB94_1002
; %bb.999:
	v_cmp_ne_u32_e32 vcc, 47, v202
	s_xor_b64 s[14:15], s[14:15], -1
	s_and_b64 s[18:19], s[14:15], vcc
	s_and_saveexec_b64 s[14:15], s[18:19]
	s_cbranch_execz .LBB94_1001
; %bb.1000:
	v_ashrrev_i32_e32 v203, 31, v202
	v_lshl_add_u64 v[204:205], v[202:203], 2, v[200:201]
	global_load_dword v203, v[204:205], off
	global_load_dword v207, v[200:201], off offset:188
	s_waitcnt vmcnt(1)
	global_store_dword v[200:201], v203, off offset:188
	s_waitcnt vmcnt(1)
	global_store_dword v[204:205], v207, off
.LBB94_1001:
	s_or_b64 exec, exec, s[14:15]
	v_mov_b32_e32 v205, v202
	v_mov_b32_e32 v207, v202
.LBB94_1002:
	s_or_b64 exec, exec, s[16:17]
	v_mov_b32_e32 v204, v205
.LBB94_1003:
	s_or_b64 exec, exec, s[0:1]
	v_cmp_gt_i32_e32 vcc, 48, v204
	v_ashrrev_i32_e32 v205, 31, v204
	s_barrier
	s_barrier
	s_and_saveexec_b64 s[0:1], vcc
	s_cbranch_execz .LBB94_1005
; %bb.1004:
	v_mov_b32_e32 v200, s6
	v_mov_b32_e32 v201, s7
	v_mul_lo_u32 v208, s11, v198
	v_mul_lo_u32 v209, s10, v199
	v_mad_u64_u32 v[202:203], s[6:7], s10, v198, 0
	v_add3_u32 v203, v203, v209, v208
	v_lshl_add_u64 v[200:201], v[202:203], 2, v[200:201]
	v_lshl_add_u64 v[200:201], s[8:9], 2, v[200:201]
	;; [unrolled: 1-line block ×3, first 2 shown]
	v_add3_u32 v202, v207, s13, 1
	global_store_dword v[200:201], v202, off
.LBB94_1005:
	s_or_b64 exec, exec, s[0:1]
	v_cmp_eq_u32_e32 vcc, 0, v204
	s_and_saveexec_b64 s[6:7], vcc
	s_cbranch_execz .LBB94_1008
; %bb.1006:
	v_mov_b32_e32 v200, s4
	v_mov_b32_e32 v201, s5
	v_lshl_add_u64 v[198:199], v[198:199], 2, v[200:201]
	global_load_dword v200, v[198:199], off
	v_cmp_ne_u32_e64 s[0:1], 0, v206
	s_waitcnt vmcnt(0)
	v_cmp_eq_u32_e32 vcc, 0, v200
	s_and_b64 s[0:1], vcc, s[0:1]
	s_and_b64 exec, exec, s[0:1]
	s_cbranch_execz .LBB94_1008
; %bb.1007:
	v_add_u32_e32 v200, s13, v206
	global_store_dword v[198:199], v200, off
.LBB94_1008:
	s_or_b64 exec, exec, s[6:7]
	v_mul_f64 v[198:199], v[194:195], v[190:191]
	v_fma_f64 v[198:199], v[192:193], v[188:189], -v[198:199]
	v_mul_f64 v[192:193], v[192:193], v[190:191]
	v_fmac_f64_e32 v[192:193], v[194:195], v[188:189]
	v_cmp_lt_i32_e32 vcc, 47, v204
	s_nop 1
	v_cndmask_b32_e32 v191, v191, v193, vcc
	v_cndmask_b32_e32 v190, v190, v192, vcc
	v_lshl_add_u64 v[192:193], v[204:205], 4, v[196:197]
	global_store_dwordx4 v[192:193], v[128:131], off
	v_cndmask_b32_e32 v189, v189, v199, vcc
	v_cndmask_b32_e32 v188, v188, v198, vcc
	v_lshl_add_u64 v[128:129], s[2:3], 4, v[192:193]
	global_store_dwordx4 v[128:129], v[120:123], off
	s_nop 1
	v_add_u32_e32 v120, s12, v204
	v_ashrrev_i32_e32 v121, 31, v120
	v_lshl_add_u64 v[122:123], v[120:121], 4, v[196:197]
	v_add_u32_e32 v120, s2, v120
	v_ashrrev_i32_e32 v121, 31, v120
	global_store_dwordx4 v[122:123], v[184:187], off
	v_lshl_add_u64 v[122:123], v[120:121], 4, v[196:197]
	v_add_u32_e32 v120, s2, v120
	v_ashrrev_i32_e32 v121, 31, v120
	global_store_dwordx4 v[122:123], v[180:183], off
	;; [unrolled: 4-line block ×15, first 2 shown]
	v_lshl_add_u64 v[122:123], v[120:121], 4, v[196:197]
	global_store_dwordx4 v[122:123], v[116:119], off
	s_nop 1
	v_add_u32_e32 v116, s2, v120
	v_ashrrev_i32_e32 v117, 31, v116
	v_lshl_add_u64 v[118:119], v[116:117], 4, v[196:197]
	global_store_dwordx4 v[118:119], v[112:115], off
	s_nop 1
	v_add_u32_e32 v112, s2, v116
	v_ashrrev_i32_e32 v113, 31, v112
	v_lshl_add_u64 v[114:115], v[112:113], 4, v[196:197]
	global_store_dwordx4 v[114:115], v[108:111], off
	s_nop 1
	v_add_u32_e32 v108, s2, v112
	v_ashrrev_i32_e32 v109, 31, v108
	v_lshl_add_u64 v[110:111], v[108:109], 4, v[196:197]
	global_store_dwordx4 v[110:111], v[104:107], off
	s_nop 1
	v_add_u32_e32 v104, s2, v108
	v_ashrrev_i32_e32 v105, 31, v104
	v_lshl_add_u64 v[106:107], v[104:105], 4, v[196:197]
	global_store_dwordx4 v[106:107], v[100:103], off
	s_nop 1
	v_add_u32_e32 v100, s2, v104
	v_ashrrev_i32_e32 v101, 31, v100
	v_lshl_add_u64 v[102:103], v[100:101], 4, v[196:197]
	global_store_dwordx4 v[102:103], v[96:99], off
	s_nop 1
	v_add_u32_e32 v96, s2, v100
	v_ashrrev_i32_e32 v97, 31, v96
	v_lshl_add_u64 v[98:99], v[96:97], 4, v[196:197]
	global_store_dwordx4 v[98:99], v[92:95], off
	s_nop 1
	v_add_u32_e32 v92, s2, v96
	v_ashrrev_i32_e32 v93, 31, v92
	v_lshl_add_u64 v[94:95], v[92:93], 4, v[196:197]
	global_store_dwordx4 v[94:95], v[88:91], off
	s_nop 1
	v_add_u32_e32 v88, s2, v92
	v_ashrrev_i32_e32 v89, 31, v88
	v_lshl_add_u64 v[90:91], v[88:89], 4, v[196:197]
	global_store_dwordx4 v[90:91], v[84:87], off
	s_nop 1
	v_add_u32_e32 v84, s2, v88
	v_ashrrev_i32_e32 v85, 31, v84
	v_lshl_add_u64 v[86:87], v[84:85], 4, v[196:197]
	global_store_dwordx4 v[86:87], v[80:83], off
	s_nop 1
	v_add_u32_e32 v80, s2, v84
	v_ashrrev_i32_e32 v81, 31, v80
	v_lshl_add_u64 v[82:83], v[80:81], 4, v[196:197]
	global_store_dwordx4 v[82:83], v[76:79], off
	s_nop 1
	v_add_u32_e32 v76, s2, v80
	v_ashrrev_i32_e32 v77, 31, v76
	v_lshl_add_u64 v[78:79], v[76:77], 4, v[196:197]
	global_store_dwordx4 v[78:79], v[72:75], off
	s_nop 1
	v_add_u32_e32 v72, s2, v76
	v_ashrrev_i32_e32 v73, 31, v72
	v_lshl_add_u64 v[74:75], v[72:73], 4, v[196:197]
	global_store_dwordx4 v[74:75], v[68:71], off
	s_nop 1
	v_add_u32_e32 v68, s2, v72
	v_ashrrev_i32_e32 v69, 31, v68
	v_lshl_add_u64 v[70:71], v[68:69], 4, v[196:197]
	global_store_dwordx4 v[70:71], v[64:67], off
	s_nop 1
	v_add_u32_e32 v64, s2, v68
	v_ashrrev_i32_e32 v65, 31, v64
	v_lshl_add_u64 v[66:67], v[64:65], 4, v[196:197]
	global_store_dwordx4 v[66:67], v[60:63], off
	s_nop 1
	v_add_u32_e32 v60, s2, v64
	v_ashrrev_i32_e32 v61, 31, v60
	v_lshl_add_u64 v[62:63], v[60:61], 4, v[196:197]
	global_store_dwordx4 v[62:63], v[56:59], off
	s_nop 1
	v_add_u32_e32 v56, s2, v60
	v_ashrrev_i32_e32 v57, 31, v56
	v_lshl_add_u64 v[58:59], v[56:57], 4, v[196:197]
	global_store_dwordx4 v[58:59], v[52:55], off
	s_nop 1
	v_add_u32_e32 v52, s2, v56
	v_ashrrev_i32_e32 v53, 31, v52
	v_lshl_add_u64 v[54:55], v[52:53], 4, v[196:197]
	global_store_dwordx4 v[54:55], v[48:51], off
	s_nop 1
	v_add_u32_e32 v48, s2, v52
	v_ashrrev_i32_e32 v49, 31, v48
	v_lshl_add_u64 v[50:51], v[48:49], 4, v[196:197]
	global_store_dwordx4 v[50:51], v[44:47], off
	s_nop 1
	v_add_u32_e32 v44, s2, v48
	v_ashrrev_i32_e32 v45, 31, v44
	v_lshl_add_u64 v[46:47], v[44:45], 4, v[196:197]
	global_store_dwordx4 v[46:47], v[40:43], off
	s_nop 1
	v_add_u32_e32 v40, s2, v44
	v_ashrrev_i32_e32 v41, 31, v40
	v_lshl_add_u64 v[42:43], v[40:41], 4, v[196:197]
	global_store_dwordx4 v[42:43], v[36:39], off
	s_nop 1
	v_add_u32_e32 v36, s2, v40
	v_ashrrev_i32_e32 v37, 31, v36
	v_lshl_add_u64 v[38:39], v[36:37], 4, v[196:197]
	global_store_dwordx4 v[38:39], v[32:35], off
	s_nop 1
	v_add_u32_e32 v32, s2, v36
	v_ashrrev_i32_e32 v33, 31, v32
	v_lshl_add_u64 v[34:35], v[32:33], 4, v[196:197]
	global_store_dwordx4 v[34:35], v[28:31], off
	s_nop 1
	v_add_u32_e32 v28, s2, v32
	v_ashrrev_i32_e32 v29, 31, v28
	v_lshl_add_u64 v[30:31], v[28:29], 4, v[196:197]
	global_store_dwordx4 v[30:31], v[24:27], off
	s_nop 1
	v_add_u32_e32 v24, s2, v28
	v_ashrrev_i32_e32 v25, 31, v24
	v_lshl_add_u64 v[26:27], v[24:25], 4, v[196:197]
	global_store_dwordx4 v[26:27], v[20:23], off
	s_nop 1
	v_add_u32_e32 v20, s2, v24
	v_ashrrev_i32_e32 v21, 31, v20
	v_lshl_add_u64 v[22:23], v[20:21], 4, v[196:197]
	global_store_dwordx4 v[22:23], v[16:19], off
	s_nop 1
	v_add_u32_e32 v16, s2, v20
	v_ashrrev_i32_e32 v17, 31, v16
	v_lshl_add_u64 v[18:19], v[16:17], 4, v[196:197]
	global_store_dwordx4 v[18:19], v[12:15], off
	s_nop 1
	v_add_u32_e32 v12, s2, v16
	v_ashrrev_i32_e32 v13, 31, v12
	v_lshl_add_u64 v[14:15], v[12:13], 4, v[196:197]
	global_store_dwordx4 v[14:15], v[8:11], off
	s_nop 1
	v_add_u32_e32 v8, s2, v12
	v_ashrrev_i32_e32 v9, 31, v8
	v_lshl_add_u64 v[10:11], v[8:9], 4, v[196:197]
	global_store_dwordx4 v[10:11], v[4:7], off
	s_nop 1
	v_add_u32_e32 v4, s2, v8
	v_ashrrev_i32_e32 v5, 31, v4
	v_lshl_add_u64 v[6:7], v[4:5], 4, v[196:197]
	global_store_dwordx4 v[6:7], v[0:3], off
	s_nop 1
	v_add_u32_e32 v0, s2, v4
	v_ashrrev_i32_e32 v1, 31, v0
	v_lshl_add_u64 v[0:1], v[0:1], 4, v[196:197]
	global_store_dwordx4 v[0:1], v[188:191], off
.LBB94_1009:
	s_endpgm
	.section	.rodata,"a",@progbits
	.p2align	6, 0x0
	.amdhsa_kernel _ZN9rocsolver6v33100L18getf2_small_kernelILi48E19rocblas_complex_numIdEiiPS3_EEvT1_T3_lS5_lPS5_llPT2_S5_S5_S7_l
		.amdhsa_group_segment_fixed_size 0
		.amdhsa_private_segment_fixed_size 0
		.amdhsa_kernarg_size 352
		.amdhsa_user_sgpr_count 2
		.amdhsa_user_sgpr_dispatch_ptr 0
		.amdhsa_user_sgpr_queue_ptr 0
		.amdhsa_user_sgpr_kernarg_segment_ptr 1
		.amdhsa_user_sgpr_dispatch_id 0
		.amdhsa_user_sgpr_kernarg_preload_length 0
		.amdhsa_user_sgpr_kernarg_preload_offset 0
		.amdhsa_user_sgpr_private_segment_size 0
		.amdhsa_uses_dynamic_stack 0
		.amdhsa_enable_private_segment 0
		.amdhsa_system_sgpr_workgroup_id_x 1
		.amdhsa_system_sgpr_workgroup_id_y 1
		.amdhsa_system_sgpr_workgroup_id_z 0
		.amdhsa_system_sgpr_workgroup_info 0
		.amdhsa_system_vgpr_workitem_id 1
		.amdhsa_next_free_vgpr 232
		.amdhsa_next_free_sgpr 24
		.amdhsa_accum_offset 232
		.amdhsa_reserve_vcc 1
		.amdhsa_float_round_mode_32 0
		.amdhsa_float_round_mode_16_64 0
		.amdhsa_float_denorm_mode_32 3
		.amdhsa_float_denorm_mode_16_64 3
		.amdhsa_dx10_clamp 1
		.amdhsa_ieee_mode 1
		.amdhsa_fp16_overflow 0
		.amdhsa_tg_split 0
		.amdhsa_exception_fp_ieee_invalid_op 0
		.amdhsa_exception_fp_denorm_src 0
		.amdhsa_exception_fp_ieee_div_zero 0
		.amdhsa_exception_fp_ieee_overflow 0
		.amdhsa_exception_fp_ieee_underflow 0
		.amdhsa_exception_fp_ieee_inexact 0
		.amdhsa_exception_int_div_zero 0
	.end_amdhsa_kernel
	.section	.text._ZN9rocsolver6v33100L18getf2_small_kernelILi48E19rocblas_complex_numIdEiiPS3_EEvT1_T3_lS5_lPS5_llPT2_S5_S5_S7_l,"axG",@progbits,_ZN9rocsolver6v33100L18getf2_small_kernelILi48E19rocblas_complex_numIdEiiPS3_EEvT1_T3_lS5_lPS5_llPT2_S5_S5_S7_l,comdat
.Lfunc_end94:
	.size	_ZN9rocsolver6v33100L18getf2_small_kernelILi48E19rocblas_complex_numIdEiiPS3_EEvT1_T3_lS5_lPS5_llPT2_S5_S5_S7_l, .Lfunc_end94-_ZN9rocsolver6v33100L18getf2_small_kernelILi48E19rocblas_complex_numIdEiiPS3_EEvT1_T3_lS5_lPS5_llPT2_S5_S5_S7_l
                                        ; -- End function
	.set _ZN9rocsolver6v33100L18getf2_small_kernelILi48E19rocblas_complex_numIdEiiPS3_EEvT1_T3_lS5_lPS5_llPT2_S5_S5_S7_l.num_vgpr, 232
	.set _ZN9rocsolver6v33100L18getf2_small_kernelILi48E19rocblas_complex_numIdEiiPS3_EEvT1_T3_lS5_lPS5_llPT2_S5_S5_S7_l.num_agpr, 0
	.set _ZN9rocsolver6v33100L18getf2_small_kernelILi48E19rocblas_complex_numIdEiiPS3_EEvT1_T3_lS5_lPS5_llPT2_S5_S5_S7_l.numbered_sgpr, 24
	.set _ZN9rocsolver6v33100L18getf2_small_kernelILi48E19rocblas_complex_numIdEiiPS3_EEvT1_T3_lS5_lPS5_llPT2_S5_S5_S7_l.num_named_barrier, 0
	.set _ZN9rocsolver6v33100L18getf2_small_kernelILi48E19rocblas_complex_numIdEiiPS3_EEvT1_T3_lS5_lPS5_llPT2_S5_S5_S7_l.private_seg_size, 0
	.set _ZN9rocsolver6v33100L18getf2_small_kernelILi48E19rocblas_complex_numIdEiiPS3_EEvT1_T3_lS5_lPS5_llPT2_S5_S5_S7_l.uses_vcc, 1
	.set _ZN9rocsolver6v33100L18getf2_small_kernelILi48E19rocblas_complex_numIdEiiPS3_EEvT1_T3_lS5_lPS5_llPT2_S5_S5_S7_l.uses_flat_scratch, 0
	.set _ZN9rocsolver6v33100L18getf2_small_kernelILi48E19rocblas_complex_numIdEiiPS3_EEvT1_T3_lS5_lPS5_llPT2_S5_S5_S7_l.has_dyn_sized_stack, 0
	.set _ZN9rocsolver6v33100L18getf2_small_kernelILi48E19rocblas_complex_numIdEiiPS3_EEvT1_T3_lS5_lPS5_llPT2_S5_S5_S7_l.has_recursion, 0
	.set _ZN9rocsolver6v33100L18getf2_small_kernelILi48E19rocblas_complex_numIdEiiPS3_EEvT1_T3_lS5_lPS5_llPT2_S5_S5_S7_l.has_indirect_call, 0
	.section	.AMDGPU.csdata,"",@progbits
; Kernel info:
; codeLenInByte = 125524
; TotalNumSgprs: 30
; NumVgprs: 232
; NumAgprs: 0
; TotalNumVgprs: 232
; ScratchSize: 0
; MemoryBound: 0
; FloatMode: 240
; IeeeMode: 1
; LDSByteSize: 0 bytes/workgroup (compile time only)
; SGPRBlocks: 3
; VGPRBlocks: 28
; NumSGPRsForWavesPerEU: 30
; NumVGPRsForWavesPerEU: 232
; AccumOffset: 232
; Occupancy: 2
; WaveLimiterHint : 0
; COMPUTE_PGM_RSRC2:SCRATCH_EN: 0
; COMPUTE_PGM_RSRC2:USER_SGPR: 2
; COMPUTE_PGM_RSRC2:TRAP_HANDLER: 0
; COMPUTE_PGM_RSRC2:TGID_X_EN: 1
; COMPUTE_PGM_RSRC2:TGID_Y_EN: 1
; COMPUTE_PGM_RSRC2:TGID_Z_EN: 0
; COMPUTE_PGM_RSRC2:TIDIG_COMP_CNT: 1
; COMPUTE_PGM_RSRC3_GFX90A:ACCUM_OFFSET: 57
; COMPUTE_PGM_RSRC3_GFX90A:TG_SPLIT: 0
	.section	.text._ZN9rocsolver6v33100L23getf2_npvt_small_kernelILi48E19rocblas_complex_numIdEiiPS3_EEvT1_T3_lS5_lPT2_S5_S5_,"axG",@progbits,_ZN9rocsolver6v33100L23getf2_npvt_small_kernelILi48E19rocblas_complex_numIdEiiPS3_EEvT1_T3_lS5_lPT2_S5_S5_,comdat
	.globl	_ZN9rocsolver6v33100L23getf2_npvt_small_kernelILi48E19rocblas_complex_numIdEiiPS3_EEvT1_T3_lS5_lPT2_S5_S5_ ; -- Begin function _ZN9rocsolver6v33100L23getf2_npvt_small_kernelILi48E19rocblas_complex_numIdEiiPS3_EEvT1_T3_lS5_lPT2_S5_S5_
	.p2align	8
	.type	_ZN9rocsolver6v33100L23getf2_npvt_small_kernelILi48E19rocblas_complex_numIdEiiPS3_EEvT1_T3_lS5_lPT2_S5_S5_,@function
_ZN9rocsolver6v33100L23getf2_npvt_small_kernelILi48E19rocblas_complex_numIdEiiPS3_EEvT1_T3_lS5_lPT2_S5_S5_: ; @_ZN9rocsolver6v33100L23getf2_npvt_small_kernelILi48E19rocblas_complex_numIdEiiPS3_EEvT1_T3_lS5_lPT2_S5_S5_
; %bb.0:
	s_load_dword s2, s[0:1], 0x44
	s_load_dwordx2 s[8:9], s[0:1], 0x30
	v_bfe_u32 v2, v0, 10, 10
	s_waitcnt lgkmcnt(0)
	s_lshr_b32 s2, s2, 16
	s_mul_i32 s3, s3, s2
	v_add_u32_e32 v4, s3, v2
	v_cmp_gt_i32_e32 vcc, s8, v4
	s_and_saveexec_b64 s[4:5], vcc
	s_cbranch_execz .LBB95_435
; %bb.1:
	s_load_dwordx4 s[12:15], s[0:1], 0x8
	s_load_dword s10, s[0:1], 0x18
	s_load_dwordx4 s[4:7], s[0:1], 0x20
	v_ashrrev_i32_e32 v5, 31, v4
	scratch_store_dwordx2 off, v[4:5], off offset:928 ; 8-byte Folded Spill
	v_and_b32_e32 v184, 0x3ff, v0
	s_waitcnt lgkmcnt(0)
	v_mov_b32_e32 v0, s12
	v_mul_lo_u32 v3, s5, v4
	v_mul_lo_u32 v6, s4, v5
	v_mad_u64_u32 v[4:5], s[0:1], s4, v4, 0
	v_mov_b32_e32 v1, s13
	v_add3_u32 v5, v5, v6, v3
	v_lshl_add_u64 v[0:1], v[4:5], 4, v[0:1]
	v_lshl_add_u64 v[0:1], s[14:15], 4, v[0:1]
	v_lshlrev_b32_e32 v4, 4, v184
	v_mov_b32_e32 v5, 0
	s_add_i32 s0, s10, s10
	v_lshl_add_u64 v[6:7], v[0:1], 0, v[4:5]
	v_add_u32_e32 v4, s0, v184
	v_ashrrev_i32_e32 v5, 31, v4
	v_lshl_add_u64 v[8:9], v[4:5], 4, v[0:1]
	v_add_u32_e32 v4, s10, v4
	v_ashrrev_i32_e32 v5, 31, v4
	;; [unrolled: 3-line block ×45, first 2 shown]
	v_lshl_add_u64 v[218:219], v[4:5], 4, v[0:1]
	v_add_u32_e32 v4, s10, v4
	s_mulk_i32 s2, 0x300
	v_ashrrev_i32_e32 v5, 31, v4
	s_movk_i32 s0, 0x300
	s_add_i32 s1, s2, 0
	v_lshl_add_u64 v[220:221], v[4:5], 4, v[0:1]
	v_mad_u32_u24 v186, v2, s0, 0
	v_lshl_add_u32 v185, v2, 4, s1
	global_load_dwordx4 v[2:5], v[6:7], off
	s_ashr_i32 s11, s10, 31
	v_lshl_add_u64 v[0:1], s[10:11], 4, v[6:7]
	scratch_store_dwordx2 off, v[6:7], off offset:16 ; 8-byte Folded Spill
	v_cmp_ne_u32_e64 s[2:3], 0, v184
	v_cmp_eq_u32_e64 s[0:1], 0, v184
	s_waitcnt vmcnt(1)
	scratch_store_dwordx4 off, v[2:5], off  ; 16-byte Folded Spill
	scratch_store_dwordx2 off, v[0:1], off offset:392 ; 8-byte Folded Spill
	global_load_dwordx4 v[180:183], v[0:1], off
	global_load_dwordx4 v[176:179], v[8:9], off
	;; [unrolled: 1-line block ×31, first 2 shown]
	s_nop 0
	scratch_store_dwordx2 off, v[8:9], off offset:24 ; 8-byte Folded Spill
	scratch_store_dwordx2 off, v[10:11], off offset:32 ; 8-byte Folded Spill
	;; [unrolled: 1-line block ×29, first 2 shown]
	global_load_dwordx4 v[64:67], v[64:65], off
	s_nop 0
	scratch_store_dwordx2 off, v[188:189], off offset:256 ; 8-byte Folded Spill
	global_load_dwordx4 v[60:63], v[188:189], off
	global_load_dwordx4 v[56:59], v[190:191], off
	;; [unrolled: 1-line block ×14, first 2 shown]
	s_nop 0
	scratch_store_dwordx2 off, v[190:191], off offset:264 ; 8-byte Folded Spill
	global_load_dwordx4 v[188:191], v[220:221], off
	s_nop 0
	scratch_store_dwordx2 off, v[192:193], off offset:272 ; 8-byte Folded Spill
	scratch_store_dwordx2 off, v[194:195], off offset:280 ; 8-byte Folded Spill
	scratch_store_dwordx2 off, v[196:197], off offset:288 ; 8-byte Folded Spill
	scratch_store_dwordx2 off, v[198:199], off offset:296 ; 8-byte Folded Spill
	scratch_store_dwordx2 off, v[200:201], off offset:304 ; 8-byte Folded Spill
	scratch_store_dwordx2 off, v[202:203], off offset:312 ; 8-byte Folded Spill
	scratch_store_dwordx2 off, v[204:205], off offset:320 ; 8-byte Folded Spill
	scratch_store_dwordx2 off, v[206:207], off offset:328 ; 8-byte Folded Spill
	scratch_store_dwordx2 off, v[208:209], off offset:336 ; 8-byte Folded Spill
	scratch_store_dwordx2 off, v[210:211], off offset:344 ; 8-byte Folded Spill
	scratch_store_dwordx2 off, v[212:213], off offset:352 ; 8-byte Folded Spill
	scratch_store_dwordx2 off, v[214:215], off offset:360 ; 8-byte Folded Spill
	scratch_store_dwordx2 off, v[216:217], off offset:368 ; 8-byte Folded Spill
	scratch_store_dwordx2 off, v[218:219], off offset:376 ; 8-byte Folded Spill
	scratch_store_dwordx2 off, v[220:221], off offset:384 ; 8-byte Folded Spill
	s_and_saveexec_b64 s[10:11], s[0:1]
	s_cbranch_execz .LBB95_8
; %bb.2:
	scratch_load_dwordx4 v[192:195], off, off ; 16-byte Folded Reload
	s_waitcnt vmcnt(0)
	ds_write2_b64 v185, v[192:193], v[194:195] offset1:1
	ds_write2_b64 v186, v[180:181], v[182:183] offset0:2 offset1:3
	ds_write2_b64 v186, v[176:177], v[178:179] offset0:4 offset1:5
	;; [unrolled: 1-line block ×47, first 2 shown]
	ds_read2_b64 v[192:195], v185 offset1:1
	s_waitcnt lgkmcnt(0)
	v_cmp_neq_f64_e32 vcc, 0, v[192:193]
	v_cmp_neq_f64_e64 s[4:5], 0, v[194:195]
	s_or_b64 s[4:5], vcc, s[4:5]
	s_and_b64 exec, exec, s[4:5]
	s_cbranch_execz .LBB95_8
; %bb.3:
	v_cmp_ngt_f64_e64 s[4:5], |v[192:193]|, |v[194:195]|
                                        ; implicit-def: $vgpr196_vgpr197
	s_and_saveexec_b64 s[12:13], s[4:5]
	s_xor_b64 s[4:5], exec, s[12:13]
                                        ; implicit-def: $vgpr198_vgpr199
	s_cbranch_execz .LBB95_5
; %bb.4:
	v_div_scale_f64 v[196:197], s[12:13], v[194:195], v[194:195], v[192:193]
	v_rcp_f64_e32 v[198:199], v[196:197]
	v_div_scale_f64 v[200:201], vcc, v[192:193], v[194:195], v[192:193]
	v_fma_f64 v[202:203], -v[196:197], v[198:199], 1.0
	v_fmac_f64_e32 v[198:199], v[198:199], v[202:203]
	v_fma_f64 v[202:203], -v[196:197], v[198:199], 1.0
	v_fmac_f64_e32 v[198:199], v[198:199], v[202:203]
	v_mul_f64 v[202:203], v[200:201], v[198:199]
	v_fma_f64 v[196:197], -v[196:197], v[202:203], v[200:201]
	v_div_fmas_f64 v[196:197], v[196:197], v[198:199], v[202:203]
	v_div_fixup_f64 v[196:197], v[196:197], v[194:195], v[192:193]
	v_fmac_f64_e32 v[194:195], v[192:193], v[196:197]
	v_div_scale_f64 v[192:193], s[12:13], v[194:195], v[194:195], 1.0
	v_rcp_f64_e32 v[198:199], v[192:193]
	s_nop 0
	v_fma_f64 v[200:201], -v[192:193], v[198:199], 1.0
	v_fmac_f64_e32 v[198:199], v[198:199], v[200:201]
	v_fma_f64 v[200:201], -v[192:193], v[198:199], 1.0
	v_fmac_f64_e32 v[198:199], v[198:199], v[200:201]
	v_div_scale_f64 v[200:201], vcc, 1.0, v[194:195], 1.0
	v_mul_f64 v[202:203], v[200:201], v[198:199]
	v_fma_f64 v[192:193], -v[192:193], v[202:203], v[200:201]
	s_nop 1
	v_div_fmas_f64 v[192:193], v[192:193], v[198:199], v[202:203]
	v_div_fixup_f64 v[198:199], v[192:193], v[194:195], 1.0
	v_mul_f64 v[196:197], v[196:197], v[198:199]
	v_xor_b32_e32 v199, 0x80000000, v199
                                        ; implicit-def: $vgpr192_vgpr193
.LBB95_5:
	s_andn2_saveexec_b64 s[4:5], s[4:5]
	s_cbranch_execz .LBB95_7
; %bb.6:
	v_div_scale_f64 v[196:197], s[12:13], v[192:193], v[192:193], v[194:195]
	v_rcp_f64_e32 v[198:199], v[196:197]
	v_div_scale_f64 v[200:201], vcc, v[194:195], v[192:193], v[194:195]
	v_fma_f64 v[202:203], -v[196:197], v[198:199], 1.0
	v_fmac_f64_e32 v[198:199], v[198:199], v[202:203]
	v_fma_f64 v[202:203], -v[196:197], v[198:199], 1.0
	v_fmac_f64_e32 v[198:199], v[198:199], v[202:203]
	v_mul_f64 v[202:203], v[200:201], v[198:199]
	v_fma_f64 v[196:197], -v[196:197], v[202:203], v[200:201]
	v_div_fmas_f64 v[196:197], v[196:197], v[198:199], v[202:203]
	v_div_fixup_f64 v[198:199], v[196:197], v[192:193], v[194:195]
	v_fmac_f64_e32 v[192:193], v[194:195], v[198:199]
	v_div_scale_f64 v[194:195], s[12:13], v[192:193], v[192:193], 1.0
	v_rcp_f64_e32 v[196:197], v[194:195]
	s_nop 0
	v_fma_f64 v[200:201], -v[194:195], v[196:197], 1.0
	v_fmac_f64_e32 v[196:197], v[196:197], v[200:201]
	v_fma_f64 v[200:201], -v[194:195], v[196:197], 1.0
	v_fmac_f64_e32 v[196:197], v[196:197], v[200:201]
	v_div_scale_f64 v[200:201], vcc, 1.0, v[192:193], 1.0
	v_mul_f64 v[202:203], v[200:201], v[196:197]
	v_fma_f64 v[194:195], -v[194:195], v[202:203], v[200:201]
	s_nop 1
	v_div_fmas_f64 v[194:195], v[194:195], v[196:197], v[202:203]
	v_div_fixup_f64 v[196:197], v[194:195], v[192:193], 1.0
	v_mul_f64 v[198:199], v[198:199], -v[196:197]
.LBB95_7:
	s_or_b64 exec, exec, s[4:5]
	ds_write2_b64 v185, v[196:197], v[198:199] offset1:1
.LBB95_8:
	s_or_b64 exec, exec, s[10:11]
	s_waitcnt lgkmcnt(0)
	s_barrier
	ds_read2_b64 v[192:195], v185 offset1:1
	s_waitcnt lgkmcnt(0)
	scratch_store_dwordx4 off, v[192:195], off offset:400 ; 16-byte Folded Spill
	s_and_saveexec_b64 s[4:5], s[2:3]
	s_cbranch_execz .LBB95_10
; %bb.9:
	scratch_load_dwordx4 v[198:201], off, off ; 16-byte Folded Reload
	scratch_load_dwordx4 v[194:197], off, off offset:400 ; 16-byte Folded Reload
	s_waitcnt vmcnt(0)
	v_mul_f64 v[192:193], v[196:197], v[200:201]
	v_mul_f64 v[200:201], v[194:195], v[200:201]
	v_fma_f64 v[192:193], v[194:195], v[198:199], -v[192:193]
	v_fmac_f64_e32 v[200:201], v[196:197], v[198:199]
	ds_read2_b64 v[194:197], v186 offset0:2 offset1:3
	s_waitcnt lgkmcnt(0)
	v_mul_f64 v[198:199], v[196:197], v[200:201]
	v_fma_f64 v[198:199], v[194:195], v[192:193], -v[198:199]
	v_mul_f64 v[194:195], v[194:195], v[200:201]
	v_fmac_f64_e32 v[194:195], v[196:197], v[192:193]
	v_add_f64 v[182:183], v[182:183], -v[194:195]
	ds_read2_b64 v[194:197], v186 offset0:4 offset1:5
	v_add_f64 v[180:181], v[180:181], -v[198:199]
	s_waitcnt lgkmcnt(0)
	v_mul_f64 v[198:199], v[196:197], v[200:201]
	v_fma_f64 v[198:199], v[194:195], v[192:193], -v[198:199]
	v_mul_f64 v[194:195], v[194:195], v[200:201]
	v_fmac_f64_e32 v[194:195], v[196:197], v[192:193]
	v_add_f64 v[178:179], v[178:179], -v[194:195]
	ds_read2_b64 v[194:197], v186 offset0:6 offset1:7
	v_add_f64 v[176:177], v[176:177], -v[198:199]
	;; [unrolled: 8-line block ×46, first 2 shown]
	s_waitcnt lgkmcnt(0)
	v_mul_f64 v[198:199], v[196:197], v[200:201]
	v_fma_f64 v[198:199], v[194:195], v[192:193], -v[198:199]
	v_mul_f64 v[194:195], v[194:195], v[200:201]
	v_fmac_f64_e32 v[194:195], v[196:197], v[192:193]
	v_add_f64 v[188:189], v[188:189], -v[198:199]
	v_add_f64 v[190:191], v[190:191], -v[194:195]
	v_mov_b64_e32 v[198:199], v[192:193]
	scratch_store_dwordx4 off, v[198:201], off ; 16-byte Folded Spill
.LBB95_10:
	s_or_b64 exec, exec, s[4:5]
	v_cmp_eq_u32_e32 vcc, 1, v184
	s_waitcnt vmcnt(63) expcnt(7) lgkmcnt(15)
	s_barrier
	s_and_saveexec_b64 s[4:5], vcc
	s_cbranch_execz .LBB95_17
; %bb.11:
	ds_write2_b64 v185, v[180:181], v[182:183] offset1:1
	ds_write2_b64 v186, v[176:177], v[178:179] offset0:4 offset1:5
	ds_write2_b64 v186, v[172:173], v[174:175] offset0:6 offset1:7
	;; [unrolled: 1-line block ×28, first 2 shown]
	s_waitcnt vmcnt(33)
	ds_write2_b64 v186, v[64:65], v[66:67] offset0:60 offset1:61
	s_waitcnt vmcnt(31)
	ds_write2_b64 v186, v[60:61], v[62:63] offset0:62 offset1:63
	;; [unrolled: 2-line block ×15, first 2 shown]
	ds_write2_b64 v186, v[4:5], v[6:7] offset0:90 offset1:91
	ds_write2_b64 v186, v[0:1], v[2:3] offset0:92 offset1:93
	s_waitcnt vmcnt(16)
	ds_write2_b64 v186, v[188:189], v[190:191] offset0:94 offset1:95
	ds_read2_b64 v[192:195], v185 offset1:1
	s_waitcnt lgkmcnt(0)
	v_cmp_neq_f64_e32 vcc, 0, v[192:193]
	v_cmp_neq_f64_e64 s[2:3], 0, v[194:195]
	s_or_b64 s[2:3], vcc, s[2:3]
	s_and_b64 exec, exec, s[2:3]
	s_cbranch_execz .LBB95_17
; %bb.12:
	v_cmp_ngt_f64_e64 s[2:3], |v[192:193]|, |v[194:195]|
                                        ; implicit-def: $vgpr196_vgpr197
	s_and_saveexec_b64 s[10:11], s[2:3]
	s_xor_b64 s[2:3], exec, s[10:11]
                                        ; implicit-def: $vgpr198_vgpr199
	s_cbranch_execz .LBB95_14
; %bb.13:
	v_div_scale_f64 v[196:197], s[10:11], v[194:195], v[194:195], v[192:193]
	v_rcp_f64_e32 v[198:199], v[196:197]
	v_div_scale_f64 v[200:201], vcc, v[192:193], v[194:195], v[192:193]
	v_fma_f64 v[202:203], -v[196:197], v[198:199], 1.0
	v_fmac_f64_e32 v[198:199], v[198:199], v[202:203]
	v_fma_f64 v[202:203], -v[196:197], v[198:199], 1.0
	v_fmac_f64_e32 v[198:199], v[198:199], v[202:203]
	v_mul_f64 v[202:203], v[200:201], v[198:199]
	v_fma_f64 v[196:197], -v[196:197], v[202:203], v[200:201]
	v_div_fmas_f64 v[196:197], v[196:197], v[198:199], v[202:203]
	v_div_fixup_f64 v[196:197], v[196:197], v[194:195], v[192:193]
	v_fmac_f64_e32 v[194:195], v[192:193], v[196:197]
	v_div_scale_f64 v[192:193], s[10:11], v[194:195], v[194:195], 1.0
	v_rcp_f64_e32 v[198:199], v[192:193]
	s_nop 0
	v_fma_f64 v[200:201], -v[192:193], v[198:199], 1.0
	v_fmac_f64_e32 v[198:199], v[198:199], v[200:201]
	v_fma_f64 v[200:201], -v[192:193], v[198:199], 1.0
	v_fmac_f64_e32 v[198:199], v[198:199], v[200:201]
	v_div_scale_f64 v[200:201], vcc, 1.0, v[194:195], 1.0
	v_mul_f64 v[202:203], v[200:201], v[198:199]
	v_fma_f64 v[192:193], -v[192:193], v[202:203], v[200:201]
	s_nop 1
	v_div_fmas_f64 v[192:193], v[192:193], v[198:199], v[202:203]
	v_div_fixup_f64 v[198:199], v[192:193], v[194:195], 1.0
	v_mul_f64 v[196:197], v[196:197], v[198:199]
	v_xor_b32_e32 v199, 0x80000000, v199
                                        ; implicit-def: $vgpr192_vgpr193
.LBB95_14:
	s_andn2_saveexec_b64 s[2:3], s[2:3]
	s_cbranch_execz .LBB95_16
; %bb.15:
	v_div_scale_f64 v[196:197], s[10:11], v[192:193], v[192:193], v[194:195]
	v_rcp_f64_e32 v[198:199], v[196:197]
	v_div_scale_f64 v[200:201], vcc, v[194:195], v[192:193], v[194:195]
	v_fma_f64 v[202:203], -v[196:197], v[198:199], 1.0
	v_fmac_f64_e32 v[198:199], v[198:199], v[202:203]
	v_fma_f64 v[202:203], -v[196:197], v[198:199], 1.0
	v_fmac_f64_e32 v[198:199], v[198:199], v[202:203]
	v_mul_f64 v[202:203], v[200:201], v[198:199]
	v_fma_f64 v[196:197], -v[196:197], v[202:203], v[200:201]
	v_div_fmas_f64 v[196:197], v[196:197], v[198:199], v[202:203]
	v_div_fixup_f64 v[198:199], v[196:197], v[192:193], v[194:195]
	v_fmac_f64_e32 v[192:193], v[194:195], v[198:199]
	v_div_scale_f64 v[194:195], s[10:11], v[192:193], v[192:193], 1.0
	v_rcp_f64_e32 v[196:197], v[194:195]
	s_nop 0
	v_fma_f64 v[200:201], -v[194:195], v[196:197], 1.0
	v_fmac_f64_e32 v[196:197], v[196:197], v[200:201]
	v_fma_f64 v[200:201], -v[194:195], v[196:197], 1.0
	v_fmac_f64_e32 v[196:197], v[196:197], v[200:201]
	v_div_scale_f64 v[200:201], vcc, 1.0, v[192:193], 1.0
	v_mul_f64 v[202:203], v[200:201], v[196:197]
	v_fma_f64 v[194:195], -v[194:195], v[202:203], v[200:201]
	s_nop 1
	v_div_fmas_f64 v[194:195], v[194:195], v[196:197], v[202:203]
	v_div_fixup_f64 v[196:197], v[194:195], v[192:193], 1.0
	v_mul_f64 v[198:199], v[198:199], -v[196:197]
.LBB95_16:
	s_or_b64 exec, exec, s[2:3]
	ds_write2_b64 v185, v[196:197], v[198:199] offset1:1
.LBB95_17:
	s_or_b64 exec, exec, s[4:5]
	s_waitcnt lgkmcnt(0)
	s_barrier
	ds_read2_b64 v[192:195], v185 offset1:1
	v_cmp_lt_u32_e32 vcc, 1, v184
	s_waitcnt lgkmcnt(0)
	scratch_store_dwordx4 off, v[192:195], off offset:416 ; 16-byte Folded Spill
	s_and_saveexec_b64 s[2:3], vcc
	s_cbranch_execz .LBB95_19
; %bb.18:
	scratch_load_dwordx4 v[194:197], off, off offset:416 ; 16-byte Folded Reload
	s_waitcnt vmcnt(0)
	v_mul_f64 v[192:193], v[196:197], v[182:183]
	v_mul_f64 v[182:183], v[194:195], v[182:183]
	v_fma_f64 v[192:193], v[194:195], v[180:181], -v[192:193]
	v_fmac_f64_e32 v[182:183], v[196:197], v[180:181]
	ds_read2_b64 v[194:197], v186 offset0:4 offset1:5
	s_waitcnt lgkmcnt(0)
	v_mul_f64 v[180:181], v[196:197], v[182:183]
	v_fma_f64 v[180:181], v[194:195], v[192:193], -v[180:181]
	v_mul_f64 v[194:195], v[194:195], v[182:183]
	v_fmac_f64_e32 v[194:195], v[196:197], v[192:193]
	v_add_f64 v[178:179], v[178:179], -v[194:195]
	ds_read2_b64 v[194:197], v186 offset0:6 offset1:7
	v_add_f64 v[176:177], v[176:177], -v[180:181]
	s_waitcnt lgkmcnt(0)
	v_mul_f64 v[180:181], v[196:197], v[182:183]
	v_fma_f64 v[180:181], v[194:195], v[192:193], -v[180:181]
	v_mul_f64 v[194:195], v[194:195], v[182:183]
	v_fmac_f64_e32 v[194:195], v[196:197], v[192:193]
	v_add_f64 v[174:175], v[174:175], -v[194:195]
	ds_read2_b64 v[194:197], v186 offset0:8 offset1:9
	v_add_f64 v[172:173], v[172:173], -v[180:181]
	;; [unrolled: 8-line block ×45, first 2 shown]
	s_waitcnt lgkmcnt(0)
	v_mul_f64 v[180:181], v[196:197], v[182:183]
	v_fma_f64 v[180:181], v[194:195], v[192:193], -v[180:181]
	v_mul_f64 v[194:195], v[194:195], v[182:183]
	v_fmac_f64_e32 v[194:195], v[196:197], v[192:193]
	v_add_f64 v[188:189], v[188:189], -v[180:181]
	v_add_f64 v[190:191], v[190:191], -v[194:195]
	v_mov_b64_e32 v[180:181], v[192:193]
.LBB95_19:
	s_or_b64 exec, exec, s[2:3]
	v_cmp_eq_u32_e32 vcc, 2, v184
	s_waitcnt vmcnt(63) expcnt(7) lgkmcnt(15)
	s_barrier
	s_and_saveexec_b64 s[4:5], vcc
	s_cbranch_execz .LBB95_26
; %bb.20:
	ds_write2_b64 v185, v[176:177], v[178:179] offset1:1
	ds_write2_b64 v186, v[172:173], v[174:175] offset0:6 offset1:7
	ds_write2_b64 v186, v[168:169], v[170:171] offset0:8 offset1:9
	;; [unrolled: 1-line block ×27, first 2 shown]
	s_waitcnt vmcnt(34)
	ds_write2_b64 v186, v[64:65], v[66:67] offset0:60 offset1:61
	s_waitcnt vmcnt(32)
	ds_write2_b64 v186, v[60:61], v[62:63] offset0:62 offset1:63
	;; [unrolled: 2-line block ×15, first 2 shown]
	ds_write2_b64 v186, v[4:5], v[6:7] offset0:90 offset1:91
	ds_write2_b64 v186, v[0:1], v[2:3] offset0:92 offset1:93
	s_waitcnt vmcnt(17)
	ds_write2_b64 v186, v[188:189], v[190:191] offset0:94 offset1:95
	ds_read2_b64 v[192:195], v185 offset1:1
	s_waitcnt lgkmcnt(0)
	v_cmp_neq_f64_e32 vcc, 0, v[192:193]
	v_cmp_neq_f64_e64 s[2:3], 0, v[194:195]
	s_or_b64 s[2:3], vcc, s[2:3]
	s_and_b64 exec, exec, s[2:3]
	s_cbranch_execz .LBB95_26
; %bb.21:
	v_cmp_ngt_f64_e64 s[2:3], |v[192:193]|, |v[194:195]|
                                        ; implicit-def: $vgpr196_vgpr197
	s_and_saveexec_b64 s[10:11], s[2:3]
	s_xor_b64 s[2:3], exec, s[10:11]
                                        ; implicit-def: $vgpr198_vgpr199
	s_cbranch_execz .LBB95_23
; %bb.22:
	v_div_scale_f64 v[196:197], s[10:11], v[194:195], v[194:195], v[192:193]
	v_rcp_f64_e32 v[198:199], v[196:197]
	v_div_scale_f64 v[200:201], vcc, v[192:193], v[194:195], v[192:193]
	v_fma_f64 v[202:203], -v[196:197], v[198:199], 1.0
	v_fmac_f64_e32 v[198:199], v[198:199], v[202:203]
	v_fma_f64 v[202:203], -v[196:197], v[198:199], 1.0
	v_fmac_f64_e32 v[198:199], v[198:199], v[202:203]
	v_mul_f64 v[202:203], v[200:201], v[198:199]
	v_fma_f64 v[196:197], -v[196:197], v[202:203], v[200:201]
	v_div_fmas_f64 v[196:197], v[196:197], v[198:199], v[202:203]
	v_div_fixup_f64 v[196:197], v[196:197], v[194:195], v[192:193]
	v_fmac_f64_e32 v[194:195], v[192:193], v[196:197]
	v_div_scale_f64 v[192:193], s[10:11], v[194:195], v[194:195], 1.0
	v_rcp_f64_e32 v[198:199], v[192:193]
	s_nop 0
	v_fma_f64 v[200:201], -v[192:193], v[198:199], 1.0
	v_fmac_f64_e32 v[198:199], v[198:199], v[200:201]
	v_fma_f64 v[200:201], -v[192:193], v[198:199], 1.0
	v_fmac_f64_e32 v[198:199], v[198:199], v[200:201]
	v_div_scale_f64 v[200:201], vcc, 1.0, v[194:195], 1.0
	v_mul_f64 v[202:203], v[200:201], v[198:199]
	v_fma_f64 v[192:193], -v[192:193], v[202:203], v[200:201]
	s_nop 1
	v_div_fmas_f64 v[192:193], v[192:193], v[198:199], v[202:203]
	v_div_fixup_f64 v[198:199], v[192:193], v[194:195], 1.0
	v_mul_f64 v[196:197], v[196:197], v[198:199]
	v_xor_b32_e32 v199, 0x80000000, v199
                                        ; implicit-def: $vgpr192_vgpr193
.LBB95_23:
	s_andn2_saveexec_b64 s[2:3], s[2:3]
	s_cbranch_execz .LBB95_25
; %bb.24:
	v_div_scale_f64 v[196:197], s[10:11], v[192:193], v[192:193], v[194:195]
	v_rcp_f64_e32 v[198:199], v[196:197]
	v_div_scale_f64 v[200:201], vcc, v[194:195], v[192:193], v[194:195]
	v_fma_f64 v[202:203], -v[196:197], v[198:199], 1.0
	v_fmac_f64_e32 v[198:199], v[198:199], v[202:203]
	v_fma_f64 v[202:203], -v[196:197], v[198:199], 1.0
	v_fmac_f64_e32 v[198:199], v[198:199], v[202:203]
	v_mul_f64 v[202:203], v[200:201], v[198:199]
	v_fma_f64 v[196:197], -v[196:197], v[202:203], v[200:201]
	v_div_fmas_f64 v[196:197], v[196:197], v[198:199], v[202:203]
	v_div_fixup_f64 v[198:199], v[196:197], v[192:193], v[194:195]
	v_fmac_f64_e32 v[192:193], v[194:195], v[198:199]
	v_div_scale_f64 v[194:195], s[10:11], v[192:193], v[192:193], 1.0
	v_rcp_f64_e32 v[196:197], v[194:195]
	s_nop 0
	v_fma_f64 v[200:201], -v[194:195], v[196:197], 1.0
	v_fmac_f64_e32 v[196:197], v[196:197], v[200:201]
	v_fma_f64 v[200:201], -v[194:195], v[196:197], 1.0
	v_fmac_f64_e32 v[196:197], v[196:197], v[200:201]
	v_div_scale_f64 v[200:201], vcc, 1.0, v[192:193], 1.0
	v_mul_f64 v[202:203], v[200:201], v[196:197]
	v_fma_f64 v[194:195], -v[194:195], v[202:203], v[200:201]
	s_nop 1
	v_div_fmas_f64 v[194:195], v[194:195], v[196:197], v[202:203]
	v_div_fixup_f64 v[196:197], v[194:195], v[192:193], 1.0
	v_mul_f64 v[198:199], v[198:199], -v[196:197]
.LBB95_25:
	s_or_b64 exec, exec, s[2:3]
	ds_write2_b64 v185, v[196:197], v[198:199] offset1:1
.LBB95_26:
	s_or_b64 exec, exec, s[4:5]
	s_waitcnt lgkmcnt(0)
	s_barrier
	ds_read2_b64 v[192:195], v185 offset1:1
	v_cmp_lt_u32_e32 vcc, 2, v184
	s_waitcnt lgkmcnt(0)
	scratch_store_dwordx4 off, v[192:195], off offset:432 ; 16-byte Folded Spill
	s_and_saveexec_b64 s[2:3], vcc
	s_cbranch_execz .LBB95_28
; %bb.27:
	scratch_load_dwordx4 v[194:197], off, off offset:432 ; 16-byte Folded Reload
	s_waitcnt vmcnt(0)
	v_mul_f64 v[192:193], v[196:197], v[178:179]
	v_mul_f64 v[178:179], v[194:195], v[178:179]
	v_fma_f64 v[192:193], v[194:195], v[176:177], -v[192:193]
	v_fmac_f64_e32 v[178:179], v[196:197], v[176:177]
	ds_read2_b64 v[194:197], v186 offset0:6 offset1:7
	s_waitcnt lgkmcnt(0)
	v_mul_f64 v[176:177], v[196:197], v[178:179]
	v_fma_f64 v[176:177], v[194:195], v[192:193], -v[176:177]
	v_mul_f64 v[194:195], v[194:195], v[178:179]
	v_fmac_f64_e32 v[194:195], v[196:197], v[192:193]
	v_add_f64 v[174:175], v[174:175], -v[194:195]
	ds_read2_b64 v[194:197], v186 offset0:8 offset1:9
	v_add_f64 v[172:173], v[172:173], -v[176:177]
	s_waitcnt lgkmcnt(0)
	v_mul_f64 v[176:177], v[196:197], v[178:179]
	v_fma_f64 v[176:177], v[194:195], v[192:193], -v[176:177]
	v_mul_f64 v[194:195], v[194:195], v[178:179]
	v_fmac_f64_e32 v[194:195], v[196:197], v[192:193]
	v_add_f64 v[170:171], v[170:171], -v[194:195]
	ds_read2_b64 v[194:197], v186 offset0:10 offset1:11
	v_add_f64 v[168:169], v[168:169], -v[176:177]
	;; [unrolled: 8-line block ×44, first 2 shown]
	s_waitcnt lgkmcnt(0)
	v_mul_f64 v[176:177], v[196:197], v[178:179]
	v_fma_f64 v[176:177], v[194:195], v[192:193], -v[176:177]
	v_mul_f64 v[194:195], v[194:195], v[178:179]
	v_fmac_f64_e32 v[194:195], v[196:197], v[192:193]
	v_add_f64 v[188:189], v[188:189], -v[176:177]
	v_add_f64 v[190:191], v[190:191], -v[194:195]
	v_mov_b64_e32 v[176:177], v[192:193]
.LBB95_28:
	s_or_b64 exec, exec, s[2:3]
	v_cmp_eq_u32_e32 vcc, 3, v184
	s_waitcnt vmcnt(63) expcnt(7) lgkmcnt(15)
	s_barrier
	s_and_saveexec_b64 s[4:5], vcc
	s_cbranch_execz .LBB95_35
; %bb.29:
	ds_write2_b64 v185, v[172:173], v[174:175] offset1:1
	ds_write2_b64 v186, v[168:169], v[170:171] offset0:8 offset1:9
	ds_write2_b64 v186, v[164:165], v[166:167] offset0:10 offset1:11
	;; [unrolled: 1-line block ×26, first 2 shown]
	s_waitcnt vmcnt(35)
	ds_write2_b64 v186, v[64:65], v[66:67] offset0:60 offset1:61
	s_waitcnt vmcnt(33)
	ds_write2_b64 v186, v[60:61], v[62:63] offset0:62 offset1:63
	;; [unrolled: 2-line block ×15, first 2 shown]
	ds_write2_b64 v186, v[4:5], v[6:7] offset0:90 offset1:91
	ds_write2_b64 v186, v[0:1], v[2:3] offset0:92 offset1:93
	s_waitcnt vmcnt(18)
	ds_write2_b64 v186, v[188:189], v[190:191] offset0:94 offset1:95
	ds_read2_b64 v[192:195], v185 offset1:1
	s_waitcnt lgkmcnt(0)
	v_cmp_neq_f64_e32 vcc, 0, v[192:193]
	v_cmp_neq_f64_e64 s[2:3], 0, v[194:195]
	s_or_b64 s[2:3], vcc, s[2:3]
	s_and_b64 exec, exec, s[2:3]
	s_cbranch_execz .LBB95_35
; %bb.30:
	v_cmp_ngt_f64_e64 s[2:3], |v[192:193]|, |v[194:195]|
                                        ; implicit-def: $vgpr196_vgpr197
	s_and_saveexec_b64 s[10:11], s[2:3]
	s_xor_b64 s[2:3], exec, s[10:11]
                                        ; implicit-def: $vgpr198_vgpr199
	s_cbranch_execz .LBB95_32
; %bb.31:
	v_div_scale_f64 v[196:197], s[10:11], v[194:195], v[194:195], v[192:193]
	v_rcp_f64_e32 v[198:199], v[196:197]
	v_div_scale_f64 v[200:201], vcc, v[192:193], v[194:195], v[192:193]
	v_fma_f64 v[202:203], -v[196:197], v[198:199], 1.0
	v_fmac_f64_e32 v[198:199], v[198:199], v[202:203]
	v_fma_f64 v[202:203], -v[196:197], v[198:199], 1.0
	v_fmac_f64_e32 v[198:199], v[198:199], v[202:203]
	v_mul_f64 v[202:203], v[200:201], v[198:199]
	v_fma_f64 v[196:197], -v[196:197], v[202:203], v[200:201]
	v_div_fmas_f64 v[196:197], v[196:197], v[198:199], v[202:203]
	v_div_fixup_f64 v[196:197], v[196:197], v[194:195], v[192:193]
	v_fmac_f64_e32 v[194:195], v[192:193], v[196:197]
	v_div_scale_f64 v[192:193], s[10:11], v[194:195], v[194:195], 1.0
	v_rcp_f64_e32 v[198:199], v[192:193]
	s_nop 0
	v_fma_f64 v[200:201], -v[192:193], v[198:199], 1.0
	v_fmac_f64_e32 v[198:199], v[198:199], v[200:201]
	v_fma_f64 v[200:201], -v[192:193], v[198:199], 1.0
	v_fmac_f64_e32 v[198:199], v[198:199], v[200:201]
	v_div_scale_f64 v[200:201], vcc, 1.0, v[194:195], 1.0
	v_mul_f64 v[202:203], v[200:201], v[198:199]
	v_fma_f64 v[192:193], -v[192:193], v[202:203], v[200:201]
	s_nop 1
	v_div_fmas_f64 v[192:193], v[192:193], v[198:199], v[202:203]
	v_div_fixup_f64 v[198:199], v[192:193], v[194:195], 1.0
	v_mul_f64 v[196:197], v[196:197], v[198:199]
	v_xor_b32_e32 v199, 0x80000000, v199
                                        ; implicit-def: $vgpr192_vgpr193
.LBB95_32:
	s_andn2_saveexec_b64 s[2:3], s[2:3]
	s_cbranch_execz .LBB95_34
; %bb.33:
	v_div_scale_f64 v[196:197], s[10:11], v[192:193], v[192:193], v[194:195]
	v_rcp_f64_e32 v[198:199], v[196:197]
	v_div_scale_f64 v[200:201], vcc, v[194:195], v[192:193], v[194:195]
	v_fma_f64 v[202:203], -v[196:197], v[198:199], 1.0
	v_fmac_f64_e32 v[198:199], v[198:199], v[202:203]
	v_fma_f64 v[202:203], -v[196:197], v[198:199], 1.0
	v_fmac_f64_e32 v[198:199], v[198:199], v[202:203]
	v_mul_f64 v[202:203], v[200:201], v[198:199]
	v_fma_f64 v[196:197], -v[196:197], v[202:203], v[200:201]
	v_div_fmas_f64 v[196:197], v[196:197], v[198:199], v[202:203]
	v_div_fixup_f64 v[198:199], v[196:197], v[192:193], v[194:195]
	v_fmac_f64_e32 v[192:193], v[194:195], v[198:199]
	v_div_scale_f64 v[194:195], s[10:11], v[192:193], v[192:193], 1.0
	v_rcp_f64_e32 v[196:197], v[194:195]
	s_nop 0
	v_fma_f64 v[200:201], -v[194:195], v[196:197], 1.0
	v_fmac_f64_e32 v[196:197], v[196:197], v[200:201]
	v_fma_f64 v[200:201], -v[194:195], v[196:197], 1.0
	v_fmac_f64_e32 v[196:197], v[196:197], v[200:201]
	v_div_scale_f64 v[200:201], vcc, 1.0, v[192:193], 1.0
	v_mul_f64 v[202:203], v[200:201], v[196:197]
	v_fma_f64 v[194:195], -v[194:195], v[202:203], v[200:201]
	s_nop 1
	v_div_fmas_f64 v[194:195], v[194:195], v[196:197], v[202:203]
	v_div_fixup_f64 v[196:197], v[194:195], v[192:193], 1.0
	v_mul_f64 v[198:199], v[198:199], -v[196:197]
.LBB95_34:
	s_or_b64 exec, exec, s[2:3]
	ds_write2_b64 v185, v[196:197], v[198:199] offset1:1
.LBB95_35:
	s_or_b64 exec, exec, s[4:5]
	s_waitcnt lgkmcnt(0)
	s_barrier
	ds_read2_b64 v[192:195], v185 offset1:1
	v_cmp_lt_u32_e32 vcc, 3, v184
	s_waitcnt lgkmcnt(0)
	scratch_store_dwordx4 off, v[192:195], off offset:448 ; 16-byte Folded Spill
	s_and_saveexec_b64 s[2:3], vcc
	s_cbranch_execz .LBB95_37
; %bb.36:
	scratch_load_dwordx4 v[194:197], off, off offset:448 ; 16-byte Folded Reload
	s_waitcnt vmcnt(0)
	v_mul_f64 v[192:193], v[196:197], v[174:175]
	v_mul_f64 v[174:175], v[194:195], v[174:175]
	v_fma_f64 v[192:193], v[194:195], v[172:173], -v[192:193]
	v_fmac_f64_e32 v[174:175], v[196:197], v[172:173]
	ds_read2_b64 v[194:197], v186 offset0:8 offset1:9
	s_waitcnt lgkmcnt(0)
	v_mul_f64 v[172:173], v[196:197], v[174:175]
	v_fma_f64 v[172:173], v[194:195], v[192:193], -v[172:173]
	v_mul_f64 v[194:195], v[194:195], v[174:175]
	v_fmac_f64_e32 v[194:195], v[196:197], v[192:193]
	v_add_f64 v[170:171], v[170:171], -v[194:195]
	ds_read2_b64 v[194:197], v186 offset0:10 offset1:11
	v_add_f64 v[168:169], v[168:169], -v[172:173]
	s_waitcnt lgkmcnt(0)
	v_mul_f64 v[172:173], v[196:197], v[174:175]
	v_fma_f64 v[172:173], v[194:195], v[192:193], -v[172:173]
	v_mul_f64 v[194:195], v[194:195], v[174:175]
	v_fmac_f64_e32 v[194:195], v[196:197], v[192:193]
	v_add_f64 v[166:167], v[166:167], -v[194:195]
	ds_read2_b64 v[194:197], v186 offset0:12 offset1:13
	v_add_f64 v[164:165], v[164:165], -v[172:173]
	;; [unrolled: 8-line block ×43, first 2 shown]
	s_waitcnt lgkmcnt(0)
	v_mul_f64 v[172:173], v[196:197], v[174:175]
	v_fma_f64 v[172:173], v[194:195], v[192:193], -v[172:173]
	v_mul_f64 v[194:195], v[194:195], v[174:175]
	v_fmac_f64_e32 v[194:195], v[196:197], v[192:193]
	v_add_f64 v[188:189], v[188:189], -v[172:173]
	v_add_f64 v[190:191], v[190:191], -v[194:195]
	v_mov_b64_e32 v[172:173], v[192:193]
.LBB95_37:
	s_or_b64 exec, exec, s[2:3]
	v_cmp_eq_u32_e32 vcc, 4, v184
	s_waitcnt vmcnt(63) expcnt(7) lgkmcnt(15)
	s_barrier
	s_and_saveexec_b64 s[4:5], vcc
	s_cbranch_execz .LBB95_44
; %bb.38:
	ds_write2_b64 v185, v[168:169], v[170:171] offset1:1
	ds_write2_b64 v186, v[164:165], v[166:167] offset0:10 offset1:11
	ds_write2_b64 v186, v[160:161], v[162:163] offset0:12 offset1:13
	;; [unrolled: 1-line block ×25, first 2 shown]
	s_waitcnt vmcnt(36)
	ds_write2_b64 v186, v[64:65], v[66:67] offset0:60 offset1:61
	s_waitcnt vmcnt(34)
	ds_write2_b64 v186, v[60:61], v[62:63] offset0:62 offset1:63
	;; [unrolled: 2-line block ×15, first 2 shown]
	ds_write2_b64 v186, v[4:5], v[6:7] offset0:90 offset1:91
	ds_write2_b64 v186, v[0:1], v[2:3] offset0:92 offset1:93
	s_waitcnt vmcnt(19)
	ds_write2_b64 v186, v[188:189], v[190:191] offset0:94 offset1:95
	ds_read2_b64 v[192:195], v185 offset1:1
	s_waitcnt lgkmcnt(0)
	v_cmp_neq_f64_e32 vcc, 0, v[192:193]
	v_cmp_neq_f64_e64 s[2:3], 0, v[194:195]
	s_or_b64 s[2:3], vcc, s[2:3]
	s_and_b64 exec, exec, s[2:3]
	s_cbranch_execz .LBB95_44
; %bb.39:
	v_cmp_ngt_f64_e64 s[2:3], |v[192:193]|, |v[194:195]|
                                        ; implicit-def: $vgpr196_vgpr197
	s_and_saveexec_b64 s[10:11], s[2:3]
	s_xor_b64 s[2:3], exec, s[10:11]
                                        ; implicit-def: $vgpr198_vgpr199
	s_cbranch_execz .LBB95_41
; %bb.40:
	v_div_scale_f64 v[196:197], s[10:11], v[194:195], v[194:195], v[192:193]
	v_rcp_f64_e32 v[198:199], v[196:197]
	v_div_scale_f64 v[200:201], vcc, v[192:193], v[194:195], v[192:193]
	v_fma_f64 v[202:203], -v[196:197], v[198:199], 1.0
	v_fmac_f64_e32 v[198:199], v[198:199], v[202:203]
	v_fma_f64 v[202:203], -v[196:197], v[198:199], 1.0
	v_fmac_f64_e32 v[198:199], v[198:199], v[202:203]
	v_mul_f64 v[202:203], v[200:201], v[198:199]
	v_fma_f64 v[196:197], -v[196:197], v[202:203], v[200:201]
	v_div_fmas_f64 v[196:197], v[196:197], v[198:199], v[202:203]
	v_div_fixup_f64 v[196:197], v[196:197], v[194:195], v[192:193]
	v_fmac_f64_e32 v[194:195], v[192:193], v[196:197]
	v_div_scale_f64 v[192:193], s[10:11], v[194:195], v[194:195], 1.0
	v_rcp_f64_e32 v[198:199], v[192:193]
	s_nop 0
	v_fma_f64 v[200:201], -v[192:193], v[198:199], 1.0
	v_fmac_f64_e32 v[198:199], v[198:199], v[200:201]
	v_fma_f64 v[200:201], -v[192:193], v[198:199], 1.0
	v_fmac_f64_e32 v[198:199], v[198:199], v[200:201]
	v_div_scale_f64 v[200:201], vcc, 1.0, v[194:195], 1.0
	v_mul_f64 v[202:203], v[200:201], v[198:199]
	v_fma_f64 v[192:193], -v[192:193], v[202:203], v[200:201]
	s_nop 1
	v_div_fmas_f64 v[192:193], v[192:193], v[198:199], v[202:203]
	v_div_fixup_f64 v[198:199], v[192:193], v[194:195], 1.0
	v_mul_f64 v[196:197], v[196:197], v[198:199]
	v_xor_b32_e32 v199, 0x80000000, v199
                                        ; implicit-def: $vgpr192_vgpr193
.LBB95_41:
	s_andn2_saveexec_b64 s[2:3], s[2:3]
	s_cbranch_execz .LBB95_43
; %bb.42:
	v_div_scale_f64 v[196:197], s[10:11], v[192:193], v[192:193], v[194:195]
	v_rcp_f64_e32 v[198:199], v[196:197]
	v_div_scale_f64 v[200:201], vcc, v[194:195], v[192:193], v[194:195]
	v_fma_f64 v[202:203], -v[196:197], v[198:199], 1.0
	v_fmac_f64_e32 v[198:199], v[198:199], v[202:203]
	v_fma_f64 v[202:203], -v[196:197], v[198:199], 1.0
	v_fmac_f64_e32 v[198:199], v[198:199], v[202:203]
	v_mul_f64 v[202:203], v[200:201], v[198:199]
	v_fma_f64 v[196:197], -v[196:197], v[202:203], v[200:201]
	v_div_fmas_f64 v[196:197], v[196:197], v[198:199], v[202:203]
	v_div_fixup_f64 v[198:199], v[196:197], v[192:193], v[194:195]
	v_fmac_f64_e32 v[192:193], v[194:195], v[198:199]
	v_div_scale_f64 v[194:195], s[10:11], v[192:193], v[192:193], 1.0
	v_rcp_f64_e32 v[196:197], v[194:195]
	s_nop 0
	v_fma_f64 v[200:201], -v[194:195], v[196:197], 1.0
	v_fmac_f64_e32 v[196:197], v[196:197], v[200:201]
	v_fma_f64 v[200:201], -v[194:195], v[196:197], 1.0
	v_fmac_f64_e32 v[196:197], v[196:197], v[200:201]
	v_div_scale_f64 v[200:201], vcc, 1.0, v[192:193], 1.0
	v_mul_f64 v[202:203], v[200:201], v[196:197]
	v_fma_f64 v[194:195], -v[194:195], v[202:203], v[200:201]
	s_nop 1
	v_div_fmas_f64 v[194:195], v[194:195], v[196:197], v[202:203]
	v_div_fixup_f64 v[196:197], v[194:195], v[192:193], 1.0
	v_mul_f64 v[198:199], v[198:199], -v[196:197]
.LBB95_43:
	s_or_b64 exec, exec, s[2:3]
	ds_write2_b64 v185, v[196:197], v[198:199] offset1:1
.LBB95_44:
	s_or_b64 exec, exec, s[4:5]
	s_waitcnt lgkmcnt(0)
	s_barrier
	ds_read2_b64 v[192:195], v185 offset1:1
	v_cmp_lt_u32_e32 vcc, 4, v184
	s_waitcnt lgkmcnt(0)
	scratch_store_dwordx4 off, v[192:195], off offset:464 ; 16-byte Folded Spill
	s_and_saveexec_b64 s[2:3], vcc
	s_cbranch_execz .LBB95_46
; %bb.45:
	scratch_load_dwordx4 v[194:197], off, off offset:464 ; 16-byte Folded Reload
	s_waitcnt vmcnt(0)
	v_mul_f64 v[192:193], v[196:197], v[170:171]
	v_mul_f64 v[170:171], v[194:195], v[170:171]
	v_fma_f64 v[192:193], v[194:195], v[168:169], -v[192:193]
	v_fmac_f64_e32 v[170:171], v[196:197], v[168:169]
	ds_read2_b64 v[194:197], v186 offset0:10 offset1:11
	s_waitcnt lgkmcnt(0)
	v_mul_f64 v[168:169], v[196:197], v[170:171]
	v_fma_f64 v[168:169], v[194:195], v[192:193], -v[168:169]
	v_mul_f64 v[194:195], v[194:195], v[170:171]
	v_fmac_f64_e32 v[194:195], v[196:197], v[192:193]
	v_add_f64 v[166:167], v[166:167], -v[194:195]
	ds_read2_b64 v[194:197], v186 offset0:12 offset1:13
	v_add_f64 v[164:165], v[164:165], -v[168:169]
	s_waitcnt lgkmcnt(0)
	v_mul_f64 v[168:169], v[196:197], v[170:171]
	v_fma_f64 v[168:169], v[194:195], v[192:193], -v[168:169]
	v_mul_f64 v[194:195], v[194:195], v[170:171]
	v_fmac_f64_e32 v[194:195], v[196:197], v[192:193]
	v_add_f64 v[162:163], v[162:163], -v[194:195]
	ds_read2_b64 v[194:197], v186 offset0:14 offset1:15
	v_add_f64 v[160:161], v[160:161], -v[168:169]
	s_waitcnt lgkmcnt(0)
	v_mul_f64 v[168:169], v[196:197], v[170:171]
	v_fma_f64 v[168:169], v[194:195], v[192:193], -v[168:169]
	v_mul_f64 v[194:195], v[194:195], v[170:171]
	v_fmac_f64_e32 v[194:195], v[196:197], v[192:193]
	v_add_f64 v[158:159], v[158:159], -v[194:195]
	ds_read2_b64 v[194:197], v186 offset0:16 offset1:17
	v_add_f64 v[156:157], v[156:157], -v[168:169]
	s_waitcnt lgkmcnt(0)
	v_mul_f64 v[168:169], v[196:197], v[170:171]
	v_fma_f64 v[168:169], v[194:195], v[192:193], -v[168:169]
	v_mul_f64 v[194:195], v[194:195], v[170:171]
	v_fmac_f64_e32 v[194:195], v[196:197], v[192:193]
	v_add_f64 v[154:155], v[154:155], -v[194:195]
	ds_read2_b64 v[194:197], v186 offset0:18 offset1:19
	v_add_f64 v[152:153], v[152:153], -v[168:169]
	s_waitcnt lgkmcnt(0)
	v_mul_f64 v[168:169], v[196:197], v[170:171]
	v_fma_f64 v[168:169], v[194:195], v[192:193], -v[168:169]
	v_mul_f64 v[194:195], v[194:195], v[170:171]
	v_fmac_f64_e32 v[194:195], v[196:197], v[192:193]
	v_add_f64 v[150:151], v[150:151], -v[194:195]
	ds_read2_b64 v[194:197], v186 offset0:20 offset1:21
	v_add_f64 v[148:149], v[148:149], -v[168:169]
	s_waitcnt lgkmcnt(0)
	v_mul_f64 v[168:169], v[196:197], v[170:171]
	v_fma_f64 v[168:169], v[194:195], v[192:193], -v[168:169]
	v_mul_f64 v[194:195], v[194:195], v[170:171]
	v_fmac_f64_e32 v[194:195], v[196:197], v[192:193]
	v_add_f64 v[146:147], v[146:147], -v[194:195]
	ds_read2_b64 v[194:197], v186 offset0:22 offset1:23
	v_add_f64 v[144:145], v[144:145], -v[168:169]
	s_waitcnt lgkmcnt(0)
	v_mul_f64 v[168:169], v[196:197], v[170:171]
	v_fma_f64 v[168:169], v[194:195], v[192:193], -v[168:169]
	v_mul_f64 v[194:195], v[194:195], v[170:171]
	v_fmac_f64_e32 v[194:195], v[196:197], v[192:193]
	v_add_f64 v[142:143], v[142:143], -v[194:195]
	ds_read2_b64 v[194:197], v186 offset0:24 offset1:25
	v_add_f64 v[140:141], v[140:141], -v[168:169]
	s_waitcnt lgkmcnt(0)
	v_mul_f64 v[168:169], v[196:197], v[170:171]
	v_fma_f64 v[168:169], v[194:195], v[192:193], -v[168:169]
	v_mul_f64 v[194:195], v[194:195], v[170:171]
	v_fmac_f64_e32 v[194:195], v[196:197], v[192:193]
	v_add_f64 v[138:139], v[138:139], -v[194:195]
	ds_read2_b64 v[194:197], v186 offset0:26 offset1:27
	v_add_f64 v[136:137], v[136:137], -v[168:169]
	s_waitcnt lgkmcnt(0)
	v_mul_f64 v[168:169], v[196:197], v[170:171]
	v_fma_f64 v[168:169], v[194:195], v[192:193], -v[168:169]
	v_mul_f64 v[194:195], v[194:195], v[170:171]
	v_fmac_f64_e32 v[194:195], v[196:197], v[192:193]
	v_add_f64 v[134:135], v[134:135], -v[194:195]
	ds_read2_b64 v[194:197], v186 offset0:28 offset1:29
	v_add_f64 v[132:133], v[132:133], -v[168:169]
	s_waitcnt lgkmcnt(0)
	v_mul_f64 v[168:169], v[196:197], v[170:171]
	v_fma_f64 v[168:169], v[194:195], v[192:193], -v[168:169]
	v_mul_f64 v[194:195], v[194:195], v[170:171]
	v_fmac_f64_e32 v[194:195], v[196:197], v[192:193]
	v_add_f64 v[130:131], v[130:131], -v[194:195]
	ds_read2_b64 v[194:197], v186 offset0:30 offset1:31
	v_add_f64 v[128:129], v[128:129], -v[168:169]
	s_waitcnt lgkmcnt(0)
	v_mul_f64 v[168:169], v[196:197], v[170:171]
	v_fma_f64 v[168:169], v[194:195], v[192:193], -v[168:169]
	v_mul_f64 v[194:195], v[194:195], v[170:171]
	v_fmac_f64_e32 v[194:195], v[196:197], v[192:193]
	v_add_f64 v[126:127], v[126:127], -v[194:195]
	ds_read2_b64 v[194:197], v186 offset0:32 offset1:33
	v_add_f64 v[124:125], v[124:125], -v[168:169]
	s_waitcnt lgkmcnt(0)
	v_mul_f64 v[168:169], v[196:197], v[170:171]
	v_fma_f64 v[168:169], v[194:195], v[192:193], -v[168:169]
	v_mul_f64 v[194:195], v[194:195], v[170:171]
	v_fmac_f64_e32 v[194:195], v[196:197], v[192:193]
	v_add_f64 v[122:123], v[122:123], -v[194:195]
	ds_read2_b64 v[194:197], v186 offset0:34 offset1:35
	v_add_f64 v[120:121], v[120:121], -v[168:169]
	s_waitcnt lgkmcnt(0)
	v_mul_f64 v[168:169], v[196:197], v[170:171]
	v_fma_f64 v[168:169], v[194:195], v[192:193], -v[168:169]
	v_mul_f64 v[194:195], v[194:195], v[170:171]
	v_fmac_f64_e32 v[194:195], v[196:197], v[192:193]
	v_add_f64 v[118:119], v[118:119], -v[194:195]
	ds_read2_b64 v[194:197], v186 offset0:36 offset1:37
	v_add_f64 v[116:117], v[116:117], -v[168:169]
	s_waitcnt lgkmcnt(0)
	v_mul_f64 v[168:169], v[196:197], v[170:171]
	v_fma_f64 v[168:169], v[194:195], v[192:193], -v[168:169]
	v_mul_f64 v[194:195], v[194:195], v[170:171]
	v_fmac_f64_e32 v[194:195], v[196:197], v[192:193]
	v_add_f64 v[114:115], v[114:115], -v[194:195]
	ds_read2_b64 v[194:197], v186 offset0:38 offset1:39
	v_add_f64 v[112:113], v[112:113], -v[168:169]
	s_waitcnt lgkmcnt(0)
	v_mul_f64 v[168:169], v[196:197], v[170:171]
	v_fma_f64 v[168:169], v[194:195], v[192:193], -v[168:169]
	v_mul_f64 v[194:195], v[194:195], v[170:171]
	v_fmac_f64_e32 v[194:195], v[196:197], v[192:193]
	v_add_f64 v[110:111], v[110:111], -v[194:195]
	ds_read2_b64 v[194:197], v186 offset0:40 offset1:41
	v_add_f64 v[108:109], v[108:109], -v[168:169]
	s_waitcnt lgkmcnt(0)
	v_mul_f64 v[168:169], v[196:197], v[170:171]
	v_fma_f64 v[168:169], v[194:195], v[192:193], -v[168:169]
	v_mul_f64 v[194:195], v[194:195], v[170:171]
	v_fmac_f64_e32 v[194:195], v[196:197], v[192:193]
	v_add_f64 v[106:107], v[106:107], -v[194:195]
	ds_read2_b64 v[194:197], v186 offset0:42 offset1:43
	v_add_f64 v[104:105], v[104:105], -v[168:169]
	s_waitcnt lgkmcnt(0)
	v_mul_f64 v[168:169], v[196:197], v[170:171]
	v_fma_f64 v[168:169], v[194:195], v[192:193], -v[168:169]
	v_mul_f64 v[194:195], v[194:195], v[170:171]
	v_fmac_f64_e32 v[194:195], v[196:197], v[192:193]
	v_add_f64 v[102:103], v[102:103], -v[194:195]
	ds_read2_b64 v[194:197], v186 offset0:44 offset1:45
	v_add_f64 v[100:101], v[100:101], -v[168:169]
	s_waitcnt lgkmcnt(0)
	v_mul_f64 v[168:169], v[196:197], v[170:171]
	v_fma_f64 v[168:169], v[194:195], v[192:193], -v[168:169]
	v_mul_f64 v[194:195], v[194:195], v[170:171]
	v_fmac_f64_e32 v[194:195], v[196:197], v[192:193]
	v_add_f64 v[98:99], v[98:99], -v[194:195]
	ds_read2_b64 v[194:197], v186 offset0:46 offset1:47
	v_add_f64 v[96:97], v[96:97], -v[168:169]
	s_waitcnt lgkmcnt(0)
	v_mul_f64 v[168:169], v[196:197], v[170:171]
	v_fma_f64 v[168:169], v[194:195], v[192:193], -v[168:169]
	v_mul_f64 v[194:195], v[194:195], v[170:171]
	v_fmac_f64_e32 v[194:195], v[196:197], v[192:193]
	v_add_f64 v[94:95], v[94:95], -v[194:195]
	ds_read2_b64 v[194:197], v186 offset0:48 offset1:49
	v_add_f64 v[92:93], v[92:93], -v[168:169]
	s_waitcnt lgkmcnt(0)
	v_mul_f64 v[168:169], v[196:197], v[170:171]
	v_fma_f64 v[168:169], v[194:195], v[192:193], -v[168:169]
	v_mul_f64 v[194:195], v[194:195], v[170:171]
	v_fmac_f64_e32 v[194:195], v[196:197], v[192:193]
	v_add_f64 v[90:91], v[90:91], -v[194:195]
	ds_read2_b64 v[194:197], v186 offset0:50 offset1:51
	v_add_f64 v[88:89], v[88:89], -v[168:169]
	s_waitcnt lgkmcnt(0)
	v_mul_f64 v[168:169], v[196:197], v[170:171]
	v_fma_f64 v[168:169], v[194:195], v[192:193], -v[168:169]
	v_mul_f64 v[194:195], v[194:195], v[170:171]
	v_fmac_f64_e32 v[194:195], v[196:197], v[192:193]
	v_add_f64 v[86:87], v[86:87], -v[194:195]
	ds_read2_b64 v[194:197], v186 offset0:52 offset1:53
	v_add_f64 v[84:85], v[84:85], -v[168:169]
	s_waitcnt lgkmcnt(0)
	v_mul_f64 v[168:169], v[196:197], v[170:171]
	v_fma_f64 v[168:169], v[194:195], v[192:193], -v[168:169]
	v_mul_f64 v[194:195], v[194:195], v[170:171]
	v_fmac_f64_e32 v[194:195], v[196:197], v[192:193]
	v_add_f64 v[82:83], v[82:83], -v[194:195]
	ds_read2_b64 v[194:197], v186 offset0:54 offset1:55
	v_add_f64 v[80:81], v[80:81], -v[168:169]
	s_waitcnt lgkmcnt(0)
	v_mul_f64 v[168:169], v[196:197], v[170:171]
	v_fma_f64 v[168:169], v[194:195], v[192:193], -v[168:169]
	v_mul_f64 v[194:195], v[194:195], v[170:171]
	v_fmac_f64_e32 v[194:195], v[196:197], v[192:193]
	v_add_f64 v[78:79], v[78:79], -v[194:195]
	ds_read2_b64 v[194:197], v186 offset0:56 offset1:57
	v_add_f64 v[76:77], v[76:77], -v[168:169]
	s_waitcnt lgkmcnt(0)
	v_mul_f64 v[168:169], v[196:197], v[170:171]
	v_fma_f64 v[168:169], v[194:195], v[192:193], -v[168:169]
	v_mul_f64 v[194:195], v[194:195], v[170:171]
	v_fmac_f64_e32 v[194:195], v[196:197], v[192:193]
	v_add_f64 v[74:75], v[74:75], -v[194:195]
	ds_read2_b64 v[194:197], v186 offset0:58 offset1:59
	v_add_f64 v[72:73], v[72:73], -v[168:169]
	s_waitcnt lgkmcnt(0)
	v_mul_f64 v[168:169], v[196:197], v[170:171]
	v_fma_f64 v[168:169], v[194:195], v[192:193], -v[168:169]
	v_mul_f64 v[194:195], v[194:195], v[170:171]
	v_fmac_f64_e32 v[194:195], v[196:197], v[192:193]
	v_add_f64 v[70:71], v[70:71], -v[194:195]
	ds_read2_b64 v[194:197], v186 offset0:60 offset1:61
	v_add_f64 v[68:69], v[68:69], -v[168:169]
	s_waitcnt lgkmcnt(0)
	v_mul_f64 v[168:169], v[196:197], v[170:171]
	v_fma_f64 v[168:169], v[194:195], v[192:193], -v[168:169]
	v_mul_f64 v[194:195], v[194:195], v[170:171]
	v_fmac_f64_e32 v[194:195], v[196:197], v[192:193]
	v_add_f64 v[66:67], v[66:67], -v[194:195]
	ds_read2_b64 v[194:197], v186 offset0:62 offset1:63
	v_add_f64 v[64:65], v[64:65], -v[168:169]
	s_waitcnt lgkmcnt(0)
	v_mul_f64 v[168:169], v[196:197], v[170:171]
	v_fma_f64 v[168:169], v[194:195], v[192:193], -v[168:169]
	v_mul_f64 v[194:195], v[194:195], v[170:171]
	v_fmac_f64_e32 v[194:195], v[196:197], v[192:193]
	v_add_f64 v[62:63], v[62:63], -v[194:195]
	ds_read2_b64 v[194:197], v186 offset0:64 offset1:65
	v_add_f64 v[60:61], v[60:61], -v[168:169]
	s_waitcnt lgkmcnt(0)
	v_mul_f64 v[168:169], v[196:197], v[170:171]
	v_fma_f64 v[168:169], v[194:195], v[192:193], -v[168:169]
	v_mul_f64 v[194:195], v[194:195], v[170:171]
	v_fmac_f64_e32 v[194:195], v[196:197], v[192:193]
	v_add_f64 v[58:59], v[58:59], -v[194:195]
	ds_read2_b64 v[194:197], v186 offset0:66 offset1:67
	v_add_f64 v[56:57], v[56:57], -v[168:169]
	s_waitcnt lgkmcnt(0)
	v_mul_f64 v[168:169], v[196:197], v[170:171]
	v_fma_f64 v[168:169], v[194:195], v[192:193], -v[168:169]
	v_mul_f64 v[194:195], v[194:195], v[170:171]
	v_fmac_f64_e32 v[194:195], v[196:197], v[192:193]
	v_add_f64 v[54:55], v[54:55], -v[194:195]
	ds_read2_b64 v[194:197], v186 offset0:68 offset1:69
	v_add_f64 v[52:53], v[52:53], -v[168:169]
	s_waitcnt lgkmcnt(0)
	v_mul_f64 v[168:169], v[196:197], v[170:171]
	v_fma_f64 v[168:169], v[194:195], v[192:193], -v[168:169]
	v_mul_f64 v[194:195], v[194:195], v[170:171]
	v_fmac_f64_e32 v[194:195], v[196:197], v[192:193]
	v_add_f64 v[50:51], v[50:51], -v[194:195]
	ds_read2_b64 v[194:197], v186 offset0:70 offset1:71
	v_add_f64 v[48:49], v[48:49], -v[168:169]
	s_waitcnt lgkmcnt(0)
	v_mul_f64 v[168:169], v[196:197], v[170:171]
	v_fma_f64 v[168:169], v[194:195], v[192:193], -v[168:169]
	v_mul_f64 v[194:195], v[194:195], v[170:171]
	v_fmac_f64_e32 v[194:195], v[196:197], v[192:193]
	v_add_f64 v[46:47], v[46:47], -v[194:195]
	ds_read2_b64 v[194:197], v186 offset0:72 offset1:73
	v_add_f64 v[44:45], v[44:45], -v[168:169]
	s_waitcnt lgkmcnt(0)
	v_mul_f64 v[168:169], v[196:197], v[170:171]
	v_fma_f64 v[168:169], v[194:195], v[192:193], -v[168:169]
	v_mul_f64 v[194:195], v[194:195], v[170:171]
	v_fmac_f64_e32 v[194:195], v[196:197], v[192:193]
	v_add_f64 v[42:43], v[42:43], -v[194:195]
	ds_read2_b64 v[194:197], v186 offset0:74 offset1:75
	v_add_f64 v[40:41], v[40:41], -v[168:169]
	s_waitcnt lgkmcnt(0)
	v_mul_f64 v[168:169], v[196:197], v[170:171]
	v_fma_f64 v[168:169], v[194:195], v[192:193], -v[168:169]
	v_mul_f64 v[194:195], v[194:195], v[170:171]
	v_fmac_f64_e32 v[194:195], v[196:197], v[192:193]
	v_add_f64 v[38:39], v[38:39], -v[194:195]
	ds_read2_b64 v[194:197], v186 offset0:76 offset1:77
	v_add_f64 v[36:37], v[36:37], -v[168:169]
	s_waitcnt lgkmcnt(0)
	v_mul_f64 v[168:169], v[196:197], v[170:171]
	v_fma_f64 v[168:169], v[194:195], v[192:193], -v[168:169]
	v_mul_f64 v[194:195], v[194:195], v[170:171]
	v_fmac_f64_e32 v[194:195], v[196:197], v[192:193]
	v_add_f64 v[34:35], v[34:35], -v[194:195]
	ds_read2_b64 v[194:197], v186 offset0:78 offset1:79
	v_add_f64 v[32:33], v[32:33], -v[168:169]
	s_waitcnt lgkmcnt(0)
	v_mul_f64 v[168:169], v[196:197], v[170:171]
	v_fma_f64 v[168:169], v[194:195], v[192:193], -v[168:169]
	v_mul_f64 v[194:195], v[194:195], v[170:171]
	v_fmac_f64_e32 v[194:195], v[196:197], v[192:193]
	v_add_f64 v[30:31], v[30:31], -v[194:195]
	ds_read2_b64 v[194:197], v186 offset0:80 offset1:81
	v_add_f64 v[28:29], v[28:29], -v[168:169]
	s_waitcnt lgkmcnt(0)
	v_mul_f64 v[168:169], v[196:197], v[170:171]
	v_fma_f64 v[168:169], v[194:195], v[192:193], -v[168:169]
	v_mul_f64 v[194:195], v[194:195], v[170:171]
	v_fmac_f64_e32 v[194:195], v[196:197], v[192:193]
	v_add_f64 v[26:27], v[26:27], -v[194:195]
	ds_read2_b64 v[194:197], v186 offset0:82 offset1:83
	v_add_f64 v[24:25], v[24:25], -v[168:169]
	s_waitcnt lgkmcnt(0)
	v_mul_f64 v[168:169], v[196:197], v[170:171]
	v_fma_f64 v[168:169], v[194:195], v[192:193], -v[168:169]
	v_mul_f64 v[194:195], v[194:195], v[170:171]
	v_fmac_f64_e32 v[194:195], v[196:197], v[192:193]
	v_add_f64 v[22:23], v[22:23], -v[194:195]
	ds_read2_b64 v[194:197], v186 offset0:84 offset1:85
	v_add_f64 v[20:21], v[20:21], -v[168:169]
	s_waitcnt lgkmcnt(0)
	v_mul_f64 v[168:169], v[196:197], v[170:171]
	v_fma_f64 v[168:169], v[194:195], v[192:193], -v[168:169]
	v_mul_f64 v[194:195], v[194:195], v[170:171]
	v_fmac_f64_e32 v[194:195], v[196:197], v[192:193]
	v_add_f64 v[18:19], v[18:19], -v[194:195]
	ds_read2_b64 v[194:197], v186 offset0:86 offset1:87
	v_add_f64 v[16:17], v[16:17], -v[168:169]
	s_waitcnt lgkmcnt(0)
	v_mul_f64 v[168:169], v[196:197], v[170:171]
	v_fma_f64 v[168:169], v[194:195], v[192:193], -v[168:169]
	v_mul_f64 v[194:195], v[194:195], v[170:171]
	v_fmac_f64_e32 v[194:195], v[196:197], v[192:193]
	v_add_f64 v[14:15], v[14:15], -v[194:195]
	ds_read2_b64 v[194:197], v186 offset0:88 offset1:89
	v_add_f64 v[12:13], v[12:13], -v[168:169]
	s_waitcnt lgkmcnt(0)
	v_mul_f64 v[168:169], v[196:197], v[170:171]
	v_fma_f64 v[168:169], v[194:195], v[192:193], -v[168:169]
	v_mul_f64 v[194:195], v[194:195], v[170:171]
	v_fmac_f64_e32 v[194:195], v[196:197], v[192:193]
	v_add_f64 v[10:11], v[10:11], -v[194:195]
	ds_read2_b64 v[194:197], v186 offset0:90 offset1:91
	v_add_f64 v[8:9], v[8:9], -v[168:169]
	s_waitcnt lgkmcnt(0)
	v_mul_f64 v[168:169], v[196:197], v[170:171]
	v_fma_f64 v[168:169], v[194:195], v[192:193], -v[168:169]
	v_mul_f64 v[194:195], v[194:195], v[170:171]
	v_fmac_f64_e32 v[194:195], v[196:197], v[192:193]
	v_add_f64 v[6:7], v[6:7], -v[194:195]
	ds_read2_b64 v[194:197], v186 offset0:92 offset1:93
	v_add_f64 v[4:5], v[4:5], -v[168:169]
	s_waitcnt lgkmcnt(0)
	v_mul_f64 v[168:169], v[196:197], v[170:171]
	v_fma_f64 v[168:169], v[194:195], v[192:193], -v[168:169]
	v_mul_f64 v[194:195], v[194:195], v[170:171]
	v_fmac_f64_e32 v[194:195], v[196:197], v[192:193]
	v_add_f64 v[2:3], v[2:3], -v[194:195]
	ds_read2_b64 v[194:197], v186 offset0:94 offset1:95
	v_add_f64 v[0:1], v[0:1], -v[168:169]
	s_waitcnt lgkmcnt(0)
	v_mul_f64 v[168:169], v[196:197], v[170:171]
	v_fma_f64 v[168:169], v[194:195], v[192:193], -v[168:169]
	v_mul_f64 v[194:195], v[194:195], v[170:171]
	v_fmac_f64_e32 v[194:195], v[196:197], v[192:193]
	v_add_f64 v[188:189], v[188:189], -v[168:169]
	v_add_f64 v[190:191], v[190:191], -v[194:195]
	v_mov_b64_e32 v[168:169], v[192:193]
.LBB95_46:
	s_or_b64 exec, exec, s[2:3]
	v_cmp_eq_u32_e32 vcc, 5, v184
	s_waitcnt vmcnt(63) expcnt(7) lgkmcnt(15)
	s_barrier
	s_and_saveexec_b64 s[4:5], vcc
	s_cbranch_execz .LBB95_53
; %bb.47:
	ds_write2_b64 v185, v[164:165], v[166:167] offset1:1
	ds_write2_b64 v186, v[160:161], v[162:163] offset0:12 offset1:13
	ds_write2_b64 v186, v[156:157], v[158:159] offset0:14 offset1:15
	;; [unrolled: 1-line block ×24, first 2 shown]
	s_waitcnt vmcnt(37)
	ds_write2_b64 v186, v[64:65], v[66:67] offset0:60 offset1:61
	s_waitcnt vmcnt(35)
	ds_write2_b64 v186, v[60:61], v[62:63] offset0:62 offset1:63
	;; [unrolled: 2-line block ×15, first 2 shown]
	ds_write2_b64 v186, v[4:5], v[6:7] offset0:90 offset1:91
	ds_write2_b64 v186, v[0:1], v[2:3] offset0:92 offset1:93
	s_waitcnt vmcnt(20)
	ds_write2_b64 v186, v[188:189], v[190:191] offset0:94 offset1:95
	ds_read2_b64 v[192:195], v185 offset1:1
	s_waitcnt lgkmcnt(0)
	v_cmp_neq_f64_e32 vcc, 0, v[192:193]
	v_cmp_neq_f64_e64 s[2:3], 0, v[194:195]
	s_or_b64 s[2:3], vcc, s[2:3]
	s_and_b64 exec, exec, s[2:3]
	s_cbranch_execz .LBB95_53
; %bb.48:
	v_cmp_ngt_f64_e64 s[2:3], |v[192:193]|, |v[194:195]|
                                        ; implicit-def: $vgpr196_vgpr197
	s_and_saveexec_b64 s[10:11], s[2:3]
	s_xor_b64 s[2:3], exec, s[10:11]
                                        ; implicit-def: $vgpr198_vgpr199
	s_cbranch_execz .LBB95_50
; %bb.49:
	v_div_scale_f64 v[196:197], s[10:11], v[194:195], v[194:195], v[192:193]
	v_rcp_f64_e32 v[198:199], v[196:197]
	v_div_scale_f64 v[200:201], vcc, v[192:193], v[194:195], v[192:193]
	v_fma_f64 v[202:203], -v[196:197], v[198:199], 1.0
	v_fmac_f64_e32 v[198:199], v[198:199], v[202:203]
	v_fma_f64 v[202:203], -v[196:197], v[198:199], 1.0
	v_fmac_f64_e32 v[198:199], v[198:199], v[202:203]
	v_mul_f64 v[202:203], v[200:201], v[198:199]
	v_fma_f64 v[196:197], -v[196:197], v[202:203], v[200:201]
	v_div_fmas_f64 v[196:197], v[196:197], v[198:199], v[202:203]
	v_div_fixup_f64 v[196:197], v[196:197], v[194:195], v[192:193]
	v_fmac_f64_e32 v[194:195], v[192:193], v[196:197]
	v_div_scale_f64 v[192:193], s[10:11], v[194:195], v[194:195], 1.0
	v_rcp_f64_e32 v[198:199], v[192:193]
	s_nop 0
	v_fma_f64 v[200:201], -v[192:193], v[198:199], 1.0
	v_fmac_f64_e32 v[198:199], v[198:199], v[200:201]
	v_fma_f64 v[200:201], -v[192:193], v[198:199], 1.0
	v_fmac_f64_e32 v[198:199], v[198:199], v[200:201]
	v_div_scale_f64 v[200:201], vcc, 1.0, v[194:195], 1.0
	v_mul_f64 v[202:203], v[200:201], v[198:199]
	v_fma_f64 v[192:193], -v[192:193], v[202:203], v[200:201]
	s_nop 1
	v_div_fmas_f64 v[192:193], v[192:193], v[198:199], v[202:203]
	v_div_fixup_f64 v[198:199], v[192:193], v[194:195], 1.0
	v_mul_f64 v[196:197], v[196:197], v[198:199]
	v_xor_b32_e32 v199, 0x80000000, v199
                                        ; implicit-def: $vgpr192_vgpr193
.LBB95_50:
	s_andn2_saveexec_b64 s[2:3], s[2:3]
	s_cbranch_execz .LBB95_52
; %bb.51:
	v_div_scale_f64 v[196:197], s[10:11], v[192:193], v[192:193], v[194:195]
	v_rcp_f64_e32 v[198:199], v[196:197]
	v_div_scale_f64 v[200:201], vcc, v[194:195], v[192:193], v[194:195]
	v_fma_f64 v[202:203], -v[196:197], v[198:199], 1.0
	v_fmac_f64_e32 v[198:199], v[198:199], v[202:203]
	v_fma_f64 v[202:203], -v[196:197], v[198:199], 1.0
	v_fmac_f64_e32 v[198:199], v[198:199], v[202:203]
	v_mul_f64 v[202:203], v[200:201], v[198:199]
	v_fma_f64 v[196:197], -v[196:197], v[202:203], v[200:201]
	v_div_fmas_f64 v[196:197], v[196:197], v[198:199], v[202:203]
	v_div_fixup_f64 v[198:199], v[196:197], v[192:193], v[194:195]
	v_fmac_f64_e32 v[192:193], v[194:195], v[198:199]
	v_div_scale_f64 v[194:195], s[10:11], v[192:193], v[192:193], 1.0
	v_rcp_f64_e32 v[196:197], v[194:195]
	s_nop 0
	v_fma_f64 v[200:201], -v[194:195], v[196:197], 1.0
	v_fmac_f64_e32 v[196:197], v[196:197], v[200:201]
	v_fma_f64 v[200:201], -v[194:195], v[196:197], 1.0
	v_fmac_f64_e32 v[196:197], v[196:197], v[200:201]
	v_div_scale_f64 v[200:201], vcc, 1.0, v[192:193], 1.0
	v_mul_f64 v[202:203], v[200:201], v[196:197]
	v_fma_f64 v[194:195], -v[194:195], v[202:203], v[200:201]
	s_nop 1
	v_div_fmas_f64 v[194:195], v[194:195], v[196:197], v[202:203]
	v_div_fixup_f64 v[196:197], v[194:195], v[192:193], 1.0
	v_mul_f64 v[198:199], v[198:199], -v[196:197]
.LBB95_52:
	s_or_b64 exec, exec, s[2:3]
	ds_write2_b64 v185, v[196:197], v[198:199] offset1:1
.LBB95_53:
	s_or_b64 exec, exec, s[4:5]
	s_waitcnt lgkmcnt(0)
	s_barrier
	ds_read2_b64 v[192:195], v185 offset1:1
	v_cmp_lt_u32_e32 vcc, 5, v184
	s_waitcnt lgkmcnt(0)
	scratch_store_dwordx4 off, v[192:195], off offset:480 ; 16-byte Folded Spill
	s_and_saveexec_b64 s[2:3], vcc
	s_cbranch_execz .LBB95_55
; %bb.54:
	scratch_load_dwordx4 v[194:197], off, off offset:480 ; 16-byte Folded Reload
	s_waitcnt vmcnt(0)
	v_mul_f64 v[192:193], v[196:197], v[166:167]
	v_mul_f64 v[166:167], v[194:195], v[166:167]
	v_fma_f64 v[192:193], v[194:195], v[164:165], -v[192:193]
	v_fmac_f64_e32 v[166:167], v[196:197], v[164:165]
	ds_read2_b64 v[194:197], v186 offset0:12 offset1:13
	s_waitcnt lgkmcnt(0)
	v_mul_f64 v[164:165], v[196:197], v[166:167]
	v_fma_f64 v[164:165], v[194:195], v[192:193], -v[164:165]
	v_mul_f64 v[194:195], v[194:195], v[166:167]
	v_fmac_f64_e32 v[194:195], v[196:197], v[192:193]
	v_add_f64 v[162:163], v[162:163], -v[194:195]
	ds_read2_b64 v[194:197], v186 offset0:14 offset1:15
	v_add_f64 v[160:161], v[160:161], -v[164:165]
	s_waitcnt lgkmcnt(0)
	v_mul_f64 v[164:165], v[196:197], v[166:167]
	v_fma_f64 v[164:165], v[194:195], v[192:193], -v[164:165]
	v_mul_f64 v[194:195], v[194:195], v[166:167]
	v_fmac_f64_e32 v[194:195], v[196:197], v[192:193]
	v_add_f64 v[158:159], v[158:159], -v[194:195]
	ds_read2_b64 v[194:197], v186 offset0:16 offset1:17
	v_add_f64 v[156:157], v[156:157], -v[164:165]
	;; [unrolled: 8-line block ×41, first 2 shown]
	s_waitcnt lgkmcnt(0)
	v_mul_f64 v[164:165], v[196:197], v[166:167]
	v_fma_f64 v[164:165], v[194:195], v[192:193], -v[164:165]
	v_mul_f64 v[194:195], v[194:195], v[166:167]
	v_fmac_f64_e32 v[194:195], v[196:197], v[192:193]
	v_add_f64 v[188:189], v[188:189], -v[164:165]
	v_add_f64 v[190:191], v[190:191], -v[194:195]
	v_mov_b64_e32 v[164:165], v[192:193]
.LBB95_55:
	s_or_b64 exec, exec, s[2:3]
	v_cmp_eq_u32_e32 vcc, 6, v184
	s_waitcnt vmcnt(63) expcnt(7) lgkmcnt(15)
	s_barrier
	s_and_saveexec_b64 s[4:5], vcc
	s_cbranch_execz .LBB95_62
; %bb.56:
	ds_write2_b64 v185, v[160:161], v[162:163] offset1:1
	ds_write2_b64 v186, v[156:157], v[158:159] offset0:14 offset1:15
	ds_write2_b64 v186, v[152:153], v[154:155] offset0:16 offset1:17
	;; [unrolled: 1-line block ×23, first 2 shown]
	s_waitcnt vmcnt(38)
	ds_write2_b64 v186, v[64:65], v[66:67] offset0:60 offset1:61
	s_waitcnt vmcnt(36)
	ds_write2_b64 v186, v[60:61], v[62:63] offset0:62 offset1:63
	;; [unrolled: 2-line block ×15, first 2 shown]
	ds_write2_b64 v186, v[4:5], v[6:7] offset0:90 offset1:91
	ds_write2_b64 v186, v[0:1], v[2:3] offset0:92 offset1:93
	s_waitcnt vmcnt(21)
	ds_write2_b64 v186, v[188:189], v[190:191] offset0:94 offset1:95
	ds_read2_b64 v[192:195], v185 offset1:1
	s_waitcnt lgkmcnt(0)
	v_cmp_neq_f64_e32 vcc, 0, v[192:193]
	v_cmp_neq_f64_e64 s[2:3], 0, v[194:195]
	s_or_b64 s[2:3], vcc, s[2:3]
	s_and_b64 exec, exec, s[2:3]
	s_cbranch_execz .LBB95_62
; %bb.57:
	v_cmp_ngt_f64_e64 s[2:3], |v[192:193]|, |v[194:195]|
                                        ; implicit-def: $vgpr196_vgpr197
	s_and_saveexec_b64 s[10:11], s[2:3]
	s_xor_b64 s[2:3], exec, s[10:11]
                                        ; implicit-def: $vgpr198_vgpr199
	s_cbranch_execz .LBB95_59
; %bb.58:
	v_div_scale_f64 v[196:197], s[10:11], v[194:195], v[194:195], v[192:193]
	v_rcp_f64_e32 v[198:199], v[196:197]
	v_div_scale_f64 v[200:201], vcc, v[192:193], v[194:195], v[192:193]
	v_fma_f64 v[202:203], -v[196:197], v[198:199], 1.0
	v_fmac_f64_e32 v[198:199], v[198:199], v[202:203]
	v_fma_f64 v[202:203], -v[196:197], v[198:199], 1.0
	v_fmac_f64_e32 v[198:199], v[198:199], v[202:203]
	v_mul_f64 v[202:203], v[200:201], v[198:199]
	v_fma_f64 v[196:197], -v[196:197], v[202:203], v[200:201]
	v_div_fmas_f64 v[196:197], v[196:197], v[198:199], v[202:203]
	v_div_fixup_f64 v[196:197], v[196:197], v[194:195], v[192:193]
	v_fmac_f64_e32 v[194:195], v[192:193], v[196:197]
	v_div_scale_f64 v[192:193], s[10:11], v[194:195], v[194:195], 1.0
	v_rcp_f64_e32 v[198:199], v[192:193]
	s_nop 0
	v_fma_f64 v[200:201], -v[192:193], v[198:199], 1.0
	v_fmac_f64_e32 v[198:199], v[198:199], v[200:201]
	v_fma_f64 v[200:201], -v[192:193], v[198:199], 1.0
	v_fmac_f64_e32 v[198:199], v[198:199], v[200:201]
	v_div_scale_f64 v[200:201], vcc, 1.0, v[194:195], 1.0
	v_mul_f64 v[202:203], v[200:201], v[198:199]
	v_fma_f64 v[192:193], -v[192:193], v[202:203], v[200:201]
	s_nop 1
	v_div_fmas_f64 v[192:193], v[192:193], v[198:199], v[202:203]
	v_div_fixup_f64 v[198:199], v[192:193], v[194:195], 1.0
	v_mul_f64 v[196:197], v[196:197], v[198:199]
	v_xor_b32_e32 v199, 0x80000000, v199
                                        ; implicit-def: $vgpr192_vgpr193
.LBB95_59:
	s_andn2_saveexec_b64 s[2:3], s[2:3]
	s_cbranch_execz .LBB95_61
; %bb.60:
	v_div_scale_f64 v[196:197], s[10:11], v[192:193], v[192:193], v[194:195]
	v_rcp_f64_e32 v[198:199], v[196:197]
	v_div_scale_f64 v[200:201], vcc, v[194:195], v[192:193], v[194:195]
	v_fma_f64 v[202:203], -v[196:197], v[198:199], 1.0
	v_fmac_f64_e32 v[198:199], v[198:199], v[202:203]
	v_fma_f64 v[202:203], -v[196:197], v[198:199], 1.0
	v_fmac_f64_e32 v[198:199], v[198:199], v[202:203]
	v_mul_f64 v[202:203], v[200:201], v[198:199]
	v_fma_f64 v[196:197], -v[196:197], v[202:203], v[200:201]
	v_div_fmas_f64 v[196:197], v[196:197], v[198:199], v[202:203]
	v_div_fixup_f64 v[198:199], v[196:197], v[192:193], v[194:195]
	v_fmac_f64_e32 v[192:193], v[194:195], v[198:199]
	v_div_scale_f64 v[194:195], s[10:11], v[192:193], v[192:193], 1.0
	v_rcp_f64_e32 v[196:197], v[194:195]
	s_nop 0
	v_fma_f64 v[200:201], -v[194:195], v[196:197], 1.0
	v_fmac_f64_e32 v[196:197], v[196:197], v[200:201]
	v_fma_f64 v[200:201], -v[194:195], v[196:197], 1.0
	v_fmac_f64_e32 v[196:197], v[196:197], v[200:201]
	v_div_scale_f64 v[200:201], vcc, 1.0, v[192:193], 1.0
	v_mul_f64 v[202:203], v[200:201], v[196:197]
	v_fma_f64 v[194:195], -v[194:195], v[202:203], v[200:201]
	s_nop 1
	v_div_fmas_f64 v[194:195], v[194:195], v[196:197], v[202:203]
	v_div_fixup_f64 v[196:197], v[194:195], v[192:193], 1.0
	v_mul_f64 v[198:199], v[198:199], -v[196:197]
.LBB95_61:
	s_or_b64 exec, exec, s[2:3]
	ds_write2_b64 v185, v[196:197], v[198:199] offset1:1
.LBB95_62:
	s_or_b64 exec, exec, s[4:5]
	s_waitcnt lgkmcnt(0)
	s_barrier
	ds_read2_b64 v[192:195], v185 offset1:1
	v_cmp_lt_u32_e32 vcc, 6, v184
	s_waitcnt lgkmcnt(0)
	scratch_store_dwordx4 off, v[192:195], off offset:496 ; 16-byte Folded Spill
	s_and_saveexec_b64 s[2:3], vcc
	s_cbranch_execz .LBB95_64
; %bb.63:
	scratch_load_dwordx4 v[194:197], off, off offset:496 ; 16-byte Folded Reload
	s_waitcnt vmcnt(0)
	v_mul_f64 v[192:193], v[196:197], v[162:163]
	v_mul_f64 v[162:163], v[194:195], v[162:163]
	v_fma_f64 v[192:193], v[194:195], v[160:161], -v[192:193]
	v_fmac_f64_e32 v[162:163], v[196:197], v[160:161]
	ds_read2_b64 v[194:197], v186 offset0:14 offset1:15
	s_waitcnt lgkmcnt(0)
	v_mul_f64 v[160:161], v[196:197], v[162:163]
	v_fma_f64 v[160:161], v[194:195], v[192:193], -v[160:161]
	v_mul_f64 v[194:195], v[194:195], v[162:163]
	v_fmac_f64_e32 v[194:195], v[196:197], v[192:193]
	v_add_f64 v[158:159], v[158:159], -v[194:195]
	ds_read2_b64 v[194:197], v186 offset0:16 offset1:17
	v_add_f64 v[156:157], v[156:157], -v[160:161]
	s_waitcnt lgkmcnt(0)
	v_mul_f64 v[160:161], v[196:197], v[162:163]
	v_fma_f64 v[160:161], v[194:195], v[192:193], -v[160:161]
	v_mul_f64 v[194:195], v[194:195], v[162:163]
	v_fmac_f64_e32 v[194:195], v[196:197], v[192:193]
	v_add_f64 v[154:155], v[154:155], -v[194:195]
	ds_read2_b64 v[194:197], v186 offset0:18 offset1:19
	v_add_f64 v[152:153], v[152:153], -v[160:161]
	;; [unrolled: 8-line block ×40, first 2 shown]
	s_waitcnt lgkmcnt(0)
	v_mul_f64 v[160:161], v[196:197], v[162:163]
	v_fma_f64 v[160:161], v[194:195], v[192:193], -v[160:161]
	v_mul_f64 v[194:195], v[194:195], v[162:163]
	v_fmac_f64_e32 v[194:195], v[196:197], v[192:193]
	v_add_f64 v[188:189], v[188:189], -v[160:161]
	v_add_f64 v[190:191], v[190:191], -v[194:195]
	v_mov_b64_e32 v[160:161], v[192:193]
.LBB95_64:
	s_or_b64 exec, exec, s[2:3]
	v_cmp_eq_u32_e32 vcc, 7, v184
	s_waitcnt vmcnt(63) expcnt(7) lgkmcnt(15)
	s_barrier
	s_and_saveexec_b64 s[4:5], vcc
	s_cbranch_execz .LBB95_71
; %bb.65:
	ds_write2_b64 v185, v[156:157], v[158:159] offset1:1
	ds_write2_b64 v186, v[152:153], v[154:155] offset0:16 offset1:17
	ds_write2_b64 v186, v[148:149], v[150:151] offset0:18 offset1:19
	;; [unrolled: 1-line block ×22, first 2 shown]
	s_waitcnt vmcnt(39)
	ds_write2_b64 v186, v[64:65], v[66:67] offset0:60 offset1:61
	s_waitcnt vmcnt(37)
	ds_write2_b64 v186, v[60:61], v[62:63] offset0:62 offset1:63
	;; [unrolled: 2-line block ×15, first 2 shown]
	ds_write2_b64 v186, v[4:5], v[6:7] offset0:90 offset1:91
	ds_write2_b64 v186, v[0:1], v[2:3] offset0:92 offset1:93
	s_waitcnt vmcnt(22)
	ds_write2_b64 v186, v[188:189], v[190:191] offset0:94 offset1:95
	ds_read2_b64 v[192:195], v185 offset1:1
	s_waitcnt lgkmcnt(0)
	v_cmp_neq_f64_e32 vcc, 0, v[192:193]
	v_cmp_neq_f64_e64 s[2:3], 0, v[194:195]
	s_or_b64 s[2:3], vcc, s[2:3]
	s_and_b64 exec, exec, s[2:3]
	s_cbranch_execz .LBB95_71
; %bb.66:
	v_cmp_ngt_f64_e64 s[2:3], |v[192:193]|, |v[194:195]|
                                        ; implicit-def: $vgpr196_vgpr197
	s_and_saveexec_b64 s[10:11], s[2:3]
	s_xor_b64 s[2:3], exec, s[10:11]
                                        ; implicit-def: $vgpr198_vgpr199
	s_cbranch_execz .LBB95_68
; %bb.67:
	v_div_scale_f64 v[196:197], s[10:11], v[194:195], v[194:195], v[192:193]
	v_rcp_f64_e32 v[198:199], v[196:197]
	v_div_scale_f64 v[200:201], vcc, v[192:193], v[194:195], v[192:193]
	v_fma_f64 v[202:203], -v[196:197], v[198:199], 1.0
	v_fmac_f64_e32 v[198:199], v[198:199], v[202:203]
	v_fma_f64 v[202:203], -v[196:197], v[198:199], 1.0
	v_fmac_f64_e32 v[198:199], v[198:199], v[202:203]
	v_mul_f64 v[202:203], v[200:201], v[198:199]
	v_fma_f64 v[196:197], -v[196:197], v[202:203], v[200:201]
	v_div_fmas_f64 v[196:197], v[196:197], v[198:199], v[202:203]
	v_div_fixup_f64 v[196:197], v[196:197], v[194:195], v[192:193]
	v_fmac_f64_e32 v[194:195], v[192:193], v[196:197]
	v_div_scale_f64 v[192:193], s[10:11], v[194:195], v[194:195], 1.0
	v_rcp_f64_e32 v[198:199], v[192:193]
	s_nop 0
	v_fma_f64 v[200:201], -v[192:193], v[198:199], 1.0
	v_fmac_f64_e32 v[198:199], v[198:199], v[200:201]
	v_fma_f64 v[200:201], -v[192:193], v[198:199], 1.0
	v_fmac_f64_e32 v[198:199], v[198:199], v[200:201]
	v_div_scale_f64 v[200:201], vcc, 1.0, v[194:195], 1.0
	v_mul_f64 v[202:203], v[200:201], v[198:199]
	v_fma_f64 v[192:193], -v[192:193], v[202:203], v[200:201]
	s_nop 1
	v_div_fmas_f64 v[192:193], v[192:193], v[198:199], v[202:203]
	v_div_fixup_f64 v[198:199], v[192:193], v[194:195], 1.0
	v_mul_f64 v[196:197], v[196:197], v[198:199]
	v_xor_b32_e32 v199, 0x80000000, v199
                                        ; implicit-def: $vgpr192_vgpr193
.LBB95_68:
	s_andn2_saveexec_b64 s[2:3], s[2:3]
	s_cbranch_execz .LBB95_70
; %bb.69:
	v_div_scale_f64 v[196:197], s[10:11], v[192:193], v[192:193], v[194:195]
	v_rcp_f64_e32 v[198:199], v[196:197]
	v_div_scale_f64 v[200:201], vcc, v[194:195], v[192:193], v[194:195]
	v_fma_f64 v[202:203], -v[196:197], v[198:199], 1.0
	v_fmac_f64_e32 v[198:199], v[198:199], v[202:203]
	v_fma_f64 v[202:203], -v[196:197], v[198:199], 1.0
	v_fmac_f64_e32 v[198:199], v[198:199], v[202:203]
	v_mul_f64 v[202:203], v[200:201], v[198:199]
	v_fma_f64 v[196:197], -v[196:197], v[202:203], v[200:201]
	v_div_fmas_f64 v[196:197], v[196:197], v[198:199], v[202:203]
	v_div_fixup_f64 v[198:199], v[196:197], v[192:193], v[194:195]
	v_fmac_f64_e32 v[192:193], v[194:195], v[198:199]
	v_div_scale_f64 v[194:195], s[10:11], v[192:193], v[192:193], 1.0
	v_rcp_f64_e32 v[196:197], v[194:195]
	s_nop 0
	v_fma_f64 v[200:201], -v[194:195], v[196:197], 1.0
	v_fmac_f64_e32 v[196:197], v[196:197], v[200:201]
	v_fma_f64 v[200:201], -v[194:195], v[196:197], 1.0
	v_fmac_f64_e32 v[196:197], v[196:197], v[200:201]
	v_div_scale_f64 v[200:201], vcc, 1.0, v[192:193], 1.0
	v_mul_f64 v[202:203], v[200:201], v[196:197]
	v_fma_f64 v[194:195], -v[194:195], v[202:203], v[200:201]
	s_nop 1
	v_div_fmas_f64 v[194:195], v[194:195], v[196:197], v[202:203]
	v_div_fixup_f64 v[196:197], v[194:195], v[192:193], 1.0
	v_mul_f64 v[198:199], v[198:199], -v[196:197]
.LBB95_70:
	s_or_b64 exec, exec, s[2:3]
	ds_write2_b64 v185, v[196:197], v[198:199] offset1:1
.LBB95_71:
	s_or_b64 exec, exec, s[4:5]
	s_waitcnt lgkmcnt(0)
	s_barrier
	ds_read2_b64 v[192:195], v185 offset1:1
	v_cmp_lt_u32_e32 vcc, 7, v184
	s_waitcnt lgkmcnt(0)
	scratch_store_dwordx4 off, v[192:195], off offset:512 ; 16-byte Folded Spill
	s_and_saveexec_b64 s[2:3], vcc
	s_cbranch_execz .LBB95_73
; %bb.72:
	scratch_load_dwordx4 v[194:197], off, off offset:512 ; 16-byte Folded Reload
	s_waitcnt vmcnt(0)
	v_mul_f64 v[192:193], v[196:197], v[158:159]
	v_mul_f64 v[158:159], v[194:195], v[158:159]
	v_fma_f64 v[192:193], v[194:195], v[156:157], -v[192:193]
	v_fmac_f64_e32 v[158:159], v[196:197], v[156:157]
	ds_read2_b64 v[194:197], v186 offset0:16 offset1:17
	s_waitcnt lgkmcnt(0)
	v_mul_f64 v[156:157], v[196:197], v[158:159]
	v_fma_f64 v[156:157], v[194:195], v[192:193], -v[156:157]
	v_mul_f64 v[194:195], v[194:195], v[158:159]
	v_fmac_f64_e32 v[194:195], v[196:197], v[192:193]
	v_add_f64 v[154:155], v[154:155], -v[194:195]
	ds_read2_b64 v[194:197], v186 offset0:18 offset1:19
	v_add_f64 v[152:153], v[152:153], -v[156:157]
	s_waitcnt lgkmcnt(0)
	v_mul_f64 v[156:157], v[196:197], v[158:159]
	v_fma_f64 v[156:157], v[194:195], v[192:193], -v[156:157]
	v_mul_f64 v[194:195], v[194:195], v[158:159]
	v_fmac_f64_e32 v[194:195], v[196:197], v[192:193]
	v_add_f64 v[150:151], v[150:151], -v[194:195]
	ds_read2_b64 v[194:197], v186 offset0:20 offset1:21
	v_add_f64 v[148:149], v[148:149], -v[156:157]
	;; [unrolled: 8-line block ×39, first 2 shown]
	s_waitcnt lgkmcnt(0)
	v_mul_f64 v[156:157], v[196:197], v[158:159]
	v_fma_f64 v[156:157], v[194:195], v[192:193], -v[156:157]
	v_mul_f64 v[194:195], v[194:195], v[158:159]
	v_fmac_f64_e32 v[194:195], v[196:197], v[192:193]
	v_add_f64 v[188:189], v[188:189], -v[156:157]
	v_add_f64 v[190:191], v[190:191], -v[194:195]
	v_mov_b64_e32 v[156:157], v[192:193]
.LBB95_73:
	s_or_b64 exec, exec, s[2:3]
	v_cmp_eq_u32_e32 vcc, 8, v184
	s_waitcnt vmcnt(63) expcnt(7) lgkmcnt(15)
	s_barrier
	s_and_saveexec_b64 s[4:5], vcc
	s_cbranch_execz .LBB95_80
; %bb.74:
	ds_write2_b64 v185, v[152:153], v[154:155] offset1:1
	ds_write2_b64 v186, v[148:149], v[150:151] offset0:18 offset1:19
	ds_write2_b64 v186, v[144:145], v[146:147] offset0:20 offset1:21
	;; [unrolled: 1-line block ×21, first 2 shown]
	s_waitcnt vmcnt(40)
	ds_write2_b64 v186, v[64:65], v[66:67] offset0:60 offset1:61
	s_waitcnt vmcnt(38)
	ds_write2_b64 v186, v[60:61], v[62:63] offset0:62 offset1:63
	;; [unrolled: 2-line block ×15, first 2 shown]
	ds_write2_b64 v186, v[4:5], v[6:7] offset0:90 offset1:91
	ds_write2_b64 v186, v[0:1], v[2:3] offset0:92 offset1:93
	s_waitcnt vmcnt(23)
	ds_write2_b64 v186, v[188:189], v[190:191] offset0:94 offset1:95
	ds_read2_b64 v[192:195], v185 offset1:1
	s_waitcnt lgkmcnt(0)
	v_cmp_neq_f64_e32 vcc, 0, v[192:193]
	v_cmp_neq_f64_e64 s[2:3], 0, v[194:195]
	s_or_b64 s[2:3], vcc, s[2:3]
	s_and_b64 exec, exec, s[2:3]
	s_cbranch_execz .LBB95_80
; %bb.75:
	v_cmp_ngt_f64_e64 s[2:3], |v[192:193]|, |v[194:195]|
                                        ; implicit-def: $vgpr196_vgpr197
	s_and_saveexec_b64 s[10:11], s[2:3]
	s_xor_b64 s[2:3], exec, s[10:11]
                                        ; implicit-def: $vgpr198_vgpr199
	s_cbranch_execz .LBB95_77
; %bb.76:
	v_div_scale_f64 v[196:197], s[10:11], v[194:195], v[194:195], v[192:193]
	v_rcp_f64_e32 v[198:199], v[196:197]
	v_div_scale_f64 v[200:201], vcc, v[192:193], v[194:195], v[192:193]
	v_fma_f64 v[202:203], -v[196:197], v[198:199], 1.0
	v_fmac_f64_e32 v[198:199], v[198:199], v[202:203]
	v_fma_f64 v[202:203], -v[196:197], v[198:199], 1.0
	v_fmac_f64_e32 v[198:199], v[198:199], v[202:203]
	v_mul_f64 v[202:203], v[200:201], v[198:199]
	v_fma_f64 v[196:197], -v[196:197], v[202:203], v[200:201]
	v_div_fmas_f64 v[196:197], v[196:197], v[198:199], v[202:203]
	v_div_fixup_f64 v[196:197], v[196:197], v[194:195], v[192:193]
	v_fmac_f64_e32 v[194:195], v[192:193], v[196:197]
	v_div_scale_f64 v[192:193], s[10:11], v[194:195], v[194:195], 1.0
	v_rcp_f64_e32 v[198:199], v[192:193]
	s_nop 0
	v_fma_f64 v[200:201], -v[192:193], v[198:199], 1.0
	v_fmac_f64_e32 v[198:199], v[198:199], v[200:201]
	v_fma_f64 v[200:201], -v[192:193], v[198:199], 1.0
	v_fmac_f64_e32 v[198:199], v[198:199], v[200:201]
	v_div_scale_f64 v[200:201], vcc, 1.0, v[194:195], 1.0
	v_mul_f64 v[202:203], v[200:201], v[198:199]
	v_fma_f64 v[192:193], -v[192:193], v[202:203], v[200:201]
	s_nop 1
	v_div_fmas_f64 v[192:193], v[192:193], v[198:199], v[202:203]
	v_div_fixup_f64 v[198:199], v[192:193], v[194:195], 1.0
	v_mul_f64 v[196:197], v[196:197], v[198:199]
	v_xor_b32_e32 v199, 0x80000000, v199
                                        ; implicit-def: $vgpr192_vgpr193
.LBB95_77:
	s_andn2_saveexec_b64 s[2:3], s[2:3]
	s_cbranch_execz .LBB95_79
; %bb.78:
	v_div_scale_f64 v[196:197], s[10:11], v[192:193], v[192:193], v[194:195]
	v_rcp_f64_e32 v[198:199], v[196:197]
	v_div_scale_f64 v[200:201], vcc, v[194:195], v[192:193], v[194:195]
	v_fma_f64 v[202:203], -v[196:197], v[198:199], 1.0
	v_fmac_f64_e32 v[198:199], v[198:199], v[202:203]
	v_fma_f64 v[202:203], -v[196:197], v[198:199], 1.0
	v_fmac_f64_e32 v[198:199], v[198:199], v[202:203]
	v_mul_f64 v[202:203], v[200:201], v[198:199]
	v_fma_f64 v[196:197], -v[196:197], v[202:203], v[200:201]
	v_div_fmas_f64 v[196:197], v[196:197], v[198:199], v[202:203]
	v_div_fixup_f64 v[198:199], v[196:197], v[192:193], v[194:195]
	v_fmac_f64_e32 v[192:193], v[194:195], v[198:199]
	v_div_scale_f64 v[194:195], s[10:11], v[192:193], v[192:193], 1.0
	v_rcp_f64_e32 v[196:197], v[194:195]
	s_nop 0
	v_fma_f64 v[200:201], -v[194:195], v[196:197], 1.0
	v_fmac_f64_e32 v[196:197], v[196:197], v[200:201]
	v_fma_f64 v[200:201], -v[194:195], v[196:197], 1.0
	v_fmac_f64_e32 v[196:197], v[196:197], v[200:201]
	v_div_scale_f64 v[200:201], vcc, 1.0, v[192:193], 1.0
	v_mul_f64 v[202:203], v[200:201], v[196:197]
	v_fma_f64 v[194:195], -v[194:195], v[202:203], v[200:201]
	s_nop 1
	v_div_fmas_f64 v[194:195], v[194:195], v[196:197], v[202:203]
	v_div_fixup_f64 v[196:197], v[194:195], v[192:193], 1.0
	v_mul_f64 v[198:199], v[198:199], -v[196:197]
.LBB95_79:
	s_or_b64 exec, exec, s[2:3]
	ds_write2_b64 v185, v[196:197], v[198:199] offset1:1
.LBB95_80:
	s_or_b64 exec, exec, s[4:5]
	s_waitcnt lgkmcnt(0)
	s_barrier
	ds_read2_b64 v[192:195], v185 offset1:1
	v_cmp_lt_u32_e32 vcc, 8, v184
	s_waitcnt lgkmcnt(0)
	scratch_store_dwordx4 off, v[192:195], off offset:528 ; 16-byte Folded Spill
	s_and_saveexec_b64 s[2:3], vcc
	s_cbranch_execz .LBB95_82
; %bb.81:
	scratch_load_dwordx4 v[194:197], off, off offset:528 ; 16-byte Folded Reload
	s_waitcnt vmcnt(0)
	v_mul_f64 v[192:193], v[196:197], v[154:155]
	v_mul_f64 v[154:155], v[194:195], v[154:155]
	v_fma_f64 v[192:193], v[194:195], v[152:153], -v[192:193]
	v_fmac_f64_e32 v[154:155], v[196:197], v[152:153]
	ds_read2_b64 v[194:197], v186 offset0:18 offset1:19
	s_waitcnt lgkmcnt(0)
	v_mul_f64 v[152:153], v[196:197], v[154:155]
	v_fma_f64 v[152:153], v[194:195], v[192:193], -v[152:153]
	v_mul_f64 v[194:195], v[194:195], v[154:155]
	v_fmac_f64_e32 v[194:195], v[196:197], v[192:193]
	v_add_f64 v[150:151], v[150:151], -v[194:195]
	ds_read2_b64 v[194:197], v186 offset0:20 offset1:21
	v_add_f64 v[148:149], v[148:149], -v[152:153]
	s_waitcnt lgkmcnt(0)
	v_mul_f64 v[152:153], v[196:197], v[154:155]
	v_fma_f64 v[152:153], v[194:195], v[192:193], -v[152:153]
	v_mul_f64 v[194:195], v[194:195], v[154:155]
	v_fmac_f64_e32 v[194:195], v[196:197], v[192:193]
	v_add_f64 v[146:147], v[146:147], -v[194:195]
	ds_read2_b64 v[194:197], v186 offset0:22 offset1:23
	v_add_f64 v[144:145], v[144:145], -v[152:153]
	;; [unrolled: 8-line block ×38, first 2 shown]
	s_waitcnt lgkmcnt(0)
	v_mul_f64 v[152:153], v[196:197], v[154:155]
	v_fma_f64 v[152:153], v[194:195], v[192:193], -v[152:153]
	v_mul_f64 v[194:195], v[194:195], v[154:155]
	v_fmac_f64_e32 v[194:195], v[196:197], v[192:193]
	v_add_f64 v[188:189], v[188:189], -v[152:153]
	v_add_f64 v[190:191], v[190:191], -v[194:195]
	v_mov_b64_e32 v[152:153], v[192:193]
.LBB95_82:
	s_or_b64 exec, exec, s[2:3]
	v_cmp_eq_u32_e32 vcc, 9, v184
	s_waitcnt vmcnt(63) expcnt(7) lgkmcnt(15)
	s_barrier
	s_and_saveexec_b64 s[4:5], vcc
	s_cbranch_execz .LBB95_89
; %bb.83:
	ds_write2_b64 v185, v[148:149], v[150:151] offset1:1
	ds_write2_b64 v186, v[144:145], v[146:147] offset0:20 offset1:21
	ds_write2_b64 v186, v[140:141], v[142:143] offset0:22 offset1:23
	;; [unrolled: 1-line block ×20, first 2 shown]
	s_waitcnt vmcnt(41)
	ds_write2_b64 v186, v[64:65], v[66:67] offset0:60 offset1:61
	s_waitcnt vmcnt(39)
	ds_write2_b64 v186, v[60:61], v[62:63] offset0:62 offset1:63
	;; [unrolled: 2-line block ×15, first 2 shown]
	ds_write2_b64 v186, v[4:5], v[6:7] offset0:90 offset1:91
	ds_write2_b64 v186, v[0:1], v[2:3] offset0:92 offset1:93
	s_waitcnt vmcnt(24)
	ds_write2_b64 v186, v[188:189], v[190:191] offset0:94 offset1:95
	ds_read2_b64 v[192:195], v185 offset1:1
	s_waitcnt lgkmcnt(0)
	v_cmp_neq_f64_e32 vcc, 0, v[192:193]
	v_cmp_neq_f64_e64 s[2:3], 0, v[194:195]
	s_or_b64 s[2:3], vcc, s[2:3]
	s_and_b64 exec, exec, s[2:3]
	s_cbranch_execz .LBB95_89
; %bb.84:
	v_cmp_ngt_f64_e64 s[2:3], |v[192:193]|, |v[194:195]|
                                        ; implicit-def: $vgpr196_vgpr197
	s_and_saveexec_b64 s[10:11], s[2:3]
	s_xor_b64 s[2:3], exec, s[10:11]
                                        ; implicit-def: $vgpr198_vgpr199
	s_cbranch_execz .LBB95_86
; %bb.85:
	v_div_scale_f64 v[196:197], s[10:11], v[194:195], v[194:195], v[192:193]
	v_rcp_f64_e32 v[198:199], v[196:197]
	v_div_scale_f64 v[200:201], vcc, v[192:193], v[194:195], v[192:193]
	v_fma_f64 v[202:203], -v[196:197], v[198:199], 1.0
	v_fmac_f64_e32 v[198:199], v[198:199], v[202:203]
	v_fma_f64 v[202:203], -v[196:197], v[198:199], 1.0
	v_fmac_f64_e32 v[198:199], v[198:199], v[202:203]
	v_mul_f64 v[202:203], v[200:201], v[198:199]
	v_fma_f64 v[196:197], -v[196:197], v[202:203], v[200:201]
	v_div_fmas_f64 v[196:197], v[196:197], v[198:199], v[202:203]
	v_div_fixup_f64 v[196:197], v[196:197], v[194:195], v[192:193]
	v_fmac_f64_e32 v[194:195], v[192:193], v[196:197]
	v_div_scale_f64 v[192:193], s[10:11], v[194:195], v[194:195], 1.0
	v_rcp_f64_e32 v[198:199], v[192:193]
	s_nop 0
	v_fma_f64 v[200:201], -v[192:193], v[198:199], 1.0
	v_fmac_f64_e32 v[198:199], v[198:199], v[200:201]
	v_fma_f64 v[200:201], -v[192:193], v[198:199], 1.0
	v_fmac_f64_e32 v[198:199], v[198:199], v[200:201]
	v_div_scale_f64 v[200:201], vcc, 1.0, v[194:195], 1.0
	v_mul_f64 v[202:203], v[200:201], v[198:199]
	v_fma_f64 v[192:193], -v[192:193], v[202:203], v[200:201]
	s_nop 1
	v_div_fmas_f64 v[192:193], v[192:193], v[198:199], v[202:203]
	v_div_fixup_f64 v[198:199], v[192:193], v[194:195], 1.0
	v_mul_f64 v[196:197], v[196:197], v[198:199]
	v_xor_b32_e32 v199, 0x80000000, v199
                                        ; implicit-def: $vgpr192_vgpr193
.LBB95_86:
	s_andn2_saveexec_b64 s[2:3], s[2:3]
	s_cbranch_execz .LBB95_88
; %bb.87:
	v_div_scale_f64 v[196:197], s[10:11], v[192:193], v[192:193], v[194:195]
	v_rcp_f64_e32 v[198:199], v[196:197]
	v_div_scale_f64 v[200:201], vcc, v[194:195], v[192:193], v[194:195]
	v_fma_f64 v[202:203], -v[196:197], v[198:199], 1.0
	v_fmac_f64_e32 v[198:199], v[198:199], v[202:203]
	v_fma_f64 v[202:203], -v[196:197], v[198:199], 1.0
	v_fmac_f64_e32 v[198:199], v[198:199], v[202:203]
	v_mul_f64 v[202:203], v[200:201], v[198:199]
	v_fma_f64 v[196:197], -v[196:197], v[202:203], v[200:201]
	v_div_fmas_f64 v[196:197], v[196:197], v[198:199], v[202:203]
	v_div_fixup_f64 v[198:199], v[196:197], v[192:193], v[194:195]
	v_fmac_f64_e32 v[192:193], v[194:195], v[198:199]
	v_div_scale_f64 v[194:195], s[10:11], v[192:193], v[192:193], 1.0
	v_rcp_f64_e32 v[196:197], v[194:195]
	s_nop 0
	v_fma_f64 v[200:201], -v[194:195], v[196:197], 1.0
	v_fmac_f64_e32 v[196:197], v[196:197], v[200:201]
	v_fma_f64 v[200:201], -v[194:195], v[196:197], 1.0
	v_fmac_f64_e32 v[196:197], v[196:197], v[200:201]
	v_div_scale_f64 v[200:201], vcc, 1.0, v[192:193], 1.0
	v_mul_f64 v[202:203], v[200:201], v[196:197]
	v_fma_f64 v[194:195], -v[194:195], v[202:203], v[200:201]
	s_nop 1
	v_div_fmas_f64 v[194:195], v[194:195], v[196:197], v[202:203]
	v_div_fixup_f64 v[196:197], v[194:195], v[192:193], 1.0
	v_mul_f64 v[198:199], v[198:199], -v[196:197]
.LBB95_88:
	s_or_b64 exec, exec, s[2:3]
	ds_write2_b64 v185, v[196:197], v[198:199] offset1:1
.LBB95_89:
	s_or_b64 exec, exec, s[4:5]
	s_waitcnt lgkmcnt(0)
	s_barrier
	ds_read2_b64 v[192:195], v185 offset1:1
	v_cmp_lt_u32_e32 vcc, 9, v184
	s_waitcnt lgkmcnt(0)
	scratch_store_dwordx4 off, v[192:195], off offset:544 ; 16-byte Folded Spill
	s_and_saveexec_b64 s[2:3], vcc
	s_cbranch_execz .LBB95_91
; %bb.90:
	scratch_load_dwordx4 v[194:197], off, off offset:544 ; 16-byte Folded Reload
	s_waitcnt vmcnt(0)
	v_mul_f64 v[192:193], v[196:197], v[150:151]
	v_mul_f64 v[150:151], v[194:195], v[150:151]
	v_fma_f64 v[192:193], v[194:195], v[148:149], -v[192:193]
	v_fmac_f64_e32 v[150:151], v[196:197], v[148:149]
	ds_read2_b64 v[194:197], v186 offset0:20 offset1:21
	s_waitcnt lgkmcnt(0)
	v_mul_f64 v[148:149], v[196:197], v[150:151]
	v_fma_f64 v[148:149], v[194:195], v[192:193], -v[148:149]
	v_mul_f64 v[194:195], v[194:195], v[150:151]
	v_fmac_f64_e32 v[194:195], v[196:197], v[192:193]
	v_add_f64 v[146:147], v[146:147], -v[194:195]
	ds_read2_b64 v[194:197], v186 offset0:22 offset1:23
	v_add_f64 v[144:145], v[144:145], -v[148:149]
	s_waitcnt lgkmcnt(0)
	v_mul_f64 v[148:149], v[196:197], v[150:151]
	v_fma_f64 v[148:149], v[194:195], v[192:193], -v[148:149]
	v_mul_f64 v[194:195], v[194:195], v[150:151]
	v_fmac_f64_e32 v[194:195], v[196:197], v[192:193]
	v_add_f64 v[142:143], v[142:143], -v[194:195]
	ds_read2_b64 v[194:197], v186 offset0:24 offset1:25
	v_add_f64 v[140:141], v[140:141], -v[148:149]
	;; [unrolled: 8-line block ×37, first 2 shown]
	s_waitcnt lgkmcnt(0)
	v_mul_f64 v[148:149], v[196:197], v[150:151]
	v_fma_f64 v[148:149], v[194:195], v[192:193], -v[148:149]
	v_mul_f64 v[194:195], v[194:195], v[150:151]
	v_fmac_f64_e32 v[194:195], v[196:197], v[192:193]
	v_add_f64 v[188:189], v[188:189], -v[148:149]
	v_add_f64 v[190:191], v[190:191], -v[194:195]
	v_mov_b64_e32 v[148:149], v[192:193]
.LBB95_91:
	s_or_b64 exec, exec, s[2:3]
	v_cmp_eq_u32_e32 vcc, 10, v184
	s_waitcnt vmcnt(63) expcnt(7) lgkmcnt(15)
	s_barrier
	s_and_saveexec_b64 s[4:5], vcc
	s_cbranch_execz .LBB95_98
; %bb.92:
	ds_write2_b64 v185, v[144:145], v[146:147] offset1:1
	ds_write2_b64 v186, v[140:141], v[142:143] offset0:22 offset1:23
	ds_write2_b64 v186, v[136:137], v[138:139] offset0:24 offset1:25
	ds_write2_b64 v186, v[132:133], v[134:135] offset0:26 offset1:27
	ds_write2_b64 v186, v[128:129], v[130:131] offset0:28 offset1:29
	ds_write2_b64 v186, v[124:125], v[126:127] offset0:30 offset1:31
	ds_write2_b64 v186, v[120:121], v[122:123] offset0:32 offset1:33
	ds_write2_b64 v186, v[116:117], v[118:119] offset0:34 offset1:35
	ds_write2_b64 v186, v[112:113], v[114:115] offset0:36 offset1:37
	ds_write2_b64 v186, v[108:109], v[110:111] offset0:38 offset1:39
	ds_write2_b64 v186, v[104:105], v[106:107] offset0:40 offset1:41
	ds_write2_b64 v186, v[100:101], v[102:103] offset0:42 offset1:43
	ds_write2_b64 v186, v[96:97], v[98:99] offset0:44 offset1:45
	ds_write2_b64 v186, v[92:93], v[94:95] offset0:46 offset1:47
	ds_write2_b64 v186, v[88:89], v[90:91] offset0:48 offset1:49
	ds_write2_b64 v186, v[84:85], v[86:87] offset0:50 offset1:51
	ds_write2_b64 v186, v[80:81], v[82:83] offset0:52 offset1:53
	ds_write2_b64 v186, v[76:77], v[78:79] offset0:54 offset1:55
	ds_write2_b64 v186, v[72:73], v[74:75] offset0:56 offset1:57
	ds_write2_b64 v186, v[68:69], v[70:71] offset0:58 offset1:59
	s_waitcnt vmcnt(42)
	ds_write2_b64 v186, v[64:65], v[66:67] offset0:60 offset1:61
	s_waitcnt vmcnt(40)
	ds_write2_b64 v186, v[60:61], v[62:63] offset0:62 offset1:63
	;; [unrolled: 2-line block ×15, first 2 shown]
	ds_write2_b64 v186, v[4:5], v[6:7] offset0:90 offset1:91
	ds_write2_b64 v186, v[0:1], v[2:3] offset0:92 offset1:93
	s_waitcnt vmcnt(25)
	ds_write2_b64 v186, v[188:189], v[190:191] offset0:94 offset1:95
	ds_read2_b64 v[192:195], v185 offset1:1
	s_waitcnt lgkmcnt(0)
	v_cmp_neq_f64_e32 vcc, 0, v[192:193]
	v_cmp_neq_f64_e64 s[2:3], 0, v[194:195]
	s_or_b64 s[2:3], vcc, s[2:3]
	s_and_b64 exec, exec, s[2:3]
	s_cbranch_execz .LBB95_98
; %bb.93:
	v_cmp_ngt_f64_e64 s[2:3], |v[192:193]|, |v[194:195]|
                                        ; implicit-def: $vgpr196_vgpr197
	s_and_saveexec_b64 s[10:11], s[2:3]
	s_xor_b64 s[2:3], exec, s[10:11]
                                        ; implicit-def: $vgpr198_vgpr199
	s_cbranch_execz .LBB95_95
; %bb.94:
	v_div_scale_f64 v[196:197], s[10:11], v[194:195], v[194:195], v[192:193]
	v_rcp_f64_e32 v[198:199], v[196:197]
	v_div_scale_f64 v[200:201], vcc, v[192:193], v[194:195], v[192:193]
	v_fma_f64 v[202:203], -v[196:197], v[198:199], 1.0
	v_fmac_f64_e32 v[198:199], v[198:199], v[202:203]
	v_fma_f64 v[202:203], -v[196:197], v[198:199], 1.0
	v_fmac_f64_e32 v[198:199], v[198:199], v[202:203]
	v_mul_f64 v[202:203], v[200:201], v[198:199]
	v_fma_f64 v[196:197], -v[196:197], v[202:203], v[200:201]
	v_div_fmas_f64 v[196:197], v[196:197], v[198:199], v[202:203]
	v_div_fixup_f64 v[196:197], v[196:197], v[194:195], v[192:193]
	v_fmac_f64_e32 v[194:195], v[192:193], v[196:197]
	v_div_scale_f64 v[192:193], s[10:11], v[194:195], v[194:195], 1.0
	v_rcp_f64_e32 v[198:199], v[192:193]
	s_nop 0
	v_fma_f64 v[200:201], -v[192:193], v[198:199], 1.0
	v_fmac_f64_e32 v[198:199], v[198:199], v[200:201]
	v_fma_f64 v[200:201], -v[192:193], v[198:199], 1.0
	v_fmac_f64_e32 v[198:199], v[198:199], v[200:201]
	v_div_scale_f64 v[200:201], vcc, 1.0, v[194:195], 1.0
	v_mul_f64 v[202:203], v[200:201], v[198:199]
	v_fma_f64 v[192:193], -v[192:193], v[202:203], v[200:201]
	s_nop 1
	v_div_fmas_f64 v[192:193], v[192:193], v[198:199], v[202:203]
	v_div_fixup_f64 v[198:199], v[192:193], v[194:195], 1.0
	v_mul_f64 v[196:197], v[196:197], v[198:199]
	v_xor_b32_e32 v199, 0x80000000, v199
                                        ; implicit-def: $vgpr192_vgpr193
.LBB95_95:
	s_andn2_saveexec_b64 s[2:3], s[2:3]
	s_cbranch_execz .LBB95_97
; %bb.96:
	v_div_scale_f64 v[196:197], s[10:11], v[192:193], v[192:193], v[194:195]
	v_rcp_f64_e32 v[198:199], v[196:197]
	v_div_scale_f64 v[200:201], vcc, v[194:195], v[192:193], v[194:195]
	v_fma_f64 v[202:203], -v[196:197], v[198:199], 1.0
	v_fmac_f64_e32 v[198:199], v[198:199], v[202:203]
	v_fma_f64 v[202:203], -v[196:197], v[198:199], 1.0
	v_fmac_f64_e32 v[198:199], v[198:199], v[202:203]
	v_mul_f64 v[202:203], v[200:201], v[198:199]
	v_fma_f64 v[196:197], -v[196:197], v[202:203], v[200:201]
	v_div_fmas_f64 v[196:197], v[196:197], v[198:199], v[202:203]
	v_div_fixup_f64 v[198:199], v[196:197], v[192:193], v[194:195]
	v_fmac_f64_e32 v[192:193], v[194:195], v[198:199]
	v_div_scale_f64 v[194:195], s[10:11], v[192:193], v[192:193], 1.0
	v_rcp_f64_e32 v[196:197], v[194:195]
	s_nop 0
	v_fma_f64 v[200:201], -v[194:195], v[196:197], 1.0
	v_fmac_f64_e32 v[196:197], v[196:197], v[200:201]
	v_fma_f64 v[200:201], -v[194:195], v[196:197], 1.0
	v_fmac_f64_e32 v[196:197], v[196:197], v[200:201]
	v_div_scale_f64 v[200:201], vcc, 1.0, v[192:193], 1.0
	v_mul_f64 v[202:203], v[200:201], v[196:197]
	v_fma_f64 v[194:195], -v[194:195], v[202:203], v[200:201]
	s_nop 1
	v_div_fmas_f64 v[194:195], v[194:195], v[196:197], v[202:203]
	v_div_fixup_f64 v[196:197], v[194:195], v[192:193], 1.0
	v_mul_f64 v[198:199], v[198:199], -v[196:197]
.LBB95_97:
	s_or_b64 exec, exec, s[2:3]
	ds_write2_b64 v185, v[196:197], v[198:199] offset1:1
.LBB95_98:
	s_or_b64 exec, exec, s[4:5]
	s_waitcnt lgkmcnt(0)
	s_barrier
	ds_read2_b64 v[192:195], v185 offset1:1
	v_cmp_lt_u32_e32 vcc, 10, v184
	s_waitcnt lgkmcnt(0)
	scratch_store_dwordx4 off, v[192:195], off offset:560 ; 16-byte Folded Spill
	s_and_saveexec_b64 s[2:3], vcc
	s_cbranch_execz .LBB95_100
; %bb.99:
	scratch_load_dwordx4 v[194:197], off, off offset:560 ; 16-byte Folded Reload
	s_waitcnt vmcnt(0)
	v_mul_f64 v[192:193], v[196:197], v[146:147]
	v_mul_f64 v[146:147], v[194:195], v[146:147]
	v_fma_f64 v[192:193], v[194:195], v[144:145], -v[192:193]
	v_fmac_f64_e32 v[146:147], v[196:197], v[144:145]
	ds_read2_b64 v[194:197], v186 offset0:22 offset1:23
	s_waitcnt lgkmcnt(0)
	v_mul_f64 v[144:145], v[196:197], v[146:147]
	v_fma_f64 v[144:145], v[194:195], v[192:193], -v[144:145]
	v_mul_f64 v[194:195], v[194:195], v[146:147]
	v_fmac_f64_e32 v[194:195], v[196:197], v[192:193]
	v_add_f64 v[142:143], v[142:143], -v[194:195]
	ds_read2_b64 v[194:197], v186 offset0:24 offset1:25
	v_add_f64 v[140:141], v[140:141], -v[144:145]
	s_waitcnt lgkmcnt(0)
	v_mul_f64 v[144:145], v[196:197], v[146:147]
	v_fma_f64 v[144:145], v[194:195], v[192:193], -v[144:145]
	v_mul_f64 v[194:195], v[194:195], v[146:147]
	v_fmac_f64_e32 v[194:195], v[196:197], v[192:193]
	v_add_f64 v[138:139], v[138:139], -v[194:195]
	ds_read2_b64 v[194:197], v186 offset0:26 offset1:27
	v_add_f64 v[136:137], v[136:137], -v[144:145]
	;; [unrolled: 8-line block ×36, first 2 shown]
	s_waitcnt lgkmcnt(0)
	v_mul_f64 v[144:145], v[196:197], v[146:147]
	v_fma_f64 v[144:145], v[194:195], v[192:193], -v[144:145]
	v_mul_f64 v[194:195], v[194:195], v[146:147]
	v_fmac_f64_e32 v[194:195], v[196:197], v[192:193]
	v_add_f64 v[188:189], v[188:189], -v[144:145]
	v_add_f64 v[190:191], v[190:191], -v[194:195]
	v_mov_b64_e32 v[144:145], v[192:193]
.LBB95_100:
	s_or_b64 exec, exec, s[2:3]
	v_cmp_eq_u32_e32 vcc, 11, v184
	s_waitcnt vmcnt(63) expcnt(7) lgkmcnt(15)
	s_barrier
	s_and_saveexec_b64 s[4:5], vcc
	s_cbranch_execz .LBB95_107
; %bb.101:
	ds_write2_b64 v185, v[140:141], v[142:143] offset1:1
	ds_write2_b64 v186, v[136:137], v[138:139] offset0:24 offset1:25
	ds_write2_b64 v186, v[132:133], v[134:135] offset0:26 offset1:27
	ds_write2_b64 v186, v[128:129], v[130:131] offset0:28 offset1:29
	ds_write2_b64 v186, v[124:125], v[126:127] offset0:30 offset1:31
	ds_write2_b64 v186, v[120:121], v[122:123] offset0:32 offset1:33
	ds_write2_b64 v186, v[116:117], v[118:119] offset0:34 offset1:35
	ds_write2_b64 v186, v[112:113], v[114:115] offset0:36 offset1:37
	ds_write2_b64 v186, v[108:109], v[110:111] offset0:38 offset1:39
	ds_write2_b64 v186, v[104:105], v[106:107] offset0:40 offset1:41
	ds_write2_b64 v186, v[100:101], v[102:103] offset0:42 offset1:43
	ds_write2_b64 v186, v[96:97], v[98:99] offset0:44 offset1:45
	ds_write2_b64 v186, v[92:93], v[94:95] offset0:46 offset1:47
	ds_write2_b64 v186, v[88:89], v[90:91] offset0:48 offset1:49
	ds_write2_b64 v186, v[84:85], v[86:87] offset0:50 offset1:51
	ds_write2_b64 v186, v[80:81], v[82:83] offset0:52 offset1:53
	ds_write2_b64 v186, v[76:77], v[78:79] offset0:54 offset1:55
	ds_write2_b64 v186, v[72:73], v[74:75] offset0:56 offset1:57
	ds_write2_b64 v186, v[68:69], v[70:71] offset0:58 offset1:59
	s_waitcnt vmcnt(43)
	ds_write2_b64 v186, v[64:65], v[66:67] offset0:60 offset1:61
	s_waitcnt vmcnt(41)
	ds_write2_b64 v186, v[60:61], v[62:63] offset0:62 offset1:63
	;; [unrolled: 2-line block ×15, first 2 shown]
	ds_write2_b64 v186, v[4:5], v[6:7] offset0:90 offset1:91
	ds_write2_b64 v186, v[0:1], v[2:3] offset0:92 offset1:93
	s_waitcnt vmcnt(26)
	ds_write2_b64 v186, v[188:189], v[190:191] offset0:94 offset1:95
	ds_read2_b64 v[192:195], v185 offset1:1
	s_waitcnt lgkmcnt(0)
	v_cmp_neq_f64_e32 vcc, 0, v[192:193]
	v_cmp_neq_f64_e64 s[2:3], 0, v[194:195]
	s_or_b64 s[2:3], vcc, s[2:3]
	s_and_b64 exec, exec, s[2:3]
	s_cbranch_execz .LBB95_107
; %bb.102:
	v_cmp_ngt_f64_e64 s[2:3], |v[192:193]|, |v[194:195]|
                                        ; implicit-def: $vgpr196_vgpr197
	s_and_saveexec_b64 s[10:11], s[2:3]
	s_xor_b64 s[2:3], exec, s[10:11]
                                        ; implicit-def: $vgpr198_vgpr199
	s_cbranch_execz .LBB95_104
; %bb.103:
	v_div_scale_f64 v[196:197], s[10:11], v[194:195], v[194:195], v[192:193]
	v_rcp_f64_e32 v[198:199], v[196:197]
	v_div_scale_f64 v[200:201], vcc, v[192:193], v[194:195], v[192:193]
	v_fma_f64 v[202:203], -v[196:197], v[198:199], 1.0
	v_fmac_f64_e32 v[198:199], v[198:199], v[202:203]
	v_fma_f64 v[202:203], -v[196:197], v[198:199], 1.0
	v_fmac_f64_e32 v[198:199], v[198:199], v[202:203]
	v_mul_f64 v[202:203], v[200:201], v[198:199]
	v_fma_f64 v[196:197], -v[196:197], v[202:203], v[200:201]
	v_div_fmas_f64 v[196:197], v[196:197], v[198:199], v[202:203]
	v_div_fixup_f64 v[196:197], v[196:197], v[194:195], v[192:193]
	v_fmac_f64_e32 v[194:195], v[192:193], v[196:197]
	v_div_scale_f64 v[192:193], s[10:11], v[194:195], v[194:195], 1.0
	v_rcp_f64_e32 v[198:199], v[192:193]
	s_nop 0
	v_fma_f64 v[200:201], -v[192:193], v[198:199], 1.0
	v_fmac_f64_e32 v[198:199], v[198:199], v[200:201]
	v_fma_f64 v[200:201], -v[192:193], v[198:199], 1.0
	v_fmac_f64_e32 v[198:199], v[198:199], v[200:201]
	v_div_scale_f64 v[200:201], vcc, 1.0, v[194:195], 1.0
	v_mul_f64 v[202:203], v[200:201], v[198:199]
	v_fma_f64 v[192:193], -v[192:193], v[202:203], v[200:201]
	s_nop 1
	v_div_fmas_f64 v[192:193], v[192:193], v[198:199], v[202:203]
	v_div_fixup_f64 v[198:199], v[192:193], v[194:195], 1.0
	v_mul_f64 v[196:197], v[196:197], v[198:199]
	v_xor_b32_e32 v199, 0x80000000, v199
                                        ; implicit-def: $vgpr192_vgpr193
.LBB95_104:
	s_andn2_saveexec_b64 s[2:3], s[2:3]
	s_cbranch_execz .LBB95_106
; %bb.105:
	v_div_scale_f64 v[196:197], s[10:11], v[192:193], v[192:193], v[194:195]
	v_rcp_f64_e32 v[198:199], v[196:197]
	v_div_scale_f64 v[200:201], vcc, v[194:195], v[192:193], v[194:195]
	v_fma_f64 v[202:203], -v[196:197], v[198:199], 1.0
	v_fmac_f64_e32 v[198:199], v[198:199], v[202:203]
	v_fma_f64 v[202:203], -v[196:197], v[198:199], 1.0
	v_fmac_f64_e32 v[198:199], v[198:199], v[202:203]
	v_mul_f64 v[202:203], v[200:201], v[198:199]
	v_fma_f64 v[196:197], -v[196:197], v[202:203], v[200:201]
	v_div_fmas_f64 v[196:197], v[196:197], v[198:199], v[202:203]
	v_div_fixup_f64 v[198:199], v[196:197], v[192:193], v[194:195]
	v_fmac_f64_e32 v[192:193], v[194:195], v[198:199]
	v_div_scale_f64 v[194:195], s[10:11], v[192:193], v[192:193], 1.0
	v_rcp_f64_e32 v[196:197], v[194:195]
	s_nop 0
	v_fma_f64 v[200:201], -v[194:195], v[196:197], 1.0
	v_fmac_f64_e32 v[196:197], v[196:197], v[200:201]
	v_fma_f64 v[200:201], -v[194:195], v[196:197], 1.0
	v_fmac_f64_e32 v[196:197], v[196:197], v[200:201]
	v_div_scale_f64 v[200:201], vcc, 1.0, v[192:193], 1.0
	v_mul_f64 v[202:203], v[200:201], v[196:197]
	v_fma_f64 v[194:195], -v[194:195], v[202:203], v[200:201]
	s_nop 1
	v_div_fmas_f64 v[194:195], v[194:195], v[196:197], v[202:203]
	v_div_fixup_f64 v[196:197], v[194:195], v[192:193], 1.0
	v_mul_f64 v[198:199], v[198:199], -v[196:197]
.LBB95_106:
	s_or_b64 exec, exec, s[2:3]
	ds_write2_b64 v185, v[196:197], v[198:199] offset1:1
.LBB95_107:
	s_or_b64 exec, exec, s[4:5]
	s_waitcnt lgkmcnt(0)
	s_barrier
	ds_read2_b64 v[192:195], v185 offset1:1
	v_cmp_lt_u32_e32 vcc, 11, v184
	s_waitcnt lgkmcnt(0)
	scratch_store_dwordx4 off, v[192:195], off offset:576 ; 16-byte Folded Spill
	s_and_saveexec_b64 s[2:3], vcc
	s_cbranch_execz .LBB95_109
; %bb.108:
	scratch_load_dwordx4 v[194:197], off, off offset:576 ; 16-byte Folded Reload
	s_waitcnt vmcnt(0)
	v_mul_f64 v[192:193], v[196:197], v[142:143]
	v_mul_f64 v[142:143], v[194:195], v[142:143]
	v_fma_f64 v[192:193], v[194:195], v[140:141], -v[192:193]
	v_fmac_f64_e32 v[142:143], v[196:197], v[140:141]
	ds_read2_b64 v[194:197], v186 offset0:24 offset1:25
	s_waitcnt lgkmcnt(0)
	v_mul_f64 v[140:141], v[196:197], v[142:143]
	v_fma_f64 v[140:141], v[194:195], v[192:193], -v[140:141]
	v_mul_f64 v[194:195], v[194:195], v[142:143]
	v_fmac_f64_e32 v[194:195], v[196:197], v[192:193]
	v_add_f64 v[138:139], v[138:139], -v[194:195]
	ds_read2_b64 v[194:197], v186 offset0:26 offset1:27
	v_add_f64 v[136:137], v[136:137], -v[140:141]
	s_waitcnt lgkmcnt(0)
	v_mul_f64 v[140:141], v[196:197], v[142:143]
	v_fma_f64 v[140:141], v[194:195], v[192:193], -v[140:141]
	v_mul_f64 v[194:195], v[194:195], v[142:143]
	v_fmac_f64_e32 v[194:195], v[196:197], v[192:193]
	v_add_f64 v[134:135], v[134:135], -v[194:195]
	ds_read2_b64 v[194:197], v186 offset0:28 offset1:29
	v_add_f64 v[132:133], v[132:133], -v[140:141]
	;; [unrolled: 8-line block ×35, first 2 shown]
	s_waitcnt lgkmcnt(0)
	v_mul_f64 v[140:141], v[196:197], v[142:143]
	v_fma_f64 v[140:141], v[194:195], v[192:193], -v[140:141]
	v_mul_f64 v[194:195], v[194:195], v[142:143]
	v_fmac_f64_e32 v[194:195], v[196:197], v[192:193]
	v_add_f64 v[188:189], v[188:189], -v[140:141]
	v_add_f64 v[190:191], v[190:191], -v[194:195]
	v_mov_b64_e32 v[140:141], v[192:193]
.LBB95_109:
	s_or_b64 exec, exec, s[2:3]
	v_cmp_eq_u32_e32 vcc, 12, v184
	s_waitcnt vmcnt(63) expcnt(7) lgkmcnt(15)
	s_barrier
	s_and_saveexec_b64 s[4:5], vcc
	s_cbranch_execz .LBB95_116
; %bb.110:
	ds_write2_b64 v185, v[136:137], v[138:139] offset1:1
	ds_write2_b64 v186, v[132:133], v[134:135] offset0:26 offset1:27
	ds_write2_b64 v186, v[128:129], v[130:131] offset0:28 offset1:29
	;; [unrolled: 1-line block ×17, first 2 shown]
	s_waitcnt vmcnt(44)
	ds_write2_b64 v186, v[64:65], v[66:67] offset0:60 offset1:61
	s_waitcnt vmcnt(42)
	ds_write2_b64 v186, v[60:61], v[62:63] offset0:62 offset1:63
	;; [unrolled: 2-line block ×15, first 2 shown]
	ds_write2_b64 v186, v[4:5], v[6:7] offset0:90 offset1:91
	ds_write2_b64 v186, v[0:1], v[2:3] offset0:92 offset1:93
	s_waitcnt vmcnt(27)
	ds_write2_b64 v186, v[188:189], v[190:191] offset0:94 offset1:95
	ds_read2_b64 v[192:195], v185 offset1:1
	s_waitcnt lgkmcnt(0)
	v_cmp_neq_f64_e32 vcc, 0, v[192:193]
	v_cmp_neq_f64_e64 s[2:3], 0, v[194:195]
	s_or_b64 s[2:3], vcc, s[2:3]
	s_and_b64 exec, exec, s[2:3]
	s_cbranch_execz .LBB95_116
; %bb.111:
	v_cmp_ngt_f64_e64 s[2:3], |v[192:193]|, |v[194:195]|
                                        ; implicit-def: $vgpr196_vgpr197
	s_and_saveexec_b64 s[10:11], s[2:3]
	s_xor_b64 s[2:3], exec, s[10:11]
                                        ; implicit-def: $vgpr198_vgpr199
	s_cbranch_execz .LBB95_113
; %bb.112:
	v_div_scale_f64 v[196:197], s[10:11], v[194:195], v[194:195], v[192:193]
	v_rcp_f64_e32 v[198:199], v[196:197]
	v_div_scale_f64 v[200:201], vcc, v[192:193], v[194:195], v[192:193]
	v_fma_f64 v[202:203], -v[196:197], v[198:199], 1.0
	v_fmac_f64_e32 v[198:199], v[198:199], v[202:203]
	v_fma_f64 v[202:203], -v[196:197], v[198:199], 1.0
	v_fmac_f64_e32 v[198:199], v[198:199], v[202:203]
	v_mul_f64 v[202:203], v[200:201], v[198:199]
	v_fma_f64 v[196:197], -v[196:197], v[202:203], v[200:201]
	v_div_fmas_f64 v[196:197], v[196:197], v[198:199], v[202:203]
	v_div_fixup_f64 v[196:197], v[196:197], v[194:195], v[192:193]
	v_fmac_f64_e32 v[194:195], v[192:193], v[196:197]
	v_div_scale_f64 v[192:193], s[10:11], v[194:195], v[194:195], 1.0
	v_rcp_f64_e32 v[198:199], v[192:193]
	s_nop 0
	v_fma_f64 v[200:201], -v[192:193], v[198:199], 1.0
	v_fmac_f64_e32 v[198:199], v[198:199], v[200:201]
	v_fma_f64 v[200:201], -v[192:193], v[198:199], 1.0
	v_fmac_f64_e32 v[198:199], v[198:199], v[200:201]
	v_div_scale_f64 v[200:201], vcc, 1.0, v[194:195], 1.0
	v_mul_f64 v[202:203], v[200:201], v[198:199]
	v_fma_f64 v[192:193], -v[192:193], v[202:203], v[200:201]
	s_nop 1
	v_div_fmas_f64 v[192:193], v[192:193], v[198:199], v[202:203]
	v_div_fixup_f64 v[198:199], v[192:193], v[194:195], 1.0
	v_mul_f64 v[196:197], v[196:197], v[198:199]
	v_xor_b32_e32 v199, 0x80000000, v199
                                        ; implicit-def: $vgpr192_vgpr193
.LBB95_113:
	s_andn2_saveexec_b64 s[2:3], s[2:3]
	s_cbranch_execz .LBB95_115
; %bb.114:
	v_div_scale_f64 v[196:197], s[10:11], v[192:193], v[192:193], v[194:195]
	v_rcp_f64_e32 v[198:199], v[196:197]
	v_div_scale_f64 v[200:201], vcc, v[194:195], v[192:193], v[194:195]
	v_fma_f64 v[202:203], -v[196:197], v[198:199], 1.0
	v_fmac_f64_e32 v[198:199], v[198:199], v[202:203]
	v_fma_f64 v[202:203], -v[196:197], v[198:199], 1.0
	v_fmac_f64_e32 v[198:199], v[198:199], v[202:203]
	v_mul_f64 v[202:203], v[200:201], v[198:199]
	v_fma_f64 v[196:197], -v[196:197], v[202:203], v[200:201]
	v_div_fmas_f64 v[196:197], v[196:197], v[198:199], v[202:203]
	v_div_fixup_f64 v[198:199], v[196:197], v[192:193], v[194:195]
	v_fmac_f64_e32 v[192:193], v[194:195], v[198:199]
	v_div_scale_f64 v[194:195], s[10:11], v[192:193], v[192:193], 1.0
	v_rcp_f64_e32 v[196:197], v[194:195]
	s_nop 0
	v_fma_f64 v[200:201], -v[194:195], v[196:197], 1.0
	v_fmac_f64_e32 v[196:197], v[196:197], v[200:201]
	v_fma_f64 v[200:201], -v[194:195], v[196:197], 1.0
	v_fmac_f64_e32 v[196:197], v[196:197], v[200:201]
	v_div_scale_f64 v[200:201], vcc, 1.0, v[192:193], 1.0
	v_mul_f64 v[202:203], v[200:201], v[196:197]
	v_fma_f64 v[194:195], -v[194:195], v[202:203], v[200:201]
	s_nop 1
	v_div_fmas_f64 v[194:195], v[194:195], v[196:197], v[202:203]
	v_div_fixup_f64 v[196:197], v[194:195], v[192:193], 1.0
	v_mul_f64 v[198:199], v[198:199], -v[196:197]
.LBB95_115:
	s_or_b64 exec, exec, s[2:3]
	ds_write2_b64 v185, v[196:197], v[198:199] offset1:1
.LBB95_116:
	s_or_b64 exec, exec, s[4:5]
	s_waitcnt lgkmcnt(0)
	s_barrier
	ds_read2_b64 v[192:195], v185 offset1:1
	v_cmp_lt_u32_e32 vcc, 12, v184
	s_waitcnt lgkmcnt(0)
	scratch_store_dwordx4 off, v[192:195], off offset:592 ; 16-byte Folded Spill
	s_and_saveexec_b64 s[2:3], vcc
	s_cbranch_execz .LBB95_118
; %bb.117:
	scratch_load_dwordx4 v[194:197], off, off offset:592 ; 16-byte Folded Reload
	s_waitcnt vmcnt(0)
	v_mul_f64 v[192:193], v[196:197], v[138:139]
	v_mul_f64 v[138:139], v[194:195], v[138:139]
	v_fma_f64 v[192:193], v[194:195], v[136:137], -v[192:193]
	v_fmac_f64_e32 v[138:139], v[196:197], v[136:137]
	ds_read2_b64 v[194:197], v186 offset0:26 offset1:27
	s_waitcnt lgkmcnt(0)
	v_mul_f64 v[136:137], v[196:197], v[138:139]
	v_fma_f64 v[136:137], v[194:195], v[192:193], -v[136:137]
	v_mul_f64 v[194:195], v[194:195], v[138:139]
	v_fmac_f64_e32 v[194:195], v[196:197], v[192:193]
	v_add_f64 v[134:135], v[134:135], -v[194:195]
	ds_read2_b64 v[194:197], v186 offset0:28 offset1:29
	v_add_f64 v[132:133], v[132:133], -v[136:137]
	s_waitcnt lgkmcnt(0)
	v_mul_f64 v[136:137], v[196:197], v[138:139]
	v_fma_f64 v[136:137], v[194:195], v[192:193], -v[136:137]
	v_mul_f64 v[194:195], v[194:195], v[138:139]
	v_fmac_f64_e32 v[194:195], v[196:197], v[192:193]
	v_add_f64 v[130:131], v[130:131], -v[194:195]
	ds_read2_b64 v[194:197], v186 offset0:30 offset1:31
	v_add_f64 v[128:129], v[128:129], -v[136:137]
	s_waitcnt lgkmcnt(0)
	v_mul_f64 v[136:137], v[196:197], v[138:139]
	v_fma_f64 v[136:137], v[194:195], v[192:193], -v[136:137]
	v_mul_f64 v[194:195], v[194:195], v[138:139]
	v_fmac_f64_e32 v[194:195], v[196:197], v[192:193]
	v_add_f64 v[126:127], v[126:127], -v[194:195]
	ds_read2_b64 v[194:197], v186 offset0:32 offset1:33
	v_add_f64 v[124:125], v[124:125], -v[136:137]
	s_waitcnt lgkmcnt(0)
	v_mul_f64 v[136:137], v[196:197], v[138:139]
	v_fma_f64 v[136:137], v[194:195], v[192:193], -v[136:137]
	v_mul_f64 v[194:195], v[194:195], v[138:139]
	v_fmac_f64_e32 v[194:195], v[196:197], v[192:193]
	v_add_f64 v[122:123], v[122:123], -v[194:195]
	ds_read2_b64 v[194:197], v186 offset0:34 offset1:35
	v_add_f64 v[120:121], v[120:121], -v[136:137]
	s_waitcnt lgkmcnt(0)
	v_mul_f64 v[136:137], v[196:197], v[138:139]
	v_fma_f64 v[136:137], v[194:195], v[192:193], -v[136:137]
	v_mul_f64 v[194:195], v[194:195], v[138:139]
	v_fmac_f64_e32 v[194:195], v[196:197], v[192:193]
	v_add_f64 v[118:119], v[118:119], -v[194:195]
	ds_read2_b64 v[194:197], v186 offset0:36 offset1:37
	v_add_f64 v[116:117], v[116:117], -v[136:137]
	s_waitcnt lgkmcnt(0)
	v_mul_f64 v[136:137], v[196:197], v[138:139]
	v_fma_f64 v[136:137], v[194:195], v[192:193], -v[136:137]
	v_mul_f64 v[194:195], v[194:195], v[138:139]
	v_fmac_f64_e32 v[194:195], v[196:197], v[192:193]
	v_add_f64 v[114:115], v[114:115], -v[194:195]
	ds_read2_b64 v[194:197], v186 offset0:38 offset1:39
	v_add_f64 v[112:113], v[112:113], -v[136:137]
	s_waitcnt lgkmcnt(0)
	v_mul_f64 v[136:137], v[196:197], v[138:139]
	v_fma_f64 v[136:137], v[194:195], v[192:193], -v[136:137]
	v_mul_f64 v[194:195], v[194:195], v[138:139]
	v_fmac_f64_e32 v[194:195], v[196:197], v[192:193]
	v_add_f64 v[110:111], v[110:111], -v[194:195]
	ds_read2_b64 v[194:197], v186 offset0:40 offset1:41
	v_add_f64 v[108:109], v[108:109], -v[136:137]
	s_waitcnt lgkmcnt(0)
	v_mul_f64 v[136:137], v[196:197], v[138:139]
	v_fma_f64 v[136:137], v[194:195], v[192:193], -v[136:137]
	v_mul_f64 v[194:195], v[194:195], v[138:139]
	v_fmac_f64_e32 v[194:195], v[196:197], v[192:193]
	v_add_f64 v[106:107], v[106:107], -v[194:195]
	ds_read2_b64 v[194:197], v186 offset0:42 offset1:43
	v_add_f64 v[104:105], v[104:105], -v[136:137]
	s_waitcnt lgkmcnt(0)
	v_mul_f64 v[136:137], v[196:197], v[138:139]
	v_fma_f64 v[136:137], v[194:195], v[192:193], -v[136:137]
	v_mul_f64 v[194:195], v[194:195], v[138:139]
	v_fmac_f64_e32 v[194:195], v[196:197], v[192:193]
	v_add_f64 v[102:103], v[102:103], -v[194:195]
	ds_read2_b64 v[194:197], v186 offset0:44 offset1:45
	v_add_f64 v[100:101], v[100:101], -v[136:137]
	s_waitcnt lgkmcnt(0)
	v_mul_f64 v[136:137], v[196:197], v[138:139]
	v_fma_f64 v[136:137], v[194:195], v[192:193], -v[136:137]
	v_mul_f64 v[194:195], v[194:195], v[138:139]
	v_fmac_f64_e32 v[194:195], v[196:197], v[192:193]
	v_add_f64 v[98:99], v[98:99], -v[194:195]
	ds_read2_b64 v[194:197], v186 offset0:46 offset1:47
	v_add_f64 v[96:97], v[96:97], -v[136:137]
	s_waitcnt lgkmcnt(0)
	v_mul_f64 v[136:137], v[196:197], v[138:139]
	v_fma_f64 v[136:137], v[194:195], v[192:193], -v[136:137]
	v_mul_f64 v[194:195], v[194:195], v[138:139]
	v_fmac_f64_e32 v[194:195], v[196:197], v[192:193]
	v_add_f64 v[94:95], v[94:95], -v[194:195]
	ds_read2_b64 v[194:197], v186 offset0:48 offset1:49
	v_add_f64 v[92:93], v[92:93], -v[136:137]
	s_waitcnt lgkmcnt(0)
	v_mul_f64 v[136:137], v[196:197], v[138:139]
	v_fma_f64 v[136:137], v[194:195], v[192:193], -v[136:137]
	v_mul_f64 v[194:195], v[194:195], v[138:139]
	v_fmac_f64_e32 v[194:195], v[196:197], v[192:193]
	v_add_f64 v[90:91], v[90:91], -v[194:195]
	ds_read2_b64 v[194:197], v186 offset0:50 offset1:51
	v_add_f64 v[88:89], v[88:89], -v[136:137]
	s_waitcnt lgkmcnt(0)
	v_mul_f64 v[136:137], v[196:197], v[138:139]
	v_fma_f64 v[136:137], v[194:195], v[192:193], -v[136:137]
	v_mul_f64 v[194:195], v[194:195], v[138:139]
	v_fmac_f64_e32 v[194:195], v[196:197], v[192:193]
	v_add_f64 v[86:87], v[86:87], -v[194:195]
	ds_read2_b64 v[194:197], v186 offset0:52 offset1:53
	v_add_f64 v[84:85], v[84:85], -v[136:137]
	s_waitcnt lgkmcnt(0)
	v_mul_f64 v[136:137], v[196:197], v[138:139]
	v_fma_f64 v[136:137], v[194:195], v[192:193], -v[136:137]
	v_mul_f64 v[194:195], v[194:195], v[138:139]
	v_fmac_f64_e32 v[194:195], v[196:197], v[192:193]
	v_add_f64 v[82:83], v[82:83], -v[194:195]
	ds_read2_b64 v[194:197], v186 offset0:54 offset1:55
	v_add_f64 v[80:81], v[80:81], -v[136:137]
	s_waitcnt lgkmcnt(0)
	v_mul_f64 v[136:137], v[196:197], v[138:139]
	v_fma_f64 v[136:137], v[194:195], v[192:193], -v[136:137]
	v_mul_f64 v[194:195], v[194:195], v[138:139]
	v_fmac_f64_e32 v[194:195], v[196:197], v[192:193]
	v_add_f64 v[78:79], v[78:79], -v[194:195]
	ds_read2_b64 v[194:197], v186 offset0:56 offset1:57
	v_add_f64 v[76:77], v[76:77], -v[136:137]
	s_waitcnt lgkmcnt(0)
	v_mul_f64 v[136:137], v[196:197], v[138:139]
	v_fma_f64 v[136:137], v[194:195], v[192:193], -v[136:137]
	v_mul_f64 v[194:195], v[194:195], v[138:139]
	v_fmac_f64_e32 v[194:195], v[196:197], v[192:193]
	v_add_f64 v[74:75], v[74:75], -v[194:195]
	ds_read2_b64 v[194:197], v186 offset0:58 offset1:59
	v_add_f64 v[72:73], v[72:73], -v[136:137]
	s_waitcnt lgkmcnt(0)
	v_mul_f64 v[136:137], v[196:197], v[138:139]
	v_fma_f64 v[136:137], v[194:195], v[192:193], -v[136:137]
	v_mul_f64 v[194:195], v[194:195], v[138:139]
	v_fmac_f64_e32 v[194:195], v[196:197], v[192:193]
	v_add_f64 v[70:71], v[70:71], -v[194:195]
	ds_read2_b64 v[194:197], v186 offset0:60 offset1:61
	v_add_f64 v[68:69], v[68:69], -v[136:137]
	s_waitcnt lgkmcnt(0)
	v_mul_f64 v[136:137], v[196:197], v[138:139]
	v_fma_f64 v[136:137], v[194:195], v[192:193], -v[136:137]
	v_mul_f64 v[194:195], v[194:195], v[138:139]
	v_fmac_f64_e32 v[194:195], v[196:197], v[192:193]
	v_add_f64 v[66:67], v[66:67], -v[194:195]
	ds_read2_b64 v[194:197], v186 offset0:62 offset1:63
	v_add_f64 v[64:65], v[64:65], -v[136:137]
	s_waitcnt lgkmcnt(0)
	v_mul_f64 v[136:137], v[196:197], v[138:139]
	v_fma_f64 v[136:137], v[194:195], v[192:193], -v[136:137]
	v_mul_f64 v[194:195], v[194:195], v[138:139]
	v_fmac_f64_e32 v[194:195], v[196:197], v[192:193]
	v_add_f64 v[62:63], v[62:63], -v[194:195]
	ds_read2_b64 v[194:197], v186 offset0:64 offset1:65
	v_add_f64 v[60:61], v[60:61], -v[136:137]
	s_waitcnt lgkmcnt(0)
	v_mul_f64 v[136:137], v[196:197], v[138:139]
	v_fma_f64 v[136:137], v[194:195], v[192:193], -v[136:137]
	v_mul_f64 v[194:195], v[194:195], v[138:139]
	v_fmac_f64_e32 v[194:195], v[196:197], v[192:193]
	v_add_f64 v[58:59], v[58:59], -v[194:195]
	ds_read2_b64 v[194:197], v186 offset0:66 offset1:67
	v_add_f64 v[56:57], v[56:57], -v[136:137]
	s_waitcnt lgkmcnt(0)
	v_mul_f64 v[136:137], v[196:197], v[138:139]
	v_fma_f64 v[136:137], v[194:195], v[192:193], -v[136:137]
	v_mul_f64 v[194:195], v[194:195], v[138:139]
	v_fmac_f64_e32 v[194:195], v[196:197], v[192:193]
	v_add_f64 v[54:55], v[54:55], -v[194:195]
	ds_read2_b64 v[194:197], v186 offset0:68 offset1:69
	v_add_f64 v[52:53], v[52:53], -v[136:137]
	s_waitcnt lgkmcnt(0)
	v_mul_f64 v[136:137], v[196:197], v[138:139]
	v_fma_f64 v[136:137], v[194:195], v[192:193], -v[136:137]
	v_mul_f64 v[194:195], v[194:195], v[138:139]
	v_fmac_f64_e32 v[194:195], v[196:197], v[192:193]
	v_add_f64 v[50:51], v[50:51], -v[194:195]
	ds_read2_b64 v[194:197], v186 offset0:70 offset1:71
	v_add_f64 v[48:49], v[48:49], -v[136:137]
	s_waitcnt lgkmcnt(0)
	v_mul_f64 v[136:137], v[196:197], v[138:139]
	v_fma_f64 v[136:137], v[194:195], v[192:193], -v[136:137]
	v_mul_f64 v[194:195], v[194:195], v[138:139]
	v_fmac_f64_e32 v[194:195], v[196:197], v[192:193]
	v_add_f64 v[46:47], v[46:47], -v[194:195]
	ds_read2_b64 v[194:197], v186 offset0:72 offset1:73
	v_add_f64 v[44:45], v[44:45], -v[136:137]
	s_waitcnt lgkmcnt(0)
	v_mul_f64 v[136:137], v[196:197], v[138:139]
	v_fma_f64 v[136:137], v[194:195], v[192:193], -v[136:137]
	v_mul_f64 v[194:195], v[194:195], v[138:139]
	v_fmac_f64_e32 v[194:195], v[196:197], v[192:193]
	v_add_f64 v[42:43], v[42:43], -v[194:195]
	ds_read2_b64 v[194:197], v186 offset0:74 offset1:75
	v_add_f64 v[40:41], v[40:41], -v[136:137]
	s_waitcnt lgkmcnt(0)
	v_mul_f64 v[136:137], v[196:197], v[138:139]
	v_fma_f64 v[136:137], v[194:195], v[192:193], -v[136:137]
	v_mul_f64 v[194:195], v[194:195], v[138:139]
	v_fmac_f64_e32 v[194:195], v[196:197], v[192:193]
	v_add_f64 v[38:39], v[38:39], -v[194:195]
	ds_read2_b64 v[194:197], v186 offset0:76 offset1:77
	v_add_f64 v[36:37], v[36:37], -v[136:137]
	s_waitcnt lgkmcnt(0)
	v_mul_f64 v[136:137], v[196:197], v[138:139]
	v_fma_f64 v[136:137], v[194:195], v[192:193], -v[136:137]
	v_mul_f64 v[194:195], v[194:195], v[138:139]
	v_fmac_f64_e32 v[194:195], v[196:197], v[192:193]
	v_add_f64 v[34:35], v[34:35], -v[194:195]
	ds_read2_b64 v[194:197], v186 offset0:78 offset1:79
	v_add_f64 v[32:33], v[32:33], -v[136:137]
	s_waitcnt lgkmcnt(0)
	v_mul_f64 v[136:137], v[196:197], v[138:139]
	v_fma_f64 v[136:137], v[194:195], v[192:193], -v[136:137]
	v_mul_f64 v[194:195], v[194:195], v[138:139]
	v_fmac_f64_e32 v[194:195], v[196:197], v[192:193]
	v_add_f64 v[30:31], v[30:31], -v[194:195]
	ds_read2_b64 v[194:197], v186 offset0:80 offset1:81
	v_add_f64 v[28:29], v[28:29], -v[136:137]
	s_waitcnt lgkmcnt(0)
	v_mul_f64 v[136:137], v[196:197], v[138:139]
	v_fma_f64 v[136:137], v[194:195], v[192:193], -v[136:137]
	v_mul_f64 v[194:195], v[194:195], v[138:139]
	v_fmac_f64_e32 v[194:195], v[196:197], v[192:193]
	v_add_f64 v[26:27], v[26:27], -v[194:195]
	ds_read2_b64 v[194:197], v186 offset0:82 offset1:83
	v_add_f64 v[24:25], v[24:25], -v[136:137]
	s_waitcnt lgkmcnt(0)
	v_mul_f64 v[136:137], v[196:197], v[138:139]
	v_fma_f64 v[136:137], v[194:195], v[192:193], -v[136:137]
	v_mul_f64 v[194:195], v[194:195], v[138:139]
	v_fmac_f64_e32 v[194:195], v[196:197], v[192:193]
	v_add_f64 v[22:23], v[22:23], -v[194:195]
	ds_read2_b64 v[194:197], v186 offset0:84 offset1:85
	v_add_f64 v[20:21], v[20:21], -v[136:137]
	s_waitcnt lgkmcnt(0)
	v_mul_f64 v[136:137], v[196:197], v[138:139]
	v_fma_f64 v[136:137], v[194:195], v[192:193], -v[136:137]
	v_mul_f64 v[194:195], v[194:195], v[138:139]
	v_fmac_f64_e32 v[194:195], v[196:197], v[192:193]
	v_add_f64 v[18:19], v[18:19], -v[194:195]
	ds_read2_b64 v[194:197], v186 offset0:86 offset1:87
	v_add_f64 v[16:17], v[16:17], -v[136:137]
	s_waitcnt lgkmcnt(0)
	v_mul_f64 v[136:137], v[196:197], v[138:139]
	v_fma_f64 v[136:137], v[194:195], v[192:193], -v[136:137]
	v_mul_f64 v[194:195], v[194:195], v[138:139]
	v_fmac_f64_e32 v[194:195], v[196:197], v[192:193]
	v_add_f64 v[14:15], v[14:15], -v[194:195]
	ds_read2_b64 v[194:197], v186 offset0:88 offset1:89
	v_add_f64 v[12:13], v[12:13], -v[136:137]
	s_waitcnt lgkmcnt(0)
	v_mul_f64 v[136:137], v[196:197], v[138:139]
	v_fma_f64 v[136:137], v[194:195], v[192:193], -v[136:137]
	v_mul_f64 v[194:195], v[194:195], v[138:139]
	v_fmac_f64_e32 v[194:195], v[196:197], v[192:193]
	v_add_f64 v[10:11], v[10:11], -v[194:195]
	ds_read2_b64 v[194:197], v186 offset0:90 offset1:91
	v_add_f64 v[8:9], v[8:9], -v[136:137]
	s_waitcnt lgkmcnt(0)
	v_mul_f64 v[136:137], v[196:197], v[138:139]
	v_fma_f64 v[136:137], v[194:195], v[192:193], -v[136:137]
	v_mul_f64 v[194:195], v[194:195], v[138:139]
	v_fmac_f64_e32 v[194:195], v[196:197], v[192:193]
	v_add_f64 v[6:7], v[6:7], -v[194:195]
	ds_read2_b64 v[194:197], v186 offset0:92 offset1:93
	v_add_f64 v[4:5], v[4:5], -v[136:137]
	s_waitcnt lgkmcnt(0)
	v_mul_f64 v[136:137], v[196:197], v[138:139]
	v_fma_f64 v[136:137], v[194:195], v[192:193], -v[136:137]
	v_mul_f64 v[194:195], v[194:195], v[138:139]
	v_fmac_f64_e32 v[194:195], v[196:197], v[192:193]
	v_add_f64 v[2:3], v[2:3], -v[194:195]
	ds_read2_b64 v[194:197], v186 offset0:94 offset1:95
	v_add_f64 v[0:1], v[0:1], -v[136:137]
	s_waitcnt lgkmcnt(0)
	v_mul_f64 v[136:137], v[196:197], v[138:139]
	v_fma_f64 v[136:137], v[194:195], v[192:193], -v[136:137]
	v_mul_f64 v[194:195], v[194:195], v[138:139]
	v_fmac_f64_e32 v[194:195], v[196:197], v[192:193]
	v_add_f64 v[188:189], v[188:189], -v[136:137]
	v_add_f64 v[190:191], v[190:191], -v[194:195]
	v_mov_b64_e32 v[136:137], v[192:193]
.LBB95_118:
	s_or_b64 exec, exec, s[2:3]
	v_cmp_eq_u32_e32 vcc, 13, v184
	s_waitcnt vmcnt(63) expcnt(7) lgkmcnt(15)
	s_barrier
	s_and_saveexec_b64 s[4:5], vcc
	s_cbranch_execz .LBB95_125
; %bb.119:
	ds_write2_b64 v185, v[132:133], v[134:135] offset1:1
	ds_write2_b64 v186, v[128:129], v[130:131] offset0:28 offset1:29
	ds_write2_b64 v186, v[124:125], v[126:127] offset0:30 offset1:31
	;; [unrolled: 1-line block ×16, first 2 shown]
	s_waitcnt vmcnt(45)
	ds_write2_b64 v186, v[64:65], v[66:67] offset0:60 offset1:61
	s_waitcnt vmcnt(43)
	ds_write2_b64 v186, v[60:61], v[62:63] offset0:62 offset1:63
	;; [unrolled: 2-line block ×15, first 2 shown]
	ds_write2_b64 v186, v[4:5], v[6:7] offset0:90 offset1:91
	ds_write2_b64 v186, v[0:1], v[2:3] offset0:92 offset1:93
	s_waitcnt vmcnt(28)
	ds_write2_b64 v186, v[188:189], v[190:191] offset0:94 offset1:95
	ds_read2_b64 v[192:195], v185 offset1:1
	s_waitcnt lgkmcnt(0)
	v_cmp_neq_f64_e32 vcc, 0, v[192:193]
	v_cmp_neq_f64_e64 s[2:3], 0, v[194:195]
	s_or_b64 s[2:3], vcc, s[2:3]
	s_and_b64 exec, exec, s[2:3]
	s_cbranch_execz .LBB95_125
; %bb.120:
	v_cmp_ngt_f64_e64 s[2:3], |v[192:193]|, |v[194:195]|
                                        ; implicit-def: $vgpr196_vgpr197
	s_and_saveexec_b64 s[10:11], s[2:3]
	s_xor_b64 s[2:3], exec, s[10:11]
                                        ; implicit-def: $vgpr198_vgpr199
	s_cbranch_execz .LBB95_122
; %bb.121:
	v_div_scale_f64 v[196:197], s[10:11], v[194:195], v[194:195], v[192:193]
	v_rcp_f64_e32 v[198:199], v[196:197]
	v_div_scale_f64 v[200:201], vcc, v[192:193], v[194:195], v[192:193]
	v_fma_f64 v[202:203], -v[196:197], v[198:199], 1.0
	v_fmac_f64_e32 v[198:199], v[198:199], v[202:203]
	v_fma_f64 v[202:203], -v[196:197], v[198:199], 1.0
	v_fmac_f64_e32 v[198:199], v[198:199], v[202:203]
	v_mul_f64 v[202:203], v[200:201], v[198:199]
	v_fma_f64 v[196:197], -v[196:197], v[202:203], v[200:201]
	v_div_fmas_f64 v[196:197], v[196:197], v[198:199], v[202:203]
	v_div_fixup_f64 v[196:197], v[196:197], v[194:195], v[192:193]
	v_fmac_f64_e32 v[194:195], v[192:193], v[196:197]
	v_div_scale_f64 v[192:193], s[10:11], v[194:195], v[194:195], 1.0
	v_rcp_f64_e32 v[198:199], v[192:193]
	s_nop 0
	v_fma_f64 v[200:201], -v[192:193], v[198:199], 1.0
	v_fmac_f64_e32 v[198:199], v[198:199], v[200:201]
	v_fma_f64 v[200:201], -v[192:193], v[198:199], 1.0
	v_fmac_f64_e32 v[198:199], v[198:199], v[200:201]
	v_div_scale_f64 v[200:201], vcc, 1.0, v[194:195], 1.0
	v_mul_f64 v[202:203], v[200:201], v[198:199]
	v_fma_f64 v[192:193], -v[192:193], v[202:203], v[200:201]
	s_nop 1
	v_div_fmas_f64 v[192:193], v[192:193], v[198:199], v[202:203]
	v_div_fixup_f64 v[198:199], v[192:193], v[194:195], 1.0
	v_mul_f64 v[196:197], v[196:197], v[198:199]
	v_xor_b32_e32 v199, 0x80000000, v199
                                        ; implicit-def: $vgpr192_vgpr193
.LBB95_122:
	s_andn2_saveexec_b64 s[2:3], s[2:3]
	s_cbranch_execz .LBB95_124
; %bb.123:
	v_div_scale_f64 v[196:197], s[10:11], v[192:193], v[192:193], v[194:195]
	v_rcp_f64_e32 v[198:199], v[196:197]
	v_div_scale_f64 v[200:201], vcc, v[194:195], v[192:193], v[194:195]
	v_fma_f64 v[202:203], -v[196:197], v[198:199], 1.0
	v_fmac_f64_e32 v[198:199], v[198:199], v[202:203]
	v_fma_f64 v[202:203], -v[196:197], v[198:199], 1.0
	v_fmac_f64_e32 v[198:199], v[198:199], v[202:203]
	v_mul_f64 v[202:203], v[200:201], v[198:199]
	v_fma_f64 v[196:197], -v[196:197], v[202:203], v[200:201]
	v_div_fmas_f64 v[196:197], v[196:197], v[198:199], v[202:203]
	v_div_fixup_f64 v[198:199], v[196:197], v[192:193], v[194:195]
	v_fmac_f64_e32 v[192:193], v[194:195], v[198:199]
	v_div_scale_f64 v[194:195], s[10:11], v[192:193], v[192:193], 1.0
	v_rcp_f64_e32 v[196:197], v[194:195]
	s_nop 0
	v_fma_f64 v[200:201], -v[194:195], v[196:197], 1.0
	v_fmac_f64_e32 v[196:197], v[196:197], v[200:201]
	v_fma_f64 v[200:201], -v[194:195], v[196:197], 1.0
	v_fmac_f64_e32 v[196:197], v[196:197], v[200:201]
	v_div_scale_f64 v[200:201], vcc, 1.0, v[192:193], 1.0
	v_mul_f64 v[202:203], v[200:201], v[196:197]
	v_fma_f64 v[194:195], -v[194:195], v[202:203], v[200:201]
	s_nop 1
	v_div_fmas_f64 v[194:195], v[194:195], v[196:197], v[202:203]
	v_div_fixup_f64 v[196:197], v[194:195], v[192:193], 1.0
	v_mul_f64 v[198:199], v[198:199], -v[196:197]
.LBB95_124:
	s_or_b64 exec, exec, s[2:3]
	ds_write2_b64 v185, v[196:197], v[198:199] offset1:1
.LBB95_125:
	s_or_b64 exec, exec, s[4:5]
	s_waitcnt lgkmcnt(0)
	s_barrier
	ds_read2_b64 v[192:195], v185 offset1:1
	v_cmp_lt_u32_e32 vcc, 13, v184
	s_waitcnt lgkmcnt(0)
	scratch_store_dwordx4 off, v[192:195], off offset:608 ; 16-byte Folded Spill
	s_and_saveexec_b64 s[2:3], vcc
	s_cbranch_execz .LBB95_127
; %bb.126:
	scratch_load_dwordx4 v[194:197], off, off offset:608 ; 16-byte Folded Reload
	s_waitcnt vmcnt(0)
	v_mul_f64 v[192:193], v[196:197], v[134:135]
	v_mul_f64 v[134:135], v[194:195], v[134:135]
	v_fma_f64 v[192:193], v[194:195], v[132:133], -v[192:193]
	v_fmac_f64_e32 v[134:135], v[196:197], v[132:133]
	ds_read2_b64 v[194:197], v186 offset0:28 offset1:29
	s_waitcnt lgkmcnt(0)
	v_mul_f64 v[132:133], v[196:197], v[134:135]
	v_fma_f64 v[132:133], v[194:195], v[192:193], -v[132:133]
	v_mul_f64 v[194:195], v[194:195], v[134:135]
	v_fmac_f64_e32 v[194:195], v[196:197], v[192:193]
	v_add_f64 v[130:131], v[130:131], -v[194:195]
	ds_read2_b64 v[194:197], v186 offset0:30 offset1:31
	v_add_f64 v[128:129], v[128:129], -v[132:133]
	s_waitcnt lgkmcnt(0)
	v_mul_f64 v[132:133], v[196:197], v[134:135]
	v_fma_f64 v[132:133], v[194:195], v[192:193], -v[132:133]
	v_mul_f64 v[194:195], v[194:195], v[134:135]
	v_fmac_f64_e32 v[194:195], v[196:197], v[192:193]
	v_add_f64 v[126:127], v[126:127], -v[194:195]
	ds_read2_b64 v[194:197], v186 offset0:32 offset1:33
	v_add_f64 v[124:125], v[124:125], -v[132:133]
	;; [unrolled: 8-line block ×33, first 2 shown]
	s_waitcnt lgkmcnt(0)
	v_mul_f64 v[132:133], v[196:197], v[134:135]
	v_fma_f64 v[132:133], v[194:195], v[192:193], -v[132:133]
	v_mul_f64 v[194:195], v[194:195], v[134:135]
	v_fmac_f64_e32 v[194:195], v[196:197], v[192:193]
	v_add_f64 v[188:189], v[188:189], -v[132:133]
	v_add_f64 v[190:191], v[190:191], -v[194:195]
	v_mov_b64_e32 v[132:133], v[192:193]
.LBB95_127:
	s_or_b64 exec, exec, s[2:3]
	v_cmp_eq_u32_e32 vcc, 14, v184
	s_waitcnt vmcnt(63) expcnt(7) lgkmcnt(15)
	s_barrier
	s_and_saveexec_b64 s[4:5], vcc
	s_cbranch_execz .LBB95_134
; %bb.128:
	ds_write2_b64 v185, v[128:129], v[130:131] offset1:1
	ds_write2_b64 v186, v[124:125], v[126:127] offset0:30 offset1:31
	ds_write2_b64 v186, v[120:121], v[122:123] offset0:32 offset1:33
	;; [unrolled: 1-line block ×15, first 2 shown]
	s_waitcnt vmcnt(46)
	ds_write2_b64 v186, v[64:65], v[66:67] offset0:60 offset1:61
	s_waitcnt vmcnt(44)
	ds_write2_b64 v186, v[60:61], v[62:63] offset0:62 offset1:63
	;; [unrolled: 2-line block ×15, first 2 shown]
	ds_write2_b64 v186, v[4:5], v[6:7] offset0:90 offset1:91
	ds_write2_b64 v186, v[0:1], v[2:3] offset0:92 offset1:93
	s_waitcnt vmcnt(29)
	ds_write2_b64 v186, v[188:189], v[190:191] offset0:94 offset1:95
	ds_read2_b64 v[192:195], v185 offset1:1
	s_waitcnt lgkmcnt(0)
	v_cmp_neq_f64_e32 vcc, 0, v[192:193]
	v_cmp_neq_f64_e64 s[2:3], 0, v[194:195]
	s_or_b64 s[2:3], vcc, s[2:3]
	s_and_b64 exec, exec, s[2:3]
	s_cbranch_execz .LBB95_134
; %bb.129:
	v_cmp_ngt_f64_e64 s[2:3], |v[192:193]|, |v[194:195]|
                                        ; implicit-def: $vgpr196_vgpr197
	s_and_saveexec_b64 s[10:11], s[2:3]
	s_xor_b64 s[2:3], exec, s[10:11]
                                        ; implicit-def: $vgpr198_vgpr199
	s_cbranch_execz .LBB95_131
; %bb.130:
	v_div_scale_f64 v[196:197], s[10:11], v[194:195], v[194:195], v[192:193]
	v_rcp_f64_e32 v[198:199], v[196:197]
	v_div_scale_f64 v[200:201], vcc, v[192:193], v[194:195], v[192:193]
	v_fma_f64 v[202:203], -v[196:197], v[198:199], 1.0
	v_fmac_f64_e32 v[198:199], v[198:199], v[202:203]
	v_fma_f64 v[202:203], -v[196:197], v[198:199], 1.0
	v_fmac_f64_e32 v[198:199], v[198:199], v[202:203]
	v_mul_f64 v[202:203], v[200:201], v[198:199]
	v_fma_f64 v[196:197], -v[196:197], v[202:203], v[200:201]
	v_div_fmas_f64 v[196:197], v[196:197], v[198:199], v[202:203]
	v_div_fixup_f64 v[196:197], v[196:197], v[194:195], v[192:193]
	v_fmac_f64_e32 v[194:195], v[192:193], v[196:197]
	v_div_scale_f64 v[192:193], s[10:11], v[194:195], v[194:195], 1.0
	v_rcp_f64_e32 v[198:199], v[192:193]
	s_nop 0
	v_fma_f64 v[200:201], -v[192:193], v[198:199], 1.0
	v_fmac_f64_e32 v[198:199], v[198:199], v[200:201]
	v_fma_f64 v[200:201], -v[192:193], v[198:199], 1.0
	v_fmac_f64_e32 v[198:199], v[198:199], v[200:201]
	v_div_scale_f64 v[200:201], vcc, 1.0, v[194:195], 1.0
	v_mul_f64 v[202:203], v[200:201], v[198:199]
	v_fma_f64 v[192:193], -v[192:193], v[202:203], v[200:201]
	s_nop 1
	v_div_fmas_f64 v[192:193], v[192:193], v[198:199], v[202:203]
	v_div_fixup_f64 v[198:199], v[192:193], v[194:195], 1.0
	v_mul_f64 v[196:197], v[196:197], v[198:199]
	v_xor_b32_e32 v199, 0x80000000, v199
                                        ; implicit-def: $vgpr192_vgpr193
.LBB95_131:
	s_andn2_saveexec_b64 s[2:3], s[2:3]
	s_cbranch_execz .LBB95_133
; %bb.132:
	v_div_scale_f64 v[196:197], s[10:11], v[192:193], v[192:193], v[194:195]
	v_rcp_f64_e32 v[198:199], v[196:197]
	v_div_scale_f64 v[200:201], vcc, v[194:195], v[192:193], v[194:195]
	v_fma_f64 v[202:203], -v[196:197], v[198:199], 1.0
	v_fmac_f64_e32 v[198:199], v[198:199], v[202:203]
	v_fma_f64 v[202:203], -v[196:197], v[198:199], 1.0
	v_fmac_f64_e32 v[198:199], v[198:199], v[202:203]
	v_mul_f64 v[202:203], v[200:201], v[198:199]
	v_fma_f64 v[196:197], -v[196:197], v[202:203], v[200:201]
	v_div_fmas_f64 v[196:197], v[196:197], v[198:199], v[202:203]
	v_div_fixup_f64 v[198:199], v[196:197], v[192:193], v[194:195]
	v_fmac_f64_e32 v[192:193], v[194:195], v[198:199]
	v_div_scale_f64 v[194:195], s[10:11], v[192:193], v[192:193], 1.0
	v_rcp_f64_e32 v[196:197], v[194:195]
	s_nop 0
	v_fma_f64 v[200:201], -v[194:195], v[196:197], 1.0
	v_fmac_f64_e32 v[196:197], v[196:197], v[200:201]
	v_fma_f64 v[200:201], -v[194:195], v[196:197], 1.0
	v_fmac_f64_e32 v[196:197], v[196:197], v[200:201]
	v_div_scale_f64 v[200:201], vcc, 1.0, v[192:193], 1.0
	v_mul_f64 v[202:203], v[200:201], v[196:197]
	v_fma_f64 v[194:195], -v[194:195], v[202:203], v[200:201]
	s_nop 1
	v_div_fmas_f64 v[194:195], v[194:195], v[196:197], v[202:203]
	v_div_fixup_f64 v[196:197], v[194:195], v[192:193], 1.0
	v_mul_f64 v[198:199], v[198:199], -v[196:197]
.LBB95_133:
	s_or_b64 exec, exec, s[2:3]
	ds_write2_b64 v185, v[196:197], v[198:199] offset1:1
.LBB95_134:
	s_or_b64 exec, exec, s[4:5]
	s_waitcnt lgkmcnt(0)
	s_barrier
	ds_read2_b64 v[192:195], v185 offset1:1
	v_cmp_lt_u32_e32 vcc, 14, v184
	s_waitcnt lgkmcnt(0)
	scratch_store_dwordx4 off, v[192:195], off offset:624 ; 16-byte Folded Spill
	s_and_saveexec_b64 s[2:3], vcc
	s_cbranch_execz .LBB95_136
; %bb.135:
	scratch_load_dwordx4 v[194:197], off, off offset:624 ; 16-byte Folded Reload
	s_waitcnt vmcnt(0)
	v_mul_f64 v[192:193], v[196:197], v[130:131]
	v_mul_f64 v[130:131], v[194:195], v[130:131]
	v_fma_f64 v[192:193], v[194:195], v[128:129], -v[192:193]
	v_fmac_f64_e32 v[130:131], v[196:197], v[128:129]
	ds_read2_b64 v[194:197], v186 offset0:30 offset1:31
	s_waitcnt lgkmcnt(0)
	v_mul_f64 v[128:129], v[196:197], v[130:131]
	v_fma_f64 v[128:129], v[194:195], v[192:193], -v[128:129]
	v_mul_f64 v[194:195], v[194:195], v[130:131]
	v_fmac_f64_e32 v[194:195], v[196:197], v[192:193]
	v_add_f64 v[126:127], v[126:127], -v[194:195]
	ds_read2_b64 v[194:197], v186 offset0:32 offset1:33
	v_add_f64 v[124:125], v[124:125], -v[128:129]
	s_waitcnt lgkmcnt(0)
	v_mul_f64 v[128:129], v[196:197], v[130:131]
	v_fma_f64 v[128:129], v[194:195], v[192:193], -v[128:129]
	v_mul_f64 v[194:195], v[194:195], v[130:131]
	v_fmac_f64_e32 v[194:195], v[196:197], v[192:193]
	v_add_f64 v[122:123], v[122:123], -v[194:195]
	ds_read2_b64 v[194:197], v186 offset0:34 offset1:35
	v_add_f64 v[120:121], v[120:121], -v[128:129]
	;; [unrolled: 8-line block ×32, first 2 shown]
	s_waitcnt lgkmcnt(0)
	v_mul_f64 v[128:129], v[196:197], v[130:131]
	v_fma_f64 v[128:129], v[194:195], v[192:193], -v[128:129]
	v_mul_f64 v[194:195], v[194:195], v[130:131]
	v_fmac_f64_e32 v[194:195], v[196:197], v[192:193]
	v_add_f64 v[188:189], v[188:189], -v[128:129]
	v_add_f64 v[190:191], v[190:191], -v[194:195]
	v_mov_b64_e32 v[128:129], v[192:193]
.LBB95_136:
	s_or_b64 exec, exec, s[2:3]
	v_cmp_eq_u32_e32 vcc, 15, v184
	s_waitcnt vmcnt(63) expcnt(7) lgkmcnt(15)
	s_barrier
	s_and_saveexec_b64 s[4:5], vcc
	s_cbranch_execz .LBB95_143
; %bb.137:
	ds_write2_b64 v185, v[124:125], v[126:127] offset1:1
	ds_write2_b64 v186, v[120:121], v[122:123] offset0:32 offset1:33
	ds_write2_b64 v186, v[116:117], v[118:119] offset0:34 offset1:35
	;; [unrolled: 1-line block ×14, first 2 shown]
	s_waitcnt vmcnt(47)
	ds_write2_b64 v186, v[64:65], v[66:67] offset0:60 offset1:61
	s_waitcnt vmcnt(45)
	ds_write2_b64 v186, v[60:61], v[62:63] offset0:62 offset1:63
	;; [unrolled: 2-line block ×15, first 2 shown]
	ds_write2_b64 v186, v[4:5], v[6:7] offset0:90 offset1:91
	ds_write2_b64 v186, v[0:1], v[2:3] offset0:92 offset1:93
	s_waitcnt vmcnt(30)
	ds_write2_b64 v186, v[188:189], v[190:191] offset0:94 offset1:95
	ds_read2_b64 v[192:195], v185 offset1:1
	s_waitcnt lgkmcnt(0)
	v_cmp_neq_f64_e32 vcc, 0, v[192:193]
	v_cmp_neq_f64_e64 s[2:3], 0, v[194:195]
	s_or_b64 s[2:3], vcc, s[2:3]
	s_and_b64 exec, exec, s[2:3]
	s_cbranch_execz .LBB95_143
; %bb.138:
	v_cmp_ngt_f64_e64 s[2:3], |v[192:193]|, |v[194:195]|
                                        ; implicit-def: $vgpr196_vgpr197
	s_and_saveexec_b64 s[10:11], s[2:3]
	s_xor_b64 s[2:3], exec, s[10:11]
                                        ; implicit-def: $vgpr198_vgpr199
	s_cbranch_execz .LBB95_140
; %bb.139:
	v_div_scale_f64 v[196:197], s[10:11], v[194:195], v[194:195], v[192:193]
	v_rcp_f64_e32 v[198:199], v[196:197]
	v_div_scale_f64 v[200:201], vcc, v[192:193], v[194:195], v[192:193]
	v_fma_f64 v[202:203], -v[196:197], v[198:199], 1.0
	v_fmac_f64_e32 v[198:199], v[198:199], v[202:203]
	v_fma_f64 v[202:203], -v[196:197], v[198:199], 1.0
	v_fmac_f64_e32 v[198:199], v[198:199], v[202:203]
	v_mul_f64 v[202:203], v[200:201], v[198:199]
	v_fma_f64 v[196:197], -v[196:197], v[202:203], v[200:201]
	v_div_fmas_f64 v[196:197], v[196:197], v[198:199], v[202:203]
	v_div_fixup_f64 v[196:197], v[196:197], v[194:195], v[192:193]
	v_fmac_f64_e32 v[194:195], v[192:193], v[196:197]
	v_div_scale_f64 v[192:193], s[10:11], v[194:195], v[194:195], 1.0
	v_rcp_f64_e32 v[198:199], v[192:193]
	s_nop 0
	v_fma_f64 v[200:201], -v[192:193], v[198:199], 1.0
	v_fmac_f64_e32 v[198:199], v[198:199], v[200:201]
	v_fma_f64 v[200:201], -v[192:193], v[198:199], 1.0
	v_fmac_f64_e32 v[198:199], v[198:199], v[200:201]
	v_div_scale_f64 v[200:201], vcc, 1.0, v[194:195], 1.0
	v_mul_f64 v[202:203], v[200:201], v[198:199]
	v_fma_f64 v[192:193], -v[192:193], v[202:203], v[200:201]
	s_nop 1
	v_div_fmas_f64 v[192:193], v[192:193], v[198:199], v[202:203]
	v_div_fixup_f64 v[198:199], v[192:193], v[194:195], 1.0
	v_mul_f64 v[196:197], v[196:197], v[198:199]
	v_xor_b32_e32 v199, 0x80000000, v199
                                        ; implicit-def: $vgpr192_vgpr193
.LBB95_140:
	s_andn2_saveexec_b64 s[2:3], s[2:3]
	s_cbranch_execz .LBB95_142
; %bb.141:
	v_div_scale_f64 v[196:197], s[10:11], v[192:193], v[192:193], v[194:195]
	v_rcp_f64_e32 v[198:199], v[196:197]
	v_div_scale_f64 v[200:201], vcc, v[194:195], v[192:193], v[194:195]
	v_fma_f64 v[202:203], -v[196:197], v[198:199], 1.0
	v_fmac_f64_e32 v[198:199], v[198:199], v[202:203]
	v_fma_f64 v[202:203], -v[196:197], v[198:199], 1.0
	v_fmac_f64_e32 v[198:199], v[198:199], v[202:203]
	v_mul_f64 v[202:203], v[200:201], v[198:199]
	v_fma_f64 v[196:197], -v[196:197], v[202:203], v[200:201]
	v_div_fmas_f64 v[196:197], v[196:197], v[198:199], v[202:203]
	v_div_fixup_f64 v[198:199], v[196:197], v[192:193], v[194:195]
	v_fmac_f64_e32 v[192:193], v[194:195], v[198:199]
	v_div_scale_f64 v[194:195], s[10:11], v[192:193], v[192:193], 1.0
	v_rcp_f64_e32 v[196:197], v[194:195]
	s_nop 0
	v_fma_f64 v[200:201], -v[194:195], v[196:197], 1.0
	v_fmac_f64_e32 v[196:197], v[196:197], v[200:201]
	v_fma_f64 v[200:201], -v[194:195], v[196:197], 1.0
	v_fmac_f64_e32 v[196:197], v[196:197], v[200:201]
	v_div_scale_f64 v[200:201], vcc, 1.0, v[192:193], 1.0
	v_mul_f64 v[202:203], v[200:201], v[196:197]
	v_fma_f64 v[194:195], -v[194:195], v[202:203], v[200:201]
	s_nop 1
	v_div_fmas_f64 v[194:195], v[194:195], v[196:197], v[202:203]
	v_div_fixup_f64 v[196:197], v[194:195], v[192:193], 1.0
	v_mul_f64 v[198:199], v[198:199], -v[196:197]
.LBB95_142:
	s_or_b64 exec, exec, s[2:3]
	ds_write2_b64 v185, v[196:197], v[198:199] offset1:1
.LBB95_143:
	s_or_b64 exec, exec, s[4:5]
	s_waitcnt lgkmcnt(0)
	s_barrier
	ds_read2_b64 v[192:195], v185 offset1:1
	v_cmp_lt_u32_e32 vcc, 15, v184
	s_waitcnt lgkmcnt(0)
	scratch_store_dwordx4 off, v[192:195], off offset:640 ; 16-byte Folded Spill
	s_and_saveexec_b64 s[2:3], vcc
	s_cbranch_execz .LBB95_145
; %bb.144:
	scratch_load_dwordx4 v[194:197], off, off offset:640 ; 16-byte Folded Reload
	s_waitcnt vmcnt(0)
	v_mul_f64 v[192:193], v[196:197], v[126:127]
	v_mul_f64 v[126:127], v[194:195], v[126:127]
	v_fma_f64 v[192:193], v[194:195], v[124:125], -v[192:193]
	v_fmac_f64_e32 v[126:127], v[196:197], v[124:125]
	ds_read2_b64 v[194:197], v186 offset0:32 offset1:33
	s_waitcnt lgkmcnt(0)
	v_mul_f64 v[124:125], v[196:197], v[126:127]
	v_fma_f64 v[124:125], v[194:195], v[192:193], -v[124:125]
	v_mul_f64 v[194:195], v[194:195], v[126:127]
	v_fmac_f64_e32 v[194:195], v[196:197], v[192:193]
	v_add_f64 v[122:123], v[122:123], -v[194:195]
	ds_read2_b64 v[194:197], v186 offset0:34 offset1:35
	v_add_f64 v[120:121], v[120:121], -v[124:125]
	s_waitcnt lgkmcnt(0)
	v_mul_f64 v[124:125], v[196:197], v[126:127]
	v_fma_f64 v[124:125], v[194:195], v[192:193], -v[124:125]
	v_mul_f64 v[194:195], v[194:195], v[126:127]
	v_fmac_f64_e32 v[194:195], v[196:197], v[192:193]
	v_add_f64 v[118:119], v[118:119], -v[194:195]
	ds_read2_b64 v[194:197], v186 offset0:36 offset1:37
	v_add_f64 v[116:117], v[116:117], -v[124:125]
	;; [unrolled: 8-line block ×31, first 2 shown]
	s_waitcnt lgkmcnt(0)
	v_mul_f64 v[124:125], v[196:197], v[126:127]
	v_fma_f64 v[124:125], v[194:195], v[192:193], -v[124:125]
	v_mul_f64 v[194:195], v[194:195], v[126:127]
	v_fmac_f64_e32 v[194:195], v[196:197], v[192:193]
	v_add_f64 v[188:189], v[188:189], -v[124:125]
	v_add_f64 v[190:191], v[190:191], -v[194:195]
	v_mov_b64_e32 v[124:125], v[192:193]
.LBB95_145:
	s_or_b64 exec, exec, s[2:3]
	v_cmp_eq_u32_e32 vcc, 16, v184
	s_waitcnt vmcnt(63) expcnt(7) lgkmcnt(15)
	s_barrier
	s_and_saveexec_b64 s[4:5], vcc
	s_cbranch_execz .LBB95_152
; %bb.146:
	ds_write2_b64 v185, v[120:121], v[122:123] offset1:1
	ds_write2_b64 v186, v[116:117], v[118:119] offset0:34 offset1:35
	ds_write2_b64 v186, v[112:113], v[114:115] offset0:36 offset1:37
	;; [unrolled: 1-line block ×13, first 2 shown]
	s_waitcnt vmcnt(48)
	ds_write2_b64 v186, v[64:65], v[66:67] offset0:60 offset1:61
	s_waitcnt vmcnt(46)
	ds_write2_b64 v186, v[60:61], v[62:63] offset0:62 offset1:63
	;; [unrolled: 2-line block ×15, first 2 shown]
	ds_write2_b64 v186, v[4:5], v[6:7] offset0:90 offset1:91
	ds_write2_b64 v186, v[0:1], v[2:3] offset0:92 offset1:93
	s_waitcnt vmcnt(31)
	ds_write2_b64 v186, v[188:189], v[190:191] offset0:94 offset1:95
	ds_read2_b64 v[192:195], v185 offset1:1
	s_waitcnt lgkmcnt(0)
	v_cmp_neq_f64_e32 vcc, 0, v[192:193]
	v_cmp_neq_f64_e64 s[2:3], 0, v[194:195]
	s_or_b64 s[2:3], vcc, s[2:3]
	s_and_b64 exec, exec, s[2:3]
	s_cbranch_execz .LBB95_152
; %bb.147:
	v_cmp_ngt_f64_e64 s[2:3], |v[192:193]|, |v[194:195]|
                                        ; implicit-def: $vgpr196_vgpr197
	s_and_saveexec_b64 s[10:11], s[2:3]
	s_xor_b64 s[2:3], exec, s[10:11]
                                        ; implicit-def: $vgpr198_vgpr199
	s_cbranch_execz .LBB95_149
; %bb.148:
	v_div_scale_f64 v[196:197], s[10:11], v[194:195], v[194:195], v[192:193]
	v_rcp_f64_e32 v[198:199], v[196:197]
	v_div_scale_f64 v[200:201], vcc, v[192:193], v[194:195], v[192:193]
	v_fma_f64 v[202:203], -v[196:197], v[198:199], 1.0
	v_fmac_f64_e32 v[198:199], v[198:199], v[202:203]
	v_fma_f64 v[202:203], -v[196:197], v[198:199], 1.0
	v_fmac_f64_e32 v[198:199], v[198:199], v[202:203]
	v_mul_f64 v[202:203], v[200:201], v[198:199]
	v_fma_f64 v[196:197], -v[196:197], v[202:203], v[200:201]
	v_div_fmas_f64 v[196:197], v[196:197], v[198:199], v[202:203]
	v_div_fixup_f64 v[196:197], v[196:197], v[194:195], v[192:193]
	v_fmac_f64_e32 v[194:195], v[192:193], v[196:197]
	v_div_scale_f64 v[192:193], s[10:11], v[194:195], v[194:195], 1.0
	v_rcp_f64_e32 v[198:199], v[192:193]
	s_nop 0
	v_fma_f64 v[200:201], -v[192:193], v[198:199], 1.0
	v_fmac_f64_e32 v[198:199], v[198:199], v[200:201]
	v_fma_f64 v[200:201], -v[192:193], v[198:199], 1.0
	v_fmac_f64_e32 v[198:199], v[198:199], v[200:201]
	v_div_scale_f64 v[200:201], vcc, 1.0, v[194:195], 1.0
	v_mul_f64 v[202:203], v[200:201], v[198:199]
	v_fma_f64 v[192:193], -v[192:193], v[202:203], v[200:201]
	s_nop 1
	v_div_fmas_f64 v[192:193], v[192:193], v[198:199], v[202:203]
	v_div_fixup_f64 v[198:199], v[192:193], v[194:195], 1.0
	v_mul_f64 v[196:197], v[196:197], v[198:199]
	v_xor_b32_e32 v199, 0x80000000, v199
                                        ; implicit-def: $vgpr192_vgpr193
.LBB95_149:
	s_andn2_saveexec_b64 s[2:3], s[2:3]
	s_cbranch_execz .LBB95_151
; %bb.150:
	v_div_scale_f64 v[196:197], s[10:11], v[192:193], v[192:193], v[194:195]
	v_rcp_f64_e32 v[198:199], v[196:197]
	v_div_scale_f64 v[200:201], vcc, v[194:195], v[192:193], v[194:195]
	v_fma_f64 v[202:203], -v[196:197], v[198:199], 1.0
	v_fmac_f64_e32 v[198:199], v[198:199], v[202:203]
	v_fma_f64 v[202:203], -v[196:197], v[198:199], 1.0
	v_fmac_f64_e32 v[198:199], v[198:199], v[202:203]
	v_mul_f64 v[202:203], v[200:201], v[198:199]
	v_fma_f64 v[196:197], -v[196:197], v[202:203], v[200:201]
	v_div_fmas_f64 v[196:197], v[196:197], v[198:199], v[202:203]
	v_div_fixup_f64 v[198:199], v[196:197], v[192:193], v[194:195]
	v_fmac_f64_e32 v[192:193], v[194:195], v[198:199]
	v_div_scale_f64 v[194:195], s[10:11], v[192:193], v[192:193], 1.0
	v_rcp_f64_e32 v[196:197], v[194:195]
	s_nop 0
	v_fma_f64 v[200:201], -v[194:195], v[196:197], 1.0
	v_fmac_f64_e32 v[196:197], v[196:197], v[200:201]
	v_fma_f64 v[200:201], -v[194:195], v[196:197], 1.0
	v_fmac_f64_e32 v[196:197], v[196:197], v[200:201]
	v_div_scale_f64 v[200:201], vcc, 1.0, v[192:193], 1.0
	v_mul_f64 v[202:203], v[200:201], v[196:197]
	v_fma_f64 v[194:195], -v[194:195], v[202:203], v[200:201]
	s_nop 1
	v_div_fmas_f64 v[194:195], v[194:195], v[196:197], v[202:203]
	v_div_fixup_f64 v[196:197], v[194:195], v[192:193], 1.0
	v_mul_f64 v[198:199], v[198:199], -v[196:197]
.LBB95_151:
	s_or_b64 exec, exec, s[2:3]
	ds_write2_b64 v185, v[196:197], v[198:199] offset1:1
.LBB95_152:
	s_or_b64 exec, exec, s[4:5]
	s_waitcnt lgkmcnt(0)
	s_barrier
	ds_read2_b64 v[192:195], v185 offset1:1
	v_cmp_lt_u32_e32 vcc, 16, v184
	s_waitcnt lgkmcnt(0)
	scratch_store_dwordx4 off, v[192:195], off offset:656 ; 16-byte Folded Spill
	s_and_saveexec_b64 s[2:3], vcc
	s_cbranch_execz .LBB95_154
; %bb.153:
	scratch_load_dwordx4 v[194:197], off, off offset:656 ; 16-byte Folded Reload
	s_waitcnt vmcnt(0)
	v_mul_f64 v[192:193], v[196:197], v[122:123]
	v_mul_f64 v[122:123], v[194:195], v[122:123]
	v_fma_f64 v[192:193], v[194:195], v[120:121], -v[192:193]
	v_fmac_f64_e32 v[122:123], v[196:197], v[120:121]
	ds_read2_b64 v[194:197], v186 offset0:34 offset1:35
	s_waitcnt lgkmcnt(0)
	v_mul_f64 v[120:121], v[196:197], v[122:123]
	v_fma_f64 v[120:121], v[194:195], v[192:193], -v[120:121]
	v_mul_f64 v[194:195], v[194:195], v[122:123]
	v_fmac_f64_e32 v[194:195], v[196:197], v[192:193]
	v_add_f64 v[118:119], v[118:119], -v[194:195]
	ds_read2_b64 v[194:197], v186 offset0:36 offset1:37
	v_add_f64 v[116:117], v[116:117], -v[120:121]
	s_waitcnt lgkmcnt(0)
	v_mul_f64 v[120:121], v[196:197], v[122:123]
	v_fma_f64 v[120:121], v[194:195], v[192:193], -v[120:121]
	v_mul_f64 v[194:195], v[194:195], v[122:123]
	v_fmac_f64_e32 v[194:195], v[196:197], v[192:193]
	v_add_f64 v[114:115], v[114:115], -v[194:195]
	ds_read2_b64 v[194:197], v186 offset0:38 offset1:39
	v_add_f64 v[112:113], v[112:113], -v[120:121]
	;; [unrolled: 8-line block ×30, first 2 shown]
	s_waitcnt lgkmcnt(0)
	v_mul_f64 v[120:121], v[196:197], v[122:123]
	v_fma_f64 v[120:121], v[194:195], v[192:193], -v[120:121]
	v_mul_f64 v[194:195], v[194:195], v[122:123]
	v_fmac_f64_e32 v[194:195], v[196:197], v[192:193]
	v_add_f64 v[188:189], v[188:189], -v[120:121]
	v_add_f64 v[190:191], v[190:191], -v[194:195]
	v_mov_b64_e32 v[120:121], v[192:193]
.LBB95_154:
	s_or_b64 exec, exec, s[2:3]
	v_cmp_eq_u32_e32 vcc, 17, v184
	s_waitcnt vmcnt(63) expcnt(7) lgkmcnt(15)
	s_barrier
	s_and_saveexec_b64 s[4:5], vcc
	s_cbranch_execz .LBB95_161
; %bb.155:
	ds_write2_b64 v185, v[116:117], v[118:119] offset1:1
	ds_write2_b64 v186, v[112:113], v[114:115] offset0:36 offset1:37
	ds_write2_b64 v186, v[108:109], v[110:111] offset0:38 offset1:39
	;; [unrolled: 1-line block ×12, first 2 shown]
	s_waitcnt vmcnt(49)
	ds_write2_b64 v186, v[64:65], v[66:67] offset0:60 offset1:61
	s_waitcnt vmcnt(47)
	ds_write2_b64 v186, v[60:61], v[62:63] offset0:62 offset1:63
	;; [unrolled: 2-line block ×15, first 2 shown]
	ds_write2_b64 v186, v[4:5], v[6:7] offset0:90 offset1:91
	ds_write2_b64 v186, v[0:1], v[2:3] offset0:92 offset1:93
	s_waitcnt vmcnt(32)
	ds_write2_b64 v186, v[188:189], v[190:191] offset0:94 offset1:95
	ds_read2_b64 v[192:195], v185 offset1:1
	s_waitcnt lgkmcnt(0)
	v_cmp_neq_f64_e32 vcc, 0, v[192:193]
	v_cmp_neq_f64_e64 s[2:3], 0, v[194:195]
	s_or_b64 s[2:3], vcc, s[2:3]
	s_and_b64 exec, exec, s[2:3]
	s_cbranch_execz .LBB95_161
; %bb.156:
	v_cmp_ngt_f64_e64 s[2:3], |v[192:193]|, |v[194:195]|
                                        ; implicit-def: $vgpr196_vgpr197
	s_and_saveexec_b64 s[10:11], s[2:3]
	s_xor_b64 s[2:3], exec, s[10:11]
                                        ; implicit-def: $vgpr198_vgpr199
	s_cbranch_execz .LBB95_158
; %bb.157:
	v_div_scale_f64 v[196:197], s[10:11], v[194:195], v[194:195], v[192:193]
	v_rcp_f64_e32 v[198:199], v[196:197]
	v_div_scale_f64 v[200:201], vcc, v[192:193], v[194:195], v[192:193]
	v_fma_f64 v[202:203], -v[196:197], v[198:199], 1.0
	v_fmac_f64_e32 v[198:199], v[198:199], v[202:203]
	v_fma_f64 v[202:203], -v[196:197], v[198:199], 1.0
	v_fmac_f64_e32 v[198:199], v[198:199], v[202:203]
	v_mul_f64 v[202:203], v[200:201], v[198:199]
	v_fma_f64 v[196:197], -v[196:197], v[202:203], v[200:201]
	v_div_fmas_f64 v[196:197], v[196:197], v[198:199], v[202:203]
	v_div_fixup_f64 v[196:197], v[196:197], v[194:195], v[192:193]
	v_fmac_f64_e32 v[194:195], v[192:193], v[196:197]
	v_div_scale_f64 v[192:193], s[10:11], v[194:195], v[194:195], 1.0
	v_rcp_f64_e32 v[198:199], v[192:193]
	s_nop 0
	v_fma_f64 v[200:201], -v[192:193], v[198:199], 1.0
	v_fmac_f64_e32 v[198:199], v[198:199], v[200:201]
	v_fma_f64 v[200:201], -v[192:193], v[198:199], 1.0
	v_fmac_f64_e32 v[198:199], v[198:199], v[200:201]
	v_div_scale_f64 v[200:201], vcc, 1.0, v[194:195], 1.0
	v_mul_f64 v[202:203], v[200:201], v[198:199]
	v_fma_f64 v[192:193], -v[192:193], v[202:203], v[200:201]
	s_nop 1
	v_div_fmas_f64 v[192:193], v[192:193], v[198:199], v[202:203]
	v_div_fixup_f64 v[198:199], v[192:193], v[194:195], 1.0
	v_mul_f64 v[196:197], v[196:197], v[198:199]
	v_xor_b32_e32 v199, 0x80000000, v199
                                        ; implicit-def: $vgpr192_vgpr193
.LBB95_158:
	s_andn2_saveexec_b64 s[2:3], s[2:3]
	s_cbranch_execz .LBB95_160
; %bb.159:
	v_div_scale_f64 v[196:197], s[10:11], v[192:193], v[192:193], v[194:195]
	v_rcp_f64_e32 v[198:199], v[196:197]
	v_div_scale_f64 v[200:201], vcc, v[194:195], v[192:193], v[194:195]
	v_fma_f64 v[202:203], -v[196:197], v[198:199], 1.0
	v_fmac_f64_e32 v[198:199], v[198:199], v[202:203]
	v_fma_f64 v[202:203], -v[196:197], v[198:199], 1.0
	v_fmac_f64_e32 v[198:199], v[198:199], v[202:203]
	v_mul_f64 v[202:203], v[200:201], v[198:199]
	v_fma_f64 v[196:197], -v[196:197], v[202:203], v[200:201]
	v_div_fmas_f64 v[196:197], v[196:197], v[198:199], v[202:203]
	v_div_fixup_f64 v[198:199], v[196:197], v[192:193], v[194:195]
	v_fmac_f64_e32 v[192:193], v[194:195], v[198:199]
	v_div_scale_f64 v[194:195], s[10:11], v[192:193], v[192:193], 1.0
	v_rcp_f64_e32 v[196:197], v[194:195]
	s_nop 0
	v_fma_f64 v[200:201], -v[194:195], v[196:197], 1.0
	v_fmac_f64_e32 v[196:197], v[196:197], v[200:201]
	v_fma_f64 v[200:201], -v[194:195], v[196:197], 1.0
	v_fmac_f64_e32 v[196:197], v[196:197], v[200:201]
	v_div_scale_f64 v[200:201], vcc, 1.0, v[192:193], 1.0
	v_mul_f64 v[202:203], v[200:201], v[196:197]
	v_fma_f64 v[194:195], -v[194:195], v[202:203], v[200:201]
	s_nop 1
	v_div_fmas_f64 v[194:195], v[194:195], v[196:197], v[202:203]
	v_div_fixup_f64 v[196:197], v[194:195], v[192:193], 1.0
	v_mul_f64 v[198:199], v[198:199], -v[196:197]
.LBB95_160:
	s_or_b64 exec, exec, s[2:3]
	ds_write2_b64 v185, v[196:197], v[198:199] offset1:1
.LBB95_161:
	s_or_b64 exec, exec, s[4:5]
	s_waitcnt lgkmcnt(0)
	s_barrier
	ds_read2_b64 v[192:195], v185 offset1:1
	v_cmp_lt_u32_e32 vcc, 17, v184
	s_waitcnt lgkmcnt(0)
	scratch_store_dwordx4 off, v[192:195], off offset:672 ; 16-byte Folded Spill
	s_and_saveexec_b64 s[2:3], vcc
	s_cbranch_execz .LBB95_163
; %bb.162:
	scratch_load_dwordx4 v[194:197], off, off offset:672 ; 16-byte Folded Reload
	s_waitcnt vmcnt(0)
	v_mul_f64 v[192:193], v[196:197], v[118:119]
	v_mul_f64 v[118:119], v[194:195], v[118:119]
	v_fma_f64 v[192:193], v[194:195], v[116:117], -v[192:193]
	v_fmac_f64_e32 v[118:119], v[196:197], v[116:117]
	ds_read2_b64 v[194:197], v186 offset0:36 offset1:37
	s_waitcnt lgkmcnt(0)
	v_mul_f64 v[116:117], v[196:197], v[118:119]
	v_fma_f64 v[116:117], v[194:195], v[192:193], -v[116:117]
	v_mul_f64 v[194:195], v[194:195], v[118:119]
	v_fmac_f64_e32 v[194:195], v[196:197], v[192:193]
	v_add_f64 v[114:115], v[114:115], -v[194:195]
	ds_read2_b64 v[194:197], v186 offset0:38 offset1:39
	v_add_f64 v[112:113], v[112:113], -v[116:117]
	s_waitcnt lgkmcnt(0)
	v_mul_f64 v[116:117], v[196:197], v[118:119]
	v_fma_f64 v[116:117], v[194:195], v[192:193], -v[116:117]
	v_mul_f64 v[194:195], v[194:195], v[118:119]
	v_fmac_f64_e32 v[194:195], v[196:197], v[192:193]
	v_add_f64 v[110:111], v[110:111], -v[194:195]
	ds_read2_b64 v[194:197], v186 offset0:40 offset1:41
	v_add_f64 v[108:109], v[108:109], -v[116:117]
	;; [unrolled: 8-line block ×29, first 2 shown]
	s_waitcnt lgkmcnt(0)
	v_mul_f64 v[116:117], v[196:197], v[118:119]
	v_fma_f64 v[116:117], v[194:195], v[192:193], -v[116:117]
	v_mul_f64 v[194:195], v[194:195], v[118:119]
	v_fmac_f64_e32 v[194:195], v[196:197], v[192:193]
	v_add_f64 v[188:189], v[188:189], -v[116:117]
	v_add_f64 v[190:191], v[190:191], -v[194:195]
	v_mov_b64_e32 v[116:117], v[192:193]
.LBB95_163:
	s_or_b64 exec, exec, s[2:3]
	v_cmp_eq_u32_e32 vcc, 18, v184
	s_waitcnt vmcnt(63) expcnt(7) lgkmcnt(15)
	s_barrier
	s_and_saveexec_b64 s[4:5], vcc
	s_cbranch_execz .LBB95_170
; %bb.164:
	ds_write2_b64 v185, v[112:113], v[114:115] offset1:1
	ds_write2_b64 v186, v[108:109], v[110:111] offset0:38 offset1:39
	ds_write2_b64 v186, v[104:105], v[106:107] offset0:40 offset1:41
	;; [unrolled: 1-line block ×11, first 2 shown]
	s_waitcnt vmcnt(50)
	ds_write2_b64 v186, v[64:65], v[66:67] offset0:60 offset1:61
	s_waitcnt vmcnt(48)
	ds_write2_b64 v186, v[60:61], v[62:63] offset0:62 offset1:63
	;; [unrolled: 2-line block ×15, first 2 shown]
	ds_write2_b64 v186, v[4:5], v[6:7] offset0:90 offset1:91
	ds_write2_b64 v186, v[0:1], v[2:3] offset0:92 offset1:93
	s_waitcnt vmcnt(33)
	ds_write2_b64 v186, v[188:189], v[190:191] offset0:94 offset1:95
	ds_read2_b64 v[192:195], v185 offset1:1
	s_waitcnt lgkmcnt(0)
	v_cmp_neq_f64_e32 vcc, 0, v[192:193]
	v_cmp_neq_f64_e64 s[2:3], 0, v[194:195]
	s_or_b64 s[2:3], vcc, s[2:3]
	s_and_b64 exec, exec, s[2:3]
	s_cbranch_execz .LBB95_170
; %bb.165:
	v_cmp_ngt_f64_e64 s[2:3], |v[192:193]|, |v[194:195]|
                                        ; implicit-def: $vgpr196_vgpr197
	s_and_saveexec_b64 s[10:11], s[2:3]
	s_xor_b64 s[2:3], exec, s[10:11]
                                        ; implicit-def: $vgpr198_vgpr199
	s_cbranch_execz .LBB95_167
; %bb.166:
	v_div_scale_f64 v[196:197], s[10:11], v[194:195], v[194:195], v[192:193]
	v_rcp_f64_e32 v[198:199], v[196:197]
	v_div_scale_f64 v[200:201], vcc, v[192:193], v[194:195], v[192:193]
	v_fma_f64 v[202:203], -v[196:197], v[198:199], 1.0
	v_fmac_f64_e32 v[198:199], v[198:199], v[202:203]
	v_fma_f64 v[202:203], -v[196:197], v[198:199], 1.0
	v_fmac_f64_e32 v[198:199], v[198:199], v[202:203]
	v_mul_f64 v[202:203], v[200:201], v[198:199]
	v_fma_f64 v[196:197], -v[196:197], v[202:203], v[200:201]
	v_div_fmas_f64 v[196:197], v[196:197], v[198:199], v[202:203]
	v_div_fixup_f64 v[196:197], v[196:197], v[194:195], v[192:193]
	v_fmac_f64_e32 v[194:195], v[192:193], v[196:197]
	v_div_scale_f64 v[192:193], s[10:11], v[194:195], v[194:195], 1.0
	v_rcp_f64_e32 v[198:199], v[192:193]
	s_nop 0
	v_fma_f64 v[200:201], -v[192:193], v[198:199], 1.0
	v_fmac_f64_e32 v[198:199], v[198:199], v[200:201]
	v_fma_f64 v[200:201], -v[192:193], v[198:199], 1.0
	v_fmac_f64_e32 v[198:199], v[198:199], v[200:201]
	v_div_scale_f64 v[200:201], vcc, 1.0, v[194:195], 1.0
	v_mul_f64 v[202:203], v[200:201], v[198:199]
	v_fma_f64 v[192:193], -v[192:193], v[202:203], v[200:201]
	s_nop 1
	v_div_fmas_f64 v[192:193], v[192:193], v[198:199], v[202:203]
	v_div_fixup_f64 v[198:199], v[192:193], v[194:195], 1.0
	v_mul_f64 v[196:197], v[196:197], v[198:199]
	v_xor_b32_e32 v199, 0x80000000, v199
                                        ; implicit-def: $vgpr192_vgpr193
.LBB95_167:
	s_andn2_saveexec_b64 s[2:3], s[2:3]
	s_cbranch_execz .LBB95_169
; %bb.168:
	v_div_scale_f64 v[196:197], s[10:11], v[192:193], v[192:193], v[194:195]
	v_rcp_f64_e32 v[198:199], v[196:197]
	v_div_scale_f64 v[200:201], vcc, v[194:195], v[192:193], v[194:195]
	v_fma_f64 v[202:203], -v[196:197], v[198:199], 1.0
	v_fmac_f64_e32 v[198:199], v[198:199], v[202:203]
	v_fma_f64 v[202:203], -v[196:197], v[198:199], 1.0
	v_fmac_f64_e32 v[198:199], v[198:199], v[202:203]
	v_mul_f64 v[202:203], v[200:201], v[198:199]
	v_fma_f64 v[196:197], -v[196:197], v[202:203], v[200:201]
	v_div_fmas_f64 v[196:197], v[196:197], v[198:199], v[202:203]
	v_div_fixup_f64 v[198:199], v[196:197], v[192:193], v[194:195]
	v_fmac_f64_e32 v[192:193], v[194:195], v[198:199]
	v_div_scale_f64 v[194:195], s[10:11], v[192:193], v[192:193], 1.0
	v_rcp_f64_e32 v[196:197], v[194:195]
	s_nop 0
	v_fma_f64 v[200:201], -v[194:195], v[196:197], 1.0
	v_fmac_f64_e32 v[196:197], v[196:197], v[200:201]
	v_fma_f64 v[200:201], -v[194:195], v[196:197], 1.0
	v_fmac_f64_e32 v[196:197], v[196:197], v[200:201]
	v_div_scale_f64 v[200:201], vcc, 1.0, v[192:193], 1.0
	v_mul_f64 v[202:203], v[200:201], v[196:197]
	v_fma_f64 v[194:195], -v[194:195], v[202:203], v[200:201]
	s_nop 1
	v_div_fmas_f64 v[194:195], v[194:195], v[196:197], v[202:203]
	v_div_fixup_f64 v[196:197], v[194:195], v[192:193], 1.0
	v_mul_f64 v[198:199], v[198:199], -v[196:197]
.LBB95_169:
	s_or_b64 exec, exec, s[2:3]
	ds_write2_b64 v185, v[196:197], v[198:199] offset1:1
.LBB95_170:
	s_or_b64 exec, exec, s[4:5]
	s_waitcnt lgkmcnt(0)
	s_barrier
	ds_read2_b64 v[192:195], v185 offset1:1
	v_cmp_lt_u32_e32 vcc, 18, v184
	s_waitcnt lgkmcnt(0)
	scratch_store_dwordx4 off, v[192:195], off offset:688 ; 16-byte Folded Spill
	s_and_saveexec_b64 s[2:3], vcc
	s_cbranch_execz .LBB95_172
; %bb.171:
	scratch_load_dwordx4 v[194:197], off, off offset:688 ; 16-byte Folded Reload
	s_waitcnt vmcnt(0)
	v_mul_f64 v[192:193], v[196:197], v[114:115]
	v_mul_f64 v[114:115], v[194:195], v[114:115]
	v_fma_f64 v[192:193], v[194:195], v[112:113], -v[192:193]
	v_fmac_f64_e32 v[114:115], v[196:197], v[112:113]
	ds_read2_b64 v[194:197], v186 offset0:38 offset1:39
	s_waitcnt lgkmcnt(0)
	v_mul_f64 v[112:113], v[196:197], v[114:115]
	v_fma_f64 v[112:113], v[194:195], v[192:193], -v[112:113]
	v_mul_f64 v[194:195], v[194:195], v[114:115]
	v_fmac_f64_e32 v[194:195], v[196:197], v[192:193]
	v_add_f64 v[110:111], v[110:111], -v[194:195]
	ds_read2_b64 v[194:197], v186 offset0:40 offset1:41
	v_add_f64 v[108:109], v[108:109], -v[112:113]
	s_waitcnt lgkmcnt(0)
	v_mul_f64 v[112:113], v[196:197], v[114:115]
	v_fma_f64 v[112:113], v[194:195], v[192:193], -v[112:113]
	v_mul_f64 v[194:195], v[194:195], v[114:115]
	v_fmac_f64_e32 v[194:195], v[196:197], v[192:193]
	v_add_f64 v[106:107], v[106:107], -v[194:195]
	ds_read2_b64 v[194:197], v186 offset0:42 offset1:43
	v_add_f64 v[104:105], v[104:105], -v[112:113]
	;; [unrolled: 8-line block ×28, first 2 shown]
	s_waitcnt lgkmcnt(0)
	v_mul_f64 v[112:113], v[196:197], v[114:115]
	v_fma_f64 v[112:113], v[194:195], v[192:193], -v[112:113]
	v_mul_f64 v[194:195], v[194:195], v[114:115]
	v_fmac_f64_e32 v[194:195], v[196:197], v[192:193]
	v_add_f64 v[188:189], v[188:189], -v[112:113]
	v_add_f64 v[190:191], v[190:191], -v[194:195]
	v_mov_b64_e32 v[112:113], v[192:193]
.LBB95_172:
	s_or_b64 exec, exec, s[2:3]
	v_cmp_eq_u32_e32 vcc, 19, v184
	s_waitcnt vmcnt(63) expcnt(7) lgkmcnt(15)
	s_barrier
	s_and_saveexec_b64 s[4:5], vcc
	s_cbranch_execz .LBB95_179
; %bb.173:
	ds_write2_b64 v185, v[108:109], v[110:111] offset1:1
	ds_write2_b64 v186, v[104:105], v[106:107] offset0:40 offset1:41
	ds_write2_b64 v186, v[100:101], v[102:103] offset0:42 offset1:43
	;; [unrolled: 1-line block ×10, first 2 shown]
	s_waitcnt vmcnt(51)
	ds_write2_b64 v186, v[64:65], v[66:67] offset0:60 offset1:61
	s_waitcnt vmcnt(49)
	ds_write2_b64 v186, v[60:61], v[62:63] offset0:62 offset1:63
	;; [unrolled: 2-line block ×15, first 2 shown]
	ds_write2_b64 v186, v[4:5], v[6:7] offset0:90 offset1:91
	ds_write2_b64 v186, v[0:1], v[2:3] offset0:92 offset1:93
	s_waitcnt vmcnt(34)
	ds_write2_b64 v186, v[188:189], v[190:191] offset0:94 offset1:95
	ds_read2_b64 v[192:195], v185 offset1:1
	s_waitcnt lgkmcnt(0)
	v_cmp_neq_f64_e32 vcc, 0, v[192:193]
	v_cmp_neq_f64_e64 s[2:3], 0, v[194:195]
	s_or_b64 s[2:3], vcc, s[2:3]
	s_and_b64 exec, exec, s[2:3]
	s_cbranch_execz .LBB95_179
; %bb.174:
	v_cmp_ngt_f64_e64 s[2:3], |v[192:193]|, |v[194:195]|
                                        ; implicit-def: $vgpr196_vgpr197
	s_and_saveexec_b64 s[10:11], s[2:3]
	s_xor_b64 s[2:3], exec, s[10:11]
                                        ; implicit-def: $vgpr198_vgpr199
	s_cbranch_execz .LBB95_176
; %bb.175:
	v_div_scale_f64 v[196:197], s[10:11], v[194:195], v[194:195], v[192:193]
	v_rcp_f64_e32 v[198:199], v[196:197]
	v_div_scale_f64 v[200:201], vcc, v[192:193], v[194:195], v[192:193]
	v_fma_f64 v[202:203], -v[196:197], v[198:199], 1.0
	v_fmac_f64_e32 v[198:199], v[198:199], v[202:203]
	v_fma_f64 v[202:203], -v[196:197], v[198:199], 1.0
	v_fmac_f64_e32 v[198:199], v[198:199], v[202:203]
	v_mul_f64 v[202:203], v[200:201], v[198:199]
	v_fma_f64 v[196:197], -v[196:197], v[202:203], v[200:201]
	v_div_fmas_f64 v[196:197], v[196:197], v[198:199], v[202:203]
	v_div_fixup_f64 v[196:197], v[196:197], v[194:195], v[192:193]
	v_fmac_f64_e32 v[194:195], v[192:193], v[196:197]
	v_div_scale_f64 v[192:193], s[10:11], v[194:195], v[194:195], 1.0
	v_rcp_f64_e32 v[198:199], v[192:193]
	s_nop 0
	v_fma_f64 v[200:201], -v[192:193], v[198:199], 1.0
	v_fmac_f64_e32 v[198:199], v[198:199], v[200:201]
	v_fma_f64 v[200:201], -v[192:193], v[198:199], 1.0
	v_fmac_f64_e32 v[198:199], v[198:199], v[200:201]
	v_div_scale_f64 v[200:201], vcc, 1.0, v[194:195], 1.0
	v_mul_f64 v[202:203], v[200:201], v[198:199]
	v_fma_f64 v[192:193], -v[192:193], v[202:203], v[200:201]
	s_nop 1
	v_div_fmas_f64 v[192:193], v[192:193], v[198:199], v[202:203]
	v_div_fixup_f64 v[198:199], v[192:193], v[194:195], 1.0
	v_mul_f64 v[196:197], v[196:197], v[198:199]
	v_xor_b32_e32 v199, 0x80000000, v199
                                        ; implicit-def: $vgpr192_vgpr193
.LBB95_176:
	s_andn2_saveexec_b64 s[2:3], s[2:3]
	s_cbranch_execz .LBB95_178
; %bb.177:
	v_div_scale_f64 v[196:197], s[10:11], v[192:193], v[192:193], v[194:195]
	v_rcp_f64_e32 v[198:199], v[196:197]
	v_div_scale_f64 v[200:201], vcc, v[194:195], v[192:193], v[194:195]
	v_fma_f64 v[202:203], -v[196:197], v[198:199], 1.0
	v_fmac_f64_e32 v[198:199], v[198:199], v[202:203]
	v_fma_f64 v[202:203], -v[196:197], v[198:199], 1.0
	v_fmac_f64_e32 v[198:199], v[198:199], v[202:203]
	v_mul_f64 v[202:203], v[200:201], v[198:199]
	v_fma_f64 v[196:197], -v[196:197], v[202:203], v[200:201]
	v_div_fmas_f64 v[196:197], v[196:197], v[198:199], v[202:203]
	v_div_fixup_f64 v[198:199], v[196:197], v[192:193], v[194:195]
	v_fmac_f64_e32 v[192:193], v[194:195], v[198:199]
	v_div_scale_f64 v[194:195], s[10:11], v[192:193], v[192:193], 1.0
	v_rcp_f64_e32 v[196:197], v[194:195]
	s_nop 0
	v_fma_f64 v[200:201], -v[194:195], v[196:197], 1.0
	v_fmac_f64_e32 v[196:197], v[196:197], v[200:201]
	v_fma_f64 v[200:201], -v[194:195], v[196:197], 1.0
	v_fmac_f64_e32 v[196:197], v[196:197], v[200:201]
	v_div_scale_f64 v[200:201], vcc, 1.0, v[192:193], 1.0
	v_mul_f64 v[202:203], v[200:201], v[196:197]
	v_fma_f64 v[194:195], -v[194:195], v[202:203], v[200:201]
	s_nop 1
	v_div_fmas_f64 v[194:195], v[194:195], v[196:197], v[202:203]
	v_div_fixup_f64 v[196:197], v[194:195], v[192:193], 1.0
	v_mul_f64 v[198:199], v[198:199], -v[196:197]
.LBB95_178:
	s_or_b64 exec, exec, s[2:3]
	ds_write2_b64 v185, v[196:197], v[198:199] offset1:1
.LBB95_179:
	s_or_b64 exec, exec, s[4:5]
	s_waitcnt lgkmcnt(0)
	s_barrier
	ds_read2_b64 v[192:195], v185 offset1:1
	v_cmp_lt_u32_e32 vcc, 19, v184
	s_waitcnt lgkmcnt(0)
	scratch_store_dwordx4 off, v[192:195], off offset:704 ; 16-byte Folded Spill
	s_and_saveexec_b64 s[2:3], vcc
	s_cbranch_execz .LBB95_181
; %bb.180:
	scratch_load_dwordx4 v[194:197], off, off offset:704 ; 16-byte Folded Reload
	s_waitcnt vmcnt(0)
	v_mul_f64 v[192:193], v[196:197], v[110:111]
	v_mul_f64 v[110:111], v[194:195], v[110:111]
	v_fma_f64 v[192:193], v[194:195], v[108:109], -v[192:193]
	v_fmac_f64_e32 v[110:111], v[196:197], v[108:109]
	ds_read2_b64 v[194:197], v186 offset0:40 offset1:41
	s_waitcnt lgkmcnt(0)
	v_mul_f64 v[108:109], v[196:197], v[110:111]
	v_fma_f64 v[108:109], v[194:195], v[192:193], -v[108:109]
	v_mul_f64 v[194:195], v[194:195], v[110:111]
	v_fmac_f64_e32 v[194:195], v[196:197], v[192:193]
	v_add_f64 v[106:107], v[106:107], -v[194:195]
	ds_read2_b64 v[194:197], v186 offset0:42 offset1:43
	v_add_f64 v[104:105], v[104:105], -v[108:109]
	s_waitcnt lgkmcnt(0)
	v_mul_f64 v[108:109], v[196:197], v[110:111]
	v_fma_f64 v[108:109], v[194:195], v[192:193], -v[108:109]
	v_mul_f64 v[194:195], v[194:195], v[110:111]
	v_fmac_f64_e32 v[194:195], v[196:197], v[192:193]
	v_add_f64 v[102:103], v[102:103], -v[194:195]
	ds_read2_b64 v[194:197], v186 offset0:44 offset1:45
	v_add_f64 v[100:101], v[100:101], -v[108:109]
	;; [unrolled: 8-line block ×27, first 2 shown]
	s_waitcnt lgkmcnt(0)
	v_mul_f64 v[108:109], v[196:197], v[110:111]
	v_fma_f64 v[108:109], v[194:195], v[192:193], -v[108:109]
	v_mul_f64 v[194:195], v[194:195], v[110:111]
	v_fmac_f64_e32 v[194:195], v[196:197], v[192:193]
	v_add_f64 v[188:189], v[188:189], -v[108:109]
	v_add_f64 v[190:191], v[190:191], -v[194:195]
	v_mov_b64_e32 v[108:109], v[192:193]
.LBB95_181:
	s_or_b64 exec, exec, s[2:3]
	v_cmp_eq_u32_e32 vcc, 20, v184
	s_waitcnt vmcnt(63) expcnt(7) lgkmcnt(15)
	s_barrier
	s_and_saveexec_b64 s[4:5], vcc
	s_cbranch_execz .LBB95_188
; %bb.182:
	ds_write2_b64 v185, v[104:105], v[106:107] offset1:1
	ds_write2_b64 v186, v[100:101], v[102:103] offset0:42 offset1:43
	ds_write2_b64 v186, v[96:97], v[98:99] offset0:44 offset1:45
	;; [unrolled: 1-line block ×9, first 2 shown]
	s_waitcnt vmcnt(52)
	ds_write2_b64 v186, v[64:65], v[66:67] offset0:60 offset1:61
	s_waitcnt vmcnt(50)
	ds_write2_b64 v186, v[60:61], v[62:63] offset0:62 offset1:63
	;; [unrolled: 2-line block ×15, first 2 shown]
	ds_write2_b64 v186, v[4:5], v[6:7] offset0:90 offset1:91
	ds_write2_b64 v186, v[0:1], v[2:3] offset0:92 offset1:93
	s_waitcnt vmcnt(35)
	ds_write2_b64 v186, v[188:189], v[190:191] offset0:94 offset1:95
	ds_read2_b64 v[192:195], v185 offset1:1
	s_waitcnt lgkmcnt(0)
	v_cmp_neq_f64_e32 vcc, 0, v[192:193]
	v_cmp_neq_f64_e64 s[2:3], 0, v[194:195]
	s_or_b64 s[2:3], vcc, s[2:3]
	s_and_b64 exec, exec, s[2:3]
	s_cbranch_execz .LBB95_188
; %bb.183:
	v_cmp_ngt_f64_e64 s[2:3], |v[192:193]|, |v[194:195]|
                                        ; implicit-def: $vgpr196_vgpr197
	s_and_saveexec_b64 s[10:11], s[2:3]
	s_xor_b64 s[2:3], exec, s[10:11]
                                        ; implicit-def: $vgpr198_vgpr199
	s_cbranch_execz .LBB95_185
; %bb.184:
	v_div_scale_f64 v[196:197], s[10:11], v[194:195], v[194:195], v[192:193]
	v_rcp_f64_e32 v[198:199], v[196:197]
	v_div_scale_f64 v[200:201], vcc, v[192:193], v[194:195], v[192:193]
	v_fma_f64 v[202:203], -v[196:197], v[198:199], 1.0
	v_fmac_f64_e32 v[198:199], v[198:199], v[202:203]
	v_fma_f64 v[202:203], -v[196:197], v[198:199], 1.0
	v_fmac_f64_e32 v[198:199], v[198:199], v[202:203]
	v_mul_f64 v[202:203], v[200:201], v[198:199]
	v_fma_f64 v[196:197], -v[196:197], v[202:203], v[200:201]
	v_div_fmas_f64 v[196:197], v[196:197], v[198:199], v[202:203]
	v_div_fixup_f64 v[196:197], v[196:197], v[194:195], v[192:193]
	v_fmac_f64_e32 v[194:195], v[192:193], v[196:197]
	v_div_scale_f64 v[192:193], s[10:11], v[194:195], v[194:195], 1.0
	v_rcp_f64_e32 v[198:199], v[192:193]
	s_nop 0
	v_fma_f64 v[200:201], -v[192:193], v[198:199], 1.0
	v_fmac_f64_e32 v[198:199], v[198:199], v[200:201]
	v_fma_f64 v[200:201], -v[192:193], v[198:199], 1.0
	v_fmac_f64_e32 v[198:199], v[198:199], v[200:201]
	v_div_scale_f64 v[200:201], vcc, 1.0, v[194:195], 1.0
	v_mul_f64 v[202:203], v[200:201], v[198:199]
	v_fma_f64 v[192:193], -v[192:193], v[202:203], v[200:201]
	s_nop 1
	v_div_fmas_f64 v[192:193], v[192:193], v[198:199], v[202:203]
	v_div_fixup_f64 v[198:199], v[192:193], v[194:195], 1.0
	v_mul_f64 v[196:197], v[196:197], v[198:199]
	v_xor_b32_e32 v199, 0x80000000, v199
                                        ; implicit-def: $vgpr192_vgpr193
.LBB95_185:
	s_andn2_saveexec_b64 s[2:3], s[2:3]
	s_cbranch_execz .LBB95_187
; %bb.186:
	v_div_scale_f64 v[196:197], s[10:11], v[192:193], v[192:193], v[194:195]
	v_rcp_f64_e32 v[198:199], v[196:197]
	v_div_scale_f64 v[200:201], vcc, v[194:195], v[192:193], v[194:195]
	v_fma_f64 v[202:203], -v[196:197], v[198:199], 1.0
	v_fmac_f64_e32 v[198:199], v[198:199], v[202:203]
	v_fma_f64 v[202:203], -v[196:197], v[198:199], 1.0
	v_fmac_f64_e32 v[198:199], v[198:199], v[202:203]
	v_mul_f64 v[202:203], v[200:201], v[198:199]
	v_fma_f64 v[196:197], -v[196:197], v[202:203], v[200:201]
	v_div_fmas_f64 v[196:197], v[196:197], v[198:199], v[202:203]
	v_div_fixup_f64 v[198:199], v[196:197], v[192:193], v[194:195]
	v_fmac_f64_e32 v[192:193], v[194:195], v[198:199]
	v_div_scale_f64 v[194:195], s[10:11], v[192:193], v[192:193], 1.0
	v_rcp_f64_e32 v[196:197], v[194:195]
	s_nop 0
	v_fma_f64 v[200:201], -v[194:195], v[196:197], 1.0
	v_fmac_f64_e32 v[196:197], v[196:197], v[200:201]
	v_fma_f64 v[200:201], -v[194:195], v[196:197], 1.0
	v_fmac_f64_e32 v[196:197], v[196:197], v[200:201]
	v_div_scale_f64 v[200:201], vcc, 1.0, v[192:193], 1.0
	v_mul_f64 v[202:203], v[200:201], v[196:197]
	v_fma_f64 v[194:195], -v[194:195], v[202:203], v[200:201]
	s_nop 1
	v_div_fmas_f64 v[194:195], v[194:195], v[196:197], v[202:203]
	v_div_fixup_f64 v[196:197], v[194:195], v[192:193], 1.0
	v_mul_f64 v[198:199], v[198:199], -v[196:197]
.LBB95_187:
	s_or_b64 exec, exec, s[2:3]
	ds_write2_b64 v185, v[196:197], v[198:199] offset1:1
.LBB95_188:
	s_or_b64 exec, exec, s[4:5]
	s_waitcnt lgkmcnt(0)
	s_barrier
	ds_read2_b64 v[192:195], v185 offset1:1
	v_cmp_lt_u32_e32 vcc, 20, v184
	s_waitcnt lgkmcnt(0)
	scratch_store_dwordx4 off, v[192:195], off offset:720 ; 16-byte Folded Spill
	s_and_saveexec_b64 s[2:3], vcc
	s_cbranch_execz .LBB95_190
; %bb.189:
	scratch_load_dwordx4 v[194:197], off, off offset:720 ; 16-byte Folded Reload
	s_waitcnt vmcnt(0)
	v_mul_f64 v[192:193], v[196:197], v[106:107]
	v_mul_f64 v[106:107], v[194:195], v[106:107]
	v_fma_f64 v[192:193], v[194:195], v[104:105], -v[192:193]
	v_fmac_f64_e32 v[106:107], v[196:197], v[104:105]
	ds_read2_b64 v[194:197], v186 offset0:42 offset1:43
	s_waitcnt lgkmcnt(0)
	v_mul_f64 v[104:105], v[196:197], v[106:107]
	v_fma_f64 v[104:105], v[194:195], v[192:193], -v[104:105]
	v_mul_f64 v[194:195], v[194:195], v[106:107]
	v_fmac_f64_e32 v[194:195], v[196:197], v[192:193]
	v_add_f64 v[102:103], v[102:103], -v[194:195]
	ds_read2_b64 v[194:197], v186 offset0:44 offset1:45
	v_add_f64 v[100:101], v[100:101], -v[104:105]
	s_waitcnt lgkmcnt(0)
	v_mul_f64 v[104:105], v[196:197], v[106:107]
	v_fma_f64 v[104:105], v[194:195], v[192:193], -v[104:105]
	v_mul_f64 v[194:195], v[194:195], v[106:107]
	v_fmac_f64_e32 v[194:195], v[196:197], v[192:193]
	v_add_f64 v[98:99], v[98:99], -v[194:195]
	ds_read2_b64 v[194:197], v186 offset0:46 offset1:47
	v_add_f64 v[96:97], v[96:97], -v[104:105]
	;; [unrolled: 8-line block ×26, first 2 shown]
	s_waitcnt lgkmcnt(0)
	v_mul_f64 v[104:105], v[196:197], v[106:107]
	v_fma_f64 v[104:105], v[194:195], v[192:193], -v[104:105]
	v_mul_f64 v[194:195], v[194:195], v[106:107]
	v_fmac_f64_e32 v[194:195], v[196:197], v[192:193]
	v_add_f64 v[188:189], v[188:189], -v[104:105]
	v_add_f64 v[190:191], v[190:191], -v[194:195]
	v_mov_b64_e32 v[104:105], v[192:193]
.LBB95_190:
	s_or_b64 exec, exec, s[2:3]
	v_cmp_eq_u32_e32 vcc, 21, v184
	s_waitcnt vmcnt(63) expcnt(7) lgkmcnt(15)
	s_barrier
	s_and_saveexec_b64 s[4:5], vcc
	s_cbranch_execz .LBB95_197
; %bb.191:
	ds_write2_b64 v185, v[100:101], v[102:103] offset1:1
	ds_write2_b64 v186, v[96:97], v[98:99] offset0:44 offset1:45
	ds_write2_b64 v186, v[92:93], v[94:95] offset0:46 offset1:47
	;; [unrolled: 1-line block ×8, first 2 shown]
	s_waitcnt vmcnt(53)
	ds_write2_b64 v186, v[64:65], v[66:67] offset0:60 offset1:61
	s_waitcnt vmcnt(51)
	ds_write2_b64 v186, v[60:61], v[62:63] offset0:62 offset1:63
	;; [unrolled: 2-line block ×15, first 2 shown]
	ds_write2_b64 v186, v[4:5], v[6:7] offset0:90 offset1:91
	ds_write2_b64 v186, v[0:1], v[2:3] offset0:92 offset1:93
	s_waitcnt vmcnt(36)
	ds_write2_b64 v186, v[188:189], v[190:191] offset0:94 offset1:95
	ds_read2_b64 v[192:195], v185 offset1:1
	s_waitcnt lgkmcnt(0)
	v_cmp_neq_f64_e32 vcc, 0, v[192:193]
	v_cmp_neq_f64_e64 s[2:3], 0, v[194:195]
	s_or_b64 s[2:3], vcc, s[2:3]
	s_and_b64 exec, exec, s[2:3]
	s_cbranch_execz .LBB95_197
; %bb.192:
	v_cmp_ngt_f64_e64 s[2:3], |v[192:193]|, |v[194:195]|
                                        ; implicit-def: $vgpr196_vgpr197
	s_and_saveexec_b64 s[10:11], s[2:3]
	s_xor_b64 s[2:3], exec, s[10:11]
                                        ; implicit-def: $vgpr198_vgpr199
	s_cbranch_execz .LBB95_194
; %bb.193:
	v_div_scale_f64 v[196:197], s[10:11], v[194:195], v[194:195], v[192:193]
	v_rcp_f64_e32 v[198:199], v[196:197]
	v_div_scale_f64 v[200:201], vcc, v[192:193], v[194:195], v[192:193]
	v_fma_f64 v[202:203], -v[196:197], v[198:199], 1.0
	v_fmac_f64_e32 v[198:199], v[198:199], v[202:203]
	v_fma_f64 v[202:203], -v[196:197], v[198:199], 1.0
	v_fmac_f64_e32 v[198:199], v[198:199], v[202:203]
	v_mul_f64 v[202:203], v[200:201], v[198:199]
	v_fma_f64 v[196:197], -v[196:197], v[202:203], v[200:201]
	v_div_fmas_f64 v[196:197], v[196:197], v[198:199], v[202:203]
	v_div_fixup_f64 v[196:197], v[196:197], v[194:195], v[192:193]
	v_fmac_f64_e32 v[194:195], v[192:193], v[196:197]
	v_div_scale_f64 v[192:193], s[10:11], v[194:195], v[194:195], 1.0
	v_rcp_f64_e32 v[198:199], v[192:193]
	s_nop 0
	v_fma_f64 v[200:201], -v[192:193], v[198:199], 1.0
	v_fmac_f64_e32 v[198:199], v[198:199], v[200:201]
	v_fma_f64 v[200:201], -v[192:193], v[198:199], 1.0
	v_fmac_f64_e32 v[198:199], v[198:199], v[200:201]
	v_div_scale_f64 v[200:201], vcc, 1.0, v[194:195], 1.0
	v_mul_f64 v[202:203], v[200:201], v[198:199]
	v_fma_f64 v[192:193], -v[192:193], v[202:203], v[200:201]
	s_nop 1
	v_div_fmas_f64 v[192:193], v[192:193], v[198:199], v[202:203]
	v_div_fixup_f64 v[198:199], v[192:193], v[194:195], 1.0
	v_mul_f64 v[196:197], v[196:197], v[198:199]
	v_xor_b32_e32 v199, 0x80000000, v199
                                        ; implicit-def: $vgpr192_vgpr193
.LBB95_194:
	s_andn2_saveexec_b64 s[2:3], s[2:3]
	s_cbranch_execz .LBB95_196
; %bb.195:
	v_div_scale_f64 v[196:197], s[10:11], v[192:193], v[192:193], v[194:195]
	v_rcp_f64_e32 v[198:199], v[196:197]
	v_div_scale_f64 v[200:201], vcc, v[194:195], v[192:193], v[194:195]
	v_fma_f64 v[202:203], -v[196:197], v[198:199], 1.0
	v_fmac_f64_e32 v[198:199], v[198:199], v[202:203]
	v_fma_f64 v[202:203], -v[196:197], v[198:199], 1.0
	v_fmac_f64_e32 v[198:199], v[198:199], v[202:203]
	v_mul_f64 v[202:203], v[200:201], v[198:199]
	v_fma_f64 v[196:197], -v[196:197], v[202:203], v[200:201]
	v_div_fmas_f64 v[196:197], v[196:197], v[198:199], v[202:203]
	v_div_fixup_f64 v[198:199], v[196:197], v[192:193], v[194:195]
	v_fmac_f64_e32 v[192:193], v[194:195], v[198:199]
	v_div_scale_f64 v[194:195], s[10:11], v[192:193], v[192:193], 1.0
	v_rcp_f64_e32 v[196:197], v[194:195]
	s_nop 0
	v_fma_f64 v[200:201], -v[194:195], v[196:197], 1.0
	v_fmac_f64_e32 v[196:197], v[196:197], v[200:201]
	v_fma_f64 v[200:201], -v[194:195], v[196:197], 1.0
	v_fmac_f64_e32 v[196:197], v[196:197], v[200:201]
	v_div_scale_f64 v[200:201], vcc, 1.0, v[192:193], 1.0
	v_mul_f64 v[202:203], v[200:201], v[196:197]
	v_fma_f64 v[194:195], -v[194:195], v[202:203], v[200:201]
	s_nop 1
	v_div_fmas_f64 v[194:195], v[194:195], v[196:197], v[202:203]
	v_div_fixup_f64 v[196:197], v[194:195], v[192:193], 1.0
	v_mul_f64 v[198:199], v[198:199], -v[196:197]
.LBB95_196:
	s_or_b64 exec, exec, s[2:3]
	ds_write2_b64 v185, v[196:197], v[198:199] offset1:1
.LBB95_197:
	s_or_b64 exec, exec, s[4:5]
	s_waitcnt lgkmcnt(0)
	s_barrier
	ds_read2_b64 v[192:195], v185 offset1:1
	v_cmp_lt_u32_e32 vcc, 21, v184
	s_waitcnt lgkmcnt(0)
	scratch_store_dwordx4 off, v[192:195], off offset:736 ; 16-byte Folded Spill
	s_and_saveexec_b64 s[2:3], vcc
	s_cbranch_execz .LBB95_199
; %bb.198:
	scratch_load_dwordx4 v[194:197], off, off offset:736 ; 16-byte Folded Reload
	s_waitcnt vmcnt(0)
	v_mul_f64 v[192:193], v[196:197], v[102:103]
	v_mul_f64 v[102:103], v[194:195], v[102:103]
	v_fma_f64 v[192:193], v[194:195], v[100:101], -v[192:193]
	v_fmac_f64_e32 v[102:103], v[196:197], v[100:101]
	ds_read2_b64 v[194:197], v186 offset0:44 offset1:45
	s_waitcnt lgkmcnt(0)
	v_mul_f64 v[100:101], v[196:197], v[102:103]
	v_fma_f64 v[100:101], v[194:195], v[192:193], -v[100:101]
	v_mul_f64 v[194:195], v[194:195], v[102:103]
	v_fmac_f64_e32 v[194:195], v[196:197], v[192:193]
	v_add_f64 v[98:99], v[98:99], -v[194:195]
	ds_read2_b64 v[194:197], v186 offset0:46 offset1:47
	v_add_f64 v[96:97], v[96:97], -v[100:101]
	s_waitcnt lgkmcnt(0)
	v_mul_f64 v[100:101], v[196:197], v[102:103]
	v_fma_f64 v[100:101], v[194:195], v[192:193], -v[100:101]
	v_mul_f64 v[194:195], v[194:195], v[102:103]
	v_fmac_f64_e32 v[194:195], v[196:197], v[192:193]
	v_add_f64 v[94:95], v[94:95], -v[194:195]
	ds_read2_b64 v[194:197], v186 offset0:48 offset1:49
	v_add_f64 v[92:93], v[92:93], -v[100:101]
	s_waitcnt lgkmcnt(0)
	v_mul_f64 v[100:101], v[196:197], v[102:103]
	v_fma_f64 v[100:101], v[194:195], v[192:193], -v[100:101]
	v_mul_f64 v[194:195], v[194:195], v[102:103]
	v_fmac_f64_e32 v[194:195], v[196:197], v[192:193]
	v_add_f64 v[90:91], v[90:91], -v[194:195]
	ds_read2_b64 v[194:197], v186 offset0:50 offset1:51
	v_add_f64 v[88:89], v[88:89], -v[100:101]
	s_waitcnt lgkmcnt(0)
	v_mul_f64 v[100:101], v[196:197], v[102:103]
	v_fma_f64 v[100:101], v[194:195], v[192:193], -v[100:101]
	v_mul_f64 v[194:195], v[194:195], v[102:103]
	v_fmac_f64_e32 v[194:195], v[196:197], v[192:193]
	v_add_f64 v[86:87], v[86:87], -v[194:195]
	ds_read2_b64 v[194:197], v186 offset0:52 offset1:53
	v_add_f64 v[84:85], v[84:85], -v[100:101]
	s_waitcnt lgkmcnt(0)
	v_mul_f64 v[100:101], v[196:197], v[102:103]
	v_fma_f64 v[100:101], v[194:195], v[192:193], -v[100:101]
	v_mul_f64 v[194:195], v[194:195], v[102:103]
	v_fmac_f64_e32 v[194:195], v[196:197], v[192:193]
	v_add_f64 v[82:83], v[82:83], -v[194:195]
	ds_read2_b64 v[194:197], v186 offset0:54 offset1:55
	v_add_f64 v[80:81], v[80:81], -v[100:101]
	s_waitcnt lgkmcnt(0)
	v_mul_f64 v[100:101], v[196:197], v[102:103]
	v_fma_f64 v[100:101], v[194:195], v[192:193], -v[100:101]
	v_mul_f64 v[194:195], v[194:195], v[102:103]
	v_fmac_f64_e32 v[194:195], v[196:197], v[192:193]
	v_add_f64 v[78:79], v[78:79], -v[194:195]
	ds_read2_b64 v[194:197], v186 offset0:56 offset1:57
	v_add_f64 v[76:77], v[76:77], -v[100:101]
	s_waitcnt lgkmcnt(0)
	v_mul_f64 v[100:101], v[196:197], v[102:103]
	v_fma_f64 v[100:101], v[194:195], v[192:193], -v[100:101]
	v_mul_f64 v[194:195], v[194:195], v[102:103]
	v_fmac_f64_e32 v[194:195], v[196:197], v[192:193]
	v_add_f64 v[74:75], v[74:75], -v[194:195]
	ds_read2_b64 v[194:197], v186 offset0:58 offset1:59
	v_add_f64 v[72:73], v[72:73], -v[100:101]
	s_waitcnt lgkmcnt(0)
	v_mul_f64 v[100:101], v[196:197], v[102:103]
	v_fma_f64 v[100:101], v[194:195], v[192:193], -v[100:101]
	v_mul_f64 v[194:195], v[194:195], v[102:103]
	v_fmac_f64_e32 v[194:195], v[196:197], v[192:193]
	v_add_f64 v[70:71], v[70:71], -v[194:195]
	ds_read2_b64 v[194:197], v186 offset0:60 offset1:61
	v_add_f64 v[68:69], v[68:69], -v[100:101]
	s_waitcnt lgkmcnt(0)
	v_mul_f64 v[100:101], v[196:197], v[102:103]
	v_fma_f64 v[100:101], v[194:195], v[192:193], -v[100:101]
	v_mul_f64 v[194:195], v[194:195], v[102:103]
	v_fmac_f64_e32 v[194:195], v[196:197], v[192:193]
	v_add_f64 v[66:67], v[66:67], -v[194:195]
	ds_read2_b64 v[194:197], v186 offset0:62 offset1:63
	v_add_f64 v[64:65], v[64:65], -v[100:101]
	s_waitcnt lgkmcnt(0)
	v_mul_f64 v[100:101], v[196:197], v[102:103]
	v_fma_f64 v[100:101], v[194:195], v[192:193], -v[100:101]
	v_mul_f64 v[194:195], v[194:195], v[102:103]
	v_fmac_f64_e32 v[194:195], v[196:197], v[192:193]
	v_add_f64 v[62:63], v[62:63], -v[194:195]
	ds_read2_b64 v[194:197], v186 offset0:64 offset1:65
	v_add_f64 v[60:61], v[60:61], -v[100:101]
	s_waitcnt lgkmcnt(0)
	v_mul_f64 v[100:101], v[196:197], v[102:103]
	v_fma_f64 v[100:101], v[194:195], v[192:193], -v[100:101]
	v_mul_f64 v[194:195], v[194:195], v[102:103]
	v_fmac_f64_e32 v[194:195], v[196:197], v[192:193]
	v_add_f64 v[58:59], v[58:59], -v[194:195]
	ds_read2_b64 v[194:197], v186 offset0:66 offset1:67
	v_add_f64 v[56:57], v[56:57], -v[100:101]
	s_waitcnt lgkmcnt(0)
	v_mul_f64 v[100:101], v[196:197], v[102:103]
	v_fma_f64 v[100:101], v[194:195], v[192:193], -v[100:101]
	v_mul_f64 v[194:195], v[194:195], v[102:103]
	v_fmac_f64_e32 v[194:195], v[196:197], v[192:193]
	v_add_f64 v[54:55], v[54:55], -v[194:195]
	ds_read2_b64 v[194:197], v186 offset0:68 offset1:69
	v_add_f64 v[52:53], v[52:53], -v[100:101]
	s_waitcnt lgkmcnt(0)
	v_mul_f64 v[100:101], v[196:197], v[102:103]
	v_fma_f64 v[100:101], v[194:195], v[192:193], -v[100:101]
	v_mul_f64 v[194:195], v[194:195], v[102:103]
	v_fmac_f64_e32 v[194:195], v[196:197], v[192:193]
	v_add_f64 v[50:51], v[50:51], -v[194:195]
	ds_read2_b64 v[194:197], v186 offset0:70 offset1:71
	v_add_f64 v[48:49], v[48:49], -v[100:101]
	s_waitcnt lgkmcnt(0)
	v_mul_f64 v[100:101], v[196:197], v[102:103]
	v_fma_f64 v[100:101], v[194:195], v[192:193], -v[100:101]
	v_mul_f64 v[194:195], v[194:195], v[102:103]
	v_fmac_f64_e32 v[194:195], v[196:197], v[192:193]
	v_add_f64 v[46:47], v[46:47], -v[194:195]
	ds_read2_b64 v[194:197], v186 offset0:72 offset1:73
	v_add_f64 v[44:45], v[44:45], -v[100:101]
	s_waitcnt lgkmcnt(0)
	v_mul_f64 v[100:101], v[196:197], v[102:103]
	v_fma_f64 v[100:101], v[194:195], v[192:193], -v[100:101]
	v_mul_f64 v[194:195], v[194:195], v[102:103]
	v_fmac_f64_e32 v[194:195], v[196:197], v[192:193]
	v_add_f64 v[42:43], v[42:43], -v[194:195]
	ds_read2_b64 v[194:197], v186 offset0:74 offset1:75
	v_add_f64 v[40:41], v[40:41], -v[100:101]
	s_waitcnt lgkmcnt(0)
	v_mul_f64 v[100:101], v[196:197], v[102:103]
	v_fma_f64 v[100:101], v[194:195], v[192:193], -v[100:101]
	v_mul_f64 v[194:195], v[194:195], v[102:103]
	v_fmac_f64_e32 v[194:195], v[196:197], v[192:193]
	v_add_f64 v[38:39], v[38:39], -v[194:195]
	ds_read2_b64 v[194:197], v186 offset0:76 offset1:77
	v_add_f64 v[36:37], v[36:37], -v[100:101]
	s_waitcnt lgkmcnt(0)
	v_mul_f64 v[100:101], v[196:197], v[102:103]
	v_fma_f64 v[100:101], v[194:195], v[192:193], -v[100:101]
	v_mul_f64 v[194:195], v[194:195], v[102:103]
	v_fmac_f64_e32 v[194:195], v[196:197], v[192:193]
	v_add_f64 v[34:35], v[34:35], -v[194:195]
	ds_read2_b64 v[194:197], v186 offset0:78 offset1:79
	v_add_f64 v[32:33], v[32:33], -v[100:101]
	s_waitcnt lgkmcnt(0)
	v_mul_f64 v[100:101], v[196:197], v[102:103]
	v_fma_f64 v[100:101], v[194:195], v[192:193], -v[100:101]
	v_mul_f64 v[194:195], v[194:195], v[102:103]
	v_fmac_f64_e32 v[194:195], v[196:197], v[192:193]
	v_add_f64 v[30:31], v[30:31], -v[194:195]
	ds_read2_b64 v[194:197], v186 offset0:80 offset1:81
	v_add_f64 v[28:29], v[28:29], -v[100:101]
	s_waitcnt lgkmcnt(0)
	v_mul_f64 v[100:101], v[196:197], v[102:103]
	v_fma_f64 v[100:101], v[194:195], v[192:193], -v[100:101]
	v_mul_f64 v[194:195], v[194:195], v[102:103]
	v_fmac_f64_e32 v[194:195], v[196:197], v[192:193]
	v_add_f64 v[26:27], v[26:27], -v[194:195]
	ds_read2_b64 v[194:197], v186 offset0:82 offset1:83
	v_add_f64 v[24:25], v[24:25], -v[100:101]
	s_waitcnt lgkmcnt(0)
	v_mul_f64 v[100:101], v[196:197], v[102:103]
	v_fma_f64 v[100:101], v[194:195], v[192:193], -v[100:101]
	v_mul_f64 v[194:195], v[194:195], v[102:103]
	v_fmac_f64_e32 v[194:195], v[196:197], v[192:193]
	v_add_f64 v[22:23], v[22:23], -v[194:195]
	ds_read2_b64 v[194:197], v186 offset0:84 offset1:85
	v_add_f64 v[20:21], v[20:21], -v[100:101]
	s_waitcnt lgkmcnt(0)
	v_mul_f64 v[100:101], v[196:197], v[102:103]
	v_fma_f64 v[100:101], v[194:195], v[192:193], -v[100:101]
	v_mul_f64 v[194:195], v[194:195], v[102:103]
	v_fmac_f64_e32 v[194:195], v[196:197], v[192:193]
	v_add_f64 v[18:19], v[18:19], -v[194:195]
	ds_read2_b64 v[194:197], v186 offset0:86 offset1:87
	v_add_f64 v[16:17], v[16:17], -v[100:101]
	s_waitcnt lgkmcnt(0)
	v_mul_f64 v[100:101], v[196:197], v[102:103]
	v_fma_f64 v[100:101], v[194:195], v[192:193], -v[100:101]
	v_mul_f64 v[194:195], v[194:195], v[102:103]
	v_fmac_f64_e32 v[194:195], v[196:197], v[192:193]
	v_add_f64 v[14:15], v[14:15], -v[194:195]
	ds_read2_b64 v[194:197], v186 offset0:88 offset1:89
	v_add_f64 v[12:13], v[12:13], -v[100:101]
	s_waitcnt lgkmcnt(0)
	v_mul_f64 v[100:101], v[196:197], v[102:103]
	v_fma_f64 v[100:101], v[194:195], v[192:193], -v[100:101]
	v_mul_f64 v[194:195], v[194:195], v[102:103]
	v_fmac_f64_e32 v[194:195], v[196:197], v[192:193]
	v_add_f64 v[10:11], v[10:11], -v[194:195]
	ds_read2_b64 v[194:197], v186 offset0:90 offset1:91
	v_add_f64 v[8:9], v[8:9], -v[100:101]
	s_waitcnt lgkmcnt(0)
	v_mul_f64 v[100:101], v[196:197], v[102:103]
	v_fma_f64 v[100:101], v[194:195], v[192:193], -v[100:101]
	v_mul_f64 v[194:195], v[194:195], v[102:103]
	v_fmac_f64_e32 v[194:195], v[196:197], v[192:193]
	v_add_f64 v[6:7], v[6:7], -v[194:195]
	ds_read2_b64 v[194:197], v186 offset0:92 offset1:93
	v_add_f64 v[4:5], v[4:5], -v[100:101]
	s_waitcnt lgkmcnt(0)
	v_mul_f64 v[100:101], v[196:197], v[102:103]
	v_fma_f64 v[100:101], v[194:195], v[192:193], -v[100:101]
	v_mul_f64 v[194:195], v[194:195], v[102:103]
	v_fmac_f64_e32 v[194:195], v[196:197], v[192:193]
	v_add_f64 v[2:3], v[2:3], -v[194:195]
	ds_read2_b64 v[194:197], v186 offset0:94 offset1:95
	v_add_f64 v[0:1], v[0:1], -v[100:101]
	s_waitcnt lgkmcnt(0)
	v_mul_f64 v[100:101], v[196:197], v[102:103]
	v_fma_f64 v[100:101], v[194:195], v[192:193], -v[100:101]
	v_mul_f64 v[194:195], v[194:195], v[102:103]
	v_fmac_f64_e32 v[194:195], v[196:197], v[192:193]
	v_add_f64 v[188:189], v[188:189], -v[100:101]
	v_add_f64 v[190:191], v[190:191], -v[194:195]
	v_mov_b64_e32 v[100:101], v[192:193]
.LBB95_199:
	s_or_b64 exec, exec, s[2:3]
	v_cmp_eq_u32_e32 vcc, 22, v184
	s_waitcnt vmcnt(63) expcnt(7) lgkmcnt(15)
	s_barrier
	s_and_saveexec_b64 s[4:5], vcc
	s_cbranch_execz .LBB95_206
; %bb.200:
	ds_write2_b64 v185, v[96:97], v[98:99] offset1:1
	ds_write2_b64 v186, v[92:93], v[94:95] offset0:46 offset1:47
	ds_write2_b64 v186, v[88:89], v[90:91] offset0:48 offset1:49
	;; [unrolled: 1-line block ×7, first 2 shown]
	s_waitcnt vmcnt(54)
	ds_write2_b64 v186, v[64:65], v[66:67] offset0:60 offset1:61
	s_waitcnt vmcnt(52)
	ds_write2_b64 v186, v[60:61], v[62:63] offset0:62 offset1:63
	;; [unrolled: 2-line block ×15, first 2 shown]
	ds_write2_b64 v186, v[4:5], v[6:7] offset0:90 offset1:91
	ds_write2_b64 v186, v[0:1], v[2:3] offset0:92 offset1:93
	s_waitcnt vmcnt(37)
	ds_write2_b64 v186, v[188:189], v[190:191] offset0:94 offset1:95
	ds_read2_b64 v[192:195], v185 offset1:1
	s_waitcnt lgkmcnt(0)
	v_cmp_neq_f64_e32 vcc, 0, v[192:193]
	v_cmp_neq_f64_e64 s[2:3], 0, v[194:195]
	s_or_b64 s[2:3], vcc, s[2:3]
	s_and_b64 exec, exec, s[2:3]
	s_cbranch_execz .LBB95_206
; %bb.201:
	v_cmp_ngt_f64_e64 s[2:3], |v[192:193]|, |v[194:195]|
                                        ; implicit-def: $vgpr196_vgpr197
	s_and_saveexec_b64 s[10:11], s[2:3]
	s_xor_b64 s[2:3], exec, s[10:11]
                                        ; implicit-def: $vgpr198_vgpr199
	s_cbranch_execz .LBB95_203
; %bb.202:
	v_div_scale_f64 v[196:197], s[10:11], v[194:195], v[194:195], v[192:193]
	v_rcp_f64_e32 v[198:199], v[196:197]
	v_div_scale_f64 v[200:201], vcc, v[192:193], v[194:195], v[192:193]
	v_fma_f64 v[202:203], -v[196:197], v[198:199], 1.0
	v_fmac_f64_e32 v[198:199], v[198:199], v[202:203]
	v_fma_f64 v[202:203], -v[196:197], v[198:199], 1.0
	v_fmac_f64_e32 v[198:199], v[198:199], v[202:203]
	v_mul_f64 v[202:203], v[200:201], v[198:199]
	v_fma_f64 v[196:197], -v[196:197], v[202:203], v[200:201]
	v_div_fmas_f64 v[196:197], v[196:197], v[198:199], v[202:203]
	v_div_fixup_f64 v[196:197], v[196:197], v[194:195], v[192:193]
	v_fmac_f64_e32 v[194:195], v[192:193], v[196:197]
	v_div_scale_f64 v[192:193], s[10:11], v[194:195], v[194:195], 1.0
	v_rcp_f64_e32 v[198:199], v[192:193]
	s_nop 0
	v_fma_f64 v[200:201], -v[192:193], v[198:199], 1.0
	v_fmac_f64_e32 v[198:199], v[198:199], v[200:201]
	v_fma_f64 v[200:201], -v[192:193], v[198:199], 1.0
	v_fmac_f64_e32 v[198:199], v[198:199], v[200:201]
	v_div_scale_f64 v[200:201], vcc, 1.0, v[194:195], 1.0
	v_mul_f64 v[202:203], v[200:201], v[198:199]
	v_fma_f64 v[192:193], -v[192:193], v[202:203], v[200:201]
	s_nop 1
	v_div_fmas_f64 v[192:193], v[192:193], v[198:199], v[202:203]
	v_div_fixup_f64 v[198:199], v[192:193], v[194:195], 1.0
	v_mul_f64 v[196:197], v[196:197], v[198:199]
	v_xor_b32_e32 v199, 0x80000000, v199
                                        ; implicit-def: $vgpr192_vgpr193
.LBB95_203:
	s_andn2_saveexec_b64 s[2:3], s[2:3]
	s_cbranch_execz .LBB95_205
; %bb.204:
	v_div_scale_f64 v[196:197], s[10:11], v[192:193], v[192:193], v[194:195]
	v_rcp_f64_e32 v[198:199], v[196:197]
	v_div_scale_f64 v[200:201], vcc, v[194:195], v[192:193], v[194:195]
	v_fma_f64 v[202:203], -v[196:197], v[198:199], 1.0
	v_fmac_f64_e32 v[198:199], v[198:199], v[202:203]
	v_fma_f64 v[202:203], -v[196:197], v[198:199], 1.0
	v_fmac_f64_e32 v[198:199], v[198:199], v[202:203]
	v_mul_f64 v[202:203], v[200:201], v[198:199]
	v_fma_f64 v[196:197], -v[196:197], v[202:203], v[200:201]
	v_div_fmas_f64 v[196:197], v[196:197], v[198:199], v[202:203]
	v_div_fixup_f64 v[198:199], v[196:197], v[192:193], v[194:195]
	v_fmac_f64_e32 v[192:193], v[194:195], v[198:199]
	v_div_scale_f64 v[194:195], s[10:11], v[192:193], v[192:193], 1.0
	v_rcp_f64_e32 v[196:197], v[194:195]
	s_nop 0
	v_fma_f64 v[200:201], -v[194:195], v[196:197], 1.0
	v_fmac_f64_e32 v[196:197], v[196:197], v[200:201]
	v_fma_f64 v[200:201], -v[194:195], v[196:197], 1.0
	v_fmac_f64_e32 v[196:197], v[196:197], v[200:201]
	v_div_scale_f64 v[200:201], vcc, 1.0, v[192:193], 1.0
	v_mul_f64 v[202:203], v[200:201], v[196:197]
	v_fma_f64 v[194:195], -v[194:195], v[202:203], v[200:201]
	s_nop 1
	v_div_fmas_f64 v[194:195], v[194:195], v[196:197], v[202:203]
	v_div_fixup_f64 v[196:197], v[194:195], v[192:193], 1.0
	v_mul_f64 v[198:199], v[198:199], -v[196:197]
.LBB95_205:
	s_or_b64 exec, exec, s[2:3]
	ds_write2_b64 v185, v[196:197], v[198:199] offset1:1
.LBB95_206:
	s_or_b64 exec, exec, s[4:5]
	s_waitcnt lgkmcnt(0)
	s_barrier
	ds_read2_b64 v[192:195], v185 offset1:1
	v_cmp_lt_u32_e32 vcc, 22, v184
	s_waitcnt lgkmcnt(0)
	scratch_store_dwordx4 off, v[192:195], off offset:752 ; 16-byte Folded Spill
	s_and_saveexec_b64 s[2:3], vcc
	s_cbranch_execz .LBB95_208
; %bb.207:
	scratch_load_dwordx4 v[194:197], off, off offset:752 ; 16-byte Folded Reload
	s_waitcnt vmcnt(0)
	v_mul_f64 v[192:193], v[196:197], v[98:99]
	v_mul_f64 v[98:99], v[194:195], v[98:99]
	v_fma_f64 v[192:193], v[194:195], v[96:97], -v[192:193]
	v_fmac_f64_e32 v[98:99], v[196:197], v[96:97]
	ds_read2_b64 v[194:197], v186 offset0:46 offset1:47
	s_waitcnt lgkmcnt(0)
	v_mul_f64 v[96:97], v[196:197], v[98:99]
	v_fma_f64 v[96:97], v[194:195], v[192:193], -v[96:97]
	v_mul_f64 v[194:195], v[194:195], v[98:99]
	v_fmac_f64_e32 v[194:195], v[196:197], v[192:193]
	v_add_f64 v[94:95], v[94:95], -v[194:195]
	ds_read2_b64 v[194:197], v186 offset0:48 offset1:49
	v_add_f64 v[92:93], v[92:93], -v[96:97]
	s_waitcnt lgkmcnt(0)
	v_mul_f64 v[96:97], v[196:197], v[98:99]
	v_fma_f64 v[96:97], v[194:195], v[192:193], -v[96:97]
	v_mul_f64 v[194:195], v[194:195], v[98:99]
	v_fmac_f64_e32 v[194:195], v[196:197], v[192:193]
	v_add_f64 v[90:91], v[90:91], -v[194:195]
	ds_read2_b64 v[194:197], v186 offset0:50 offset1:51
	v_add_f64 v[88:89], v[88:89], -v[96:97]
	;; [unrolled: 8-line block ×24, first 2 shown]
	s_waitcnt lgkmcnt(0)
	v_mul_f64 v[96:97], v[196:197], v[98:99]
	v_fma_f64 v[96:97], v[194:195], v[192:193], -v[96:97]
	v_mul_f64 v[194:195], v[194:195], v[98:99]
	v_fmac_f64_e32 v[194:195], v[196:197], v[192:193]
	v_add_f64 v[188:189], v[188:189], -v[96:97]
	v_add_f64 v[190:191], v[190:191], -v[194:195]
	v_mov_b64_e32 v[96:97], v[192:193]
.LBB95_208:
	s_or_b64 exec, exec, s[2:3]
	v_cmp_eq_u32_e32 vcc, 23, v184
	s_waitcnt vmcnt(63) expcnt(7) lgkmcnt(15)
	s_barrier
	s_and_saveexec_b64 s[4:5], vcc
	s_cbranch_execz .LBB95_215
; %bb.209:
	ds_write2_b64 v185, v[92:93], v[94:95] offset1:1
	ds_write2_b64 v186, v[88:89], v[90:91] offset0:48 offset1:49
	ds_write2_b64 v186, v[84:85], v[86:87] offset0:50 offset1:51
	;; [unrolled: 1-line block ×6, first 2 shown]
	s_waitcnt vmcnt(55)
	ds_write2_b64 v186, v[64:65], v[66:67] offset0:60 offset1:61
	s_waitcnt vmcnt(53)
	ds_write2_b64 v186, v[60:61], v[62:63] offset0:62 offset1:63
	s_waitcnt vmcnt(52)
	ds_write2_b64 v186, v[56:57], v[58:59] offset0:64 offset1:65
	s_waitcnt vmcnt(51)
	ds_write2_b64 v186, v[52:53], v[54:55] offset0:66 offset1:67
	s_waitcnt vmcnt(50)
	ds_write2_b64 v186, v[48:49], v[50:51] offset0:68 offset1:69
	s_waitcnt vmcnt(49)
	ds_write2_b64 v186, v[44:45], v[46:47] offset0:70 offset1:71
	s_waitcnt vmcnt(48)
	ds_write2_b64 v186, v[40:41], v[42:43] offset0:72 offset1:73
	s_waitcnt vmcnt(47)
	ds_write2_b64 v186, v[36:37], v[38:39] offset0:74 offset1:75
	s_waitcnt vmcnt(46)
	ds_write2_b64 v186, v[32:33], v[34:35] offset0:76 offset1:77
	s_waitcnt vmcnt(45)
	ds_write2_b64 v186, v[28:29], v[30:31] offset0:78 offset1:79
	s_waitcnt vmcnt(44)
	ds_write2_b64 v186, v[24:25], v[26:27] offset0:80 offset1:81
	s_waitcnt vmcnt(43)
	ds_write2_b64 v186, v[20:21], v[22:23] offset0:82 offset1:83
	s_waitcnt vmcnt(42)
	ds_write2_b64 v186, v[16:17], v[18:19] offset0:84 offset1:85
	s_waitcnt vmcnt(41)
	ds_write2_b64 v186, v[12:13], v[14:15] offset0:86 offset1:87
	s_waitcnt vmcnt(40)
	ds_write2_b64 v186, v[8:9], v[10:11] offset0:88 offset1:89
	ds_write2_b64 v186, v[4:5], v[6:7] offset0:90 offset1:91
	ds_write2_b64 v186, v[0:1], v[2:3] offset0:92 offset1:93
	s_waitcnt vmcnt(38)
	ds_write2_b64 v186, v[188:189], v[190:191] offset0:94 offset1:95
	ds_read2_b64 v[192:195], v185 offset1:1
	s_waitcnt lgkmcnt(0)
	v_cmp_neq_f64_e32 vcc, 0, v[192:193]
	v_cmp_neq_f64_e64 s[2:3], 0, v[194:195]
	s_or_b64 s[2:3], vcc, s[2:3]
	s_and_b64 exec, exec, s[2:3]
	s_cbranch_execz .LBB95_215
; %bb.210:
	v_cmp_ngt_f64_e64 s[2:3], |v[192:193]|, |v[194:195]|
                                        ; implicit-def: $vgpr196_vgpr197
	s_and_saveexec_b64 s[10:11], s[2:3]
	s_xor_b64 s[2:3], exec, s[10:11]
                                        ; implicit-def: $vgpr198_vgpr199
	s_cbranch_execz .LBB95_212
; %bb.211:
	v_div_scale_f64 v[196:197], s[10:11], v[194:195], v[194:195], v[192:193]
	v_rcp_f64_e32 v[198:199], v[196:197]
	v_div_scale_f64 v[200:201], vcc, v[192:193], v[194:195], v[192:193]
	v_fma_f64 v[202:203], -v[196:197], v[198:199], 1.0
	v_fmac_f64_e32 v[198:199], v[198:199], v[202:203]
	v_fma_f64 v[202:203], -v[196:197], v[198:199], 1.0
	v_fmac_f64_e32 v[198:199], v[198:199], v[202:203]
	v_mul_f64 v[202:203], v[200:201], v[198:199]
	v_fma_f64 v[196:197], -v[196:197], v[202:203], v[200:201]
	v_div_fmas_f64 v[196:197], v[196:197], v[198:199], v[202:203]
	v_div_fixup_f64 v[196:197], v[196:197], v[194:195], v[192:193]
	v_fmac_f64_e32 v[194:195], v[192:193], v[196:197]
	v_div_scale_f64 v[192:193], s[10:11], v[194:195], v[194:195], 1.0
	v_rcp_f64_e32 v[198:199], v[192:193]
	s_nop 0
	v_fma_f64 v[200:201], -v[192:193], v[198:199], 1.0
	v_fmac_f64_e32 v[198:199], v[198:199], v[200:201]
	v_fma_f64 v[200:201], -v[192:193], v[198:199], 1.0
	v_fmac_f64_e32 v[198:199], v[198:199], v[200:201]
	v_div_scale_f64 v[200:201], vcc, 1.0, v[194:195], 1.0
	v_mul_f64 v[202:203], v[200:201], v[198:199]
	v_fma_f64 v[192:193], -v[192:193], v[202:203], v[200:201]
	s_nop 1
	v_div_fmas_f64 v[192:193], v[192:193], v[198:199], v[202:203]
	v_div_fixup_f64 v[198:199], v[192:193], v[194:195], 1.0
	v_mul_f64 v[196:197], v[196:197], v[198:199]
	v_xor_b32_e32 v199, 0x80000000, v199
                                        ; implicit-def: $vgpr192_vgpr193
.LBB95_212:
	s_andn2_saveexec_b64 s[2:3], s[2:3]
	s_cbranch_execz .LBB95_214
; %bb.213:
	v_div_scale_f64 v[196:197], s[10:11], v[192:193], v[192:193], v[194:195]
	v_rcp_f64_e32 v[198:199], v[196:197]
	v_div_scale_f64 v[200:201], vcc, v[194:195], v[192:193], v[194:195]
	v_fma_f64 v[202:203], -v[196:197], v[198:199], 1.0
	v_fmac_f64_e32 v[198:199], v[198:199], v[202:203]
	v_fma_f64 v[202:203], -v[196:197], v[198:199], 1.0
	v_fmac_f64_e32 v[198:199], v[198:199], v[202:203]
	v_mul_f64 v[202:203], v[200:201], v[198:199]
	v_fma_f64 v[196:197], -v[196:197], v[202:203], v[200:201]
	v_div_fmas_f64 v[196:197], v[196:197], v[198:199], v[202:203]
	v_div_fixup_f64 v[198:199], v[196:197], v[192:193], v[194:195]
	v_fmac_f64_e32 v[192:193], v[194:195], v[198:199]
	v_div_scale_f64 v[194:195], s[10:11], v[192:193], v[192:193], 1.0
	v_rcp_f64_e32 v[196:197], v[194:195]
	s_nop 0
	v_fma_f64 v[200:201], -v[194:195], v[196:197], 1.0
	v_fmac_f64_e32 v[196:197], v[196:197], v[200:201]
	v_fma_f64 v[200:201], -v[194:195], v[196:197], 1.0
	v_fmac_f64_e32 v[196:197], v[196:197], v[200:201]
	v_div_scale_f64 v[200:201], vcc, 1.0, v[192:193], 1.0
	v_mul_f64 v[202:203], v[200:201], v[196:197]
	v_fma_f64 v[194:195], -v[194:195], v[202:203], v[200:201]
	s_nop 1
	v_div_fmas_f64 v[194:195], v[194:195], v[196:197], v[202:203]
	v_div_fixup_f64 v[196:197], v[194:195], v[192:193], 1.0
	v_mul_f64 v[198:199], v[198:199], -v[196:197]
.LBB95_214:
	s_or_b64 exec, exec, s[2:3]
	ds_write2_b64 v185, v[196:197], v[198:199] offset1:1
.LBB95_215:
	s_or_b64 exec, exec, s[4:5]
	s_waitcnt lgkmcnt(0)
	s_barrier
	ds_read2_b64 v[192:195], v185 offset1:1
	v_cmp_lt_u32_e32 vcc, 23, v184
	s_waitcnt lgkmcnt(0)
	scratch_store_dwordx4 off, v[192:195], off offset:768 ; 16-byte Folded Spill
	s_and_saveexec_b64 s[2:3], vcc
	s_cbranch_execz .LBB95_217
; %bb.216:
	scratch_load_dwordx4 v[194:197], off, off offset:768 ; 16-byte Folded Reload
	s_waitcnt vmcnt(0)
	v_mul_f64 v[192:193], v[196:197], v[94:95]
	v_mul_f64 v[94:95], v[194:195], v[94:95]
	v_fma_f64 v[192:193], v[194:195], v[92:93], -v[192:193]
	v_fmac_f64_e32 v[94:95], v[196:197], v[92:93]
	ds_read2_b64 v[194:197], v186 offset0:48 offset1:49
	s_waitcnt lgkmcnt(0)
	v_mul_f64 v[92:93], v[196:197], v[94:95]
	v_fma_f64 v[92:93], v[194:195], v[192:193], -v[92:93]
	v_mul_f64 v[194:195], v[194:195], v[94:95]
	v_fmac_f64_e32 v[194:195], v[196:197], v[192:193]
	v_add_f64 v[90:91], v[90:91], -v[194:195]
	ds_read2_b64 v[194:197], v186 offset0:50 offset1:51
	v_add_f64 v[88:89], v[88:89], -v[92:93]
	s_waitcnt lgkmcnt(0)
	v_mul_f64 v[92:93], v[196:197], v[94:95]
	v_fma_f64 v[92:93], v[194:195], v[192:193], -v[92:93]
	v_mul_f64 v[194:195], v[194:195], v[94:95]
	v_fmac_f64_e32 v[194:195], v[196:197], v[192:193]
	v_add_f64 v[86:87], v[86:87], -v[194:195]
	ds_read2_b64 v[194:197], v186 offset0:52 offset1:53
	v_add_f64 v[84:85], v[84:85], -v[92:93]
	;; [unrolled: 8-line block ×23, first 2 shown]
	s_waitcnt lgkmcnt(0)
	v_mul_f64 v[92:93], v[196:197], v[94:95]
	v_fma_f64 v[92:93], v[194:195], v[192:193], -v[92:93]
	v_mul_f64 v[194:195], v[194:195], v[94:95]
	v_fmac_f64_e32 v[194:195], v[196:197], v[192:193]
	v_add_f64 v[188:189], v[188:189], -v[92:93]
	v_add_f64 v[190:191], v[190:191], -v[194:195]
	v_mov_b64_e32 v[92:93], v[192:193]
.LBB95_217:
	s_or_b64 exec, exec, s[2:3]
	v_cmp_eq_u32_e32 vcc, 24, v184
	s_waitcnt vmcnt(63) expcnt(7) lgkmcnt(15)
	s_barrier
	s_and_saveexec_b64 s[4:5], vcc
	s_cbranch_execz .LBB95_224
; %bb.218:
	ds_write2_b64 v185, v[88:89], v[90:91] offset1:1
	ds_write2_b64 v186, v[84:85], v[86:87] offset0:50 offset1:51
	ds_write2_b64 v186, v[80:81], v[82:83] offset0:52 offset1:53
	;; [unrolled: 1-line block ×5, first 2 shown]
	s_waitcnt vmcnt(56)
	ds_write2_b64 v186, v[64:65], v[66:67] offset0:60 offset1:61
	s_waitcnt vmcnt(54)
	ds_write2_b64 v186, v[60:61], v[62:63] offset0:62 offset1:63
	;; [unrolled: 2-line block ×15, first 2 shown]
	ds_write2_b64 v186, v[4:5], v[6:7] offset0:90 offset1:91
	ds_write2_b64 v186, v[0:1], v[2:3] offset0:92 offset1:93
	s_waitcnt vmcnt(39)
	ds_write2_b64 v186, v[188:189], v[190:191] offset0:94 offset1:95
	ds_read2_b64 v[192:195], v185 offset1:1
	s_waitcnt lgkmcnt(0)
	v_cmp_neq_f64_e32 vcc, 0, v[192:193]
	v_cmp_neq_f64_e64 s[2:3], 0, v[194:195]
	s_or_b64 s[2:3], vcc, s[2:3]
	s_and_b64 exec, exec, s[2:3]
	s_cbranch_execz .LBB95_224
; %bb.219:
	v_cmp_ngt_f64_e64 s[2:3], |v[192:193]|, |v[194:195]|
                                        ; implicit-def: $vgpr196_vgpr197
	s_and_saveexec_b64 s[10:11], s[2:3]
	s_xor_b64 s[2:3], exec, s[10:11]
                                        ; implicit-def: $vgpr198_vgpr199
	s_cbranch_execz .LBB95_221
; %bb.220:
	v_div_scale_f64 v[196:197], s[10:11], v[194:195], v[194:195], v[192:193]
	v_rcp_f64_e32 v[198:199], v[196:197]
	v_div_scale_f64 v[200:201], vcc, v[192:193], v[194:195], v[192:193]
	v_fma_f64 v[202:203], -v[196:197], v[198:199], 1.0
	v_fmac_f64_e32 v[198:199], v[198:199], v[202:203]
	v_fma_f64 v[202:203], -v[196:197], v[198:199], 1.0
	v_fmac_f64_e32 v[198:199], v[198:199], v[202:203]
	v_mul_f64 v[202:203], v[200:201], v[198:199]
	v_fma_f64 v[196:197], -v[196:197], v[202:203], v[200:201]
	v_div_fmas_f64 v[196:197], v[196:197], v[198:199], v[202:203]
	v_div_fixup_f64 v[196:197], v[196:197], v[194:195], v[192:193]
	v_fmac_f64_e32 v[194:195], v[192:193], v[196:197]
	v_div_scale_f64 v[192:193], s[10:11], v[194:195], v[194:195], 1.0
	v_rcp_f64_e32 v[198:199], v[192:193]
	s_nop 0
	v_fma_f64 v[200:201], -v[192:193], v[198:199], 1.0
	v_fmac_f64_e32 v[198:199], v[198:199], v[200:201]
	v_fma_f64 v[200:201], -v[192:193], v[198:199], 1.0
	v_fmac_f64_e32 v[198:199], v[198:199], v[200:201]
	v_div_scale_f64 v[200:201], vcc, 1.0, v[194:195], 1.0
	v_mul_f64 v[202:203], v[200:201], v[198:199]
	v_fma_f64 v[192:193], -v[192:193], v[202:203], v[200:201]
	s_nop 1
	v_div_fmas_f64 v[192:193], v[192:193], v[198:199], v[202:203]
	v_div_fixup_f64 v[198:199], v[192:193], v[194:195], 1.0
	v_mul_f64 v[196:197], v[196:197], v[198:199]
	v_xor_b32_e32 v199, 0x80000000, v199
                                        ; implicit-def: $vgpr192_vgpr193
.LBB95_221:
	s_andn2_saveexec_b64 s[2:3], s[2:3]
	s_cbranch_execz .LBB95_223
; %bb.222:
	v_div_scale_f64 v[196:197], s[10:11], v[192:193], v[192:193], v[194:195]
	v_rcp_f64_e32 v[198:199], v[196:197]
	v_div_scale_f64 v[200:201], vcc, v[194:195], v[192:193], v[194:195]
	v_fma_f64 v[202:203], -v[196:197], v[198:199], 1.0
	v_fmac_f64_e32 v[198:199], v[198:199], v[202:203]
	v_fma_f64 v[202:203], -v[196:197], v[198:199], 1.0
	v_fmac_f64_e32 v[198:199], v[198:199], v[202:203]
	v_mul_f64 v[202:203], v[200:201], v[198:199]
	v_fma_f64 v[196:197], -v[196:197], v[202:203], v[200:201]
	v_div_fmas_f64 v[196:197], v[196:197], v[198:199], v[202:203]
	v_div_fixup_f64 v[198:199], v[196:197], v[192:193], v[194:195]
	v_fmac_f64_e32 v[192:193], v[194:195], v[198:199]
	v_div_scale_f64 v[194:195], s[10:11], v[192:193], v[192:193], 1.0
	v_rcp_f64_e32 v[196:197], v[194:195]
	s_nop 0
	v_fma_f64 v[200:201], -v[194:195], v[196:197], 1.0
	v_fmac_f64_e32 v[196:197], v[196:197], v[200:201]
	v_fma_f64 v[200:201], -v[194:195], v[196:197], 1.0
	v_fmac_f64_e32 v[196:197], v[196:197], v[200:201]
	v_div_scale_f64 v[200:201], vcc, 1.0, v[192:193], 1.0
	v_mul_f64 v[202:203], v[200:201], v[196:197]
	v_fma_f64 v[194:195], -v[194:195], v[202:203], v[200:201]
	s_nop 1
	v_div_fmas_f64 v[194:195], v[194:195], v[196:197], v[202:203]
	v_div_fixup_f64 v[196:197], v[194:195], v[192:193], 1.0
	v_mul_f64 v[198:199], v[198:199], -v[196:197]
.LBB95_223:
	s_or_b64 exec, exec, s[2:3]
	ds_write2_b64 v185, v[196:197], v[198:199] offset1:1
.LBB95_224:
	s_or_b64 exec, exec, s[4:5]
	s_waitcnt lgkmcnt(0)
	s_barrier
	ds_read2_b64 v[192:195], v185 offset1:1
	v_cmp_lt_u32_e32 vcc, 24, v184
	s_waitcnt lgkmcnt(0)
	scratch_store_dwordx4 off, v[192:195], off offset:784 ; 16-byte Folded Spill
	s_and_saveexec_b64 s[2:3], vcc
	s_cbranch_execz .LBB95_226
; %bb.225:
	scratch_load_dwordx4 v[194:197], off, off offset:784 ; 16-byte Folded Reload
	s_waitcnt vmcnt(0)
	v_mul_f64 v[192:193], v[196:197], v[90:91]
	v_mul_f64 v[90:91], v[194:195], v[90:91]
	v_fma_f64 v[192:193], v[194:195], v[88:89], -v[192:193]
	v_fmac_f64_e32 v[90:91], v[196:197], v[88:89]
	ds_read2_b64 v[194:197], v186 offset0:50 offset1:51
	s_waitcnt lgkmcnt(0)
	v_mul_f64 v[88:89], v[196:197], v[90:91]
	v_fma_f64 v[88:89], v[194:195], v[192:193], -v[88:89]
	v_mul_f64 v[194:195], v[194:195], v[90:91]
	v_fmac_f64_e32 v[194:195], v[196:197], v[192:193]
	v_add_f64 v[86:87], v[86:87], -v[194:195]
	ds_read2_b64 v[194:197], v186 offset0:52 offset1:53
	v_add_f64 v[84:85], v[84:85], -v[88:89]
	s_waitcnt lgkmcnt(0)
	v_mul_f64 v[88:89], v[196:197], v[90:91]
	v_fma_f64 v[88:89], v[194:195], v[192:193], -v[88:89]
	v_mul_f64 v[194:195], v[194:195], v[90:91]
	v_fmac_f64_e32 v[194:195], v[196:197], v[192:193]
	v_add_f64 v[82:83], v[82:83], -v[194:195]
	ds_read2_b64 v[194:197], v186 offset0:54 offset1:55
	v_add_f64 v[80:81], v[80:81], -v[88:89]
	;; [unrolled: 8-line block ×22, first 2 shown]
	s_waitcnt lgkmcnt(0)
	v_mul_f64 v[88:89], v[196:197], v[90:91]
	v_fma_f64 v[88:89], v[194:195], v[192:193], -v[88:89]
	v_mul_f64 v[194:195], v[194:195], v[90:91]
	v_fmac_f64_e32 v[194:195], v[196:197], v[192:193]
	v_add_f64 v[188:189], v[188:189], -v[88:89]
	v_add_f64 v[190:191], v[190:191], -v[194:195]
	v_mov_b64_e32 v[88:89], v[192:193]
.LBB95_226:
	s_or_b64 exec, exec, s[2:3]
	v_cmp_eq_u32_e32 vcc, 25, v184
	s_waitcnt vmcnt(63) expcnt(7) lgkmcnt(15)
	s_barrier
	s_and_saveexec_b64 s[4:5], vcc
	s_cbranch_execz .LBB95_233
; %bb.227:
	ds_write2_b64 v185, v[84:85], v[86:87] offset1:1
	ds_write2_b64 v186, v[80:81], v[82:83] offset0:52 offset1:53
	ds_write2_b64 v186, v[76:77], v[78:79] offset0:54 offset1:55
	;; [unrolled: 1-line block ×4, first 2 shown]
	s_waitcnt vmcnt(57)
	ds_write2_b64 v186, v[64:65], v[66:67] offset0:60 offset1:61
	s_waitcnt vmcnt(55)
	ds_write2_b64 v186, v[60:61], v[62:63] offset0:62 offset1:63
	;; [unrolled: 2-line block ×15, first 2 shown]
	ds_write2_b64 v186, v[4:5], v[6:7] offset0:90 offset1:91
	ds_write2_b64 v186, v[0:1], v[2:3] offset0:92 offset1:93
	s_waitcnt vmcnt(40)
	ds_write2_b64 v186, v[188:189], v[190:191] offset0:94 offset1:95
	ds_read2_b64 v[192:195], v185 offset1:1
	s_waitcnt lgkmcnt(0)
	v_cmp_neq_f64_e32 vcc, 0, v[192:193]
	v_cmp_neq_f64_e64 s[2:3], 0, v[194:195]
	s_or_b64 s[2:3], vcc, s[2:3]
	s_and_b64 exec, exec, s[2:3]
	s_cbranch_execz .LBB95_233
; %bb.228:
	v_cmp_ngt_f64_e64 s[2:3], |v[192:193]|, |v[194:195]|
                                        ; implicit-def: $vgpr196_vgpr197
	s_and_saveexec_b64 s[10:11], s[2:3]
	s_xor_b64 s[2:3], exec, s[10:11]
                                        ; implicit-def: $vgpr198_vgpr199
	s_cbranch_execz .LBB95_230
; %bb.229:
	v_div_scale_f64 v[196:197], s[10:11], v[194:195], v[194:195], v[192:193]
	v_rcp_f64_e32 v[198:199], v[196:197]
	v_div_scale_f64 v[200:201], vcc, v[192:193], v[194:195], v[192:193]
	v_fma_f64 v[202:203], -v[196:197], v[198:199], 1.0
	v_fmac_f64_e32 v[198:199], v[198:199], v[202:203]
	v_fma_f64 v[202:203], -v[196:197], v[198:199], 1.0
	v_fmac_f64_e32 v[198:199], v[198:199], v[202:203]
	v_mul_f64 v[202:203], v[200:201], v[198:199]
	v_fma_f64 v[196:197], -v[196:197], v[202:203], v[200:201]
	v_div_fmas_f64 v[196:197], v[196:197], v[198:199], v[202:203]
	v_div_fixup_f64 v[196:197], v[196:197], v[194:195], v[192:193]
	v_fmac_f64_e32 v[194:195], v[192:193], v[196:197]
	v_div_scale_f64 v[192:193], s[10:11], v[194:195], v[194:195], 1.0
	v_rcp_f64_e32 v[198:199], v[192:193]
	s_nop 0
	v_fma_f64 v[200:201], -v[192:193], v[198:199], 1.0
	v_fmac_f64_e32 v[198:199], v[198:199], v[200:201]
	v_fma_f64 v[200:201], -v[192:193], v[198:199], 1.0
	v_fmac_f64_e32 v[198:199], v[198:199], v[200:201]
	v_div_scale_f64 v[200:201], vcc, 1.0, v[194:195], 1.0
	v_mul_f64 v[202:203], v[200:201], v[198:199]
	v_fma_f64 v[192:193], -v[192:193], v[202:203], v[200:201]
	s_nop 1
	v_div_fmas_f64 v[192:193], v[192:193], v[198:199], v[202:203]
	v_div_fixup_f64 v[198:199], v[192:193], v[194:195], 1.0
	v_mul_f64 v[196:197], v[196:197], v[198:199]
	v_xor_b32_e32 v199, 0x80000000, v199
                                        ; implicit-def: $vgpr192_vgpr193
.LBB95_230:
	s_andn2_saveexec_b64 s[2:3], s[2:3]
	s_cbranch_execz .LBB95_232
; %bb.231:
	v_div_scale_f64 v[196:197], s[10:11], v[192:193], v[192:193], v[194:195]
	v_rcp_f64_e32 v[198:199], v[196:197]
	v_div_scale_f64 v[200:201], vcc, v[194:195], v[192:193], v[194:195]
	v_fma_f64 v[202:203], -v[196:197], v[198:199], 1.0
	v_fmac_f64_e32 v[198:199], v[198:199], v[202:203]
	v_fma_f64 v[202:203], -v[196:197], v[198:199], 1.0
	v_fmac_f64_e32 v[198:199], v[198:199], v[202:203]
	v_mul_f64 v[202:203], v[200:201], v[198:199]
	v_fma_f64 v[196:197], -v[196:197], v[202:203], v[200:201]
	v_div_fmas_f64 v[196:197], v[196:197], v[198:199], v[202:203]
	v_div_fixup_f64 v[198:199], v[196:197], v[192:193], v[194:195]
	v_fmac_f64_e32 v[192:193], v[194:195], v[198:199]
	v_div_scale_f64 v[194:195], s[10:11], v[192:193], v[192:193], 1.0
	v_rcp_f64_e32 v[196:197], v[194:195]
	s_nop 0
	v_fma_f64 v[200:201], -v[194:195], v[196:197], 1.0
	v_fmac_f64_e32 v[196:197], v[196:197], v[200:201]
	v_fma_f64 v[200:201], -v[194:195], v[196:197], 1.0
	v_fmac_f64_e32 v[196:197], v[196:197], v[200:201]
	v_div_scale_f64 v[200:201], vcc, 1.0, v[192:193], 1.0
	v_mul_f64 v[202:203], v[200:201], v[196:197]
	v_fma_f64 v[194:195], -v[194:195], v[202:203], v[200:201]
	s_nop 1
	v_div_fmas_f64 v[194:195], v[194:195], v[196:197], v[202:203]
	v_div_fixup_f64 v[196:197], v[194:195], v[192:193], 1.0
	v_mul_f64 v[198:199], v[198:199], -v[196:197]
.LBB95_232:
	s_or_b64 exec, exec, s[2:3]
	ds_write2_b64 v185, v[196:197], v[198:199] offset1:1
.LBB95_233:
	s_or_b64 exec, exec, s[4:5]
	s_waitcnt lgkmcnt(0)
	s_barrier
	ds_read2_b64 v[192:195], v185 offset1:1
	v_cmp_lt_u32_e32 vcc, 25, v184
	s_waitcnt lgkmcnt(0)
	scratch_store_dwordx4 off, v[192:195], off offset:800 ; 16-byte Folded Spill
	s_and_saveexec_b64 s[2:3], vcc
	s_cbranch_execz .LBB95_235
; %bb.234:
	scratch_load_dwordx4 v[194:197], off, off offset:800 ; 16-byte Folded Reload
	s_waitcnt vmcnt(0)
	v_mul_f64 v[192:193], v[196:197], v[86:87]
	v_mul_f64 v[86:87], v[194:195], v[86:87]
	v_fma_f64 v[192:193], v[194:195], v[84:85], -v[192:193]
	v_fmac_f64_e32 v[86:87], v[196:197], v[84:85]
	ds_read2_b64 v[194:197], v186 offset0:52 offset1:53
	s_waitcnt lgkmcnt(0)
	v_mul_f64 v[84:85], v[196:197], v[86:87]
	v_fma_f64 v[84:85], v[194:195], v[192:193], -v[84:85]
	v_mul_f64 v[194:195], v[194:195], v[86:87]
	v_fmac_f64_e32 v[194:195], v[196:197], v[192:193]
	v_add_f64 v[82:83], v[82:83], -v[194:195]
	ds_read2_b64 v[194:197], v186 offset0:54 offset1:55
	v_add_f64 v[80:81], v[80:81], -v[84:85]
	s_waitcnt lgkmcnt(0)
	v_mul_f64 v[84:85], v[196:197], v[86:87]
	v_fma_f64 v[84:85], v[194:195], v[192:193], -v[84:85]
	v_mul_f64 v[194:195], v[194:195], v[86:87]
	v_fmac_f64_e32 v[194:195], v[196:197], v[192:193]
	v_add_f64 v[78:79], v[78:79], -v[194:195]
	ds_read2_b64 v[194:197], v186 offset0:56 offset1:57
	v_add_f64 v[76:77], v[76:77], -v[84:85]
	;; [unrolled: 8-line block ×21, first 2 shown]
	s_waitcnt lgkmcnt(0)
	v_mul_f64 v[84:85], v[196:197], v[86:87]
	v_fma_f64 v[84:85], v[194:195], v[192:193], -v[84:85]
	v_mul_f64 v[194:195], v[194:195], v[86:87]
	v_fmac_f64_e32 v[194:195], v[196:197], v[192:193]
	v_add_f64 v[188:189], v[188:189], -v[84:85]
	v_add_f64 v[190:191], v[190:191], -v[194:195]
	v_mov_b64_e32 v[84:85], v[192:193]
.LBB95_235:
	s_or_b64 exec, exec, s[2:3]
	v_cmp_eq_u32_e32 vcc, 26, v184
	s_waitcnt vmcnt(63) expcnt(7) lgkmcnt(15)
	s_barrier
	s_and_saveexec_b64 s[4:5], vcc
	s_cbranch_execz .LBB95_242
; %bb.236:
	ds_write2_b64 v185, v[80:81], v[82:83] offset1:1
	ds_write2_b64 v186, v[76:77], v[78:79] offset0:54 offset1:55
	ds_write2_b64 v186, v[72:73], v[74:75] offset0:56 offset1:57
	;; [unrolled: 1-line block ×3, first 2 shown]
	s_waitcnt vmcnt(58)
	ds_write2_b64 v186, v[64:65], v[66:67] offset0:60 offset1:61
	s_waitcnt vmcnt(56)
	ds_write2_b64 v186, v[60:61], v[62:63] offset0:62 offset1:63
	;; [unrolled: 2-line block ×15, first 2 shown]
	ds_write2_b64 v186, v[4:5], v[6:7] offset0:90 offset1:91
	ds_write2_b64 v186, v[0:1], v[2:3] offset0:92 offset1:93
	s_waitcnt vmcnt(41)
	ds_write2_b64 v186, v[188:189], v[190:191] offset0:94 offset1:95
	ds_read2_b64 v[192:195], v185 offset1:1
	s_waitcnt lgkmcnt(0)
	v_cmp_neq_f64_e32 vcc, 0, v[192:193]
	v_cmp_neq_f64_e64 s[2:3], 0, v[194:195]
	s_or_b64 s[2:3], vcc, s[2:3]
	s_and_b64 exec, exec, s[2:3]
	s_cbranch_execz .LBB95_242
; %bb.237:
	v_cmp_ngt_f64_e64 s[2:3], |v[192:193]|, |v[194:195]|
                                        ; implicit-def: $vgpr196_vgpr197
	s_and_saveexec_b64 s[10:11], s[2:3]
	s_xor_b64 s[2:3], exec, s[10:11]
                                        ; implicit-def: $vgpr198_vgpr199
	s_cbranch_execz .LBB95_239
; %bb.238:
	v_div_scale_f64 v[196:197], s[10:11], v[194:195], v[194:195], v[192:193]
	v_rcp_f64_e32 v[198:199], v[196:197]
	v_div_scale_f64 v[200:201], vcc, v[192:193], v[194:195], v[192:193]
	v_fma_f64 v[202:203], -v[196:197], v[198:199], 1.0
	v_fmac_f64_e32 v[198:199], v[198:199], v[202:203]
	v_fma_f64 v[202:203], -v[196:197], v[198:199], 1.0
	v_fmac_f64_e32 v[198:199], v[198:199], v[202:203]
	v_mul_f64 v[202:203], v[200:201], v[198:199]
	v_fma_f64 v[196:197], -v[196:197], v[202:203], v[200:201]
	v_div_fmas_f64 v[196:197], v[196:197], v[198:199], v[202:203]
	v_div_fixup_f64 v[196:197], v[196:197], v[194:195], v[192:193]
	v_fmac_f64_e32 v[194:195], v[192:193], v[196:197]
	v_div_scale_f64 v[192:193], s[10:11], v[194:195], v[194:195], 1.0
	v_rcp_f64_e32 v[198:199], v[192:193]
	s_nop 0
	v_fma_f64 v[200:201], -v[192:193], v[198:199], 1.0
	v_fmac_f64_e32 v[198:199], v[198:199], v[200:201]
	v_fma_f64 v[200:201], -v[192:193], v[198:199], 1.0
	v_fmac_f64_e32 v[198:199], v[198:199], v[200:201]
	v_div_scale_f64 v[200:201], vcc, 1.0, v[194:195], 1.0
	v_mul_f64 v[202:203], v[200:201], v[198:199]
	v_fma_f64 v[192:193], -v[192:193], v[202:203], v[200:201]
	s_nop 1
	v_div_fmas_f64 v[192:193], v[192:193], v[198:199], v[202:203]
	v_div_fixup_f64 v[198:199], v[192:193], v[194:195], 1.0
	v_mul_f64 v[196:197], v[196:197], v[198:199]
	v_xor_b32_e32 v199, 0x80000000, v199
                                        ; implicit-def: $vgpr192_vgpr193
.LBB95_239:
	s_andn2_saveexec_b64 s[2:3], s[2:3]
	s_cbranch_execz .LBB95_241
; %bb.240:
	v_div_scale_f64 v[196:197], s[10:11], v[192:193], v[192:193], v[194:195]
	v_rcp_f64_e32 v[198:199], v[196:197]
	v_div_scale_f64 v[200:201], vcc, v[194:195], v[192:193], v[194:195]
	v_fma_f64 v[202:203], -v[196:197], v[198:199], 1.0
	v_fmac_f64_e32 v[198:199], v[198:199], v[202:203]
	v_fma_f64 v[202:203], -v[196:197], v[198:199], 1.0
	v_fmac_f64_e32 v[198:199], v[198:199], v[202:203]
	v_mul_f64 v[202:203], v[200:201], v[198:199]
	v_fma_f64 v[196:197], -v[196:197], v[202:203], v[200:201]
	v_div_fmas_f64 v[196:197], v[196:197], v[198:199], v[202:203]
	v_div_fixup_f64 v[198:199], v[196:197], v[192:193], v[194:195]
	v_fmac_f64_e32 v[192:193], v[194:195], v[198:199]
	v_div_scale_f64 v[194:195], s[10:11], v[192:193], v[192:193], 1.0
	v_rcp_f64_e32 v[196:197], v[194:195]
	s_nop 0
	v_fma_f64 v[200:201], -v[194:195], v[196:197], 1.0
	v_fmac_f64_e32 v[196:197], v[196:197], v[200:201]
	v_fma_f64 v[200:201], -v[194:195], v[196:197], 1.0
	v_fmac_f64_e32 v[196:197], v[196:197], v[200:201]
	v_div_scale_f64 v[200:201], vcc, 1.0, v[192:193], 1.0
	v_mul_f64 v[202:203], v[200:201], v[196:197]
	v_fma_f64 v[194:195], -v[194:195], v[202:203], v[200:201]
	s_nop 1
	v_div_fmas_f64 v[194:195], v[194:195], v[196:197], v[202:203]
	v_div_fixup_f64 v[196:197], v[194:195], v[192:193], 1.0
	v_mul_f64 v[198:199], v[198:199], -v[196:197]
.LBB95_241:
	s_or_b64 exec, exec, s[2:3]
	ds_write2_b64 v185, v[196:197], v[198:199] offset1:1
.LBB95_242:
	s_or_b64 exec, exec, s[4:5]
	s_waitcnt lgkmcnt(0)
	s_barrier
	ds_read2_b64 v[192:195], v185 offset1:1
	v_cmp_lt_u32_e32 vcc, 26, v184
	s_waitcnt lgkmcnt(0)
	scratch_store_dwordx4 off, v[192:195], off offset:816 ; 16-byte Folded Spill
	s_and_saveexec_b64 s[2:3], vcc
	s_cbranch_execz .LBB95_244
; %bb.243:
	scratch_load_dwordx4 v[194:197], off, off offset:816 ; 16-byte Folded Reload
	s_waitcnt vmcnt(0)
	v_mul_f64 v[192:193], v[196:197], v[82:83]
	v_mul_f64 v[82:83], v[194:195], v[82:83]
	v_fma_f64 v[192:193], v[194:195], v[80:81], -v[192:193]
	v_fmac_f64_e32 v[82:83], v[196:197], v[80:81]
	ds_read2_b64 v[194:197], v186 offset0:54 offset1:55
	s_waitcnt lgkmcnt(0)
	v_mul_f64 v[80:81], v[196:197], v[82:83]
	v_fma_f64 v[80:81], v[194:195], v[192:193], -v[80:81]
	v_mul_f64 v[194:195], v[194:195], v[82:83]
	v_fmac_f64_e32 v[194:195], v[196:197], v[192:193]
	v_add_f64 v[78:79], v[78:79], -v[194:195]
	ds_read2_b64 v[194:197], v186 offset0:56 offset1:57
	v_add_f64 v[76:77], v[76:77], -v[80:81]
	s_waitcnt lgkmcnt(0)
	v_mul_f64 v[80:81], v[196:197], v[82:83]
	v_fma_f64 v[80:81], v[194:195], v[192:193], -v[80:81]
	v_mul_f64 v[194:195], v[194:195], v[82:83]
	v_fmac_f64_e32 v[194:195], v[196:197], v[192:193]
	v_add_f64 v[74:75], v[74:75], -v[194:195]
	ds_read2_b64 v[194:197], v186 offset0:58 offset1:59
	v_add_f64 v[72:73], v[72:73], -v[80:81]
	;; [unrolled: 8-line block ×20, first 2 shown]
	s_waitcnt lgkmcnt(0)
	v_mul_f64 v[80:81], v[196:197], v[82:83]
	v_fma_f64 v[80:81], v[194:195], v[192:193], -v[80:81]
	v_mul_f64 v[194:195], v[194:195], v[82:83]
	v_fmac_f64_e32 v[194:195], v[196:197], v[192:193]
	v_add_f64 v[188:189], v[188:189], -v[80:81]
	v_add_f64 v[190:191], v[190:191], -v[194:195]
	v_mov_b64_e32 v[80:81], v[192:193]
.LBB95_244:
	s_or_b64 exec, exec, s[2:3]
	v_cmp_eq_u32_e32 vcc, 27, v184
	s_waitcnt vmcnt(63) expcnt(7) lgkmcnt(15)
	s_barrier
	s_and_saveexec_b64 s[4:5], vcc
	s_cbranch_execz .LBB95_251
; %bb.245:
	ds_write2_b64 v185, v[76:77], v[78:79] offset1:1
	ds_write2_b64 v186, v[72:73], v[74:75] offset0:56 offset1:57
	ds_write2_b64 v186, v[68:69], v[70:71] offset0:58 offset1:59
	s_waitcnt vmcnt(59)
	ds_write2_b64 v186, v[64:65], v[66:67] offset0:60 offset1:61
	s_waitcnt vmcnt(57)
	ds_write2_b64 v186, v[60:61], v[62:63] offset0:62 offset1:63
	s_waitcnt vmcnt(56)
	ds_write2_b64 v186, v[56:57], v[58:59] offset0:64 offset1:65
	s_waitcnt vmcnt(55)
	ds_write2_b64 v186, v[52:53], v[54:55] offset0:66 offset1:67
	s_waitcnt vmcnt(54)
	ds_write2_b64 v186, v[48:49], v[50:51] offset0:68 offset1:69
	s_waitcnt vmcnt(53)
	ds_write2_b64 v186, v[44:45], v[46:47] offset0:70 offset1:71
	s_waitcnt vmcnt(52)
	ds_write2_b64 v186, v[40:41], v[42:43] offset0:72 offset1:73
	s_waitcnt vmcnt(51)
	ds_write2_b64 v186, v[36:37], v[38:39] offset0:74 offset1:75
	s_waitcnt vmcnt(50)
	ds_write2_b64 v186, v[32:33], v[34:35] offset0:76 offset1:77
	s_waitcnt vmcnt(49)
	ds_write2_b64 v186, v[28:29], v[30:31] offset0:78 offset1:79
	s_waitcnt vmcnt(48)
	ds_write2_b64 v186, v[24:25], v[26:27] offset0:80 offset1:81
	s_waitcnt vmcnt(47)
	ds_write2_b64 v186, v[20:21], v[22:23] offset0:82 offset1:83
	s_waitcnt vmcnt(46)
	ds_write2_b64 v186, v[16:17], v[18:19] offset0:84 offset1:85
	s_waitcnt vmcnt(45)
	ds_write2_b64 v186, v[12:13], v[14:15] offset0:86 offset1:87
	s_waitcnt vmcnt(44)
	ds_write2_b64 v186, v[8:9], v[10:11] offset0:88 offset1:89
	ds_write2_b64 v186, v[4:5], v[6:7] offset0:90 offset1:91
	ds_write2_b64 v186, v[0:1], v[2:3] offset0:92 offset1:93
	s_waitcnt vmcnt(42)
	ds_write2_b64 v186, v[188:189], v[190:191] offset0:94 offset1:95
	ds_read2_b64 v[192:195], v185 offset1:1
	s_waitcnt lgkmcnt(0)
	v_cmp_neq_f64_e32 vcc, 0, v[192:193]
	v_cmp_neq_f64_e64 s[2:3], 0, v[194:195]
	s_or_b64 s[2:3], vcc, s[2:3]
	s_and_b64 exec, exec, s[2:3]
	s_cbranch_execz .LBB95_251
; %bb.246:
	v_cmp_ngt_f64_e64 s[2:3], |v[192:193]|, |v[194:195]|
                                        ; implicit-def: $vgpr196_vgpr197
	s_and_saveexec_b64 s[10:11], s[2:3]
	s_xor_b64 s[2:3], exec, s[10:11]
                                        ; implicit-def: $vgpr198_vgpr199
	s_cbranch_execz .LBB95_248
; %bb.247:
	v_div_scale_f64 v[196:197], s[10:11], v[194:195], v[194:195], v[192:193]
	v_rcp_f64_e32 v[198:199], v[196:197]
	v_div_scale_f64 v[200:201], vcc, v[192:193], v[194:195], v[192:193]
	v_fma_f64 v[202:203], -v[196:197], v[198:199], 1.0
	v_fmac_f64_e32 v[198:199], v[198:199], v[202:203]
	v_fma_f64 v[202:203], -v[196:197], v[198:199], 1.0
	v_fmac_f64_e32 v[198:199], v[198:199], v[202:203]
	v_mul_f64 v[202:203], v[200:201], v[198:199]
	v_fma_f64 v[196:197], -v[196:197], v[202:203], v[200:201]
	v_div_fmas_f64 v[196:197], v[196:197], v[198:199], v[202:203]
	v_div_fixup_f64 v[196:197], v[196:197], v[194:195], v[192:193]
	v_fmac_f64_e32 v[194:195], v[192:193], v[196:197]
	v_div_scale_f64 v[192:193], s[10:11], v[194:195], v[194:195], 1.0
	v_rcp_f64_e32 v[198:199], v[192:193]
	s_nop 0
	v_fma_f64 v[200:201], -v[192:193], v[198:199], 1.0
	v_fmac_f64_e32 v[198:199], v[198:199], v[200:201]
	v_fma_f64 v[200:201], -v[192:193], v[198:199], 1.0
	v_fmac_f64_e32 v[198:199], v[198:199], v[200:201]
	v_div_scale_f64 v[200:201], vcc, 1.0, v[194:195], 1.0
	v_mul_f64 v[202:203], v[200:201], v[198:199]
	v_fma_f64 v[192:193], -v[192:193], v[202:203], v[200:201]
	s_nop 1
	v_div_fmas_f64 v[192:193], v[192:193], v[198:199], v[202:203]
	v_div_fixup_f64 v[198:199], v[192:193], v[194:195], 1.0
	v_mul_f64 v[196:197], v[196:197], v[198:199]
	v_xor_b32_e32 v199, 0x80000000, v199
                                        ; implicit-def: $vgpr192_vgpr193
.LBB95_248:
	s_andn2_saveexec_b64 s[2:3], s[2:3]
	s_cbranch_execz .LBB95_250
; %bb.249:
	v_div_scale_f64 v[196:197], s[10:11], v[192:193], v[192:193], v[194:195]
	v_rcp_f64_e32 v[198:199], v[196:197]
	v_div_scale_f64 v[200:201], vcc, v[194:195], v[192:193], v[194:195]
	v_fma_f64 v[202:203], -v[196:197], v[198:199], 1.0
	v_fmac_f64_e32 v[198:199], v[198:199], v[202:203]
	v_fma_f64 v[202:203], -v[196:197], v[198:199], 1.0
	v_fmac_f64_e32 v[198:199], v[198:199], v[202:203]
	v_mul_f64 v[202:203], v[200:201], v[198:199]
	v_fma_f64 v[196:197], -v[196:197], v[202:203], v[200:201]
	v_div_fmas_f64 v[196:197], v[196:197], v[198:199], v[202:203]
	v_div_fixup_f64 v[198:199], v[196:197], v[192:193], v[194:195]
	v_fmac_f64_e32 v[192:193], v[194:195], v[198:199]
	v_div_scale_f64 v[194:195], s[10:11], v[192:193], v[192:193], 1.0
	v_rcp_f64_e32 v[196:197], v[194:195]
	s_nop 0
	v_fma_f64 v[200:201], -v[194:195], v[196:197], 1.0
	v_fmac_f64_e32 v[196:197], v[196:197], v[200:201]
	v_fma_f64 v[200:201], -v[194:195], v[196:197], 1.0
	v_fmac_f64_e32 v[196:197], v[196:197], v[200:201]
	v_div_scale_f64 v[200:201], vcc, 1.0, v[192:193], 1.0
	v_mul_f64 v[202:203], v[200:201], v[196:197]
	v_fma_f64 v[194:195], -v[194:195], v[202:203], v[200:201]
	s_nop 1
	v_div_fmas_f64 v[194:195], v[194:195], v[196:197], v[202:203]
	v_div_fixup_f64 v[196:197], v[194:195], v[192:193], 1.0
	v_mul_f64 v[198:199], v[198:199], -v[196:197]
.LBB95_250:
	s_or_b64 exec, exec, s[2:3]
	ds_write2_b64 v185, v[196:197], v[198:199] offset1:1
.LBB95_251:
	s_or_b64 exec, exec, s[4:5]
	s_waitcnt lgkmcnt(0)
	s_barrier
	ds_read2_b64 v[192:195], v185 offset1:1
	v_cmp_lt_u32_e32 vcc, 27, v184
	s_waitcnt lgkmcnt(0)
	scratch_store_dwordx4 off, v[192:195], off offset:832 ; 16-byte Folded Spill
	s_and_saveexec_b64 s[2:3], vcc
	s_cbranch_execz .LBB95_253
; %bb.252:
	scratch_load_dwordx4 v[194:197], off, off offset:832 ; 16-byte Folded Reload
	s_waitcnt vmcnt(0)
	v_mul_f64 v[192:193], v[196:197], v[78:79]
	v_mul_f64 v[78:79], v[194:195], v[78:79]
	v_fma_f64 v[192:193], v[194:195], v[76:77], -v[192:193]
	v_fmac_f64_e32 v[78:79], v[196:197], v[76:77]
	ds_read2_b64 v[194:197], v186 offset0:56 offset1:57
	s_waitcnt lgkmcnt(0)
	v_mul_f64 v[76:77], v[196:197], v[78:79]
	v_fma_f64 v[76:77], v[194:195], v[192:193], -v[76:77]
	v_mul_f64 v[194:195], v[194:195], v[78:79]
	v_fmac_f64_e32 v[194:195], v[196:197], v[192:193]
	v_add_f64 v[74:75], v[74:75], -v[194:195]
	ds_read2_b64 v[194:197], v186 offset0:58 offset1:59
	v_add_f64 v[72:73], v[72:73], -v[76:77]
	s_waitcnt lgkmcnt(0)
	v_mul_f64 v[76:77], v[196:197], v[78:79]
	v_fma_f64 v[76:77], v[194:195], v[192:193], -v[76:77]
	v_mul_f64 v[194:195], v[194:195], v[78:79]
	v_fmac_f64_e32 v[194:195], v[196:197], v[192:193]
	v_add_f64 v[70:71], v[70:71], -v[194:195]
	ds_read2_b64 v[194:197], v186 offset0:60 offset1:61
	v_add_f64 v[68:69], v[68:69], -v[76:77]
	;; [unrolled: 8-line block ×19, first 2 shown]
	s_waitcnt lgkmcnt(0)
	v_mul_f64 v[76:77], v[196:197], v[78:79]
	v_fma_f64 v[76:77], v[194:195], v[192:193], -v[76:77]
	v_mul_f64 v[194:195], v[194:195], v[78:79]
	v_fmac_f64_e32 v[194:195], v[196:197], v[192:193]
	v_add_f64 v[188:189], v[188:189], -v[76:77]
	v_add_f64 v[190:191], v[190:191], -v[194:195]
	v_mov_b64_e32 v[76:77], v[192:193]
.LBB95_253:
	s_or_b64 exec, exec, s[2:3]
	v_cmp_eq_u32_e32 vcc, 28, v184
	s_waitcnt vmcnt(63) expcnt(7) lgkmcnt(15)
	s_barrier
	s_and_saveexec_b64 s[4:5], vcc
	s_cbranch_execz .LBB95_260
; %bb.254:
	ds_write2_b64 v185, v[72:73], v[74:75] offset1:1
	ds_write2_b64 v186, v[68:69], v[70:71] offset0:58 offset1:59
	s_waitcnt vmcnt(60)
	ds_write2_b64 v186, v[64:65], v[66:67] offset0:60 offset1:61
	s_waitcnt vmcnt(58)
	;; [unrolled: 2-line block ×15, first 2 shown]
	ds_write2_b64 v186, v[8:9], v[10:11] offset0:88 offset1:89
	ds_write2_b64 v186, v[4:5], v[6:7] offset0:90 offset1:91
	ds_write2_b64 v186, v[0:1], v[2:3] offset0:92 offset1:93
	s_waitcnt vmcnt(43)
	ds_write2_b64 v186, v[188:189], v[190:191] offset0:94 offset1:95
	ds_read2_b64 v[192:195], v185 offset1:1
	s_waitcnt lgkmcnt(0)
	v_cmp_neq_f64_e32 vcc, 0, v[192:193]
	v_cmp_neq_f64_e64 s[2:3], 0, v[194:195]
	s_or_b64 s[2:3], vcc, s[2:3]
	s_and_b64 exec, exec, s[2:3]
	s_cbranch_execz .LBB95_260
; %bb.255:
	v_cmp_ngt_f64_e64 s[2:3], |v[192:193]|, |v[194:195]|
                                        ; implicit-def: $vgpr196_vgpr197
	s_and_saveexec_b64 s[10:11], s[2:3]
	s_xor_b64 s[2:3], exec, s[10:11]
                                        ; implicit-def: $vgpr198_vgpr199
	s_cbranch_execz .LBB95_257
; %bb.256:
	v_div_scale_f64 v[196:197], s[10:11], v[194:195], v[194:195], v[192:193]
	v_rcp_f64_e32 v[198:199], v[196:197]
	v_div_scale_f64 v[200:201], vcc, v[192:193], v[194:195], v[192:193]
	v_fma_f64 v[202:203], -v[196:197], v[198:199], 1.0
	v_fmac_f64_e32 v[198:199], v[198:199], v[202:203]
	v_fma_f64 v[202:203], -v[196:197], v[198:199], 1.0
	v_fmac_f64_e32 v[198:199], v[198:199], v[202:203]
	v_mul_f64 v[202:203], v[200:201], v[198:199]
	v_fma_f64 v[196:197], -v[196:197], v[202:203], v[200:201]
	v_div_fmas_f64 v[196:197], v[196:197], v[198:199], v[202:203]
	v_div_fixup_f64 v[196:197], v[196:197], v[194:195], v[192:193]
	v_fmac_f64_e32 v[194:195], v[192:193], v[196:197]
	v_div_scale_f64 v[192:193], s[10:11], v[194:195], v[194:195], 1.0
	v_rcp_f64_e32 v[198:199], v[192:193]
	s_nop 0
	v_fma_f64 v[200:201], -v[192:193], v[198:199], 1.0
	v_fmac_f64_e32 v[198:199], v[198:199], v[200:201]
	v_fma_f64 v[200:201], -v[192:193], v[198:199], 1.0
	v_fmac_f64_e32 v[198:199], v[198:199], v[200:201]
	v_div_scale_f64 v[200:201], vcc, 1.0, v[194:195], 1.0
	v_mul_f64 v[202:203], v[200:201], v[198:199]
	v_fma_f64 v[192:193], -v[192:193], v[202:203], v[200:201]
	s_nop 1
	v_div_fmas_f64 v[192:193], v[192:193], v[198:199], v[202:203]
	v_div_fixup_f64 v[198:199], v[192:193], v[194:195], 1.0
	v_mul_f64 v[196:197], v[196:197], v[198:199]
	v_xor_b32_e32 v199, 0x80000000, v199
                                        ; implicit-def: $vgpr192_vgpr193
.LBB95_257:
	s_andn2_saveexec_b64 s[2:3], s[2:3]
	s_cbranch_execz .LBB95_259
; %bb.258:
	v_div_scale_f64 v[196:197], s[10:11], v[192:193], v[192:193], v[194:195]
	v_rcp_f64_e32 v[198:199], v[196:197]
	v_div_scale_f64 v[200:201], vcc, v[194:195], v[192:193], v[194:195]
	v_fma_f64 v[202:203], -v[196:197], v[198:199], 1.0
	v_fmac_f64_e32 v[198:199], v[198:199], v[202:203]
	v_fma_f64 v[202:203], -v[196:197], v[198:199], 1.0
	v_fmac_f64_e32 v[198:199], v[198:199], v[202:203]
	v_mul_f64 v[202:203], v[200:201], v[198:199]
	v_fma_f64 v[196:197], -v[196:197], v[202:203], v[200:201]
	v_div_fmas_f64 v[196:197], v[196:197], v[198:199], v[202:203]
	v_div_fixup_f64 v[198:199], v[196:197], v[192:193], v[194:195]
	v_fmac_f64_e32 v[192:193], v[194:195], v[198:199]
	v_div_scale_f64 v[194:195], s[10:11], v[192:193], v[192:193], 1.0
	v_rcp_f64_e32 v[196:197], v[194:195]
	s_nop 0
	v_fma_f64 v[200:201], -v[194:195], v[196:197], 1.0
	v_fmac_f64_e32 v[196:197], v[196:197], v[200:201]
	v_fma_f64 v[200:201], -v[194:195], v[196:197], 1.0
	v_fmac_f64_e32 v[196:197], v[196:197], v[200:201]
	v_div_scale_f64 v[200:201], vcc, 1.0, v[192:193], 1.0
	v_mul_f64 v[202:203], v[200:201], v[196:197]
	v_fma_f64 v[194:195], -v[194:195], v[202:203], v[200:201]
	s_nop 1
	v_div_fmas_f64 v[194:195], v[194:195], v[196:197], v[202:203]
	v_div_fixup_f64 v[196:197], v[194:195], v[192:193], 1.0
	v_mul_f64 v[198:199], v[198:199], -v[196:197]
.LBB95_259:
	s_or_b64 exec, exec, s[2:3]
	ds_write2_b64 v185, v[196:197], v[198:199] offset1:1
.LBB95_260:
	s_or_b64 exec, exec, s[4:5]
	s_waitcnt lgkmcnt(0)
	s_barrier
	ds_read2_b64 v[192:195], v185 offset1:1
	v_cmp_lt_u32_e32 vcc, 28, v184
	s_waitcnt lgkmcnt(0)
	scratch_store_dwordx4 off, v[192:195], off offset:848 ; 16-byte Folded Spill
	s_and_saveexec_b64 s[2:3], vcc
	s_cbranch_execz .LBB95_262
; %bb.261:
	scratch_load_dwordx4 v[194:197], off, off offset:848 ; 16-byte Folded Reload
	s_waitcnt vmcnt(0)
	v_mul_f64 v[192:193], v[196:197], v[74:75]
	v_mul_f64 v[74:75], v[194:195], v[74:75]
	v_fma_f64 v[192:193], v[194:195], v[72:73], -v[192:193]
	v_fmac_f64_e32 v[74:75], v[196:197], v[72:73]
	ds_read2_b64 v[194:197], v186 offset0:58 offset1:59
	s_waitcnt lgkmcnt(0)
	v_mul_f64 v[72:73], v[196:197], v[74:75]
	v_fma_f64 v[72:73], v[194:195], v[192:193], -v[72:73]
	v_mul_f64 v[194:195], v[194:195], v[74:75]
	v_fmac_f64_e32 v[194:195], v[196:197], v[192:193]
	v_add_f64 v[70:71], v[70:71], -v[194:195]
	ds_read2_b64 v[194:197], v186 offset0:60 offset1:61
	v_add_f64 v[68:69], v[68:69], -v[72:73]
	s_waitcnt lgkmcnt(0)
	v_mul_f64 v[72:73], v[196:197], v[74:75]
	v_fma_f64 v[72:73], v[194:195], v[192:193], -v[72:73]
	v_mul_f64 v[194:195], v[194:195], v[74:75]
	v_fmac_f64_e32 v[194:195], v[196:197], v[192:193]
	v_add_f64 v[66:67], v[66:67], -v[194:195]
	ds_read2_b64 v[194:197], v186 offset0:62 offset1:63
	v_add_f64 v[64:65], v[64:65], -v[72:73]
	;; [unrolled: 8-line block ×18, first 2 shown]
	s_waitcnt lgkmcnt(0)
	v_mul_f64 v[72:73], v[196:197], v[74:75]
	v_fma_f64 v[72:73], v[194:195], v[192:193], -v[72:73]
	v_mul_f64 v[194:195], v[194:195], v[74:75]
	v_fmac_f64_e32 v[194:195], v[196:197], v[192:193]
	v_add_f64 v[188:189], v[188:189], -v[72:73]
	v_add_f64 v[190:191], v[190:191], -v[194:195]
	v_mov_b64_e32 v[72:73], v[192:193]
.LBB95_262:
	s_or_b64 exec, exec, s[2:3]
	v_cmp_eq_u32_e32 vcc, 29, v184
	s_waitcnt vmcnt(63) expcnt(7) lgkmcnt(15)
	s_barrier
	s_and_saveexec_b64 s[4:5], vcc
	s_cbranch_execz .LBB95_269
; %bb.263:
	ds_write2_b64 v185, v[68:69], v[70:71] offset1:1
	s_waitcnt vmcnt(61)
	ds_write2_b64 v186, v[64:65], v[66:67] offset0:60 offset1:61
	s_waitcnt vmcnt(59)
	ds_write2_b64 v186, v[60:61], v[62:63] offset0:62 offset1:63
	;; [unrolled: 2-line block ×15, first 2 shown]
	ds_write2_b64 v186, v[4:5], v[6:7] offset0:90 offset1:91
	ds_write2_b64 v186, v[0:1], v[2:3] offset0:92 offset1:93
	s_waitcnt vmcnt(44)
	ds_write2_b64 v186, v[188:189], v[190:191] offset0:94 offset1:95
	ds_read2_b64 v[192:195], v185 offset1:1
	s_waitcnt lgkmcnt(0)
	v_cmp_neq_f64_e32 vcc, 0, v[192:193]
	v_cmp_neq_f64_e64 s[2:3], 0, v[194:195]
	s_or_b64 s[2:3], vcc, s[2:3]
	s_and_b64 exec, exec, s[2:3]
	s_cbranch_execz .LBB95_269
; %bb.264:
	v_cmp_ngt_f64_e64 s[2:3], |v[192:193]|, |v[194:195]|
                                        ; implicit-def: $vgpr196_vgpr197
	s_and_saveexec_b64 s[10:11], s[2:3]
	s_xor_b64 s[2:3], exec, s[10:11]
                                        ; implicit-def: $vgpr198_vgpr199
	s_cbranch_execz .LBB95_266
; %bb.265:
	v_div_scale_f64 v[196:197], s[10:11], v[194:195], v[194:195], v[192:193]
	v_rcp_f64_e32 v[198:199], v[196:197]
	v_div_scale_f64 v[200:201], vcc, v[192:193], v[194:195], v[192:193]
	v_fma_f64 v[202:203], -v[196:197], v[198:199], 1.0
	v_fmac_f64_e32 v[198:199], v[198:199], v[202:203]
	v_fma_f64 v[202:203], -v[196:197], v[198:199], 1.0
	v_fmac_f64_e32 v[198:199], v[198:199], v[202:203]
	v_mul_f64 v[202:203], v[200:201], v[198:199]
	v_fma_f64 v[196:197], -v[196:197], v[202:203], v[200:201]
	v_div_fmas_f64 v[196:197], v[196:197], v[198:199], v[202:203]
	v_div_fixup_f64 v[196:197], v[196:197], v[194:195], v[192:193]
	v_fmac_f64_e32 v[194:195], v[192:193], v[196:197]
	v_div_scale_f64 v[192:193], s[10:11], v[194:195], v[194:195], 1.0
	v_rcp_f64_e32 v[198:199], v[192:193]
	s_nop 0
	v_fma_f64 v[200:201], -v[192:193], v[198:199], 1.0
	v_fmac_f64_e32 v[198:199], v[198:199], v[200:201]
	v_fma_f64 v[200:201], -v[192:193], v[198:199], 1.0
	v_fmac_f64_e32 v[198:199], v[198:199], v[200:201]
	v_div_scale_f64 v[200:201], vcc, 1.0, v[194:195], 1.0
	v_mul_f64 v[202:203], v[200:201], v[198:199]
	v_fma_f64 v[192:193], -v[192:193], v[202:203], v[200:201]
	s_nop 1
	v_div_fmas_f64 v[192:193], v[192:193], v[198:199], v[202:203]
	v_div_fixup_f64 v[198:199], v[192:193], v[194:195], 1.0
	v_mul_f64 v[196:197], v[196:197], v[198:199]
	v_xor_b32_e32 v199, 0x80000000, v199
                                        ; implicit-def: $vgpr192_vgpr193
.LBB95_266:
	s_andn2_saveexec_b64 s[2:3], s[2:3]
	s_cbranch_execz .LBB95_268
; %bb.267:
	v_div_scale_f64 v[196:197], s[10:11], v[192:193], v[192:193], v[194:195]
	v_rcp_f64_e32 v[198:199], v[196:197]
	v_div_scale_f64 v[200:201], vcc, v[194:195], v[192:193], v[194:195]
	v_fma_f64 v[202:203], -v[196:197], v[198:199], 1.0
	v_fmac_f64_e32 v[198:199], v[198:199], v[202:203]
	v_fma_f64 v[202:203], -v[196:197], v[198:199], 1.0
	v_fmac_f64_e32 v[198:199], v[198:199], v[202:203]
	v_mul_f64 v[202:203], v[200:201], v[198:199]
	v_fma_f64 v[196:197], -v[196:197], v[202:203], v[200:201]
	v_div_fmas_f64 v[196:197], v[196:197], v[198:199], v[202:203]
	v_div_fixup_f64 v[198:199], v[196:197], v[192:193], v[194:195]
	v_fmac_f64_e32 v[192:193], v[194:195], v[198:199]
	v_div_scale_f64 v[194:195], s[10:11], v[192:193], v[192:193], 1.0
	v_rcp_f64_e32 v[196:197], v[194:195]
	s_nop 0
	v_fma_f64 v[200:201], -v[194:195], v[196:197], 1.0
	v_fmac_f64_e32 v[196:197], v[196:197], v[200:201]
	v_fma_f64 v[200:201], -v[194:195], v[196:197], 1.0
	v_fmac_f64_e32 v[196:197], v[196:197], v[200:201]
	v_div_scale_f64 v[200:201], vcc, 1.0, v[192:193], 1.0
	v_mul_f64 v[202:203], v[200:201], v[196:197]
	v_fma_f64 v[194:195], -v[194:195], v[202:203], v[200:201]
	s_nop 1
	v_div_fmas_f64 v[194:195], v[194:195], v[196:197], v[202:203]
	v_div_fixup_f64 v[196:197], v[194:195], v[192:193], 1.0
	v_mul_f64 v[198:199], v[198:199], -v[196:197]
.LBB95_268:
	s_or_b64 exec, exec, s[2:3]
	ds_write2_b64 v185, v[196:197], v[198:199] offset1:1
.LBB95_269:
	s_or_b64 exec, exec, s[4:5]
	s_waitcnt lgkmcnt(0)
	s_barrier
	ds_read2_b64 v[192:195], v185 offset1:1
	v_cmp_lt_u32_e32 vcc, 29, v184
	s_waitcnt lgkmcnt(0)
	scratch_store_dwordx4 off, v[192:195], off offset:864 ; 16-byte Folded Spill
	s_and_saveexec_b64 s[2:3], vcc
	s_cbranch_execz .LBB95_271
; %bb.270:
	scratch_load_dwordx4 v[194:197], off, off offset:864 ; 16-byte Folded Reload
	s_waitcnt vmcnt(0)
	v_mul_f64 v[192:193], v[196:197], v[70:71]
	v_mul_f64 v[70:71], v[194:195], v[70:71]
	v_fma_f64 v[192:193], v[194:195], v[68:69], -v[192:193]
	v_fmac_f64_e32 v[70:71], v[196:197], v[68:69]
	ds_read2_b64 v[194:197], v186 offset0:60 offset1:61
	s_waitcnt lgkmcnt(0)
	v_mul_f64 v[68:69], v[196:197], v[70:71]
	v_fma_f64 v[68:69], v[194:195], v[192:193], -v[68:69]
	v_mul_f64 v[194:195], v[194:195], v[70:71]
	v_fmac_f64_e32 v[194:195], v[196:197], v[192:193]
	v_add_f64 v[66:67], v[66:67], -v[194:195]
	ds_read2_b64 v[194:197], v186 offset0:62 offset1:63
	v_add_f64 v[64:65], v[64:65], -v[68:69]
	s_waitcnt lgkmcnt(0)
	v_mul_f64 v[68:69], v[196:197], v[70:71]
	v_fma_f64 v[68:69], v[194:195], v[192:193], -v[68:69]
	v_mul_f64 v[194:195], v[194:195], v[70:71]
	v_fmac_f64_e32 v[194:195], v[196:197], v[192:193]
	v_add_f64 v[62:63], v[62:63], -v[194:195]
	ds_read2_b64 v[194:197], v186 offset0:64 offset1:65
	v_add_f64 v[60:61], v[60:61], -v[68:69]
	;; [unrolled: 8-line block ×17, first 2 shown]
	s_waitcnt lgkmcnt(0)
	v_mul_f64 v[68:69], v[196:197], v[70:71]
	v_fma_f64 v[68:69], v[194:195], v[192:193], -v[68:69]
	v_mul_f64 v[194:195], v[194:195], v[70:71]
	v_fmac_f64_e32 v[194:195], v[196:197], v[192:193]
	v_add_f64 v[188:189], v[188:189], -v[68:69]
	v_add_f64 v[190:191], v[190:191], -v[194:195]
	v_mov_b64_e32 v[68:69], v[192:193]
.LBB95_271:
	s_or_b64 exec, exec, s[2:3]
	v_cmp_eq_u32_e32 vcc, 30, v184
	s_waitcnt vmcnt(63) expcnt(7) lgkmcnt(15)
	s_barrier
	s_and_saveexec_b64 s[4:5], vcc
	s_cbranch_execz .LBB95_278
; %bb.272:
	s_waitcnt vmcnt(62)
	ds_write2_b64 v185, v[64:65], v[66:67] offset1:1
	s_waitcnt vmcnt(60)
	ds_write2_b64 v186, v[60:61], v[62:63] offset0:62 offset1:63
	s_waitcnt vmcnt(59)
	ds_write2_b64 v186, v[56:57], v[58:59] offset0:64 offset1:65
	;; [unrolled: 2-line block ×14, first 2 shown]
	ds_write2_b64 v186, v[4:5], v[6:7] offset0:90 offset1:91
	ds_write2_b64 v186, v[0:1], v[2:3] offset0:92 offset1:93
	s_waitcnt vmcnt(45)
	ds_write2_b64 v186, v[188:189], v[190:191] offset0:94 offset1:95
	ds_read2_b64 v[192:195], v185 offset1:1
	s_waitcnt lgkmcnt(0)
	v_cmp_neq_f64_e32 vcc, 0, v[192:193]
	v_cmp_neq_f64_e64 s[2:3], 0, v[194:195]
	s_or_b64 s[2:3], vcc, s[2:3]
	s_and_b64 exec, exec, s[2:3]
	s_cbranch_execz .LBB95_278
; %bb.273:
	v_cmp_ngt_f64_e64 s[2:3], |v[192:193]|, |v[194:195]|
                                        ; implicit-def: $vgpr196_vgpr197
	s_and_saveexec_b64 s[10:11], s[2:3]
	s_xor_b64 s[2:3], exec, s[10:11]
                                        ; implicit-def: $vgpr198_vgpr199
	s_cbranch_execz .LBB95_275
; %bb.274:
	v_div_scale_f64 v[196:197], s[10:11], v[194:195], v[194:195], v[192:193]
	v_rcp_f64_e32 v[198:199], v[196:197]
	v_div_scale_f64 v[200:201], vcc, v[192:193], v[194:195], v[192:193]
	v_fma_f64 v[202:203], -v[196:197], v[198:199], 1.0
	v_fmac_f64_e32 v[198:199], v[198:199], v[202:203]
	v_fma_f64 v[202:203], -v[196:197], v[198:199], 1.0
	v_fmac_f64_e32 v[198:199], v[198:199], v[202:203]
	v_mul_f64 v[202:203], v[200:201], v[198:199]
	v_fma_f64 v[196:197], -v[196:197], v[202:203], v[200:201]
	v_div_fmas_f64 v[196:197], v[196:197], v[198:199], v[202:203]
	v_div_fixup_f64 v[196:197], v[196:197], v[194:195], v[192:193]
	v_fmac_f64_e32 v[194:195], v[192:193], v[196:197]
	v_div_scale_f64 v[192:193], s[10:11], v[194:195], v[194:195], 1.0
	v_rcp_f64_e32 v[198:199], v[192:193]
	s_nop 0
	v_fma_f64 v[200:201], -v[192:193], v[198:199], 1.0
	v_fmac_f64_e32 v[198:199], v[198:199], v[200:201]
	v_fma_f64 v[200:201], -v[192:193], v[198:199], 1.0
	v_fmac_f64_e32 v[198:199], v[198:199], v[200:201]
	v_div_scale_f64 v[200:201], vcc, 1.0, v[194:195], 1.0
	v_mul_f64 v[202:203], v[200:201], v[198:199]
	v_fma_f64 v[192:193], -v[192:193], v[202:203], v[200:201]
	s_nop 1
	v_div_fmas_f64 v[192:193], v[192:193], v[198:199], v[202:203]
	v_div_fixup_f64 v[198:199], v[192:193], v[194:195], 1.0
	v_mul_f64 v[196:197], v[196:197], v[198:199]
	v_xor_b32_e32 v199, 0x80000000, v199
                                        ; implicit-def: $vgpr192_vgpr193
.LBB95_275:
	s_andn2_saveexec_b64 s[2:3], s[2:3]
	s_cbranch_execz .LBB95_277
; %bb.276:
	v_div_scale_f64 v[196:197], s[10:11], v[192:193], v[192:193], v[194:195]
	v_rcp_f64_e32 v[198:199], v[196:197]
	v_div_scale_f64 v[200:201], vcc, v[194:195], v[192:193], v[194:195]
	v_fma_f64 v[202:203], -v[196:197], v[198:199], 1.0
	v_fmac_f64_e32 v[198:199], v[198:199], v[202:203]
	v_fma_f64 v[202:203], -v[196:197], v[198:199], 1.0
	v_fmac_f64_e32 v[198:199], v[198:199], v[202:203]
	v_mul_f64 v[202:203], v[200:201], v[198:199]
	v_fma_f64 v[196:197], -v[196:197], v[202:203], v[200:201]
	v_div_fmas_f64 v[196:197], v[196:197], v[198:199], v[202:203]
	v_div_fixup_f64 v[198:199], v[196:197], v[192:193], v[194:195]
	v_fmac_f64_e32 v[192:193], v[194:195], v[198:199]
	v_div_scale_f64 v[194:195], s[10:11], v[192:193], v[192:193], 1.0
	v_rcp_f64_e32 v[196:197], v[194:195]
	s_nop 0
	v_fma_f64 v[200:201], -v[194:195], v[196:197], 1.0
	v_fmac_f64_e32 v[196:197], v[196:197], v[200:201]
	v_fma_f64 v[200:201], -v[194:195], v[196:197], 1.0
	v_fmac_f64_e32 v[196:197], v[196:197], v[200:201]
	v_div_scale_f64 v[200:201], vcc, 1.0, v[192:193], 1.0
	v_mul_f64 v[202:203], v[200:201], v[196:197]
	v_fma_f64 v[194:195], -v[194:195], v[202:203], v[200:201]
	s_nop 1
	v_div_fmas_f64 v[194:195], v[194:195], v[196:197], v[202:203]
	v_div_fixup_f64 v[196:197], v[194:195], v[192:193], 1.0
	v_mul_f64 v[198:199], v[198:199], -v[196:197]
.LBB95_277:
	s_or_b64 exec, exec, s[2:3]
	ds_write2_b64 v185, v[196:197], v[198:199] offset1:1
.LBB95_278:
	s_or_b64 exec, exec, s[4:5]
	s_waitcnt lgkmcnt(0)
	s_barrier
	ds_read2_b64 v[192:195], v185 offset1:1
	v_cmp_lt_u32_e32 vcc, 30, v184
	s_waitcnt lgkmcnt(0)
	scratch_store_dwordx4 off, v[192:195], off offset:880 ; 16-byte Folded Spill
	s_and_saveexec_b64 s[2:3], vcc
	s_cbranch_execz .LBB95_280
; %bb.279:
	scratch_load_dwordx4 v[194:197], off, off offset:880 ; 16-byte Folded Reload
	s_waitcnt vmcnt(0)
	v_mul_f64 v[192:193], v[196:197], v[66:67]
	v_mul_f64 v[66:67], v[194:195], v[66:67]
	v_fma_f64 v[192:193], v[194:195], v[64:65], -v[192:193]
	v_fmac_f64_e32 v[66:67], v[196:197], v[64:65]
	ds_read2_b64 v[194:197], v186 offset0:62 offset1:63
	s_waitcnt lgkmcnt(0)
	v_mul_f64 v[64:65], v[196:197], v[66:67]
	v_fma_f64 v[64:65], v[194:195], v[192:193], -v[64:65]
	v_mul_f64 v[194:195], v[194:195], v[66:67]
	v_fmac_f64_e32 v[194:195], v[196:197], v[192:193]
	v_add_f64 v[62:63], v[62:63], -v[194:195]
	ds_read2_b64 v[194:197], v186 offset0:64 offset1:65
	v_add_f64 v[60:61], v[60:61], -v[64:65]
	s_waitcnt lgkmcnt(0)
	v_mul_f64 v[64:65], v[196:197], v[66:67]
	v_fma_f64 v[64:65], v[194:195], v[192:193], -v[64:65]
	v_mul_f64 v[194:195], v[194:195], v[66:67]
	v_fmac_f64_e32 v[194:195], v[196:197], v[192:193]
	v_add_f64 v[58:59], v[58:59], -v[194:195]
	ds_read2_b64 v[194:197], v186 offset0:66 offset1:67
	v_add_f64 v[56:57], v[56:57], -v[64:65]
	;; [unrolled: 8-line block ×16, first 2 shown]
	s_waitcnt lgkmcnt(0)
	v_mul_f64 v[64:65], v[196:197], v[66:67]
	v_fma_f64 v[64:65], v[194:195], v[192:193], -v[64:65]
	v_mul_f64 v[194:195], v[194:195], v[66:67]
	v_fmac_f64_e32 v[194:195], v[196:197], v[192:193]
	v_add_f64 v[188:189], v[188:189], -v[64:65]
	v_add_f64 v[190:191], v[190:191], -v[194:195]
	v_mov_b64_e32 v[64:65], v[192:193]
.LBB95_280:
	s_or_b64 exec, exec, s[2:3]
	v_cmp_eq_u32_e32 vcc, 31, v184
	s_waitcnt vmcnt(63) expcnt(7) lgkmcnt(15)
	s_barrier
	s_and_saveexec_b64 s[4:5], vcc
	s_cbranch_execz .LBB95_287
; %bb.281:
	s_waitcnt vmcnt(61)
	ds_write2_b64 v185, v[60:61], v[62:63] offset1:1
	s_waitcnt vmcnt(60)
	ds_write2_b64 v186, v[56:57], v[58:59] offset0:64 offset1:65
	s_waitcnt vmcnt(59)
	ds_write2_b64 v186, v[52:53], v[54:55] offset0:66 offset1:67
	;; [unrolled: 2-line block ×13, first 2 shown]
	ds_write2_b64 v186, v[4:5], v[6:7] offset0:90 offset1:91
	ds_write2_b64 v186, v[0:1], v[2:3] offset0:92 offset1:93
	s_waitcnt vmcnt(46)
	ds_write2_b64 v186, v[188:189], v[190:191] offset0:94 offset1:95
	ds_read2_b64 v[192:195], v185 offset1:1
	s_waitcnt lgkmcnt(0)
	v_cmp_neq_f64_e32 vcc, 0, v[192:193]
	v_cmp_neq_f64_e64 s[2:3], 0, v[194:195]
	s_or_b64 s[2:3], vcc, s[2:3]
	s_and_b64 exec, exec, s[2:3]
	s_cbranch_execz .LBB95_287
; %bb.282:
	v_cmp_ngt_f64_e64 s[2:3], |v[192:193]|, |v[194:195]|
                                        ; implicit-def: $vgpr196_vgpr197
	s_and_saveexec_b64 s[10:11], s[2:3]
	s_xor_b64 s[2:3], exec, s[10:11]
                                        ; implicit-def: $vgpr198_vgpr199
	s_cbranch_execz .LBB95_284
; %bb.283:
	v_div_scale_f64 v[196:197], s[10:11], v[194:195], v[194:195], v[192:193]
	v_rcp_f64_e32 v[198:199], v[196:197]
	v_div_scale_f64 v[200:201], vcc, v[192:193], v[194:195], v[192:193]
	v_fma_f64 v[202:203], -v[196:197], v[198:199], 1.0
	v_fmac_f64_e32 v[198:199], v[198:199], v[202:203]
	v_fma_f64 v[202:203], -v[196:197], v[198:199], 1.0
	v_fmac_f64_e32 v[198:199], v[198:199], v[202:203]
	v_mul_f64 v[202:203], v[200:201], v[198:199]
	v_fma_f64 v[196:197], -v[196:197], v[202:203], v[200:201]
	v_div_fmas_f64 v[196:197], v[196:197], v[198:199], v[202:203]
	v_div_fixup_f64 v[196:197], v[196:197], v[194:195], v[192:193]
	v_fmac_f64_e32 v[194:195], v[192:193], v[196:197]
	v_div_scale_f64 v[192:193], s[10:11], v[194:195], v[194:195], 1.0
	v_rcp_f64_e32 v[198:199], v[192:193]
	s_nop 0
	v_fma_f64 v[200:201], -v[192:193], v[198:199], 1.0
	v_fmac_f64_e32 v[198:199], v[198:199], v[200:201]
	v_fma_f64 v[200:201], -v[192:193], v[198:199], 1.0
	v_fmac_f64_e32 v[198:199], v[198:199], v[200:201]
	v_div_scale_f64 v[200:201], vcc, 1.0, v[194:195], 1.0
	v_mul_f64 v[202:203], v[200:201], v[198:199]
	v_fma_f64 v[192:193], -v[192:193], v[202:203], v[200:201]
	s_nop 1
	v_div_fmas_f64 v[192:193], v[192:193], v[198:199], v[202:203]
	v_div_fixup_f64 v[198:199], v[192:193], v[194:195], 1.0
	v_mul_f64 v[196:197], v[196:197], v[198:199]
	v_xor_b32_e32 v199, 0x80000000, v199
                                        ; implicit-def: $vgpr192_vgpr193
.LBB95_284:
	s_andn2_saveexec_b64 s[2:3], s[2:3]
	s_cbranch_execz .LBB95_286
; %bb.285:
	v_div_scale_f64 v[196:197], s[10:11], v[192:193], v[192:193], v[194:195]
	v_rcp_f64_e32 v[198:199], v[196:197]
	v_div_scale_f64 v[200:201], vcc, v[194:195], v[192:193], v[194:195]
	v_fma_f64 v[202:203], -v[196:197], v[198:199], 1.0
	v_fmac_f64_e32 v[198:199], v[198:199], v[202:203]
	v_fma_f64 v[202:203], -v[196:197], v[198:199], 1.0
	v_fmac_f64_e32 v[198:199], v[198:199], v[202:203]
	v_mul_f64 v[202:203], v[200:201], v[198:199]
	v_fma_f64 v[196:197], -v[196:197], v[202:203], v[200:201]
	v_div_fmas_f64 v[196:197], v[196:197], v[198:199], v[202:203]
	v_div_fixup_f64 v[198:199], v[196:197], v[192:193], v[194:195]
	v_fmac_f64_e32 v[192:193], v[194:195], v[198:199]
	v_div_scale_f64 v[194:195], s[10:11], v[192:193], v[192:193], 1.0
	v_rcp_f64_e32 v[196:197], v[194:195]
	s_nop 0
	v_fma_f64 v[200:201], -v[194:195], v[196:197], 1.0
	v_fmac_f64_e32 v[196:197], v[196:197], v[200:201]
	v_fma_f64 v[200:201], -v[194:195], v[196:197], 1.0
	v_fmac_f64_e32 v[196:197], v[196:197], v[200:201]
	v_div_scale_f64 v[200:201], vcc, 1.0, v[192:193], 1.0
	v_mul_f64 v[202:203], v[200:201], v[196:197]
	v_fma_f64 v[194:195], -v[194:195], v[202:203], v[200:201]
	s_nop 1
	v_div_fmas_f64 v[194:195], v[194:195], v[196:197], v[202:203]
	v_div_fixup_f64 v[196:197], v[194:195], v[192:193], 1.0
	v_mul_f64 v[198:199], v[198:199], -v[196:197]
.LBB95_286:
	s_or_b64 exec, exec, s[2:3]
	ds_write2_b64 v185, v[196:197], v[198:199] offset1:1
.LBB95_287:
	s_or_b64 exec, exec, s[4:5]
	s_waitcnt lgkmcnt(0)
	s_barrier
	ds_read2_b64 v[192:195], v185 offset1:1
	v_cmp_lt_u32_e32 vcc, 31, v184
	s_waitcnt lgkmcnt(0)
	scratch_store_dwordx4 off, v[192:195], off offset:896 ; 16-byte Folded Spill
	s_and_saveexec_b64 s[2:3], vcc
	s_cbranch_execz .LBB95_289
; %bb.288:
	scratch_load_dwordx4 v[194:197], off, off offset:896 ; 16-byte Folded Reload
	s_waitcnt vmcnt(0)
	v_mul_f64 v[192:193], v[194:195], v[62:63]
	v_mul_f64 v[62:63], v[196:197], v[62:63]
	v_fmac_f64_e32 v[192:193], v[196:197], v[60:61]
	v_fma_f64 v[60:61], v[194:195], v[60:61], -v[62:63]
	ds_read2_b64 v[194:197], v186 offset0:64 offset1:65
	s_waitcnt lgkmcnt(0)
	v_mul_f64 v[62:63], v[196:197], v[192:193]
	v_fma_f64 v[62:63], v[194:195], v[60:61], -v[62:63]
	v_mul_f64 v[194:195], v[194:195], v[192:193]
	v_fmac_f64_e32 v[194:195], v[196:197], v[60:61]
	v_add_f64 v[58:59], v[58:59], -v[194:195]
	ds_read2_b64 v[194:197], v186 offset0:66 offset1:67
	v_add_f64 v[56:57], v[56:57], -v[62:63]
	s_waitcnt lgkmcnt(0)
	v_mul_f64 v[62:63], v[196:197], v[192:193]
	v_fma_f64 v[62:63], v[194:195], v[60:61], -v[62:63]
	v_mul_f64 v[194:195], v[194:195], v[192:193]
	v_fmac_f64_e32 v[194:195], v[196:197], v[60:61]
	v_add_f64 v[54:55], v[54:55], -v[194:195]
	ds_read2_b64 v[194:197], v186 offset0:68 offset1:69
	v_add_f64 v[52:53], v[52:53], -v[62:63]
	;; [unrolled: 8-line block ×15, first 2 shown]
	s_waitcnt lgkmcnt(0)
	v_mul_f64 v[62:63], v[196:197], v[192:193]
	v_fma_f64 v[62:63], v[194:195], v[60:61], -v[62:63]
	v_mul_f64 v[194:195], v[194:195], v[192:193]
	v_fmac_f64_e32 v[194:195], v[196:197], v[60:61]
	v_add_f64 v[188:189], v[188:189], -v[62:63]
	v_add_f64 v[190:191], v[190:191], -v[194:195]
	v_mov_b64_e32 v[62:63], v[192:193]
.LBB95_289:
	s_or_b64 exec, exec, s[2:3]
	v_cmp_eq_u32_e32 vcc, 32, v184
	s_waitcnt vmcnt(63) expcnt(7) lgkmcnt(15)
	s_barrier
	s_and_saveexec_b64 s[4:5], vcc
	s_cbranch_execz .LBB95_296
; %bb.290:
	s_waitcnt vmcnt(61)
	ds_write2_b64 v185, v[56:57], v[58:59] offset1:1
	s_waitcnt vmcnt(60)
	ds_write2_b64 v186, v[52:53], v[54:55] offset0:66 offset1:67
	s_waitcnt vmcnt(59)
	ds_write2_b64 v186, v[48:49], v[50:51] offset0:68 offset1:69
	;; [unrolled: 2-line block ×12, first 2 shown]
	ds_write2_b64 v186, v[4:5], v[6:7] offset0:90 offset1:91
	ds_write2_b64 v186, v[0:1], v[2:3] offset0:92 offset1:93
	s_waitcnt vmcnt(47)
	ds_write2_b64 v186, v[188:189], v[190:191] offset0:94 offset1:95
	ds_read2_b64 v[192:195], v185 offset1:1
	s_waitcnt lgkmcnt(0)
	v_cmp_neq_f64_e32 vcc, 0, v[192:193]
	v_cmp_neq_f64_e64 s[2:3], 0, v[194:195]
	s_or_b64 s[2:3], vcc, s[2:3]
	s_and_b64 exec, exec, s[2:3]
	s_cbranch_execz .LBB95_296
; %bb.291:
	v_cmp_ngt_f64_e64 s[2:3], |v[192:193]|, |v[194:195]|
                                        ; implicit-def: $vgpr196_vgpr197
	s_and_saveexec_b64 s[10:11], s[2:3]
	s_xor_b64 s[2:3], exec, s[10:11]
                                        ; implicit-def: $vgpr198_vgpr199
	s_cbranch_execz .LBB95_293
; %bb.292:
	v_div_scale_f64 v[196:197], s[10:11], v[194:195], v[194:195], v[192:193]
	v_rcp_f64_e32 v[198:199], v[196:197]
	v_div_scale_f64 v[200:201], vcc, v[192:193], v[194:195], v[192:193]
	v_fma_f64 v[202:203], -v[196:197], v[198:199], 1.0
	v_fmac_f64_e32 v[198:199], v[198:199], v[202:203]
	v_fma_f64 v[202:203], -v[196:197], v[198:199], 1.0
	v_fmac_f64_e32 v[198:199], v[198:199], v[202:203]
	v_mul_f64 v[202:203], v[200:201], v[198:199]
	v_fma_f64 v[196:197], -v[196:197], v[202:203], v[200:201]
	v_div_fmas_f64 v[196:197], v[196:197], v[198:199], v[202:203]
	v_div_fixup_f64 v[196:197], v[196:197], v[194:195], v[192:193]
	v_fmac_f64_e32 v[194:195], v[192:193], v[196:197]
	v_div_scale_f64 v[192:193], s[10:11], v[194:195], v[194:195], 1.0
	v_rcp_f64_e32 v[198:199], v[192:193]
	s_nop 0
	v_fma_f64 v[200:201], -v[192:193], v[198:199], 1.0
	v_fmac_f64_e32 v[198:199], v[198:199], v[200:201]
	v_fma_f64 v[200:201], -v[192:193], v[198:199], 1.0
	v_fmac_f64_e32 v[198:199], v[198:199], v[200:201]
	v_div_scale_f64 v[200:201], vcc, 1.0, v[194:195], 1.0
	v_mul_f64 v[202:203], v[200:201], v[198:199]
	v_fma_f64 v[192:193], -v[192:193], v[202:203], v[200:201]
	s_nop 1
	v_div_fmas_f64 v[192:193], v[192:193], v[198:199], v[202:203]
	v_div_fixup_f64 v[198:199], v[192:193], v[194:195], 1.0
	v_mul_f64 v[196:197], v[196:197], v[198:199]
	v_xor_b32_e32 v199, 0x80000000, v199
                                        ; implicit-def: $vgpr192_vgpr193
.LBB95_293:
	s_andn2_saveexec_b64 s[2:3], s[2:3]
	s_cbranch_execz .LBB95_295
; %bb.294:
	v_div_scale_f64 v[196:197], s[10:11], v[192:193], v[192:193], v[194:195]
	v_rcp_f64_e32 v[198:199], v[196:197]
	v_div_scale_f64 v[200:201], vcc, v[194:195], v[192:193], v[194:195]
	v_fma_f64 v[202:203], -v[196:197], v[198:199], 1.0
	v_fmac_f64_e32 v[198:199], v[198:199], v[202:203]
	v_fma_f64 v[202:203], -v[196:197], v[198:199], 1.0
	v_fmac_f64_e32 v[198:199], v[198:199], v[202:203]
	v_mul_f64 v[202:203], v[200:201], v[198:199]
	v_fma_f64 v[196:197], -v[196:197], v[202:203], v[200:201]
	v_div_fmas_f64 v[196:197], v[196:197], v[198:199], v[202:203]
	v_div_fixup_f64 v[198:199], v[196:197], v[192:193], v[194:195]
	v_fmac_f64_e32 v[192:193], v[194:195], v[198:199]
	v_div_scale_f64 v[194:195], s[10:11], v[192:193], v[192:193], 1.0
	v_rcp_f64_e32 v[196:197], v[194:195]
	s_nop 0
	v_fma_f64 v[200:201], -v[194:195], v[196:197], 1.0
	v_fmac_f64_e32 v[196:197], v[196:197], v[200:201]
	v_fma_f64 v[200:201], -v[194:195], v[196:197], 1.0
	v_fmac_f64_e32 v[196:197], v[196:197], v[200:201]
	v_div_scale_f64 v[200:201], vcc, 1.0, v[192:193], 1.0
	v_mul_f64 v[202:203], v[200:201], v[196:197]
	v_fma_f64 v[194:195], -v[194:195], v[202:203], v[200:201]
	s_nop 1
	v_div_fmas_f64 v[194:195], v[194:195], v[196:197], v[202:203]
	v_div_fixup_f64 v[196:197], v[194:195], v[192:193], 1.0
	v_mul_f64 v[198:199], v[198:199], -v[196:197]
.LBB95_295:
	s_or_b64 exec, exec, s[2:3]
	ds_write2_b64 v185, v[196:197], v[198:199] offset1:1
.LBB95_296:
	s_or_b64 exec, exec, s[4:5]
	s_waitcnt lgkmcnt(0)
	s_barrier
	ds_read2_b64 v[192:195], v185 offset1:1
	v_cmp_lt_u32_e32 vcc, 32, v184
	s_waitcnt lgkmcnt(0)
	scratch_store_dwordx4 off, v[192:195], off offset:912 ; 16-byte Folded Spill
	s_and_saveexec_b64 s[2:3], vcc
	s_cbranch_execz .LBB95_298
; %bb.297:
	scratch_load_dwordx4 v[192:195], off, off offset:912 ; 16-byte Folded Reload
	ds_read2_b64 v[198:201], v186 offset0:66 offset1:67
	s_waitcnt vmcnt(0)
	v_mul_f64 v[196:197], v[192:193], v[58:59]
	v_fmac_f64_e32 v[196:197], v[194:195], v[56:57]
	v_mul_f64 v[58:59], v[194:195], v[58:59]
	v_fma_f64 v[56:57], v[192:193], v[56:57], -v[58:59]
	s_waitcnt lgkmcnt(0)
	v_mul_f64 v[58:59], v[200:201], v[196:197]
	v_fma_f64 v[58:59], v[198:199], v[56:57], -v[58:59]
	v_mul_f64 v[198:199], v[198:199], v[196:197]
	v_fmac_f64_e32 v[198:199], v[200:201], v[56:57]
	v_add_f64 v[54:55], v[54:55], -v[198:199]
	ds_read2_b64 v[198:201], v186 offset0:68 offset1:69
	v_add_f64 v[52:53], v[52:53], -v[58:59]
	s_waitcnt lgkmcnt(0)
	v_mul_f64 v[58:59], v[200:201], v[196:197]
	v_fma_f64 v[58:59], v[198:199], v[56:57], -v[58:59]
	v_mul_f64 v[198:199], v[198:199], v[196:197]
	v_fmac_f64_e32 v[198:199], v[200:201], v[56:57]
	v_add_f64 v[50:51], v[50:51], -v[198:199]
	ds_read2_b64 v[198:201], v186 offset0:70 offset1:71
	v_add_f64 v[48:49], v[48:49], -v[58:59]
	;; [unrolled: 8-line block ×14, first 2 shown]
	s_waitcnt lgkmcnt(0)
	v_mul_f64 v[58:59], v[200:201], v[196:197]
	v_fma_f64 v[58:59], v[198:199], v[56:57], -v[58:59]
	v_mul_f64 v[198:199], v[198:199], v[196:197]
	v_fmac_f64_e32 v[198:199], v[200:201], v[56:57]
	v_add_f64 v[188:189], v[188:189], -v[58:59]
	v_add_f64 v[190:191], v[190:191], -v[198:199]
	v_mov_b64_e32 v[58:59], v[196:197]
.LBB95_298:
	s_or_b64 exec, exec, s[2:3]
	v_cmp_eq_u32_e32 vcc, 33, v184
	s_waitcnt vmcnt(63) expcnt(7) lgkmcnt(15)
	s_barrier
	s_and_saveexec_b64 s[4:5], vcc
	s_cbranch_execz .LBB95_305
; %bb.299:
	s_waitcnt vmcnt(61)
	ds_write2_b64 v185, v[52:53], v[54:55] offset1:1
	s_waitcnt vmcnt(60)
	ds_write2_b64 v186, v[48:49], v[50:51] offset0:68 offset1:69
	s_waitcnt vmcnt(59)
	ds_write2_b64 v186, v[44:45], v[46:47] offset0:70 offset1:71
	;; [unrolled: 2-line block ×11, first 2 shown]
	ds_write2_b64 v186, v[4:5], v[6:7] offset0:90 offset1:91
	ds_write2_b64 v186, v[0:1], v[2:3] offset0:92 offset1:93
	s_waitcnt vmcnt(48)
	ds_write2_b64 v186, v[188:189], v[190:191] offset0:94 offset1:95
	ds_read2_b64 v[196:199], v185 offset1:1
	s_waitcnt lgkmcnt(0)
	v_cmp_neq_f64_e32 vcc, 0, v[196:197]
	v_cmp_neq_f64_e64 s[2:3], 0, v[198:199]
	s_or_b64 s[2:3], vcc, s[2:3]
	s_and_b64 exec, exec, s[2:3]
	s_cbranch_execz .LBB95_305
; %bb.300:
	v_cmp_ngt_f64_e64 s[2:3], |v[196:197]|, |v[198:199]|
                                        ; implicit-def: $vgpr200_vgpr201
	s_and_saveexec_b64 s[10:11], s[2:3]
	s_xor_b64 s[2:3], exec, s[10:11]
                                        ; implicit-def: $vgpr202_vgpr203
	s_cbranch_execz .LBB95_302
; %bb.301:
	v_div_scale_f64 v[200:201], s[10:11], v[198:199], v[198:199], v[196:197]
	v_rcp_f64_e32 v[202:203], v[200:201]
	v_div_scale_f64 v[204:205], vcc, v[196:197], v[198:199], v[196:197]
	v_fma_f64 v[206:207], -v[200:201], v[202:203], 1.0
	v_fmac_f64_e32 v[202:203], v[202:203], v[206:207]
	v_fma_f64 v[206:207], -v[200:201], v[202:203], 1.0
	v_fmac_f64_e32 v[202:203], v[202:203], v[206:207]
	v_mul_f64 v[206:207], v[204:205], v[202:203]
	v_fma_f64 v[200:201], -v[200:201], v[206:207], v[204:205]
	v_div_fmas_f64 v[200:201], v[200:201], v[202:203], v[206:207]
	v_div_fixup_f64 v[200:201], v[200:201], v[198:199], v[196:197]
	v_fmac_f64_e32 v[198:199], v[196:197], v[200:201]
	v_div_scale_f64 v[196:197], s[10:11], v[198:199], v[198:199], 1.0
	v_rcp_f64_e32 v[202:203], v[196:197]
	s_nop 0
	v_fma_f64 v[204:205], -v[196:197], v[202:203], 1.0
	v_fmac_f64_e32 v[202:203], v[202:203], v[204:205]
	v_fma_f64 v[204:205], -v[196:197], v[202:203], 1.0
	v_fmac_f64_e32 v[202:203], v[202:203], v[204:205]
	v_div_scale_f64 v[204:205], vcc, 1.0, v[198:199], 1.0
	v_mul_f64 v[206:207], v[204:205], v[202:203]
	v_fma_f64 v[196:197], -v[196:197], v[206:207], v[204:205]
	s_nop 1
	v_div_fmas_f64 v[196:197], v[196:197], v[202:203], v[206:207]
	v_div_fixup_f64 v[202:203], v[196:197], v[198:199], 1.0
	v_mul_f64 v[200:201], v[200:201], v[202:203]
	v_xor_b32_e32 v203, 0x80000000, v203
                                        ; implicit-def: $vgpr196_vgpr197
.LBB95_302:
	s_andn2_saveexec_b64 s[2:3], s[2:3]
	s_cbranch_execz .LBB95_304
; %bb.303:
	v_div_scale_f64 v[200:201], s[10:11], v[196:197], v[196:197], v[198:199]
	v_rcp_f64_e32 v[202:203], v[200:201]
	v_div_scale_f64 v[204:205], vcc, v[198:199], v[196:197], v[198:199]
	v_fma_f64 v[206:207], -v[200:201], v[202:203], 1.0
	v_fmac_f64_e32 v[202:203], v[202:203], v[206:207]
	v_fma_f64 v[206:207], -v[200:201], v[202:203], 1.0
	v_fmac_f64_e32 v[202:203], v[202:203], v[206:207]
	v_mul_f64 v[206:207], v[204:205], v[202:203]
	v_fma_f64 v[200:201], -v[200:201], v[206:207], v[204:205]
	v_div_fmas_f64 v[200:201], v[200:201], v[202:203], v[206:207]
	v_div_fixup_f64 v[202:203], v[200:201], v[196:197], v[198:199]
	v_fmac_f64_e32 v[196:197], v[198:199], v[202:203]
	v_div_scale_f64 v[198:199], s[10:11], v[196:197], v[196:197], 1.0
	v_rcp_f64_e32 v[200:201], v[198:199]
	s_nop 0
	v_fma_f64 v[204:205], -v[198:199], v[200:201], 1.0
	v_fmac_f64_e32 v[200:201], v[200:201], v[204:205]
	v_fma_f64 v[204:205], -v[198:199], v[200:201], 1.0
	v_fmac_f64_e32 v[200:201], v[200:201], v[204:205]
	v_div_scale_f64 v[204:205], vcc, 1.0, v[196:197], 1.0
	v_mul_f64 v[206:207], v[204:205], v[200:201]
	v_fma_f64 v[198:199], -v[198:199], v[206:207], v[204:205]
	s_nop 1
	v_div_fmas_f64 v[198:199], v[198:199], v[200:201], v[206:207]
	v_div_fixup_f64 v[200:201], v[198:199], v[196:197], 1.0
	v_mul_f64 v[202:203], v[202:203], -v[200:201]
.LBB95_304:
	s_or_b64 exec, exec, s[2:3]
	ds_write2_b64 v185, v[200:201], v[202:203] offset1:1
.LBB95_305:
	s_or_b64 exec, exec, s[4:5]
	s_waitcnt lgkmcnt(0)
	s_barrier
	ds_read2_b64 v[196:199], v185 offset1:1
	v_cmp_lt_u32_e32 vcc, 33, v184
	s_and_saveexec_b64 s[2:3], vcc
	s_cbranch_execz .LBB95_307
; %bb.306:
	ds_read2_b64 v[202:205], v186 offset0:68 offset1:69
	s_waitcnt vmcnt(61) lgkmcnt(1)
	v_mul_f64 v[200:201], v[196:197], v[54:55]
	v_fmac_f64_e32 v[200:201], v[198:199], v[52:53]
	v_mul_f64 v[54:55], v[198:199], v[54:55]
	v_fma_f64 v[52:53], v[196:197], v[52:53], -v[54:55]
	s_waitcnt lgkmcnt(0)
	v_mul_f64 v[54:55], v[204:205], v[200:201]
	v_fma_f64 v[54:55], v[202:203], v[52:53], -v[54:55]
	v_mul_f64 v[202:203], v[202:203], v[200:201]
	v_fmac_f64_e32 v[202:203], v[204:205], v[52:53]
	s_waitcnt vmcnt(60)
	v_add_f64 v[50:51], v[50:51], -v[202:203]
	ds_read2_b64 v[202:205], v186 offset0:70 offset1:71
	v_add_f64 v[48:49], v[48:49], -v[54:55]
	s_waitcnt lgkmcnt(0)
	v_mul_f64 v[54:55], v[204:205], v[200:201]
	v_fma_f64 v[54:55], v[202:203], v[52:53], -v[54:55]
	v_mul_f64 v[202:203], v[202:203], v[200:201]
	v_fmac_f64_e32 v[202:203], v[204:205], v[52:53]
	s_waitcnt vmcnt(59)
	v_add_f64 v[46:47], v[46:47], -v[202:203]
	ds_read2_b64 v[202:205], v186 offset0:72 offset1:73
	v_add_f64 v[44:45], v[44:45], -v[54:55]
	;; [unrolled: 9-line block ×11, first 2 shown]
	s_waitcnt lgkmcnt(0)
	v_mul_f64 v[54:55], v[204:205], v[200:201]
	v_fma_f64 v[54:55], v[202:203], v[52:53], -v[54:55]
	v_mul_f64 v[202:203], v[202:203], v[200:201]
	v_fmac_f64_e32 v[202:203], v[204:205], v[52:53]
	v_add_f64 v[6:7], v[6:7], -v[202:203]
	ds_read2_b64 v[202:205], v186 offset0:92 offset1:93
	v_add_f64 v[4:5], v[4:5], -v[54:55]
	s_waitcnt lgkmcnt(0)
	v_mul_f64 v[54:55], v[204:205], v[200:201]
	v_fma_f64 v[54:55], v[202:203], v[52:53], -v[54:55]
	v_mul_f64 v[202:203], v[202:203], v[200:201]
	v_fmac_f64_e32 v[202:203], v[204:205], v[52:53]
	v_add_f64 v[2:3], v[2:3], -v[202:203]
	ds_read2_b64 v[202:205], v186 offset0:94 offset1:95
	v_add_f64 v[0:1], v[0:1], -v[54:55]
	s_waitcnt lgkmcnt(0)
	v_mul_f64 v[54:55], v[204:205], v[200:201]
	v_fma_f64 v[54:55], v[202:203], v[52:53], -v[54:55]
	v_mul_f64 v[202:203], v[202:203], v[200:201]
	v_fmac_f64_e32 v[202:203], v[204:205], v[52:53]
	s_waitcnt vmcnt(48)
	v_add_f64 v[188:189], v[188:189], -v[54:55]
	v_add_f64 v[190:191], v[190:191], -v[202:203]
	v_mov_b64_e32 v[54:55], v[200:201]
.LBB95_307:
	s_or_b64 exec, exec, s[2:3]
	v_cmp_eq_u32_e32 vcc, 34, v184
	s_waitcnt lgkmcnt(0)
	s_barrier
	s_and_saveexec_b64 s[4:5], vcc
	s_cbranch_execz .LBB95_314
; %bb.308:
	s_waitcnt vmcnt(60)
	ds_write2_b64 v185, v[48:49], v[50:51] offset1:1
	s_waitcnt vmcnt(59)
	ds_write2_b64 v186, v[44:45], v[46:47] offset0:70 offset1:71
	s_waitcnt vmcnt(58)
	ds_write2_b64 v186, v[40:41], v[42:43] offset0:72 offset1:73
	s_waitcnt vmcnt(57)
	ds_write2_b64 v186, v[36:37], v[38:39] offset0:74 offset1:75
	s_waitcnt vmcnt(56)
	ds_write2_b64 v186, v[32:33], v[34:35] offset0:76 offset1:77
	s_waitcnt vmcnt(55)
	ds_write2_b64 v186, v[28:29], v[30:31] offset0:78 offset1:79
	s_waitcnt vmcnt(54)
	ds_write2_b64 v186, v[24:25], v[26:27] offset0:80 offset1:81
	s_waitcnt vmcnt(53)
	ds_write2_b64 v186, v[20:21], v[22:23] offset0:82 offset1:83
	s_waitcnt vmcnt(52)
	ds_write2_b64 v186, v[16:17], v[18:19] offset0:84 offset1:85
	s_waitcnt vmcnt(51)
	ds_write2_b64 v186, v[12:13], v[14:15] offset0:86 offset1:87
	s_waitcnt vmcnt(50)
	ds_write2_b64 v186, v[8:9], v[10:11] offset0:88 offset1:89
	ds_write2_b64 v186, v[4:5], v[6:7] offset0:90 offset1:91
	ds_write2_b64 v186, v[0:1], v[2:3] offset0:92 offset1:93
	s_waitcnt vmcnt(48)
	ds_write2_b64 v186, v[188:189], v[190:191] offset0:94 offset1:95
	ds_read2_b64 v[200:203], v185 offset1:1
	s_waitcnt lgkmcnt(0)
	v_cmp_neq_f64_e32 vcc, 0, v[200:201]
	v_cmp_neq_f64_e64 s[2:3], 0, v[202:203]
	s_or_b64 s[2:3], vcc, s[2:3]
	s_and_b64 exec, exec, s[2:3]
	s_cbranch_execz .LBB95_314
; %bb.309:
	v_cmp_ngt_f64_e64 s[2:3], |v[200:201]|, |v[202:203]|
                                        ; implicit-def: $vgpr204_vgpr205
	s_and_saveexec_b64 s[10:11], s[2:3]
	s_xor_b64 s[2:3], exec, s[10:11]
                                        ; implicit-def: $vgpr206_vgpr207
	s_cbranch_execz .LBB95_311
; %bb.310:
	v_div_scale_f64 v[204:205], s[10:11], v[202:203], v[202:203], v[200:201]
	v_rcp_f64_e32 v[206:207], v[204:205]
	v_div_scale_f64 v[208:209], vcc, v[200:201], v[202:203], v[200:201]
	v_fma_f64 v[210:211], -v[204:205], v[206:207], 1.0
	v_fmac_f64_e32 v[206:207], v[206:207], v[210:211]
	v_fma_f64 v[210:211], -v[204:205], v[206:207], 1.0
	v_fmac_f64_e32 v[206:207], v[206:207], v[210:211]
	v_mul_f64 v[210:211], v[208:209], v[206:207]
	v_fma_f64 v[204:205], -v[204:205], v[210:211], v[208:209]
	v_div_fmas_f64 v[204:205], v[204:205], v[206:207], v[210:211]
	v_div_fixup_f64 v[204:205], v[204:205], v[202:203], v[200:201]
	v_fmac_f64_e32 v[202:203], v[200:201], v[204:205]
	v_div_scale_f64 v[200:201], s[10:11], v[202:203], v[202:203], 1.0
	v_rcp_f64_e32 v[206:207], v[200:201]
	s_nop 0
	v_fma_f64 v[208:209], -v[200:201], v[206:207], 1.0
	v_fmac_f64_e32 v[206:207], v[206:207], v[208:209]
	v_fma_f64 v[208:209], -v[200:201], v[206:207], 1.0
	v_fmac_f64_e32 v[206:207], v[206:207], v[208:209]
	v_div_scale_f64 v[208:209], vcc, 1.0, v[202:203], 1.0
	v_mul_f64 v[210:211], v[208:209], v[206:207]
	v_fma_f64 v[200:201], -v[200:201], v[210:211], v[208:209]
	s_nop 1
	v_div_fmas_f64 v[200:201], v[200:201], v[206:207], v[210:211]
	v_div_fixup_f64 v[206:207], v[200:201], v[202:203], 1.0
	v_mul_f64 v[204:205], v[204:205], v[206:207]
	v_xor_b32_e32 v207, 0x80000000, v207
                                        ; implicit-def: $vgpr200_vgpr201
.LBB95_311:
	s_andn2_saveexec_b64 s[2:3], s[2:3]
	s_cbranch_execz .LBB95_313
; %bb.312:
	v_div_scale_f64 v[204:205], s[10:11], v[200:201], v[200:201], v[202:203]
	v_rcp_f64_e32 v[206:207], v[204:205]
	v_div_scale_f64 v[208:209], vcc, v[202:203], v[200:201], v[202:203]
	v_fma_f64 v[210:211], -v[204:205], v[206:207], 1.0
	v_fmac_f64_e32 v[206:207], v[206:207], v[210:211]
	v_fma_f64 v[210:211], -v[204:205], v[206:207], 1.0
	v_fmac_f64_e32 v[206:207], v[206:207], v[210:211]
	v_mul_f64 v[210:211], v[208:209], v[206:207]
	v_fma_f64 v[204:205], -v[204:205], v[210:211], v[208:209]
	v_div_fmas_f64 v[204:205], v[204:205], v[206:207], v[210:211]
	v_div_fixup_f64 v[206:207], v[204:205], v[200:201], v[202:203]
	v_fmac_f64_e32 v[200:201], v[202:203], v[206:207]
	v_div_scale_f64 v[202:203], s[10:11], v[200:201], v[200:201], 1.0
	v_rcp_f64_e32 v[204:205], v[202:203]
	s_nop 0
	v_fma_f64 v[208:209], -v[202:203], v[204:205], 1.0
	v_fmac_f64_e32 v[204:205], v[204:205], v[208:209]
	v_fma_f64 v[208:209], -v[202:203], v[204:205], 1.0
	v_fmac_f64_e32 v[204:205], v[204:205], v[208:209]
	v_div_scale_f64 v[208:209], vcc, 1.0, v[200:201], 1.0
	v_mul_f64 v[210:211], v[208:209], v[204:205]
	v_fma_f64 v[202:203], -v[202:203], v[210:211], v[208:209]
	s_nop 1
	v_div_fmas_f64 v[202:203], v[202:203], v[204:205], v[210:211]
	v_div_fixup_f64 v[204:205], v[202:203], v[200:201], 1.0
	v_mul_f64 v[206:207], v[206:207], -v[204:205]
.LBB95_313:
	s_or_b64 exec, exec, s[2:3]
	ds_write2_b64 v185, v[204:205], v[206:207] offset1:1
.LBB95_314:
	s_or_b64 exec, exec, s[4:5]
	s_waitcnt lgkmcnt(0)
	s_barrier
	ds_read2_b64 v[200:203], v185 offset1:1
	v_cmp_lt_u32_e32 vcc, 34, v184
	s_and_saveexec_b64 s[2:3], vcc
	s_cbranch_execz .LBB95_316
; %bb.315:
	ds_read2_b64 v[206:209], v186 offset0:70 offset1:71
	s_waitcnt vmcnt(60) lgkmcnt(1)
	v_mul_f64 v[204:205], v[200:201], v[50:51]
	v_fmac_f64_e32 v[204:205], v[202:203], v[48:49]
	v_mul_f64 v[50:51], v[202:203], v[50:51]
	v_fma_f64 v[48:49], v[200:201], v[48:49], -v[50:51]
	s_waitcnt lgkmcnt(0)
	v_mul_f64 v[50:51], v[208:209], v[204:205]
	v_fma_f64 v[50:51], v[206:207], v[48:49], -v[50:51]
	v_mul_f64 v[206:207], v[206:207], v[204:205]
	v_fmac_f64_e32 v[206:207], v[208:209], v[48:49]
	s_waitcnt vmcnt(59)
	v_add_f64 v[46:47], v[46:47], -v[206:207]
	ds_read2_b64 v[206:209], v186 offset0:72 offset1:73
	v_add_f64 v[44:45], v[44:45], -v[50:51]
	s_waitcnt lgkmcnt(0)
	v_mul_f64 v[50:51], v[208:209], v[204:205]
	v_fma_f64 v[50:51], v[206:207], v[48:49], -v[50:51]
	v_mul_f64 v[206:207], v[206:207], v[204:205]
	v_fmac_f64_e32 v[206:207], v[208:209], v[48:49]
	s_waitcnt vmcnt(58)
	v_add_f64 v[42:43], v[42:43], -v[206:207]
	ds_read2_b64 v[206:209], v186 offset0:74 offset1:75
	v_add_f64 v[40:41], v[40:41], -v[50:51]
	;; [unrolled: 9-line block ×10, first 2 shown]
	s_waitcnt lgkmcnt(0)
	v_mul_f64 v[50:51], v[208:209], v[204:205]
	v_fma_f64 v[50:51], v[206:207], v[48:49], -v[50:51]
	v_mul_f64 v[206:207], v[206:207], v[204:205]
	v_fmac_f64_e32 v[206:207], v[208:209], v[48:49]
	v_add_f64 v[6:7], v[6:7], -v[206:207]
	ds_read2_b64 v[206:209], v186 offset0:92 offset1:93
	v_add_f64 v[4:5], v[4:5], -v[50:51]
	s_waitcnt lgkmcnt(0)
	v_mul_f64 v[50:51], v[208:209], v[204:205]
	v_fma_f64 v[50:51], v[206:207], v[48:49], -v[50:51]
	v_mul_f64 v[206:207], v[206:207], v[204:205]
	v_fmac_f64_e32 v[206:207], v[208:209], v[48:49]
	v_add_f64 v[2:3], v[2:3], -v[206:207]
	ds_read2_b64 v[206:209], v186 offset0:94 offset1:95
	v_add_f64 v[0:1], v[0:1], -v[50:51]
	s_waitcnt lgkmcnt(0)
	v_mul_f64 v[50:51], v[208:209], v[204:205]
	v_fma_f64 v[50:51], v[206:207], v[48:49], -v[50:51]
	v_mul_f64 v[206:207], v[206:207], v[204:205]
	v_fmac_f64_e32 v[206:207], v[208:209], v[48:49]
	s_waitcnt vmcnt(48)
	v_add_f64 v[188:189], v[188:189], -v[50:51]
	v_add_f64 v[190:191], v[190:191], -v[206:207]
	v_mov_b64_e32 v[50:51], v[204:205]
.LBB95_316:
	s_or_b64 exec, exec, s[2:3]
	v_cmp_eq_u32_e32 vcc, 35, v184
	s_waitcnt lgkmcnt(0)
	s_barrier
	s_and_saveexec_b64 s[4:5], vcc
	s_cbranch_execz .LBB95_323
; %bb.317:
	s_waitcnt vmcnt(59)
	ds_write2_b64 v185, v[44:45], v[46:47] offset1:1
	s_waitcnt vmcnt(58)
	ds_write2_b64 v186, v[40:41], v[42:43] offset0:72 offset1:73
	s_waitcnt vmcnt(57)
	ds_write2_b64 v186, v[36:37], v[38:39] offset0:74 offset1:75
	;; [unrolled: 2-line block ×9, first 2 shown]
	ds_write2_b64 v186, v[4:5], v[6:7] offset0:90 offset1:91
	ds_write2_b64 v186, v[0:1], v[2:3] offset0:92 offset1:93
	s_waitcnt vmcnt(48)
	ds_write2_b64 v186, v[188:189], v[190:191] offset0:94 offset1:95
	ds_read2_b64 v[204:207], v185 offset1:1
	s_waitcnt lgkmcnt(0)
	v_cmp_neq_f64_e32 vcc, 0, v[204:205]
	v_cmp_neq_f64_e64 s[2:3], 0, v[206:207]
	s_or_b64 s[2:3], vcc, s[2:3]
	s_and_b64 exec, exec, s[2:3]
	s_cbranch_execz .LBB95_323
; %bb.318:
	v_cmp_ngt_f64_e64 s[2:3], |v[204:205]|, |v[206:207]|
                                        ; implicit-def: $vgpr208_vgpr209
	s_and_saveexec_b64 s[10:11], s[2:3]
	s_xor_b64 s[2:3], exec, s[10:11]
                                        ; implicit-def: $vgpr210_vgpr211
	s_cbranch_execz .LBB95_320
; %bb.319:
	v_div_scale_f64 v[208:209], s[10:11], v[206:207], v[206:207], v[204:205]
	v_rcp_f64_e32 v[210:211], v[208:209]
	v_div_scale_f64 v[212:213], vcc, v[204:205], v[206:207], v[204:205]
	v_fma_f64 v[214:215], -v[208:209], v[210:211], 1.0
	v_fmac_f64_e32 v[210:211], v[210:211], v[214:215]
	v_fma_f64 v[214:215], -v[208:209], v[210:211], 1.0
	v_fmac_f64_e32 v[210:211], v[210:211], v[214:215]
	v_mul_f64 v[214:215], v[212:213], v[210:211]
	v_fma_f64 v[208:209], -v[208:209], v[214:215], v[212:213]
	v_div_fmas_f64 v[208:209], v[208:209], v[210:211], v[214:215]
	v_div_fixup_f64 v[208:209], v[208:209], v[206:207], v[204:205]
	v_fmac_f64_e32 v[206:207], v[204:205], v[208:209]
	v_div_scale_f64 v[204:205], s[10:11], v[206:207], v[206:207], 1.0
	v_rcp_f64_e32 v[210:211], v[204:205]
	s_nop 0
	v_fma_f64 v[212:213], -v[204:205], v[210:211], 1.0
	v_fmac_f64_e32 v[210:211], v[210:211], v[212:213]
	v_fma_f64 v[212:213], -v[204:205], v[210:211], 1.0
	v_fmac_f64_e32 v[210:211], v[210:211], v[212:213]
	v_div_scale_f64 v[212:213], vcc, 1.0, v[206:207], 1.0
	v_mul_f64 v[214:215], v[212:213], v[210:211]
	v_fma_f64 v[204:205], -v[204:205], v[214:215], v[212:213]
	s_nop 1
	v_div_fmas_f64 v[204:205], v[204:205], v[210:211], v[214:215]
	v_div_fixup_f64 v[210:211], v[204:205], v[206:207], 1.0
	v_mul_f64 v[208:209], v[208:209], v[210:211]
	v_xor_b32_e32 v211, 0x80000000, v211
                                        ; implicit-def: $vgpr204_vgpr205
.LBB95_320:
	s_andn2_saveexec_b64 s[2:3], s[2:3]
	s_cbranch_execz .LBB95_322
; %bb.321:
	v_div_scale_f64 v[208:209], s[10:11], v[204:205], v[204:205], v[206:207]
	v_rcp_f64_e32 v[210:211], v[208:209]
	v_div_scale_f64 v[212:213], vcc, v[206:207], v[204:205], v[206:207]
	v_fma_f64 v[214:215], -v[208:209], v[210:211], 1.0
	v_fmac_f64_e32 v[210:211], v[210:211], v[214:215]
	v_fma_f64 v[214:215], -v[208:209], v[210:211], 1.0
	v_fmac_f64_e32 v[210:211], v[210:211], v[214:215]
	v_mul_f64 v[214:215], v[212:213], v[210:211]
	v_fma_f64 v[208:209], -v[208:209], v[214:215], v[212:213]
	v_div_fmas_f64 v[208:209], v[208:209], v[210:211], v[214:215]
	v_div_fixup_f64 v[210:211], v[208:209], v[204:205], v[206:207]
	v_fmac_f64_e32 v[204:205], v[206:207], v[210:211]
	v_div_scale_f64 v[206:207], s[10:11], v[204:205], v[204:205], 1.0
	v_rcp_f64_e32 v[208:209], v[206:207]
	s_nop 0
	v_fma_f64 v[212:213], -v[206:207], v[208:209], 1.0
	v_fmac_f64_e32 v[208:209], v[208:209], v[212:213]
	v_fma_f64 v[212:213], -v[206:207], v[208:209], 1.0
	v_fmac_f64_e32 v[208:209], v[208:209], v[212:213]
	v_div_scale_f64 v[212:213], vcc, 1.0, v[204:205], 1.0
	v_mul_f64 v[214:215], v[212:213], v[208:209]
	v_fma_f64 v[206:207], -v[206:207], v[214:215], v[212:213]
	s_nop 1
	v_div_fmas_f64 v[206:207], v[206:207], v[208:209], v[214:215]
	v_div_fixup_f64 v[208:209], v[206:207], v[204:205], 1.0
	v_mul_f64 v[210:211], v[210:211], -v[208:209]
.LBB95_322:
	s_or_b64 exec, exec, s[2:3]
	ds_write2_b64 v185, v[208:209], v[210:211] offset1:1
.LBB95_323:
	s_or_b64 exec, exec, s[4:5]
	s_waitcnt lgkmcnt(0)
	s_barrier
	ds_read2_b64 v[204:207], v185 offset1:1
	v_cmp_lt_u32_e32 vcc, 35, v184
	s_and_saveexec_b64 s[2:3], vcc
	s_cbranch_execz .LBB95_325
; %bb.324:
	ds_read2_b64 v[210:213], v186 offset0:72 offset1:73
	s_waitcnt vmcnt(59) lgkmcnt(1)
	v_mul_f64 v[208:209], v[204:205], v[46:47]
	v_fmac_f64_e32 v[208:209], v[206:207], v[44:45]
	v_mul_f64 v[46:47], v[206:207], v[46:47]
	v_fma_f64 v[44:45], v[204:205], v[44:45], -v[46:47]
	s_waitcnt lgkmcnt(0)
	v_mul_f64 v[46:47], v[212:213], v[208:209]
	v_fma_f64 v[46:47], v[210:211], v[44:45], -v[46:47]
	v_mul_f64 v[210:211], v[210:211], v[208:209]
	v_fmac_f64_e32 v[210:211], v[212:213], v[44:45]
	s_waitcnt vmcnt(58)
	v_add_f64 v[42:43], v[42:43], -v[210:211]
	ds_read2_b64 v[210:213], v186 offset0:74 offset1:75
	v_add_f64 v[40:41], v[40:41], -v[46:47]
	s_waitcnt lgkmcnt(0)
	v_mul_f64 v[46:47], v[212:213], v[208:209]
	v_fma_f64 v[46:47], v[210:211], v[44:45], -v[46:47]
	v_mul_f64 v[210:211], v[210:211], v[208:209]
	v_fmac_f64_e32 v[210:211], v[212:213], v[44:45]
	s_waitcnt vmcnt(57)
	v_add_f64 v[38:39], v[38:39], -v[210:211]
	ds_read2_b64 v[210:213], v186 offset0:76 offset1:77
	v_add_f64 v[36:37], v[36:37], -v[46:47]
	;; [unrolled: 9-line block ×9, first 2 shown]
	s_waitcnt lgkmcnt(0)
	v_mul_f64 v[46:47], v[212:213], v[208:209]
	v_fma_f64 v[46:47], v[210:211], v[44:45], -v[46:47]
	v_mul_f64 v[210:211], v[210:211], v[208:209]
	v_fmac_f64_e32 v[210:211], v[212:213], v[44:45]
	v_add_f64 v[6:7], v[6:7], -v[210:211]
	ds_read2_b64 v[210:213], v186 offset0:92 offset1:93
	v_add_f64 v[4:5], v[4:5], -v[46:47]
	s_waitcnt lgkmcnt(0)
	v_mul_f64 v[46:47], v[212:213], v[208:209]
	v_fma_f64 v[46:47], v[210:211], v[44:45], -v[46:47]
	v_mul_f64 v[210:211], v[210:211], v[208:209]
	v_fmac_f64_e32 v[210:211], v[212:213], v[44:45]
	v_add_f64 v[2:3], v[2:3], -v[210:211]
	ds_read2_b64 v[210:213], v186 offset0:94 offset1:95
	v_add_f64 v[0:1], v[0:1], -v[46:47]
	s_waitcnt lgkmcnt(0)
	v_mul_f64 v[46:47], v[212:213], v[208:209]
	v_fma_f64 v[46:47], v[210:211], v[44:45], -v[46:47]
	v_mul_f64 v[210:211], v[210:211], v[208:209]
	v_fmac_f64_e32 v[210:211], v[212:213], v[44:45]
	s_waitcnt vmcnt(48)
	v_add_f64 v[188:189], v[188:189], -v[46:47]
	v_add_f64 v[190:191], v[190:191], -v[210:211]
	v_mov_b64_e32 v[46:47], v[208:209]
.LBB95_325:
	s_or_b64 exec, exec, s[2:3]
	v_cmp_eq_u32_e32 vcc, 36, v184
	s_waitcnt lgkmcnt(0)
	s_barrier
	s_and_saveexec_b64 s[4:5], vcc
	s_cbranch_execz .LBB95_332
; %bb.326:
	s_waitcnt vmcnt(58)
	ds_write2_b64 v185, v[40:41], v[42:43] offset1:1
	s_waitcnt vmcnt(57)
	ds_write2_b64 v186, v[36:37], v[38:39] offset0:74 offset1:75
	s_waitcnt vmcnt(56)
	ds_write2_b64 v186, v[32:33], v[34:35] offset0:76 offset1:77
	s_waitcnt vmcnt(55)
	ds_write2_b64 v186, v[28:29], v[30:31] offset0:78 offset1:79
	s_waitcnt vmcnt(54)
	ds_write2_b64 v186, v[24:25], v[26:27] offset0:80 offset1:81
	s_waitcnt vmcnt(53)
	ds_write2_b64 v186, v[20:21], v[22:23] offset0:82 offset1:83
	s_waitcnt vmcnt(52)
	ds_write2_b64 v186, v[16:17], v[18:19] offset0:84 offset1:85
	s_waitcnt vmcnt(51)
	ds_write2_b64 v186, v[12:13], v[14:15] offset0:86 offset1:87
	s_waitcnt vmcnt(50)
	ds_write2_b64 v186, v[8:9], v[10:11] offset0:88 offset1:89
	ds_write2_b64 v186, v[4:5], v[6:7] offset0:90 offset1:91
	ds_write2_b64 v186, v[0:1], v[2:3] offset0:92 offset1:93
	s_waitcnt vmcnt(48)
	ds_write2_b64 v186, v[188:189], v[190:191] offset0:94 offset1:95
	ds_read2_b64 v[208:211], v185 offset1:1
	s_waitcnt lgkmcnt(0)
	v_cmp_neq_f64_e32 vcc, 0, v[208:209]
	v_cmp_neq_f64_e64 s[2:3], 0, v[210:211]
	s_or_b64 s[2:3], vcc, s[2:3]
	s_and_b64 exec, exec, s[2:3]
	s_cbranch_execz .LBB95_332
; %bb.327:
	v_cmp_ngt_f64_e64 s[2:3], |v[208:209]|, |v[210:211]|
                                        ; implicit-def: $vgpr212_vgpr213
	s_and_saveexec_b64 s[10:11], s[2:3]
	s_xor_b64 s[2:3], exec, s[10:11]
                                        ; implicit-def: $vgpr214_vgpr215
	s_cbranch_execz .LBB95_329
; %bb.328:
	v_div_scale_f64 v[212:213], s[10:11], v[210:211], v[210:211], v[208:209]
	v_rcp_f64_e32 v[214:215], v[212:213]
	v_div_scale_f64 v[216:217], vcc, v[208:209], v[210:211], v[208:209]
	v_fma_f64 v[218:219], -v[212:213], v[214:215], 1.0
	v_fmac_f64_e32 v[214:215], v[214:215], v[218:219]
	v_fma_f64 v[218:219], -v[212:213], v[214:215], 1.0
	v_fmac_f64_e32 v[214:215], v[214:215], v[218:219]
	v_mul_f64 v[218:219], v[216:217], v[214:215]
	v_fma_f64 v[212:213], -v[212:213], v[218:219], v[216:217]
	v_div_fmas_f64 v[212:213], v[212:213], v[214:215], v[218:219]
	v_div_fixup_f64 v[212:213], v[212:213], v[210:211], v[208:209]
	v_fmac_f64_e32 v[210:211], v[208:209], v[212:213]
	v_div_scale_f64 v[208:209], s[10:11], v[210:211], v[210:211], 1.0
	v_rcp_f64_e32 v[214:215], v[208:209]
	s_nop 0
	v_fma_f64 v[216:217], -v[208:209], v[214:215], 1.0
	v_fmac_f64_e32 v[214:215], v[214:215], v[216:217]
	v_fma_f64 v[216:217], -v[208:209], v[214:215], 1.0
	v_fmac_f64_e32 v[214:215], v[214:215], v[216:217]
	v_div_scale_f64 v[216:217], vcc, 1.0, v[210:211], 1.0
	v_mul_f64 v[218:219], v[216:217], v[214:215]
	v_fma_f64 v[208:209], -v[208:209], v[218:219], v[216:217]
	s_nop 1
	v_div_fmas_f64 v[208:209], v[208:209], v[214:215], v[218:219]
	v_div_fixup_f64 v[214:215], v[208:209], v[210:211], 1.0
	v_mul_f64 v[212:213], v[212:213], v[214:215]
	v_xor_b32_e32 v215, 0x80000000, v215
                                        ; implicit-def: $vgpr208_vgpr209
.LBB95_329:
	s_andn2_saveexec_b64 s[2:3], s[2:3]
	s_cbranch_execz .LBB95_331
; %bb.330:
	v_div_scale_f64 v[212:213], s[10:11], v[208:209], v[208:209], v[210:211]
	v_rcp_f64_e32 v[214:215], v[212:213]
	v_div_scale_f64 v[216:217], vcc, v[210:211], v[208:209], v[210:211]
	v_fma_f64 v[218:219], -v[212:213], v[214:215], 1.0
	v_fmac_f64_e32 v[214:215], v[214:215], v[218:219]
	v_fma_f64 v[218:219], -v[212:213], v[214:215], 1.0
	v_fmac_f64_e32 v[214:215], v[214:215], v[218:219]
	v_mul_f64 v[218:219], v[216:217], v[214:215]
	v_fma_f64 v[212:213], -v[212:213], v[218:219], v[216:217]
	v_div_fmas_f64 v[212:213], v[212:213], v[214:215], v[218:219]
	v_div_fixup_f64 v[214:215], v[212:213], v[208:209], v[210:211]
	v_fmac_f64_e32 v[208:209], v[210:211], v[214:215]
	v_div_scale_f64 v[210:211], s[10:11], v[208:209], v[208:209], 1.0
	v_rcp_f64_e32 v[212:213], v[210:211]
	s_nop 0
	v_fma_f64 v[216:217], -v[210:211], v[212:213], 1.0
	v_fmac_f64_e32 v[212:213], v[212:213], v[216:217]
	v_fma_f64 v[216:217], -v[210:211], v[212:213], 1.0
	v_fmac_f64_e32 v[212:213], v[212:213], v[216:217]
	v_div_scale_f64 v[216:217], vcc, 1.0, v[208:209], 1.0
	v_mul_f64 v[218:219], v[216:217], v[212:213]
	v_fma_f64 v[210:211], -v[210:211], v[218:219], v[216:217]
	s_nop 1
	v_div_fmas_f64 v[210:211], v[210:211], v[212:213], v[218:219]
	v_div_fixup_f64 v[212:213], v[210:211], v[208:209], 1.0
	v_mul_f64 v[214:215], v[214:215], -v[212:213]
.LBB95_331:
	s_or_b64 exec, exec, s[2:3]
	ds_write2_b64 v185, v[212:213], v[214:215] offset1:1
.LBB95_332:
	s_or_b64 exec, exec, s[4:5]
	s_waitcnt lgkmcnt(0)
	s_barrier
	ds_read2_b64 v[208:211], v185 offset1:1
	v_cmp_lt_u32_e32 vcc, 36, v184
	s_and_saveexec_b64 s[2:3], vcc
	s_cbranch_execz .LBB95_334
; %bb.333:
	ds_read2_b64 v[214:217], v186 offset0:74 offset1:75
	s_waitcnt vmcnt(58) lgkmcnt(1)
	v_mul_f64 v[212:213], v[208:209], v[42:43]
	v_fmac_f64_e32 v[212:213], v[210:211], v[40:41]
	v_mul_f64 v[42:43], v[210:211], v[42:43]
	v_fma_f64 v[40:41], v[208:209], v[40:41], -v[42:43]
	s_waitcnt lgkmcnt(0)
	v_mul_f64 v[42:43], v[216:217], v[212:213]
	v_fma_f64 v[42:43], v[214:215], v[40:41], -v[42:43]
	v_mul_f64 v[214:215], v[214:215], v[212:213]
	v_fmac_f64_e32 v[214:215], v[216:217], v[40:41]
	s_waitcnt vmcnt(57)
	v_add_f64 v[38:39], v[38:39], -v[214:215]
	ds_read2_b64 v[214:217], v186 offset0:76 offset1:77
	v_add_f64 v[36:37], v[36:37], -v[42:43]
	s_waitcnt lgkmcnt(0)
	v_mul_f64 v[42:43], v[216:217], v[212:213]
	v_fma_f64 v[42:43], v[214:215], v[40:41], -v[42:43]
	v_mul_f64 v[214:215], v[214:215], v[212:213]
	v_fmac_f64_e32 v[214:215], v[216:217], v[40:41]
	s_waitcnt vmcnt(56)
	v_add_f64 v[34:35], v[34:35], -v[214:215]
	ds_read2_b64 v[214:217], v186 offset0:78 offset1:79
	v_add_f64 v[32:33], v[32:33], -v[42:43]
	;; [unrolled: 9-line block ×8, first 2 shown]
	s_waitcnt lgkmcnt(0)
	v_mul_f64 v[42:43], v[216:217], v[212:213]
	v_fma_f64 v[42:43], v[214:215], v[40:41], -v[42:43]
	v_mul_f64 v[214:215], v[214:215], v[212:213]
	v_fmac_f64_e32 v[214:215], v[216:217], v[40:41]
	v_add_f64 v[6:7], v[6:7], -v[214:215]
	ds_read2_b64 v[214:217], v186 offset0:92 offset1:93
	v_add_f64 v[4:5], v[4:5], -v[42:43]
	s_waitcnt lgkmcnt(0)
	v_mul_f64 v[42:43], v[216:217], v[212:213]
	v_fma_f64 v[42:43], v[214:215], v[40:41], -v[42:43]
	v_mul_f64 v[214:215], v[214:215], v[212:213]
	v_fmac_f64_e32 v[214:215], v[216:217], v[40:41]
	v_add_f64 v[2:3], v[2:3], -v[214:215]
	ds_read2_b64 v[214:217], v186 offset0:94 offset1:95
	v_add_f64 v[0:1], v[0:1], -v[42:43]
	s_waitcnt lgkmcnt(0)
	v_mul_f64 v[42:43], v[216:217], v[212:213]
	v_fma_f64 v[42:43], v[214:215], v[40:41], -v[42:43]
	v_mul_f64 v[214:215], v[214:215], v[212:213]
	v_fmac_f64_e32 v[214:215], v[216:217], v[40:41]
	s_waitcnt vmcnt(48)
	v_add_f64 v[188:189], v[188:189], -v[42:43]
	v_add_f64 v[190:191], v[190:191], -v[214:215]
	v_mov_b64_e32 v[42:43], v[212:213]
.LBB95_334:
	s_or_b64 exec, exec, s[2:3]
	v_cmp_eq_u32_e32 vcc, 37, v184
	s_waitcnt lgkmcnt(0)
	s_barrier
	s_and_saveexec_b64 s[4:5], vcc
	s_cbranch_execz .LBB95_341
; %bb.335:
	s_waitcnt vmcnt(57)
	ds_write2_b64 v185, v[36:37], v[38:39] offset1:1
	s_waitcnt vmcnt(56)
	ds_write2_b64 v186, v[32:33], v[34:35] offset0:76 offset1:77
	s_waitcnt vmcnt(55)
	ds_write2_b64 v186, v[28:29], v[30:31] offset0:78 offset1:79
	;; [unrolled: 2-line block ×7, first 2 shown]
	ds_write2_b64 v186, v[4:5], v[6:7] offset0:90 offset1:91
	ds_write2_b64 v186, v[0:1], v[2:3] offset0:92 offset1:93
	s_waitcnt vmcnt(48)
	ds_write2_b64 v186, v[188:189], v[190:191] offset0:94 offset1:95
	ds_read2_b64 v[212:215], v185 offset1:1
	s_waitcnt lgkmcnt(0)
	v_cmp_neq_f64_e32 vcc, 0, v[212:213]
	v_cmp_neq_f64_e64 s[2:3], 0, v[214:215]
	s_or_b64 s[2:3], vcc, s[2:3]
	s_and_b64 exec, exec, s[2:3]
	s_cbranch_execz .LBB95_341
; %bb.336:
	v_cmp_ngt_f64_e64 s[2:3], |v[212:213]|, |v[214:215]|
                                        ; implicit-def: $vgpr216_vgpr217
	s_and_saveexec_b64 s[10:11], s[2:3]
	s_xor_b64 s[2:3], exec, s[10:11]
                                        ; implicit-def: $vgpr218_vgpr219
	s_cbranch_execz .LBB95_338
; %bb.337:
	v_div_scale_f64 v[216:217], s[10:11], v[214:215], v[214:215], v[212:213]
	v_rcp_f64_e32 v[218:219], v[216:217]
	v_div_scale_f64 v[220:221], vcc, v[212:213], v[214:215], v[212:213]
	v_fma_f64 v[222:223], -v[216:217], v[218:219], 1.0
	v_fmac_f64_e32 v[218:219], v[218:219], v[222:223]
	v_fma_f64 v[222:223], -v[216:217], v[218:219], 1.0
	v_fmac_f64_e32 v[218:219], v[218:219], v[222:223]
	v_mul_f64 v[222:223], v[220:221], v[218:219]
	v_fma_f64 v[216:217], -v[216:217], v[222:223], v[220:221]
	v_div_fmas_f64 v[216:217], v[216:217], v[218:219], v[222:223]
	v_div_fixup_f64 v[216:217], v[216:217], v[214:215], v[212:213]
	v_fmac_f64_e32 v[214:215], v[212:213], v[216:217]
	v_div_scale_f64 v[212:213], s[10:11], v[214:215], v[214:215], 1.0
	v_rcp_f64_e32 v[218:219], v[212:213]
	s_nop 0
	v_fma_f64 v[220:221], -v[212:213], v[218:219], 1.0
	v_fmac_f64_e32 v[218:219], v[218:219], v[220:221]
	v_fma_f64 v[220:221], -v[212:213], v[218:219], 1.0
	v_fmac_f64_e32 v[218:219], v[218:219], v[220:221]
	v_div_scale_f64 v[220:221], vcc, 1.0, v[214:215], 1.0
	v_mul_f64 v[222:223], v[220:221], v[218:219]
	v_fma_f64 v[212:213], -v[212:213], v[222:223], v[220:221]
	s_nop 1
	v_div_fmas_f64 v[212:213], v[212:213], v[218:219], v[222:223]
	v_div_fixup_f64 v[218:219], v[212:213], v[214:215], 1.0
	v_mul_f64 v[216:217], v[216:217], v[218:219]
	v_xor_b32_e32 v219, 0x80000000, v219
                                        ; implicit-def: $vgpr212_vgpr213
.LBB95_338:
	s_andn2_saveexec_b64 s[2:3], s[2:3]
	s_cbranch_execz .LBB95_340
; %bb.339:
	v_div_scale_f64 v[216:217], s[10:11], v[212:213], v[212:213], v[214:215]
	v_rcp_f64_e32 v[218:219], v[216:217]
	v_div_scale_f64 v[220:221], vcc, v[214:215], v[212:213], v[214:215]
	v_fma_f64 v[222:223], -v[216:217], v[218:219], 1.0
	v_fmac_f64_e32 v[218:219], v[218:219], v[222:223]
	v_fma_f64 v[222:223], -v[216:217], v[218:219], 1.0
	v_fmac_f64_e32 v[218:219], v[218:219], v[222:223]
	v_mul_f64 v[222:223], v[220:221], v[218:219]
	v_fma_f64 v[216:217], -v[216:217], v[222:223], v[220:221]
	v_div_fmas_f64 v[216:217], v[216:217], v[218:219], v[222:223]
	v_div_fixup_f64 v[218:219], v[216:217], v[212:213], v[214:215]
	v_fmac_f64_e32 v[212:213], v[214:215], v[218:219]
	v_div_scale_f64 v[214:215], s[10:11], v[212:213], v[212:213], 1.0
	v_rcp_f64_e32 v[216:217], v[214:215]
	s_nop 0
	v_fma_f64 v[220:221], -v[214:215], v[216:217], 1.0
	v_fmac_f64_e32 v[216:217], v[216:217], v[220:221]
	v_fma_f64 v[220:221], -v[214:215], v[216:217], 1.0
	v_fmac_f64_e32 v[216:217], v[216:217], v[220:221]
	v_div_scale_f64 v[220:221], vcc, 1.0, v[212:213], 1.0
	v_mul_f64 v[222:223], v[220:221], v[216:217]
	v_fma_f64 v[214:215], -v[214:215], v[222:223], v[220:221]
	s_nop 1
	v_div_fmas_f64 v[214:215], v[214:215], v[216:217], v[222:223]
	v_div_fixup_f64 v[216:217], v[214:215], v[212:213], 1.0
	v_mul_f64 v[218:219], v[218:219], -v[216:217]
.LBB95_340:
	s_or_b64 exec, exec, s[2:3]
	ds_write2_b64 v185, v[216:217], v[218:219] offset1:1
.LBB95_341:
	s_or_b64 exec, exec, s[4:5]
	s_waitcnt lgkmcnt(0)
	s_barrier
	ds_read2_b64 v[212:215], v185 offset1:1
	v_cmp_lt_u32_e32 vcc, 37, v184
	s_and_saveexec_b64 s[2:3], vcc
	s_cbranch_execz .LBB95_343
; %bb.342:
	ds_read2_b64 v[218:221], v186 offset0:76 offset1:77
	s_waitcnt vmcnt(57) lgkmcnt(1)
	v_mul_f64 v[216:217], v[212:213], v[38:39]
	v_fmac_f64_e32 v[216:217], v[214:215], v[36:37]
	v_mul_f64 v[38:39], v[214:215], v[38:39]
	v_fma_f64 v[36:37], v[212:213], v[36:37], -v[38:39]
	s_waitcnt lgkmcnt(0)
	v_mul_f64 v[38:39], v[220:221], v[216:217]
	v_fma_f64 v[38:39], v[218:219], v[36:37], -v[38:39]
	v_mul_f64 v[218:219], v[218:219], v[216:217]
	v_fmac_f64_e32 v[218:219], v[220:221], v[36:37]
	s_waitcnt vmcnt(56)
	v_add_f64 v[34:35], v[34:35], -v[218:219]
	ds_read2_b64 v[218:221], v186 offset0:78 offset1:79
	v_add_f64 v[32:33], v[32:33], -v[38:39]
	s_waitcnt lgkmcnt(0)
	v_mul_f64 v[38:39], v[220:221], v[216:217]
	v_fma_f64 v[38:39], v[218:219], v[36:37], -v[38:39]
	v_mul_f64 v[218:219], v[218:219], v[216:217]
	v_fmac_f64_e32 v[218:219], v[220:221], v[36:37]
	s_waitcnt vmcnt(55)
	v_add_f64 v[30:31], v[30:31], -v[218:219]
	ds_read2_b64 v[218:221], v186 offset0:80 offset1:81
	v_add_f64 v[28:29], v[28:29], -v[38:39]
	;; [unrolled: 9-line block ×7, first 2 shown]
	s_waitcnt lgkmcnt(0)
	v_mul_f64 v[38:39], v[220:221], v[216:217]
	v_fma_f64 v[38:39], v[218:219], v[36:37], -v[38:39]
	v_mul_f64 v[218:219], v[218:219], v[216:217]
	v_fmac_f64_e32 v[218:219], v[220:221], v[36:37]
	v_add_f64 v[6:7], v[6:7], -v[218:219]
	ds_read2_b64 v[218:221], v186 offset0:92 offset1:93
	v_add_f64 v[4:5], v[4:5], -v[38:39]
	s_waitcnt lgkmcnt(0)
	v_mul_f64 v[38:39], v[220:221], v[216:217]
	v_fma_f64 v[38:39], v[218:219], v[36:37], -v[38:39]
	v_mul_f64 v[218:219], v[218:219], v[216:217]
	v_fmac_f64_e32 v[218:219], v[220:221], v[36:37]
	v_add_f64 v[2:3], v[2:3], -v[218:219]
	ds_read2_b64 v[218:221], v186 offset0:94 offset1:95
	v_add_f64 v[0:1], v[0:1], -v[38:39]
	s_waitcnt lgkmcnt(0)
	v_mul_f64 v[38:39], v[220:221], v[216:217]
	v_fma_f64 v[38:39], v[218:219], v[36:37], -v[38:39]
	v_mul_f64 v[218:219], v[218:219], v[216:217]
	v_fmac_f64_e32 v[218:219], v[220:221], v[36:37]
	s_waitcnt vmcnt(48)
	v_add_f64 v[188:189], v[188:189], -v[38:39]
	v_add_f64 v[190:191], v[190:191], -v[218:219]
	v_mov_b64_e32 v[38:39], v[216:217]
.LBB95_343:
	s_or_b64 exec, exec, s[2:3]
	v_cmp_eq_u32_e32 vcc, 38, v184
	s_waitcnt lgkmcnt(0)
	s_barrier
	s_and_saveexec_b64 s[4:5], vcc
	s_cbranch_execz .LBB95_350
; %bb.344:
	s_waitcnt vmcnt(56)
	ds_write2_b64 v185, v[32:33], v[34:35] offset1:1
	s_waitcnt vmcnt(55)
	ds_write2_b64 v186, v[28:29], v[30:31] offset0:78 offset1:79
	s_waitcnt vmcnt(54)
	ds_write2_b64 v186, v[24:25], v[26:27] offset0:80 offset1:81
	;; [unrolled: 2-line block ×6, first 2 shown]
	ds_write2_b64 v186, v[4:5], v[6:7] offset0:90 offset1:91
	ds_write2_b64 v186, v[0:1], v[2:3] offset0:92 offset1:93
	s_waitcnt vmcnt(48)
	ds_write2_b64 v186, v[188:189], v[190:191] offset0:94 offset1:95
	ds_read2_b64 v[216:219], v185 offset1:1
	s_waitcnt lgkmcnt(0)
	v_cmp_neq_f64_e32 vcc, 0, v[216:217]
	v_cmp_neq_f64_e64 s[2:3], 0, v[218:219]
	s_or_b64 s[2:3], vcc, s[2:3]
	s_and_b64 exec, exec, s[2:3]
	s_cbranch_execz .LBB95_350
; %bb.345:
	v_cmp_ngt_f64_e64 s[2:3], |v[216:217]|, |v[218:219]|
                                        ; implicit-def: $vgpr220_vgpr221
	s_and_saveexec_b64 s[10:11], s[2:3]
	s_xor_b64 s[2:3], exec, s[10:11]
                                        ; implicit-def: $vgpr222_vgpr223
	s_cbranch_execz .LBB95_347
; %bb.346:
	v_div_scale_f64 v[220:221], s[10:11], v[218:219], v[218:219], v[216:217]
	v_rcp_f64_e32 v[222:223], v[220:221]
	v_div_scale_f64 v[224:225], vcc, v[216:217], v[218:219], v[216:217]
	v_fma_f64 v[226:227], -v[220:221], v[222:223], 1.0
	v_fmac_f64_e32 v[222:223], v[222:223], v[226:227]
	v_fma_f64 v[226:227], -v[220:221], v[222:223], 1.0
	v_fmac_f64_e32 v[222:223], v[222:223], v[226:227]
	v_mul_f64 v[226:227], v[224:225], v[222:223]
	v_fma_f64 v[220:221], -v[220:221], v[226:227], v[224:225]
	v_div_fmas_f64 v[220:221], v[220:221], v[222:223], v[226:227]
	v_div_fixup_f64 v[220:221], v[220:221], v[218:219], v[216:217]
	v_fmac_f64_e32 v[218:219], v[216:217], v[220:221]
	v_div_scale_f64 v[216:217], s[10:11], v[218:219], v[218:219], 1.0
	v_rcp_f64_e32 v[222:223], v[216:217]
	s_nop 0
	v_fma_f64 v[224:225], -v[216:217], v[222:223], 1.0
	v_fmac_f64_e32 v[222:223], v[222:223], v[224:225]
	v_fma_f64 v[224:225], -v[216:217], v[222:223], 1.0
	v_fmac_f64_e32 v[222:223], v[222:223], v[224:225]
	v_div_scale_f64 v[224:225], vcc, 1.0, v[218:219], 1.0
	v_mul_f64 v[226:227], v[224:225], v[222:223]
	v_fma_f64 v[216:217], -v[216:217], v[226:227], v[224:225]
	s_nop 1
	v_div_fmas_f64 v[216:217], v[216:217], v[222:223], v[226:227]
	v_div_fixup_f64 v[222:223], v[216:217], v[218:219], 1.0
	v_mul_f64 v[220:221], v[220:221], v[222:223]
	v_xor_b32_e32 v223, 0x80000000, v223
                                        ; implicit-def: $vgpr216_vgpr217
.LBB95_347:
	s_andn2_saveexec_b64 s[2:3], s[2:3]
	s_cbranch_execz .LBB95_349
; %bb.348:
	v_div_scale_f64 v[220:221], s[10:11], v[216:217], v[216:217], v[218:219]
	v_rcp_f64_e32 v[222:223], v[220:221]
	v_div_scale_f64 v[224:225], vcc, v[218:219], v[216:217], v[218:219]
	v_fma_f64 v[226:227], -v[220:221], v[222:223], 1.0
	v_fmac_f64_e32 v[222:223], v[222:223], v[226:227]
	v_fma_f64 v[226:227], -v[220:221], v[222:223], 1.0
	v_fmac_f64_e32 v[222:223], v[222:223], v[226:227]
	v_mul_f64 v[226:227], v[224:225], v[222:223]
	v_fma_f64 v[220:221], -v[220:221], v[226:227], v[224:225]
	v_div_fmas_f64 v[220:221], v[220:221], v[222:223], v[226:227]
	v_div_fixup_f64 v[222:223], v[220:221], v[216:217], v[218:219]
	v_fmac_f64_e32 v[216:217], v[218:219], v[222:223]
	v_div_scale_f64 v[218:219], s[10:11], v[216:217], v[216:217], 1.0
	v_rcp_f64_e32 v[220:221], v[218:219]
	s_nop 0
	v_fma_f64 v[224:225], -v[218:219], v[220:221], 1.0
	v_fmac_f64_e32 v[220:221], v[220:221], v[224:225]
	v_fma_f64 v[224:225], -v[218:219], v[220:221], 1.0
	v_fmac_f64_e32 v[220:221], v[220:221], v[224:225]
	v_div_scale_f64 v[224:225], vcc, 1.0, v[216:217], 1.0
	v_mul_f64 v[226:227], v[224:225], v[220:221]
	v_fma_f64 v[218:219], -v[218:219], v[226:227], v[224:225]
	s_nop 1
	v_div_fmas_f64 v[218:219], v[218:219], v[220:221], v[226:227]
	v_div_fixup_f64 v[220:221], v[218:219], v[216:217], 1.0
	v_mul_f64 v[222:223], v[222:223], -v[220:221]
.LBB95_349:
	s_or_b64 exec, exec, s[2:3]
	ds_write2_b64 v185, v[220:221], v[222:223] offset1:1
.LBB95_350:
	s_or_b64 exec, exec, s[4:5]
	s_waitcnt lgkmcnt(0)
	s_barrier
	ds_read2_b64 v[216:219], v185 offset1:1
	v_cmp_lt_u32_e32 vcc, 38, v184
	s_and_saveexec_b64 s[2:3], vcc
	s_cbranch_execz .LBB95_352
; %bb.351:
	ds_read2_b64 v[222:225], v186 offset0:78 offset1:79
	s_waitcnt vmcnt(56) lgkmcnt(1)
	v_mul_f64 v[220:221], v[216:217], v[34:35]
	v_fmac_f64_e32 v[220:221], v[218:219], v[32:33]
	v_mul_f64 v[34:35], v[218:219], v[34:35]
	v_fma_f64 v[32:33], v[216:217], v[32:33], -v[34:35]
	s_waitcnt lgkmcnt(0)
	v_mul_f64 v[34:35], v[224:225], v[220:221]
	v_fma_f64 v[34:35], v[222:223], v[32:33], -v[34:35]
	v_mul_f64 v[222:223], v[222:223], v[220:221]
	v_fmac_f64_e32 v[222:223], v[224:225], v[32:33]
	s_waitcnt vmcnt(55)
	v_add_f64 v[30:31], v[30:31], -v[222:223]
	ds_read2_b64 v[222:225], v186 offset0:80 offset1:81
	v_add_f64 v[28:29], v[28:29], -v[34:35]
	s_waitcnt lgkmcnt(0)
	v_mul_f64 v[34:35], v[224:225], v[220:221]
	v_fma_f64 v[34:35], v[222:223], v[32:33], -v[34:35]
	v_mul_f64 v[222:223], v[222:223], v[220:221]
	v_fmac_f64_e32 v[222:223], v[224:225], v[32:33]
	s_waitcnt vmcnt(54)
	v_add_f64 v[26:27], v[26:27], -v[222:223]
	ds_read2_b64 v[222:225], v186 offset0:82 offset1:83
	v_add_f64 v[24:25], v[24:25], -v[34:35]
	;; [unrolled: 9-line block ×6, first 2 shown]
	s_waitcnt lgkmcnt(0)
	v_mul_f64 v[34:35], v[224:225], v[220:221]
	v_fma_f64 v[34:35], v[222:223], v[32:33], -v[34:35]
	v_mul_f64 v[222:223], v[222:223], v[220:221]
	v_fmac_f64_e32 v[222:223], v[224:225], v[32:33]
	v_add_f64 v[6:7], v[6:7], -v[222:223]
	ds_read2_b64 v[222:225], v186 offset0:92 offset1:93
	v_add_f64 v[4:5], v[4:5], -v[34:35]
	s_waitcnt lgkmcnt(0)
	v_mul_f64 v[34:35], v[224:225], v[220:221]
	v_fma_f64 v[34:35], v[222:223], v[32:33], -v[34:35]
	v_mul_f64 v[222:223], v[222:223], v[220:221]
	v_fmac_f64_e32 v[222:223], v[224:225], v[32:33]
	v_add_f64 v[2:3], v[2:3], -v[222:223]
	ds_read2_b64 v[222:225], v186 offset0:94 offset1:95
	v_add_f64 v[0:1], v[0:1], -v[34:35]
	s_waitcnt lgkmcnt(0)
	v_mul_f64 v[34:35], v[224:225], v[220:221]
	v_fma_f64 v[34:35], v[222:223], v[32:33], -v[34:35]
	v_mul_f64 v[222:223], v[222:223], v[220:221]
	v_fmac_f64_e32 v[222:223], v[224:225], v[32:33]
	s_waitcnt vmcnt(48)
	v_add_f64 v[188:189], v[188:189], -v[34:35]
	v_add_f64 v[190:191], v[190:191], -v[222:223]
	v_mov_b64_e32 v[34:35], v[220:221]
.LBB95_352:
	s_or_b64 exec, exec, s[2:3]
	v_cmp_eq_u32_e32 vcc, 39, v184
	s_waitcnt lgkmcnt(0)
	s_barrier
	s_and_saveexec_b64 s[4:5], vcc
	s_cbranch_execz .LBB95_359
; %bb.353:
	s_waitcnt vmcnt(55)
	ds_write2_b64 v185, v[28:29], v[30:31] offset1:1
	s_waitcnt vmcnt(54)
	ds_write2_b64 v186, v[24:25], v[26:27] offset0:80 offset1:81
	s_waitcnt vmcnt(53)
	ds_write2_b64 v186, v[20:21], v[22:23] offset0:82 offset1:83
	;; [unrolled: 2-line block ×5, first 2 shown]
	ds_write2_b64 v186, v[4:5], v[6:7] offset0:90 offset1:91
	ds_write2_b64 v186, v[0:1], v[2:3] offset0:92 offset1:93
	s_waitcnt vmcnt(48)
	ds_write2_b64 v186, v[188:189], v[190:191] offset0:94 offset1:95
	ds_read2_b64 v[220:223], v185 offset1:1
	s_waitcnt lgkmcnt(0)
	v_cmp_neq_f64_e32 vcc, 0, v[220:221]
	v_cmp_neq_f64_e64 s[2:3], 0, v[222:223]
	s_or_b64 s[2:3], vcc, s[2:3]
	s_and_b64 exec, exec, s[2:3]
	s_cbranch_execz .LBB95_359
; %bb.354:
	v_cmp_ngt_f64_e64 s[2:3], |v[220:221]|, |v[222:223]|
                                        ; implicit-def: $vgpr224_vgpr225
	s_and_saveexec_b64 s[10:11], s[2:3]
	s_xor_b64 s[2:3], exec, s[10:11]
                                        ; implicit-def: $vgpr226_vgpr227
	s_cbranch_execz .LBB95_356
; %bb.355:
	v_div_scale_f64 v[224:225], s[10:11], v[222:223], v[222:223], v[220:221]
	v_rcp_f64_e32 v[226:227], v[224:225]
	v_div_scale_f64 v[228:229], vcc, v[220:221], v[222:223], v[220:221]
	v_fma_f64 v[230:231], -v[224:225], v[226:227], 1.0
	v_fmac_f64_e32 v[226:227], v[226:227], v[230:231]
	v_fma_f64 v[230:231], -v[224:225], v[226:227], 1.0
	v_fmac_f64_e32 v[226:227], v[226:227], v[230:231]
	v_mul_f64 v[230:231], v[228:229], v[226:227]
	v_fma_f64 v[224:225], -v[224:225], v[230:231], v[228:229]
	v_div_fmas_f64 v[224:225], v[224:225], v[226:227], v[230:231]
	v_div_fixup_f64 v[224:225], v[224:225], v[222:223], v[220:221]
	v_fmac_f64_e32 v[222:223], v[220:221], v[224:225]
	v_div_scale_f64 v[220:221], s[10:11], v[222:223], v[222:223], 1.0
	v_rcp_f64_e32 v[226:227], v[220:221]
	s_nop 0
	v_fma_f64 v[228:229], -v[220:221], v[226:227], 1.0
	v_fmac_f64_e32 v[226:227], v[226:227], v[228:229]
	v_fma_f64 v[228:229], -v[220:221], v[226:227], 1.0
	v_fmac_f64_e32 v[226:227], v[226:227], v[228:229]
	v_div_scale_f64 v[228:229], vcc, 1.0, v[222:223], 1.0
	v_mul_f64 v[230:231], v[228:229], v[226:227]
	v_fma_f64 v[220:221], -v[220:221], v[230:231], v[228:229]
	s_nop 1
	v_div_fmas_f64 v[220:221], v[220:221], v[226:227], v[230:231]
	v_div_fixup_f64 v[226:227], v[220:221], v[222:223], 1.0
	v_mul_f64 v[224:225], v[224:225], v[226:227]
	v_xor_b32_e32 v227, 0x80000000, v227
                                        ; implicit-def: $vgpr220_vgpr221
.LBB95_356:
	s_andn2_saveexec_b64 s[2:3], s[2:3]
	s_cbranch_execz .LBB95_358
; %bb.357:
	v_div_scale_f64 v[224:225], s[10:11], v[220:221], v[220:221], v[222:223]
	v_rcp_f64_e32 v[226:227], v[224:225]
	v_div_scale_f64 v[228:229], vcc, v[222:223], v[220:221], v[222:223]
	v_fma_f64 v[230:231], -v[224:225], v[226:227], 1.0
	v_fmac_f64_e32 v[226:227], v[226:227], v[230:231]
	v_fma_f64 v[230:231], -v[224:225], v[226:227], 1.0
	v_fmac_f64_e32 v[226:227], v[226:227], v[230:231]
	v_mul_f64 v[230:231], v[228:229], v[226:227]
	v_fma_f64 v[224:225], -v[224:225], v[230:231], v[228:229]
	v_div_fmas_f64 v[224:225], v[224:225], v[226:227], v[230:231]
	v_div_fixup_f64 v[226:227], v[224:225], v[220:221], v[222:223]
	v_fmac_f64_e32 v[220:221], v[222:223], v[226:227]
	v_div_scale_f64 v[222:223], s[10:11], v[220:221], v[220:221], 1.0
	v_rcp_f64_e32 v[224:225], v[222:223]
	s_nop 0
	v_fma_f64 v[228:229], -v[222:223], v[224:225], 1.0
	v_fmac_f64_e32 v[224:225], v[224:225], v[228:229]
	v_fma_f64 v[228:229], -v[222:223], v[224:225], 1.0
	v_fmac_f64_e32 v[224:225], v[224:225], v[228:229]
	v_div_scale_f64 v[228:229], vcc, 1.0, v[220:221], 1.0
	v_mul_f64 v[230:231], v[228:229], v[224:225]
	v_fma_f64 v[222:223], -v[222:223], v[230:231], v[228:229]
	s_nop 1
	v_div_fmas_f64 v[222:223], v[222:223], v[224:225], v[230:231]
	v_div_fixup_f64 v[224:225], v[222:223], v[220:221], 1.0
	v_mul_f64 v[226:227], v[226:227], -v[224:225]
.LBB95_358:
	s_or_b64 exec, exec, s[2:3]
	ds_write2_b64 v185, v[224:225], v[226:227] offset1:1
.LBB95_359:
	s_or_b64 exec, exec, s[4:5]
	s_waitcnt lgkmcnt(0)
	s_barrier
	ds_read2_b64 v[220:223], v185 offset1:1
	v_cmp_lt_u32_e32 vcc, 39, v184
	s_and_saveexec_b64 s[2:3], vcc
	s_cbranch_execz .LBB95_361
; %bb.360:
	ds_read2_b64 v[226:229], v186 offset0:80 offset1:81
	s_waitcnt vmcnt(55) lgkmcnt(1)
	v_mul_f64 v[224:225], v[220:221], v[30:31]
	v_fmac_f64_e32 v[224:225], v[222:223], v[28:29]
	v_mul_f64 v[30:31], v[222:223], v[30:31]
	v_fma_f64 v[28:29], v[220:221], v[28:29], -v[30:31]
	s_waitcnt lgkmcnt(0)
	v_mul_f64 v[30:31], v[228:229], v[224:225]
	v_fma_f64 v[30:31], v[226:227], v[28:29], -v[30:31]
	v_mul_f64 v[226:227], v[226:227], v[224:225]
	v_fmac_f64_e32 v[226:227], v[228:229], v[28:29]
	s_waitcnt vmcnt(54)
	v_add_f64 v[26:27], v[26:27], -v[226:227]
	ds_read2_b64 v[226:229], v186 offset0:82 offset1:83
	v_add_f64 v[24:25], v[24:25], -v[30:31]
	s_waitcnt lgkmcnt(0)
	v_mul_f64 v[30:31], v[228:229], v[224:225]
	v_fma_f64 v[30:31], v[226:227], v[28:29], -v[30:31]
	v_mul_f64 v[226:227], v[226:227], v[224:225]
	v_fmac_f64_e32 v[226:227], v[228:229], v[28:29]
	s_waitcnt vmcnt(53)
	v_add_f64 v[22:23], v[22:23], -v[226:227]
	ds_read2_b64 v[226:229], v186 offset0:84 offset1:85
	v_add_f64 v[20:21], v[20:21], -v[30:31]
	;; [unrolled: 9-line block ×5, first 2 shown]
	s_waitcnt lgkmcnt(0)
	v_mul_f64 v[30:31], v[228:229], v[224:225]
	v_fma_f64 v[30:31], v[226:227], v[28:29], -v[30:31]
	v_mul_f64 v[226:227], v[226:227], v[224:225]
	v_fmac_f64_e32 v[226:227], v[228:229], v[28:29]
	v_add_f64 v[6:7], v[6:7], -v[226:227]
	ds_read2_b64 v[226:229], v186 offset0:92 offset1:93
	v_add_f64 v[4:5], v[4:5], -v[30:31]
	s_waitcnt lgkmcnt(0)
	v_mul_f64 v[30:31], v[228:229], v[224:225]
	v_fma_f64 v[30:31], v[226:227], v[28:29], -v[30:31]
	v_mul_f64 v[226:227], v[226:227], v[224:225]
	v_fmac_f64_e32 v[226:227], v[228:229], v[28:29]
	v_add_f64 v[2:3], v[2:3], -v[226:227]
	ds_read2_b64 v[226:229], v186 offset0:94 offset1:95
	v_add_f64 v[0:1], v[0:1], -v[30:31]
	s_waitcnt lgkmcnt(0)
	v_mul_f64 v[30:31], v[228:229], v[224:225]
	v_fma_f64 v[30:31], v[226:227], v[28:29], -v[30:31]
	v_mul_f64 v[226:227], v[226:227], v[224:225]
	v_fmac_f64_e32 v[226:227], v[228:229], v[28:29]
	s_waitcnt vmcnt(48)
	v_add_f64 v[188:189], v[188:189], -v[30:31]
	v_add_f64 v[190:191], v[190:191], -v[226:227]
	v_mov_b64_e32 v[30:31], v[224:225]
.LBB95_361:
	s_or_b64 exec, exec, s[2:3]
	v_cmp_eq_u32_e32 vcc, 40, v184
	s_waitcnt lgkmcnt(0)
	s_barrier
	s_and_saveexec_b64 s[4:5], vcc
	s_cbranch_execz .LBB95_368
; %bb.362:
	s_waitcnt vmcnt(54)
	ds_write2_b64 v185, v[24:25], v[26:27] offset1:1
	s_waitcnt vmcnt(53)
	ds_write2_b64 v186, v[20:21], v[22:23] offset0:82 offset1:83
	s_waitcnt vmcnt(52)
	ds_write2_b64 v186, v[16:17], v[18:19] offset0:84 offset1:85
	;; [unrolled: 2-line block ×4, first 2 shown]
	ds_write2_b64 v186, v[4:5], v[6:7] offset0:90 offset1:91
	ds_write2_b64 v186, v[0:1], v[2:3] offset0:92 offset1:93
	s_waitcnt vmcnt(48)
	ds_write2_b64 v186, v[188:189], v[190:191] offset0:94 offset1:95
	ds_read2_b64 v[224:227], v185 offset1:1
	s_waitcnt lgkmcnt(0)
	v_cmp_neq_f64_e32 vcc, 0, v[224:225]
	v_cmp_neq_f64_e64 s[2:3], 0, v[226:227]
	s_or_b64 s[2:3], vcc, s[2:3]
	s_and_b64 exec, exec, s[2:3]
	s_cbranch_execz .LBB95_368
; %bb.363:
	v_cmp_ngt_f64_e64 s[2:3], |v[224:225]|, |v[226:227]|
                                        ; implicit-def: $vgpr228_vgpr229
	s_and_saveexec_b64 s[10:11], s[2:3]
	s_xor_b64 s[2:3], exec, s[10:11]
                                        ; implicit-def: $vgpr230_vgpr231
	s_cbranch_execz .LBB95_365
; %bb.364:
	v_div_scale_f64 v[228:229], s[10:11], v[226:227], v[226:227], v[224:225]
	v_rcp_f64_e32 v[230:231], v[228:229]
	v_div_scale_f64 v[232:233], vcc, v[224:225], v[226:227], v[224:225]
	v_fma_f64 v[234:235], -v[228:229], v[230:231], 1.0
	v_fmac_f64_e32 v[230:231], v[230:231], v[234:235]
	v_fma_f64 v[234:235], -v[228:229], v[230:231], 1.0
	v_fmac_f64_e32 v[230:231], v[230:231], v[234:235]
	v_mul_f64 v[234:235], v[232:233], v[230:231]
	v_fma_f64 v[228:229], -v[228:229], v[234:235], v[232:233]
	v_div_fmas_f64 v[228:229], v[228:229], v[230:231], v[234:235]
	v_div_fixup_f64 v[228:229], v[228:229], v[226:227], v[224:225]
	v_fmac_f64_e32 v[226:227], v[224:225], v[228:229]
	v_div_scale_f64 v[224:225], s[10:11], v[226:227], v[226:227], 1.0
	v_rcp_f64_e32 v[230:231], v[224:225]
	s_nop 0
	v_fma_f64 v[232:233], -v[224:225], v[230:231], 1.0
	v_fmac_f64_e32 v[230:231], v[230:231], v[232:233]
	v_fma_f64 v[232:233], -v[224:225], v[230:231], 1.0
	v_fmac_f64_e32 v[230:231], v[230:231], v[232:233]
	v_div_scale_f64 v[232:233], vcc, 1.0, v[226:227], 1.0
	v_mul_f64 v[234:235], v[232:233], v[230:231]
	v_fma_f64 v[224:225], -v[224:225], v[234:235], v[232:233]
	s_nop 1
	v_div_fmas_f64 v[224:225], v[224:225], v[230:231], v[234:235]
	v_div_fixup_f64 v[230:231], v[224:225], v[226:227], 1.0
	v_mul_f64 v[228:229], v[228:229], v[230:231]
	v_xor_b32_e32 v231, 0x80000000, v231
                                        ; implicit-def: $vgpr224_vgpr225
.LBB95_365:
	s_andn2_saveexec_b64 s[2:3], s[2:3]
	s_cbranch_execz .LBB95_367
; %bb.366:
	v_div_scale_f64 v[228:229], s[10:11], v[224:225], v[224:225], v[226:227]
	v_rcp_f64_e32 v[230:231], v[228:229]
	v_div_scale_f64 v[232:233], vcc, v[226:227], v[224:225], v[226:227]
	v_fma_f64 v[234:235], -v[228:229], v[230:231], 1.0
	v_fmac_f64_e32 v[230:231], v[230:231], v[234:235]
	v_fma_f64 v[234:235], -v[228:229], v[230:231], 1.0
	v_fmac_f64_e32 v[230:231], v[230:231], v[234:235]
	v_mul_f64 v[234:235], v[232:233], v[230:231]
	v_fma_f64 v[228:229], -v[228:229], v[234:235], v[232:233]
	v_div_fmas_f64 v[228:229], v[228:229], v[230:231], v[234:235]
	v_div_fixup_f64 v[230:231], v[228:229], v[224:225], v[226:227]
	v_fmac_f64_e32 v[224:225], v[226:227], v[230:231]
	v_div_scale_f64 v[226:227], s[10:11], v[224:225], v[224:225], 1.0
	v_rcp_f64_e32 v[228:229], v[226:227]
	s_nop 0
	v_fma_f64 v[232:233], -v[226:227], v[228:229], 1.0
	v_fmac_f64_e32 v[228:229], v[228:229], v[232:233]
	v_fma_f64 v[232:233], -v[226:227], v[228:229], 1.0
	v_fmac_f64_e32 v[228:229], v[228:229], v[232:233]
	v_div_scale_f64 v[232:233], vcc, 1.0, v[224:225], 1.0
	v_mul_f64 v[234:235], v[232:233], v[228:229]
	v_fma_f64 v[226:227], -v[226:227], v[234:235], v[232:233]
	s_nop 1
	v_div_fmas_f64 v[226:227], v[226:227], v[228:229], v[234:235]
	v_div_fixup_f64 v[228:229], v[226:227], v[224:225], 1.0
	v_mul_f64 v[230:231], v[230:231], -v[228:229]
.LBB95_367:
	s_or_b64 exec, exec, s[2:3]
	ds_write2_b64 v185, v[228:229], v[230:231] offset1:1
.LBB95_368:
	s_or_b64 exec, exec, s[4:5]
	s_waitcnt lgkmcnt(0)
	s_barrier
	ds_read2_b64 v[224:227], v185 offset1:1
	v_cmp_lt_u32_e32 vcc, 40, v184
	s_and_saveexec_b64 s[2:3], vcc
	s_cbranch_execz .LBB95_370
; %bb.369:
	ds_read2_b64 v[230:233], v186 offset0:82 offset1:83
	s_waitcnt vmcnt(54) lgkmcnt(1)
	v_mul_f64 v[228:229], v[224:225], v[26:27]
	v_fmac_f64_e32 v[228:229], v[226:227], v[24:25]
	v_mul_f64 v[26:27], v[226:227], v[26:27]
	v_fma_f64 v[24:25], v[224:225], v[24:25], -v[26:27]
	s_waitcnt lgkmcnt(0)
	v_mul_f64 v[26:27], v[232:233], v[228:229]
	v_fma_f64 v[26:27], v[230:231], v[24:25], -v[26:27]
	v_mul_f64 v[230:231], v[230:231], v[228:229]
	v_fmac_f64_e32 v[230:231], v[232:233], v[24:25]
	s_waitcnt vmcnt(53)
	v_add_f64 v[22:23], v[22:23], -v[230:231]
	ds_read2_b64 v[230:233], v186 offset0:84 offset1:85
	v_add_f64 v[20:21], v[20:21], -v[26:27]
	s_waitcnt lgkmcnt(0)
	v_mul_f64 v[26:27], v[232:233], v[228:229]
	v_fma_f64 v[26:27], v[230:231], v[24:25], -v[26:27]
	v_mul_f64 v[230:231], v[230:231], v[228:229]
	v_fmac_f64_e32 v[230:231], v[232:233], v[24:25]
	s_waitcnt vmcnt(52)
	v_add_f64 v[18:19], v[18:19], -v[230:231]
	ds_read2_b64 v[230:233], v186 offset0:86 offset1:87
	v_add_f64 v[16:17], v[16:17], -v[26:27]
	;; [unrolled: 9-line block ×4, first 2 shown]
	s_waitcnt lgkmcnt(0)
	v_mul_f64 v[26:27], v[232:233], v[228:229]
	v_fma_f64 v[26:27], v[230:231], v[24:25], -v[26:27]
	v_mul_f64 v[230:231], v[230:231], v[228:229]
	v_fmac_f64_e32 v[230:231], v[232:233], v[24:25]
	v_add_f64 v[6:7], v[6:7], -v[230:231]
	ds_read2_b64 v[230:233], v186 offset0:92 offset1:93
	v_add_f64 v[4:5], v[4:5], -v[26:27]
	s_waitcnt lgkmcnt(0)
	v_mul_f64 v[26:27], v[232:233], v[228:229]
	v_fma_f64 v[26:27], v[230:231], v[24:25], -v[26:27]
	v_mul_f64 v[230:231], v[230:231], v[228:229]
	v_fmac_f64_e32 v[230:231], v[232:233], v[24:25]
	v_add_f64 v[2:3], v[2:3], -v[230:231]
	ds_read2_b64 v[230:233], v186 offset0:94 offset1:95
	v_add_f64 v[0:1], v[0:1], -v[26:27]
	s_waitcnt lgkmcnt(0)
	v_mul_f64 v[26:27], v[232:233], v[228:229]
	v_fma_f64 v[26:27], v[230:231], v[24:25], -v[26:27]
	v_mul_f64 v[230:231], v[230:231], v[228:229]
	v_fmac_f64_e32 v[230:231], v[232:233], v[24:25]
	s_waitcnt vmcnt(48)
	v_add_f64 v[188:189], v[188:189], -v[26:27]
	v_add_f64 v[190:191], v[190:191], -v[230:231]
	v_mov_b64_e32 v[26:27], v[228:229]
.LBB95_370:
	s_or_b64 exec, exec, s[2:3]
	v_cmp_eq_u32_e32 vcc, 41, v184
	s_waitcnt lgkmcnt(0)
	s_barrier
	s_and_saveexec_b64 s[4:5], vcc
	s_cbranch_execz .LBB95_377
; %bb.371:
	s_waitcnt vmcnt(53)
	ds_write2_b64 v185, v[20:21], v[22:23] offset1:1
	s_waitcnt vmcnt(52)
	ds_write2_b64 v186, v[16:17], v[18:19] offset0:84 offset1:85
	s_waitcnt vmcnt(51)
	ds_write2_b64 v186, v[12:13], v[14:15] offset0:86 offset1:87
	;; [unrolled: 2-line block ×3, first 2 shown]
	ds_write2_b64 v186, v[4:5], v[6:7] offset0:90 offset1:91
	ds_write2_b64 v186, v[0:1], v[2:3] offset0:92 offset1:93
	s_waitcnt vmcnt(48)
	ds_write2_b64 v186, v[188:189], v[190:191] offset0:94 offset1:95
	ds_read2_b64 v[228:231], v185 offset1:1
	s_waitcnt lgkmcnt(0)
	v_cmp_neq_f64_e32 vcc, 0, v[228:229]
	v_cmp_neq_f64_e64 s[2:3], 0, v[230:231]
	s_or_b64 s[2:3], vcc, s[2:3]
	s_and_b64 exec, exec, s[2:3]
	s_cbranch_execz .LBB95_377
; %bb.372:
	v_cmp_ngt_f64_e64 s[2:3], |v[228:229]|, |v[230:231]|
                                        ; implicit-def: $vgpr232_vgpr233
	s_and_saveexec_b64 s[10:11], s[2:3]
	s_xor_b64 s[2:3], exec, s[10:11]
                                        ; implicit-def: $vgpr234_vgpr235
	s_cbranch_execz .LBB95_374
; %bb.373:
	v_div_scale_f64 v[232:233], s[10:11], v[230:231], v[230:231], v[228:229]
	v_rcp_f64_e32 v[234:235], v[232:233]
	v_div_scale_f64 v[236:237], vcc, v[228:229], v[230:231], v[228:229]
	v_fma_f64 v[238:239], -v[232:233], v[234:235], 1.0
	v_fmac_f64_e32 v[234:235], v[234:235], v[238:239]
	v_fma_f64 v[238:239], -v[232:233], v[234:235], 1.0
	v_fmac_f64_e32 v[234:235], v[234:235], v[238:239]
	v_mul_f64 v[238:239], v[236:237], v[234:235]
	v_fma_f64 v[232:233], -v[232:233], v[238:239], v[236:237]
	v_div_fmas_f64 v[232:233], v[232:233], v[234:235], v[238:239]
	v_div_fixup_f64 v[232:233], v[232:233], v[230:231], v[228:229]
	v_fmac_f64_e32 v[230:231], v[228:229], v[232:233]
	v_div_scale_f64 v[228:229], s[10:11], v[230:231], v[230:231], 1.0
	v_rcp_f64_e32 v[234:235], v[228:229]
	s_nop 0
	v_fma_f64 v[236:237], -v[228:229], v[234:235], 1.0
	v_fmac_f64_e32 v[234:235], v[234:235], v[236:237]
	v_fma_f64 v[236:237], -v[228:229], v[234:235], 1.0
	v_fmac_f64_e32 v[234:235], v[234:235], v[236:237]
	v_div_scale_f64 v[236:237], vcc, 1.0, v[230:231], 1.0
	v_mul_f64 v[238:239], v[236:237], v[234:235]
	v_fma_f64 v[228:229], -v[228:229], v[238:239], v[236:237]
	s_nop 1
	v_div_fmas_f64 v[228:229], v[228:229], v[234:235], v[238:239]
	v_div_fixup_f64 v[234:235], v[228:229], v[230:231], 1.0
	v_mul_f64 v[232:233], v[232:233], v[234:235]
	v_xor_b32_e32 v235, 0x80000000, v235
                                        ; implicit-def: $vgpr228_vgpr229
.LBB95_374:
	s_andn2_saveexec_b64 s[2:3], s[2:3]
	s_cbranch_execz .LBB95_376
; %bb.375:
	v_div_scale_f64 v[232:233], s[10:11], v[228:229], v[228:229], v[230:231]
	v_rcp_f64_e32 v[234:235], v[232:233]
	v_div_scale_f64 v[236:237], vcc, v[230:231], v[228:229], v[230:231]
	v_fma_f64 v[238:239], -v[232:233], v[234:235], 1.0
	v_fmac_f64_e32 v[234:235], v[234:235], v[238:239]
	v_fma_f64 v[238:239], -v[232:233], v[234:235], 1.0
	v_fmac_f64_e32 v[234:235], v[234:235], v[238:239]
	v_mul_f64 v[238:239], v[236:237], v[234:235]
	v_fma_f64 v[232:233], -v[232:233], v[238:239], v[236:237]
	v_div_fmas_f64 v[232:233], v[232:233], v[234:235], v[238:239]
	v_div_fixup_f64 v[234:235], v[232:233], v[228:229], v[230:231]
	v_fmac_f64_e32 v[228:229], v[230:231], v[234:235]
	v_div_scale_f64 v[230:231], s[10:11], v[228:229], v[228:229], 1.0
	v_rcp_f64_e32 v[232:233], v[230:231]
	s_nop 0
	v_fma_f64 v[236:237], -v[230:231], v[232:233], 1.0
	v_fmac_f64_e32 v[232:233], v[232:233], v[236:237]
	v_fma_f64 v[236:237], -v[230:231], v[232:233], 1.0
	v_fmac_f64_e32 v[232:233], v[232:233], v[236:237]
	v_div_scale_f64 v[236:237], vcc, 1.0, v[228:229], 1.0
	v_mul_f64 v[238:239], v[236:237], v[232:233]
	v_fma_f64 v[230:231], -v[230:231], v[238:239], v[236:237]
	s_nop 1
	v_div_fmas_f64 v[230:231], v[230:231], v[232:233], v[238:239]
	v_div_fixup_f64 v[232:233], v[230:231], v[228:229], 1.0
	v_mul_f64 v[234:235], v[234:235], -v[232:233]
.LBB95_376:
	s_or_b64 exec, exec, s[2:3]
	ds_write2_b64 v185, v[232:233], v[234:235] offset1:1
.LBB95_377:
	s_or_b64 exec, exec, s[4:5]
	s_waitcnt lgkmcnt(0)
	s_barrier
	ds_read2_b64 v[228:231], v185 offset1:1
	v_cmp_lt_u32_e32 vcc, 41, v184
	s_and_saveexec_b64 s[2:3], vcc
	s_cbranch_execz .LBB95_379
; %bb.378:
	ds_read2_b64 v[232:235], v186 offset0:84 offset1:85
	s_waitcnt vmcnt(53) lgkmcnt(1)
	v_mul_f64 v[236:237], v[228:229], v[22:23]
	v_fmac_f64_e32 v[236:237], v[230:231], v[20:21]
	v_mul_f64 v[22:23], v[230:231], v[22:23]
	v_fma_f64 v[20:21], v[228:229], v[20:21], -v[22:23]
	s_waitcnt lgkmcnt(0)
	v_mul_f64 v[22:23], v[234:235], v[236:237]
	v_fma_f64 v[22:23], v[232:233], v[20:21], -v[22:23]
	v_mul_f64 v[232:233], v[232:233], v[236:237]
	v_fmac_f64_e32 v[232:233], v[234:235], v[20:21]
	s_waitcnt vmcnt(52)
	v_add_f64 v[18:19], v[18:19], -v[232:233]
	ds_read2_b64 v[232:235], v186 offset0:86 offset1:87
	v_add_f64 v[16:17], v[16:17], -v[22:23]
	s_waitcnt lgkmcnt(0)
	v_mul_f64 v[22:23], v[234:235], v[236:237]
	v_fma_f64 v[22:23], v[232:233], v[20:21], -v[22:23]
	v_mul_f64 v[232:233], v[232:233], v[236:237]
	v_fmac_f64_e32 v[232:233], v[234:235], v[20:21]
	s_waitcnt vmcnt(51)
	v_add_f64 v[14:15], v[14:15], -v[232:233]
	ds_read2_b64 v[232:235], v186 offset0:88 offset1:89
	v_add_f64 v[12:13], v[12:13], -v[22:23]
	;; [unrolled: 9-line block ×3, first 2 shown]
	s_waitcnt lgkmcnt(0)
	v_mul_f64 v[22:23], v[234:235], v[236:237]
	v_fma_f64 v[22:23], v[232:233], v[20:21], -v[22:23]
	v_mul_f64 v[232:233], v[232:233], v[236:237]
	v_fmac_f64_e32 v[232:233], v[234:235], v[20:21]
	v_add_f64 v[6:7], v[6:7], -v[232:233]
	ds_read2_b64 v[232:235], v186 offset0:92 offset1:93
	v_add_f64 v[4:5], v[4:5], -v[22:23]
	s_waitcnt lgkmcnt(0)
	v_mul_f64 v[22:23], v[234:235], v[236:237]
	v_fma_f64 v[22:23], v[232:233], v[20:21], -v[22:23]
	v_mul_f64 v[232:233], v[232:233], v[236:237]
	v_fmac_f64_e32 v[232:233], v[234:235], v[20:21]
	v_add_f64 v[2:3], v[2:3], -v[232:233]
	ds_read2_b64 v[232:235], v186 offset0:94 offset1:95
	v_add_f64 v[0:1], v[0:1], -v[22:23]
	s_waitcnt lgkmcnt(0)
	v_mul_f64 v[22:23], v[234:235], v[236:237]
	v_fma_f64 v[22:23], v[232:233], v[20:21], -v[22:23]
	v_mul_f64 v[232:233], v[232:233], v[236:237]
	v_fmac_f64_e32 v[232:233], v[234:235], v[20:21]
	s_waitcnt vmcnt(48)
	v_add_f64 v[188:189], v[188:189], -v[22:23]
	v_add_f64 v[190:191], v[190:191], -v[232:233]
	v_mov_b64_e32 v[22:23], v[236:237]
.LBB95_379:
	s_or_b64 exec, exec, s[2:3]
	v_cmp_eq_u32_e32 vcc, 42, v184
	s_waitcnt lgkmcnt(0)
	s_barrier
	s_and_saveexec_b64 s[4:5], vcc
	s_cbranch_execz .LBB95_386
; %bb.380:
	s_waitcnt vmcnt(52)
	ds_write2_b64 v185, v[16:17], v[18:19] offset1:1
	s_waitcnt vmcnt(51)
	ds_write2_b64 v186, v[12:13], v[14:15] offset0:86 offset1:87
	s_waitcnt vmcnt(50)
	ds_write2_b64 v186, v[8:9], v[10:11] offset0:88 offset1:89
	ds_write2_b64 v186, v[4:5], v[6:7] offset0:90 offset1:91
	;; [unrolled: 1-line block ×3, first 2 shown]
	s_waitcnt vmcnt(48)
	ds_write2_b64 v186, v[188:189], v[190:191] offset0:94 offset1:95
	ds_read2_b64 v[232:235], v185 offset1:1
	s_waitcnt lgkmcnt(0)
	v_cmp_neq_f64_e32 vcc, 0, v[232:233]
	v_cmp_neq_f64_e64 s[2:3], 0, v[234:235]
	s_or_b64 s[2:3], vcc, s[2:3]
	s_and_b64 exec, exec, s[2:3]
	s_cbranch_execz .LBB95_386
; %bb.381:
	v_cmp_ngt_f64_e64 s[2:3], |v[232:233]|, |v[234:235]|
                                        ; implicit-def: $vgpr236_vgpr237
	s_and_saveexec_b64 s[10:11], s[2:3]
	s_xor_b64 s[2:3], exec, s[10:11]
                                        ; implicit-def: $vgpr238_vgpr239
	s_cbranch_execz .LBB95_383
; %bb.382:
	v_div_scale_f64 v[236:237], s[10:11], v[234:235], v[234:235], v[232:233]
	v_rcp_f64_e32 v[238:239], v[236:237]
	v_div_scale_f64 v[240:241], vcc, v[232:233], v[234:235], v[232:233]
	v_fma_f64 v[242:243], -v[236:237], v[238:239], 1.0
	v_fmac_f64_e32 v[238:239], v[238:239], v[242:243]
	v_fma_f64 v[242:243], -v[236:237], v[238:239], 1.0
	v_fmac_f64_e32 v[238:239], v[238:239], v[242:243]
	v_mul_f64 v[242:243], v[240:241], v[238:239]
	v_fma_f64 v[236:237], -v[236:237], v[242:243], v[240:241]
	v_div_fmas_f64 v[236:237], v[236:237], v[238:239], v[242:243]
	v_div_fixup_f64 v[236:237], v[236:237], v[234:235], v[232:233]
	v_fmac_f64_e32 v[234:235], v[232:233], v[236:237]
	v_div_scale_f64 v[232:233], s[10:11], v[234:235], v[234:235], 1.0
	v_rcp_f64_e32 v[238:239], v[232:233]
	s_nop 0
	v_fma_f64 v[240:241], -v[232:233], v[238:239], 1.0
	v_fmac_f64_e32 v[238:239], v[238:239], v[240:241]
	v_fma_f64 v[240:241], -v[232:233], v[238:239], 1.0
	v_fmac_f64_e32 v[238:239], v[238:239], v[240:241]
	v_div_scale_f64 v[240:241], vcc, 1.0, v[234:235], 1.0
	v_mul_f64 v[242:243], v[240:241], v[238:239]
	v_fma_f64 v[232:233], -v[232:233], v[242:243], v[240:241]
	s_nop 1
	v_div_fmas_f64 v[232:233], v[232:233], v[238:239], v[242:243]
	v_div_fixup_f64 v[238:239], v[232:233], v[234:235], 1.0
	v_mul_f64 v[236:237], v[236:237], v[238:239]
	v_xor_b32_e32 v239, 0x80000000, v239
                                        ; implicit-def: $vgpr232_vgpr233
.LBB95_383:
	s_andn2_saveexec_b64 s[2:3], s[2:3]
	s_cbranch_execz .LBB95_385
; %bb.384:
	v_div_scale_f64 v[236:237], s[10:11], v[232:233], v[232:233], v[234:235]
	v_rcp_f64_e32 v[238:239], v[236:237]
	v_div_scale_f64 v[240:241], vcc, v[234:235], v[232:233], v[234:235]
	v_fma_f64 v[242:243], -v[236:237], v[238:239], 1.0
	v_fmac_f64_e32 v[238:239], v[238:239], v[242:243]
	v_fma_f64 v[242:243], -v[236:237], v[238:239], 1.0
	v_fmac_f64_e32 v[238:239], v[238:239], v[242:243]
	v_mul_f64 v[242:243], v[240:241], v[238:239]
	v_fma_f64 v[236:237], -v[236:237], v[242:243], v[240:241]
	v_div_fmas_f64 v[236:237], v[236:237], v[238:239], v[242:243]
	v_div_fixup_f64 v[238:239], v[236:237], v[232:233], v[234:235]
	v_fmac_f64_e32 v[232:233], v[234:235], v[238:239]
	v_div_scale_f64 v[234:235], s[10:11], v[232:233], v[232:233], 1.0
	v_rcp_f64_e32 v[236:237], v[234:235]
	s_nop 0
	v_fma_f64 v[240:241], -v[234:235], v[236:237], 1.0
	v_fmac_f64_e32 v[236:237], v[236:237], v[240:241]
	v_fma_f64 v[240:241], -v[234:235], v[236:237], 1.0
	v_fmac_f64_e32 v[236:237], v[236:237], v[240:241]
	v_div_scale_f64 v[240:241], vcc, 1.0, v[232:233], 1.0
	v_mul_f64 v[242:243], v[240:241], v[236:237]
	v_fma_f64 v[234:235], -v[234:235], v[242:243], v[240:241]
	s_nop 1
	v_div_fmas_f64 v[234:235], v[234:235], v[236:237], v[242:243]
	v_div_fixup_f64 v[236:237], v[234:235], v[232:233], 1.0
	v_mul_f64 v[238:239], v[238:239], -v[236:237]
.LBB95_385:
	s_or_b64 exec, exec, s[2:3]
	ds_write2_b64 v185, v[236:237], v[238:239] offset1:1
.LBB95_386:
	s_or_b64 exec, exec, s[4:5]
	s_waitcnt lgkmcnt(0)
	s_barrier
	ds_read2_b64 v[232:235], v185 offset1:1
	v_cmp_lt_u32_e32 vcc, 42, v184
	s_and_saveexec_b64 s[2:3], vcc
	s_cbranch_execz .LBB95_388
; %bb.387:
	ds_read2_b64 v[236:239], v186 offset0:86 offset1:87
	s_waitcnt vmcnt(52) lgkmcnt(1)
	v_mul_f64 v[240:241], v[232:233], v[18:19]
	v_fmac_f64_e32 v[240:241], v[234:235], v[16:17]
	v_mul_f64 v[18:19], v[234:235], v[18:19]
	v_fma_f64 v[16:17], v[232:233], v[16:17], -v[18:19]
	s_waitcnt lgkmcnt(0)
	v_mul_f64 v[18:19], v[238:239], v[240:241]
	v_fma_f64 v[18:19], v[236:237], v[16:17], -v[18:19]
	v_mul_f64 v[236:237], v[236:237], v[240:241]
	v_fmac_f64_e32 v[236:237], v[238:239], v[16:17]
	s_waitcnt vmcnt(51)
	v_add_f64 v[14:15], v[14:15], -v[236:237]
	ds_read2_b64 v[236:239], v186 offset0:88 offset1:89
	v_add_f64 v[12:13], v[12:13], -v[18:19]
	s_waitcnt lgkmcnt(0)
	v_mul_f64 v[18:19], v[238:239], v[240:241]
	v_fma_f64 v[18:19], v[236:237], v[16:17], -v[18:19]
	v_mul_f64 v[236:237], v[236:237], v[240:241]
	v_fmac_f64_e32 v[236:237], v[238:239], v[16:17]
	s_waitcnt vmcnt(50)
	v_add_f64 v[10:11], v[10:11], -v[236:237]
	ds_read2_b64 v[236:239], v186 offset0:90 offset1:91
	v_add_f64 v[8:9], v[8:9], -v[18:19]
	s_waitcnt lgkmcnt(0)
	v_mul_f64 v[18:19], v[238:239], v[240:241]
	v_fma_f64 v[18:19], v[236:237], v[16:17], -v[18:19]
	v_mul_f64 v[236:237], v[236:237], v[240:241]
	v_fmac_f64_e32 v[236:237], v[238:239], v[16:17]
	v_add_f64 v[6:7], v[6:7], -v[236:237]
	ds_read2_b64 v[236:239], v186 offset0:92 offset1:93
	v_add_f64 v[4:5], v[4:5], -v[18:19]
	s_waitcnt lgkmcnt(0)
	v_mul_f64 v[18:19], v[238:239], v[240:241]
	v_fma_f64 v[18:19], v[236:237], v[16:17], -v[18:19]
	v_mul_f64 v[236:237], v[236:237], v[240:241]
	v_fmac_f64_e32 v[236:237], v[238:239], v[16:17]
	;; [unrolled: 8-line block ×3, first 2 shown]
	s_waitcnt vmcnt(48)
	v_add_f64 v[188:189], v[188:189], -v[18:19]
	v_add_f64 v[190:191], v[190:191], -v[236:237]
	v_mov_b64_e32 v[18:19], v[240:241]
.LBB95_388:
	s_or_b64 exec, exec, s[2:3]
	v_cmp_eq_u32_e32 vcc, 43, v184
	s_waitcnt lgkmcnt(0)
	s_barrier
	s_and_saveexec_b64 s[4:5], vcc
	s_cbranch_execz .LBB95_395
; %bb.389:
	s_waitcnt vmcnt(51)
	ds_write2_b64 v185, v[12:13], v[14:15] offset1:1
	s_waitcnt vmcnt(50)
	ds_write2_b64 v186, v[8:9], v[10:11] offset0:88 offset1:89
	ds_write2_b64 v186, v[4:5], v[6:7] offset0:90 offset1:91
	;; [unrolled: 1-line block ×3, first 2 shown]
	s_waitcnt vmcnt(48)
	ds_write2_b64 v186, v[188:189], v[190:191] offset0:94 offset1:95
	ds_read2_b64 v[236:239], v185 offset1:1
	s_waitcnt lgkmcnt(0)
	v_cmp_neq_f64_e32 vcc, 0, v[236:237]
	v_cmp_neq_f64_e64 s[2:3], 0, v[238:239]
	s_or_b64 s[2:3], vcc, s[2:3]
	s_and_b64 exec, exec, s[2:3]
	s_cbranch_execz .LBB95_395
; %bb.390:
	v_cmp_ngt_f64_e64 s[2:3], |v[236:237]|, |v[238:239]|
                                        ; implicit-def: $vgpr240_vgpr241
	s_and_saveexec_b64 s[10:11], s[2:3]
	s_xor_b64 s[2:3], exec, s[10:11]
                                        ; implicit-def: $vgpr242_vgpr243
	s_cbranch_execz .LBB95_392
; %bb.391:
	v_div_scale_f64 v[240:241], s[10:11], v[238:239], v[238:239], v[236:237]
	v_rcp_f64_e32 v[242:243], v[240:241]
	v_div_scale_f64 v[244:245], vcc, v[236:237], v[238:239], v[236:237]
	v_fma_f64 v[246:247], -v[240:241], v[242:243], 1.0
	v_fmac_f64_e32 v[242:243], v[242:243], v[246:247]
	v_fma_f64 v[246:247], -v[240:241], v[242:243], 1.0
	v_fmac_f64_e32 v[242:243], v[242:243], v[246:247]
	v_mul_f64 v[246:247], v[244:245], v[242:243]
	v_fma_f64 v[240:241], -v[240:241], v[246:247], v[244:245]
	v_div_fmas_f64 v[240:241], v[240:241], v[242:243], v[246:247]
	v_div_fixup_f64 v[240:241], v[240:241], v[238:239], v[236:237]
	v_fmac_f64_e32 v[238:239], v[236:237], v[240:241]
	v_div_scale_f64 v[236:237], s[10:11], v[238:239], v[238:239], 1.0
	v_rcp_f64_e32 v[242:243], v[236:237]
	s_nop 0
	v_fma_f64 v[244:245], -v[236:237], v[242:243], 1.0
	v_fmac_f64_e32 v[242:243], v[242:243], v[244:245]
	v_fma_f64 v[244:245], -v[236:237], v[242:243], 1.0
	v_fmac_f64_e32 v[242:243], v[242:243], v[244:245]
	v_div_scale_f64 v[244:245], vcc, 1.0, v[238:239], 1.0
	v_mul_f64 v[246:247], v[244:245], v[242:243]
	v_fma_f64 v[236:237], -v[236:237], v[246:247], v[244:245]
	s_nop 1
	v_div_fmas_f64 v[236:237], v[236:237], v[242:243], v[246:247]
	v_div_fixup_f64 v[242:243], v[236:237], v[238:239], 1.0
	v_mul_f64 v[240:241], v[240:241], v[242:243]
	v_xor_b32_e32 v243, 0x80000000, v243
                                        ; implicit-def: $vgpr236_vgpr237
.LBB95_392:
	s_andn2_saveexec_b64 s[2:3], s[2:3]
	s_cbranch_execz .LBB95_394
; %bb.393:
	v_div_scale_f64 v[240:241], s[10:11], v[236:237], v[236:237], v[238:239]
	v_rcp_f64_e32 v[242:243], v[240:241]
	v_div_scale_f64 v[244:245], vcc, v[238:239], v[236:237], v[238:239]
	v_fma_f64 v[246:247], -v[240:241], v[242:243], 1.0
	v_fmac_f64_e32 v[242:243], v[242:243], v[246:247]
	v_fma_f64 v[246:247], -v[240:241], v[242:243], 1.0
	v_fmac_f64_e32 v[242:243], v[242:243], v[246:247]
	v_mul_f64 v[246:247], v[244:245], v[242:243]
	v_fma_f64 v[240:241], -v[240:241], v[246:247], v[244:245]
	v_div_fmas_f64 v[240:241], v[240:241], v[242:243], v[246:247]
	v_div_fixup_f64 v[242:243], v[240:241], v[236:237], v[238:239]
	v_fmac_f64_e32 v[236:237], v[238:239], v[242:243]
	v_div_scale_f64 v[238:239], s[10:11], v[236:237], v[236:237], 1.0
	v_rcp_f64_e32 v[240:241], v[238:239]
	s_nop 0
	v_fma_f64 v[244:245], -v[238:239], v[240:241], 1.0
	v_fmac_f64_e32 v[240:241], v[240:241], v[244:245]
	v_fma_f64 v[244:245], -v[238:239], v[240:241], 1.0
	v_fmac_f64_e32 v[240:241], v[240:241], v[244:245]
	v_div_scale_f64 v[244:245], vcc, 1.0, v[236:237], 1.0
	v_mul_f64 v[246:247], v[244:245], v[240:241]
	v_fma_f64 v[238:239], -v[238:239], v[246:247], v[244:245]
	s_nop 1
	v_div_fmas_f64 v[238:239], v[238:239], v[240:241], v[246:247]
	v_div_fixup_f64 v[240:241], v[238:239], v[236:237], 1.0
	v_mul_f64 v[242:243], v[242:243], -v[240:241]
.LBB95_394:
	s_or_b64 exec, exec, s[2:3]
	ds_write2_b64 v185, v[240:241], v[242:243] offset1:1
.LBB95_395:
	s_or_b64 exec, exec, s[4:5]
	s_waitcnt lgkmcnt(0)
	s_barrier
	ds_read2_b64 v[236:239], v185 offset1:1
	v_cmp_lt_u32_e32 vcc, 43, v184
	s_and_saveexec_b64 s[2:3], vcc
	s_cbranch_execz .LBB95_397
; %bb.396:
	ds_read2_b64 v[240:243], v186 offset0:88 offset1:89
	s_waitcnt vmcnt(51) lgkmcnt(1)
	v_mul_f64 v[244:245], v[236:237], v[14:15]
	v_fmac_f64_e32 v[244:245], v[238:239], v[12:13]
	v_mul_f64 v[14:15], v[238:239], v[14:15]
	v_fma_f64 v[12:13], v[236:237], v[12:13], -v[14:15]
	s_waitcnt lgkmcnt(0)
	v_mul_f64 v[14:15], v[242:243], v[244:245]
	v_fma_f64 v[14:15], v[240:241], v[12:13], -v[14:15]
	v_mul_f64 v[240:241], v[240:241], v[244:245]
	v_fmac_f64_e32 v[240:241], v[242:243], v[12:13]
	s_waitcnt vmcnt(50)
	v_add_f64 v[10:11], v[10:11], -v[240:241]
	ds_read2_b64 v[240:243], v186 offset0:90 offset1:91
	v_add_f64 v[8:9], v[8:9], -v[14:15]
	s_waitcnt lgkmcnt(0)
	v_mul_f64 v[14:15], v[242:243], v[244:245]
	v_fma_f64 v[14:15], v[240:241], v[12:13], -v[14:15]
	v_mul_f64 v[240:241], v[240:241], v[244:245]
	v_fmac_f64_e32 v[240:241], v[242:243], v[12:13]
	v_add_f64 v[6:7], v[6:7], -v[240:241]
	ds_read2_b64 v[240:243], v186 offset0:92 offset1:93
	v_add_f64 v[4:5], v[4:5], -v[14:15]
	s_waitcnt lgkmcnt(0)
	v_mul_f64 v[14:15], v[242:243], v[244:245]
	v_fma_f64 v[14:15], v[240:241], v[12:13], -v[14:15]
	v_mul_f64 v[240:241], v[240:241], v[244:245]
	v_fmac_f64_e32 v[240:241], v[242:243], v[12:13]
	;; [unrolled: 8-line block ×3, first 2 shown]
	s_waitcnt vmcnt(48)
	v_add_f64 v[188:189], v[188:189], -v[14:15]
	v_add_f64 v[190:191], v[190:191], -v[240:241]
	v_mov_b64_e32 v[14:15], v[244:245]
.LBB95_397:
	s_or_b64 exec, exec, s[2:3]
	v_cmp_eq_u32_e32 vcc, 44, v184
	s_waitcnt lgkmcnt(0)
	s_barrier
	s_and_saveexec_b64 s[4:5], vcc
	s_cbranch_execz .LBB95_404
; %bb.398:
	s_waitcnt vmcnt(50)
	ds_write2_b64 v185, v[8:9], v[10:11] offset1:1
	ds_write2_b64 v186, v[4:5], v[6:7] offset0:90 offset1:91
	ds_write2_b64 v186, v[0:1], v[2:3] offset0:92 offset1:93
	s_waitcnt vmcnt(48)
	ds_write2_b64 v186, v[188:189], v[190:191] offset0:94 offset1:95
	ds_read2_b64 v[240:243], v185 offset1:1
	s_waitcnt lgkmcnt(0)
	v_cmp_neq_f64_e32 vcc, 0, v[240:241]
	v_cmp_neq_f64_e64 s[2:3], 0, v[242:243]
	s_or_b64 s[2:3], vcc, s[2:3]
	s_and_b64 exec, exec, s[2:3]
	s_cbranch_execz .LBB95_404
; %bb.399:
	v_cmp_ngt_f64_e64 s[2:3], |v[240:241]|, |v[242:243]|
                                        ; implicit-def: $vgpr244_vgpr245
	s_and_saveexec_b64 s[10:11], s[2:3]
	s_xor_b64 s[2:3], exec, s[10:11]
                                        ; implicit-def: $vgpr246_vgpr247
	s_cbranch_execz .LBB95_401
; %bb.400:
	v_div_scale_f64 v[244:245], s[10:11], v[242:243], v[242:243], v[240:241]
	v_rcp_f64_e32 v[246:247], v[244:245]
	v_div_scale_f64 v[248:249], vcc, v[240:241], v[242:243], v[240:241]
	v_fma_f64 v[250:251], -v[244:245], v[246:247], 1.0
	v_fmac_f64_e32 v[246:247], v[246:247], v[250:251]
	v_fma_f64 v[250:251], -v[244:245], v[246:247], 1.0
	v_fmac_f64_e32 v[246:247], v[246:247], v[250:251]
	v_mul_f64 v[250:251], v[248:249], v[246:247]
	v_fma_f64 v[244:245], -v[244:245], v[250:251], v[248:249]
	v_div_fmas_f64 v[244:245], v[244:245], v[246:247], v[250:251]
	v_div_fixup_f64 v[244:245], v[244:245], v[242:243], v[240:241]
	v_fmac_f64_e32 v[242:243], v[240:241], v[244:245]
	v_div_scale_f64 v[240:241], s[10:11], v[242:243], v[242:243], 1.0
	v_rcp_f64_e32 v[246:247], v[240:241]
	s_nop 0
	v_fma_f64 v[248:249], -v[240:241], v[246:247], 1.0
	v_fmac_f64_e32 v[246:247], v[246:247], v[248:249]
	v_fma_f64 v[248:249], -v[240:241], v[246:247], 1.0
	v_fmac_f64_e32 v[246:247], v[246:247], v[248:249]
	v_div_scale_f64 v[248:249], vcc, 1.0, v[242:243], 1.0
	v_mul_f64 v[250:251], v[248:249], v[246:247]
	v_fma_f64 v[240:241], -v[240:241], v[250:251], v[248:249]
	s_nop 1
	v_div_fmas_f64 v[240:241], v[240:241], v[246:247], v[250:251]
	v_div_fixup_f64 v[246:247], v[240:241], v[242:243], 1.0
	v_mul_f64 v[244:245], v[244:245], v[246:247]
	v_xor_b32_e32 v247, 0x80000000, v247
                                        ; implicit-def: $vgpr240_vgpr241
.LBB95_401:
	s_andn2_saveexec_b64 s[2:3], s[2:3]
	s_cbranch_execz .LBB95_403
; %bb.402:
	v_div_scale_f64 v[244:245], s[10:11], v[240:241], v[240:241], v[242:243]
	v_rcp_f64_e32 v[246:247], v[244:245]
	v_div_scale_f64 v[248:249], vcc, v[242:243], v[240:241], v[242:243]
	v_fma_f64 v[250:251], -v[244:245], v[246:247], 1.0
	v_fmac_f64_e32 v[246:247], v[246:247], v[250:251]
	v_fma_f64 v[250:251], -v[244:245], v[246:247], 1.0
	v_fmac_f64_e32 v[246:247], v[246:247], v[250:251]
	v_mul_f64 v[250:251], v[248:249], v[246:247]
	v_fma_f64 v[244:245], -v[244:245], v[250:251], v[248:249]
	v_div_fmas_f64 v[244:245], v[244:245], v[246:247], v[250:251]
	v_div_fixup_f64 v[246:247], v[244:245], v[240:241], v[242:243]
	v_fmac_f64_e32 v[240:241], v[242:243], v[246:247]
	v_div_scale_f64 v[242:243], s[10:11], v[240:241], v[240:241], 1.0
	v_rcp_f64_e32 v[244:245], v[242:243]
	s_nop 0
	v_fma_f64 v[248:249], -v[242:243], v[244:245], 1.0
	v_fmac_f64_e32 v[244:245], v[244:245], v[248:249]
	v_fma_f64 v[248:249], -v[242:243], v[244:245], 1.0
	v_fmac_f64_e32 v[244:245], v[244:245], v[248:249]
	v_div_scale_f64 v[248:249], vcc, 1.0, v[240:241], 1.0
	v_mul_f64 v[250:251], v[248:249], v[244:245]
	v_fma_f64 v[242:243], -v[242:243], v[250:251], v[248:249]
	s_nop 1
	v_div_fmas_f64 v[242:243], v[242:243], v[244:245], v[250:251]
	v_div_fixup_f64 v[244:245], v[242:243], v[240:241], 1.0
	v_mul_f64 v[246:247], v[246:247], -v[244:245]
.LBB95_403:
	s_or_b64 exec, exec, s[2:3]
	ds_write2_b64 v185, v[244:245], v[246:247] offset1:1
.LBB95_404:
	s_or_b64 exec, exec, s[4:5]
	s_waitcnt lgkmcnt(0)
	s_barrier
	ds_read2_b64 v[240:243], v185 offset1:1
	v_cmp_lt_u32_e32 vcc, 44, v184
	s_and_saveexec_b64 s[2:3], vcc
	s_cbranch_execz .LBB95_406
; %bb.405:
	ds_read2_b64 v[244:247], v186 offset0:90 offset1:91
	s_waitcnt vmcnt(50) lgkmcnt(1)
	v_mul_f64 v[248:249], v[240:241], v[10:11]
	v_fmac_f64_e32 v[248:249], v[242:243], v[8:9]
	v_mul_f64 v[10:11], v[242:243], v[10:11]
	v_fma_f64 v[8:9], v[240:241], v[8:9], -v[10:11]
	s_waitcnt lgkmcnt(0)
	v_mul_f64 v[10:11], v[246:247], v[248:249]
	v_fma_f64 v[10:11], v[244:245], v[8:9], -v[10:11]
	v_mul_f64 v[244:245], v[244:245], v[248:249]
	v_fmac_f64_e32 v[244:245], v[246:247], v[8:9]
	v_add_f64 v[6:7], v[6:7], -v[244:245]
	ds_read2_b64 v[244:247], v186 offset0:92 offset1:93
	v_add_f64 v[4:5], v[4:5], -v[10:11]
	s_waitcnt lgkmcnt(0)
	v_mul_f64 v[10:11], v[246:247], v[248:249]
	v_fma_f64 v[10:11], v[244:245], v[8:9], -v[10:11]
	v_mul_f64 v[244:245], v[244:245], v[248:249]
	v_fmac_f64_e32 v[244:245], v[246:247], v[8:9]
	v_add_f64 v[2:3], v[2:3], -v[244:245]
	ds_read2_b64 v[244:247], v186 offset0:94 offset1:95
	v_add_f64 v[0:1], v[0:1], -v[10:11]
	s_waitcnt lgkmcnt(0)
	v_mul_f64 v[10:11], v[246:247], v[248:249]
	v_fma_f64 v[10:11], v[244:245], v[8:9], -v[10:11]
	v_mul_f64 v[244:245], v[244:245], v[248:249]
	v_fmac_f64_e32 v[244:245], v[246:247], v[8:9]
	s_waitcnt vmcnt(48)
	v_add_f64 v[188:189], v[188:189], -v[10:11]
	v_add_f64 v[190:191], v[190:191], -v[244:245]
	v_mov_b64_e32 v[10:11], v[248:249]
.LBB95_406:
	s_or_b64 exec, exec, s[2:3]
	v_cmp_eq_u32_e32 vcc, 45, v184
	s_waitcnt lgkmcnt(0)
	s_barrier
	s_and_saveexec_b64 s[4:5], vcc
	s_cbranch_execz .LBB95_413
; %bb.407:
	ds_write2_b64 v185, v[4:5], v[6:7] offset1:1
	ds_write2_b64 v186, v[0:1], v[2:3] offset0:92 offset1:93
	s_waitcnt vmcnt(48)
	ds_write2_b64 v186, v[188:189], v[190:191] offset0:94 offset1:95
	ds_read2_b64 v[244:247], v185 offset1:1
	s_waitcnt lgkmcnt(0)
	v_cmp_neq_f64_e32 vcc, 0, v[244:245]
	v_cmp_neq_f64_e64 s[2:3], 0, v[246:247]
	s_or_b64 s[2:3], vcc, s[2:3]
	s_and_b64 exec, exec, s[2:3]
	s_cbranch_execz .LBB95_413
; %bb.408:
	v_cmp_ngt_f64_e64 s[2:3], |v[244:245]|, |v[246:247]|
                                        ; implicit-def: $vgpr248_vgpr249
	s_and_saveexec_b64 s[10:11], s[2:3]
	s_xor_b64 s[2:3], exec, s[10:11]
                                        ; implicit-def: $vgpr250_vgpr251
	s_cbranch_execz .LBB95_410
; %bb.409:
	v_div_scale_f64 v[248:249], s[10:11], v[246:247], v[246:247], v[244:245]
	v_rcp_f64_e32 v[250:251], v[248:249]
	v_div_scale_f64 v[252:253], vcc, v[244:245], v[246:247], v[244:245]
	v_fma_f64 v[254:255], -v[248:249], v[250:251], 1.0
	v_fmac_f64_e32 v[250:251], v[250:251], v[254:255]
	v_fma_f64 v[254:255], -v[248:249], v[250:251], 1.0
	v_fmac_f64_e32 v[250:251], v[250:251], v[254:255]
	v_mul_f64 v[254:255], v[252:253], v[250:251]
	v_fma_f64 v[248:249], -v[248:249], v[254:255], v[252:253]
	v_div_fmas_f64 v[248:249], v[248:249], v[250:251], v[254:255]
	v_div_fixup_f64 v[248:249], v[248:249], v[246:247], v[244:245]
	v_fmac_f64_e32 v[246:247], v[244:245], v[248:249]
	v_div_scale_f64 v[244:245], s[10:11], v[246:247], v[246:247], 1.0
	v_rcp_f64_e32 v[250:251], v[244:245]
	s_nop 0
	v_fma_f64 v[252:253], -v[244:245], v[250:251], 1.0
	v_fmac_f64_e32 v[250:251], v[250:251], v[252:253]
	v_fma_f64 v[252:253], -v[244:245], v[250:251], 1.0
	v_fmac_f64_e32 v[250:251], v[250:251], v[252:253]
	v_div_scale_f64 v[252:253], vcc, 1.0, v[246:247], 1.0
	v_mul_f64 v[254:255], v[252:253], v[250:251]
	v_fma_f64 v[244:245], -v[244:245], v[254:255], v[252:253]
	s_nop 1
	v_div_fmas_f64 v[244:245], v[244:245], v[250:251], v[254:255]
	v_div_fixup_f64 v[250:251], v[244:245], v[246:247], 1.0
	v_mul_f64 v[248:249], v[248:249], v[250:251]
	v_xor_b32_e32 v251, 0x80000000, v251
                                        ; implicit-def: $vgpr244_vgpr245
.LBB95_410:
	s_andn2_saveexec_b64 s[2:3], s[2:3]
	s_cbranch_execz .LBB95_412
; %bb.411:
	v_div_scale_f64 v[248:249], s[10:11], v[244:245], v[244:245], v[246:247]
	v_rcp_f64_e32 v[250:251], v[248:249]
	v_div_scale_f64 v[252:253], vcc, v[246:247], v[244:245], v[246:247]
	v_fma_f64 v[254:255], -v[248:249], v[250:251], 1.0
	v_fmac_f64_e32 v[250:251], v[250:251], v[254:255]
	v_fma_f64 v[254:255], -v[248:249], v[250:251], 1.0
	v_fmac_f64_e32 v[250:251], v[250:251], v[254:255]
	v_mul_f64 v[254:255], v[252:253], v[250:251]
	v_fma_f64 v[248:249], -v[248:249], v[254:255], v[252:253]
	v_div_fmas_f64 v[248:249], v[248:249], v[250:251], v[254:255]
	v_div_fixup_f64 v[250:251], v[248:249], v[244:245], v[246:247]
	v_fmac_f64_e32 v[244:245], v[246:247], v[250:251]
	v_div_scale_f64 v[246:247], s[10:11], v[244:245], v[244:245], 1.0
	v_rcp_f64_e32 v[248:249], v[246:247]
	s_nop 0
	v_fma_f64 v[252:253], -v[246:247], v[248:249], 1.0
	v_fmac_f64_e32 v[248:249], v[248:249], v[252:253]
	v_fma_f64 v[252:253], -v[246:247], v[248:249], 1.0
	v_fmac_f64_e32 v[248:249], v[248:249], v[252:253]
	v_div_scale_f64 v[252:253], vcc, 1.0, v[244:245], 1.0
	v_mul_f64 v[254:255], v[252:253], v[248:249]
	v_fma_f64 v[246:247], -v[246:247], v[254:255], v[252:253]
	s_nop 1
	v_div_fmas_f64 v[246:247], v[246:247], v[248:249], v[254:255]
	v_div_fixup_f64 v[248:249], v[246:247], v[244:245], 1.0
	v_mul_f64 v[250:251], v[250:251], -v[248:249]
.LBB95_412:
	s_or_b64 exec, exec, s[2:3]
	ds_write2_b64 v185, v[248:249], v[250:251] offset1:1
.LBB95_413:
	s_or_b64 exec, exec, s[4:5]
	s_waitcnt lgkmcnt(0)
	s_barrier
	ds_read2_b64 v[244:247], v185 offset1:1
	v_cmp_lt_u32_e32 vcc, 45, v184
	s_and_saveexec_b64 s[2:3], vcc
	s_cbranch_execz .LBB95_415
; %bb.414:
	ds_read2_b64 v[248:251], v186 offset0:92 offset1:93
	s_waitcnt lgkmcnt(1)
	v_mul_f64 v[252:253], v[244:245], v[6:7]
	v_fmac_f64_e32 v[252:253], v[246:247], v[4:5]
	v_mul_f64 v[6:7], v[246:247], v[6:7]
	v_fma_f64 v[4:5], v[244:245], v[4:5], -v[6:7]
	s_waitcnt lgkmcnt(0)
	v_mul_f64 v[6:7], v[250:251], v[252:253]
	v_fma_f64 v[6:7], v[248:249], v[4:5], -v[6:7]
	v_mul_f64 v[248:249], v[248:249], v[252:253]
	v_fmac_f64_e32 v[248:249], v[250:251], v[4:5]
	v_add_f64 v[2:3], v[2:3], -v[248:249]
	ds_read2_b64 v[248:251], v186 offset0:94 offset1:95
	v_add_f64 v[0:1], v[0:1], -v[6:7]
	s_waitcnt lgkmcnt(0)
	v_mul_f64 v[6:7], v[250:251], v[252:253]
	v_fma_f64 v[6:7], v[248:249], v[4:5], -v[6:7]
	v_mul_f64 v[248:249], v[248:249], v[252:253]
	v_fmac_f64_e32 v[248:249], v[250:251], v[4:5]
	s_waitcnt vmcnt(48)
	v_add_f64 v[188:189], v[188:189], -v[6:7]
	v_add_f64 v[190:191], v[190:191], -v[248:249]
	v_mov_b64_e32 v[6:7], v[252:253]
.LBB95_415:
	s_or_b64 exec, exec, s[2:3]
	v_cmp_eq_u32_e32 vcc, 46, v184
	s_waitcnt lgkmcnt(0)
	s_barrier
	s_and_saveexec_b64 s[4:5], vcc
	s_cbranch_execz .LBB95_422
; %bb.416:
	ds_write2_b64 v185, v[0:1], v[2:3] offset1:1
	s_waitcnt vmcnt(48)
	ds_write2_b64 v186, v[188:189], v[190:191] offset0:94 offset1:95
	ds_read2_b64 v[248:251], v185 offset1:1
	s_waitcnt lgkmcnt(0)
	v_cmp_neq_f64_e32 vcc, 0, v[248:249]
	v_cmp_neq_f64_e64 s[2:3], 0, v[250:251]
	s_or_b64 s[2:3], vcc, s[2:3]
	s_and_b64 exec, exec, s[2:3]
	s_cbranch_execz .LBB95_422
; %bb.417:
	v_cmp_ngt_f64_e64 s[2:3], |v[248:249]|, |v[250:251]|
                                        ; implicit-def: $vgpr252_vgpr253
	s_and_saveexec_b64 s[10:11], s[2:3]
	s_xor_b64 s[2:3], exec, s[10:11]
                                        ; implicit-def: $vgpr254_vgpr255
	s_cbranch_execz .LBB95_419
; %bb.418:
	v_div_scale_f64 v[252:253], s[10:11], v[250:251], v[250:251], v[248:249]
	v_rcp_f64_e32 v[254:255], v[252:253]
	v_div_scale_f64 v[192:193], vcc, v[248:249], v[250:251], v[248:249]
	v_fma_f64 v[194:195], -v[252:253], v[254:255], 1.0
	v_fmac_f64_e32 v[254:255], v[254:255], v[194:195]
	v_fma_f64 v[194:195], -v[252:253], v[254:255], 1.0
	v_fmac_f64_e32 v[254:255], v[254:255], v[194:195]
	v_mul_f64 v[194:195], v[192:193], v[254:255]
	v_fma_f64 v[192:193], -v[252:253], v[194:195], v[192:193]
	v_div_fmas_f64 v[192:193], v[192:193], v[254:255], v[194:195]
	v_div_fixup_f64 v[192:193], v[192:193], v[250:251], v[248:249]
	v_fmac_f64_e32 v[250:251], v[248:249], v[192:193]
	v_div_scale_f64 v[194:195], s[10:11], v[250:251], v[250:251], 1.0
	v_rcp_f64_e32 v[248:249], v[194:195]
	s_nop 0
	v_fma_f64 v[252:253], -v[194:195], v[248:249], 1.0
	v_fmac_f64_e32 v[248:249], v[248:249], v[252:253]
	v_fma_f64 v[252:253], -v[194:195], v[248:249], 1.0
	v_fmac_f64_e32 v[248:249], v[248:249], v[252:253]
	v_div_scale_f64 v[252:253], vcc, 1.0, v[250:251], 1.0
	v_mul_f64 v[254:255], v[252:253], v[248:249]
	v_fma_f64 v[194:195], -v[194:195], v[254:255], v[252:253]
	s_nop 1
	v_div_fmas_f64 v[194:195], v[194:195], v[248:249], v[254:255]
	v_div_fixup_f64 v[254:255], v[194:195], v[250:251], 1.0
	v_mul_f64 v[252:253], v[192:193], v[254:255]
	v_xor_b32_e32 v255, 0x80000000, v255
                                        ; implicit-def: $vgpr248_vgpr249
.LBB95_419:
	s_andn2_saveexec_b64 s[2:3], s[2:3]
	s_cbranch_execz .LBB95_421
; %bb.420:
	v_div_scale_f64 v[192:193], s[10:11], v[248:249], v[248:249], v[250:251]
	v_rcp_f64_e32 v[194:195], v[192:193]
	v_div_scale_f64 v[252:253], vcc, v[250:251], v[248:249], v[250:251]
	v_fma_f64 v[254:255], -v[192:193], v[194:195], 1.0
	v_fmac_f64_e32 v[194:195], v[194:195], v[254:255]
	v_fma_f64 v[254:255], -v[192:193], v[194:195], 1.0
	v_fmac_f64_e32 v[194:195], v[194:195], v[254:255]
	v_mul_f64 v[254:255], v[252:253], v[194:195]
	v_fma_f64 v[192:193], -v[192:193], v[254:255], v[252:253]
	v_div_fmas_f64 v[192:193], v[192:193], v[194:195], v[254:255]
	v_div_fixup_f64 v[192:193], v[192:193], v[248:249], v[250:251]
	v_fmac_f64_e32 v[248:249], v[250:251], v[192:193]
	v_div_scale_f64 v[194:195], s[10:11], v[248:249], v[248:249], 1.0
	v_rcp_f64_e32 v[250:251], v[194:195]
	s_nop 0
	v_fma_f64 v[252:253], -v[194:195], v[250:251], 1.0
	v_fmac_f64_e32 v[250:251], v[250:251], v[252:253]
	v_fma_f64 v[252:253], -v[194:195], v[250:251], 1.0
	v_fmac_f64_e32 v[250:251], v[250:251], v[252:253]
	v_div_scale_f64 v[252:253], vcc, 1.0, v[248:249], 1.0
	v_mul_f64 v[254:255], v[252:253], v[250:251]
	v_fma_f64 v[194:195], -v[194:195], v[254:255], v[252:253]
	s_nop 1
	v_div_fmas_f64 v[194:195], v[194:195], v[250:251], v[254:255]
	v_div_fixup_f64 v[252:253], v[194:195], v[248:249], 1.0
	v_mul_f64 v[254:255], v[192:193], -v[252:253]
.LBB95_421:
	s_or_b64 exec, exec, s[2:3]
	ds_write2_b64 v185, v[252:253], v[254:255] offset1:1
.LBB95_422:
	s_or_b64 exec, exec, s[4:5]
	s_waitcnt lgkmcnt(0)
	s_barrier
	ds_read2_b64 v[248:251], v185 offset1:1
	v_cmp_lt_u32_e32 vcc, 46, v184
	s_and_saveexec_b64 s[2:3], vcc
	s_cbranch_execz .LBB95_424
; %bb.423:
	ds_read2_b64 v[252:255], v186 offset0:94 offset1:95
	s_waitcnt lgkmcnt(1)
	v_mul_f64 v[186:187], v[248:249], v[2:3]
	v_mul_f64 v[2:3], v[250:251], v[2:3]
	v_fmac_f64_e32 v[186:187], v[250:251], v[0:1]
	v_fma_f64 v[0:1], v[248:249], v[0:1], -v[2:3]
	s_waitcnt lgkmcnt(0)
	v_mul_f64 v[2:3], v[254:255], v[186:187]
	v_mul_f64 v[192:193], v[252:253], v[186:187]
	v_fma_f64 v[2:3], v[252:253], v[0:1], -v[2:3]
	v_fmac_f64_e32 v[192:193], v[254:255], v[0:1]
	s_waitcnt vmcnt(48)
	v_add_f64 v[188:189], v[188:189], -v[2:3]
	v_add_f64 v[190:191], v[190:191], -v[192:193]
	v_mov_b64_e32 v[2:3], v[186:187]
.LBB95_424:
	s_or_b64 exec, exec, s[2:3]
	v_cmp_eq_u32_e32 vcc, 47, v184
	s_waitcnt lgkmcnt(0)
	s_barrier
	s_and_saveexec_b64 s[4:5], vcc
	s_cbranch_execz .LBB95_431
; %bb.425:
	s_waitcnt vmcnt(48)
	v_cmp_neq_f64_e32 vcc, 0, v[188:189]
	v_cmp_neq_f64_e64 s[2:3], 0, v[190:191]
	s_or_b64 s[2:3], vcc, s[2:3]
	ds_write2_b64 v185, v[188:189], v[190:191] offset1:1
	s_and_b64 exec, exec, s[2:3]
	s_cbranch_execz .LBB95_431
; %bb.426:
	v_cmp_ngt_f64_e64 s[2:3], |v[188:189]|, |v[190:191]|
                                        ; implicit-def: $vgpr252_vgpr253
	s_mov_b64 s[10:11], exec
	s_and_b64 s[12:13], s[10:11], s[2:3]
	s_xor_b64 s[2:3], s[12:13], s[10:11]
                                        ; implicit-def: $vgpr254_vgpr255
	scratch_store_dwordx4 off, v[236:239], off offset:936 ; 16-byte Folded Spill
	s_mov_b64 exec, s[12:13]
	s_cbranch_execz .LBB95_428
; %bb.427:
	v_div_scale_f64 v[186:187], s[10:11], v[190:191], v[190:191], v[188:189]
	v_rcp_f64_e32 v[192:193], v[186:187]
	v_div_scale_f64 v[194:195], vcc, v[188:189], v[190:191], v[188:189]
	v_mov_b64_e32 v[238:239], v[234:235]
	v_fma_f64 v[252:253], -v[186:187], v[192:193], 1.0
	v_fmac_f64_e32 v[192:193], v[192:193], v[252:253]
	v_fma_f64 v[252:253], -v[186:187], v[192:193], 1.0
	v_fmac_f64_e32 v[192:193], v[192:193], v[252:253]
	v_mul_f64 v[252:253], v[194:195], v[192:193]
	v_fma_f64 v[186:187], -v[186:187], v[252:253], v[194:195]
	v_div_fmas_f64 v[186:187], v[186:187], v[192:193], v[252:253]
	v_div_fixup_f64 v[186:187], v[186:187], v[190:191], v[188:189]
	v_mov_b64_e32 v[236:237], v[232:233]
	v_mov_b64_e32 v[234:235], v[190:191]
	v_fma_f64 v[192:193], v[188:189], v[186:187], v[190:191]
	v_mov_b64_e32 v[232:233], v[188:189]
	v_mov_b64_e32 v[190:191], v[2:3]
	;; [unrolled: 1-line block ×92, first 2 shown]
	v_div_scale_f64 v[194:195], s[10:11], v[192:193], v[192:193], 1.0
	v_mov_b64_e32 v[162:163], v[166:167]
	v_mov_b64_e32 v[164:165], v[168:169]
	v_rcp_f64_e32 v[252:253], v[194:195]
	v_mov_b64_e32 v[166:167], v[170:171]
	v_mov_b64_e32 v[168:169], v[172:173]
	;; [unrolled: 1-line block ×8, first 2 shown]
	v_fma_f64 v[254:255], -v[194:195], v[252:253], 1.0
	v_mov_b64_e32 v[182:183], v[214:215]
	v_mov_b64_e32 v[212:213], v[210:211]
	v_fmac_f64_e32 v[252:253], v[252:253], v[254:255]
	v_mov_b64_e32 v[210:211], v[208:209]
	v_mov_b64_e32 v[208:209], v[206:207]
	v_fma_f64 v[254:255], -v[194:195], v[252:253], 1.0
	v_mov_b64_e32 v[206:207], v[204:205]
	v_mov_b64_e32 v[204:205], v[202:203]
	v_fmac_f64_e32 v[252:253], v[252:253], v[254:255]
	v_div_scale_f64 v[254:255], vcc, 1.0, v[192:193], 1.0
	v_mov_b64_e32 v[202:203], v[200:201]
	v_mov_b64_e32 v[200:201], v[198:199]
	;; [unrolled: 1-line block ×3, first 2 shown]
	v_mul_f64 v[196:197], v[254:255], v[252:253]
	v_fma_f64 v[194:195], -v[194:195], v[196:197], v[254:255]
	v_div_fmas_f64 v[194:195], v[194:195], v[252:253], v[196:197]
	v_mov_b64_e32 v[196:197], v[198:199]
	v_mov_b64_e32 v[198:199], v[200:201]
	;; [unrolled: 1-line block ×114, first 2 shown]
	scratch_load_dwordx4 v[236:239], off, off offset:936 ; 16-byte Folded Reload
	v_div_fixup_f64 v[254:255], v[194:195], v[192:193], 1.0
	v_mul_f64 v[252:253], v[186:187], v[254:255]
	v_xor_b32_e32 v255, 0x80000000, v255
.LBB95_428:
	s_andn2_saveexec_b64 s[2:3], s[2:3]
	s_cbranch_execz .LBB95_430
; %bb.429:
	s_waitcnt vmcnt(0)
	v_mov_b64_e32 v[238:239], v[234:235]
	v_mov_b64_e32 v[236:237], v[232:233]
	;; [unrolled: 1-line block ×81, first 2 shown]
	v_div_scale_f64 v[186:187], s[10:11], v[188:189], v[188:189], v[190:191]
	v_mov_b64_e32 v[178:179], v[182:183]
	v_mov_b64_e32 v[180:181], v[212:213]
	v_rcp_f64_e32 v[192:193], v[186:187]
	v_mov_b64_e32 v[182:183], v[214:215]
	v_mov_b64_e32 v[214:215], v[210:211]
	;; [unrolled: 1-line block ×9, first 2 shown]
	v_fma_f64 v[196:197], -v[186:187], v[192:193], 1.0
	v_fmac_f64_e32 v[192:193], v[192:193], v[196:197]
	v_fma_f64 v[196:197], -v[186:187], v[192:193], 1.0
	v_div_scale_f64 v[194:195], vcc, v[190:191], v[188:189], v[190:191]
	v_fmac_f64_e32 v[192:193], v[192:193], v[196:197]
	v_mul_f64 v[196:197], v[194:195], v[192:193]
	v_fma_f64 v[186:187], -v[186:187], v[196:197], v[194:195]
	s_nop 0
	v_div_fmas_f64 v[186:187], v[186:187], v[192:193], v[196:197]
	v_div_fixup_f64 v[186:187], v[186:187], v[188:189], v[190:191]
	v_fma_f64 v[192:193], v[190:191], v[186:187], v[188:189]
	v_div_scale_f64 v[194:195], s[10:11], v[192:193], v[192:193], 1.0
	v_rcp_f64_e32 v[196:197], v[194:195]
	s_nop 0
	v_fma_f64 v[198:199], -v[194:195], v[196:197], 1.0
	v_fmac_f64_e32 v[196:197], v[196:197], v[198:199]
	v_fma_f64 v[198:199], -v[194:195], v[196:197], 1.0
	v_fmac_f64_e32 v[196:197], v[196:197], v[198:199]
	v_div_scale_f64 v[198:199], vcc, 1.0, v[192:193], 1.0
	v_mul_f64 v[252:253], v[198:199], v[196:197]
	v_fma_f64 v[194:195], -v[194:195], v[252:253], v[198:199]
	s_nop 1
	v_div_fmas_f64 v[194:195], v[194:195], v[196:197], v[252:253]
	v_mov_b64_e32 v[196:197], v[200:201]
	v_mov_b64_e32 v[198:199], v[202:203]
	;; [unrolled: 1-line block ×92, first 2 shown]
	scratch_load_dwordx4 v[236:239], off, off offset:936 ; 16-byte Folded Reload
	v_div_fixup_f64 v[252:253], v[194:195], v[192:193], 1.0
	v_mul_f64 v[254:255], v[186:187], -v[252:253]
.LBB95_430:
	s_or_b64 exec, exec, s[2:3]
	ds_write2_b64 v185, v[252:253], v[254:255] offset1:1
.LBB95_431:
	s_or_b64 exec, exec, s[4:5]
	s_waitcnt lgkmcnt(0)
	s_barrier
	ds_read2_b64 v[252:255], v185 offset1:1
	s_waitcnt lgkmcnt(0)
	s_barrier
	s_and_saveexec_b64 s[2:3], s[0:1]
	s_cbranch_execz .LBB95_434
; %bb.432:
	scratch_load_dwordx4 v[192:195], off, off offset:400 ; 16-byte Folded Reload
	v_mov_b32_e32 v186, s6
	v_mov_b32_e32 v187, s7
	s_waitcnt vmcnt(0)
	v_cmp_eq_f64_e32 vcc, 0, v[192:193]
	v_cmp_eq_f64_e64 s[0:1], 0, v[194:195]
	scratch_load_dwordx4 v[192:195], off, off offset:416 ; 16-byte Folded Reload
	s_and_b64 s[4:5], vcc, s[0:1]
	v_cndmask_b32_e64 v185, 0, 1, s[4:5]
	s_waitcnt vmcnt(0)
	v_cmp_neq_f64_e32 vcc, 0, v[192:193]
	v_cmp_neq_f64_e64 s[0:1], 0, v[194:195]
	scratch_load_dwordx4 v[192:195], off, off offset:432 ; 16-byte Folded Reload
	s_or_b64 s[0:1], vcc, s[0:1]
	s_or_b64 vcc, s[0:1], s[4:5]
	v_cndmask_b32_e32 v185, 2, v185, vcc
	s_waitcnt vmcnt(0)
	v_cmp_eq_f64_e32 vcc, 0, v[192:193]
	v_cmp_eq_f64_e64 s[0:1], 0, v[194:195]
	scratch_load_dwordx4 v[192:195], off, off offset:448 ; 16-byte Folded Reload
	s_and_b64 s[0:1], vcc, s[0:1]
	v_cmp_eq_u32_e32 vcc, 0, v185
	s_and_b64 s[0:1], s[0:1], vcc
	v_cndmask_b32_e64 v185, v185, 3, s[0:1]
	s_waitcnt vmcnt(0)
	v_cmp_eq_f64_e32 vcc, 0, v[192:193]
	v_cmp_eq_f64_e64 s[0:1], 0, v[194:195]
	scratch_load_dwordx4 v[192:195], off, off offset:464 ; 16-byte Folded Reload
	s_and_b64 s[0:1], vcc, s[0:1]
	v_cmp_eq_u32_e32 vcc, 0, v185
	s_and_b64 s[0:1], s[0:1], vcc
	v_cndmask_b32_e64 v185, v185, 4, s[0:1]
	;; [unrolled: 8-line block ×30, first 2 shown]
	s_waitcnt vmcnt(0)
	v_cmp_eq_f64_e32 vcc, 0, v[192:193]
	scratch_load_dwordx2 v[192:193], off, off offset:928 ; 8-byte Folded Reload
	v_cmp_eq_f64_e64 s[0:1], 0, v[194:195]
	s_and_b64 s[0:1], vcc, s[0:1]
	v_cmp_eq_u32_e32 vcc, 0, v185
	s_and_b64 s[0:1], s[0:1], vcc
	v_cndmask_b32_e64 v185, v185, 33, s[0:1]
	v_cmp_eq_f64_e32 vcc, 0, v[196:197]
	v_cmp_eq_f64_e64 s[0:1], 0, v[198:199]
	s_and_b64 s[0:1], vcc, s[0:1]
	v_cmp_eq_u32_e32 vcc, 0, v185
	s_and_b64 s[0:1], s[0:1], vcc
	v_cndmask_b32_e64 v185, v185, 34, s[0:1]
	v_cmp_eq_f64_e32 vcc, 0, v[200:201]
	;; [unrolled: 6-line block ×13, first 2 shown]
	v_cmp_eq_f64_e64 s[0:1], 0, v[246:247]
	s_waitcnt vmcnt(0)
	v_lshl_add_u64 v[192:193], v[192:193], 2, v[186:187]
	global_load_dword v186, v[192:193], off
	s_and_b64 s[0:1], vcc, s[0:1]
	v_cmp_eq_u32_e32 vcc, 0, v185
	s_and_b64 s[0:1], s[0:1], vcc
	v_cndmask_b32_e64 v185, v185, 46, s[0:1]
	v_cmp_eq_f64_e32 vcc, 0, v[248:249]
	v_cmp_eq_f64_e64 s[0:1], 0, v[250:251]
	s_and_b64 s[0:1], vcc, s[0:1]
	v_cmp_eq_u32_e32 vcc, 0, v185
	s_and_b64 s[0:1], s[0:1], vcc
	v_cndmask_b32_e64 v185, v185, 47, s[0:1]
	v_cmp_eq_f64_e32 vcc, 0, v[252:253]
	v_cmp_eq_f64_e64 s[0:1], 0, v[254:255]
	s_and_b64 s[0:1], vcc, s[0:1]
	v_cmp_eq_u32_e32 vcc, 0, v185
	s_and_b64 s[0:1], s[0:1], vcc
	v_cndmask_b32_e64 v185, v185, 48, s[0:1]
	v_cmp_ne_u32_e64 s[0:1], 0, v185
	s_waitcnt vmcnt(0)
	v_cmp_eq_u32_e32 vcc, 0, v186
	s_and_b64 s[0:1], vcc, s[0:1]
	s_and_b64 exec, exec, s[0:1]
	s_cbranch_execz .LBB95_434
; %bb.433:
	v_add_u32_e32 v185, s9, v185
	global_store_dword v[192:193], v185, off
.LBB95_434:
	s_or_b64 exec, exec, s[2:3]
	v_cmp_lt_u32_e32 vcc, 47, v184
	s_waitcnt vmcnt(48)
	v_mul_f64 v[184:185], v[254:255], v[190:191]
	v_mul_f64 v[186:187], v[252:253], v[190:191]
	v_fma_f64 v[184:185], v[252:253], v[188:189], -v[184:185]
	v_fmac_f64_e32 v[186:187], v[254:255], v[188:189]
	v_cndmask_b32_e32 v187, v191, v187, vcc
	v_cndmask_b32_e32 v186, v190, v186, vcc
	;; [unrolled: 1-line block ×4, first 2 shown]
	scratch_load_dwordx2 v[188:189], off, off offset:16 ; 8-byte Folded Reload
	scratch_load_dwordx4 v[190:193], off, off ; 16-byte Folded Reload
	s_waitcnt vmcnt(0)
	global_store_dwordx4 v[188:189], v[190:193], off
	scratch_load_dwordx2 v[188:189], off, off offset:392 ; 8-byte Folded Reload
	s_waitcnt vmcnt(0)
	global_store_dwordx4 v[188:189], v[180:183], off
	scratch_load_dwordx2 v[180:181], off, off offset:24 ; 8-byte Folded Reload
	;; [unrolled: 3-line block ×47, first 2 shown]
	s_waitcnt vmcnt(0)
	global_store_dwordx4 v[0:1], v[184:187], off
.LBB95_435:
	s_endpgm
	.section	.rodata,"a",@progbits
	.p2align	6, 0x0
	.amdhsa_kernel _ZN9rocsolver6v33100L23getf2_npvt_small_kernelILi48E19rocblas_complex_numIdEiiPS3_EEvT1_T3_lS5_lPT2_S5_S5_
		.amdhsa_group_segment_fixed_size 0
		.amdhsa_private_segment_fixed_size 956
		.amdhsa_kernarg_size 312
		.amdhsa_user_sgpr_count 2
		.amdhsa_user_sgpr_dispatch_ptr 0
		.amdhsa_user_sgpr_queue_ptr 0
		.amdhsa_user_sgpr_kernarg_segment_ptr 1
		.amdhsa_user_sgpr_dispatch_id 0
		.amdhsa_user_sgpr_kernarg_preload_length 0
		.amdhsa_user_sgpr_kernarg_preload_offset 0
		.amdhsa_user_sgpr_private_segment_size 0
		.amdhsa_uses_dynamic_stack 0
		.amdhsa_enable_private_segment 1
		.amdhsa_system_sgpr_workgroup_id_x 1
		.amdhsa_system_sgpr_workgroup_id_y 1
		.amdhsa_system_sgpr_workgroup_id_z 0
		.amdhsa_system_sgpr_workgroup_info 0
		.amdhsa_system_vgpr_workitem_id 1
		.amdhsa_next_free_vgpr 256
		.amdhsa_next_free_sgpr 16
		.amdhsa_accum_offset 256
		.amdhsa_reserve_vcc 1
		.amdhsa_float_round_mode_32 0
		.amdhsa_float_round_mode_16_64 0
		.amdhsa_float_denorm_mode_32 3
		.amdhsa_float_denorm_mode_16_64 3
		.amdhsa_dx10_clamp 1
		.amdhsa_ieee_mode 1
		.amdhsa_fp16_overflow 0
		.amdhsa_tg_split 0
		.amdhsa_exception_fp_ieee_invalid_op 0
		.amdhsa_exception_fp_denorm_src 0
		.amdhsa_exception_fp_ieee_div_zero 0
		.amdhsa_exception_fp_ieee_overflow 0
		.amdhsa_exception_fp_ieee_underflow 0
		.amdhsa_exception_fp_ieee_inexact 0
		.amdhsa_exception_int_div_zero 0
	.end_amdhsa_kernel
	.section	.text._ZN9rocsolver6v33100L23getf2_npvt_small_kernelILi48E19rocblas_complex_numIdEiiPS3_EEvT1_T3_lS5_lPT2_S5_S5_,"axG",@progbits,_ZN9rocsolver6v33100L23getf2_npvt_small_kernelILi48E19rocblas_complex_numIdEiiPS3_EEvT1_T3_lS5_lPT2_S5_S5_,comdat
.Lfunc_end95:
	.size	_ZN9rocsolver6v33100L23getf2_npvt_small_kernelILi48E19rocblas_complex_numIdEiiPS3_EEvT1_T3_lS5_lPT2_S5_S5_, .Lfunc_end95-_ZN9rocsolver6v33100L23getf2_npvt_small_kernelILi48E19rocblas_complex_numIdEiiPS3_EEvT1_T3_lS5_lPT2_S5_S5_
                                        ; -- End function
	.set _ZN9rocsolver6v33100L23getf2_npvt_small_kernelILi48E19rocblas_complex_numIdEiiPS3_EEvT1_T3_lS5_lPT2_S5_S5_.num_vgpr, 256
	.set _ZN9rocsolver6v33100L23getf2_npvt_small_kernelILi48E19rocblas_complex_numIdEiiPS3_EEvT1_T3_lS5_lPT2_S5_S5_.num_agpr, 0
	.set _ZN9rocsolver6v33100L23getf2_npvt_small_kernelILi48E19rocblas_complex_numIdEiiPS3_EEvT1_T3_lS5_lPT2_S5_S5_.numbered_sgpr, 16
	.set _ZN9rocsolver6v33100L23getf2_npvt_small_kernelILi48E19rocblas_complex_numIdEiiPS3_EEvT1_T3_lS5_lPT2_S5_S5_.num_named_barrier, 0
	.set _ZN9rocsolver6v33100L23getf2_npvt_small_kernelILi48E19rocblas_complex_numIdEiiPS3_EEvT1_T3_lS5_lPT2_S5_S5_.private_seg_size, 956
	.set _ZN9rocsolver6v33100L23getf2_npvt_small_kernelILi48E19rocblas_complex_numIdEiiPS3_EEvT1_T3_lS5_lPT2_S5_S5_.uses_vcc, 1
	.set _ZN9rocsolver6v33100L23getf2_npvt_small_kernelILi48E19rocblas_complex_numIdEiiPS3_EEvT1_T3_lS5_lPT2_S5_S5_.uses_flat_scratch, 0
	.set _ZN9rocsolver6v33100L23getf2_npvt_small_kernelILi48E19rocblas_complex_numIdEiiPS3_EEvT1_T3_lS5_lPT2_S5_S5_.has_dyn_sized_stack, 0
	.set _ZN9rocsolver6v33100L23getf2_npvt_small_kernelILi48E19rocblas_complex_numIdEiiPS3_EEvT1_T3_lS5_lPT2_S5_S5_.has_recursion, 0
	.set _ZN9rocsolver6v33100L23getf2_npvt_small_kernelILi48E19rocblas_complex_numIdEiiPS3_EEvT1_T3_lS5_lPT2_S5_S5_.has_indirect_call, 0
	.section	.AMDGPU.csdata,"",@progbits
; Kernel info:
; codeLenInByte = 107360
; TotalNumSgprs: 22
; NumVgprs: 256
; NumAgprs: 0
; TotalNumVgprs: 256
; ScratchSize: 956
; MemoryBound: 1
; FloatMode: 240
; IeeeMode: 1
; LDSByteSize: 0 bytes/workgroup (compile time only)
; SGPRBlocks: 2
; VGPRBlocks: 31
; NumSGPRsForWavesPerEU: 22
; NumVGPRsForWavesPerEU: 256
; AccumOffset: 256
; Occupancy: 2
; WaveLimiterHint : 0
; COMPUTE_PGM_RSRC2:SCRATCH_EN: 1
; COMPUTE_PGM_RSRC2:USER_SGPR: 2
; COMPUTE_PGM_RSRC2:TRAP_HANDLER: 0
; COMPUTE_PGM_RSRC2:TGID_X_EN: 1
; COMPUTE_PGM_RSRC2:TGID_Y_EN: 1
; COMPUTE_PGM_RSRC2:TGID_Z_EN: 0
; COMPUTE_PGM_RSRC2:TIDIG_COMP_CNT: 1
; COMPUTE_PGM_RSRC3_GFX90A:ACCUM_OFFSET: 63
; COMPUTE_PGM_RSRC3_GFX90A:TG_SPLIT: 0
	.section	.text._ZN9rocsolver6v33100L18getf2_small_kernelILi49E19rocblas_complex_numIdEiiPS3_EEvT1_T3_lS5_lPS5_llPT2_S5_S5_S7_l,"axG",@progbits,_ZN9rocsolver6v33100L18getf2_small_kernelILi49E19rocblas_complex_numIdEiiPS3_EEvT1_T3_lS5_lPS5_llPT2_S5_S5_S7_l,comdat
	.globl	_ZN9rocsolver6v33100L18getf2_small_kernelILi49E19rocblas_complex_numIdEiiPS3_EEvT1_T3_lS5_lPS5_llPT2_S5_S5_S7_l ; -- Begin function _ZN9rocsolver6v33100L18getf2_small_kernelILi49E19rocblas_complex_numIdEiiPS3_EEvT1_T3_lS5_lPS5_llPT2_S5_S5_S7_l
	.p2align	8
	.type	_ZN9rocsolver6v33100L18getf2_small_kernelILi49E19rocblas_complex_numIdEiiPS3_EEvT1_T3_lS5_lPS5_llPT2_S5_S5_S7_l,@function
_ZN9rocsolver6v33100L18getf2_small_kernelILi49E19rocblas_complex_numIdEiiPS3_EEvT1_T3_lS5_lPS5_llPT2_S5_S5_S7_l: ; @_ZN9rocsolver6v33100L18getf2_small_kernelILi49E19rocblas_complex_numIdEiiPS3_EEvT1_T3_lS5_lPS5_llPT2_S5_S5_S7_l
; %bb.0:
	s_load_dword s2, s[0:1], 0x6c
	s_load_dwordx2 s[12:13], s[0:1], 0x48
	v_bfe_u32 v196, v0, 10, 10
	s_waitcnt lgkmcnt(0)
	s_lshr_b32 s2, s2, 16
	s_mul_i32 s3, s3, s2
	v_add_u32_e32 v202, s3, v196
	v_cmp_gt_i32_e32 vcc, s12, v202
	s_and_saveexec_b64 s[2:3], vcc
	s_cbranch_execz .LBB96_1030
; %bb.1:
	s_load_dwordx4 s[4:7], s[0:1], 0x50
	v_ashrrev_i32_e32 v203, 31, v202
	v_mov_b64_e32 v[204:205], 0
	s_waitcnt lgkmcnt(0)
	s_cmp_eq_u64 s[4:5], 0
	s_cselect_b64 s[14:15], -1, 0
	s_and_b64 vcc, exec, s[14:15]
	s_cbranch_vccnz .LBB96_3
; %bb.2:
	v_mul_lo_u32 v1, s7, v202
	v_mul_lo_u32 v4, s6, v203
	v_mad_u64_u32 v[2:3], s[2:3], s6, v202, 0
	v_add3_u32 v3, v3, v4, v1
	v_lshl_add_u64 v[204:205], v[2:3], 2, s[4:5]
.LBB96_3:
	s_load_dwordx4 s[16:19], s[0:1], 0x8
	s_load_dwordx8 s[4:11], s[0:1], 0x20
	s_load_dword s2, s[0:1], 0x18
	s_load_dword s20, s[0:1], 0x0
	v_and_b32_e32 v211, 0x3ff, v0
	s_waitcnt lgkmcnt(0)
	v_mov_b32_e32 v2, s16
	v_mul_lo_u32 v1, s5, v202
	v_mul_lo_u32 v6, s4, v203
	v_mad_u64_u32 v[4:5], s[4:5], s4, v202, 0
	v_mov_b32_e32 v3, s17
	v_add3_u32 v5, v5, v6, v1
	v_lshl_add_u64 v[2:3], v[4:5], 4, v[2:3]
	s_add_i32 s12, s2, s2
	v_lshl_add_u64 v[200:201], s[18:19], 4, v[2:3]
	v_add_u32_e32 v2, s12, v211
	v_add_u32_e32 v4, s2, v2
	;; [unrolled: 1-line block ×3, first 2 shown]
	v_lshlrev_b32_e32 v206, 4, v211
	v_mov_b32_e32 v207, 0
	v_add_u32_e32 v8, s2, v6
	v_lshl_add_u64 v[0:1], v[200:201], 0, v[206:207]
	s_ashr_i32 s3, s2, 31
	v_ashrrev_i32_e32 v9, 31, v8
	v_add_u32_e32 v12, s2, v8
	v_lshl_add_u64 v[10:11], s[2:3], 4, v[0:1]
	global_load_dwordx4 v[132:135], v[0:1], off
	global_load_dwordx4 v[124:127], v[10:11], off
	v_lshl_add_u64 v[0:1], v[8:9], 4, v[200:201]
	v_ashrrev_i32_e32 v13, 31, v12
	v_add_u32_e32 v8, s2, v12
	v_lshl_add_u64 v[10:11], v[12:13], 4, v[200:201]
	v_add_u32_e32 v12, s2, v8
	v_add_u32_e32 v14, s2, v12
	;; [unrolled: 1-line block ×15, first 2 shown]
	v_ashrrev_i32_e32 v41, 31, v40
	v_lshl_add_u64 v[42:43], v[40:41], 4, v[200:201]
	v_add_u32_e32 v40, s2, v40
	v_ashrrev_i32_e32 v41, 31, v40
	v_lshl_add_u64 v[44:45], v[40:41], 4, v[200:201]
	v_add_u32_e32 v40, s2, v40
	;; [unrolled: 3-line block ×25, first 2 shown]
	v_ashrrev_i32_e32 v41, 31, v40
	v_ashrrev_i32_e32 v3, 31, v2
	;; [unrolled: 1-line block ×19, first 2 shown]
	v_lshl_add_u64 v[232:233], v[40:41], 4, v[200:201]
	v_add_u32_e32 v40, s2, v40
	v_lshl_add_u64 v[2:3], v[2:3], 4, v[200:201]
	v_lshl_add_u64 v[4:5], v[4:5], 4, v[200:201]
	v_lshl_add_u64 v[6:7], v[6:7], 4, v[200:201]
	v_lshl_add_u64 v[8:9], v[8:9], 4, v[200:201]
	v_lshl_add_u64 v[12:13], v[12:13], 4, v[200:201]
	v_lshl_add_u64 v[14:15], v[14:15], 4, v[200:201]
	v_lshl_add_u64 v[16:17], v[16:17], 4, v[200:201]
	v_lshl_add_u64 v[18:19], v[18:19], 4, v[200:201]
	v_lshl_add_u64 v[20:21], v[20:21], 4, v[200:201]
	v_lshl_add_u64 v[22:23], v[22:23], 4, v[200:201]
	v_lshl_add_u64 v[24:25], v[24:25], 4, v[200:201]
	v_lshl_add_u64 v[26:27], v[26:27], 4, v[200:201]
	v_lshl_add_u64 v[28:29], v[28:29], 4, v[200:201]
	v_lshl_add_u64 v[30:31], v[30:31], 4, v[200:201]
	v_lshl_add_u64 v[32:33], v[32:33], 4, v[200:201]
	v_lshl_add_u64 v[34:35], v[34:35], 4, v[200:201]
	v_lshl_add_u64 v[36:37], v[36:37], 4, v[200:201]
	v_lshl_add_u64 v[38:39], v[38:39], 4, v[200:201]
	v_ashrrev_i32_e32 v41, 31, v40
	v_lshl_add_u64 v[234:235], v[40:41], 4, v[200:201]
	global_load_dwordx4 v[188:191], v[2:3], off
	global_load_dwordx4 v[184:187], v[4:5], off
	;; [unrolled: 1-line block ×4, first 2 shown]
                                        ; kill: killed $vgpr2_vgpr3
                                        ; kill: killed $vgpr4_vgpr5
                                        ; kill: killed $vgpr6_vgpr7
                                        ; kill: killed $vgpr0_vgpr1
	global_load_dwordx4 v[172:175], v[10:11], off
	global_load_dwordx4 v[168:171], v[8:9], off
                                        ; kill: killed $vgpr10_vgpr11
                                        ; kill: killed $vgpr8_vgpr9
	global_load_dwordx4 v[164:167], v[12:13], off
	global_load_dwordx4 v[160:163], v[14:15], off
	;; [unrolled: 1-line block ×24, first 2 shown]
	s_nop 0
	global_load_dwordx4 v[60:63], v[62:63], off
	s_nop 0
	global_load_dwordx4 v[56:59], v[192:193], off
	global_load_dwordx4 v[52:55], v[194:195], off
	;; [unrolled: 1-line block ×16, first 2 shown]
	s_load_dwordx2 s[4:5], s[0:1], 0x40
	s_max_i32 s0, s20, 49
	v_mul_lo_u32 v209, s0, v196
	v_lshl_add_u32 v208, v209, 4, 0
	v_add_u32_e32 v196, v208, v206
	s_waitcnt vmcnt(48)
	ds_write2_b64 v196, v[132:133], v[134:135] offset1:1
	s_waitcnt lgkmcnt(0)
	s_barrier
	ds_read2_b64 v[196:199], v208 offset1:1
	s_cmp_lt_i32 s20, 2
	v_lshlrev_b32_e32 v212, 4, v209
	s_cbranch_scc1 .LBB96_6
; %bb.4:
	v_add3_u32 v206, v212, 0, 16
	s_mov_b32 s16, 1
	v_mov_b32_e32 v207, 0
.LBB96_5:                               ; =>This Inner Loop Header: Depth=1
	ds_read2_b64 v[214:217], v206 offset1:1
	s_waitcnt lgkmcnt(1)
	v_xor_b32_e32 v209, 0x80000000, v197
	v_xor_b32_e32 v210, 0x80000000, v199
	v_cmp_gt_f64_e32 vcc, 0, v[198:199]
	v_cmp_gt_f64_e64 s[0:1], 0, v[196:197]
	v_mov_b32_e32 v218, v196
	v_mov_b32_e32 v220, v198
	v_cndmask_b32_e64 v219, v197, v209, s[0:1]
	v_cndmask_b32_e32 v221, v199, v210, vcc
	s_waitcnt lgkmcnt(0)
	v_xor_b32_e32 v209, 0x80000000, v215
	v_xor_b32_e32 v210, 0x80000000, v217
	v_cmp_gt_f64_e32 vcc, 0, v[216:217]
	v_cmp_gt_f64_e64 s[0:1], 0, v[214:215]
	v_add_f64 v[218:219], v[218:219], v[220:221]
	v_mov_b32_e32 v220, v214
	v_mov_b32_e32 v222, v216
	v_cndmask_b32_e64 v221, v215, v209, s[0:1]
	v_cndmask_b32_e32 v223, v217, v210, vcc
	v_add_f64 v[220:221], v[220:221], v[222:223]
	v_mov_b32_e32 v213, s16
	s_add_i32 s16, s16, 1
	v_cmp_lt_f64_e32 vcc, v[218:219], v[220:221]
	v_add_u32_e32 v206, 16, v206
	s_cmp_eq_u32 s20, s16
	v_cndmask_b32_e32 v197, v197, v215, vcc
	v_cndmask_b32_e32 v196, v196, v214, vcc
	;; [unrolled: 1-line block ×5, first 2 shown]
	s_cbranch_scc0 .LBB96_5
.LBB96_6:
	s_waitcnt lgkmcnt(0)
	v_cmp_neq_f64_e32 vcc, 0, v[196:197]
	v_cmp_neq_f64_e64 s[0:1], 0, v[198:199]
	s_or_b64 s[16:17], vcc, s[0:1]
	v_mov_b32_e32 v210, 1
	v_mov_b32_e32 v213, 1
	s_and_saveexec_b64 s[0:1], s[16:17]
	s_cbranch_execz .LBB96_12
; %bb.7:
	v_cmp_ngt_f64_e64 s[16:17], |v[196:197]|, |v[198:199]|
	s_and_saveexec_b64 s[18:19], s[16:17]
	s_xor_b64 s[16:17], exec, s[18:19]
	s_cbranch_execz .LBB96_9
; %bb.8:
	v_div_scale_f64 v[214:215], s[18:19], v[198:199], v[198:199], v[196:197]
	v_rcp_f64_e32 v[216:217], v[214:215]
	v_div_scale_f64 v[218:219], vcc, v[196:197], v[198:199], v[196:197]
	v_fma_f64 v[220:221], -v[214:215], v[216:217], 1.0
	v_fmac_f64_e32 v[216:217], v[216:217], v[220:221]
	v_fma_f64 v[220:221], -v[214:215], v[216:217], 1.0
	v_fmac_f64_e32 v[216:217], v[216:217], v[220:221]
	v_mul_f64 v[220:221], v[218:219], v[216:217]
	v_fma_f64 v[214:215], -v[214:215], v[220:221], v[218:219]
	v_div_fmas_f64 v[214:215], v[214:215], v[216:217], v[220:221]
	v_div_fixup_f64 v[214:215], v[214:215], v[198:199], v[196:197]
	v_fmac_f64_e32 v[198:199], v[196:197], v[214:215]
	v_div_scale_f64 v[196:197], s[18:19], v[198:199], v[198:199], 1.0
	v_rcp_f64_e32 v[216:217], v[196:197]
	s_nop 0
	v_fma_f64 v[218:219], -v[196:197], v[216:217], 1.0
	v_fmac_f64_e32 v[216:217], v[216:217], v[218:219]
	v_fma_f64 v[218:219], -v[196:197], v[216:217], 1.0
	v_fmac_f64_e32 v[216:217], v[216:217], v[218:219]
	v_div_scale_f64 v[218:219], vcc, 1.0, v[198:199], 1.0
	v_mul_f64 v[220:221], v[218:219], v[216:217]
	v_fma_f64 v[196:197], -v[196:197], v[220:221], v[218:219]
	s_nop 1
	v_div_fmas_f64 v[196:197], v[196:197], v[216:217], v[220:221]
	v_div_fixup_f64 v[198:199], v[196:197], v[198:199], 1.0
	v_mul_f64 v[196:197], v[214:215], v[198:199]
	v_xor_b32_e32 v199, 0x80000000, v199
.LBB96_9:
	s_andn2_saveexec_b64 s[16:17], s[16:17]
	s_cbranch_execz .LBB96_11
; %bb.10:
	v_div_scale_f64 v[214:215], s[18:19], v[196:197], v[196:197], v[198:199]
	v_rcp_f64_e32 v[216:217], v[214:215]
	v_div_scale_f64 v[218:219], vcc, v[198:199], v[196:197], v[198:199]
	v_fma_f64 v[220:221], -v[214:215], v[216:217], 1.0
	v_fmac_f64_e32 v[216:217], v[216:217], v[220:221]
	v_fma_f64 v[220:221], -v[214:215], v[216:217], 1.0
	v_fmac_f64_e32 v[216:217], v[216:217], v[220:221]
	v_mul_f64 v[220:221], v[218:219], v[216:217]
	v_fma_f64 v[214:215], -v[214:215], v[220:221], v[218:219]
	v_div_fmas_f64 v[214:215], v[214:215], v[216:217], v[220:221]
	v_div_fixup_f64 v[214:215], v[214:215], v[196:197], v[198:199]
	v_fmac_f64_e32 v[196:197], v[198:199], v[214:215]
	v_div_scale_f64 v[198:199], s[18:19], v[196:197], v[196:197], 1.0
	v_rcp_f64_e32 v[216:217], v[198:199]
	s_nop 0
	v_fma_f64 v[218:219], -v[198:199], v[216:217], 1.0
	v_fmac_f64_e32 v[216:217], v[216:217], v[218:219]
	v_fma_f64 v[218:219], -v[198:199], v[216:217], 1.0
	v_fmac_f64_e32 v[216:217], v[216:217], v[218:219]
	v_div_scale_f64 v[218:219], vcc, 1.0, v[196:197], 1.0
	v_mul_f64 v[220:221], v[218:219], v[216:217]
	v_fma_f64 v[198:199], -v[198:199], v[220:221], v[218:219]
	s_nop 1
	v_div_fmas_f64 v[198:199], v[198:199], v[216:217], v[220:221]
	v_div_fixup_f64 v[196:197], v[198:199], v[196:197], 1.0
	v_mul_f64 v[198:199], v[214:215], -v[196:197]
.LBB96_11:
	s_or_b64 exec, exec, s[16:17]
	v_mov_b32_e32 v213, 0
	v_mov_b32_e32 v210, 2
.LBB96_12:
	s_or_b64 exec, exec, s[0:1]
	v_cmp_ne_u32_e32 vcc, v211, v207
	s_and_saveexec_b64 s[0:1], vcc
	s_xor_b64 s[0:1], exec, s[0:1]
	s_cbranch_execz .LBB96_18
; %bb.13:
	v_cmp_eq_u32_e32 vcc, 0, v211
	s_and_saveexec_b64 s[16:17], vcc
	s_cbranch_execz .LBB96_17
; %bb.14:
	v_cmp_ne_u32_e32 vcc, 0, v207
	s_xor_b64 s[18:19], s[14:15], -1
	s_and_b64 s[22:23], s[18:19], vcc
	s_and_saveexec_b64 s[18:19], s[22:23]
	s_cbranch_execz .LBB96_16
; %bb.15:
	v_ashrrev_i32_e32 v215, 31, v207
	v_mov_b32_e32 v214, v207
	v_lshl_add_u64 v[214:215], v[214:215], 2, v[204:205]
	global_load_dword v206, v[214:215], off
	global_load_dword v209, v[204:205], off
	s_waitcnt vmcnt(1)
	global_store_dword v[204:205], v206, off
	s_waitcnt vmcnt(1)
	global_store_dword v[214:215], v209, off
.LBB96_16:
	s_or_b64 exec, exec, s[18:19]
	v_mov_b32_e32 v211, v207
.LBB96_17:
	s_or_b64 exec, exec, s[16:17]
.LBB96_18:
	s_or_saveexec_b64 s[0:1], s[0:1]
	v_mov_b32_e32 v209, v211
	s_xor_b64 exec, exec, s[0:1]
	s_cbranch_execz .LBB96_20
; %bb.19:
	v_mov_b32_e32 v209, 0
	s_waitcnt vmcnt(47)
	ds_write2_b64 v208, v[124:125], v[126:127] offset0:2 offset1:3
	s_waitcnt vmcnt(46)
	ds_write2_b64 v208, v[188:189], v[190:191] offset0:4 offset1:5
	;; [unrolled: 2-line block ×48, first 2 shown]
.LBB96_20:
	s_or_b64 exec, exec, s[0:1]
	v_cmp_lt_i32_e32 vcc, 0, v209
	s_waitcnt lgkmcnt(0)
	s_barrier
	s_and_saveexec_b64 s[0:1], vcc
	s_cbranch_execz .LBB96_22
; %bb.21:
	ds_read2_b64 v[214:217], v208 offset0:2 offset1:3
	v_mul_f64 v[206:207], v[198:199], v[134:135]
	v_mul_f64 v[134:135], v[196:197], v[134:135]
	v_fma_f64 v[206:207], v[196:197], v[132:133], -v[206:207]
	v_fmac_f64_e32 v[134:135], v[198:199], v[132:133]
	ds_read2_b64 v[196:199], v208 offset0:4 offset1:5
	s_waitcnt lgkmcnt(1)
	v_mul_f64 v[132:133], v[216:217], v[134:135]
	v_fma_f64 v[132:133], v[214:215], v[206:207], -v[132:133]
	v_mul_f64 v[214:215], v[214:215], v[134:135]
	v_fmac_f64_e32 v[214:215], v[216:217], v[206:207]
	s_waitcnt vmcnt(47)
	v_add_f64 v[124:125], v[124:125], -v[132:133]
	s_waitcnt lgkmcnt(0)
	v_mul_f64 v[132:133], v[198:199], v[134:135]
	v_add_f64 v[126:127], v[126:127], -v[214:215]
	v_fma_f64 v[132:133], v[196:197], v[206:207], -v[132:133]
	v_mul_f64 v[196:197], v[196:197], v[134:135]
	ds_read2_b64 v[214:217], v208 offset0:6 offset1:7
	v_fmac_f64_e32 v[196:197], v[198:199], v[206:207]
	s_waitcnt vmcnt(46)
	v_add_f64 v[190:191], v[190:191], -v[196:197]
	ds_read2_b64 v[196:199], v208 offset0:8 offset1:9
	v_add_f64 v[188:189], v[188:189], -v[132:133]
	s_waitcnt lgkmcnt(1)
	v_mul_f64 v[132:133], v[216:217], v[134:135]
	v_fma_f64 v[132:133], v[214:215], v[206:207], -v[132:133]
	v_mul_f64 v[214:215], v[214:215], v[134:135]
	v_fmac_f64_e32 v[214:215], v[216:217], v[206:207]
	s_waitcnt vmcnt(45)
	v_add_f64 v[184:185], v[184:185], -v[132:133]
	s_waitcnt lgkmcnt(0)
	v_mul_f64 v[132:133], v[198:199], v[134:135]
	v_add_f64 v[186:187], v[186:187], -v[214:215]
	v_fma_f64 v[132:133], v[196:197], v[206:207], -v[132:133]
	v_mul_f64 v[196:197], v[196:197], v[134:135]
	ds_read2_b64 v[214:217], v208 offset0:10 offset1:11
	v_fmac_f64_e32 v[196:197], v[198:199], v[206:207]
	s_waitcnt vmcnt(44)
	v_add_f64 v[182:183], v[182:183], -v[196:197]
	ds_read2_b64 v[196:199], v208 offset0:12 offset1:13
	v_add_f64 v[180:181], v[180:181], -v[132:133]
	;; [unrolled: 18-line block ×23, first 2 shown]
	s_waitcnt lgkmcnt(1)
	v_mul_f64 v[132:133], v[216:217], v[134:135]
	v_fma_f64 v[132:133], v[214:215], v[206:207], -v[132:133]
	s_waitcnt vmcnt(1)
	v_add_f64 v[0:1], v[0:1], -v[132:133]
	s_waitcnt lgkmcnt(0)
	v_mul_f64 v[132:133], v[198:199], v[134:135]
	v_mul_f64 v[214:215], v[214:215], v[134:135]
	v_fma_f64 v[132:133], v[196:197], v[206:207], -v[132:133]
	v_mul_f64 v[196:197], v[196:197], v[134:135]
	v_fmac_f64_e32 v[214:215], v[216:217], v[206:207]
	v_fmac_f64_e32 v[196:197], v[198:199], v[206:207]
	v_add_f64 v[2:3], v[2:3], -v[214:215]
	s_waitcnt vmcnt(0)
	v_add_f64 v[192:193], v[192:193], -v[132:133]
	v_add_f64 v[194:195], v[194:195], -v[196:197]
	v_mov_b64_e32 v[132:133], v[206:207]
.LBB96_22:
	s_or_b64 exec, exec, s[0:1]
	v_lshl_add_u32 v196, v209, 4, v208
	s_barrier
	s_waitcnt vmcnt(47)
	ds_write2_b64 v196, v[124:125], v[126:127] offset1:1
	s_waitcnt lgkmcnt(0)
	s_barrier
	ds_read2_b64 v[196:199], v208 offset0:2 offset1:3
	s_cmp_lt_i32 s20, 3
	v_mov_b32_e32 v206, 1
	s_cbranch_scc1 .LBB96_25
; %bb.23:
	v_add3_u32 v207, v212, 0, 32
	s_mov_b32 s16, 2
	v_mov_b32_e32 v206, 1
.LBB96_24:                              ; =>This Inner Loop Header: Depth=1
	ds_read2_b64 v[214:217], v207 offset1:1
	s_waitcnt lgkmcnt(1)
	v_xor_b32_e32 v219, 0x80000000, v197
	v_xor_b32_e32 v221, 0x80000000, v199
	v_cmp_gt_f64_e32 vcc, 0, v[198:199]
	v_cmp_gt_f64_e64 s[0:1], 0, v[196:197]
	v_mov_b32_e32 v218, v196
	v_mov_b32_e32 v220, v198
	v_cndmask_b32_e64 v219, v197, v219, s[0:1]
	v_cndmask_b32_e32 v221, v199, v221, vcc
	v_add_f64 v[218:219], v[218:219], v[220:221]
	s_waitcnt lgkmcnt(0)
	v_xor_b32_e32 v221, 0x80000000, v215
	v_xor_b32_e32 v223, 0x80000000, v217
	v_cmp_gt_f64_e32 vcc, 0, v[216:217]
	v_cmp_gt_f64_e64 s[0:1], 0, v[214:215]
	v_mov_b32_e32 v220, v214
	v_mov_b32_e32 v222, v216
	v_cndmask_b32_e64 v221, v215, v221, s[0:1]
	v_cndmask_b32_e32 v223, v217, v223, vcc
	v_add_f64 v[220:221], v[220:221], v[222:223]
	v_mov_b32_e32 v224, s16
	s_add_i32 s16, s16, 1
	v_cmp_lt_f64_e32 vcc, v[218:219], v[220:221]
	v_add_u32_e32 v207, 16, v207
	s_cmp_lg_u32 s20, s16
	v_cndmask_b32_e32 v197, v197, v215, vcc
	v_cndmask_b32_e32 v196, v196, v214, vcc
	;; [unrolled: 1-line block ×5, first 2 shown]
	s_cbranch_scc1 .LBB96_24
.LBB96_25:
	s_waitcnt lgkmcnt(0)
	v_cmp_neq_f64_e32 vcc, 0, v[196:197]
	v_cmp_neq_f64_e64 s[0:1], 0, v[198:199]
	s_or_b64 s[16:17], vcc, s[0:1]
	s_and_saveexec_b64 s[0:1], s[16:17]
	s_cbranch_execz .LBB96_31
; %bb.26:
	v_cmp_ngt_f64_e64 s[16:17], |v[196:197]|, |v[198:199]|
	s_and_saveexec_b64 s[18:19], s[16:17]
	s_xor_b64 s[16:17], exec, s[18:19]
	s_cbranch_execz .LBB96_28
; %bb.27:
	v_div_scale_f64 v[214:215], s[18:19], v[198:199], v[198:199], v[196:197]
	v_rcp_f64_e32 v[216:217], v[214:215]
	v_div_scale_f64 v[218:219], vcc, v[196:197], v[198:199], v[196:197]
	v_fma_f64 v[220:221], -v[214:215], v[216:217], 1.0
	v_fmac_f64_e32 v[216:217], v[216:217], v[220:221]
	v_fma_f64 v[220:221], -v[214:215], v[216:217], 1.0
	v_fmac_f64_e32 v[216:217], v[216:217], v[220:221]
	v_mul_f64 v[220:221], v[218:219], v[216:217]
	v_fma_f64 v[214:215], -v[214:215], v[220:221], v[218:219]
	v_div_fmas_f64 v[214:215], v[214:215], v[216:217], v[220:221]
	v_div_fixup_f64 v[214:215], v[214:215], v[198:199], v[196:197]
	v_fmac_f64_e32 v[198:199], v[196:197], v[214:215]
	v_div_scale_f64 v[196:197], s[18:19], v[198:199], v[198:199], 1.0
	v_rcp_f64_e32 v[216:217], v[196:197]
	s_nop 0
	v_fma_f64 v[218:219], -v[196:197], v[216:217], 1.0
	v_fmac_f64_e32 v[216:217], v[216:217], v[218:219]
	v_fma_f64 v[218:219], -v[196:197], v[216:217], 1.0
	v_fmac_f64_e32 v[216:217], v[216:217], v[218:219]
	v_div_scale_f64 v[218:219], vcc, 1.0, v[198:199], 1.0
	v_mul_f64 v[220:221], v[218:219], v[216:217]
	v_fma_f64 v[196:197], -v[196:197], v[220:221], v[218:219]
	s_nop 1
	v_div_fmas_f64 v[196:197], v[196:197], v[216:217], v[220:221]
	v_div_fixup_f64 v[198:199], v[196:197], v[198:199], 1.0
	v_mul_f64 v[196:197], v[214:215], v[198:199]
	v_xor_b32_e32 v199, 0x80000000, v199
.LBB96_28:
	s_andn2_saveexec_b64 s[16:17], s[16:17]
	s_cbranch_execz .LBB96_30
; %bb.29:
	v_div_scale_f64 v[214:215], s[18:19], v[196:197], v[196:197], v[198:199]
	v_rcp_f64_e32 v[216:217], v[214:215]
	v_div_scale_f64 v[218:219], vcc, v[198:199], v[196:197], v[198:199]
	v_fma_f64 v[220:221], -v[214:215], v[216:217], 1.0
	v_fmac_f64_e32 v[216:217], v[216:217], v[220:221]
	v_fma_f64 v[220:221], -v[214:215], v[216:217], 1.0
	v_fmac_f64_e32 v[216:217], v[216:217], v[220:221]
	v_mul_f64 v[220:221], v[218:219], v[216:217]
	v_fma_f64 v[214:215], -v[214:215], v[220:221], v[218:219]
	v_div_fmas_f64 v[214:215], v[214:215], v[216:217], v[220:221]
	v_div_fixup_f64 v[214:215], v[214:215], v[196:197], v[198:199]
	v_fmac_f64_e32 v[196:197], v[198:199], v[214:215]
	v_div_scale_f64 v[198:199], s[18:19], v[196:197], v[196:197], 1.0
	v_rcp_f64_e32 v[216:217], v[198:199]
	s_nop 0
	v_fma_f64 v[218:219], -v[198:199], v[216:217], 1.0
	v_fmac_f64_e32 v[216:217], v[216:217], v[218:219]
	v_fma_f64 v[218:219], -v[198:199], v[216:217], 1.0
	v_fmac_f64_e32 v[216:217], v[216:217], v[218:219]
	v_div_scale_f64 v[218:219], vcc, 1.0, v[196:197], 1.0
	v_mul_f64 v[220:221], v[218:219], v[216:217]
	v_fma_f64 v[198:199], -v[198:199], v[220:221], v[218:219]
	s_nop 1
	v_div_fmas_f64 v[198:199], v[198:199], v[216:217], v[220:221]
	v_div_fixup_f64 v[196:197], v[198:199], v[196:197], 1.0
	v_mul_f64 v[198:199], v[214:215], -v[196:197]
.LBB96_30:
	s_or_b64 exec, exec, s[16:17]
	v_mov_b32_e32 v210, v213
.LBB96_31:
	s_or_b64 exec, exec, s[0:1]
	v_cmp_ne_u32_e32 vcc, v209, v206
	s_and_saveexec_b64 s[0:1], vcc
	s_xor_b64 s[0:1], exec, s[0:1]
	s_cbranch_execz .LBB96_37
; %bb.32:
	v_cmp_eq_u32_e32 vcc, 1, v209
	s_and_saveexec_b64 s[16:17], vcc
	s_cbranch_execz .LBB96_36
; %bb.33:
	v_cmp_ne_u32_e32 vcc, 1, v206
	s_xor_b64 s[18:19], s[14:15], -1
	s_and_b64 s[22:23], s[18:19], vcc
	s_and_saveexec_b64 s[18:19], s[22:23]
	s_cbranch_execz .LBB96_35
; %bb.34:
	v_ashrrev_i32_e32 v207, 31, v206
	v_lshl_add_u64 v[214:215], v[206:207], 2, v[204:205]
	global_load_dword v207, v[214:215], off
	global_load_dword v209, v[204:205], off offset:4
	s_waitcnt vmcnt(1)
	global_store_dword v[204:205], v207, off offset:4
	s_waitcnt vmcnt(1)
	global_store_dword v[214:215], v209, off
.LBB96_35:
	s_or_b64 exec, exec, s[18:19]
	v_mov_b32_e32 v209, v206
	v_mov_b32_e32 v211, v206
.LBB96_36:
	s_or_b64 exec, exec, s[16:17]
.LBB96_37:
	s_andn2_saveexec_b64 s[0:1], s[0:1]
	s_cbranch_execz .LBB96_39
; %bb.38:
	v_mov_b32_e32 v209, 1
	s_waitcnt vmcnt(46)
	ds_write2_b64 v208, v[188:189], v[190:191] offset0:4 offset1:5
	s_waitcnt vmcnt(45)
	ds_write2_b64 v208, v[184:185], v[186:187] offset0:6 offset1:7
	;; [unrolled: 2-line block ×47, first 2 shown]
.LBB96_39:
	s_or_b64 exec, exec, s[0:1]
	v_cmp_lt_i32_e32 vcc, 1, v209
	s_waitcnt lgkmcnt(0)
	s_barrier
	s_and_saveexec_b64 s[0:1], vcc
	s_cbranch_execz .LBB96_41
; %bb.40:
	ds_read2_b64 v[214:217], v208 offset0:4 offset1:5
	v_mul_f64 v[206:207], v[198:199], v[126:127]
	v_mul_f64 v[126:127], v[196:197], v[126:127]
	v_fmac_f64_e32 v[126:127], v[198:199], v[124:125]
	v_fma_f64 v[206:207], v[196:197], v[124:125], -v[206:207]
	ds_read2_b64 v[196:199], v208 offset0:6 offset1:7
	s_waitcnt lgkmcnt(1)
	v_mul_f64 v[124:125], v[216:217], v[126:127]
	v_fma_f64 v[124:125], v[214:215], v[206:207], -v[124:125]
	v_mul_f64 v[214:215], v[214:215], v[126:127]
	v_fmac_f64_e32 v[214:215], v[216:217], v[206:207]
	s_waitcnt vmcnt(46)
	v_add_f64 v[190:191], v[190:191], -v[214:215]
	ds_read2_b64 v[214:217], v208 offset0:8 offset1:9
	v_add_f64 v[188:189], v[188:189], -v[124:125]
	s_waitcnt lgkmcnt(1)
	v_mul_f64 v[124:125], v[198:199], v[126:127]
	v_fma_f64 v[124:125], v[196:197], v[206:207], -v[124:125]
	v_mul_f64 v[196:197], v[196:197], v[126:127]
	v_fmac_f64_e32 v[196:197], v[198:199], v[206:207]
	s_waitcnt vmcnt(45)
	v_add_f64 v[184:185], v[184:185], -v[124:125]
	v_add_f64 v[186:187], v[186:187], -v[196:197]
	ds_read2_b64 v[196:199], v208 offset0:10 offset1:11
	s_waitcnt lgkmcnt(1)
	v_mul_f64 v[124:125], v[216:217], v[126:127]
	v_fma_f64 v[124:125], v[214:215], v[206:207], -v[124:125]
	v_mul_f64 v[214:215], v[214:215], v[126:127]
	v_fmac_f64_e32 v[214:215], v[216:217], v[206:207]
	s_waitcnt vmcnt(44)
	v_add_f64 v[182:183], v[182:183], -v[214:215]
	ds_read2_b64 v[214:217], v208 offset0:12 offset1:13
	v_add_f64 v[180:181], v[180:181], -v[124:125]
	s_waitcnt lgkmcnt(1)
	v_mul_f64 v[124:125], v[198:199], v[126:127]
	v_fma_f64 v[124:125], v[196:197], v[206:207], -v[124:125]
	v_mul_f64 v[196:197], v[196:197], v[126:127]
	v_fmac_f64_e32 v[196:197], v[198:199], v[206:207]
	s_waitcnt vmcnt(43)
	v_add_f64 v[176:177], v[176:177], -v[124:125]
	v_add_f64 v[178:179], v[178:179], -v[196:197]
	;; [unrolled: 18-line block ×23, first 2 shown]
	s_waitcnt lgkmcnt(0)
	v_mul_f64 v[124:125], v[216:217], v[126:127]
	v_mul_f64 v[196:197], v[214:215], v[126:127]
	v_fma_f64 v[124:125], v[214:215], v[206:207], -v[124:125]
	v_fmac_f64_e32 v[196:197], v[216:217], v[206:207]
	s_waitcnt vmcnt(0)
	v_add_f64 v[192:193], v[192:193], -v[124:125]
	v_add_f64 v[194:195], v[194:195], -v[196:197]
	v_mov_b64_e32 v[124:125], v[206:207]
.LBB96_41:
	s_or_b64 exec, exec, s[0:1]
	v_lshl_add_u32 v196, v209, 4, v208
	s_barrier
	s_waitcnt vmcnt(46)
	ds_write2_b64 v196, v[188:189], v[190:191] offset1:1
	s_waitcnt lgkmcnt(0)
	s_barrier
	ds_read2_b64 v[196:199], v208 offset0:4 offset1:5
	s_cmp_lt_i32 s20, 4
	v_mov_b32_e32 v206, 2
	s_cbranch_scc1 .LBB96_44
; %bb.42:
	v_add3_u32 v207, v212, 0, 48
	s_mov_b32 s16, 3
	v_mov_b32_e32 v206, 2
.LBB96_43:                              ; =>This Inner Loop Header: Depth=1
	ds_read2_b64 v[214:217], v207 offset1:1
	s_waitcnt lgkmcnt(1)
	v_xor_b32_e32 v213, 0x80000000, v197
	v_xor_b32_e32 v221, 0x80000000, v199
	v_cmp_gt_f64_e32 vcc, 0, v[198:199]
	v_cmp_gt_f64_e64 s[0:1], 0, v[196:197]
	v_mov_b32_e32 v218, v196
	v_mov_b32_e32 v220, v198
	v_cndmask_b32_e64 v219, v197, v213, s[0:1]
	v_cndmask_b32_e32 v221, v199, v221, vcc
	s_waitcnt lgkmcnt(0)
	v_xor_b32_e32 v213, 0x80000000, v215
	v_xor_b32_e32 v223, 0x80000000, v217
	v_cmp_gt_f64_e32 vcc, 0, v[216:217]
	v_cmp_gt_f64_e64 s[0:1], 0, v[214:215]
	v_add_f64 v[218:219], v[218:219], v[220:221]
	v_mov_b32_e32 v220, v214
	v_mov_b32_e32 v222, v216
	v_cndmask_b32_e64 v221, v215, v213, s[0:1]
	v_cndmask_b32_e32 v223, v217, v223, vcc
	v_add_f64 v[220:221], v[220:221], v[222:223]
	v_mov_b32_e32 v224, s16
	s_add_i32 s16, s16, 1
	v_cmp_lt_f64_e32 vcc, v[218:219], v[220:221]
	v_add_u32_e32 v207, 16, v207
	s_cmp_lg_u32 s20, s16
	v_cndmask_b32_e32 v197, v197, v215, vcc
	v_cndmask_b32_e32 v196, v196, v214, vcc
	;; [unrolled: 1-line block ×5, first 2 shown]
	s_cbranch_scc1 .LBB96_43
.LBB96_44:
	s_waitcnt lgkmcnt(0)
	v_cmp_eq_f64_e32 vcc, 0, v[196:197]
	v_cmp_eq_f64_e64 s[0:1], 0, v[198:199]
	s_and_b64 s[0:1], vcc, s[0:1]
	s_and_saveexec_b64 s[16:17], s[0:1]
	s_xor_b64 s[0:1], exec, s[16:17]
; %bb.45:
	v_cmp_ne_u32_e32 vcc, 0, v210
	s_nop 1
	v_cndmask_b32_e32 v210, 3, v210, vcc
; %bb.46:
	s_andn2_saveexec_b64 s[0:1], s[0:1]
	s_cbranch_execz .LBB96_52
; %bb.47:
	v_cmp_ngt_f64_e64 s[16:17], |v[196:197]|, |v[198:199]|
	s_and_saveexec_b64 s[18:19], s[16:17]
	s_xor_b64 s[16:17], exec, s[18:19]
	s_cbranch_execz .LBB96_49
; %bb.48:
	v_div_scale_f64 v[214:215], s[18:19], v[198:199], v[198:199], v[196:197]
	v_rcp_f64_e32 v[216:217], v[214:215]
	v_div_scale_f64 v[218:219], vcc, v[196:197], v[198:199], v[196:197]
	v_fma_f64 v[220:221], -v[214:215], v[216:217], 1.0
	v_fmac_f64_e32 v[216:217], v[216:217], v[220:221]
	v_fma_f64 v[220:221], -v[214:215], v[216:217], 1.0
	v_fmac_f64_e32 v[216:217], v[216:217], v[220:221]
	v_mul_f64 v[220:221], v[218:219], v[216:217]
	v_fma_f64 v[214:215], -v[214:215], v[220:221], v[218:219]
	v_div_fmas_f64 v[214:215], v[214:215], v[216:217], v[220:221]
	v_div_fixup_f64 v[214:215], v[214:215], v[198:199], v[196:197]
	v_fmac_f64_e32 v[198:199], v[196:197], v[214:215]
	v_div_scale_f64 v[196:197], s[18:19], v[198:199], v[198:199], 1.0
	v_rcp_f64_e32 v[216:217], v[196:197]
	s_nop 0
	v_fma_f64 v[218:219], -v[196:197], v[216:217], 1.0
	v_fmac_f64_e32 v[216:217], v[216:217], v[218:219]
	v_fma_f64 v[218:219], -v[196:197], v[216:217], 1.0
	v_fmac_f64_e32 v[216:217], v[216:217], v[218:219]
	v_div_scale_f64 v[218:219], vcc, 1.0, v[198:199], 1.0
	v_mul_f64 v[220:221], v[218:219], v[216:217]
	v_fma_f64 v[196:197], -v[196:197], v[220:221], v[218:219]
	s_nop 1
	v_div_fmas_f64 v[196:197], v[196:197], v[216:217], v[220:221]
	v_div_fixup_f64 v[198:199], v[196:197], v[198:199], 1.0
	v_mul_f64 v[196:197], v[214:215], v[198:199]
	v_xor_b32_e32 v199, 0x80000000, v199
.LBB96_49:
	s_andn2_saveexec_b64 s[16:17], s[16:17]
	s_cbranch_execz .LBB96_51
; %bb.50:
	v_div_scale_f64 v[214:215], s[18:19], v[196:197], v[196:197], v[198:199]
	v_rcp_f64_e32 v[216:217], v[214:215]
	v_div_scale_f64 v[218:219], vcc, v[198:199], v[196:197], v[198:199]
	v_fma_f64 v[220:221], -v[214:215], v[216:217], 1.0
	v_fmac_f64_e32 v[216:217], v[216:217], v[220:221]
	v_fma_f64 v[220:221], -v[214:215], v[216:217], 1.0
	v_fmac_f64_e32 v[216:217], v[216:217], v[220:221]
	v_mul_f64 v[220:221], v[218:219], v[216:217]
	v_fma_f64 v[214:215], -v[214:215], v[220:221], v[218:219]
	v_div_fmas_f64 v[214:215], v[214:215], v[216:217], v[220:221]
	v_div_fixup_f64 v[214:215], v[214:215], v[196:197], v[198:199]
	v_fmac_f64_e32 v[196:197], v[198:199], v[214:215]
	v_div_scale_f64 v[198:199], s[18:19], v[196:197], v[196:197], 1.0
	v_rcp_f64_e32 v[216:217], v[198:199]
	s_nop 0
	v_fma_f64 v[218:219], -v[198:199], v[216:217], 1.0
	v_fmac_f64_e32 v[216:217], v[216:217], v[218:219]
	v_fma_f64 v[218:219], -v[198:199], v[216:217], 1.0
	v_fmac_f64_e32 v[216:217], v[216:217], v[218:219]
	v_div_scale_f64 v[218:219], vcc, 1.0, v[196:197], 1.0
	v_mul_f64 v[220:221], v[218:219], v[216:217]
	v_fma_f64 v[198:199], -v[198:199], v[220:221], v[218:219]
	s_nop 1
	v_div_fmas_f64 v[198:199], v[198:199], v[216:217], v[220:221]
	v_div_fixup_f64 v[196:197], v[198:199], v[196:197], 1.0
	v_mul_f64 v[198:199], v[214:215], -v[196:197]
.LBB96_51:
	s_or_b64 exec, exec, s[16:17]
.LBB96_52:
	s_or_b64 exec, exec, s[0:1]
	v_cmp_ne_u32_e32 vcc, v209, v206
	s_and_saveexec_b64 s[0:1], vcc
	s_xor_b64 s[0:1], exec, s[0:1]
	s_cbranch_execz .LBB96_58
; %bb.53:
	v_cmp_eq_u32_e32 vcc, 2, v209
	s_and_saveexec_b64 s[16:17], vcc
	s_cbranch_execz .LBB96_57
; %bb.54:
	v_cmp_ne_u32_e32 vcc, 2, v206
	s_xor_b64 s[18:19], s[14:15], -1
	s_and_b64 s[22:23], s[18:19], vcc
	s_and_saveexec_b64 s[18:19], s[22:23]
	s_cbranch_execz .LBB96_56
; %bb.55:
	v_ashrrev_i32_e32 v207, 31, v206
	v_lshl_add_u64 v[214:215], v[206:207], 2, v[204:205]
	global_load_dword v207, v[214:215], off
	global_load_dword v209, v[204:205], off offset:8
	s_waitcnt vmcnt(1)
	global_store_dword v[204:205], v207, off offset:8
	s_waitcnt vmcnt(1)
	global_store_dword v[214:215], v209, off
.LBB96_56:
	s_or_b64 exec, exec, s[18:19]
	v_mov_b32_e32 v209, v206
	v_mov_b32_e32 v211, v206
.LBB96_57:
	s_or_b64 exec, exec, s[16:17]
.LBB96_58:
	s_andn2_saveexec_b64 s[0:1], s[0:1]
	s_cbranch_execz .LBB96_60
; %bb.59:
	v_mov_b32_e32 v209, 2
	s_waitcnt vmcnt(45)
	ds_write2_b64 v208, v[184:185], v[186:187] offset0:6 offset1:7
	s_waitcnt vmcnt(44)
	ds_write2_b64 v208, v[180:181], v[182:183] offset0:8 offset1:9
	;; [unrolled: 2-line block ×46, first 2 shown]
.LBB96_60:
	s_or_b64 exec, exec, s[0:1]
	v_cmp_lt_i32_e32 vcc, 2, v209
	s_waitcnt lgkmcnt(0)
	s_barrier
	s_and_saveexec_b64 s[0:1], vcc
	s_cbranch_execz .LBB96_62
; %bb.61:
	ds_read2_b64 v[214:217], v208 offset0:6 offset1:7
	v_mul_f64 v[206:207], v[198:199], v[190:191]
	v_mul_f64 v[190:191], v[196:197], v[190:191]
	v_fma_f64 v[206:207], v[196:197], v[188:189], -v[206:207]
	v_fmac_f64_e32 v[190:191], v[198:199], v[188:189]
	ds_read2_b64 v[196:199], v208 offset0:8 offset1:9
	s_waitcnt lgkmcnt(1)
	v_mul_f64 v[188:189], v[216:217], v[190:191]
	v_fma_f64 v[188:189], v[214:215], v[206:207], -v[188:189]
	v_mul_f64 v[214:215], v[214:215], v[190:191]
	v_fmac_f64_e32 v[214:215], v[216:217], v[206:207]
	s_waitcnt vmcnt(45)
	v_add_f64 v[184:185], v[184:185], -v[188:189]
	s_waitcnt lgkmcnt(0)
	v_mul_f64 v[188:189], v[198:199], v[190:191]
	v_add_f64 v[186:187], v[186:187], -v[214:215]
	v_fma_f64 v[188:189], v[196:197], v[206:207], -v[188:189]
	v_mul_f64 v[196:197], v[196:197], v[190:191]
	ds_read2_b64 v[214:217], v208 offset0:10 offset1:11
	v_fmac_f64_e32 v[196:197], v[198:199], v[206:207]
	s_waitcnt vmcnt(44)
	v_add_f64 v[182:183], v[182:183], -v[196:197]
	ds_read2_b64 v[196:199], v208 offset0:12 offset1:13
	v_add_f64 v[180:181], v[180:181], -v[188:189]
	s_waitcnt lgkmcnt(1)
	v_mul_f64 v[188:189], v[216:217], v[190:191]
	v_fma_f64 v[188:189], v[214:215], v[206:207], -v[188:189]
	v_mul_f64 v[214:215], v[214:215], v[190:191]
	v_fmac_f64_e32 v[214:215], v[216:217], v[206:207]
	s_waitcnt vmcnt(43)
	v_add_f64 v[176:177], v[176:177], -v[188:189]
	s_waitcnt lgkmcnt(0)
	v_mul_f64 v[188:189], v[198:199], v[190:191]
	v_add_f64 v[178:179], v[178:179], -v[214:215]
	v_fma_f64 v[188:189], v[196:197], v[206:207], -v[188:189]
	v_mul_f64 v[196:197], v[196:197], v[190:191]
	ds_read2_b64 v[214:217], v208 offset0:14 offset1:15
	v_fmac_f64_e32 v[196:197], v[198:199], v[206:207]
	s_waitcnt vmcnt(42)
	v_add_f64 v[174:175], v[174:175], -v[196:197]
	ds_read2_b64 v[196:199], v208 offset0:16 offset1:17
	v_add_f64 v[172:173], v[172:173], -v[188:189]
	;; [unrolled: 18-line block ×22, first 2 shown]
	s_waitcnt lgkmcnt(1)
	v_mul_f64 v[188:189], v[216:217], v[190:191]
	v_fma_f64 v[188:189], v[214:215], v[206:207], -v[188:189]
	s_waitcnt vmcnt(1)
	v_add_f64 v[0:1], v[0:1], -v[188:189]
	s_waitcnt lgkmcnt(0)
	v_mul_f64 v[188:189], v[198:199], v[190:191]
	v_mul_f64 v[214:215], v[214:215], v[190:191]
	v_fma_f64 v[188:189], v[196:197], v[206:207], -v[188:189]
	v_mul_f64 v[196:197], v[196:197], v[190:191]
	v_fmac_f64_e32 v[214:215], v[216:217], v[206:207]
	v_fmac_f64_e32 v[196:197], v[198:199], v[206:207]
	v_add_f64 v[2:3], v[2:3], -v[214:215]
	s_waitcnt vmcnt(0)
	v_add_f64 v[192:193], v[192:193], -v[188:189]
	v_add_f64 v[194:195], v[194:195], -v[196:197]
	v_mov_b64_e32 v[188:189], v[206:207]
.LBB96_62:
	s_or_b64 exec, exec, s[0:1]
	v_lshl_add_u32 v196, v209, 4, v208
	s_barrier
	s_waitcnt vmcnt(45)
	ds_write2_b64 v196, v[184:185], v[186:187] offset1:1
	s_waitcnt lgkmcnt(0)
	s_barrier
	ds_read2_b64 v[196:199], v208 offset0:6 offset1:7
	s_mov_b32 s16, 4
	s_cmp_lt_i32 s20, 5
	v_mov_b32_e32 v206, 3
	s_cbranch_scc1 .LBB96_65
; %bb.63:
	v_add3_u32 v207, v212, 0, 64
	v_mov_b32_e32 v206, 3
.LBB96_64:                              ; =>This Inner Loop Header: Depth=1
	ds_read2_b64 v[212:215], v207 offset1:1
	s_waitcnt lgkmcnt(1)
	v_xor_b32_e32 v217, 0x80000000, v197
	v_xor_b32_e32 v219, 0x80000000, v199
	v_cmp_gt_f64_e32 vcc, 0, v[198:199]
	v_cmp_gt_f64_e64 s[0:1], 0, v[196:197]
	v_mov_b32_e32 v216, v196
	v_mov_b32_e32 v218, v198
	v_cndmask_b32_e64 v217, v197, v217, s[0:1]
	v_cndmask_b32_e32 v219, v199, v219, vcc
	v_add_f64 v[216:217], v[216:217], v[218:219]
	s_waitcnt lgkmcnt(0)
	v_xor_b32_e32 v219, 0x80000000, v213
	v_xor_b32_e32 v221, 0x80000000, v215
	v_cmp_gt_f64_e32 vcc, 0, v[214:215]
	v_cmp_gt_f64_e64 s[0:1], 0, v[212:213]
	v_mov_b32_e32 v218, v212
	v_mov_b32_e32 v220, v214
	v_cndmask_b32_e64 v219, v213, v219, s[0:1]
	v_cndmask_b32_e32 v221, v215, v221, vcc
	v_add_f64 v[218:219], v[218:219], v[220:221]
	v_mov_b32_e32 v222, s16
	s_add_i32 s16, s16, 1
	v_cmp_lt_f64_e32 vcc, v[216:217], v[218:219]
	v_add_u32_e32 v207, 16, v207
	s_cmp_lg_u32 s20, s16
	v_cndmask_b32_e32 v197, v197, v213, vcc
	v_cndmask_b32_e32 v196, v196, v212, vcc
	;; [unrolled: 1-line block ×5, first 2 shown]
	s_cbranch_scc1 .LBB96_64
.LBB96_65:
	s_waitcnt lgkmcnt(0)
	v_cmp_eq_f64_e32 vcc, 0, v[196:197]
	v_cmp_eq_f64_e64 s[0:1], 0, v[198:199]
	s_and_b64 s[0:1], vcc, s[0:1]
	s_and_saveexec_b64 s[16:17], s[0:1]
	s_xor_b64 s[0:1], exec, s[16:17]
; %bb.66:
	v_cmp_ne_u32_e32 vcc, 0, v210
	s_nop 1
	v_cndmask_b32_e32 v210, 4, v210, vcc
; %bb.67:
	s_andn2_saveexec_b64 s[0:1], s[0:1]
	s_cbranch_execz .LBB96_73
; %bb.68:
	v_cmp_ngt_f64_e64 s[16:17], |v[196:197]|, |v[198:199]|
	s_and_saveexec_b64 s[18:19], s[16:17]
	s_xor_b64 s[16:17], exec, s[18:19]
	s_cbranch_execz .LBB96_70
; %bb.69:
	v_div_scale_f64 v[212:213], s[18:19], v[198:199], v[198:199], v[196:197]
	v_rcp_f64_e32 v[214:215], v[212:213]
	v_div_scale_f64 v[216:217], vcc, v[196:197], v[198:199], v[196:197]
	v_fma_f64 v[218:219], -v[212:213], v[214:215], 1.0
	v_fmac_f64_e32 v[214:215], v[214:215], v[218:219]
	v_fma_f64 v[218:219], -v[212:213], v[214:215], 1.0
	v_fmac_f64_e32 v[214:215], v[214:215], v[218:219]
	v_mul_f64 v[218:219], v[216:217], v[214:215]
	v_fma_f64 v[212:213], -v[212:213], v[218:219], v[216:217]
	v_div_fmas_f64 v[212:213], v[212:213], v[214:215], v[218:219]
	v_div_fixup_f64 v[212:213], v[212:213], v[198:199], v[196:197]
	v_fmac_f64_e32 v[198:199], v[196:197], v[212:213]
	v_div_scale_f64 v[196:197], s[18:19], v[198:199], v[198:199], 1.0
	v_rcp_f64_e32 v[214:215], v[196:197]
	s_nop 0
	v_fma_f64 v[216:217], -v[196:197], v[214:215], 1.0
	v_fmac_f64_e32 v[214:215], v[214:215], v[216:217]
	v_fma_f64 v[216:217], -v[196:197], v[214:215], 1.0
	v_fmac_f64_e32 v[214:215], v[214:215], v[216:217]
	v_div_scale_f64 v[216:217], vcc, 1.0, v[198:199], 1.0
	v_mul_f64 v[218:219], v[216:217], v[214:215]
	v_fma_f64 v[196:197], -v[196:197], v[218:219], v[216:217]
	s_nop 1
	v_div_fmas_f64 v[196:197], v[196:197], v[214:215], v[218:219]
	v_div_fixup_f64 v[198:199], v[196:197], v[198:199], 1.0
	v_mul_f64 v[196:197], v[212:213], v[198:199]
	v_xor_b32_e32 v199, 0x80000000, v199
.LBB96_70:
	s_andn2_saveexec_b64 s[16:17], s[16:17]
	s_cbranch_execz .LBB96_72
; %bb.71:
	v_div_scale_f64 v[212:213], s[18:19], v[196:197], v[196:197], v[198:199]
	v_rcp_f64_e32 v[214:215], v[212:213]
	v_div_scale_f64 v[216:217], vcc, v[198:199], v[196:197], v[198:199]
	v_fma_f64 v[218:219], -v[212:213], v[214:215], 1.0
	v_fmac_f64_e32 v[214:215], v[214:215], v[218:219]
	v_fma_f64 v[218:219], -v[212:213], v[214:215], 1.0
	v_fmac_f64_e32 v[214:215], v[214:215], v[218:219]
	v_mul_f64 v[218:219], v[216:217], v[214:215]
	v_fma_f64 v[212:213], -v[212:213], v[218:219], v[216:217]
	v_div_fmas_f64 v[212:213], v[212:213], v[214:215], v[218:219]
	v_div_fixup_f64 v[212:213], v[212:213], v[196:197], v[198:199]
	v_fmac_f64_e32 v[196:197], v[198:199], v[212:213]
	v_div_scale_f64 v[198:199], s[18:19], v[196:197], v[196:197], 1.0
	v_rcp_f64_e32 v[214:215], v[198:199]
	s_nop 0
	v_fma_f64 v[216:217], -v[198:199], v[214:215], 1.0
	v_fmac_f64_e32 v[214:215], v[214:215], v[216:217]
	v_fma_f64 v[216:217], -v[198:199], v[214:215], 1.0
	v_fmac_f64_e32 v[214:215], v[214:215], v[216:217]
	v_div_scale_f64 v[216:217], vcc, 1.0, v[196:197], 1.0
	v_mul_f64 v[218:219], v[216:217], v[214:215]
	v_fma_f64 v[198:199], -v[198:199], v[218:219], v[216:217]
	s_nop 1
	v_div_fmas_f64 v[198:199], v[198:199], v[214:215], v[218:219]
	v_div_fixup_f64 v[196:197], v[198:199], v[196:197], 1.0
	v_mul_f64 v[198:199], v[212:213], -v[196:197]
.LBB96_72:
	s_or_b64 exec, exec, s[16:17]
.LBB96_73:
	s_or_b64 exec, exec, s[0:1]
	v_cmp_ne_u32_e32 vcc, v209, v206
	s_and_saveexec_b64 s[0:1], vcc
	s_xor_b64 s[0:1], exec, s[0:1]
	s_cbranch_execz .LBB96_79
; %bb.74:
	v_cmp_eq_u32_e32 vcc, 3, v209
	s_and_saveexec_b64 s[16:17], vcc
	s_cbranch_execz .LBB96_78
; %bb.75:
	v_cmp_ne_u32_e32 vcc, 3, v206
	s_xor_b64 s[18:19], s[14:15], -1
	s_and_b64 s[22:23], s[18:19], vcc
	s_and_saveexec_b64 s[18:19], s[22:23]
	s_cbranch_execz .LBB96_77
; %bb.76:
	v_ashrrev_i32_e32 v207, 31, v206
	v_lshl_add_u64 v[212:213], v[206:207], 2, v[204:205]
	global_load_dword v207, v[212:213], off
	global_load_dword v209, v[204:205], off offset:12
	s_waitcnt vmcnt(1)
	global_store_dword v[204:205], v207, off offset:12
	s_waitcnt vmcnt(1)
	global_store_dword v[212:213], v209, off
.LBB96_77:
	s_or_b64 exec, exec, s[18:19]
	v_mov_b32_e32 v209, v206
	v_mov_b32_e32 v211, v206
.LBB96_78:
	s_or_b64 exec, exec, s[16:17]
.LBB96_79:
	s_andn2_saveexec_b64 s[0:1], s[0:1]
	s_cbranch_execz .LBB96_81
; %bb.80:
	v_mov_b32_e32 v209, 3
	s_waitcnt vmcnt(44)
	ds_write2_b64 v208, v[180:181], v[182:183] offset0:8 offset1:9
	s_waitcnt vmcnt(43)
	ds_write2_b64 v208, v[176:177], v[178:179] offset0:10 offset1:11
	s_waitcnt vmcnt(42)
	ds_write2_b64 v208, v[172:173], v[174:175] offset0:12 offset1:13
	s_waitcnt vmcnt(41)
	ds_write2_b64 v208, v[168:169], v[170:171] offset0:14 offset1:15
	s_waitcnt vmcnt(40)
	ds_write2_b64 v208, v[164:165], v[166:167] offset0:16 offset1:17
	s_waitcnt vmcnt(39)
	ds_write2_b64 v208, v[160:161], v[162:163] offset0:18 offset1:19
	s_waitcnt vmcnt(38)
	ds_write2_b64 v208, v[156:157], v[158:159] offset0:20 offset1:21
	s_waitcnt vmcnt(37)
	ds_write2_b64 v208, v[152:153], v[154:155] offset0:22 offset1:23
	s_waitcnt vmcnt(36)
	ds_write2_b64 v208, v[148:149], v[150:151] offset0:24 offset1:25
	s_waitcnt vmcnt(35)
	ds_write2_b64 v208, v[144:145], v[146:147] offset0:26 offset1:27
	s_waitcnt vmcnt(34)
	ds_write2_b64 v208, v[140:141], v[142:143] offset0:28 offset1:29
	s_waitcnt vmcnt(33)
	ds_write2_b64 v208, v[136:137], v[138:139] offset0:30 offset1:31
	s_waitcnt vmcnt(32)
	ds_write2_b64 v208, v[128:129], v[130:131] offset0:32 offset1:33
	s_waitcnt vmcnt(31)
	ds_write2_b64 v208, v[120:121], v[122:123] offset0:34 offset1:35
	s_waitcnt vmcnt(30)
	ds_write2_b64 v208, v[116:117], v[118:119] offset0:36 offset1:37
	s_waitcnt vmcnt(29)
	ds_write2_b64 v208, v[112:113], v[114:115] offset0:38 offset1:39
	s_waitcnt vmcnt(28)
	ds_write2_b64 v208, v[108:109], v[110:111] offset0:40 offset1:41
	s_waitcnt vmcnt(27)
	ds_write2_b64 v208, v[104:105], v[106:107] offset0:42 offset1:43
	s_waitcnt vmcnt(26)
	ds_write2_b64 v208, v[100:101], v[102:103] offset0:44 offset1:45
	s_waitcnt vmcnt(25)
	ds_write2_b64 v208, v[96:97], v[98:99] offset0:46 offset1:47
	s_waitcnt vmcnt(24)
	ds_write2_b64 v208, v[92:93], v[94:95] offset0:48 offset1:49
	s_waitcnt vmcnt(23)
	ds_write2_b64 v208, v[88:89], v[90:91] offset0:50 offset1:51
	s_waitcnt vmcnt(22)
	ds_write2_b64 v208, v[84:85], v[86:87] offset0:52 offset1:53
	s_waitcnt vmcnt(21)
	ds_write2_b64 v208, v[80:81], v[82:83] offset0:54 offset1:55
	s_waitcnt vmcnt(20)
	ds_write2_b64 v208, v[76:77], v[78:79] offset0:56 offset1:57
	s_waitcnt vmcnt(19)
	ds_write2_b64 v208, v[72:73], v[74:75] offset0:58 offset1:59
	s_waitcnt vmcnt(18)
	ds_write2_b64 v208, v[68:69], v[70:71] offset0:60 offset1:61
	s_waitcnt vmcnt(17)
	ds_write2_b64 v208, v[64:65], v[66:67] offset0:62 offset1:63
	s_waitcnt vmcnt(16)
	ds_write2_b64 v208, v[60:61], v[62:63] offset0:64 offset1:65
	s_waitcnt vmcnt(15)
	ds_write2_b64 v208, v[56:57], v[58:59] offset0:66 offset1:67
	s_waitcnt vmcnt(14)
	ds_write2_b64 v208, v[52:53], v[54:55] offset0:68 offset1:69
	s_waitcnt vmcnt(13)
	ds_write2_b64 v208, v[48:49], v[50:51] offset0:70 offset1:71
	s_waitcnt vmcnt(12)
	ds_write2_b64 v208, v[44:45], v[46:47] offset0:72 offset1:73
	s_waitcnt vmcnt(11)
	ds_write2_b64 v208, v[40:41], v[42:43] offset0:74 offset1:75
	s_waitcnt vmcnt(10)
	ds_write2_b64 v208, v[36:37], v[38:39] offset0:76 offset1:77
	s_waitcnt vmcnt(9)
	ds_write2_b64 v208, v[32:33], v[34:35] offset0:78 offset1:79
	s_waitcnt vmcnt(8)
	ds_write2_b64 v208, v[28:29], v[30:31] offset0:80 offset1:81
	s_waitcnt vmcnt(7)
	ds_write2_b64 v208, v[24:25], v[26:27] offset0:82 offset1:83
	s_waitcnt vmcnt(6)
	ds_write2_b64 v208, v[20:21], v[22:23] offset0:84 offset1:85
	s_waitcnt vmcnt(5)
	ds_write2_b64 v208, v[16:17], v[18:19] offset0:86 offset1:87
	s_waitcnt vmcnt(4)
	ds_write2_b64 v208, v[12:13], v[14:15] offset0:88 offset1:89
	s_waitcnt vmcnt(3)
	ds_write2_b64 v208, v[8:9], v[10:11] offset0:90 offset1:91
	s_waitcnt vmcnt(2)
	ds_write2_b64 v208, v[4:5], v[6:7] offset0:92 offset1:93
	s_waitcnt vmcnt(1)
	ds_write2_b64 v208, v[0:1], v[2:3] offset0:94 offset1:95
	s_waitcnt vmcnt(0)
	ds_write2_b64 v208, v[192:193], v[194:195] offset0:96 offset1:97
.LBB96_81:
	s_or_b64 exec, exec, s[0:1]
	v_cmp_lt_i32_e32 vcc, 3, v209
	s_waitcnt lgkmcnt(0)
	s_barrier
	s_and_saveexec_b64 s[0:1], vcc
	s_cbranch_execz .LBB96_83
; %bb.82:
	ds_read2_b64 v[212:215], v208 offset0:8 offset1:9
	v_mul_f64 v[206:207], v[198:199], v[186:187]
	v_mul_f64 v[186:187], v[196:197], v[186:187]
	v_fmac_f64_e32 v[186:187], v[198:199], v[184:185]
	v_fma_f64 v[206:207], v[196:197], v[184:185], -v[206:207]
	ds_read2_b64 v[196:199], v208 offset0:10 offset1:11
	s_waitcnt lgkmcnt(1)
	v_mul_f64 v[184:185], v[214:215], v[186:187]
	v_fma_f64 v[184:185], v[212:213], v[206:207], -v[184:185]
	v_mul_f64 v[212:213], v[212:213], v[186:187]
	v_fmac_f64_e32 v[212:213], v[214:215], v[206:207]
	s_waitcnt vmcnt(44)
	v_add_f64 v[182:183], v[182:183], -v[212:213]
	ds_read2_b64 v[212:215], v208 offset0:12 offset1:13
	v_add_f64 v[180:181], v[180:181], -v[184:185]
	s_waitcnt lgkmcnt(1)
	v_mul_f64 v[184:185], v[198:199], v[186:187]
	v_fma_f64 v[184:185], v[196:197], v[206:207], -v[184:185]
	v_mul_f64 v[196:197], v[196:197], v[186:187]
	v_fmac_f64_e32 v[196:197], v[198:199], v[206:207]
	s_waitcnt vmcnt(43)
	v_add_f64 v[176:177], v[176:177], -v[184:185]
	v_add_f64 v[178:179], v[178:179], -v[196:197]
	ds_read2_b64 v[196:199], v208 offset0:14 offset1:15
	s_waitcnt lgkmcnt(1)
	v_mul_f64 v[184:185], v[214:215], v[186:187]
	v_fma_f64 v[184:185], v[212:213], v[206:207], -v[184:185]
	v_mul_f64 v[212:213], v[212:213], v[186:187]
	v_fmac_f64_e32 v[212:213], v[214:215], v[206:207]
	s_waitcnt vmcnt(42)
	v_add_f64 v[174:175], v[174:175], -v[212:213]
	ds_read2_b64 v[212:215], v208 offset0:16 offset1:17
	v_add_f64 v[172:173], v[172:173], -v[184:185]
	s_waitcnt lgkmcnt(1)
	v_mul_f64 v[184:185], v[198:199], v[186:187]
	v_fma_f64 v[184:185], v[196:197], v[206:207], -v[184:185]
	v_mul_f64 v[196:197], v[196:197], v[186:187]
	v_fmac_f64_e32 v[196:197], v[198:199], v[206:207]
	s_waitcnt vmcnt(41)
	v_add_f64 v[168:169], v[168:169], -v[184:185]
	v_add_f64 v[170:171], v[170:171], -v[196:197]
	;; [unrolled: 18-line block ×22, first 2 shown]
	s_waitcnt lgkmcnt(0)
	v_mul_f64 v[184:185], v[214:215], v[186:187]
	v_mul_f64 v[196:197], v[212:213], v[186:187]
	v_fma_f64 v[184:185], v[212:213], v[206:207], -v[184:185]
	v_fmac_f64_e32 v[196:197], v[214:215], v[206:207]
	s_waitcnt vmcnt(0)
	v_add_f64 v[192:193], v[192:193], -v[184:185]
	v_add_f64 v[194:195], v[194:195], -v[196:197]
	v_mov_b64_e32 v[184:185], v[206:207]
.LBB96_83:
	s_or_b64 exec, exec, s[0:1]
	v_lshl_add_u32 v196, v209, 4, v208
	s_barrier
	s_waitcnt vmcnt(44)
	ds_write2_b64 v196, v[180:181], v[182:183] offset1:1
	s_waitcnt lgkmcnt(0)
	s_barrier
	ds_read2_b64 v[196:199], v208 offset0:8 offset1:9
	s_cmp_lt_i32 s20, 6
	v_mov_b32_e32 v206, 4
	s_cbranch_scc1 .LBB96_86
; %bb.84:
	v_mov_b32_e32 v206, 4
	v_add_u32_e32 v207, 0x50, v208
	s_mov_b32 s16, 5
.LBB96_85:                              ; =>This Inner Loop Header: Depth=1
	ds_read2_b64 v[212:215], v207 offset1:1
	s_waitcnt lgkmcnt(1)
	v_xor_b32_e32 v217, 0x80000000, v197
	v_xor_b32_e32 v219, 0x80000000, v199
	v_cmp_gt_f64_e32 vcc, 0, v[198:199]
	v_cmp_gt_f64_e64 s[0:1], 0, v[196:197]
	v_mov_b32_e32 v216, v196
	v_mov_b32_e32 v218, v198
	v_cndmask_b32_e64 v217, v197, v217, s[0:1]
	v_cndmask_b32_e32 v219, v199, v219, vcc
	v_add_f64 v[216:217], v[216:217], v[218:219]
	s_waitcnt lgkmcnt(0)
	v_xor_b32_e32 v219, 0x80000000, v213
	v_xor_b32_e32 v221, 0x80000000, v215
	v_cmp_gt_f64_e32 vcc, 0, v[214:215]
	v_cmp_gt_f64_e64 s[0:1], 0, v[212:213]
	v_mov_b32_e32 v218, v212
	v_mov_b32_e32 v220, v214
	v_cndmask_b32_e64 v219, v213, v219, s[0:1]
	v_cndmask_b32_e32 v221, v215, v221, vcc
	v_add_f64 v[218:219], v[218:219], v[220:221]
	v_mov_b32_e32 v222, s16
	s_add_i32 s16, s16, 1
	v_cmp_lt_f64_e32 vcc, v[216:217], v[218:219]
	v_add_u32_e32 v207, 16, v207
	s_cmp_lg_u32 s20, s16
	v_cndmask_b32_e32 v197, v197, v213, vcc
	v_cndmask_b32_e32 v196, v196, v212, vcc
	;; [unrolled: 1-line block ×5, first 2 shown]
	s_cbranch_scc1 .LBB96_85
.LBB96_86:
	s_waitcnt lgkmcnt(0)
	v_cmp_eq_f64_e32 vcc, 0, v[196:197]
	v_cmp_eq_f64_e64 s[0:1], 0, v[198:199]
	s_and_b64 s[0:1], vcc, s[0:1]
	s_and_saveexec_b64 s[16:17], s[0:1]
	s_xor_b64 s[0:1], exec, s[16:17]
; %bb.87:
	v_cmp_ne_u32_e32 vcc, 0, v210
	s_nop 1
	v_cndmask_b32_e32 v210, 5, v210, vcc
; %bb.88:
	s_andn2_saveexec_b64 s[0:1], s[0:1]
	s_cbranch_execz .LBB96_94
; %bb.89:
	v_cmp_ngt_f64_e64 s[16:17], |v[196:197]|, |v[198:199]|
	s_and_saveexec_b64 s[18:19], s[16:17]
	s_xor_b64 s[16:17], exec, s[18:19]
	s_cbranch_execz .LBB96_91
; %bb.90:
	v_div_scale_f64 v[212:213], s[18:19], v[198:199], v[198:199], v[196:197]
	v_rcp_f64_e32 v[214:215], v[212:213]
	v_div_scale_f64 v[216:217], vcc, v[196:197], v[198:199], v[196:197]
	v_fma_f64 v[218:219], -v[212:213], v[214:215], 1.0
	v_fmac_f64_e32 v[214:215], v[214:215], v[218:219]
	v_fma_f64 v[218:219], -v[212:213], v[214:215], 1.0
	v_fmac_f64_e32 v[214:215], v[214:215], v[218:219]
	v_mul_f64 v[218:219], v[216:217], v[214:215]
	v_fma_f64 v[212:213], -v[212:213], v[218:219], v[216:217]
	v_div_fmas_f64 v[212:213], v[212:213], v[214:215], v[218:219]
	v_div_fixup_f64 v[212:213], v[212:213], v[198:199], v[196:197]
	v_fmac_f64_e32 v[198:199], v[196:197], v[212:213]
	v_div_scale_f64 v[196:197], s[18:19], v[198:199], v[198:199], 1.0
	v_rcp_f64_e32 v[214:215], v[196:197]
	s_nop 0
	v_fma_f64 v[216:217], -v[196:197], v[214:215], 1.0
	v_fmac_f64_e32 v[214:215], v[214:215], v[216:217]
	v_fma_f64 v[216:217], -v[196:197], v[214:215], 1.0
	v_fmac_f64_e32 v[214:215], v[214:215], v[216:217]
	v_div_scale_f64 v[216:217], vcc, 1.0, v[198:199], 1.0
	v_mul_f64 v[218:219], v[216:217], v[214:215]
	v_fma_f64 v[196:197], -v[196:197], v[218:219], v[216:217]
	s_nop 1
	v_div_fmas_f64 v[196:197], v[196:197], v[214:215], v[218:219]
	v_div_fixup_f64 v[198:199], v[196:197], v[198:199], 1.0
	v_mul_f64 v[196:197], v[212:213], v[198:199]
	v_xor_b32_e32 v199, 0x80000000, v199
.LBB96_91:
	s_andn2_saveexec_b64 s[16:17], s[16:17]
	s_cbranch_execz .LBB96_93
; %bb.92:
	v_div_scale_f64 v[212:213], s[18:19], v[196:197], v[196:197], v[198:199]
	v_rcp_f64_e32 v[214:215], v[212:213]
	v_div_scale_f64 v[216:217], vcc, v[198:199], v[196:197], v[198:199]
	v_fma_f64 v[218:219], -v[212:213], v[214:215], 1.0
	v_fmac_f64_e32 v[214:215], v[214:215], v[218:219]
	v_fma_f64 v[218:219], -v[212:213], v[214:215], 1.0
	v_fmac_f64_e32 v[214:215], v[214:215], v[218:219]
	v_mul_f64 v[218:219], v[216:217], v[214:215]
	v_fma_f64 v[212:213], -v[212:213], v[218:219], v[216:217]
	v_div_fmas_f64 v[212:213], v[212:213], v[214:215], v[218:219]
	v_div_fixup_f64 v[212:213], v[212:213], v[196:197], v[198:199]
	v_fmac_f64_e32 v[196:197], v[198:199], v[212:213]
	v_div_scale_f64 v[198:199], s[18:19], v[196:197], v[196:197], 1.0
	v_rcp_f64_e32 v[214:215], v[198:199]
	s_nop 0
	v_fma_f64 v[216:217], -v[198:199], v[214:215], 1.0
	v_fmac_f64_e32 v[214:215], v[214:215], v[216:217]
	v_fma_f64 v[216:217], -v[198:199], v[214:215], 1.0
	v_fmac_f64_e32 v[214:215], v[214:215], v[216:217]
	v_div_scale_f64 v[216:217], vcc, 1.0, v[196:197], 1.0
	v_mul_f64 v[218:219], v[216:217], v[214:215]
	v_fma_f64 v[198:199], -v[198:199], v[218:219], v[216:217]
	s_nop 1
	v_div_fmas_f64 v[198:199], v[198:199], v[214:215], v[218:219]
	v_div_fixup_f64 v[196:197], v[198:199], v[196:197], 1.0
	v_mul_f64 v[198:199], v[212:213], -v[196:197]
.LBB96_93:
	s_or_b64 exec, exec, s[16:17]
.LBB96_94:
	s_or_b64 exec, exec, s[0:1]
	v_cmp_ne_u32_e32 vcc, v209, v206
	s_and_saveexec_b64 s[0:1], vcc
	s_xor_b64 s[0:1], exec, s[0:1]
	s_cbranch_execz .LBB96_100
; %bb.95:
	v_cmp_eq_u32_e32 vcc, 4, v209
	s_and_saveexec_b64 s[16:17], vcc
	s_cbranch_execz .LBB96_99
; %bb.96:
	v_cmp_ne_u32_e32 vcc, 4, v206
	s_xor_b64 s[18:19], s[14:15], -1
	s_and_b64 s[22:23], s[18:19], vcc
	s_and_saveexec_b64 s[18:19], s[22:23]
	s_cbranch_execz .LBB96_98
; %bb.97:
	v_ashrrev_i32_e32 v207, 31, v206
	v_lshl_add_u64 v[212:213], v[206:207], 2, v[204:205]
	global_load_dword v207, v[212:213], off
	global_load_dword v209, v[204:205], off offset:16
	s_waitcnt vmcnt(1)
	global_store_dword v[204:205], v207, off offset:16
	s_waitcnt vmcnt(1)
	global_store_dword v[212:213], v209, off
.LBB96_98:
	s_or_b64 exec, exec, s[18:19]
	v_mov_b32_e32 v209, v206
	v_mov_b32_e32 v211, v206
.LBB96_99:
	s_or_b64 exec, exec, s[16:17]
.LBB96_100:
	s_andn2_saveexec_b64 s[0:1], s[0:1]
	s_cbranch_execz .LBB96_102
; %bb.101:
	v_mov_b32_e32 v209, 4
	s_waitcnt vmcnt(43)
	ds_write2_b64 v208, v[176:177], v[178:179] offset0:10 offset1:11
	s_waitcnt vmcnt(42)
	ds_write2_b64 v208, v[172:173], v[174:175] offset0:12 offset1:13
	;; [unrolled: 2-line block ×44, first 2 shown]
.LBB96_102:
	s_or_b64 exec, exec, s[0:1]
	v_cmp_lt_i32_e32 vcc, 4, v209
	s_waitcnt lgkmcnt(0)
	s_barrier
	s_and_saveexec_b64 s[0:1], vcc
	s_cbranch_execz .LBB96_104
; %bb.103:
	ds_read2_b64 v[212:215], v208 offset0:10 offset1:11
	v_mul_f64 v[206:207], v[198:199], v[182:183]
	v_mul_f64 v[182:183], v[196:197], v[182:183]
	v_fma_f64 v[206:207], v[196:197], v[180:181], -v[206:207]
	v_fmac_f64_e32 v[182:183], v[198:199], v[180:181]
	ds_read2_b64 v[196:199], v208 offset0:12 offset1:13
	s_waitcnt lgkmcnt(1)
	v_mul_f64 v[180:181], v[214:215], v[182:183]
	v_fma_f64 v[180:181], v[212:213], v[206:207], -v[180:181]
	v_mul_f64 v[212:213], v[212:213], v[182:183]
	v_fmac_f64_e32 v[212:213], v[214:215], v[206:207]
	s_waitcnt vmcnt(43)
	v_add_f64 v[176:177], v[176:177], -v[180:181]
	s_waitcnt lgkmcnt(0)
	v_mul_f64 v[180:181], v[198:199], v[182:183]
	v_add_f64 v[178:179], v[178:179], -v[212:213]
	v_fma_f64 v[180:181], v[196:197], v[206:207], -v[180:181]
	v_mul_f64 v[196:197], v[196:197], v[182:183]
	ds_read2_b64 v[212:215], v208 offset0:14 offset1:15
	v_fmac_f64_e32 v[196:197], v[198:199], v[206:207]
	s_waitcnt vmcnt(42)
	v_add_f64 v[174:175], v[174:175], -v[196:197]
	ds_read2_b64 v[196:199], v208 offset0:16 offset1:17
	v_add_f64 v[172:173], v[172:173], -v[180:181]
	s_waitcnt lgkmcnt(1)
	v_mul_f64 v[180:181], v[214:215], v[182:183]
	v_fma_f64 v[180:181], v[212:213], v[206:207], -v[180:181]
	v_mul_f64 v[212:213], v[212:213], v[182:183]
	v_fmac_f64_e32 v[212:213], v[214:215], v[206:207]
	s_waitcnt vmcnt(41)
	v_add_f64 v[168:169], v[168:169], -v[180:181]
	s_waitcnt lgkmcnt(0)
	v_mul_f64 v[180:181], v[198:199], v[182:183]
	v_add_f64 v[170:171], v[170:171], -v[212:213]
	v_fma_f64 v[180:181], v[196:197], v[206:207], -v[180:181]
	v_mul_f64 v[196:197], v[196:197], v[182:183]
	ds_read2_b64 v[212:215], v208 offset0:18 offset1:19
	v_fmac_f64_e32 v[196:197], v[198:199], v[206:207]
	s_waitcnt vmcnt(40)
	v_add_f64 v[166:167], v[166:167], -v[196:197]
	ds_read2_b64 v[196:199], v208 offset0:20 offset1:21
	v_add_f64 v[164:165], v[164:165], -v[180:181]
	;; [unrolled: 18-line block ×21, first 2 shown]
	s_waitcnt lgkmcnt(1)
	v_mul_f64 v[180:181], v[214:215], v[182:183]
	v_fma_f64 v[180:181], v[212:213], v[206:207], -v[180:181]
	s_waitcnt vmcnt(1)
	v_add_f64 v[0:1], v[0:1], -v[180:181]
	s_waitcnt lgkmcnt(0)
	v_mul_f64 v[180:181], v[198:199], v[182:183]
	v_mul_f64 v[212:213], v[212:213], v[182:183]
	v_fma_f64 v[180:181], v[196:197], v[206:207], -v[180:181]
	v_mul_f64 v[196:197], v[196:197], v[182:183]
	v_fmac_f64_e32 v[212:213], v[214:215], v[206:207]
	v_fmac_f64_e32 v[196:197], v[198:199], v[206:207]
	v_add_f64 v[2:3], v[2:3], -v[212:213]
	s_waitcnt vmcnt(0)
	v_add_f64 v[192:193], v[192:193], -v[180:181]
	v_add_f64 v[194:195], v[194:195], -v[196:197]
	v_mov_b64_e32 v[180:181], v[206:207]
.LBB96_104:
	s_or_b64 exec, exec, s[0:1]
	v_lshl_add_u32 v196, v209, 4, v208
	s_barrier
	s_waitcnt vmcnt(43)
	ds_write2_b64 v196, v[176:177], v[178:179] offset1:1
	s_waitcnt lgkmcnt(0)
	s_barrier
	ds_read2_b64 v[196:199], v208 offset0:10 offset1:11
	s_cmp_lt_i32 s20, 7
	v_mov_b32_e32 v206, 5
	s_cbranch_scc1 .LBB96_107
; %bb.105:
	v_add_u32_e32 v207, 0x60, v208
	s_mov_b32 s16, 6
	v_mov_b32_e32 v206, 5
.LBB96_106:                             ; =>This Inner Loop Header: Depth=1
	ds_read2_b64 v[212:215], v207 offset1:1
	s_waitcnt lgkmcnt(1)
	v_xor_b32_e32 v217, 0x80000000, v197
	v_xor_b32_e32 v219, 0x80000000, v199
	v_cmp_gt_f64_e32 vcc, 0, v[198:199]
	v_cmp_gt_f64_e64 s[0:1], 0, v[196:197]
	v_mov_b32_e32 v216, v196
	v_mov_b32_e32 v218, v198
	v_cndmask_b32_e64 v217, v197, v217, s[0:1]
	v_cndmask_b32_e32 v219, v199, v219, vcc
	v_add_f64 v[216:217], v[216:217], v[218:219]
	s_waitcnt lgkmcnt(0)
	v_xor_b32_e32 v219, 0x80000000, v213
	v_xor_b32_e32 v221, 0x80000000, v215
	v_cmp_gt_f64_e32 vcc, 0, v[214:215]
	v_cmp_gt_f64_e64 s[0:1], 0, v[212:213]
	v_mov_b32_e32 v218, v212
	v_mov_b32_e32 v220, v214
	v_cndmask_b32_e64 v219, v213, v219, s[0:1]
	v_cndmask_b32_e32 v221, v215, v221, vcc
	v_add_f64 v[218:219], v[218:219], v[220:221]
	v_mov_b32_e32 v222, s16
	s_add_i32 s16, s16, 1
	v_cmp_lt_f64_e32 vcc, v[216:217], v[218:219]
	v_add_u32_e32 v207, 16, v207
	s_cmp_lg_u32 s20, s16
	v_cndmask_b32_e32 v197, v197, v213, vcc
	v_cndmask_b32_e32 v196, v196, v212, vcc
	;; [unrolled: 1-line block ×5, first 2 shown]
	s_cbranch_scc1 .LBB96_106
.LBB96_107:
	s_waitcnt lgkmcnt(0)
	v_cmp_eq_f64_e32 vcc, 0, v[196:197]
	v_cmp_eq_f64_e64 s[0:1], 0, v[198:199]
	s_and_b64 s[0:1], vcc, s[0:1]
	s_and_saveexec_b64 s[16:17], s[0:1]
	s_xor_b64 s[0:1], exec, s[16:17]
; %bb.108:
	v_cmp_ne_u32_e32 vcc, 0, v210
	s_nop 1
	v_cndmask_b32_e32 v210, 6, v210, vcc
; %bb.109:
	s_andn2_saveexec_b64 s[0:1], s[0:1]
	s_cbranch_execz .LBB96_115
; %bb.110:
	v_cmp_ngt_f64_e64 s[16:17], |v[196:197]|, |v[198:199]|
	s_and_saveexec_b64 s[18:19], s[16:17]
	s_xor_b64 s[16:17], exec, s[18:19]
	s_cbranch_execz .LBB96_112
; %bb.111:
	v_div_scale_f64 v[212:213], s[18:19], v[198:199], v[198:199], v[196:197]
	v_rcp_f64_e32 v[214:215], v[212:213]
	v_div_scale_f64 v[216:217], vcc, v[196:197], v[198:199], v[196:197]
	v_fma_f64 v[218:219], -v[212:213], v[214:215], 1.0
	v_fmac_f64_e32 v[214:215], v[214:215], v[218:219]
	v_fma_f64 v[218:219], -v[212:213], v[214:215], 1.0
	v_fmac_f64_e32 v[214:215], v[214:215], v[218:219]
	v_mul_f64 v[218:219], v[216:217], v[214:215]
	v_fma_f64 v[212:213], -v[212:213], v[218:219], v[216:217]
	v_div_fmas_f64 v[212:213], v[212:213], v[214:215], v[218:219]
	v_div_fixup_f64 v[212:213], v[212:213], v[198:199], v[196:197]
	v_fmac_f64_e32 v[198:199], v[196:197], v[212:213]
	v_div_scale_f64 v[196:197], s[18:19], v[198:199], v[198:199], 1.0
	v_rcp_f64_e32 v[214:215], v[196:197]
	s_nop 0
	v_fma_f64 v[216:217], -v[196:197], v[214:215], 1.0
	v_fmac_f64_e32 v[214:215], v[214:215], v[216:217]
	v_fma_f64 v[216:217], -v[196:197], v[214:215], 1.0
	v_fmac_f64_e32 v[214:215], v[214:215], v[216:217]
	v_div_scale_f64 v[216:217], vcc, 1.0, v[198:199], 1.0
	v_mul_f64 v[218:219], v[216:217], v[214:215]
	v_fma_f64 v[196:197], -v[196:197], v[218:219], v[216:217]
	s_nop 1
	v_div_fmas_f64 v[196:197], v[196:197], v[214:215], v[218:219]
	v_div_fixup_f64 v[198:199], v[196:197], v[198:199], 1.0
	v_mul_f64 v[196:197], v[212:213], v[198:199]
	v_xor_b32_e32 v199, 0x80000000, v199
.LBB96_112:
	s_andn2_saveexec_b64 s[16:17], s[16:17]
	s_cbranch_execz .LBB96_114
; %bb.113:
	v_div_scale_f64 v[212:213], s[18:19], v[196:197], v[196:197], v[198:199]
	v_rcp_f64_e32 v[214:215], v[212:213]
	v_div_scale_f64 v[216:217], vcc, v[198:199], v[196:197], v[198:199]
	v_fma_f64 v[218:219], -v[212:213], v[214:215], 1.0
	v_fmac_f64_e32 v[214:215], v[214:215], v[218:219]
	v_fma_f64 v[218:219], -v[212:213], v[214:215], 1.0
	v_fmac_f64_e32 v[214:215], v[214:215], v[218:219]
	v_mul_f64 v[218:219], v[216:217], v[214:215]
	v_fma_f64 v[212:213], -v[212:213], v[218:219], v[216:217]
	v_div_fmas_f64 v[212:213], v[212:213], v[214:215], v[218:219]
	v_div_fixup_f64 v[212:213], v[212:213], v[196:197], v[198:199]
	v_fmac_f64_e32 v[196:197], v[198:199], v[212:213]
	v_div_scale_f64 v[198:199], s[18:19], v[196:197], v[196:197], 1.0
	v_rcp_f64_e32 v[214:215], v[198:199]
	s_nop 0
	v_fma_f64 v[216:217], -v[198:199], v[214:215], 1.0
	v_fmac_f64_e32 v[214:215], v[214:215], v[216:217]
	v_fma_f64 v[216:217], -v[198:199], v[214:215], 1.0
	v_fmac_f64_e32 v[214:215], v[214:215], v[216:217]
	v_div_scale_f64 v[216:217], vcc, 1.0, v[196:197], 1.0
	v_mul_f64 v[218:219], v[216:217], v[214:215]
	v_fma_f64 v[198:199], -v[198:199], v[218:219], v[216:217]
	s_nop 1
	v_div_fmas_f64 v[198:199], v[198:199], v[214:215], v[218:219]
	v_div_fixup_f64 v[196:197], v[198:199], v[196:197], 1.0
	v_mul_f64 v[198:199], v[212:213], -v[196:197]
.LBB96_114:
	s_or_b64 exec, exec, s[16:17]
.LBB96_115:
	s_or_b64 exec, exec, s[0:1]
	v_cmp_ne_u32_e32 vcc, v209, v206
	s_and_saveexec_b64 s[0:1], vcc
	s_xor_b64 s[0:1], exec, s[0:1]
	s_cbranch_execz .LBB96_121
; %bb.116:
	v_cmp_eq_u32_e32 vcc, 5, v209
	s_and_saveexec_b64 s[16:17], vcc
	s_cbranch_execz .LBB96_120
; %bb.117:
	v_cmp_ne_u32_e32 vcc, 5, v206
	s_xor_b64 s[18:19], s[14:15], -1
	s_and_b64 s[22:23], s[18:19], vcc
	s_and_saveexec_b64 s[18:19], s[22:23]
	s_cbranch_execz .LBB96_119
; %bb.118:
	v_ashrrev_i32_e32 v207, 31, v206
	v_lshl_add_u64 v[212:213], v[206:207], 2, v[204:205]
	global_load_dword v207, v[212:213], off
	global_load_dword v209, v[204:205], off offset:20
	s_waitcnt vmcnt(1)
	global_store_dword v[204:205], v207, off offset:20
	s_waitcnt vmcnt(1)
	global_store_dword v[212:213], v209, off
.LBB96_119:
	s_or_b64 exec, exec, s[18:19]
	v_mov_b32_e32 v209, v206
	v_mov_b32_e32 v211, v206
.LBB96_120:
	s_or_b64 exec, exec, s[16:17]
.LBB96_121:
	s_andn2_saveexec_b64 s[0:1], s[0:1]
	s_cbranch_execz .LBB96_123
; %bb.122:
	v_mov_b32_e32 v209, 5
	s_waitcnt vmcnt(42)
	ds_write2_b64 v208, v[172:173], v[174:175] offset0:12 offset1:13
	s_waitcnt vmcnt(41)
	ds_write2_b64 v208, v[168:169], v[170:171] offset0:14 offset1:15
	;; [unrolled: 2-line block ×43, first 2 shown]
.LBB96_123:
	s_or_b64 exec, exec, s[0:1]
	v_cmp_lt_i32_e32 vcc, 5, v209
	s_waitcnt lgkmcnt(0)
	s_barrier
	s_and_saveexec_b64 s[0:1], vcc
	s_cbranch_execz .LBB96_125
; %bb.124:
	ds_read2_b64 v[212:215], v208 offset0:12 offset1:13
	v_mul_f64 v[206:207], v[198:199], v[178:179]
	v_mul_f64 v[178:179], v[196:197], v[178:179]
	v_fmac_f64_e32 v[178:179], v[198:199], v[176:177]
	v_fma_f64 v[206:207], v[196:197], v[176:177], -v[206:207]
	ds_read2_b64 v[196:199], v208 offset0:14 offset1:15
	s_waitcnt lgkmcnt(1)
	v_mul_f64 v[176:177], v[214:215], v[178:179]
	v_fma_f64 v[176:177], v[212:213], v[206:207], -v[176:177]
	v_mul_f64 v[212:213], v[212:213], v[178:179]
	v_fmac_f64_e32 v[212:213], v[214:215], v[206:207]
	s_waitcnt vmcnt(42)
	v_add_f64 v[174:175], v[174:175], -v[212:213]
	ds_read2_b64 v[212:215], v208 offset0:16 offset1:17
	v_add_f64 v[172:173], v[172:173], -v[176:177]
	s_waitcnt lgkmcnt(1)
	v_mul_f64 v[176:177], v[198:199], v[178:179]
	v_fma_f64 v[176:177], v[196:197], v[206:207], -v[176:177]
	v_mul_f64 v[196:197], v[196:197], v[178:179]
	v_fmac_f64_e32 v[196:197], v[198:199], v[206:207]
	s_waitcnt vmcnt(41)
	v_add_f64 v[168:169], v[168:169], -v[176:177]
	v_add_f64 v[170:171], v[170:171], -v[196:197]
	ds_read2_b64 v[196:199], v208 offset0:18 offset1:19
	s_waitcnt lgkmcnt(1)
	v_mul_f64 v[176:177], v[214:215], v[178:179]
	v_fma_f64 v[176:177], v[212:213], v[206:207], -v[176:177]
	v_mul_f64 v[212:213], v[212:213], v[178:179]
	v_fmac_f64_e32 v[212:213], v[214:215], v[206:207]
	s_waitcnt vmcnt(40)
	v_add_f64 v[166:167], v[166:167], -v[212:213]
	ds_read2_b64 v[212:215], v208 offset0:20 offset1:21
	v_add_f64 v[164:165], v[164:165], -v[176:177]
	s_waitcnt lgkmcnt(1)
	v_mul_f64 v[176:177], v[198:199], v[178:179]
	v_fma_f64 v[176:177], v[196:197], v[206:207], -v[176:177]
	v_mul_f64 v[196:197], v[196:197], v[178:179]
	v_fmac_f64_e32 v[196:197], v[198:199], v[206:207]
	s_waitcnt vmcnt(39)
	v_add_f64 v[160:161], v[160:161], -v[176:177]
	v_add_f64 v[162:163], v[162:163], -v[196:197]
	;; [unrolled: 18-line block ×21, first 2 shown]
	s_waitcnt lgkmcnt(0)
	v_mul_f64 v[176:177], v[214:215], v[178:179]
	v_mul_f64 v[196:197], v[212:213], v[178:179]
	v_fma_f64 v[176:177], v[212:213], v[206:207], -v[176:177]
	v_fmac_f64_e32 v[196:197], v[214:215], v[206:207]
	s_waitcnt vmcnt(0)
	v_add_f64 v[192:193], v[192:193], -v[176:177]
	v_add_f64 v[194:195], v[194:195], -v[196:197]
	v_mov_b64_e32 v[176:177], v[206:207]
.LBB96_125:
	s_or_b64 exec, exec, s[0:1]
	v_lshl_add_u32 v196, v209, 4, v208
	s_barrier
	s_waitcnt vmcnt(42)
	ds_write2_b64 v196, v[172:173], v[174:175] offset1:1
	s_waitcnt lgkmcnt(0)
	s_barrier
	ds_read2_b64 v[196:199], v208 offset0:12 offset1:13
	s_cmp_lt_i32 s20, 8
	v_mov_b32_e32 v206, 6
	s_cbranch_scc1 .LBB96_128
; %bb.126:
	v_add_u32_e32 v207, 0x70, v208
	s_mov_b32 s16, 7
	v_mov_b32_e32 v206, 6
.LBB96_127:                             ; =>This Inner Loop Header: Depth=1
	ds_read2_b64 v[212:215], v207 offset1:1
	s_waitcnt lgkmcnt(1)
	v_xor_b32_e32 v217, 0x80000000, v197
	v_xor_b32_e32 v219, 0x80000000, v199
	v_cmp_gt_f64_e32 vcc, 0, v[198:199]
	v_cmp_gt_f64_e64 s[0:1], 0, v[196:197]
	v_mov_b32_e32 v216, v196
	v_mov_b32_e32 v218, v198
	v_cndmask_b32_e64 v217, v197, v217, s[0:1]
	v_cndmask_b32_e32 v219, v199, v219, vcc
	v_add_f64 v[216:217], v[216:217], v[218:219]
	s_waitcnt lgkmcnt(0)
	v_xor_b32_e32 v219, 0x80000000, v213
	v_xor_b32_e32 v221, 0x80000000, v215
	v_cmp_gt_f64_e32 vcc, 0, v[214:215]
	v_cmp_gt_f64_e64 s[0:1], 0, v[212:213]
	v_mov_b32_e32 v218, v212
	v_mov_b32_e32 v220, v214
	v_cndmask_b32_e64 v219, v213, v219, s[0:1]
	v_cndmask_b32_e32 v221, v215, v221, vcc
	v_add_f64 v[218:219], v[218:219], v[220:221]
	v_mov_b32_e32 v222, s16
	s_add_i32 s16, s16, 1
	v_cmp_lt_f64_e32 vcc, v[216:217], v[218:219]
	v_add_u32_e32 v207, 16, v207
	s_cmp_lg_u32 s20, s16
	v_cndmask_b32_e32 v197, v197, v213, vcc
	v_cndmask_b32_e32 v196, v196, v212, vcc
	;; [unrolled: 1-line block ×5, first 2 shown]
	s_cbranch_scc1 .LBB96_127
.LBB96_128:
	s_waitcnt lgkmcnt(0)
	v_cmp_eq_f64_e32 vcc, 0, v[196:197]
	v_cmp_eq_f64_e64 s[0:1], 0, v[198:199]
	s_and_b64 s[0:1], vcc, s[0:1]
	s_and_saveexec_b64 s[16:17], s[0:1]
	s_xor_b64 s[0:1], exec, s[16:17]
; %bb.129:
	v_cmp_ne_u32_e32 vcc, 0, v210
	s_nop 1
	v_cndmask_b32_e32 v210, 7, v210, vcc
; %bb.130:
	s_andn2_saveexec_b64 s[0:1], s[0:1]
	s_cbranch_execz .LBB96_136
; %bb.131:
	v_cmp_ngt_f64_e64 s[16:17], |v[196:197]|, |v[198:199]|
	s_and_saveexec_b64 s[18:19], s[16:17]
	s_xor_b64 s[16:17], exec, s[18:19]
	s_cbranch_execz .LBB96_133
; %bb.132:
	v_div_scale_f64 v[212:213], s[18:19], v[198:199], v[198:199], v[196:197]
	v_rcp_f64_e32 v[214:215], v[212:213]
	v_div_scale_f64 v[216:217], vcc, v[196:197], v[198:199], v[196:197]
	v_fma_f64 v[218:219], -v[212:213], v[214:215], 1.0
	v_fmac_f64_e32 v[214:215], v[214:215], v[218:219]
	v_fma_f64 v[218:219], -v[212:213], v[214:215], 1.0
	v_fmac_f64_e32 v[214:215], v[214:215], v[218:219]
	v_mul_f64 v[218:219], v[216:217], v[214:215]
	v_fma_f64 v[212:213], -v[212:213], v[218:219], v[216:217]
	v_div_fmas_f64 v[212:213], v[212:213], v[214:215], v[218:219]
	v_div_fixup_f64 v[212:213], v[212:213], v[198:199], v[196:197]
	v_fmac_f64_e32 v[198:199], v[196:197], v[212:213]
	v_div_scale_f64 v[196:197], s[18:19], v[198:199], v[198:199], 1.0
	v_rcp_f64_e32 v[214:215], v[196:197]
	s_nop 0
	v_fma_f64 v[216:217], -v[196:197], v[214:215], 1.0
	v_fmac_f64_e32 v[214:215], v[214:215], v[216:217]
	v_fma_f64 v[216:217], -v[196:197], v[214:215], 1.0
	v_fmac_f64_e32 v[214:215], v[214:215], v[216:217]
	v_div_scale_f64 v[216:217], vcc, 1.0, v[198:199], 1.0
	v_mul_f64 v[218:219], v[216:217], v[214:215]
	v_fma_f64 v[196:197], -v[196:197], v[218:219], v[216:217]
	s_nop 1
	v_div_fmas_f64 v[196:197], v[196:197], v[214:215], v[218:219]
	v_div_fixup_f64 v[198:199], v[196:197], v[198:199], 1.0
	v_mul_f64 v[196:197], v[212:213], v[198:199]
	v_xor_b32_e32 v199, 0x80000000, v199
.LBB96_133:
	s_andn2_saveexec_b64 s[16:17], s[16:17]
	s_cbranch_execz .LBB96_135
; %bb.134:
	v_div_scale_f64 v[212:213], s[18:19], v[196:197], v[196:197], v[198:199]
	v_rcp_f64_e32 v[214:215], v[212:213]
	v_div_scale_f64 v[216:217], vcc, v[198:199], v[196:197], v[198:199]
	v_fma_f64 v[218:219], -v[212:213], v[214:215], 1.0
	v_fmac_f64_e32 v[214:215], v[214:215], v[218:219]
	v_fma_f64 v[218:219], -v[212:213], v[214:215], 1.0
	v_fmac_f64_e32 v[214:215], v[214:215], v[218:219]
	v_mul_f64 v[218:219], v[216:217], v[214:215]
	v_fma_f64 v[212:213], -v[212:213], v[218:219], v[216:217]
	v_div_fmas_f64 v[212:213], v[212:213], v[214:215], v[218:219]
	v_div_fixup_f64 v[212:213], v[212:213], v[196:197], v[198:199]
	v_fmac_f64_e32 v[196:197], v[198:199], v[212:213]
	v_div_scale_f64 v[198:199], s[18:19], v[196:197], v[196:197], 1.0
	v_rcp_f64_e32 v[214:215], v[198:199]
	s_nop 0
	v_fma_f64 v[216:217], -v[198:199], v[214:215], 1.0
	v_fmac_f64_e32 v[214:215], v[214:215], v[216:217]
	v_fma_f64 v[216:217], -v[198:199], v[214:215], 1.0
	v_fmac_f64_e32 v[214:215], v[214:215], v[216:217]
	v_div_scale_f64 v[216:217], vcc, 1.0, v[196:197], 1.0
	v_mul_f64 v[218:219], v[216:217], v[214:215]
	v_fma_f64 v[198:199], -v[198:199], v[218:219], v[216:217]
	s_nop 1
	v_div_fmas_f64 v[198:199], v[198:199], v[214:215], v[218:219]
	v_div_fixup_f64 v[196:197], v[198:199], v[196:197], 1.0
	v_mul_f64 v[198:199], v[212:213], -v[196:197]
.LBB96_135:
	s_or_b64 exec, exec, s[16:17]
.LBB96_136:
	s_or_b64 exec, exec, s[0:1]
	v_cmp_ne_u32_e32 vcc, v209, v206
	s_and_saveexec_b64 s[0:1], vcc
	s_xor_b64 s[0:1], exec, s[0:1]
	s_cbranch_execz .LBB96_142
; %bb.137:
	v_cmp_eq_u32_e32 vcc, 6, v209
	s_and_saveexec_b64 s[16:17], vcc
	s_cbranch_execz .LBB96_141
; %bb.138:
	v_cmp_ne_u32_e32 vcc, 6, v206
	s_xor_b64 s[18:19], s[14:15], -1
	s_and_b64 s[22:23], s[18:19], vcc
	s_and_saveexec_b64 s[18:19], s[22:23]
	s_cbranch_execz .LBB96_140
; %bb.139:
	v_ashrrev_i32_e32 v207, 31, v206
	v_lshl_add_u64 v[212:213], v[206:207], 2, v[204:205]
	global_load_dword v207, v[212:213], off
	global_load_dword v209, v[204:205], off offset:24
	s_waitcnt vmcnt(1)
	global_store_dword v[204:205], v207, off offset:24
	s_waitcnt vmcnt(1)
	global_store_dword v[212:213], v209, off
.LBB96_140:
	s_or_b64 exec, exec, s[18:19]
	v_mov_b32_e32 v209, v206
	v_mov_b32_e32 v211, v206
.LBB96_141:
	s_or_b64 exec, exec, s[16:17]
.LBB96_142:
	s_andn2_saveexec_b64 s[0:1], s[0:1]
	s_cbranch_execz .LBB96_144
; %bb.143:
	v_mov_b32_e32 v209, 6
	s_waitcnt vmcnt(41)
	ds_write2_b64 v208, v[168:169], v[170:171] offset0:14 offset1:15
	s_waitcnt vmcnt(40)
	ds_write2_b64 v208, v[164:165], v[166:167] offset0:16 offset1:17
	;; [unrolled: 2-line block ×42, first 2 shown]
.LBB96_144:
	s_or_b64 exec, exec, s[0:1]
	v_cmp_lt_i32_e32 vcc, 6, v209
	s_waitcnt lgkmcnt(0)
	s_barrier
	s_and_saveexec_b64 s[0:1], vcc
	s_cbranch_execz .LBB96_146
; %bb.145:
	ds_read2_b64 v[212:215], v208 offset0:14 offset1:15
	v_mul_f64 v[206:207], v[198:199], v[174:175]
	v_mul_f64 v[174:175], v[196:197], v[174:175]
	v_fma_f64 v[206:207], v[196:197], v[172:173], -v[206:207]
	v_fmac_f64_e32 v[174:175], v[198:199], v[172:173]
	ds_read2_b64 v[196:199], v208 offset0:16 offset1:17
	s_waitcnt lgkmcnt(1)
	v_mul_f64 v[172:173], v[214:215], v[174:175]
	v_fma_f64 v[172:173], v[212:213], v[206:207], -v[172:173]
	v_mul_f64 v[212:213], v[212:213], v[174:175]
	v_fmac_f64_e32 v[212:213], v[214:215], v[206:207]
	s_waitcnt vmcnt(41)
	v_add_f64 v[168:169], v[168:169], -v[172:173]
	s_waitcnt lgkmcnt(0)
	v_mul_f64 v[172:173], v[198:199], v[174:175]
	v_add_f64 v[170:171], v[170:171], -v[212:213]
	v_fma_f64 v[172:173], v[196:197], v[206:207], -v[172:173]
	v_mul_f64 v[196:197], v[196:197], v[174:175]
	ds_read2_b64 v[212:215], v208 offset0:18 offset1:19
	v_fmac_f64_e32 v[196:197], v[198:199], v[206:207]
	s_waitcnt vmcnt(40)
	v_add_f64 v[166:167], v[166:167], -v[196:197]
	ds_read2_b64 v[196:199], v208 offset0:20 offset1:21
	v_add_f64 v[164:165], v[164:165], -v[172:173]
	s_waitcnt lgkmcnt(1)
	v_mul_f64 v[172:173], v[214:215], v[174:175]
	v_fma_f64 v[172:173], v[212:213], v[206:207], -v[172:173]
	v_mul_f64 v[212:213], v[212:213], v[174:175]
	v_fmac_f64_e32 v[212:213], v[214:215], v[206:207]
	s_waitcnt vmcnt(39)
	v_add_f64 v[160:161], v[160:161], -v[172:173]
	s_waitcnt lgkmcnt(0)
	v_mul_f64 v[172:173], v[198:199], v[174:175]
	v_add_f64 v[162:163], v[162:163], -v[212:213]
	v_fma_f64 v[172:173], v[196:197], v[206:207], -v[172:173]
	v_mul_f64 v[196:197], v[196:197], v[174:175]
	ds_read2_b64 v[212:215], v208 offset0:22 offset1:23
	v_fmac_f64_e32 v[196:197], v[198:199], v[206:207]
	s_waitcnt vmcnt(38)
	v_add_f64 v[158:159], v[158:159], -v[196:197]
	ds_read2_b64 v[196:199], v208 offset0:24 offset1:25
	v_add_f64 v[156:157], v[156:157], -v[172:173]
	s_waitcnt lgkmcnt(1)
	v_mul_f64 v[172:173], v[214:215], v[174:175]
	v_fma_f64 v[172:173], v[212:213], v[206:207], -v[172:173]
	v_mul_f64 v[212:213], v[212:213], v[174:175]
	v_fmac_f64_e32 v[212:213], v[214:215], v[206:207]
	s_waitcnt vmcnt(37)
	v_add_f64 v[152:153], v[152:153], -v[172:173]
	s_waitcnt lgkmcnt(0)
	v_mul_f64 v[172:173], v[198:199], v[174:175]
	v_add_f64 v[154:155], v[154:155], -v[212:213]
	v_fma_f64 v[172:173], v[196:197], v[206:207], -v[172:173]
	v_mul_f64 v[196:197], v[196:197], v[174:175]
	ds_read2_b64 v[212:215], v208 offset0:26 offset1:27
	v_fmac_f64_e32 v[196:197], v[198:199], v[206:207]
	s_waitcnt vmcnt(36)
	v_add_f64 v[150:151], v[150:151], -v[196:197]
	ds_read2_b64 v[196:199], v208 offset0:28 offset1:29
	v_add_f64 v[148:149], v[148:149], -v[172:173]
	s_waitcnt lgkmcnt(1)
	v_mul_f64 v[172:173], v[214:215], v[174:175]
	v_fma_f64 v[172:173], v[212:213], v[206:207], -v[172:173]
	v_mul_f64 v[212:213], v[212:213], v[174:175]
	v_fmac_f64_e32 v[212:213], v[214:215], v[206:207]
	s_waitcnt vmcnt(35)
	v_add_f64 v[144:145], v[144:145], -v[172:173]
	s_waitcnt lgkmcnt(0)
	v_mul_f64 v[172:173], v[198:199], v[174:175]
	v_add_f64 v[146:147], v[146:147], -v[212:213]
	v_fma_f64 v[172:173], v[196:197], v[206:207], -v[172:173]
	v_mul_f64 v[196:197], v[196:197], v[174:175]
	ds_read2_b64 v[212:215], v208 offset0:30 offset1:31
	v_fmac_f64_e32 v[196:197], v[198:199], v[206:207]
	s_waitcnt vmcnt(34)
	v_add_f64 v[142:143], v[142:143], -v[196:197]
	ds_read2_b64 v[196:199], v208 offset0:32 offset1:33
	v_add_f64 v[140:141], v[140:141], -v[172:173]
	s_waitcnt lgkmcnt(1)
	v_mul_f64 v[172:173], v[214:215], v[174:175]
	v_fma_f64 v[172:173], v[212:213], v[206:207], -v[172:173]
	v_mul_f64 v[212:213], v[212:213], v[174:175]
	v_fmac_f64_e32 v[212:213], v[214:215], v[206:207]
	s_waitcnt vmcnt(33)
	v_add_f64 v[136:137], v[136:137], -v[172:173]
	s_waitcnt lgkmcnt(0)
	v_mul_f64 v[172:173], v[198:199], v[174:175]
	v_add_f64 v[138:139], v[138:139], -v[212:213]
	v_fma_f64 v[172:173], v[196:197], v[206:207], -v[172:173]
	v_mul_f64 v[196:197], v[196:197], v[174:175]
	ds_read2_b64 v[212:215], v208 offset0:34 offset1:35
	v_fmac_f64_e32 v[196:197], v[198:199], v[206:207]
	s_waitcnt vmcnt(32)
	v_add_f64 v[130:131], v[130:131], -v[196:197]
	ds_read2_b64 v[196:199], v208 offset0:36 offset1:37
	v_add_f64 v[128:129], v[128:129], -v[172:173]
	s_waitcnt lgkmcnt(1)
	v_mul_f64 v[172:173], v[214:215], v[174:175]
	v_fma_f64 v[172:173], v[212:213], v[206:207], -v[172:173]
	v_mul_f64 v[212:213], v[212:213], v[174:175]
	v_fmac_f64_e32 v[212:213], v[214:215], v[206:207]
	s_waitcnt vmcnt(31)
	v_add_f64 v[120:121], v[120:121], -v[172:173]
	s_waitcnt lgkmcnt(0)
	v_mul_f64 v[172:173], v[198:199], v[174:175]
	v_add_f64 v[122:123], v[122:123], -v[212:213]
	v_fma_f64 v[172:173], v[196:197], v[206:207], -v[172:173]
	v_mul_f64 v[196:197], v[196:197], v[174:175]
	ds_read2_b64 v[212:215], v208 offset0:38 offset1:39
	v_fmac_f64_e32 v[196:197], v[198:199], v[206:207]
	s_waitcnt vmcnt(30)
	v_add_f64 v[118:119], v[118:119], -v[196:197]
	ds_read2_b64 v[196:199], v208 offset0:40 offset1:41
	v_add_f64 v[116:117], v[116:117], -v[172:173]
	s_waitcnt lgkmcnt(1)
	v_mul_f64 v[172:173], v[214:215], v[174:175]
	v_fma_f64 v[172:173], v[212:213], v[206:207], -v[172:173]
	v_mul_f64 v[212:213], v[212:213], v[174:175]
	v_fmac_f64_e32 v[212:213], v[214:215], v[206:207]
	s_waitcnt vmcnt(29)
	v_add_f64 v[112:113], v[112:113], -v[172:173]
	s_waitcnt lgkmcnt(0)
	v_mul_f64 v[172:173], v[198:199], v[174:175]
	v_add_f64 v[114:115], v[114:115], -v[212:213]
	v_fma_f64 v[172:173], v[196:197], v[206:207], -v[172:173]
	v_mul_f64 v[196:197], v[196:197], v[174:175]
	ds_read2_b64 v[212:215], v208 offset0:42 offset1:43
	v_fmac_f64_e32 v[196:197], v[198:199], v[206:207]
	s_waitcnt vmcnt(28)
	v_add_f64 v[110:111], v[110:111], -v[196:197]
	ds_read2_b64 v[196:199], v208 offset0:44 offset1:45
	v_add_f64 v[108:109], v[108:109], -v[172:173]
	s_waitcnt lgkmcnt(1)
	v_mul_f64 v[172:173], v[214:215], v[174:175]
	v_fma_f64 v[172:173], v[212:213], v[206:207], -v[172:173]
	v_mul_f64 v[212:213], v[212:213], v[174:175]
	v_fmac_f64_e32 v[212:213], v[214:215], v[206:207]
	s_waitcnt vmcnt(27)
	v_add_f64 v[104:105], v[104:105], -v[172:173]
	s_waitcnt lgkmcnt(0)
	v_mul_f64 v[172:173], v[198:199], v[174:175]
	v_add_f64 v[106:107], v[106:107], -v[212:213]
	v_fma_f64 v[172:173], v[196:197], v[206:207], -v[172:173]
	v_mul_f64 v[196:197], v[196:197], v[174:175]
	ds_read2_b64 v[212:215], v208 offset0:46 offset1:47
	v_fmac_f64_e32 v[196:197], v[198:199], v[206:207]
	s_waitcnt vmcnt(26)
	v_add_f64 v[102:103], v[102:103], -v[196:197]
	ds_read2_b64 v[196:199], v208 offset0:48 offset1:49
	v_add_f64 v[100:101], v[100:101], -v[172:173]
	s_waitcnt lgkmcnt(1)
	v_mul_f64 v[172:173], v[214:215], v[174:175]
	v_fma_f64 v[172:173], v[212:213], v[206:207], -v[172:173]
	v_mul_f64 v[212:213], v[212:213], v[174:175]
	v_fmac_f64_e32 v[212:213], v[214:215], v[206:207]
	s_waitcnt vmcnt(25)
	v_add_f64 v[96:97], v[96:97], -v[172:173]
	s_waitcnt lgkmcnt(0)
	v_mul_f64 v[172:173], v[198:199], v[174:175]
	v_add_f64 v[98:99], v[98:99], -v[212:213]
	v_fma_f64 v[172:173], v[196:197], v[206:207], -v[172:173]
	v_mul_f64 v[196:197], v[196:197], v[174:175]
	ds_read2_b64 v[212:215], v208 offset0:50 offset1:51
	v_fmac_f64_e32 v[196:197], v[198:199], v[206:207]
	s_waitcnt vmcnt(24)
	v_add_f64 v[94:95], v[94:95], -v[196:197]
	ds_read2_b64 v[196:199], v208 offset0:52 offset1:53
	v_add_f64 v[92:93], v[92:93], -v[172:173]
	s_waitcnt lgkmcnt(1)
	v_mul_f64 v[172:173], v[214:215], v[174:175]
	v_fma_f64 v[172:173], v[212:213], v[206:207], -v[172:173]
	v_mul_f64 v[212:213], v[212:213], v[174:175]
	v_fmac_f64_e32 v[212:213], v[214:215], v[206:207]
	s_waitcnt vmcnt(23)
	v_add_f64 v[88:89], v[88:89], -v[172:173]
	s_waitcnt lgkmcnt(0)
	v_mul_f64 v[172:173], v[198:199], v[174:175]
	v_add_f64 v[90:91], v[90:91], -v[212:213]
	v_fma_f64 v[172:173], v[196:197], v[206:207], -v[172:173]
	v_mul_f64 v[196:197], v[196:197], v[174:175]
	ds_read2_b64 v[212:215], v208 offset0:54 offset1:55
	v_fmac_f64_e32 v[196:197], v[198:199], v[206:207]
	s_waitcnt vmcnt(22)
	v_add_f64 v[86:87], v[86:87], -v[196:197]
	ds_read2_b64 v[196:199], v208 offset0:56 offset1:57
	v_add_f64 v[84:85], v[84:85], -v[172:173]
	s_waitcnt lgkmcnt(1)
	v_mul_f64 v[172:173], v[214:215], v[174:175]
	v_fma_f64 v[172:173], v[212:213], v[206:207], -v[172:173]
	v_mul_f64 v[212:213], v[212:213], v[174:175]
	v_fmac_f64_e32 v[212:213], v[214:215], v[206:207]
	s_waitcnt vmcnt(21)
	v_add_f64 v[80:81], v[80:81], -v[172:173]
	s_waitcnt lgkmcnt(0)
	v_mul_f64 v[172:173], v[198:199], v[174:175]
	v_add_f64 v[82:83], v[82:83], -v[212:213]
	v_fma_f64 v[172:173], v[196:197], v[206:207], -v[172:173]
	v_mul_f64 v[196:197], v[196:197], v[174:175]
	ds_read2_b64 v[212:215], v208 offset0:58 offset1:59
	v_fmac_f64_e32 v[196:197], v[198:199], v[206:207]
	s_waitcnt vmcnt(20)
	v_add_f64 v[78:79], v[78:79], -v[196:197]
	ds_read2_b64 v[196:199], v208 offset0:60 offset1:61
	v_add_f64 v[76:77], v[76:77], -v[172:173]
	s_waitcnt lgkmcnt(1)
	v_mul_f64 v[172:173], v[214:215], v[174:175]
	v_fma_f64 v[172:173], v[212:213], v[206:207], -v[172:173]
	v_mul_f64 v[212:213], v[212:213], v[174:175]
	v_fmac_f64_e32 v[212:213], v[214:215], v[206:207]
	s_waitcnt vmcnt(19)
	v_add_f64 v[72:73], v[72:73], -v[172:173]
	s_waitcnt lgkmcnt(0)
	v_mul_f64 v[172:173], v[198:199], v[174:175]
	v_add_f64 v[74:75], v[74:75], -v[212:213]
	v_fma_f64 v[172:173], v[196:197], v[206:207], -v[172:173]
	v_mul_f64 v[196:197], v[196:197], v[174:175]
	ds_read2_b64 v[212:215], v208 offset0:62 offset1:63
	v_fmac_f64_e32 v[196:197], v[198:199], v[206:207]
	s_waitcnt vmcnt(18)
	v_add_f64 v[70:71], v[70:71], -v[196:197]
	ds_read2_b64 v[196:199], v208 offset0:64 offset1:65
	v_add_f64 v[68:69], v[68:69], -v[172:173]
	s_waitcnt lgkmcnt(1)
	v_mul_f64 v[172:173], v[214:215], v[174:175]
	v_fma_f64 v[172:173], v[212:213], v[206:207], -v[172:173]
	v_mul_f64 v[212:213], v[212:213], v[174:175]
	v_fmac_f64_e32 v[212:213], v[214:215], v[206:207]
	s_waitcnt vmcnt(17)
	v_add_f64 v[64:65], v[64:65], -v[172:173]
	s_waitcnt lgkmcnt(0)
	v_mul_f64 v[172:173], v[198:199], v[174:175]
	v_add_f64 v[66:67], v[66:67], -v[212:213]
	v_fma_f64 v[172:173], v[196:197], v[206:207], -v[172:173]
	v_mul_f64 v[196:197], v[196:197], v[174:175]
	ds_read2_b64 v[212:215], v208 offset0:66 offset1:67
	v_fmac_f64_e32 v[196:197], v[198:199], v[206:207]
	s_waitcnt vmcnt(16)
	v_add_f64 v[62:63], v[62:63], -v[196:197]
	ds_read2_b64 v[196:199], v208 offset0:68 offset1:69
	v_add_f64 v[60:61], v[60:61], -v[172:173]
	s_waitcnt lgkmcnt(1)
	v_mul_f64 v[172:173], v[214:215], v[174:175]
	v_fma_f64 v[172:173], v[212:213], v[206:207], -v[172:173]
	v_mul_f64 v[212:213], v[212:213], v[174:175]
	v_fmac_f64_e32 v[212:213], v[214:215], v[206:207]
	s_waitcnt vmcnt(15)
	v_add_f64 v[56:57], v[56:57], -v[172:173]
	s_waitcnt lgkmcnt(0)
	v_mul_f64 v[172:173], v[198:199], v[174:175]
	v_add_f64 v[58:59], v[58:59], -v[212:213]
	v_fma_f64 v[172:173], v[196:197], v[206:207], -v[172:173]
	v_mul_f64 v[196:197], v[196:197], v[174:175]
	ds_read2_b64 v[212:215], v208 offset0:70 offset1:71
	v_fmac_f64_e32 v[196:197], v[198:199], v[206:207]
	s_waitcnt vmcnt(14)
	v_add_f64 v[54:55], v[54:55], -v[196:197]
	ds_read2_b64 v[196:199], v208 offset0:72 offset1:73
	v_add_f64 v[52:53], v[52:53], -v[172:173]
	s_waitcnt lgkmcnt(1)
	v_mul_f64 v[172:173], v[214:215], v[174:175]
	v_fma_f64 v[172:173], v[212:213], v[206:207], -v[172:173]
	v_mul_f64 v[212:213], v[212:213], v[174:175]
	v_fmac_f64_e32 v[212:213], v[214:215], v[206:207]
	s_waitcnt vmcnt(13)
	v_add_f64 v[48:49], v[48:49], -v[172:173]
	s_waitcnt lgkmcnt(0)
	v_mul_f64 v[172:173], v[198:199], v[174:175]
	v_add_f64 v[50:51], v[50:51], -v[212:213]
	v_fma_f64 v[172:173], v[196:197], v[206:207], -v[172:173]
	v_mul_f64 v[196:197], v[196:197], v[174:175]
	ds_read2_b64 v[212:215], v208 offset0:74 offset1:75
	v_fmac_f64_e32 v[196:197], v[198:199], v[206:207]
	s_waitcnt vmcnt(12)
	v_add_f64 v[46:47], v[46:47], -v[196:197]
	ds_read2_b64 v[196:199], v208 offset0:76 offset1:77
	v_add_f64 v[44:45], v[44:45], -v[172:173]
	s_waitcnt lgkmcnt(1)
	v_mul_f64 v[172:173], v[214:215], v[174:175]
	v_fma_f64 v[172:173], v[212:213], v[206:207], -v[172:173]
	v_mul_f64 v[212:213], v[212:213], v[174:175]
	v_fmac_f64_e32 v[212:213], v[214:215], v[206:207]
	s_waitcnt vmcnt(11)
	v_add_f64 v[40:41], v[40:41], -v[172:173]
	s_waitcnt lgkmcnt(0)
	v_mul_f64 v[172:173], v[198:199], v[174:175]
	v_add_f64 v[42:43], v[42:43], -v[212:213]
	v_fma_f64 v[172:173], v[196:197], v[206:207], -v[172:173]
	v_mul_f64 v[196:197], v[196:197], v[174:175]
	ds_read2_b64 v[212:215], v208 offset0:78 offset1:79
	v_fmac_f64_e32 v[196:197], v[198:199], v[206:207]
	s_waitcnt vmcnt(10)
	v_add_f64 v[38:39], v[38:39], -v[196:197]
	ds_read2_b64 v[196:199], v208 offset0:80 offset1:81
	v_add_f64 v[36:37], v[36:37], -v[172:173]
	s_waitcnt lgkmcnt(1)
	v_mul_f64 v[172:173], v[214:215], v[174:175]
	v_fma_f64 v[172:173], v[212:213], v[206:207], -v[172:173]
	v_mul_f64 v[212:213], v[212:213], v[174:175]
	v_fmac_f64_e32 v[212:213], v[214:215], v[206:207]
	s_waitcnt vmcnt(9)
	v_add_f64 v[32:33], v[32:33], -v[172:173]
	s_waitcnt lgkmcnt(0)
	v_mul_f64 v[172:173], v[198:199], v[174:175]
	v_add_f64 v[34:35], v[34:35], -v[212:213]
	v_fma_f64 v[172:173], v[196:197], v[206:207], -v[172:173]
	v_mul_f64 v[196:197], v[196:197], v[174:175]
	ds_read2_b64 v[212:215], v208 offset0:82 offset1:83
	v_fmac_f64_e32 v[196:197], v[198:199], v[206:207]
	s_waitcnt vmcnt(8)
	v_add_f64 v[30:31], v[30:31], -v[196:197]
	ds_read2_b64 v[196:199], v208 offset0:84 offset1:85
	v_add_f64 v[28:29], v[28:29], -v[172:173]
	s_waitcnt lgkmcnt(1)
	v_mul_f64 v[172:173], v[214:215], v[174:175]
	v_fma_f64 v[172:173], v[212:213], v[206:207], -v[172:173]
	v_mul_f64 v[212:213], v[212:213], v[174:175]
	v_fmac_f64_e32 v[212:213], v[214:215], v[206:207]
	s_waitcnt vmcnt(7)
	v_add_f64 v[24:25], v[24:25], -v[172:173]
	s_waitcnt lgkmcnt(0)
	v_mul_f64 v[172:173], v[198:199], v[174:175]
	v_add_f64 v[26:27], v[26:27], -v[212:213]
	v_fma_f64 v[172:173], v[196:197], v[206:207], -v[172:173]
	v_mul_f64 v[196:197], v[196:197], v[174:175]
	ds_read2_b64 v[212:215], v208 offset0:86 offset1:87
	v_fmac_f64_e32 v[196:197], v[198:199], v[206:207]
	s_waitcnt vmcnt(6)
	v_add_f64 v[22:23], v[22:23], -v[196:197]
	ds_read2_b64 v[196:199], v208 offset0:88 offset1:89
	v_add_f64 v[20:21], v[20:21], -v[172:173]
	s_waitcnt lgkmcnt(1)
	v_mul_f64 v[172:173], v[214:215], v[174:175]
	v_fma_f64 v[172:173], v[212:213], v[206:207], -v[172:173]
	v_mul_f64 v[212:213], v[212:213], v[174:175]
	v_fmac_f64_e32 v[212:213], v[214:215], v[206:207]
	s_waitcnt vmcnt(5)
	v_add_f64 v[16:17], v[16:17], -v[172:173]
	s_waitcnt lgkmcnt(0)
	v_mul_f64 v[172:173], v[198:199], v[174:175]
	v_add_f64 v[18:19], v[18:19], -v[212:213]
	v_fma_f64 v[172:173], v[196:197], v[206:207], -v[172:173]
	v_mul_f64 v[196:197], v[196:197], v[174:175]
	ds_read2_b64 v[212:215], v208 offset0:90 offset1:91
	v_fmac_f64_e32 v[196:197], v[198:199], v[206:207]
	s_waitcnt vmcnt(4)
	v_add_f64 v[14:15], v[14:15], -v[196:197]
	ds_read2_b64 v[196:199], v208 offset0:92 offset1:93
	v_add_f64 v[12:13], v[12:13], -v[172:173]
	s_waitcnt lgkmcnt(1)
	v_mul_f64 v[172:173], v[214:215], v[174:175]
	v_fma_f64 v[172:173], v[212:213], v[206:207], -v[172:173]
	v_mul_f64 v[212:213], v[212:213], v[174:175]
	v_fmac_f64_e32 v[212:213], v[214:215], v[206:207]
	s_waitcnt vmcnt(3)
	v_add_f64 v[8:9], v[8:9], -v[172:173]
	s_waitcnt lgkmcnt(0)
	v_mul_f64 v[172:173], v[198:199], v[174:175]
	v_add_f64 v[10:11], v[10:11], -v[212:213]
	v_fma_f64 v[172:173], v[196:197], v[206:207], -v[172:173]
	v_mul_f64 v[196:197], v[196:197], v[174:175]
	ds_read2_b64 v[212:215], v208 offset0:94 offset1:95
	v_fmac_f64_e32 v[196:197], v[198:199], v[206:207]
	s_waitcnt vmcnt(2)
	v_add_f64 v[6:7], v[6:7], -v[196:197]
	ds_read2_b64 v[196:199], v208 offset0:96 offset1:97
	v_add_f64 v[4:5], v[4:5], -v[172:173]
	s_waitcnt lgkmcnt(1)
	v_mul_f64 v[172:173], v[214:215], v[174:175]
	v_fma_f64 v[172:173], v[212:213], v[206:207], -v[172:173]
	s_waitcnt vmcnt(1)
	v_add_f64 v[0:1], v[0:1], -v[172:173]
	s_waitcnt lgkmcnt(0)
	v_mul_f64 v[172:173], v[198:199], v[174:175]
	v_mul_f64 v[212:213], v[212:213], v[174:175]
	v_fma_f64 v[172:173], v[196:197], v[206:207], -v[172:173]
	v_mul_f64 v[196:197], v[196:197], v[174:175]
	v_fmac_f64_e32 v[212:213], v[214:215], v[206:207]
	v_fmac_f64_e32 v[196:197], v[198:199], v[206:207]
	v_add_f64 v[2:3], v[2:3], -v[212:213]
	s_waitcnt vmcnt(0)
	v_add_f64 v[192:193], v[192:193], -v[172:173]
	v_add_f64 v[194:195], v[194:195], -v[196:197]
	v_mov_b64_e32 v[172:173], v[206:207]
.LBB96_146:
	s_or_b64 exec, exec, s[0:1]
	v_lshl_add_u32 v196, v209, 4, v208
	s_barrier
	s_waitcnt vmcnt(41)
	ds_write2_b64 v196, v[168:169], v[170:171] offset1:1
	s_waitcnt lgkmcnt(0)
	s_barrier
	ds_read2_b64 v[196:199], v208 offset0:14 offset1:15
	s_cmp_lt_i32 s20, 9
	v_mov_b32_e32 v206, 7
	s_cbranch_scc1 .LBB96_149
; %bb.147:
	v_add_u32_e32 v207, 0x80, v208
	s_mov_b32 s16, 8
	v_mov_b32_e32 v206, 7
.LBB96_148:                             ; =>This Inner Loop Header: Depth=1
	ds_read2_b64 v[212:215], v207 offset1:1
	s_waitcnt lgkmcnt(1)
	v_xor_b32_e32 v217, 0x80000000, v197
	v_xor_b32_e32 v219, 0x80000000, v199
	v_cmp_gt_f64_e32 vcc, 0, v[198:199]
	v_cmp_gt_f64_e64 s[0:1], 0, v[196:197]
	v_mov_b32_e32 v216, v196
	v_mov_b32_e32 v218, v198
	v_cndmask_b32_e64 v217, v197, v217, s[0:1]
	v_cndmask_b32_e32 v219, v199, v219, vcc
	v_add_f64 v[216:217], v[216:217], v[218:219]
	s_waitcnt lgkmcnt(0)
	v_xor_b32_e32 v219, 0x80000000, v213
	v_xor_b32_e32 v221, 0x80000000, v215
	v_cmp_gt_f64_e32 vcc, 0, v[214:215]
	v_cmp_gt_f64_e64 s[0:1], 0, v[212:213]
	v_mov_b32_e32 v218, v212
	v_mov_b32_e32 v220, v214
	v_cndmask_b32_e64 v219, v213, v219, s[0:1]
	v_cndmask_b32_e32 v221, v215, v221, vcc
	v_add_f64 v[218:219], v[218:219], v[220:221]
	v_mov_b32_e32 v222, s16
	s_add_i32 s16, s16, 1
	v_cmp_lt_f64_e32 vcc, v[216:217], v[218:219]
	v_add_u32_e32 v207, 16, v207
	s_cmp_lg_u32 s20, s16
	v_cndmask_b32_e32 v197, v197, v213, vcc
	v_cndmask_b32_e32 v196, v196, v212, vcc
	;; [unrolled: 1-line block ×5, first 2 shown]
	s_cbranch_scc1 .LBB96_148
.LBB96_149:
	s_waitcnt lgkmcnt(0)
	v_cmp_eq_f64_e32 vcc, 0, v[196:197]
	v_cmp_eq_f64_e64 s[0:1], 0, v[198:199]
	s_and_b64 s[0:1], vcc, s[0:1]
	s_and_saveexec_b64 s[16:17], s[0:1]
	s_xor_b64 s[0:1], exec, s[16:17]
; %bb.150:
	v_cmp_ne_u32_e32 vcc, 0, v210
	s_nop 1
	v_cndmask_b32_e32 v210, 8, v210, vcc
; %bb.151:
	s_andn2_saveexec_b64 s[0:1], s[0:1]
	s_cbranch_execz .LBB96_157
; %bb.152:
	v_cmp_ngt_f64_e64 s[16:17], |v[196:197]|, |v[198:199]|
	s_and_saveexec_b64 s[18:19], s[16:17]
	s_xor_b64 s[16:17], exec, s[18:19]
	s_cbranch_execz .LBB96_154
; %bb.153:
	v_div_scale_f64 v[212:213], s[18:19], v[198:199], v[198:199], v[196:197]
	v_rcp_f64_e32 v[214:215], v[212:213]
	v_div_scale_f64 v[216:217], vcc, v[196:197], v[198:199], v[196:197]
	v_fma_f64 v[218:219], -v[212:213], v[214:215], 1.0
	v_fmac_f64_e32 v[214:215], v[214:215], v[218:219]
	v_fma_f64 v[218:219], -v[212:213], v[214:215], 1.0
	v_fmac_f64_e32 v[214:215], v[214:215], v[218:219]
	v_mul_f64 v[218:219], v[216:217], v[214:215]
	v_fma_f64 v[212:213], -v[212:213], v[218:219], v[216:217]
	v_div_fmas_f64 v[212:213], v[212:213], v[214:215], v[218:219]
	v_div_fixup_f64 v[212:213], v[212:213], v[198:199], v[196:197]
	v_fmac_f64_e32 v[198:199], v[196:197], v[212:213]
	v_div_scale_f64 v[196:197], s[18:19], v[198:199], v[198:199], 1.0
	v_rcp_f64_e32 v[214:215], v[196:197]
	s_nop 0
	v_fma_f64 v[216:217], -v[196:197], v[214:215], 1.0
	v_fmac_f64_e32 v[214:215], v[214:215], v[216:217]
	v_fma_f64 v[216:217], -v[196:197], v[214:215], 1.0
	v_fmac_f64_e32 v[214:215], v[214:215], v[216:217]
	v_div_scale_f64 v[216:217], vcc, 1.0, v[198:199], 1.0
	v_mul_f64 v[218:219], v[216:217], v[214:215]
	v_fma_f64 v[196:197], -v[196:197], v[218:219], v[216:217]
	s_nop 1
	v_div_fmas_f64 v[196:197], v[196:197], v[214:215], v[218:219]
	v_div_fixup_f64 v[198:199], v[196:197], v[198:199], 1.0
	v_mul_f64 v[196:197], v[212:213], v[198:199]
	v_xor_b32_e32 v199, 0x80000000, v199
.LBB96_154:
	s_andn2_saveexec_b64 s[16:17], s[16:17]
	s_cbranch_execz .LBB96_156
; %bb.155:
	v_div_scale_f64 v[212:213], s[18:19], v[196:197], v[196:197], v[198:199]
	v_rcp_f64_e32 v[214:215], v[212:213]
	v_div_scale_f64 v[216:217], vcc, v[198:199], v[196:197], v[198:199]
	v_fma_f64 v[218:219], -v[212:213], v[214:215], 1.0
	v_fmac_f64_e32 v[214:215], v[214:215], v[218:219]
	v_fma_f64 v[218:219], -v[212:213], v[214:215], 1.0
	v_fmac_f64_e32 v[214:215], v[214:215], v[218:219]
	v_mul_f64 v[218:219], v[216:217], v[214:215]
	v_fma_f64 v[212:213], -v[212:213], v[218:219], v[216:217]
	v_div_fmas_f64 v[212:213], v[212:213], v[214:215], v[218:219]
	v_div_fixup_f64 v[212:213], v[212:213], v[196:197], v[198:199]
	v_fmac_f64_e32 v[196:197], v[198:199], v[212:213]
	v_div_scale_f64 v[198:199], s[18:19], v[196:197], v[196:197], 1.0
	v_rcp_f64_e32 v[214:215], v[198:199]
	s_nop 0
	v_fma_f64 v[216:217], -v[198:199], v[214:215], 1.0
	v_fmac_f64_e32 v[214:215], v[214:215], v[216:217]
	v_fma_f64 v[216:217], -v[198:199], v[214:215], 1.0
	v_fmac_f64_e32 v[214:215], v[214:215], v[216:217]
	v_div_scale_f64 v[216:217], vcc, 1.0, v[196:197], 1.0
	v_mul_f64 v[218:219], v[216:217], v[214:215]
	v_fma_f64 v[198:199], -v[198:199], v[218:219], v[216:217]
	s_nop 1
	v_div_fmas_f64 v[198:199], v[198:199], v[214:215], v[218:219]
	v_div_fixup_f64 v[196:197], v[198:199], v[196:197], 1.0
	v_mul_f64 v[198:199], v[212:213], -v[196:197]
.LBB96_156:
	s_or_b64 exec, exec, s[16:17]
.LBB96_157:
	s_or_b64 exec, exec, s[0:1]
	v_cmp_ne_u32_e32 vcc, v209, v206
	s_and_saveexec_b64 s[0:1], vcc
	s_xor_b64 s[0:1], exec, s[0:1]
	s_cbranch_execz .LBB96_163
; %bb.158:
	v_cmp_eq_u32_e32 vcc, 7, v209
	s_and_saveexec_b64 s[16:17], vcc
	s_cbranch_execz .LBB96_162
; %bb.159:
	v_cmp_ne_u32_e32 vcc, 7, v206
	s_xor_b64 s[18:19], s[14:15], -1
	s_and_b64 s[22:23], s[18:19], vcc
	s_and_saveexec_b64 s[18:19], s[22:23]
	s_cbranch_execz .LBB96_161
; %bb.160:
	v_ashrrev_i32_e32 v207, 31, v206
	v_lshl_add_u64 v[212:213], v[206:207], 2, v[204:205]
	global_load_dword v207, v[212:213], off
	global_load_dword v209, v[204:205], off offset:28
	s_waitcnt vmcnt(1)
	global_store_dword v[204:205], v207, off offset:28
	s_waitcnt vmcnt(1)
	global_store_dword v[212:213], v209, off
.LBB96_161:
	s_or_b64 exec, exec, s[18:19]
	v_mov_b32_e32 v209, v206
	v_mov_b32_e32 v211, v206
.LBB96_162:
	s_or_b64 exec, exec, s[16:17]
.LBB96_163:
	s_andn2_saveexec_b64 s[0:1], s[0:1]
	s_cbranch_execz .LBB96_165
; %bb.164:
	v_mov_b32_e32 v209, 7
	s_waitcnt vmcnt(40)
	ds_write2_b64 v208, v[164:165], v[166:167] offset0:16 offset1:17
	s_waitcnt vmcnt(39)
	ds_write2_b64 v208, v[160:161], v[162:163] offset0:18 offset1:19
	;; [unrolled: 2-line block ×41, first 2 shown]
.LBB96_165:
	s_or_b64 exec, exec, s[0:1]
	v_cmp_lt_i32_e32 vcc, 7, v209
	s_waitcnt lgkmcnt(0)
	s_barrier
	s_and_saveexec_b64 s[0:1], vcc
	s_cbranch_execz .LBB96_167
; %bb.166:
	ds_read2_b64 v[212:215], v208 offset0:16 offset1:17
	v_mul_f64 v[206:207], v[198:199], v[170:171]
	v_mul_f64 v[170:171], v[196:197], v[170:171]
	v_fmac_f64_e32 v[170:171], v[198:199], v[168:169]
	v_fma_f64 v[206:207], v[196:197], v[168:169], -v[206:207]
	ds_read2_b64 v[196:199], v208 offset0:18 offset1:19
	s_waitcnt lgkmcnt(1)
	v_mul_f64 v[168:169], v[214:215], v[170:171]
	v_fma_f64 v[168:169], v[212:213], v[206:207], -v[168:169]
	v_mul_f64 v[212:213], v[212:213], v[170:171]
	v_fmac_f64_e32 v[212:213], v[214:215], v[206:207]
	s_waitcnt vmcnt(40)
	v_add_f64 v[166:167], v[166:167], -v[212:213]
	ds_read2_b64 v[212:215], v208 offset0:20 offset1:21
	v_add_f64 v[164:165], v[164:165], -v[168:169]
	s_waitcnt lgkmcnt(1)
	v_mul_f64 v[168:169], v[198:199], v[170:171]
	v_fma_f64 v[168:169], v[196:197], v[206:207], -v[168:169]
	v_mul_f64 v[196:197], v[196:197], v[170:171]
	v_fmac_f64_e32 v[196:197], v[198:199], v[206:207]
	s_waitcnt vmcnt(39)
	v_add_f64 v[160:161], v[160:161], -v[168:169]
	v_add_f64 v[162:163], v[162:163], -v[196:197]
	ds_read2_b64 v[196:199], v208 offset0:22 offset1:23
	s_waitcnt lgkmcnt(1)
	v_mul_f64 v[168:169], v[214:215], v[170:171]
	v_fma_f64 v[168:169], v[212:213], v[206:207], -v[168:169]
	v_mul_f64 v[212:213], v[212:213], v[170:171]
	v_fmac_f64_e32 v[212:213], v[214:215], v[206:207]
	s_waitcnt vmcnt(38)
	v_add_f64 v[158:159], v[158:159], -v[212:213]
	ds_read2_b64 v[212:215], v208 offset0:24 offset1:25
	v_add_f64 v[156:157], v[156:157], -v[168:169]
	s_waitcnt lgkmcnt(1)
	v_mul_f64 v[168:169], v[198:199], v[170:171]
	v_fma_f64 v[168:169], v[196:197], v[206:207], -v[168:169]
	v_mul_f64 v[196:197], v[196:197], v[170:171]
	v_fmac_f64_e32 v[196:197], v[198:199], v[206:207]
	s_waitcnt vmcnt(37)
	v_add_f64 v[152:153], v[152:153], -v[168:169]
	v_add_f64 v[154:155], v[154:155], -v[196:197]
	;; [unrolled: 18-line block ×20, first 2 shown]
	s_waitcnt lgkmcnt(0)
	v_mul_f64 v[168:169], v[214:215], v[170:171]
	v_mul_f64 v[196:197], v[212:213], v[170:171]
	v_fma_f64 v[168:169], v[212:213], v[206:207], -v[168:169]
	v_fmac_f64_e32 v[196:197], v[214:215], v[206:207]
	s_waitcnt vmcnt(0)
	v_add_f64 v[192:193], v[192:193], -v[168:169]
	v_add_f64 v[194:195], v[194:195], -v[196:197]
	v_mov_b64_e32 v[168:169], v[206:207]
.LBB96_167:
	s_or_b64 exec, exec, s[0:1]
	v_lshl_add_u32 v196, v209, 4, v208
	s_barrier
	s_waitcnt vmcnt(40)
	ds_write2_b64 v196, v[164:165], v[166:167] offset1:1
	s_waitcnt lgkmcnt(0)
	s_barrier
	ds_read2_b64 v[196:199], v208 offset0:16 offset1:17
	s_cmp_lt_i32 s20, 10
	v_mov_b32_e32 v206, 8
	s_cbranch_scc1 .LBB96_170
; %bb.168:
	v_add_u32_e32 v207, 0x90, v208
	s_mov_b32 s16, 9
	v_mov_b32_e32 v206, 8
.LBB96_169:                             ; =>This Inner Loop Header: Depth=1
	ds_read2_b64 v[212:215], v207 offset1:1
	s_waitcnt lgkmcnt(1)
	v_xor_b32_e32 v217, 0x80000000, v197
	v_xor_b32_e32 v219, 0x80000000, v199
	v_cmp_gt_f64_e32 vcc, 0, v[198:199]
	v_cmp_gt_f64_e64 s[0:1], 0, v[196:197]
	v_mov_b32_e32 v216, v196
	v_mov_b32_e32 v218, v198
	v_cndmask_b32_e64 v217, v197, v217, s[0:1]
	v_cndmask_b32_e32 v219, v199, v219, vcc
	v_add_f64 v[216:217], v[216:217], v[218:219]
	s_waitcnt lgkmcnt(0)
	v_xor_b32_e32 v219, 0x80000000, v213
	v_xor_b32_e32 v221, 0x80000000, v215
	v_cmp_gt_f64_e32 vcc, 0, v[214:215]
	v_cmp_gt_f64_e64 s[0:1], 0, v[212:213]
	v_mov_b32_e32 v218, v212
	v_mov_b32_e32 v220, v214
	v_cndmask_b32_e64 v219, v213, v219, s[0:1]
	v_cndmask_b32_e32 v221, v215, v221, vcc
	v_add_f64 v[218:219], v[218:219], v[220:221]
	v_mov_b32_e32 v222, s16
	s_add_i32 s16, s16, 1
	v_cmp_lt_f64_e32 vcc, v[216:217], v[218:219]
	v_add_u32_e32 v207, 16, v207
	s_cmp_lg_u32 s20, s16
	v_cndmask_b32_e32 v197, v197, v213, vcc
	v_cndmask_b32_e32 v196, v196, v212, vcc
	;; [unrolled: 1-line block ×5, first 2 shown]
	s_cbranch_scc1 .LBB96_169
.LBB96_170:
	s_waitcnt lgkmcnt(0)
	v_cmp_eq_f64_e32 vcc, 0, v[196:197]
	v_cmp_eq_f64_e64 s[0:1], 0, v[198:199]
	s_and_b64 s[0:1], vcc, s[0:1]
	s_and_saveexec_b64 s[16:17], s[0:1]
	s_xor_b64 s[0:1], exec, s[16:17]
; %bb.171:
	v_cmp_ne_u32_e32 vcc, 0, v210
	s_nop 1
	v_cndmask_b32_e32 v210, 9, v210, vcc
; %bb.172:
	s_andn2_saveexec_b64 s[0:1], s[0:1]
	s_cbranch_execz .LBB96_178
; %bb.173:
	v_cmp_ngt_f64_e64 s[16:17], |v[196:197]|, |v[198:199]|
	s_and_saveexec_b64 s[18:19], s[16:17]
	s_xor_b64 s[16:17], exec, s[18:19]
	s_cbranch_execz .LBB96_175
; %bb.174:
	v_div_scale_f64 v[212:213], s[18:19], v[198:199], v[198:199], v[196:197]
	v_rcp_f64_e32 v[214:215], v[212:213]
	v_div_scale_f64 v[216:217], vcc, v[196:197], v[198:199], v[196:197]
	v_fma_f64 v[218:219], -v[212:213], v[214:215], 1.0
	v_fmac_f64_e32 v[214:215], v[214:215], v[218:219]
	v_fma_f64 v[218:219], -v[212:213], v[214:215], 1.0
	v_fmac_f64_e32 v[214:215], v[214:215], v[218:219]
	v_mul_f64 v[218:219], v[216:217], v[214:215]
	v_fma_f64 v[212:213], -v[212:213], v[218:219], v[216:217]
	v_div_fmas_f64 v[212:213], v[212:213], v[214:215], v[218:219]
	v_div_fixup_f64 v[212:213], v[212:213], v[198:199], v[196:197]
	v_fmac_f64_e32 v[198:199], v[196:197], v[212:213]
	v_div_scale_f64 v[196:197], s[18:19], v[198:199], v[198:199], 1.0
	v_rcp_f64_e32 v[214:215], v[196:197]
	s_nop 0
	v_fma_f64 v[216:217], -v[196:197], v[214:215], 1.0
	v_fmac_f64_e32 v[214:215], v[214:215], v[216:217]
	v_fma_f64 v[216:217], -v[196:197], v[214:215], 1.0
	v_fmac_f64_e32 v[214:215], v[214:215], v[216:217]
	v_div_scale_f64 v[216:217], vcc, 1.0, v[198:199], 1.0
	v_mul_f64 v[218:219], v[216:217], v[214:215]
	v_fma_f64 v[196:197], -v[196:197], v[218:219], v[216:217]
	s_nop 1
	v_div_fmas_f64 v[196:197], v[196:197], v[214:215], v[218:219]
	v_div_fixup_f64 v[198:199], v[196:197], v[198:199], 1.0
	v_mul_f64 v[196:197], v[212:213], v[198:199]
	v_xor_b32_e32 v199, 0x80000000, v199
.LBB96_175:
	s_andn2_saveexec_b64 s[16:17], s[16:17]
	s_cbranch_execz .LBB96_177
; %bb.176:
	v_div_scale_f64 v[212:213], s[18:19], v[196:197], v[196:197], v[198:199]
	v_rcp_f64_e32 v[214:215], v[212:213]
	v_div_scale_f64 v[216:217], vcc, v[198:199], v[196:197], v[198:199]
	v_fma_f64 v[218:219], -v[212:213], v[214:215], 1.0
	v_fmac_f64_e32 v[214:215], v[214:215], v[218:219]
	v_fma_f64 v[218:219], -v[212:213], v[214:215], 1.0
	v_fmac_f64_e32 v[214:215], v[214:215], v[218:219]
	v_mul_f64 v[218:219], v[216:217], v[214:215]
	v_fma_f64 v[212:213], -v[212:213], v[218:219], v[216:217]
	v_div_fmas_f64 v[212:213], v[212:213], v[214:215], v[218:219]
	v_div_fixup_f64 v[212:213], v[212:213], v[196:197], v[198:199]
	v_fmac_f64_e32 v[196:197], v[198:199], v[212:213]
	v_div_scale_f64 v[198:199], s[18:19], v[196:197], v[196:197], 1.0
	v_rcp_f64_e32 v[214:215], v[198:199]
	s_nop 0
	v_fma_f64 v[216:217], -v[198:199], v[214:215], 1.0
	v_fmac_f64_e32 v[214:215], v[214:215], v[216:217]
	v_fma_f64 v[216:217], -v[198:199], v[214:215], 1.0
	v_fmac_f64_e32 v[214:215], v[214:215], v[216:217]
	v_div_scale_f64 v[216:217], vcc, 1.0, v[196:197], 1.0
	v_mul_f64 v[218:219], v[216:217], v[214:215]
	v_fma_f64 v[198:199], -v[198:199], v[218:219], v[216:217]
	s_nop 1
	v_div_fmas_f64 v[198:199], v[198:199], v[214:215], v[218:219]
	v_div_fixup_f64 v[196:197], v[198:199], v[196:197], 1.0
	v_mul_f64 v[198:199], v[212:213], -v[196:197]
.LBB96_177:
	s_or_b64 exec, exec, s[16:17]
.LBB96_178:
	s_or_b64 exec, exec, s[0:1]
	v_cmp_ne_u32_e32 vcc, v209, v206
	s_and_saveexec_b64 s[0:1], vcc
	s_xor_b64 s[0:1], exec, s[0:1]
	s_cbranch_execz .LBB96_184
; %bb.179:
	v_cmp_eq_u32_e32 vcc, 8, v209
	s_and_saveexec_b64 s[16:17], vcc
	s_cbranch_execz .LBB96_183
; %bb.180:
	v_cmp_ne_u32_e32 vcc, 8, v206
	s_xor_b64 s[18:19], s[14:15], -1
	s_and_b64 s[22:23], s[18:19], vcc
	s_and_saveexec_b64 s[18:19], s[22:23]
	s_cbranch_execz .LBB96_182
; %bb.181:
	v_ashrrev_i32_e32 v207, 31, v206
	v_lshl_add_u64 v[212:213], v[206:207], 2, v[204:205]
	global_load_dword v207, v[212:213], off
	global_load_dword v209, v[204:205], off offset:32
	s_waitcnt vmcnt(1)
	global_store_dword v[204:205], v207, off offset:32
	s_waitcnt vmcnt(1)
	global_store_dword v[212:213], v209, off
.LBB96_182:
	s_or_b64 exec, exec, s[18:19]
	v_mov_b32_e32 v209, v206
	v_mov_b32_e32 v211, v206
.LBB96_183:
	s_or_b64 exec, exec, s[16:17]
.LBB96_184:
	s_andn2_saveexec_b64 s[0:1], s[0:1]
	s_cbranch_execz .LBB96_186
; %bb.185:
	v_mov_b32_e32 v209, 8
	s_waitcnt vmcnt(39)
	ds_write2_b64 v208, v[160:161], v[162:163] offset0:18 offset1:19
	s_waitcnt vmcnt(38)
	ds_write2_b64 v208, v[156:157], v[158:159] offset0:20 offset1:21
	;; [unrolled: 2-line block ×40, first 2 shown]
.LBB96_186:
	s_or_b64 exec, exec, s[0:1]
	v_cmp_lt_i32_e32 vcc, 8, v209
	s_waitcnt lgkmcnt(0)
	s_barrier
	s_and_saveexec_b64 s[0:1], vcc
	s_cbranch_execz .LBB96_188
; %bb.187:
	ds_read2_b64 v[212:215], v208 offset0:18 offset1:19
	v_mul_f64 v[206:207], v[198:199], v[166:167]
	v_mul_f64 v[166:167], v[196:197], v[166:167]
	v_fma_f64 v[206:207], v[196:197], v[164:165], -v[206:207]
	v_fmac_f64_e32 v[166:167], v[198:199], v[164:165]
	ds_read2_b64 v[196:199], v208 offset0:20 offset1:21
	s_waitcnt lgkmcnt(1)
	v_mul_f64 v[164:165], v[214:215], v[166:167]
	v_fma_f64 v[164:165], v[212:213], v[206:207], -v[164:165]
	v_mul_f64 v[212:213], v[212:213], v[166:167]
	v_fmac_f64_e32 v[212:213], v[214:215], v[206:207]
	s_waitcnt vmcnt(39)
	v_add_f64 v[160:161], v[160:161], -v[164:165]
	s_waitcnt lgkmcnt(0)
	v_mul_f64 v[164:165], v[198:199], v[166:167]
	v_add_f64 v[162:163], v[162:163], -v[212:213]
	v_fma_f64 v[164:165], v[196:197], v[206:207], -v[164:165]
	v_mul_f64 v[196:197], v[196:197], v[166:167]
	ds_read2_b64 v[212:215], v208 offset0:22 offset1:23
	v_fmac_f64_e32 v[196:197], v[198:199], v[206:207]
	s_waitcnt vmcnt(38)
	v_add_f64 v[158:159], v[158:159], -v[196:197]
	ds_read2_b64 v[196:199], v208 offset0:24 offset1:25
	v_add_f64 v[156:157], v[156:157], -v[164:165]
	s_waitcnt lgkmcnt(1)
	v_mul_f64 v[164:165], v[214:215], v[166:167]
	v_fma_f64 v[164:165], v[212:213], v[206:207], -v[164:165]
	v_mul_f64 v[212:213], v[212:213], v[166:167]
	v_fmac_f64_e32 v[212:213], v[214:215], v[206:207]
	s_waitcnt vmcnt(37)
	v_add_f64 v[152:153], v[152:153], -v[164:165]
	s_waitcnt lgkmcnt(0)
	v_mul_f64 v[164:165], v[198:199], v[166:167]
	v_add_f64 v[154:155], v[154:155], -v[212:213]
	v_fma_f64 v[164:165], v[196:197], v[206:207], -v[164:165]
	v_mul_f64 v[196:197], v[196:197], v[166:167]
	ds_read2_b64 v[212:215], v208 offset0:26 offset1:27
	v_fmac_f64_e32 v[196:197], v[198:199], v[206:207]
	s_waitcnt vmcnt(36)
	v_add_f64 v[150:151], v[150:151], -v[196:197]
	ds_read2_b64 v[196:199], v208 offset0:28 offset1:29
	v_add_f64 v[148:149], v[148:149], -v[164:165]
	;; [unrolled: 18-line block ×19, first 2 shown]
	s_waitcnt lgkmcnt(1)
	v_mul_f64 v[164:165], v[214:215], v[166:167]
	v_fma_f64 v[164:165], v[212:213], v[206:207], -v[164:165]
	s_waitcnt vmcnt(1)
	v_add_f64 v[0:1], v[0:1], -v[164:165]
	s_waitcnt lgkmcnt(0)
	v_mul_f64 v[164:165], v[198:199], v[166:167]
	v_mul_f64 v[212:213], v[212:213], v[166:167]
	v_fma_f64 v[164:165], v[196:197], v[206:207], -v[164:165]
	v_mul_f64 v[196:197], v[196:197], v[166:167]
	v_fmac_f64_e32 v[212:213], v[214:215], v[206:207]
	v_fmac_f64_e32 v[196:197], v[198:199], v[206:207]
	v_add_f64 v[2:3], v[2:3], -v[212:213]
	s_waitcnt vmcnt(0)
	v_add_f64 v[192:193], v[192:193], -v[164:165]
	v_add_f64 v[194:195], v[194:195], -v[196:197]
	v_mov_b64_e32 v[164:165], v[206:207]
.LBB96_188:
	s_or_b64 exec, exec, s[0:1]
	v_lshl_add_u32 v196, v209, 4, v208
	s_barrier
	s_waitcnt vmcnt(39)
	ds_write2_b64 v196, v[160:161], v[162:163] offset1:1
	s_waitcnt lgkmcnt(0)
	s_barrier
	ds_read2_b64 v[196:199], v208 offset0:18 offset1:19
	s_cmp_lt_i32 s20, 11
	v_mov_b32_e32 v206, 9
	s_cbranch_scc1 .LBB96_191
; %bb.189:
	v_add_u32_e32 v207, 0xa0, v208
	s_mov_b32 s16, 10
	v_mov_b32_e32 v206, 9
.LBB96_190:                             ; =>This Inner Loop Header: Depth=1
	ds_read2_b64 v[212:215], v207 offset1:1
	s_waitcnt lgkmcnt(1)
	v_xor_b32_e32 v217, 0x80000000, v197
	v_xor_b32_e32 v219, 0x80000000, v199
	v_cmp_gt_f64_e32 vcc, 0, v[198:199]
	v_cmp_gt_f64_e64 s[0:1], 0, v[196:197]
	v_mov_b32_e32 v216, v196
	v_mov_b32_e32 v218, v198
	v_cndmask_b32_e64 v217, v197, v217, s[0:1]
	v_cndmask_b32_e32 v219, v199, v219, vcc
	v_add_f64 v[216:217], v[216:217], v[218:219]
	s_waitcnt lgkmcnt(0)
	v_xor_b32_e32 v219, 0x80000000, v213
	v_xor_b32_e32 v221, 0x80000000, v215
	v_cmp_gt_f64_e32 vcc, 0, v[214:215]
	v_cmp_gt_f64_e64 s[0:1], 0, v[212:213]
	v_mov_b32_e32 v218, v212
	v_mov_b32_e32 v220, v214
	v_cndmask_b32_e64 v219, v213, v219, s[0:1]
	v_cndmask_b32_e32 v221, v215, v221, vcc
	v_add_f64 v[218:219], v[218:219], v[220:221]
	v_mov_b32_e32 v222, s16
	s_add_i32 s16, s16, 1
	v_cmp_lt_f64_e32 vcc, v[216:217], v[218:219]
	v_add_u32_e32 v207, 16, v207
	s_cmp_lg_u32 s20, s16
	v_cndmask_b32_e32 v197, v197, v213, vcc
	v_cndmask_b32_e32 v196, v196, v212, vcc
	;; [unrolled: 1-line block ×5, first 2 shown]
	s_cbranch_scc1 .LBB96_190
.LBB96_191:
	s_waitcnt lgkmcnt(0)
	v_cmp_eq_f64_e32 vcc, 0, v[196:197]
	v_cmp_eq_f64_e64 s[0:1], 0, v[198:199]
	s_and_b64 s[0:1], vcc, s[0:1]
	s_and_saveexec_b64 s[16:17], s[0:1]
	s_xor_b64 s[0:1], exec, s[16:17]
; %bb.192:
	v_cmp_ne_u32_e32 vcc, 0, v210
	s_nop 1
	v_cndmask_b32_e32 v210, 10, v210, vcc
; %bb.193:
	s_andn2_saveexec_b64 s[0:1], s[0:1]
	s_cbranch_execz .LBB96_199
; %bb.194:
	v_cmp_ngt_f64_e64 s[16:17], |v[196:197]|, |v[198:199]|
	s_and_saveexec_b64 s[18:19], s[16:17]
	s_xor_b64 s[16:17], exec, s[18:19]
	s_cbranch_execz .LBB96_196
; %bb.195:
	v_div_scale_f64 v[212:213], s[18:19], v[198:199], v[198:199], v[196:197]
	v_rcp_f64_e32 v[214:215], v[212:213]
	v_div_scale_f64 v[216:217], vcc, v[196:197], v[198:199], v[196:197]
	v_fma_f64 v[218:219], -v[212:213], v[214:215], 1.0
	v_fmac_f64_e32 v[214:215], v[214:215], v[218:219]
	v_fma_f64 v[218:219], -v[212:213], v[214:215], 1.0
	v_fmac_f64_e32 v[214:215], v[214:215], v[218:219]
	v_mul_f64 v[218:219], v[216:217], v[214:215]
	v_fma_f64 v[212:213], -v[212:213], v[218:219], v[216:217]
	v_div_fmas_f64 v[212:213], v[212:213], v[214:215], v[218:219]
	v_div_fixup_f64 v[212:213], v[212:213], v[198:199], v[196:197]
	v_fmac_f64_e32 v[198:199], v[196:197], v[212:213]
	v_div_scale_f64 v[196:197], s[18:19], v[198:199], v[198:199], 1.0
	v_rcp_f64_e32 v[214:215], v[196:197]
	s_nop 0
	v_fma_f64 v[216:217], -v[196:197], v[214:215], 1.0
	v_fmac_f64_e32 v[214:215], v[214:215], v[216:217]
	v_fma_f64 v[216:217], -v[196:197], v[214:215], 1.0
	v_fmac_f64_e32 v[214:215], v[214:215], v[216:217]
	v_div_scale_f64 v[216:217], vcc, 1.0, v[198:199], 1.0
	v_mul_f64 v[218:219], v[216:217], v[214:215]
	v_fma_f64 v[196:197], -v[196:197], v[218:219], v[216:217]
	s_nop 1
	v_div_fmas_f64 v[196:197], v[196:197], v[214:215], v[218:219]
	v_div_fixup_f64 v[198:199], v[196:197], v[198:199], 1.0
	v_mul_f64 v[196:197], v[212:213], v[198:199]
	v_xor_b32_e32 v199, 0x80000000, v199
.LBB96_196:
	s_andn2_saveexec_b64 s[16:17], s[16:17]
	s_cbranch_execz .LBB96_198
; %bb.197:
	v_div_scale_f64 v[212:213], s[18:19], v[196:197], v[196:197], v[198:199]
	v_rcp_f64_e32 v[214:215], v[212:213]
	v_div_scale_f64 v[216:217], vcc, v[198:199], v[196:197], v[198:199]
	v_fma_f64 v[218:219], -v[212:213], v[214:215], 1.0
	v_fmac_f64_e32 v[214:215], v[214:215], v[218:219]
	v_fma_f64 v[218:219], -v[212:213], v[214:215], 1.0
	v_fmac_f64_e32 v[214:215], v[214:215], v[218:219]
	v_mul_f64 v[218:219], v[216:217], v[214:215]
	v_fma_f64 v[212:213], -v[212:213], v[218:219], v[216:217]
	v_div_fmas_f64 v[212:213], v[212:213], v[214:215], v[218:219]
	v_div_fixup_f64 v[212:213], v[212:213], v[196:197], v[198:199]
	v_fmac_f64_e32 v[196:197], v[198:199], v[212:213]
	v_div_scale_f64 v[198:199], s[18:19], v[196:197], v[196:197], 1.0
	v_rcp_f64_e32 v[214:215], v[198:199]
	s_nop 0
	v_fma_f64 v[216:217], -v[198:199], v[214:215], 1.0
	v_fmac_f64_e32 v[214:215], v[214:215], v[216:217]
	v_fma_f64 v[216:217], -v[198:199], v[214:215], 1.0
	v_fmac_f64_e32 v[214:215], v[214:215], v[216:217]
	v_div_scale_f64 v[216:217], vcc, 1.0, v[196:197], 1.0
	v_mul_f64 v[218:219], v[216:217], v[214:215]
	v_fma_f64 v[198:199], -v[198:199], v[218:219], v[216:217]
	s_nop 1
	v_div_fmas_f64 v[198:199], v[198:199], v[214:215], v[218:219]
	v_div_fixup_f64 v[196:197], v[198:199], v[196:197], 1.0
	v_mul_f64 v[198:199], v[212:213], -v[196:197]
.LBB96_198:
	s_or_b64 exec, exec, s[16:17]
.LBB96_199:
	s_or_b64 exec, exec, s[0:1]
	v_cmp_ne_u32_e32 vcc, v209, v206
	s_and_saveexec_b64 s[0:1], vcc
	s_xor_b64 s[0:1], exec, s[0:1]
	s_cbranch_execz .LBB96_205
; %bb.200:
	v_cmp_eq_u32_e32 vcc, 9, v209
	s_and_saveexec_b64 s[16:17], vcc
	s_cbranch_execz .LBB96_204
; %bb.201:
	v_cmp_ne_u32_e32 vcc, 9, v206
	s_xor_b64 s[18:19], s[14:15], -1
	s_and_b64 s[22:23], s[18:19], vcc
	s_and_saveexec_b64 s[18:19], s[22:23]
	s_cbranch_execz .LBB96_203
; %bb.202:
	v_ashrrev_i32_e32 v207, 31, v206
	v_lshl_add_u64 v[212:213], v[206:207], 2, v[204:205]
	global_load_dword v207, v[212:213], off
	global_load_dword v209, v[204:205], off offset:36
	s_waitcnt vmcnt(1)
	global_store_dword v[204:205], v207, off offset:36
	s_waitcnt vmcnt(1)
	global_store_dword v[212:213], v209, off
.LBB96_203:
	s_or_b64 exec, exec, s[18:19]
	v_mov_b32_e32 v209, v206
	v_mov_b32_e32 v211, v206
.LBB96_204:
	s_or_b64 exec, exec, s[16:17]
.LBB96_205:
	s_andn2_saveexec_b64 s[0:1], s[0:1]
	s_cbranch_execz .LBB96_207
; %bb.206:
	v_mov_b32_e32 v209, 9
	s_waitcnt vmcnt(38)
	ds_write2_b64 v208, v[156:157], v[158:159] offset0:20 offset1:21
	s_waitcnt vmcnt(37)
	ds_write2_b64 v208, v[152:153], v[154:155] offset0:22 offset1:23
	;; [unrolled: 2-line block ×39, first 2 shown]
.LBB96_207:
	s_or_b64 exec, exec, s[0:1]
	v_cmp_lt_i32_e32 vcc, 9, v209
	s_waitcnt lgkmcnt(0)
	s_barrier
	s_and_saveexec_b64 s[0:1], vcc
	s_cbranch_execz .LBB96_209
; %bb.208:
	ds_read2_b64 v[212:215], v208 offset0:20 offset1:21
	v_mul_f64 v[206:207], v[198:199], v[162:163]
	v_mul_f64 v[162:163], v[196:197], v[162:163]
	v_fmac_f64_e32 v[162:163], v[198:199], v[160:161]
	v_fma_f64 v[206:207], v[196:197], v[160:161], -v[206:207]
	ds_read2_b64 v[196:199], v208 offset0:22 offset1:23
	s_waitcnt lgkmcnt(1)
	v_mul_f64 v[160:161], v[214:215], v[162:163]
	v_fma_f64 v[160:161], v[212:213], v[206:207], -v[160:161]
	v_mul_f64 v[212:213], v[212:213], v[162:163]
	v_fmac_f64_e32 v[212:213], v[214:215], v[206:207]
	s_waitcnt vmcnt(38)
	v_add_f64 v[158:159], v[158:159], -v[212:213]
	ds_read2_b64 v[212:215], v208 offset0:24 offset1:25
	v_add_f64 v[156:157], v[156:157], -v[160:161]
	s_waitcnt lgkmcnt(1)
	v_mul_f64 v[160:161], v[198:199], v[162:163]
	v_fma_f64 v[160:161], v[196:197], v[206:207], -v[160:161]
	v_mul_f64 v[196:197], v[196:197], v[162:163]
	v_fmac_f64_e32 v[196:197], v[198:199], v[206:207]
	s_waitcnt vmcnt(37)
	v_add_f64 v[152:153], v[152:153], -v[160:161]
	v_add_f64 v[154:155], v[154:155], -v[196:197]
	ds_read2_b64 v[196:199], v208 offset0:26 offset1:27
	s_waitcnt lgkmcnt(1)
	v_mul_f64 v[160:161], v[214:215], v[162:163]
	v_fma_f64 v[160:161], v[212:213], v[206:207], -v[160:161]
	v_mul_f64 v[212:213], v[212:213], v[162:163]
	v_fmac_f64_e32 v[212:213], v[214:215], v[206:207]
	s_waitcnt vmcnt(36)
	v_add_f64 v[150:151], v[150:151], -v[212:213]
	ds_read2_b64 v[212:215], v208 offset0:28 offset1:29
	v_add_f64 v[148:149], v[148:149], -v[160:161]
	s_waitcnt lgkmcnt(1)
	v_mul_f64 v[160:161], v[198:199], v[162:163]
	v_fma_f64 v[160:161], v[196:197], v[206:207], -v[160:161]
	v_mul_f64 v[196:197], v[196:197], v[162:163]
	v_fmac_f64_e32 v[196:197], v[198:199], v[206:207]
	s_waitcnt vmcnt(35)
	v_add_f64 v[144:145], v[144:145], -v[160:161]
	v_add_f64 v[146:147], v[146:147], -v[196:197]
	;; [unrolled: 18-line block ×19, first 2 shown]
	s_waitcnt lgkmcnt(0)
	v_mul_f64 v[160:161], v[214:215], v[162:163]
	v_mul_f64 v[196:197], v[212:213], v[162:163]
	v_fma_f64 v[160:161], v[212:213], v[206:207], -v[160:161]
	v_fmac_f64_e32 v[196:197], v[214:215], v[206:207]
	s_waitcnt vmcnt(0)
	v_add_f64 v[192:193], v[192:193], -v[160:161]
	v_add_f64 v[194:195], v[194:195], -v[196:197]
	v_mov_b64_e32 v[160:161], v[206:207]
.LBB96_209:
	s_or_b64 exec, exec, s[0:1]
	v_lshl_add_u32 v196, v209, 4, v208
	s_barrier
	s_waitcnt vmcnt(38)
	ds_write2_b64 v196, v[156:157], v[158:159] offset1:1
	s_waitcnt lgkmcnt(0)
	s_barrier
	ds_read2_b64 v[196:199], v208 offset0:20 offset1:21
	s_cmp_lt_i32 s20, 12
	v_mov_b32_e32 v206, 10
	s_cbranch_scc1 .LBB96_212
; %bb.210:
	v_add_u32_e32 v207, 0xb0, v208
	s_mov_b32 s16, 11
	v_mov_b32_e32 v206, 10
.LBB96_211:                             ; =>This Inner Loop Header: Depth=1
	ds_read2_b64 v[212:215], v207 offset1:1
	s_waitcnt lgkmcnt(1)
	v_xor_b32_e32 v217, 0x80000000, v197
	v_xor_b32_e32 v219, 0x80000000, v199
	v_cmp_gt_f64_e32 vcc, 0, v[198:199]
	v_cmp_gt_f64_e64 s[0:1], 0, v[196:197]
	v_mov_b32_e32 v216, v196
	v_mov_b32_e32 v218, v198
	v_cndmask_b32_e64 v217, v197, v217, s[0:1]
	v_cndmask_b32_e32 v219, v199, v219, vcc
	v_add_f64 v[216:217], v[216:217], v[218:219]
	s_waitcnt lgkmcnt(0)
	v_xor_b32_e32 v219, 0x80000000, v213
	v_xor_b32_e32 v221, 0x80000000, v215
	v_cmp_gt_f64_e32 vcc, 0, v[214:215]
	v_cmp_gt_f64_e64 s[0:1], 0, v[212:213]
	v_mov_b32_e32 v218, v212
	v_mov_b32_e32 v220, v214
	v_cndmask_b32_e64 v219, v213, v219, s[0:1]
	v_cndmask_b32_e32 v221, v215, v221, vcc
	v_add_f64 v[218:219], v[218:219], v[220:221]
	v_mov_b32_e32 v222, s16
	s_add_i32 s16, s16, 1
	v_cmp_lt_f64_e32 vcc, v[216:217], v[218:219]
	v_add_u32_e32 v207, 16, v207
	s_cmp_lg_u32 s20, s16
	v_cndmask_b32_e32 v197, v197, v213, vcc
	v_cndmask_b32_e32 v196, v196, v212, vcc
	;; [unrolled: 1-line block ×5, first 2 shown]
	s_cbranch_scc1 .LBB96_211
.LBB96_212:
	s_waitcnt lgkmcnt(0)
	v_cmp_eq_f64_e32 vcc, 0, v[196:197]
	v_cmp_eq_f64_e64 s[0:1], 0, v[198:199]
	s_and_b64 s[0:1], vcc, s[0:1]
	s_and_saveexec_b64 s[16:17], s[0:1]
	s_xor_b64 s[0:1], exec, s[16:17]
; %bb.213:
	v_cmp_ne_u32_e32 vcc, 0, v210
	s_nop 1
	v_cndmask_b32_e32 v210, 11, v210, vcc
; %bb.214:
	s_andn2_saveexec_b64 s[0:1], s[0:1]
	s_cbranch_execz .LBB96_220
; %bb.215:
	v_cmp_ngt_f64_e64 s[16:17], |v[196:197]|, |v[198:199]|
	s_and_saveexec_b64 s[18:19], s[16:17]
	s_xor_b64 s[16:17], exec, s[18:19]
	s_cbranch_execz .LBB96_217
; %bb.216:
	v_div_scale_f64 v[212:213], s[18:19], v[198:199], v[198:199], v[196:197]
	v_rcp_f64_e32 v[214:215], v[212:213]
	v_div_scale_f64 v[216:217], vcc, v[196:197], v[198:199], v[196:197]
	v_fma_f64 v[218:219], -v[212:213], v[214:215], 1.0
	v_fmac_f64_e32 v[214:215], v[214:215], v[218:219]
	v_fma_f64 v[218:219], -v[212:213], v[214:215], 1.0
	v_fmac_f64_e32 v[214:215], v[214:215], v[218:219]
	v_mul_f64 v[218:219], v[216:217], v[214:215]
	v_fma_f64 v[212:213], -v[212:213], v[218:219], v[216:217]
	v_div_fmas_f64 v[212:213], v[212:213], v[214:215], v[218:219]
	v_div_fixup_f64 v[212:213], v[212:213], v[198:199], v[196:197]
	v_fmac_f64_e32 v[198:199], v[196:197], v[212:213]
	v_div_scale_f64 v[196:197], s[18:19], v[198:199], v[198:199], 1.0
	v_rcp_f64_e32 v[214:215], v[196:197]
	s_nop 0
	v_fma_f64 v[216:217], -v[196:197], v[214:215], 1.0
	v_fmac_f64_e32 v[214:215], v[214:215], v[216:217]
	v_fma_f64 v[216:217], -v[196:197], v[214:215], 1.0
	v_fmac_f64_e32 v[214:215], v[214:215], v[216:217]
	v_div_scale_f64 v[216:217], vcc, 1.0, v[198:199], 1.0
	v_mul_f64 v[218:219], v[216:217], v[214:215]
	v_fma_f64 v[196:197], -v[196:197], v[218:219], v[216:217]
	s_nop 1
	v_div_fmas_f64 v[196:197], v[196:197], v[214:215], v[218:219]
	v_div_fixup_f64 v[198:199], v[196:197], v[198:199], 1.0
	v_mul_f64 v[196:197], v[212:213], v[198:199]
	v_xor_b32_e32 v199, 0x80000000, v199
.LBB96_217:
	s_andn2_saveexec_b64 s[16:17], s[16:17]
	s_cbranch_execz .LBB96_219
; %bb.218:
	v_div_scale_f64 v[212:213], s[18:19], v[196:197], v[196:197], v[198:199]
	v_rcp_f64_e32 v[214:215], v[212:213]
	v_div_scale_f64 v[216:217], vcc, v[198:199], v[196:197], v[198:199]
	v_fma_f64 v[218:219], -v[212:213], v[214:215], 1.0
	v_fmac_f64_e32 v[214:215], v[214:215], v[218:219]
	v_fma_f64 v[218:219], -v[212:213], v[214:215], 1.0
	v_fmac_f64_e32 v[214:215], v[214:215], v[218:219]
	v_mul_f64 v[218:219], v[216:217], v[214:215]
	v_fma_f64 v[212:213], -v[212:213], v[218:219], v[216:217]
	v_div_fmas_f64 v[212:213], v[212:213], v[214:215], v[218:219]
	v_div_fixup_f64 v[212:213], v[212:213], v[196:197], v[198:199]
	v_fmac_f64_e32 v[196:197], v[198:199], v[212:213]
	v_div_scale_f64 v[198:199], s[18:19], v[196:197], v[196:197], 1.0
	v_rcp_f64_e32 v[214:215], v[198:199]
	s_nop 0
	v_fma_f64 v[216:217], -v[198:199], v[214:215], 1.0
	v_fmac_f64_e32 v[214:215], v[214:215], v[216:217]
	v_fma_f64 v[216:217], -v[198:199], v[214:215], 1.0
	v_fmac_f64_e32 v[214:215], v[214:215], v[216:217]
	v_div_scale_f64 v[216:217], vcc, 1.0, v[196:197], 1.0
	v_mul_f64 v[218:219], v[216:217], v[214:215]
	v_fma_f64 v[198:199], -v[198:199], v[218:219], v[216:217]
	s_nop 1
	v_div_fmas_f64 v[198:199], v[198:199], v[214:215], v[218:219]
	v_div_fixup_f64 v[196:197], v[198:199], v[196:197], 1.0
	v_mul_f64 v[198:199], v[212:213], -v[196:197]
.LBB96_219:
	s_or_b64 exec, exec, s[16:17]
.LBB96_220:
	s_or_b64 exec, exec, s[0:1]
	v_cmp_ne_u32_e32 vcc, v209, v206
	s_and_saveexec_b64 s[0:1], vcc
	s_xor_b64 s[0:1], exec, s[0:1]
	s_cbranch_execz .LBB96_226
; %bb.221:
	v_cmp_eq_u32_e32 vcc, 10, v209
	s_and_saveexec_b64 s[16:17], vcc
	s_cbranch_execz .LBB96_225
; %bb.222:
	v_cmp_ne_u32_e32 vcc, 10, v206
	s_xor_b64 s[18:19], s[14:15], -1
	s_and_b64 s[22:23], s[18:19], vcc
	s_and_saveexec_b64 s[18:19], s[22:23]
	s_cbranch_execz .LBB96_224
; %bb.223:
	v_ashrrev_i32_e32 v207, 31, v206
	v_lshl_add_u64 v[212:213], v[206:207], 2, v[204:205]
	global_load_dword v207, v[212:213], off
	global_load_dword v209, v[204:205], off offset:40
	s_waitcnt vmcnt(1)
	global_store_dword v[204:205], v207, off offset:40
	s_waitcnt vmcnt(1)
	global_store_dword v[212:213], v209, off
.LBB96_224:
	s_or_b64 exec, exec, s[18:19]
	v_mov_b32_e32 v209, v206
	v_mov_b32_e32 v211, v206
.LBB96_225:
	s_or_b64 exec, exec, s[16:17]
.LBB96_226:
	s_andn2_saveexec_b64 s[0:1], s[0:1]
	s_cbranch_execz .LBB96_228
; %bb.227:
	v_mov_b32_e32 v209, 10
	s_waitcnt vmcnt(37)
	ds_write2_b64 v208, v[152:153], v[154:155] offset0:22 offset1:23
	s_waitcnt vmcnt(36)
	ds_write2_b64 v208, v[148:149], v[150:151] offset0:24 offset1:25
	;; [unrolled: 2-line block ×38, first 2 shown]
.LBB96_228:
	s_or_b64 exec, exec, s[0:1]
	v_cmp_lt_i32_e32 vcc, 10, v209
	s_waitcnt lgkmcnt(0)
	s_barrier
	s_and_saveexec_b64 s[0:1], vcc
	s_cbranch_execz .LBB96_230
; %bb.229:
	ds_read2_b64 v[212:215], v208 offset0:22 offset1:23
	v_mul_f64 v[206:207], v[198:199], v[158:159]
	v_mul_f64 v[158:159], v[196:197], v[158:159]
	v_fma_f64 v[206:207], v[196:197], v[156:157], -v[206:207]
	v_fmac_f64_e32 v[158:159], v[198:199], v[156:157]
	ds_read2_b64 v[196:199], v208 offset0:24 offset1:25
	s_waitcnt lgkmcnt(1)
	v_mul_f64 v[156:157], v[214:215], v[158:159]
	v_fma_f64 v[156:157], v[212:213], v[206:207], -v[156:157]
	v_mul_f64 v[212:213], v[212:213], v[158:159]
	v_fmac_f64_e32 v[212:213], v[214:215], v[206:207]
	s_waitcnt vmcnt(37)
	v_add_f64 v[152:153], v[152:153], -v[156:157]
	s_waitcnt lgkmcnt(0)
	v_mul_f64 v[156:157], v[198:199], v[158:159]
	v_add_f64 v[154:155], v[154:155], -v[212:213]
	v_fma_f64 v[156:157], v[196:197], v[206:207], -v[156:157]
	v_mul_f64 v[196:197], v[196:197], v[158:159]
	ds_read2_b64 v[212:215], v208 offset0:26 offset1:27
	v_fmac_f64_e32 v[196:197], v[198:199], v[206:207]
	s_waitcnt vmcnt(36)
	v_add_f64 v[150:151], v[150:151], -v[196:197]
	ds_read2_b64 v[196:199], v208 offset0:28 offset1:29
	v_add_f64 v[148:149], v[148:149], -v[156:157]
	s_waitcnt lgkmcnt(1)
	v_mul_f64 v[156:157], v[214:215], v[158:159]
	v_fma_f64 v[156:157], v[212:213], v[206:207], -v[156:157]
	v_mul_f64 v[212:213], v[212:213], v[158:159]
	v_fmac_f64_e32 v[212:213], v[214:215], v[206:207]
	s_waitcnt vmcnt(35)
	v_add_f64 v[144:145], v[144:145], -v[156:157]
	s_waitcnt lgkmcnt(0)
	v_mul_f64 v[156:157], v[198:199], v[158:159]
	v_add_f64 v[146:147], v[146:147], -v[212:213]
	v_fma_f64 v[156:157], v[196:197], v[206:207], -v[156:157]
	v_mul_f64 v[196:197], v[196:197], v[158:159]
	ds_read2_b64 v[212:215], v208 offset0:30 offset1:31
	v_fmac_f64_e32 v[196:197], v[198:199], v[206:207]
	s_waitcnt vmcnt(34)
	v_add_f64 v[142:143], v[142:143], -v[196:197]
	ds_read2_b64 v[196:199], v208 offset0:32 offset1:33
	v_add_f64 v[140:141], v[140:141], -v[156:157]
	;; [unrolled: 18-line block ×18, first 2 shown]
	s_waitcnt lgkmcnt(1)
	v_mul_f64 v[156:157], v[214:215], v[158:159]
	v_fma_f64 v[156:157], v[212:213], v[206:207], -v[156:157]
	s_waitcnt vmcnt(1)
	v_add_f64 v[0:1], v[0:1], -v[156:157]
	s_waitcnt lgkmcnt(0)
	v_mul_f64 v[156:157], v[198:199], v[158:159]
	v_mul_f64 v[212:213], v[212:213], v[158:159]
	v_fma_f64 v[156:157], v[196:197], v[206:207], -v[156:157]
	v_mul_f64 v[196:197], v[196:197], v[158:159]
	v_fmac_f64_e32 v[212:213], v[214:215], v[206:207]
	v_fmac_f64_e32 v[196:197], v[198:199], v[206:207]
	v_add_f64 v[2:3], v[2:3], -v[212:213]
	s_waitcnt vmcnt(0)
	v_add_f64 v[192:193], v[192:193], -v[156:157]
	v_add_f64 v[194:195], v[194:195], -v[196:197]
	v_mov_b64_e32 v[156:157], v[206:207]
.LBB96_230:
	s_or_b64 exec, exec, s[0:1]
	v_lshl_add_u32 v196, v209, 4, v208
	s_barrier
	s_waitcnt vmcnt(37)
	ds_write2_b64 v196, v[152:153], v[154:155] offset1:1
	s_waitcnt lgkmcnt(0)
	s_barrier
	ds_read2_b64 v[196:199], v208 offset0:22 offset1:23
	s_cmp_lt_i32 s20, 13
	v_mov_b32_e32 v206, 11
	s_cbranch_scc1 .LBB96_233
; %bb.231:
	v_add_u32_e32 v207, 0xc0, v208
	s_mov_b32 s16, 12
	v_mov_b32_e32 v206, 11
.LBB96_232:                             ; =>This Inner Loop Header: Depth=1
	ds_read2_b64 v[212:215], v207 offset1:1
	s_waitcnt lgkmcnt(1)
	v_xor_b32_e32 v217, 0x80000000, v197
	v_xor_b32_e32 v219, 0x80000000, v199
	v_cmp_gt_f64_e32 vcc, 0, v[198:199]
	v_cmp_gt_f64_e64 s[0:1], 0, v[196:197]
	v_mov_b32_e32 v216, v196
	v_mov_b32_e32 v218, v198
	v_cndmask_b32_e64 v217, v197, v217, s[0:1]
	v_cndmask_b32_e32 v219, v199, v219, vcc
	v_add_f64 v[216:217], v[216:217], v[218:219]
	s_waitcnt lgkmcnt(0)
	v_xor_b32_e32 v219, 0x80000000, v213
	v_xor_b32_e32 v221, 0x80000000, v215
	v_cmp_gt_f64_e32 vcc, 0, v[214:215]
	v_cmp_gt_f64_e64 s[0:1], 0, v[212:213]
	v_mov_b32_e32 v218, v212
	v_mov_b32_e32 v220, v214
	v_cndmask_b32_e64 v219, v213, v219, s[0:1]
	v_cndmask_b32_e32 v221, v215, v221, vcc
	v_add_f64 v[218:219], v[218:219], v[220:221]
	v_mov_b32_e32 v222, s16
	s_add_i32 s16, s16, 1
	v_cmp_lt_f64_e32 vcc, v[216:217], v[218:219]
	v_add_u32_e32 v207, 16, v207
	s_cmp_lg_u32 s20, s16
	v_cndmask_b32_e32 v197, v197, v213, vcc
	v_cndmask_b32_e32 v196, v196, v212, vcc
	;; [unrolled: 1-line block ×5, first 2 shown]
	s_cbranch_scc1 .LBB96_232
.LBB96_233:
	s_waitcnt lgkmcnt(0)
	v_cmp_eq_f64_e32 vcc, 0, v[196:197]
	v_cmp_eq_f64_e64 s[0:1], 0, v[198:199]
	s_and_b64 s[0:1], vcc, s[0:1]
	s_and_saveexec_b64 s[16:17], s[0:1]
	s_xor_b64 s[0:1], exec, s[16:17]
; %bb.234:
	v_cmp_ne_u32_e32 vcc, 0, v210
	s_nop 1
	v_cndmask_b32_e32 v210, 12, v210, vcc
; %bb.235:
	s_andn2_saveexec_b64 s[0:1], s[0:1]
	s_cbranch_execz .LBB96_241
; %bb.236:
	v_cmp_ngt_f64_e64 s[16:17], |v[196:197]|, |v[198:199]|
	s_and_saveexec_b64 s[18:19], s[16:17]
	s_xor_b64 s[16:17], exec, s[18:19]
	s_cbranch_execz .LBB96_238
; %bb.237:
	v_div_scale_f64 v[212:213], s[18:19], v[198:199], v[198:199], v[196:197]
	v_rcp_f64_e32 v[214:215], v[212:213]
	v_div_scale_f64 v[216:217], vcc, v[196:197], v[198:199], v[196:197]
	v_fma_f64 v[218:219], -v[212:213], v[214:215], 1.0
	v_fmac_f64_e32 v[214:215], v[214:215], v[218:219]
	v_fma_f64 v[218:219], -v[212:213], v[214:215], 1.0
	v_fmac_f64_e32 v[214:215], v[214:215], v[218:219]
	v_mul_f64 v[218:219], v[216:217], v[214:215]
	v_fma_f64 v[212:213], -v[212:213], v[218:219], v[216:217]
	v_div_fmas_f64 v[212:213], v[212:213], v[214:215], v[218:219]
	v_div_fixup_f64 v[212:213], v[212:213], v[198:199], v[196:197]
	v_fmac_f64_e32 v[198:199], v[196:197], v[212:213]
	v_div_scale_f64 v[196:197], s[18:19], v[198:199], v[198:199], 1.0
	v_rcp_f64_e32 v[214:215], v[196:197]
	s_nop 0
	v_fma_f64 v[216:217], -v[196:197], v[214:215], 1.0
	v_fmac_f64_e32 v[214:215], v[214:215], v[216:217]
	v_fma_f64 v[216:217], -v[196:197], v[214:215], 1.0
	v_fmac_f64_e32 v[214:215], v[214:215], v[216:217]
	v_div_scale_f64 v[216:217], vcc, 1.0, v[198:199], 1.0
	v_mul_f64 v[218:219], v[216:217], v[214:215]
	v_fma_f64 v[196:197], -v[196:197], v[218:219], v[216:217]
	s_nop 1
	v_div_fmas_f64 v[196:197], v[196:197], v[214:215], v[218:219]
	v_div_fixup_f64 v[198:199], v[196:197], v[198:199], 1.0
	v_mul_f64 v[196:197], v[212:213], v[198:199]
	v_xor_b32_e32 v199, 0x80000000, v199
.LBB96_238:
	s_andn2_saveexec_b64 s[16:17], s[16:17]
	s_cbranch_execz .LBB96_240
; %bb.239:
	v_div_scale_f64 v[212:213], s[18:19], v[196:197], v[196:197], v[198:199]
	v_rcp_f64_e32 v[214:215], v[212:213]
	v_div_scale_f64 v[216:217], vcc, v[198:199], v[196:197], v[198:199]
	v_fma_f64 v[218:219], -v[212:213], v[214:215], 1.0
	v_fmac_f64_e32 v[214:215], v[214:215], v[218:219]
	v_fma_f64 v[218:219], -v[212:213], v[214:215], 1.0
	v_fmac_f64_e32 v[214:215], v[214:215], v[218:219]
	v_mul_f64 v[218:219], v[216:217], v[214:215]
	v_fma_f64 v[212:213], -v[212:213], v[218:219], v[216:217]
	v_div_fmas_f64 v[212:213], v[212:213], v[214:215], v[218:219]
	v_div_fixup_f64 v[212:213], v[212:213], v[196:197], v[198:199]
	v_fmac_f64_e32 v[196:197], v[198:199], v[212:213]
	v_div_scale_f64 v[198:199], s[18:19], v[196:197], v[196:197], 1.0
	v_rcp_f64_e32 v[214:215], v[198:199]
	s_nop 0
	v_fma_f64 v[216:217], -v[198:199], v[214:215], 1.0
	v_fmac_f64_e32 v[214:215], v[214:215], v[216:217]
	v_fma_f64 v[216:217], -v[198:199], v[214:215], 1.0
	v_fmac_f64_e32 v[214:215], v[214:215], v[216:217]
	v_div_scale_f64 v[216:217], vcc, 1.0, v[196:197], 1.0
	v_mul_f64 v[218:219], v[216:217], v[214:215]
	v_fma_f64 v[198:199], -v[198:199], v[218:219], v[216:217]
	s_nop 1
	v_div_fmas_f64 v[198:199], v[198:199], v[214:215], v[218:219]
	v_div_fixup_f64 v[196:197], v[198:199], v[196:197], 1.0
	v_mul_f64 v[198:199], v[212:213], -v[196:197]
.LBB96_240:
	s_or_b64 exec, exec, s[16:17]
.LBB96_241:
	s_or_b64 exec, exec, s[0:1]
	v_cmp_ne_u32_e32 vcc, v209, v206
	s_and_saveexec_b64 s[0:1], vcc
	s_xor_b64 s[0:1], exec, s[0:1]
	s_cbranch_execz .LBB96_247
; %bb.242:
	v_cmp_eq_u32_e32 vcc, 11, v209
	s_and_saveexec_b64 s[16:17], vcc
	s_cbranch_execz .LBB96_246
; %bb.243:
	v_cmp_ne_u32_e32 vcc, 11, v206
	s_xor_b64 s[18:19], s[14:15], -1
	s_and_b64 s[22:23], s[18:19], vcc
	s_and_saveexec_b64 s[18:19], s[22:23]
	s_cbranch_execz .LBB96_245
; %bb.244:
	v_ashrrev_i32_e32 v207, 31, v206
	v_lshl_add_u64 v[212:213], v[206:207], 2, v[204:205]
	global_load_dword v207, v[212:213], off
	global_load_dword v209, v[204:205], off offset:44
	s_waitcnt vmcnt(1)
	global_store_dword v[204:205], v207, off offset:44
	s_waitcnt vmcnt(1)
	global_store_dword v[212:213], v209, off
.LBB96_245:
	s_or_b64 exec, exec, s[18:19]
	v_mov_b32_e32 v209, v206
	v_mov_b32_e32 v211, v206
.LBB96_246:
	s_or_b64 exec, exec, s[16:17]
.LBB96_247:
	s_andn2_saveexec_b64 s[0:1], s[0:1]
	s_cbranch_execz .LBB96_249
; %bb.248:
	v_mov_b32_e32 v209, 11
	s_waitcnt vmcnt(36)
	ds_write2_b64 v208, v[148:149], v[150:151] offset0:24 offset1:25
	s_waitcnt vmcnt(35)
	ds_write2_b64 v208, v[144:145], v[146:147] offset0:26 offset1:27
	;; [unrolled: 2-line block ×37, first 2 shown]
.LBB96_249:
	s_or_b64 exec, exec, s[0:1]
	v_cmp_lt_i32_e32 vcc, 11, v209
	s_waitcnt lgkmcnt(0)
	s_barrier
	s_and_saveexec_b64 s[0:1], vcc
	s_cbranch_execz .LBB96_251
; %bb.250:
	ds_read2_b64 v[212:215], v208 offset0:24 offset1:25
	v_mul_f64 v[206:207], v[198:199], v[154:155]
	v_mul_f64 v[154:155], v[196:197], v[154:155]
	v_fmac_f64_e32 v[154:155], v[198:199], v[152:153]
	v_fma_f64 v[206:207], v[196:197], v[152:153], -v[206:207]
	ds_read2_b64 v[196:199], v208 offset0:26 offset1:27
	s_waitcnt lgkmcnt(1)
	v_mul_f64 v[152:153], v[214:215], v[154:155]
	v_fma_f64 v[152:153], v[212:213], v[206:207], -v[152:153]
	v_mul_f64 v[212:213], v[212:213], v[154:155]
	v_fmac_f64_e32 v[212:213], v[214:215], v[206:207]
	s_waitcnt vmcnt(36)
	v_add_f64 v[150:151], v[150:151], -v[212:213]
	ds_read2_b64 v[212:215], v208 offset0:28 offset1:29
	v_add_f64 v[148:149], v[148:149], -v[152:153]
	s_waitcnt lgkmcnt(1)
	v_mul_f64 v[152:153], v[198:199], v[154:155]
	v_fma_f64 v[152:153], v[196:197], v[206:207], -v[152:153]
	v_mul_f64 v[196:197], v[196:197], v[154:155]
	v_fmac_f64_e32 v[196:197], v[198:199], v[206:207]
	s_waitcnt vmcnt(35)
	v_add_f64 v[144:145], v[144:145], -v[152:153]
	v_add_f64 v[146:147], v[146:147], -v[196:197]
	ds_read2_b64 v[196:199], v208 offset0:30 offset1:31
	s_waitcnt lgkmcnt(1)
	v_mul_f64 v[152:153], v[214:215], v[154:155]
	v_fma_f64 v[152:153], v[212:213], v[206:207], -v[152:153]
	v_mul_f64 v[212:213], v[212:213], v[154:155]
	v_fmac_f64_e32 v[212:213], v[214:215], v[206:207]
	s_waitcnt vmcnt(34)
	v_add_f64 v[142:143], v[142:143], -v[212:213]
	ds_read2_b64 v[212:215], v208 offset0:32 offset1:33
	v_add_f64 v[140:141], v[140:141], -v[152:153]
	s_waitcnt lgkmcnt(1)
	v_mul_f64 v[152:153], v[198:199], v[154:155]
	v_fma_f64 v[152:153], v[196:197], v[206:207], -v[152:153]
	v_mul_f64 v[196:197], v[196:197], v[154:155]
	v_fmac_f64_e32 v[196:197], v[198:199], v[206:207]
	s_waitcnt vmcnt(33)
	v_add_f64 v[136:137], v[136:137], -v[152:153]
	v_add_f64 v[138:139], v[138:139], -v[196:197]
	;; [unrolled: 18-line block ×18, first 2 shown]
	s_waitcnt lgkmcnt(0)
	v_mul_f64 v[152:153], v[214:215], v[154:155]
	v_mul_f64 v[196:197], v[212:213], v[154:155]
	v_fma_f64 v[152:153], v[212:213], v[206:207], -v[152:153]
	v_fmac_f64_e32 v[196:197], v[214:215], v[206:207]
	s_waitcnt vmcnt(0)
	v_add_f64 v[192:193], v[192:193], -v[152:153]
	v_add_f64 v[194:195], v[194:195], -v[196:197]
	v_mov_b64_e32 v[152:153], v[206:207]
.LBB96_251:
	s_or_b64 exec, exec, s[0:1]
	v_lshl_add_u32 v196, v209, 4, v208
	s_barrier
	s_waitcnt vmcnt(36)
	ds_write2_b64 v196, v[148:149], v[150:151] offset1:1
	s_waitcnt lgkmcnt(0)
	s_barrier
	ds_read2_b64 v[196:199], v208 offset0:24 offset1:25
	s_cmp_lt_i32 s20, 14
	v_mov_b32_e32 v206, 12
	s_cbranch_scc1 .LBB96_254
; %bb.252:
	v_add_u32_e32 v207, 0xd0, v208
	s_mov_b32 s16, 13
	v_mov_b32_e32 v206, 12
.LBB96_253:                             ; =>This Inner Loop Header: Depth=1
	ds_read2_b64 v[212:215], v207 offset1:1
	s_waitcnt lgkmcnt(1)
	v_xor_b32_e32 v217, 0x80000000, v197
	v_xor_b32_e32 v219, 0x80000000, v199
	v_cmp_gt_f64_e32 vcc, 0, v[198:199]
	v_cmp_gt_f64_e64 s[0:1], 0, v[196:197]
	v_mov_b32_e32 v216, v196
	v_mov_b32_e32 v218, v198
	v_cndmask_b32_e64 v217, v197, v217, s[0:1]
	v_cndmask_b32_e32 v219, v199, v219, vcc
	v_add_f64 v[216:217], v[216:217], v[218:219]
	s_waitcnt lgkmcnt(0)
	v_xor_b32_e32 v219, 0x80000000, v213
	v_xor_b32_e32 v221, 0x80000000, v215
	v_cmp_gt_f64_e32 vcc, 0, v[214:215]
	v_cmp_gt_f64_e64 s[0:1], 0, v[212:213]
	v_mov_b32_e32 v218, v212
	v_mov_b32_e32 v220, v214
	v_cndmask_b32_e64 v219, v213, v219, s[0:1]
	v_cndmask_b32_e32 v221, v215, v221, vcc
	v_add_f64 v[218:219], v[218:219], v[220:221]
	v_mov_b32_e32 v222, s16
	s_add_i32 s16, s16, 1
	v_cmp_lt_f64_e32 vcc, v[216:217], v[218:219]
	v_add_u32_e32 v207, 16, v207
	s_cmp_lg_u32 s20, s16
	v_cndmask_b32_e32 v197, v197, v213, vcc
	v_cndmask_b32_e32 v196, v196, v212, vcc
	;; [unrolled: 1-line block ×5, first 2 shown]
	s_cbranch_scc1 .LBB96_253
.LBB96_254:
	s_waitcnt lgkmcnt(0)
	v_cmp_eq_f64_e32 vcc, 0, v[196:197]
	v_cmp_eq_f64_e64 s[0:1], 0, v[198:199]
	s_and_b64 s[0:1], vcc, s[0:1]
	s_and_saveexec_b64 s[16:17], s[0:1]
	s_xor_b64 s[0:1], exec, s[16:17]
; %bb.255:
	v_cmp_ne_u32_e32 vcc, 0, v210
	s_nop 1
	v_cndmask_b32_e32 v210, 13, v210, vcc
; %bb.256:
	s_andn2_saveexec_b64 s[0:1], s[0:1]
	s_cbranch_execz .LBB96_262
; %bb.257:
	v_cmp_ngt_f64_e64 s[16:17], |v[196:197]|, |v[198:199]|
	s_and_saveexec_b64 s[18:19], s[16:17]
	s_xor_b64 s[16:17], exec, s[18:19]
	s_cbranch_execz .LBB96_259
; %bb.258:
	v_div_scale_f64 v[212:213], s[18:19], v[198:199], v[198:199], v[196:197]
	v_rcp_f64_e32 v[214:215], v[212:213]
	v_div_scale_f64 v[216:217], vcc, v[196:197], v[198:199], v[196:197]
	v_fma_f64 v[218:219], -v[212:213], v[214:215], 1.0
	v_fmac_f64_e32 v[214:215], v[214:215], v[218:219]
	v_fma_f64 v[218:219], -v[212:213], v[214:215], 1.0
	v_fmac_f64_e32 v[214:215], v[214:215], v[218:219]
	v_mul_f64 v[218:219], v[216:217], v[214:215]
	v_fma_f64 v[212:213], -v[212:213], v[218:219], v[216:217]
	v_div_fmas_f64 v[212:213], v[212:213], v[214:215], v[218:219]
	v_div_fixup_f64 v[212:213], v[212:213], v[198:199], v[196:197]
	v_fmac_f64_e32 v[198:199], v[196:197], v[212:213]
	v_div_scale_f64 v[196:197], s[18:19], v[198:199], v[198:199], 1.0
	v_rcp_f64_e32 v[214:215], v[196:197]
	s_nop 0
	v_fma_f64 v[216:217], -v[196:197], v[214:215], 1.0
	v_fmac_f64_e32 v[214:215], v[214:215], v[216:217]
	v_fma_f64 v[216:217], -v[196:197], v[214:215], 1.0
	v_fmac_f64_e32 v[214:215], v[214:215], v[216:217]
	v_div_scale_f64 v[216:217], vcc, 1.0, v[198:199], 1.0
	v_mul_f64 v[218:219], v[216:217], v[214:215]
	v_fma_f64 v[196:197], -v[196:197], v[218:219], v[216:217]
	s_nop 1
	v_div_fmas_f64 v[196:197], v[196:197], v[214:215], v[218:219]
	v_div_fixup_f64 v[198:199], v[196:197], v[198:199], 1.0
	v_mul_f64 v[196:197], v[212:213], v[198:199]
	v_xor_b32_e32 v199, 0x80000000, v199
.LBB96_259:
	s_andn2_saveexec_b64 s[16:17], s[16:17]
	s_cbranch_execz .LBB96_261
; %bb.260:
	v_div_scale_f64 v[212:213], s[18:19], v[196:197], v[196:197], v[198:199]
	v_rcp_f64_e32 v[214:215], v[212:213]
	v_div_scale_f64 v[216:217], vcc, v[198:199], v[196:197], v[198:199]
	v_fma_f64 v[218:219], -v[212:213], v[214:215], 1.0
	v_fmac_f64_e32 v[214:215], v[214:215], v[218:219]
	v_fma_f64 v[218:219], -v[212:213], v[214:215], 1.0
	v_fmac_f64_e32 v[214:215], v[214:215], v[218:219]
	v_mul_f64 v[218:219], v[216:217], v[214:215]
	v_fma_f64 v[212:213], -v[212:213], v[218:219], v[216:217]
	v_div_fmas_f64 v[212:213], v[212:213], v[214:215], v[218:219]
	v_div_fixup_f64 v[212:213], v[212:213], v[196:197], v[198:199]
	v_fmac_f64_e32 v[196:197], v[198:199], v[212:213]
	v_div_scale_f64 v[198:199], s[18:19], v[196:197], v[196:197], 1.0
	v_rcp_f64_e32 v[214:215], v[198:199]
	s_nop 0
	v_fma_f64 v[216:217], -v[198:199], v[214:215], 1.0
	v_fmac_f64_e32 v[214:215], v[214:215], v[216:217]
	v_fma_f64 v[216:217], -v[198:199], v[214:215], 1.0
	v_fmac_f64_e32 v[214:215], v[214:215], v[216:217]
	v_div_scale_f64 v[216:217], vcc, 1.0, v[196:197], 1.0
	v_mul_f64 v[218:219], v[216:217], v[214:215]
	v_fma_f64 v[198:199], -v[198:199], v[218:219], v[216:217]
	s_nop 1
	v_div_fmas_f64 v[198:199], v[198:199], v[214:215], v[218:219]
	v_div_fixup_f64 v[196:197], v[198:199], v[196:197], 1.0
	v_mul_f64 v[198:199], v[212:213], -v[196:197]
.LBB96_261:
	s_or_b64 exec, exec, s[16:17]
.LBB96_262:
	s_or_b64 exec, exec, s[0:1]
	v_cmp_ne_u32_e32 vcc, v209, v206
	s_and_saveexec_b64 s[0:1], vcc
	s_xor_b64 s[0:1], exec, s[0:1]
	s_cbranch_execz .LBB96_268
; %bb.263:
	v_cmp_eq_u32_e32 vcc, 12, v209
	s_and_saveexec_b64 s[16:17], vcc
	s_cbranch_execz .LBB96_267
; %bb.264:
	v_cmp_ne_u32_e32 vcc, 12, v206
	s_xor_b64 s[18:19], s[14:15], -1
	s_and_b64 s[22:23], s[18:19], vcc
	s_and_saveexec_b64 s[18:19], s[22:23]
	s_cbranch_execz .LBB96_266
; %bb.265:
	v_ashrrev_i32_e32 v207, 31, v206
	v_lshl_add_u64 v[212:213], v[206:207], 2, v[204:205]
	global_load_dword v207, v[212:213], off
	global_load_dword v209, v[204:205], off offset:48
	s_waitcnt vmcnt(1)
	global_store_dword v[204:205], v207, off offset:48
	s_waitcnt vmcnt(1)
	global_store_dword v[212:213], v209, off
.LBB96_266:
	s_or_b64 exec, exec, s[18:19]
	v_mov_b32_e32 v209, v206
	v_mov_b32_e32 v211, v206
.LBB96_267:
	s_or_b64 exec, exec, s[16:17]
.LBB96_268:
	s_andn2_saveexec_b64 s[0:1], s[0:1]
	s_cbranch_execz .LBB96_270
; %bb.269:
	v_mov_b32_e32 v209, 12
	s_waitcnt vmcnt(35)
	ds_write2_b64 v208, v[144:145], v[146:147] offset0:26 offset1:27
	s_waitcnt vmcnt(34)
	ds_write2_b64 v208, v[140:141], v[142:143] offset0:28 offset1:29
	;; [unrolled: 2-line block ×36, first 2 shown]
.LBB96_270:
	s_or_b64 exec, exec, s[0:1]
	v_cmp_lt_i32_e32 vcc, 12, v209
	s_waitcnt lgkmcnt(0)
	s_barrier
	s_and_saveexec_b64 s[0:1], vcc
	s_cbranch_execz .LBB96_272
; %bb.271:
	ds_read2_b64 v[212:215], v208 offset0:26 offset1:27
	v_mul_f64 v[206:207], v[198:199], v[150:151]
	v_mul_f64 v[150:151], v[196:197], v[150:151]
	v_fma_f64 v[206:207], v[196:197], v[148:149], -v[206:207]
	v_fmac_f64_e32 v[150:151], v[198:199], v[148:149]
	ds_read2_b64 v[196:199], v208 offset0:28 offset1:29
	s_waitcnt lgkmcnt(1)
	v_mul_f64 v[148:149], v[214:215], v[150:151]
	v_fma_f64 v[148:149], v[212:213], v[206:207], -v[148:149]
	v_mul_f64 v[212:213], v[212:213], v[150:151]
	v_fmac_f64_e32 v[212:213], v[214:215], v[206:207]
	s_waitcnt vmcnt(35)
	v_add_f64 v[144:145], v[144:145], -v[148:149]
	s_waitcnt lgkmcnt(0)
	v_mul_f64 v[148:149], v[198:199], v[150:151]
	v_add_f64 v[146:147], v[146:147], -v[212:213]
	v_fma_f64 v[148:149], v[196:197], v[206:207], -v[148:149]
	v_mul_f64 v[196:197], v[196:197], v[150:151]
	ds_read2_b64 v[212:215], v208 offset0:30 offset1:31
	v_fmac_f64_e32 v[196:197], v[198:199], v[206:207]
	s_waitcnt vmcnt(34)
	v_add_f64 v[142:143], v[142:143], -v[196:197]
	ds_read2_b64 v[196:199], v208 offset0:32 offset1:33
	v_add_f64 v[140:141], v[140:141], -v[148:149]
	s_waitcnt lgkmcnt(1)
	v_mul_f64 v[148:149], v[214:215], v[150:151]
	v_fma_f64 v[148:149], v[212:213], v[206:207], -v[148:149]
	v_mul_f64 v[212:213], v[212:213], v[150:151]
	v_fmac_f64_e32 v[212:213], v[214:215], v[206:207]
	s_waitcnt vmcnt(33)
	v_add_f64 v[136:137], v[136:137], -v[148:149]
	s_waitcnt lgkmcnt(0)
	v_mul_f64 v[148:149], v[198:199], v[150:151]
	v_add_f64 v[138:139], v[138:139], -v[212:213]
	v_fma_f64 v[148:149], v[196:197], v[206:207], -v[148:149]
	v_mul_f64 v[196:197], v[196:197], v[150:151]
	ds_read2_b64 v[212:215], v208 offset0:34 offset1:35
	v_fmac_f64_e32 v[196:197], v[198:199], v[206:207]
	s_waitcnt vmcnt(32)
	v_add_f64 v[130:131], v[130:131], -v[196:197]
	ds_read2_b64 v[196:199], v208 offset0:36 offset1:37
	v_add_f64 v[128:129], v[128:129], -v[148:149]
	;; [unrolled: 18-line block ×17, first 2 shown]
	s_waitcnt lgkmcnt(1)
	v_mul_f64 v[148:149], v[214:215], v[150:151]
	v_fma_f64 v[148:149], v[212:213], v[206:207], -v[148:149]
	s_waitcnt vmcnt(1)
	v_add_f64 v[0:1], v[0:1], -v[148:149]
	s_waitcnt lgkmcnt(0)
	v_mul_f64 v[148:149], v[198:199], v[150:151]
	v_mul_f64 v[212:213], v[212:213], v[150:151]
	v_fma_f64 v[148:149], v[196:197], v[206:207], -v[148:149]
	v_mul_f64 v[196:197], v[196:197], v[150:151]
	v_fmac_f64_e32 v[212:213], v[214:215], v[206:207]
	v_fmac_f64_e32 v[196:197], v[198:199], v[206:207]
	v_add_f64 v[2:3], v[2:3], -v[212:213]
	s_waitcnt vmcnt(0)
	v_add_f64 v[192:193], v[192:193], -v[148:149]
	v_add_f64 v[194:195], v[194:195], -v[196:197]
	v_mov_b64_e32 v[148:149], v[206:207]
.LBB96_272:
	s_or_b64 exec, exec, s[0:1]
	v_lshl_add_u32 v196, v209, 4, v208
	s_barrier
	s_waitcnt vmcnt(35)
	ds_write2_b64 v196, v[144:145], v[146:147] offset1:1
	s_waitcnt lgkmcnt(0)
	s_barrier
	ds_read2_b64 v[196:199], v208 offset0:26 offset1:27
	s_cmp_lt_i32 s20, 15
	v_mov_b32_e32 v206, 13
	s_cbranch_scc1 .LBB96_275
; %bb.273:
	v_add_u32_e32 v207, 0xe0, v208
	s_mov_b32 s16, 14
	v_mov_b32_e32 v206, 13
.LBB96_274:                             ; =>This Inner Loop Header: Depth=1
	ds_read2_b64 v[212:215], v207 offset1:1
	s_waitcnt lgkmcnt(1)
	v_xor_b32_e32 v217, 0x80000000, v197
	v_xor_b32_e32 v219, 0x80000000, v199
	v_cmp_gt_f64_e32 vcc, 0, v[198:199]
	v_cmp_gt_f64_e64 s[0:1], 0, v[196:197]
	v_mov_b32_e32 v216, v196
	v_mov_b32_e32 v218, v198
	v_cndmask_b32_e64 v217, v197, v217, s[0:1]
	v_cndmask_b32_e32 v219, v199, v219, vcc
	v_add_f64 v[216:217], v[216:217], v[218:219]
	s_waitcnt lgkmcnt(0)
	v_xor_b32_e32 v219, 0x80000000, v213
	v_xor_b32_e32 v221, 0x80000000, v215
	v_cmp_gt_f64_e32 vcc, 0, v[214:215]
	v_cmp_gt_f64_e64 s[0:1], 0, v[212:213]
	v_mov_b32_e32 v218, v212
	v_mov_b32_e32 v220, v214
	v_cndmask_b32_e64 v219, v213, v219, s[0:1]
	v_cndmask_b32_e32 v221, v215, v221, vcc
	v_add_f64 v[218:219], v[218:219], v[220:221]
	v_mov_b32_e32 v222, s16
	s_add_i32 s16, s16, 1
	v_cmp_lt_f64_e32 vcc, v[216:217], v[218:219]
	v_add_u32_e32 v207, 16, v207
	s_cmp_lg_u32 s20, s16
	v_cndmask_b32_e32 v197, v197, v213, vcc
	v_cndmask_b32_e32 v196, v196, v212, vcc
	v_cndmask_b32_e32 v199, v199, v215, vcc
	v_cndmask_b32_e32 v198, v198, v214, vcc
	v_cndmask_b32_e32 v206, v206, v222, vcc
	s_cbranch_scc1 .LBB96_274
.LBB96_275:
	s_waitcnt lgkmcnt(0)
	v_cmp_eq_f64_e32 vcc, 0, v[196:197]
	v_cmp_eq_f64_e64 s[0:1], 0, v[198:199]
	s_and_b64 s[0:1], vcc, s[0:1]
	s_and_saveexec_b64 s[16:17], s[0:1]
	s_xor_b64 s[0:1], exec, s[16:17]
; %bb.276:
	v_cmp_ne_u32_e32 vcc, 0, v210
	s_nop 1
	v_cndmask_b32_e32 v210, 14, v210, vcc
; %bb.277:
	s_andn2_saveexec_b64 s[0:1], s[0:1]
	s_cbranch_execz .LBB96_283
; %bb.278:
	v_cmp_ngt_f64_e64 s[16:17], |v[196:197]|, |v[198:199]|
	s_and_saveexec_b64 s[18:19], s[16:17]
	s_xor_b64 s[16:17], exec, s[18:19]
	s_cbranch_execz .LBB96_280
; %bb.279:
	v_div_scale_f64 v[212:213], s[18:19], v[198:199], v[198:199], v[196:197]
	v_rcp_f64_e32 v[214:215], v[212:213]
	v_div_scale_f64 v[216:217], vcc, v[196:197], v[198:199], v[196:197]
	v_fma_f64 v[218:219], -v[212:213], v[214:215], 1.0
	v_fmac_f64_e32 v[214:215], v[214:215], v[218:219]
	v_fma_f64 v[218:219], -v[212:213], v[214:215], 1.0
	v_fmac_f64_e32 v[214:215], v[214:215], v[218:219]
	v_mul_f64 v[218:219], v[216:217], v[214:215]
	v_fma_f64 v[212:213], -v[212:213], v[218:219], v[216:217]
	v_div_fmas_f64 v[212:213], v[212:213], v[214:215], v[218:219]
	v_div_fixup_f64 v[212:213], v[212:213], v[198:199], v[196:197]
	v_fmac_f64_e32 v[198:199], v[196:197], v[212:213]
	v_div_scale_f64 v[196:197], s[18:19], v[198:199], v[198:199], 1.0
	v_rcp_f64_e32 v[214:215], v[196:197]
	s_nop 0
	v_fma_f64 v[216:217], -v[196:197], v[214:215], 1.0
	v_fmac_f64_e32 v[214:215], v[214:215], v[216:217]
	v_fma_f64 v[216:217], -v[196:197], v[214:215], 1.0
	v_fmac_f64_e32 v[214:215], v[214:215], v[216:217]
	v_div_scale_f64 v[216:217], vcc, 1.0, v[198:199], 1.0
	v_mul_f64 v[218:219], v[216:217], v[214:215]
	v_fma_f64 v[196:197], -v[196:197], v[218:219], v[216:217]
	s_nop 1
	v_div_fmas_f64 v[196:197], v[196:197], v[214:215], v[218:219]
	v_div_fixup_f64 v[198:199], v[196:197], v[198:199], 1.0
	v_mul_f64 v[196:197], v[212:213], v[198:199]
	v_xor_b32_e32 v199, 0x80000000, v199
.LBB96_280:
	s_andn2_saveexec_b64 s[16:17], s[16:17]
	s_cbranch_execz .LBB96_282
; %bb.281:
	v_div_scale_f64 v[212:213], s[18:19], v[196:197], v[196:197], v[198:199]
	v_rcp_f64_e32 v[214:215], v[212:213]
	v_div_scale_f64 v[216:217], vcc, v[198:199], v[196:197], v[198:199]
	v_fma_f64 v[218:219], -v[212:213], v[214:215], 1.0
	v_fmac_f64_e32 v[214:215], v[214:215], v[218:219]
	v_fma_f64 v[218:219], -v[212:213], v[214:215], 1.0
	v_fmac_f64_e32 v[214:215], v[214:215], v[218:219]
	v_mul_f64 v[218:219], v[216:217], v[214:215]
	v_fma_f64 v[212:213], -v[212:213], v[218:219], v[216:217]
	v_div_fmas_f64 v[212:213], v[212:213], v[214:215], v[218:219]
	v_div_fixup_f64 v[212:213], v[212:213], v[196:197], v[198:199]
	v_fmac_f64_e32 v[196:197], v[198:199], v[212:213]
	v_div_scale_f64 v[198:199], s[18:19], v[196:197], v[196:197], 1.0
	v_rcp_f64_e32 v[214:215], v[198:199]
	s_nop 0
	v_fma_f64 v[216:217], -v[198:199], v[214:215], 1.0
	v_fmac_f64_e32 v[214:215], v[214:215], v[216:217]
	v_fma_f64 v[216:217], -v[198:199], v[214:215], 1.0
	v_fmac_f64_e32 v[214:215], v[214:215], v[216:217]
	v_div_scale_f64 v[216:217], vcc, 1.0, v[196:197], 1.0
	v_mul_f64 v[218:219], v[216:217], v[214:215]
	v_fma_f64 v[198:199], -v[198:199], v[218:219], v[216:217]
	s_nop 1
	v_div_fmas_f64 v[198:199], v[198:199], v[214:215], v[218:219]
	v_div_fixup_f64 v[196:197], v[198:199], v[196:197], 1.0
	v_mul_f64 v[198:199], v[212:213], -v[196:197]
.LBB96_282:
	s_or_b64 exec, exec, s[16:17]
.LBB96_283:
	s_or_b64 exec, exec, s[0:1]
	v_cmp_ne_u32_e32 vcc, v209, v206
	s_and_saveexec_b64 s[0:1], vcc
	s_xor_b64 s[0:1], exec, s[0:1]
	s_cbranch_execz .LBB96_289
; %bb.284:
	v_cmp_eq_u32_e32 vcc, 13, v209
	s_and_saveexec_b64 s[16:17], vcc
	s_cbranch_execz .LBB96_288
; %bb.285:
	v_cmp_ne_u32_e32 vcc, 13, v206
	s_xor_b64 s[18:19], s[14:15], -1
	s_and_b64 s[22:23], s[18:19], vcc
	s_and_saveexec_b64 s[18:19], s[22:23]
	s_cbranch_execz .LBB96_287
; %bb.286:
	v_ashrrev_i32_e32 v207, 31, v206
	v_lshl_add_u64 v[212:213], v[206:207], 2, v[204:205]
	global_load_dword v207, v[212:213], off
	global_load_dword v209, v[204:205], off offset:52
	s_waitcnt vmcnt(1)
	global_store_dword v[204:205], v207, off offset:52
	s_waitcnt vmcnt(1)
	global_store_dword v[212:213], v209, off
.LBB96_287:
	s_or_b64 exec, exec, s[18:19]
	v_mov_b32_e32 v209, v206
	v_mov_b32_e32 v211, v206
.LBB96_288:
	s_or_b64 exec, exec, s[16:17]
.LBB96_289:
	s_andn2_saveexec_b64 s[0:1], s[0:1]
	s_cbranch_execz .LBB96_291
; %bb.290:
	v_mov_b32_e32 v209, 13
	s_waitcnt vmcnt(34)
	ds_write2_b64 v208, v[140:141], v[142:143] offset0:28 offset1:29
	s_waitcnt vmcnt(33)
	ds_write2_b64 v208, v[136:137], v[138:139] offset0:30 offset1:31
	;; [unrolled: 2-line block ×35, first 2 shown]
.LBB96_291:
	s_or_b64 exec, exec, s[0:1]
	v_cmp_lt_i32_e32 vcc, 13, v209
	s_waitcnt lgkmcnt(0)
	s_barrier
	s_and_saveexec_b64 s[0:1], vcc
	s_cbranch_execz .LBB96_293
; %bb.292:
	ds_read2_b64 v[212:215], v208 offset0:28 offset1:29
	v_mul_f64 v[206:207], v[198:199], v[146:147]
	v_mul_f64 v[146:147], v[196:197], v[146:147]
	v_fmac_f64_e32 v[146:147], v[198:199], v[144:145]
	v_fma_f64 v[206:207], v[196:197], v[144:145], -v[206:207]
	ds_read2_b64 v[196:199], v208 offset0:30 offset1:31
	s_waitcnt lgkmcnt(1)
	v_mul_f64 v[144:145], v[214:215], v[146:147]
	v_fma_f64 v[144:145], v[212:213], v[206:207], -v[144:145]
	v_mul_f64 v[212:213], v[212:213], v[146:147]
	v_fmac_f64_e32 v[212:213], v[214:215], v[206:207]
	s_waitcnt vmcnt(34)
	v_add_f64 v[142:143], v[142:143], -v[212:213]
	ds_read2_b64 v[212:215], v208 offset0:32 offset1:33
	v_add_f64 v[140:141], v[140:141], -v[144:145]
	s_waitcnt lgkmcnt(1)
	v_mul_f64 v[144:145], v[198:199], v[146:147]
	v_fma_f64 v[144:145], v[196:197], v[206:207], -v[144:145]
	v_mul_f64 v[196:197], v[196:197], v[146:147]
	v_fmac_f64_e32 v[196:197], v[198:199], v[206:207]
	s_waitcnt vmcnt(33)
	v_add_f64 v[136:137], v[136:137], -v[144:145]
	v_add_f64 v[138:139], v[138:139], -v[196:197]
	ds_read2_b64 v[196:199], v208 offset0:34 offset1:35
	s_waitcnt lgkmcnt(1)
	v_mul_f64 v[144:145], v[214:215], v[146:147]
	v_fma_f64 v[144:145], v[212:213], v[206:207], -v[144:145]
	v_mul_f64 v[212:213], v[212:213], v[146:147]
	v_fmac_f64_e32 v[212:213], v[214:215], v[206:207]
	s_waitcnt vmcnt(32)
	v_add_f64 v[130:131], v[130:131], -v[212:213]
	ds_read2_b64 v[212:215], v208 offset0:36 offset1:37
	v_add_f64 v[128:129], v[128:129], -v[144:145]
	s_waitcnt lgkmcnt(1)
	v_mul_f64 v[144:145], v[198:199], v[146:147]
	v_fma_f64 v[144:145], v[196:197], v[206:207], -v[144:145]
	v_mul_f64 v[196:197], v[196:197], v[146:147]
	v_fmac_f64_e32 v[196:197], v[198:199], v[206:207]
	s_waitcnt vmcnt(31)
	v_add_f64 v[120:121], v[120:121], -v[144:145]
	v_add_f64 v[122:123], v[122:123], -v[196:197]
	;; [unrolled: 18-line block ×17, first 2 shown]
	s_waitcnt lgkmcnt(0)
	v_mul_f64 v[144:145], v[214:215], v[146:147]
	v_mul_f64 v[196:197], v[212:213], v[146:147]
	v_fma_f64 v[144:145], v[212:213], v[206:207], -v[144:145]
	v_fmac_f64_e32 v[196:197], v[214:215], v[206:207]
	s_waitcnt vmcnt(0)
	v_add_f64 v[192:193], v[192:193], -v[144:145]
	v_add_f64 v[194:195], v[194:195], -v[196:197]
	v_mov_b64_e32 v[144:145], v[206:207]
.LBB96_293:
	s_or_b64 exec, exec, s[0:1]
	v_lshl_add_u32 v196, v209, 4, v208
	s_barrier
	s_waitcnt vmcnt(34)
	ds_write2_b64 v196, v[140:141], v[142:143] offset1:1
	s_waitcnt lgkmcnt(0)
	s_barrier
	ds_read2_b64 v[196:199], v208 offset0:28 offset1:29
	s_cmp_lt_i32 s20, 16
	v_mov_b32_e32 v206, 14
	s_cbranch_scc1 .LBB96_296
; %bb.294:
	v_add_u32_e32 v207, 0xf0, v208
	s_mov_b32 s16, 15
	v_mov_b32_e32 v206, 14
.LBB96_295:                             ; =>This Inner Loop Header: Depth=1
	ds_read2_b64 v[212:215], v207 offset1:1
	s_waitcnt lgkmcnt(1)
	v_xor_b32_e32 v217, 0x80000000, v197
	v_xor_b32_e32 v219, 0x80000000, v199
	v_cmp_gt_f64_e32 vcc, 0, v[198:199]
	v_cmp_gt_f64_e64 s[0:1], 0, v[196:197]
	v_mov_b32_e32 v216, v196
	v_mov_b32_e32 v218, v198
	v_cndmask_b32_e64 v217, v197, v217, s[0:1]
	v_cndmask_b32_e32 v219, v199, v219, vcc
	v_add_f64 v[216:217], v[216:217], v[218:219]
	s_waitcnt lgkmcnt(0)
	v_xor_b32_e32 v219, 0x80000000, v213
	v_xor_b32_e32 v221, 0x80000000, v215
	v_cmp_gt_f64_e32 vcc, 0, v[214:215]
	v_cmp_gt_f64_e64 s[0:1], 0, v[212:213]
	v_mov_b32_e32 v218, v212
	v_mov_b32_e32 v220, v214
	v_cndmask_b32_e64 v219, v213, v219, s[0:1]
	v_cndmask_b32_e32 v221, v215, v221, vcc
	v_add_f64 v[218:219], v[218:219], v[220:221]
	v_mov_b32_e32 v222, s16
	s_add_i32 s16, s16, 1
	v_cmp_lt_f64_e32 vcc, v[216:217], v[218:219]
	v_add_u32_e32 v207, 16, v207
	s_cmp_lg_u32 s20, s16
	v_cndmask_b32_e32 v197, v197, v213, vcc
	v_cndmask_b32_e32 v196, v196, v212, vcc
	;; [unrolled: 1-line block ×5, first 2 shown]
	s_cbranch_scc1 .LBB96_295
.LBB96_296:
	s_waitcnt lgkmcnt(0)
	v_cmp_eq_f64_e32 vcc, 0, v[196:197]
	v_cmp_eq_f64_e64 s[0:1], 0, v[198:199]
	s_and_b64 s[0:1], vcc, s[0:1]
	s_and_saveexec_b64 s[16:17], s[0:1]
	s_xor_b64 s[0:1], exec, s[16:17]
; %bb.297:
	v_cmp_ne_u32_e32 vcc, 0, v210
	s_nop 1
	v_cndmask_b32_e32 v210, 15, v210, vcc
; %bb.298:
	s_andn2_saveexec_b64 s[0:1], s[0:1]
	s_cbranch_execz .LBB96_304
; %bb.299:
	v_cmp_ngt_f64_e64 s[16:17], |v[196:197]|, |v[198:199]|
	s_and_saveexec_b64 s[18:19], s[16:17]
	s_xor_b64 s[16:17], exec, s[18:19]
	s_cbranch_execz .LBB96_301
; %bb.300:
	v_div_scale_f64 v[212:213], s[18:19], v[198:199], v[198:199], v[196:197]
	v_rcp_f64_e32 v[214:215], v[212:213]
	v_div_scale_f64 v[216:217], vcc, v[196:197], v[198:199], v[196:197]
	v_fma_f64 v[218:219], -v[212:213], v[214:215], 1.0
	v_fmac_f64_e32 v[214:215], v[214:215], v[218:219]
	v_fma_f64 v[218:219], -v[212:213], v[214:215], 1.0
	v_fmac_f64_e32 v[214:215], v[214:215], v[218:219]
	v_mul_f64 v[218:219], v[216:217], v[214:215]
	v_fma_f64 v[212:213], -v[212:213], v[218:219], v[216:217]
	v_div_fmas_f64 v[212:213], v[212:213], v[214:215], v[218:219]
	v_div_fixup_f64 v[212:213], v[212:213], v[198:199], v[196:197]
	v_fmac_f64_e32 v[198:199], v[196:197], v[212:213]
	v_div_scale_f64 v[196:197], s[18:19], v[198:199], v[198:199], 1.0
	v_rcp_f64_e32 v[214:215], v[196:197]
	s_nop 0
	v_fma_f64 v[216:217], -v[196:197], v[214:215], 1.0
	v_fmac_f64_e32 v[214:215], v[214:215], v[216:217]
	v_fma_f64 v[216:217], -v[196:197], v[214:215], 1.0
	v_fmac_f64_e32 v[214:215], v[214:215], v[216:217]
	v_div_scale_f64 v[216:217], vcc, 1.0, v[198:199], 1.0
	v_mul_f64 v[218:219], v[216:217], v[214:215]
	v_fma_f64 v[196:197], -v[196:197], v[218:219], v[216:217]
	s_nop 1
	v_div_fmas_f64 v[196:197], v[196:197], v[214:215], v[218:219]
	v_div_fixup_f64 v[198:199], v[196:197], v[198:199], 1.0
	v_mul_f64 v[196:197], v[212:213], v[198:199]
	v_xor_b32_e32 v199, 0x80000000, v199
.LBB96_301:
	s_andn2_saveexec_b64 s[16:17], s[16:17]
	s_cbranch_execz .LBB96_303
; %bb.302:
	v_div_scale_f64 v[212:213], s[18:19], v[196:197], v[196:197], v[198:199]
	v_rcp_f64_e32 v[214:215], v[212:213]
	v_div_scale_f64 v[216:217], vcc, v[198:199], v[196:197], v[198:199]
	v_fma_f64 v[218:219], -v[212:213], v[214:215], 1.0
	v_fmac_f64_e32 v[214:215], v[214:215], v[218:219]
	v_fma_f64 v[218:219], -v[212:213], v[214:215], 1.0
	v_fmac_f64_e32 v[214:215], v[214:215], v[218:219]
	v_mul_f64 v[218:219], v[216:217], v[214:215]
	v_fma_f64 v[212:213], -v[212:213], v[218:219], v[216:217]
	v_div_fmas_f64 v[212:213], v[212:213], v[214:215], v[218:219]
	v_div_fixup_f64 v[212:213], v[212:213], v[196:197], v[198:199]
	v_fmac_f64_e32 v[196:197], v[198:199], v[212:213]
	v_div_scale_f64 v[198:199], s[18:19], v[196:197], v[196:197], 1.0
	v_rcp_f64_e32 v[214:215], v[198:199]
	s_nop 0
	v_fma_f64 v[216:217], -v[198:199], v[214:215], 1.0
	v_fmac_f64_e32 v[214:215], v[214:215], v[216:217]
	v_fma_f64 v[216:217], -v[198:199], v[214:215], 1.0
	v_fmac_f64_e32 v[214:215], v[214:215], v[216:217]
	v_div_scale_f64 v[216:217], vcc, 1.0, v[196:197], 1.0
	v_mul_f64 v[218:219], v[216:217], v[214:215]
	v_fma_f64 v[198:199], -v[198:199], v[218:219], v[216:217]
	s_nop 1
	v_div_fmas_f64 v[198:199], v[198:199], v[214:215], v[218:219]
	v_div_fixup_f64 v[196:197], v[198:199], v[196:197], 1.0
	v_mul_f64 v[198:199], v[212:213], -v[196:197]
.LBB96_303:
	s_or_b64 exec, exec, s[16:17]
.LBB96_304:
	s_or_b64 exec, exec, s[0:1]
	v_cmp_ne_u32_e32 vcc, v209, v206
	s_and_saveexec_b64 s[0:1], vcc
	s_xor_b64 s[0:1], exec, s[0:1]
	s_cbranch_execz .LBB96_310
; %bb.305:
	v_cmp_eq_u32_e32 vcc, 14, v209
	s_and_saveexec_b64 s[16:17], vcc
	s_cbranch_execz .LBB96_309
; %bb.306:
	v_cmp_ne_u32_e32 vcc, 14, v206
	s_xor_b64 s[18:19], s[14:15], -1
	s_and_b64 s[22:23], s[18:19], vcc
	s_and_saveexec_b64 s[18:19], s[22:23]
	s_cbranch_execz .LBB96_308
; %bb.307:
	v_ashrrev_i32_e32 v207, 31, v206
	v_lshl_add_u64 v[212:213], v[206:207], 2, v[204:205]
	global_load_dword v207, v[212:213], off
	global_load_dword v209, v[204:205], off offset:56
	s_waitcnt vmcnt(1)
	global_store_dword v[204:205], v207, off offset:56
	s_waitcnt vmcnt(1)
	global_store_dword v[212:213], v209, off
.LBB96_308:
	s_or_b64 exec, exec, s[18:19]
	v_mov_b32_e32 v209, v206
	v_mov_b32_e32 v211, v206
.LBB96_309:
	s_or_b64 exec, exec, s[16:17]
.LBB96_310:
	s_andn2_saveexec_b64 s[0:1], s[0:1]
	s_cbranch_execz .LBB96_312
; %bb.311:
	v_mov_b32_e32 v209, 14
	s_waitcnt vmcnt(33)
	ds_write2_b64 v208, v[136:137], v[138:139] offset0:30 offset1:31
	s_waitcnt vmcnt(32)
	ds_write2_b64 v208, v[128:129], v[130:131] offset0:32 offset1:33
	;; [unrolled: 2-line block ×34, first 2 shown]
.LBB96_312:
	s_or_b64 exec, exec, s[0:1]
	v_cmp_lt_i32_e32 vcc, 14, v209
	s_waitcnt lgkmcnt(0)
	s_barrier
	s_and_saveexec_b64 s[0:1], vcc
	s_cbranch_execz .LBB96_314
; %bb.313:
	ds_read2_b64 v[212:215], v208 offset0:30 offset1:31
	v_mul_f64 v[206:207], v[198:199], v[142:143]
	v_mul_f64 v[142:143], v[196:197], v[142:143]
	v_fma_f64 v[206:207], v[196:197], v[140:141], -v[206:207]
	v_fmac_f64_e32 v[142:143], v[198:199], v[140:141]
	ds_read2_b64 v[196:199], v208 offset0:32 offset1:33
	s_waitcnt lgkmcnt(1)
	v_mul_f64 v[140:141], v[214:215], v[142:143]
	v_fma_f64 v[140:141], v[212:213], v[206:207], -v[140:141]
	v_mul_f64 v[212:213], v[212:213], v[142:143]
	v_fmac_f64_e32 v[212:213], v[214:215], v[206:207]
	s_waitcnt vmcnt(33)
	v_add_f64 v[136:137], v[136:137], -v[140:141]
	s_waitcnt lgkmcnt(0)
	v_mul_f64 v[140:141], v[198:199], v[142:143]
	v_add_f64 v[138:139], v[138:139], -v[212:213]
	v_fma_f64 v[140:141], v[196:197], v[206:207], -v[140:141]
	v_mul_f64 v[196:197], v[196:197], v[142:143]
	ds_read2_b64 v[212:215], v208 offset0:34 offset1:35
	v_fmac_f64_e32 v[196:197], v[198:199], v[206:207]
	s_waitcnt vmcnt(32)
	v_add_f64 v[130:131], v[130:131], -v[196:197]
	ds_read2_b64 v[196:199], v208 offset0:36 offset1:37
	v_add_f64 v[128:129], v[128:129], -v[140:141]
	s_waitcnt lgkmcnt(1)
	v_mul_f64 v[140:141], v[214:215], v[142:143]
	v_fma_f64 v[140:141], v[212:213], v[206:207], -v[140:141]
	v_mul_f64 v[212:213], v[212:213], v[142:143]
	v_fmac_f64_e32 v[212:213], v[214:215], v[206:207]
	s_waitcnt vmcnt(31)
	v_add_f64 v[120:121], v[120:121], -v[140:141]
	s_waitcnt lgkmcnt(0)
	v_mul_f64 v[140:141], v[198:199], v[142:143]
	v_add_f64 v[122:123], v[122:123], -v[212:213]
	v_fma_f64 v[140:141], v[196:197], v[206:207], -v[140:141]
	v_mul_f64 v[196:197], v[196:197], v[142:143]
	ds_read2_b64 v[212:215], v208 offset0:38 offset1:39
	v_fmac_f64_e32 v[196:197], v[198:199], v[206:207]
	s_waitcnt vmcnt(30)
	v_add_f64 v[118:119], v[118:119], -v[196:197]
	ds_read2_b64 v[196:199], v208 offset0:40 offset1:41
	v_add_f64 v[116:117], v[116:117], -v[140:141]
	;; [unrolled: 18-line block ×16, first 2 shown]
	s_waitcnt lgkmcnt(1)
	v_mul_f64 v[140:141], v[214:215], v[142:143]
	v_fma_f64 v[140:141], v[212:213], v[206:207], -v[140:141]
	s_waitcnt vmcnt(1)
	v_add_f64 v[0:1], v[0:1], -v[140:141]
	s_waitcnt lgkmcnt(0)
	v_mul_f64 v[140:141], v[198:199], v[142:143]
	v_mul_f64 v[212:213], v[212:213], v[142:143]
	v_fma_f64 v[140:141], v[196:197], v[206:207], -v[140:141]
	v_mul_f64 v[196:197], v[196:197], v[142:143]
	v_fmac_f64_e32 v[212:213], v[214:215], v[206:207]
	v_fmac_f64_e32 v[196:197], v[198:199], v[206:207]
	v_add_f64 v[2:3], v[2:3], -v[212:213]
	s_waitcnt vmcnt(0)
	v_add_f64 v[192:193], v[192:193], -v[140:141]
	v_add_f64 v[194:195], v[194:195], -v[196:197]
	v_mov_b64_e32 v[140:141], v[206:207]
.LBB96_314:
	s_or_b64 exec, exec, s[0:1]
	v_lshl_add_u32 v196, v209, 4, v208
	s_barrier
	s_waitcnt vmcnt(33)
	ds_write2_b64 v196, v[136:137], v[138:139] offset1:1
	s_waitcnt lgkmcnt(0)
	s_barrier
	ds_read2_b64 v[196:199], v208 offset0:30 offset1:31
	s_cmp_lt_i32 s20, 17
	v_mov_b32_e32 v206, 15
	s_cbranch_scc1 .LBB96_317
; %bb.315:
	v_add_u32_e32 v207, 0x100, v208
	s_mov_b32 s16, 16
	v_mov_b32_e32 v206, 15
.LBB96_316:                             ; =>This Inner Loop Header: Depth=1
	ds_read2_b64 v[212:215], v207 offset1:1
	s_waitcnt lgkmcnt(1)
	v_xor_b32_e32 v217, 0x80000000, v197
	v_xor_b32_e32 v219, 0x80000000, v199
	v_cmp_gt_f64_e32 vcc, 0, v[198:199]
	v_cmp_gt_f64_e64 s[0:1], 0, v[196:197]
	v_mov_b32_e32 v216, v196
	v_mov_b32_e32 v218, v198
	v_cndmask_b32_e64 v217, v197, v217, s[0:1]
	v_cndmask_b32_e32 v219, v199, v219, vcc
	v_add_f64 v[216:217], v[216:217], v[218:219]
	s_waitcnt lgkmcnt(0)
	v_xor_b32_e32 v219, 0x80000000, v213
	v_xor_b32_e32 v221, 0x80000000, v215
	v_cmp_gt_f64_e32 vcc, 0, v[214:215]
	v_cmp_gt_f64_e64 s[0:1], 0, v[212:213]
	v_mov_b32_e32 v218, v212
	v_mov_b32_e32 v220, v214
	v_cndmask_b32_e64 v219, v213, v219, s[0:1]
	v_cndmask_b32_e32 v221, v215, v221, vcc
	v_add_f64 v[218:219], v[218:219], v[220:221]
	v_mov_b32_e32 v222, s16
	s_add_i32 s16, s16, 1
	v_cmp_lt_f64_e32 vcc, v[216:217], v[218:219]
	v_add_u32_e32 v207, 16, v207
	s_cmp_lg_u32 s20, s16
	v_cndmask_b32_e32 v197, v197, v213, vcc
	v_cndmask_b32_e32 v196, v196, v212, vcc
	v_cndmask_b32_e32 v199, v199, v215, vcc
	v_cndmask_b32_e32 v198, v198, v214, vcc
	v_cndmask_b32_e32 v206, v206, v222, vcc
	s_cbranch_scc1 .LBB96_316
.LBB96_317:
	s_waitcnt lgkmcnt(0)
	v_cmp_eq_f64_e32 vcc, 0, v[196:197]
	v_cmp_eq_f64_e64 s[0:1], 0, v[198:199]
	s_and_b64 s[0:1], vcc, s[0:1]
	s_and_saveexec_b64 s[16:17], s[0:1]
	s_xor_b64 s[0:1], exec, s[16:17]
; %bb.318:
	v_cmp_ne_u32_e32 vcc, 0, v210
	s_nop 1
	v_cndmask_b32_e32 v210, 16, v210, vcc
; %bb.319:
	s_andn2_saveexec_b64 s[0:1], s[0:1]
	s_cbranch_execz .LBB96_325
; %bb.320:
	v_cmp_ngt_f64_e64 s[16:17], |v[196:197]|, |v[198:199]|
	s_and_saveexec_b64 s[18:19], s[16:17]
	s_xor_b64 s[16:17], exec, s[18:19]
	s_cbranch_execz .LBB96_322
; %bb.321:
	v_div_scale_f64 v[212:213], s[18:19], v[198:199], v[198:199], v[196:197]
	v_rcp_f64_e32 v[214:215], v[212:213]
	v_div_scale_f64 v[216:217], vcc, v[196:197], v[198:199], v[196:197]
	v_fma_f64 v[218:219], -v[212:213], v[214:215], 1.0
	v_fmac_f64_e32 v[214:215], v[214:215], v[218:219]
	v_fma_f64 v[218:219], -v[212:213], v[214:215], 1.0
	v_fmac_f64_e32 v[214:215], v[214:215], v[218:219]
	v_mul_f64 v[218:219], v[216:217], v[214:215]
	v_fma_f64 v[212:213], -v[212:213], v[218:219], v[216:217]
	v_div_fmas_f64 v[212:213], v[212:213], v[214:215], v[218:219]
	v_div_fixup_f64 v[212:213], v[212:213], v[198:199], v[196:197]
	v_fmac_f64_e32 v[198:199], v[196:197], v[212:213]
	v_div_scale_f64 v[196:197], s[18:19], v[198:199], v[198:199], 1.0
	v_rcp_f64_e32 v[214:215], v[196:197]
	s_nop 0
	v_fma_f64 v[216:217], -v[196:197], v[214:215], 1.0
	v_fmac_f64_e32 v[214:215], v[214:215], v[216:217]
	v_fma_f64 v[216:217], -v[196:197], v[214:215], 1.0
	v_fmac_f64_e32 v[214:215], v[214:215], v[216:217]
	v_div_scale_f64 v[216:217], vcc, 1.0, v[198:199], 1.0
	v_mul_f64 v[218:219], v[216:217], v[214:215]
	v_fma_f64 v[196:197], -v[196:197], v[218:219], v[216:217]
	s_nop 1
	v_div_fmas_f64 v[196:197], v[196:197], v[214:215], v[218:219]
	v_div_fixup_f64 v[198:199], v[196:197], v[198:199], 1.0
	v_mul_f64 v[196:197], v[212:213], v[198:199]
	v_xor_b32_e32 v199, 0x80000000, v199
.LBB96_322:
	s_andn2_saveexec_b64 s[16:17], s[16:17]
	s_cbranch_execz .LBB96_324
; %bb.323:
	v_div_scale_f64 v[212:213], s[18:19], v[196:197], v[196:197], v[198:199]
	v_rcp_f64_e32 v[214:215], v[212:213]
	v_div_scale_f64 v[216:217], vcc, v[198:199], v[196:197], v[198:199]
	v_fma_f64 v[218:219], -v[212:213], v[214:215], 1.0
	v_fmac_f64_e32 v[214:215], v[214:215], v[218:219]
	v_fma_f64 v[218:219], -v[212:213], v[214:215], 1.0
	v_fmac_f64_e32 v[214:215], v[214:215], v[218:219]
	v_mul_f64 v[218:219], v[216:217], v[214:215]
	v_fma_f64 v[212:213], -v[212:213], v[218:219], v[216:217]
	v_div_fmas_f64 v[212:213], v[212:213], v[214:215], v[218:219]
	v_div_fixup_f64 v[212:213], v[212:213], v[196:197], v[198:199]
	v_fmac_f64_e32 v[196:197], v[198:199], v[212:213]
	v_div_scale_f64 v[198:199], s[18:19], v[196:197], v[196:197], 1.0
	v_rcp_f64_e32 v[214:215], v[198:199]
	s_nop 0
	v_fma_f64 v[216:217], -v[198:199], v[214:215], 1.0
	v_fmac_f64_e32 v[214:215], v[214:215], v[216:217]
	v_fma_f64 v[216:217], -v[198:199], v[214:215], 1.0
	v_fmac_f64_e32 v[214:215], v[214:215], v[216:217]
	v_div_scale_f64 v[216:217], vcc, 1.0, v[196:197], 1.0
	v_mul_f64 v[218:219], v[216:217], v[214:215]
	v_fma_f64 v[198:199], -v[198:199], v[218:219], v[216:217]
	s_nop 1
	v_div_fmas_f64 v[198:199], v[198:199], v[214:215], v[218:219]
	v_div_fixup_f64 v[196:197], v[198:199], v[196:197], 1.0
	v_mul_f64 v[198:199], v[212:213], -v[196:197]
.LBB96_324:
	s_or_b64 exec, exec, s[16:17]
.LBB96_325:
	s_or_b64 exec, exec, s[0:1]
	v_cmp_ne_u32_e32 vcc, v209, v206
	s_and_saveexec_b64 s[0:1], vcc
	s_xor_b64 s[0:1], exec, s[0:1]
	s_cbranch_execz .LBB96_331
; %bb.326:
	v_cmp_eq_u32_e32 vcc, 15, v209
	s_and_saveexec_b64 s[16:17], vcc
	s_cbranch_execz .LBB96_330
; %bb.327:
	v_cmp_ne_u32_e32 vcc, 15, v206
	s_xor_b64 s[18:19], s[14:15], -1
	s_and_b64 s[22:23], s[18:19], vcc
	s_and_saveexec_b64 s[18:19], s[22:23]
	s_cbranch_execz .LBB96_329
; %bb.328:
	v_ashrrev_i32_e32 v207, 31, v206
	v_lshl_add_u64 v[212:213], v[206:207], 2, v[204:205]
	global_load_dword v207, v[212:213], off
	global_load_dword v209, v[204:205], off offset:60
	s_waitcnt vmcnt(1)
	global_store_dword v[204:205], v207, off offset:60
	s_waitcnt vmcnt(1)
	global_store_dword v[212:213], v209, off
.LBB96_329:
	s_or_b64 exec, exec, s[18:19]
	v_mov_b32_e32 v209, v206
	v_mov_b32_e32 v211, v206
.LBB96_330:
	s_or_b64 exec, exec, s[16:17]
.LBB96_331:
	s_andn2_saveexec_b64 s[0:1], s[0:1]
	s_cbranch_execz .LBB96_333
; %bb.332:
	v_mov_b32_e32 v209, 15
	s_waitcnt vmcnt(32)
	ds_write2_b64 v208, v[128:129], v[130:131] offset0:32 offset1:33
	s_waitcnt vmcnt(31)
	ds_write2_b64 v208, v[120:121], v[122:123] offset0:34 offset1:35
	;; [unrolled: 2-line block ×33, first 2 shown]
.LBB96_333:
	s_or_b64 exec, exec, s[0:1]
	v_cmp_lt_i32_e32 vcc, 15, v209
	s_waitcnt lgkmcnt(0)
	s_barrier
	s_and_saveexec_b64 s[0:1], vcc
	s_cbranch_execz .LBB96_335
; %bb.334:
	ds_read2_b64 v[212:215], v208 offset0:32 offset1:33
	v_mul_f64 v[206:207], v[198:199], v[138:139]
	v_mul_f64 v[138:139], v[196:197], v[138:139]
	v_fmac_f64_e32 v[138:139], v[198:199], v[136:137]
	v_fma_f64 v[206:207], v[196:197], v[136:137], -v[206:207]
	ds_read2_b64 v[196:199], v208 offset0:34 offset1:35
	s_waitcnt lgkmcnt(1)
	v_mul_f64 v[136:137], v[214:215], v[138:139]
	v_fma_f64 v[136:137], v[212:213], v[206:207], -v[136:137]
	v_mul_f64 v[212:213], v[212:213], v[138:139]
	v_fmac_f64_e32 v[212:213], v[214:215], v[206:207]
	s_waitcnt vmcnt(32)
	v_add_f64 v[130:131], v[130:131], -v[212:213]
	ds_read2_b64 v[212:215], v208 offset0:36 offset1:37
	v_add_f64 v[128:129], v[128:129], -v[136:137]
	s_waitcnt lgkmcnt(1)
	v_mul_f64 v[136:137], v[198:199], v[138:139]
	v_fma_f64 v[136:137], v[196:197], v[206:207], -v[136:137]
	v_mul_f64 v[196:197], v[196:197], v[138:139]
	v_fmac_f64_e32 v[196:197], v[198:199], v[206:207]
	s_waitcnt vmcnt(31)
	v_add_f64 v[120:121], v[120:121], -v[136:137]
	v_add_f64 v[122:123], v[122:123], -v[196:197]
	ds_read2_b64 v[196:199], v208 offset0:38 offset1:39
	s_waitcnt lgkmcnt(1)
	v_mul_f64 v[136:137], v[214:215], v[138:139]
	v_fma_f64 v[136:137], v[212:213], v[206:207], -v[136:137]
	v_mul_f64 v[212:213], v[212:213], v[138:139]
	v_fmac_f64_e32 v[212:213], v[214:215], v[206:207]
	s_waitcnt vmcnt(30)
	v_add_f64 v[118:119], v[118:119], -v[212:213]
	ds_read2_b64 v[212:215], v208 offset0:40 offset1:41
	v_add_f64 v[116:117], v[116:117], -v[136:137]
	s_waitcnt lgkmcnt(1)
	v_mul_f64 v[136:137], v[198:199], v[138:139]
	v_fma_f64 v[136:137], v[196:197], v[206:207], -v[136:137]
	v_mul_f64 v[196:197], v[196:197], v[138:139]
	v_fmac_f64_e32 v[196:197], v[198:199], v[206:207]
	s_waitcnt vmcnt(29)
	v_add_f64 v[112:113], v[112:113], -v[136:137]
	v_add_f64 v[114:115], v[114:115], -v[196:197]
	;; [unrolled: 18-line block ×16, first 2 shown]
	s_waitcnt lgkmcnt(0)
	v_mul_f64 v[136:137], v[214:215], v[138:139]
	v_mul_f64 v[196:197], v[212:213], v[138:139]
	v_fma_f64 v[136:137], v[212:213], v[206:207], -v[136:137]
	v_fmac_f64_e32 v[196:197], v[214:215], v[206:207]
	s_waitcnt vmcnt(0)
	v_add_f64 v[192:193], v[192:193], -v[136:137]
	v_add_f64 v[194:195], v[194:195], -v[196:197]
	v_mov_b64_e32 v[136:137], v[206:207]
.LBB96_335:
	s_or_b64 exec, exec, s[0:1]
	v_lshl_add_u32 v196, v209, 4, v208
	s_barrier
	s_waitcnt vmcnt(32)
	ds_write2_b64 v196, v[128:129], v[130:131] offset1:1
	s_waitcnt lgkmcnt(0)
	s_barrier
	ds_read2_b64 v[196:199], v208 offset0:32 offset1:33
	s_cmp_lt_i32 s20, 18
	v_mov_b32_e32 v206, 16
	s_cbranch_scc1 .LBB96_338
; %bb.336:
	v_add_u32_e32 v207, 0x110, v208
	s_mov_b32 s16, 17
	v_mov_b32_e32 v206, 16
.LBB96_337:                             ; =>This Inner Loop Header: Depth=1
	ds_read2_b64 v[212:215], v207 offset1:1
	s_waitcnt lgkmcnt(1)
	v_xor_b32_e32 v217, 0x80000000, v197
	v_xor_b32_e32 v219, 0x80000000, v199
	v_cmp_gt_f64_e32 vcc, 0, v[198:199]
	v_cmp_gt_f64_e64 s[0:1], 0, v[196:197]
	v_mov_b32_e32 v216, v196
	v_mov_b32_e32 v218, v198
	v_cndmask_b32_e64 v217, v197, v217, s[0:1]
	v_cndmask_b32_e32 v219, v199, v219, vcc
	v_add_f64 v[216:217], v[216:217], v[218:219]
	s_waitcnt lgkmcnt(0)
	v_xor_b32_e32 v219, 0x80000000, v213
	v_xor_b32_e32 v221, 0x80000000, v215
	v_cmp_gt_f64_e32 vcc, 0, v[214:215]
	v_cmp_gt_f64_e64 s[0:1], 0, v[212:213]
	v_mov_b32_e32 v218, v212
	v_mov_b32_e32 v220, v214
	v_cndmask_b32_e64 v219, v213, v219, s[0:1]
	v_cndmask_b32_e32 v221, v215, v221, vcc
	v_add_f64 v[218:219], v[218:219], v[220:221]
	v_mov_b32_e32 v222, s16
	s_add_i32 s16, s16, 1
	v_cmp_lt_f64_e32 vcc, v[216:217], v[218:219]
	v_add_u32_e32 v207, 16, v207
	s_cmp_lg_u32 s20, s16
	v_cndmask_b32_e32 v197, v197, v213, vcc
	v_cndmask_b32_e32 v196, v196, v212, vcc
	;; [unrolled: 1-line block ×5, first 2 shown]
	s_cbranch_scc1 .LBB96_337
.LBB96_338:
	s_waitcnt lgkmcnt(0)
	v_cmp_eq_f64_e32 vcc, 0, v[196:197]
	v_cmp_eq_f64_e64 s[0:1], 0, v[198:199]
	s_and_b64 s[0:1], vcc, s[0:1]
	s_and_saveexec_b64 s[16:17], s[0:1]
	s_xor_b64 s[0:1], exec, s[16:17]
; %bb.339:
	v_cmp_ne_u32_e32 vcc, 0, v210
	s_nop 1
	v_cndmask_b32_e32 v210, 17, v210, vcc
; %bb.340:
	s_andn2_saveexec_b64 s[0:1], s[0:1]
	s_cbranch_execz .LBB96_346
; %bb.341:
	v_cmp_ngt_f64_e64 s[16:17], |v[196:197]|, |v[198:199]|
	s_and_saveexec_b64 s[18:19], s[16:17]
	s_xor_b64 s[16:17], exec, s[18:19]
	s_cbranch_execz .LBB96_343
; %bb.342:
	v_div_scale_f64 v[212:213], s[18:19], v[198:199], v[198:199], v[196:197]
	v_rcp_f64_e32 v[214:215], v[212:213]
	v_div_scale_f64 v[216:217], vcc, v[196:197], v[198:199], v[196:197]
	v_fma_f64 v[218:219], -v[212:213], v[214:215], 1.0
	v_fmac_f64_e32 v[214:215], v[214:215], v[218:219]
	v_fma_f64 v[218:219], -v[212:213], v[214:215], 1.0
	v_fmac_f64_e32 v[214:215], v[214:215], v[218:219]
	v_mul_f64 v[218:219], v[216:217], v[214:215]
	v_fma_f64 v[212:213], -v[212:213], v[218:219], v[216:217]
	v_div_fmas_f64 v[212:213], v[212:213], v[214:215], v[218:219]
	v_div_fixup_f64 v[212:213], v[212:213], v[198:199], v[196:197]
	v_fmac_f64_e32 v[198:199], v[196:197], v[212:213]
	v_div_scale_f64 v[196:197], s[18:19], v[198:199], v[198:199], 1.0
	v_rcp_f64_e32 v[214:215], v[196:197]
	s_nop 0
	v_fma_f64 v[216:217], -v[196:197], v[214:215], 1.0
	v_fmac_f64_e32 v[214:215], v[214:215], v[216:217]
	v_fma_f64 v[216:217], -v[196:197], v[214:215], 1.0
	v_fmac_f64_e32 v[214:215], v[214:215], v[216:217]
	v_div_scale_f64 v[216:217], vcc, 1.0, v[198:199], 1.0
	v_mul_f64 v[218:219], v[216:217], v[214:215]
	v_fma_f64 v[196:197], -v[196:197], v[218:219], v[216:217]
	s_nop 1
	v_div_fmas_f64 v[196:197], v[196:197], v[214:215], v[218:219]
	v_div_fixup_f64 v[198:199], v[196:197], v[198:199], 1.0
	v_mul_f64 v[196:197], v[212:213], v[198:199]
	v_xor_b32_e32 v199, 0x80000000, v199
.LBB96_343:
	s_andn2_saveexec_b64 s[16:17], s[16:17]
	s_cbranch_execz .LBB96_345
; %bb.344:
	v_div_scale_f64 v[212:213], s[18:19], v[196:197], v[196:197], v[198:199]
	v_rcp_f64_e32 v[214:215], v[212:213]
	v_div_scale_f64 v[216:217], vcc, v[198:199], v[196:197], v[198:199]
	v_fma_f64 v[218:219], -v[212:213], v[214:215], 1.0
	v_fmac_f64_e32 v[214:215], v[214:215], v[218:219]
	v_fma_f64 v[218:219], -v[212:213], v[214:215], 1.0
	v_fmac_f64_e32 v[214:215], v[214:215], v[218:219]
	v_mul_f64 v[218:219], v[216:217], v[214:215]
	v_fma_f64 v[212:213], -v[212:213], v[218:219], v[216:217]
	v_div_fmas_f64 v[212:213], v[212:213], v[214:215], v[218:219]
	v_div_fixup_f64 v[212:213], v[212:213], v[196:197], v[198:199]
	v_fmac_f64_e32 v[196:197], v[198:199], v[212:213]
	v_div_scale_f64 v[198:199], s[18:19], v[196:197], v[196:197], 1.0
	v_rcp_f64_e32 v[214:215], v[198:199]
	s_nop 0
	v_fma_f64 v[216:217], -v[198:199], v[214:215], 1.0
	v_fmac_f64_e32 v[214:215], v[214:215], v[216:217]
	v_fma_f64 v[216:217], -v[198:199], v[214:215], 1.0
	v_fmac_f64_e32 v[214:215], v[214:215], v[216:217]
	v_div_scale_f64 v[216:217], vcc, 1.0, v[196:197], 1.0
	v_mul_f64 v[218:219], v[216:217], v[214:215]
	v_fma_f64 v[198:199], -v[198:199], v[218:219], v[216:217]
	s_nop 1
	v_div_fmas_f64 v[198:199], v[198:199], v[214:215], v[218:219]
	v_div_fixup_f64 v[196:197], v[198:199], v[196:197], 1.0
	v_mul_f64 v[198:199], v[212:213], -v[196:197]
.LBB96_345:
	s_or_b64 exec, exec, s[16:17]
.LBB96_346:
	s_or_b64 exec, exec, s[0:1]
	v_cmp_ne_u32_e32 vcc, v209, v206
	s_and_saveexec_b64 s[0:1], vcc
	s_xor_b64 s[0:1], exec, s[0:1]
	s_cbranch_execz .LBB96_352
; %bb.347:
	v_cmp_eq_u32_e32 vcc, 16, v209
	s_and_saveexec_b64 s[16:17], vcc
	s_cbranch_execz .LBB96_351
; %bb.348:
	v_cmp_ne_u32_e32 vcc, 16, v206
	s_xor_b64 s[18:19], s[14:15], -1
	s_and_b64 s[22:23], s[18:19], vcc
	s_and_saveexec_b64 s[18:19], s[22:23]
	s_cbranch_execz .LBB96_350
; %bb.349:
	v_ashrrev_i32_e32 v207, 31, v206
	v_lshl_add_u64 v[212:213], v[206:207], 2, v[204:205]
	global_load_dword v207, v[212:213], off
	global_load_dword v209, v[204:205], off offset:64
	s_waitcnt vmcnt(1)
	global_store_dword v[204:205], v207, off offset:64
	s_waitcnt vmcnt(1)
	global_store_dword v[212:213], v209, off
.LBB96_350:
	s_or_b64 exec, exec, s[18:19]
	v_mov_b32_e32 v209, v206
	v_mov_b32_e32 v211, v206
.LBB96_351:
	s_or_b64 exec, exec, s[16:17]
.LBB96_352:
	s_andn2_saveexec_b64 s[0:1], s[0:1]
	s_cbranch_execz .LBB96_354
; %bb.353:
	v_mov_b32_e32 v209, 16
	s_waitcnt vmcnt(31)
	ds_write2_b64 v208, v[120:121], v[122:123] offset0:34 offset1:35
	s_waitcnt vmcnt(30)
	ds_write2_b64 v208, v[116:117], v[118:119] offset0:36 offset1:37
	;; [unrolled: 2-line block ×32, first 2 shown]
.LBB96_354:
	s_or_b64 exec, exec, s[0:1]
	v_cmp_lt_i32_e32 vcc, 16, v209
	s_waitcnt lgkmcnt(0)
	s_barrier
	s_and_saveexec_b64 s[0:1], vcc
	s_cbranch_execz .LBB96_356
; %bb.355:
	ds_read2_b64 v[212:215], v208 offset0:34 offset1:35
	v_mul_f64 v[206:207], v[198:199], v[130:131]
	v_mul_f64 v[130:131], v[196:197], v[130:131]
	v_fma_f64 v[206:207], v[196:197], v[128:129], -v[206:207]
	v_fmac_f64_e32 v[130:131], v[198:199], v[128:129]
	ds_read2_b64 v[196:199], v208 offset0:36 offset1:37
	s_waitcnt lgkmcnt(1)
	v_mul_f64 v[128:129], v[214:215], v[130:131]
	v_fma_f64 v[128:129], v[212:213], v[206:207], -v[128:129]
	v_mul_f64 v[212:213], v[212:213], v[130:131]
	v_fmac_f64_e32 v[212:213], v[214:215], v[206:207]
	s_waitcnt vmcnt(31)
	v_add_f64 v[120:121], v[120:121], -v[128:129]
	s_waitcnt lgkmcnt(0)
	v_mul_f64 v[128:129], v[198:199], v[130:131]
	v_add_f64 v[122:123], v[122:123], -v[212:213]
	v_fma_f64 v[128:129], v[196:197], v[206:207], -v[128:129]
	v_mul_f64 v[196:197], v[196:197], v[130:131]
	ds_read2_b64 v[212:215], v208 offset0:38 offset1:39
	v_fmac_f64_e32 v[196:197], v[198:199], v[206:207]
	s_waitcnt vmcnt(30)
	v_add_f64 v[118:119], v[118:119], -v[196:197]
	ds_read2_b64 v[196:199], v208 offset0:40 offset1:41
	v_add_f64 v[116:117], v[116:117], -v[128:129]
	s_waitcnt lgkmcnt(1)
	v_mul_f64 v[128:129], v[214:215], v[130:131]
	v_fma_f64 v[128:129], v[212:213], v[206:207], -v[128:129]
	v_mul_f64 v[212:213], v[212:213], v[130:131]
	v_fmac_f64_e32 v[212:213], v[214:215], v[206:207]
	s_waitcnt vmcnt(29)
	v_add_f64 v[112:113], v[112:113], -v[128:129]
	s_waitcnt lgkmcnt(0)
	v_mul_f64 v[128:129], v[198:199], v[130:131]
	v_add_f64 v[114:115], v[114:115], -v[212:213]
	v_fma_f64 v[128:129], v[196:197], v[206:207], -v[128:129]
	v_mul_f64 v[196:197], v[196:197], v[130:131]
	ds_read2_b64 v[212:215], v208 offset0:42 offset1:43
	v_fmac_f64_e32 v[196:197], v[198:199], v[206:207]
	s_waitcnt vmcnt(28)
	v_add_f64 v[110:111], v[110:111], -v[196:197]
	ds_read2_b64 v[196:199], v208 offset0:44 offset1:45
	v_add_f64 v[108:109], v[108:109], -v[128:129]
	;; [unrolled: 18-line block ×15, first 2 shown]
	s_waitcnt lgkmcnt(1)
	v_mul_f64 v[128:129], v[214:215], v[130:131]
	v_fma_f64 v[128:129], v[212:213], v[206:207], -v[128:129]
	s_waitcnt vmcnt(1)
	v_add_f64 v[0:1], v[0:1], -v[128:129]
	s_waitcnt lgkmcnt(0)
	v_mul_f64 v[128:129], v[198:199], v[130:131]
	v_mul_f64 v[212:213], v[212:213], v[130:131]
	v_fma_f64 v[128:129], v[196:197], v[206:207], -v[128:129]
	v_mul_f64 v[196:197], v[196:197], v[130:131]
	v_fmac_f64_e32 v[212:213], v[214:215], v[206:207]
	v_fmac_f64_e32 v[196:197], v[198:199], v[206:207]
	v_add_f64 v[2:3], v[2:3], -v[212:213]
	s_waitcnt vmcnt(0)
	v_add_f64 v[192:193], v[192:193], -v[128:129]
	v_add_f64 v[194:195], v[194:195], -v[196:197]
	v_mov_b64_e32 v[128:129], v[206:207]
.LBB96_356:
	s_or_b64 exec, exec, s[0:1]
	v_lshl_add_u32 v196, v209, 4, v208
	s_barrier
	s_waitcnt vmcnt(31)
	ds_write2_b64 v196, v[120:121], v[122:123] offset1:1
	s_waitcnt lgkmcnt(0)
	s_barrier
	ds_read2_b64 v[196:199], v208 offset0:34 offset1:35
	s_cmp_lt_i32 s20, 19
	v_mov_b32_e32 v206, 17
	s_cbranch_scc1 .LBB96_359
; %bb.357:
	v_add_u32_e32 v207, 0x120, v208
	s_mov_b32 s16, 18
	v_mov_b32_e32 v206, 17
.LBB96_358:                             ; =>This Inner Loop Header: Depth=1
	ds_read2_b64 v[212:215], v207 offset1:1
	s_waitcnt lgkmcnt(1)
	v_xor_b32_e32 v217, 0x80000000, v197
	v_xor_b32_e32 v219, 0x80000000, v199
	v_cmp_gt_f64_e32 vcc, 0, v[198:199]
	v_cmp_gt_f64_e64 s[0:1], 0, v[196:197]
	v_mov_b32_e32 v216, v196
	v_mov_b32_e32 v218, v198
	v_cndmask_b32_e64 v217, v197, v217, s[0:1]
	v_cndmask_b32_e32 v219, v199, v219, vcc
	v_add_f64 v[216:217], v[216:217], v[218:219]
	s_waitcnt lgkmcnt(0)
	v_xor_b32_e32 v219, 0x80000000, v213
	v_xor_b32_e32 v221, 0x80000000, v215
	v_cmp_gt_f64_e32 vcc, 0, v[214:215]
	v_cmp_gt_f64_e64 s[0:1], 0, v[212:213]
	v_mov_b32_e32 v218, v212
	v_mov_b32_e32 v220, v214
	v_cndmask_b32_e64 v219, v213, v219, s[0:1]
	v_cndmask_b32_e32 v221, v215, v221, vcc
	v_add_f64 v[218:219], v[218:219], v[220:221]
	v_mov_b32_e32 v222, s16
	s_add_i32 s16, s16, 1
	v_cmp_lt_f64_e32 vcc, v[216:217], v[218:219]
	v_add_u32_e32 v207, 16, v207
	s_cmp_lg_u32 s20, s16
	v_cndmask_b32_e32 v197, v197, v213, vcc
	v_cndmask_b32_e32 v196, v196, v212, vcc
	;; [unrolled: 1-line block ×5, first 2 shown]
	s_cbranch_scc1 .LBB96_358
.LBB96_359:
	s_waitcnt lgkmcnt(0)
	v_cmp_eq_f64_e32 vcc, 0, v[196:197]
	v_cmp_eq_f64_e64 s[0:1], 0, v[198:199]
	s_and_b64 s[0:1], vcc, s[0:1]
	s_and_saveexec_b64 s[16:17], s[0:1]
	s_xor_b64 s[0:1], exec, s[16:17]
; %bb.360:
	v_cmp_ne_u32_e32 vcc, 0, v210
	s_nop 1
	v_cndmask_b32_e32 v210, 18, v210, vcc
; %bb.361:
	s_andn2_saveexec_b64 s[0:1], s[0:1]
	s_cbranch_execz .LBB96_367
; %bb.362:
	v_cmp_ngt_f64_e64 s[16:17], |v[196:197]|, |v[198:199]|
	s_and_saveexec_b64 s[18:19], s[16:17]
	s_xor_b64 s[16:17], exec, s[18:19]
	s_cbranch_execz .LBB96_364
; %bb.363:
	v_div_scale_f64 v[212:213], s[18:19], v[198:199], v[198:199], v[196:197]
	v_rcp_f64_e32 v[214:215], v[212:213]
	v_div_scale_f64 v[216:217], vcc, v[196:197], v[198:199], v[196:197]
	v_fma_f64 v[218:219], -v[212:213], v[214:215], 1.0
	v_fmac_f64_e32 v[214:215], v[214:215], v[218:219]
	v_fma_f64 v[218:219], -v[212:213], v[214:215], 1.0
	v_fmac_f64_e32 v[214:215], v[214:215], v[218:219]
	v_mul_f64 v[218:219], v[216:217], v[214:215]
	v_fma_f64 v[212:213], -v[212:213], v[218:219], v[216:217]
	v_div_fmas_f64 v[212:213], v[212:213], v[214:215], v[218:219]
	v_div_fixup_f64 v[212:213], v[212:213], v[198:199], v[196:197]
	v_fmac_f64_e32 v[198:199], v[196:197], v[212:213]
	v_div_scale_f64 v[196:197], s[18:19], v[198:199], v[198:199], 1.0
	v_rcp_f64_e32 v[214:215], v[196:197]
	s_nop 0
	v_fma_f64 v[216:217], -v[196:197], v[214:215], 1.0
	v_fmac_f64_e32 v[214:215], v[214:215], v[216:217]
	v_fma_f64 v[216:217], -v[196:197], v[214:215], 1.0
	v_fmac_f64_e32 v[214:215], v[214:215], v[216:217]
	v_div_scale_f64 v[216:217], vcc, 1.0, v[198:199], 1.0
	v_mul_f64 v[218:219], v[216:217], v[214:215]
	v_fma_f64 v[196:197], -v[196:197], v[218:219], v[216:217]
	s_nop 1
	v_div_fmas_f64 v[196:197], v[196:197], v[214:215], v[218:219]
	v_div_fixup_f64 v[198:199], v[196:197], v[198:199], 1.0
	v_mul_f64 v[196:197], v[212:213], v[198:199]
	v_xor_b32_e32 v199, 0x80000000, v199
.LBB96_364:
	s_andn2_saveexec_b64 s[16:17], s[16:17]
	s_cbranch_execz .LBB96_366
; %bb.365:
	v_div_scale_f64 v[212:213], s[18:19], v[196:197], v[196:197], v[198:199]
	v_rcp_f64_e32 v[214:215], v[212:213]
	v_div_scale_f64 v[216:217], vcc, v[198:199], v[196:197], v[198:199]
	v_fma_f64 v[218:219], -v[212:213], v[214:215], 1.0
	v_fmac_f64_e32 v[214:215], v[214:215], v[218:219]
	v_fma_f64 v[218:219], -v[212:213], v[214:215], 1.0
	v_fmac_f64_e32 v[214:215], v[214:215], v[218:219]
	v_mul_f64 v[218:219], v[216:217], v[214:215]
	v_fma_f64 v[212:213], -v[212:213], v[218:219], v[216:217]
	v_div_fmas_f64 v[212:213], v[212:213], v[214:215], v[218:219]
	v_div_fixup_f64 v[212:213], v[212:213], v[196:197], v[198:199]
	v_fmac_f64_e32 v[196:197], v[198:199], v[212:213]
	v_div_scale_f64 v[198:199], s[18:19], v[196:197], v[196:197], 1.0
	v_rcp_f64_e32 v[214:215], v[198:199]
	s_nop 0
	v_fma_f64 v[216:217], -v[198:199], v[214:215], 1.0
	v_fmac_f64_e32 v[214:215], v[214:215], v[216:217]
	v_fma_f64 v[216:217], -v[198:199], v[214:215], 1.0
	v_fmac_f64_e32 v[214:215], v[214:215], v[216:217]
	v_div_scale_f64 v[216:217], vcc, 1.0, v[196:197], 1.0
	v_mul_f64 v[218:219], v[216:217], v[214:215]
	v_fma_f64 v[198:199], -v[198:199], v[218:219], v[216:217]
	s_nop 1
	v_div_fmas_f64 v[198:199], v[198:199], v[214:215], v[218:219]
	v_div_fixup_f64 v[196:197], v[198:199], v[196:197], 1.0
	v_mul_f64 v[198:199], v[212:213], -v[196:197]
.LBB96_366:
	s_or_b64 exec, exec, s[16:17]
.LBB96_367:
	s_or_b64 exec, exec, s[0:1]
	v_cmp_ne_u32_e32 vcc, v209, v206
	s_and_saveexec_b64 s[0:1], vcc
	s_xor_b64 s[0:1], exec, s[0:1]
	s_cbranch_execz .LBB96_373
; %bb.368:
	v_cmp_eq_u32_e32 vcc, 17, v209
	s_and_saveexec_b64 s[16:17], vcc
	s_cbranch_execz .LBB96_372
; %bb.369:
	v_cmp_ne_u32_e32 vcc, 17, v206
	s_xor_b64 s[18:19], s[14:15], -1
	s_and_b64 s[22:23], s[18:19], vcc
	s_and_saveexec_b64 s[18:19], s[22:23]
	s_cbranch_execz .LBB96_371
; %bb.370:
	v_ashrrev_i32_e32 v207, 31, v206
	v_lshl_add_u64 v[212:213], v[206:207], 2, v[204:205]
	global_load_dword v207, v[212:213], off
	global_load_dword v209, v[204:205], off offset:68
	s_waitcnt vmcnt(1)
	global_store_dword v[204:205], v207, off offset:68
	s_waitcnt vmcnt(1)
	global_store_dword v[212:213], v209, off
.LBB96_371:
	s_or_b64 exec, exec, s[18:19]
	v_mov_b32_e32 v209, v206
	v_mov_b32_e32 v211, v206
.LBB96_372:
	s_or_b64 exec, exec, s[16:17]
.LBB96_373:
	s_andn2_saveexec_b64 s[0:1], s[0:1]
	s_cbranch_execz .LBB96_375
; %bb.374:
	v_mov_b32_e32 v209, 17
	s_waitcnt vmcnt(30)
	ds_write2_b64 v208, v[116:117], v[118:119] offset0:36 offset1:37
	s_waitcnt vmcnt(29)
	ds_write2_b64 v208, v[112:113], v[114:115] offset0:38 offset1:39
	;; [unrolled: 2-line block ×31, first 2 shown]
.LBB96_375:
	s_or_b64 exec, exec, s[0:1]
	v_cmp_lt_i32_e32 vcc, 17, v209
	s_waitcnt lgkmcnt(0)
	s_barrier
	s_and_saveexec_b64 s[0:1], vcc
	s_cbranch_execz .LBB96_377
; %bb.376:
	ds_read2_b64 v[212:215], v208 offset0:36 offset1:37
	v_mul_f64 v[206:207], v[198:199], v[122:123]
	v_mul_f64 v[122:123], v[196:197], v[122:123]
	v_fmac_f64_e32 v[122:123], v[198:199], v[120:121]
	v_fma_f64 v[206:207], v[196:197], v[120:121], -v[206:207]
	ds_read2_b64 v[196:199], v208 offset0:38 offset1:39
	s_waitcnt lgkmcnt(1)
	v_mul_f64 v[120:121], v[214:215], v[122:123]
	v_fma_f64 v[120:121], v[212:213], v[206:207], -v[120:121]
	v_mul_f64 v[212:213], v[212:213], v[122:123]
	v_fmac_f64_e32 v[212:213], v[214:215], v[206:207]
	s_waitcnt vmcnt(30)
	v_add_f64 v[118:119], v[118:119], -v[212:213]
	ds_read2_b64 v[212:215], v208 offset0:40 offset1:41
	v_add_f64 v[116:117], v[116:117], -v[120:121]
	s_waitcnt lgkmcnt(1)
	v_mul_f64 v[120:121], v[198:199], v[122:123]
	v_fma_f64 v[120:121], v[196:197], v[206:207], -v[120:121]
	v_mul_f64 v[196:197], v[196:197], v[122:123]
	v_fmac_f64_e32 v[196:197], v[198:199], v[206:207]
	s_waitcnt vmcnt(29)
	v_add_f64 v[112:113], v[112:113], -v[120:121]
	v_add_f64 v[114:115], v[114:115], -v[196:197]
	ds_read2_b64 v[196:199], v208 offset0:42 offset1:43
	s_waitcnt lgkmcnt(1)
	v_mul_f64 v[120:121], v[214:215], v[122:123]
	v_fma_f64 v[120:121], v[212:213], v[206:207], -v[120:121]
	v_mul_f64 v[212:213], v[212:213], v[122:123]
	v_fmac_f64_e32 v[212:213], v[214:215], v[206:207]
	s_waitcnt vmcnt(28)
	v_add_f64 v[110:111], v[110:111], -v[212:213]
	ds_read2_b64 v[212:215], v208 offset0:44 offset1:45
	v_add_f64 v[108:109], v[108:109], -v[120:121]
	s_waitcnt lgkmcnt(1)
	v_mul_f64 v[120:121], v[198:199], v[122:123]
	v_fma_f64 v[120:121], v[196:197], v[206:207], -v[120:121]
	v_mul_f64 v[196:197], v[196:197], v[122:123]
	v_fmac_f64_e32 v[196:197], v[198:199], v[206:207]
	s_waitcnt vmcnt(27)
	v_add_f64 v[104:105], v[104:105], -v[120:121]
	v_add_f64 v[106:107], v[106:107], -v[196:197]
	;; [unrolled: 18-line block ×15, first 2 shown]
	s_waitcnt lgkmcnt(0)
	v_mul_f64 v[120:121], v[214:215], v[122:123]
	v_mul_f64 v[196:197], v[212:213], v[122:123]
	v_fma_f64 v[120:121], v[212:213], v[206:207], -v[120:121]
	v_fmac_f64_e32 v[196:197], v[214:215], v[206:207]
	s_waitcnt vmcnt(0)
	v_add_f64 v[192:193], v[192:193], -v[120:121]
	v_add_f64 v[194:195], v[194:195], -v[196:197]
	v_mov_b64_e32 v[120:121], v[206:207]
.LBB96_377:
	s_or_b64 exec, exec, s[0:1]
	v_lshl_add_u32 v196, v209, 4, v208
	s_barrier
	s_waitcnt vmcnt(30)
	ds_write2_b64 v196, v[116:117], v[118:119] offset1:1
	s_waitcnt lgkmcnt(0)
	s_barrier
	ds_read2_b64 v[196:199], v208 offset0:36 offset1:37
	s_cmp_lt_i32 s20, 20
	v_mov_b32_e32 v206, 18
	s_cbranch_scc1 .LBB96_380
; %bb.378:
	v_add_u32_e32 v207, 0x130, v208
	s_mov_b32 s16, 19
	v_mov_b32_e32 v206, 18
.LBB96_379:                             ; =>This Inner Loop Header: Depth=1
	ds_read2_b64 v[212:215], v207 offset1:1
	s_waitcnt lgkmcnt(1)
	v_xor_b32_e32 v217, 0x80000000, v197
	v_xor_b32_e32 v219, 0x80000000, v199
	v_cmp_gt_f64_e32 vcc, 0, v[198:199]
	v_cmp_gt_f64_e64 s[0:1], 0, v[196:197]
	v_mov_b32_e32 v216, v196
	v_mov_b32_e32 v218, v198
	v_cndmask_b32_e64 v217, v197, v217, s[0:1]
	v_cndmask_b32_e32 v219, v199, v219, vcc
	v_add_f64 v[216:217], v[216:217], v[218:219]
	s_waitcnt lgkmcnt(0)
	v_xor_b32_e32 v219, 0x80000000, v213
	v_xor_b32_e32 v221, 0x80000000, v215
	v_cmp_gt_f64_e32 vcc, 0, v[214:215]
	v_cmp_gt_f64_e64 s[0:1], 0, v[212:213]
	v_mov_b32_e32 v218, v212
	v_mov_b32_e32 v220, v214
	v_cndmask_b32_e64 v219, v213, v219, s[0:1]
	v_cndmask_b32_e32 v221, v215, v221, vcc
	v_add_f64 v[218:219], v[218:219], v[220:221]
	v_mov_b32_e32 v222, s16
	s_add_i32 s16, s16, 1
	v_cmp_lt_f64_e32 vcc, v[216:217], v[218:219]
	v_add_u32_e32 v207, 16, v207
	s_cmp_lg_u32 s20, s16
	v_cndmask_b32_e32 v197, v197, v213, vcc
	v_cndmask_b32_e32 v196, v196, v212, vcc
	;; [unrolled: 1-line block ×5, first 2 shown]
	s_cbranch_scc1 .LBB96_379
.LBB96_380:
	s_waitcnt lgkmcnt(0)
	v_cmp_eq_f64_e32 vcc, 0, v[196:197]
	v_cmp_eq_f64_e64 s[0:1], 0, v[198:199]
	s_and_b64 s[0:1], vcc, s[0:1]
	s_and_saveexec_b64 s[16:17], s[0:1]
	s_xor_b64 s[0:1], exec, s[16:17]
; %bb.381:
	v_cmp_ne_u32_e32 vcc, 0, v210
	s_nop 1
	v_cndmask_b32_e32 v210, 19, v210, vcc
; %bb.382:
	s_andn2_saveexec_b64 s[0:1], s[0:1]
	s_cbranch_execz .LBB96_388
; %bb.383:
	v_cmp_ngt_f64_e64 s[16:17], |v[196:197]|, |v[198:199]|
	s_and_saveexec_b64 s[18:19], s[16:17]
	s_xor_b64 s[16:17], exec, s[18:19]
	s_cbranch_execz .LBB96_385
; %bb.384:
	v_div_scale_f64 v[212:213], s[18:19], v[198:199], v[198:199], v[196:197]
	v_rcp_f64_e32 v[214:215], v[212:213]
	v_div_scale_f64 v[216:217], vcc, v[196:197], v[198:199], v[196:197]
	v_fma_f64 v[218:219], -v[212:213], v[214:215], 1.0
	v_fmac_f64_e32 v[214:215], v[214:215], v[218:219]
	v_fma_f64 v[218:219], -v[212:213], v[214:215], 1.0
	v_fmac_f64_e32 v[214:215], v[214:215], v[218:219]
	v_mul_f64 v[218:219], v[216:217], v[214:215]
	v_fma_f64 v[212:213], -v[212:213], v[218:219], v[216:217]
	v_div_fmas_f64 v[212:213], v[212:213], v[214:215], v[218:219]
	v_div_fixup_f64 v[212:213], v[212:213], v[198:199], v[196:197]
	v_fmac_f64_e32 v[198:199], v[196:197], v[212:213]
	v_div_scale_f64 v[196:197], s[18:19], v[198:199], v[198:199], 1.0
	v_rcp_f64_e32 v[214:215], v[196:197]
	s_nop 0
	v_fma_f64 v[216:217], -v[196:197], v[214:215], 1.0
	v_fmac_f64_e32 v[214:215], v[214:215], v[216:217]
	v_fma_f64 v[216:217], -v[196:197], v[214:215], 1.0
	v_fmac_f64_e32 v[214:215], v[214:215], v[216:217]
	v_div_scale_f64 v[216:217], vcc, 1.0, v[198:199], 1.0
	v_mul_f64 v[218:219], v[216:217], v[214:215]
	v_fma_f64 v[196:197], -v[196:197], v[218:219], v[216:217]
	s_nop 1
	v_div_fmas_f64 v[196:197], v[196:197], v[214:215], v[218:219]
	v_div_fixup_f64 v[198:199], v[196:197], v[198:199], 1.0
	v_mul_f64 v[196:197], v[212:213], v[198:199]
	v_xor_b32_e32 v199, 0x80000000, v199
.LBB96_385:
	s_andn2_saveexec_b64 s[16:17], s[16:17]
	s_cbranch_execz .LBB96_387
; %bb.386:
	v_div_scale_f64 v[212:213], s[18:19], v[196:197], v[196:197], v[198:199]
	v_rcp_f64_e32 v[214:215], v[212:213]
	v_div_scale_f64 v[216:217], vcc, v[198:199], v[196:197], v[198:199]
	v_fma_f64 v[218:219], -v[212:213], v[214:215], 1.0
	v_fmac_f64_e32 v[214:215], v[214:215], v[218:219]
	v_fma_f64 v[218:219], -v[212:213], v[214:215], 1.0
	v_fmac_f64_e32 v[214:215], v[214:215], v[218:219]
	v_mul_f64 v[218:219], v[216:217], v[214:215]
	v_fma_f64 v[212:213], -v[212:213], v[218:219], v[216:217]
	v_div_fmas_f64 v[212:213], v[212:213], v[214:215], v[218:219]
	v_div_fixup_f64 v[212:213], v[212:213], v[196:197], v[198:199]
	v_fmac_f64_e32 v[196:197], v[198:199], v[212:213]
	v_div_scale_f64 v[198:199], s[18:19], v[196:197], v[196:197], 1.0
	v_rcp_f64_e32 v[214:215], v[198:199]
	s_nop 0
	v_fma_f64 v[216:217], -v[198:199], v[214:215], 1.0
	v_fmac_f64_e32 v[214:215], v[214:215], v[216:217]
	v_fma_f64 v[216:217], -v[198:199], v[214:215], 1.0
	v_fmac_f64_e32 v[214:215], v[214:215], v[216:217]
	v_div_scale_f64 v[216:217], vcc, 1.0, v[196:197], 1.0
	v_mul_f64 v[218:219], v[216:217], v[214:215]
	v_fma_f64 v[198:199], -v[198:199], v[218:219], v[216:217]
	s_nop 1
	v_div_fmas_f64 v[198:199], v[198:199], v[214:215], v[218:219]
	v_div_fixup_f64 v[196:197], v[198:199], v[196:197], 1.0
	v_mul_f64 v[198:199], v[212:213], -v[196:197]
.LBB96_387:
	s_or_b64 exec, exec, s[16:17]
.LBB96_388:
	s_or_b64 exec, exec, s[0:1]
	v_cmp_ne_u32_e32 vcc, v209, v206
	s_and_saveexec_b64 s[0:1], vcc
	s_xor_b64 s[0:1], exec, s[0:1]
	s_cbranch_execz .LBB96_394
; %bb.389:
	v_cmp_eq_u32_e32 vcc, 18, v209
	s_and_saveexec_b64 s[16:17], vcc
	s_cbranch_execz .LBB96_393
; %bb.390:
	v_cmp_ne_u32_e32 vcc, 18, v206
	s_xor_b64 s[18:19], s[14:15], -1
	s_and_b64 s[22:23], s[18:19], vcc
	s_and_saveexec_b64 s[18:19], s[22:23]
	s_cbranch_execz .LBB96_392
; %bb.391:
	v_ashrrev_i32_e32 v207, 31, v206
	v_lshl_add_u64 v[212:213], v[206:207], 2, v[204:205]
	global_load_dword v207, v[212:213], off
	global_load_dword v209, v[204:205], off offset:72
	s_waitcnt vmcnt(1)
	global_store_dword v[204:205], v207, off offset:72
	s_waitcnt vmcnt(1)
	global_store_dword v[212:213], v209, off
.LBB96_392:
	s_or_b64 exec, exec, s[18:19]
	v_mov_b32_e32 v209, v206
	v_mov_b32_e32 v211, v206
.LBB96_393:
	s_or_b64 exec, exec, s[16:17]
.LBB96_394:
	s_andn2_saveexec_b64 s[0:1], s[0:1]
	s_cbranch_execz .LBB96_396
; %bb.395:
	v_mov_b32_e32 v209, 18
	s_waitcnt vmcnt(29)
	ds_write2_b64 v208, v[112:113], v[114:115] offset0:38 offset1:39
	s_waitcnt vmcnt(28)
	ds_write2_b64 v208, v[108:109], v[110:111] offset0:40 offset1:41
	;; [unrolled: 2-line block ×30, first 2 shown]
.LBB96_396:
	s_or_b64 exec, exec, s[0:1]
	v_cmp_lt_i32_e32 vcc, 18, v209
	s_waitcnt lgkmcnt(0)
	s_barrier
	s_and_saveexec_b64 s[0:1], vcc
	s_cbranch_execz .LBB96_398
; %bb.397:
	ds_read2_b64 v[212:215], v208 offset0:38 offset1:39
	v_mul_f64 v[206:207], v[198:199], v[118:119]
	v_mul_f64 v[118:119], v[196:197], v[118:119]
	v_fma_f64 v[206:207], v[196:197], v[116:117], -v[206:207]
	v_fmac_f64_e32 v[118:119], v[198:199], v[116:117]
	ds_read2_b64 v[196:199], v208 offset0:40 offset1:41
	s_waitcnt lgkmcnt(1)
	v_mul_f64 v[116:117], v[214:215], v[118:119]
	v_fma_f64 v[116:117], v[212:213], v[206:207], -v[116:117]
	v_mul_f64 v[212:213], v[212:213], v[118:119]
	v_fmac_f64_e32 v[212:213], v[214:215], v[206:207]
	s_waitcnt vmcnt(29)
	v_add_f64 v[112:113], v[112:113], -v[116:117]
	s_waitcnt lgkmcnt(0)
	v_mul_f64 v[116:117], v[198:199], v[118:119]
	v_add_f64 v[114:115], v[114:115], -v[212:213]
	v_fma_f64 v[116:117], v[196:197], v[206:207], -v[116:117]
	v_mul_f64 v[196:197], v[196:197], v[118:119]
	ds_read2_b64 v[212:215], v208 offset0:42 offset1:43
	v_fmac_f64_e32 v[196:197], v[198:199], v[206:207]
	s_waitcnt vmcnt(28)
	v_add_f64 v[110:111], v[110:111], -v[196:197]
	ds_read2_b64 v[196:199], v208 offset0:44 offset1:45
	v_add_f64 v[108:109], v[108:109], -v[116:117]
	s_waitcnt lgkmcnt(1)
	v_mul_f64 v[116:117], v[214:215], v[118:119]
	v_fma_f64 v[116:117], v[212:213], v[206:207], -v[116:117]
	v_mul_f64 v[212:213], v[212:213], v[118:119]
	v_fmac_f64_e32 v[212:213], v[214:215], v[206:207]
	s_waitcnt vmcnt(27)
	v_add_f64 v[104:105], v[104:105], -v[116:117]
	s_waitcnt lgkmcnt(0)
	v_mul_f64 v[116:117], v[198:199], v[118:119]
	v_add_f64 v[106:107], v[106:107], -v[212:213]
	v_fma_f64 v[116:117], v[196:197], v[206:207], -v[116:117]
	v_mul_f64 v[196:197], v[196:197], v[118:119]
	ds_read2_b64 v[212:215], v208 offset0:46 offset1:47
	v_fmac_f64_e32 v[196:197], v[198:199], v[206:207]
	s_waitcnt vmcnt(26)
	v_add_f64 v[102:103], v[102:103], -v[196:197]
	ds_read2_b64 v[196:199], v208 offset0:48 offset1:49
	v_add_f64 v[100:101], v[100:101], -v[116:117]
	;; [unrolled: 18-line block ×14, first 2 shown]
	s_waitcnt lgkmcnt(1)
	v_mul_f64 v[116:117], v[214:215], v[118:119]
	v_fma_f64 v[116:117], v[212:213], v[206:207], -v[116:117]
	s_waitcnt vmcnt(1)
	v_add_f64 v[0:1], v[0:1], -v[116:117]
	s_waitcnt lgkmcnt(0)
	v_mul_f64 v[116:117], v[198:199], v[118:119]
	v_mul_f64 v[212:213], v[212:213], v[118:119]
	v_fma_f64 v[116:117], v[196:197], v[206:207], -v[116:117]
	v_mul_f64 v[196:197], v[196:197], v[118:119]
	v_fmac_f64_e32 v[212:213], v[214:215], v[206:207]
	v_fmac_f64_e32 v[196:197], v[198:199], v[206:207]
	v_add_f64 v[2:3], v[2:3], -v[212:213]
	s_waitcnt vmcnt(0)
	v_add_f64 v[192:193], v[192:193], -v[116:117]
	v_add_f64 v[194:195], v[194:195], -v[196:197]
	v_mov_b64_e32 v[116:117], v[206:207]
.LBB96_398:
	s_or_b64 exec, exec, s[0:1]
	v_lshl_add_u32 v196, v209, 4, v208
	s_barrier
	s_waitcnt vmcnt(29)
	ds_write2_b64 v196, v[112:113], v[114:115] offset1:1
	s_waitcnt lgkmcnt(0)
	s_barrier
	ds_read2_b64 v[196:199], v208 offset0:38 offset1:39
	s_cmp_lt_i32 s20, 21
	v_mov_b32_e32 v206, 19
	s_cbranch_scc1 .LBB96_401
; %bb.399:
	v_add_u32_e32 v207, 0x140, v208
	s_mov_b32 s16, 20
	v_mov_b32_e32 v206, 19
.LBB96_400:                             ; =>This Inner Loop Header: Depth=1
	ds_read2_b64 v[212:215], v207 offset1:1
	s_waitcnt lgkmcnt(1)
	v_xor_b32_e32 v217, 0x80000000, v197
	v_xor_b32_e32 v219, 0x80000000, v199
	v_cmp_gt_f64_e32 vcc, 0, v[198:199]
	v_cmp_gt_f64_e64 s[0:1], 0, v[196:197]
	v_mov_b32_e32 v216, v196
	v_mov_b32_e32 v218, v198
	v_cndmask_b32_e64 v217, v197, v217, s[0:1]
	v_cndmask_b32_e32 v219, v199, v219, vcc
	v_add_f64 v[216:217], v[216:217], v[218:219]
	s_waitcnt lgkmcnt(0)
	v_xor_b32_e32 v219, 0x80000000, v213
	v_xor_b32_e32 v221, 0x80000000, v215
	v_cmp_gt_f64_e32 vcc, 0, v[214:215]
	v_cmp_gt_f64_e64 s[0:1], 0, v[212:213]
	v_mov_b32_e32 v218, v212
	v_mov_b32_e32 v220, v214
	v_cndmask_b32_e64 v219, v213, v219, s[0:1]
	v_cndmask_b32_e32 v221, v215, v221, vcc
	v_add_f64 v[218:219], v[218:219], v[220:221]
	v_mov_b32_e32 v222, s16
	s_add_i32 s16, s16, 1
	v_cmp_lt_f64_e32 vcc, v[216:217], v[218:219]
	v_add_u32_e32 v207, 16, v207
	s_cmp_lg_u32 s20, s16
	v_cndmask_b32_e32 v197, v197, v213, vcc
	v_cndmask_b32_e32 v196, v196, v212, vcc
	v_cndmask_b32_e32 v199, v199, v215, vcc
	v_cndmask_b32_e32 v198, v198, v214, vcc
	v_cndmask_b32_e32 v206, v206, v222, vcc
	s_cbranch_scc1 .LBB96_400
.LBB96_401:
	s_waitcnt lgkmcnt(0)
	v_cmp_eq_f64_e32 vcc, 0, v[196:197]
	v_cmp_eq_f64_e64 s[0:1], 0, v[198:199]
	s_and_b64 s[0:1], vcc, s[0:1]
	s_and_saveexec_b64 s[16:17], s[0:1]
	s_xor_b64 s[0:1], exec, s[16:17]
; %bb.402:
	v_cmp_ne_u32_e32 vcc, 0, v210
	s_nop 1
	v_cndmask_b32_e32 v210, 20, v210, vcc
; %bb.403:
	s_andn2_saveexec_b64 s[0:1], s[0:1]
	s_cbranch_execz .LBB96_409
; %bb.404:
	v_cmp_ngt_f64_e64 s[16:17], |v[196:197]|, |v[198:199]|
	s_and_saveexec_b64 s[18:19], s[16:17]
	s_xor_b64 s[16:17], exec, s[18:19]
	s_cbranch_execz .LBB96_406
; %bb.405:
	v_div_scale_f64 v[212:213], s[18:19], v[198:199], v[198:199], v[196:197]
	v_rcp_f64_e32 v[214:215], v[212:213]
	v_div_scale_f64 v[216:217], vcc, v[196:197], v[198:199], v[196:197]
	v_fma_f64 v[218:219], -v[212:213], v[214:215], 1.0
	v_fmac_f64_e32 v[214:215], v[214:215], v[218:219]
	v_fma_f64 v[218:219], -v[212:213], v[214:215], 1.0
	v_fmac_f64_e32 v[214:215], v[214:215], v[218:219]
	v_mul_f64 v[218:219], v[216:217], v[214:215]
	v_fma_f64 v[212:213], -v[212:213], v[218:219], v[216:217]
	v_div_fmas_f64 v[212:213], v[212:213], v[214:215], v[218:219]
	v_div_fixup_f64 v[212:213], v[212:213], v[198:199], v[196:197]
	v_fmac_f64_e32 v[198:199], v[196:197], v[212:213]
	v_div_scale_f64 v[196:197], s[18:19], v[198:199], v[198:199], 1.0
	v_rcp_f64_e32 v[214:215], v[196:197]
	s_nop 0
	v_fma_f64 v[216:217], -v[196:197], v[214:215], 1.0
	v_fmac_f64_e32 v[214:215], v[214:215], v[216:217]
	v_fma_f64 v[216:217], -v[196:197], v[214:215], 1.0
	v_fmac_f64_e32 v[214:215], v[214:215], v[216:217]
	v_div_scale_f64 v[216:217], vcc, 1.0, v[198:199], 1.0
	v_mul_f64 v[218:219], v[216:217], v[214:215]
	v_fma_f64 v[196:197], -v[196:197], v[218:219], v[216:217]
	s_nop 1
	v_div_fmas_f64 v[196:197], v[196:197], v[214:215], v[218:219]
	v_div_fixup_f64 v[198:199], v[196:197], v[198:199], 1.0
	v_mul_f64 v[196:197], v[212:213], v[198:199]
	v_xor_b32_e32 v199, 0x80000000, v199
.LBB96_406:
	s_andn2_saveexec_b64 s[16:17], s[16:17]
	s_cbranch_execz .LBB96_408
; %bb.407:
	v_div_scale_f64 v[212:213], s[18:19], v[196:197], v[196:197], v[198:199]
	v_rcp_f64_e32 v[214:215], v[212:213]
	v_div_scale_f64 v[216:217], vcc, v[198:199], v[196:197], v[198:199]
	v_fma_f64 v[218:219], -v[212:213], v[214:215], 1.0
	v_fmac_f64_e32 v[214:215], v[214:215], v[218:219]
	v_fma_f64 v[218:219], -v[212:213], v[214:215], 1.0
	v_fmac_f64_e32 v[214:215], v[214:215], v[218:219]
	v_mul_f64 v[218:219], v[216:217], v[214:215]
	v_fma_f64 v[212:213], -v[212:213], v[218:219], v[216:217]
	v_div_fmas_f64 v[212:213], v[212:213], v[214:215], v[218:219]
	v_div_fixup_f64 v[212:213], v[212:213], v[196:197], v[198:199]
	v_fmac_f64_e32 v[196:197], v[198:199], v[212:213]
	v_div_scale_f64 v[198:199], s[18:19], v[196:197], v[196:197], 1.0
	v_rcp_f64_e32 v[214:215], v[198:199]
	s_nop 0
	v_fma_f64 v[216:217], -v[198:199], v[214:215], 1.0
	v_fmac_f64_e32 v[214:215], v[214:215], v[216:217]
	v_fma_f64 v[216:217], -v[198:199], v[214:215], 1.0
	v_fmac_f64_e32 v[214:215], v[214:215], v[216:217]
	v_div_scale_f64 v[216:217], vcc, 1.0, v[196:197], 1.0
	v_mul_f64 v[218:219], v[216:217], v[214:215]
	v_fma_f64 v[198:199], -v[198:199], v[218:219], v[216:217]
	s_nop 1
	v_div_fmas_f64 v[198:199], v[198:199], v[214:215], v[218:219]
	v_div_fixup_f64 v[196:197], v[198:199], v[196:197], 1.0
	v_mul_f64 v[198:199], v[212:213], -v[196:197]
.LBB96_408:
	s_or_b64 exec, exec, s[16:17]
.LBB96_409:
	s_or_b64 exec, exec, s[0:1]
	v_cmp_ne_u32_e32 vcc, v209, v206
	s_and_saveexec_b64 s[0:1], vcc
	s_xor_b64 s[0:1], exec, s[0:1]
	s_cbranch_execz .LBB96_415
; %bb.410:
	v_cmp_eq_u32_e32 vcc, 19, v209
	s_and_saveexec_b64 s[16:17], vcc
	s_cbranch_execz .LBB96_414
; %bb.411:
	v_cmp_ne_u32_e32 vcc, 19, v206
	s_xor_b64 s[18:19], s[14:15], -1
	s_and_b64 s[22:23], s[18:19], vcc
	s_and_saveexec_b64 s[18:19], s[22:23]
	s_cbranch_execz .LBB96_413
; %bb.412:
	v_ashrrev_i32_e32 v207, 31, v206
	v_lshl_add_u64 v[212:213], v[206:207], 2, v[204:205]
	global_load_dword v207, v[212:213], off
	global_load_dword v209, v[204:205], off offset:76
	s_waitcnt vmcnt(1)
	global_store_dword v[204:205], v207, off offset:76
	s_waitcnt vmcnt(1)
	global_store_dword v[212:213], v209, off
.LBB96_413:
	s_or_b64 exec, exec, s[18:19]
	v_mov_b32_e32 v209, v206
	v_mov_b32_e32 v211, v206
.LBB96_414:
	s_or_b64 exec, exec, s[16:17]
.LBB96_415:
	s_andn2_saveexec_b64 s[0:1], s[0:1]
	s_cbranch_execz .LBB96_417
; %bb.416:
	v_mov_b32_e32 v209, 19
	s_waitcnt vmcnt(28)
	ds_write2_b64 v208, v[108:109], v[110:111] offset0:40 offset1:41
	s_waitcnt vmcnt(27)
	ds_write2_b64 v208, v[104:105], v[106:107] offset0:42 offset1:43
	;; [unrolled: 2-line block ×29, first 2 shown]
.LBB96_417:
	s_or_b64 exec, exec, s[0:1]
	v_cmp_lt_i32_e32 vcc, 19, v209
	s_waitcnt lgkmcnt(0)
	s_barrier
	s_and_saveexec_b64 s[0:1], vcc
	s_cbranch_execz .LBB96_419
; %bb.418:
	ds_read2_b64 v[212:215], v208 offset0:40 offset1:41
	v_mul_f64 v[206:207], v[198:199], v[114:115]
	v_mul_f64 v[114:115], v[196:197], v[114:115]
	v_fmac_f64_e32 v[114:115], v[198:199], v[112:113]
	v_fma_f64 v[206:207], v[196:197], v[112:113], -v[206:207]
	ds_read2_b64 v[196:199], v208 offset0:42 offset1:43
	s_waitcnt lgkmcnt(1)
	v_mul_f64 v[112:113], v[214:215], v[114:115]
	v_fma_f64 v[112:113], v[212:213], v[206:207], -v[112:113]
	v_mul_f64 v[212:213], v[212:213], v[114:115]
	v_fmac_f64_e32 v[212:213], v[214:215], v[206:207]
	s_waitcnt vmcnt(28)
	v_add_f64 v[110:111], v[110:111], -v[212:213]
	ds_read2_b64 v[212:215], v208 offset0:44 offset1:45
	v_add_f64 v[108:109], v[108:109], -v[112:113]
	s_waitcnt lgkmcnt(1)
	v_mul_f64 v[112:113], v[198:199], v[114:115]
	v_fma_f64 v[112:113], v[196:197], v[206:207], -v[112:113]
	v_mul_f64 v[196:197], v[196:197], v[114:115]
	v_fmac_f64_e32 v[196:197], v[198:199], v[206:207]
	s_waitcnt vmcnt(27)
	v_add_f64 v[104:105], v[104:105], -v[112:113]
	v_add_f64 v[106:107], v[106:107], -v[196:197]
	ds_read2_b64 v[196:199], v208 offset0:46 offset1:47
	s_waitcnt lgkmcnt(1)
	v_mul_f64 v[112:113], v[214:215], v[114:115]
	v_fma_f64 v[112:113], v[212:213], v[206:207], -v[112:113]
	v_mul_f64 v[212:213], v[212:213], v[114:115]
	v_fmac_f64_e32 v[212:213], v[214:215], v[206:207]
	s_waitcnt vmcnt(26)
	v_add_f64 v[102:103], v[102:103], -v[212:213]
	ds_read2_b64 v[212:215], v208 offset0:48 offset1:49
	v_add_f64 v[100:101], v[100:101], -v[112:113]
	s_waitcnt lgkmcnt(1)
	v_mul_f64 v[112:113], v[198:199], v[114:115]
	v_fma_f64 v[112:113], v[196:197], v[206:207], -v[112:113]
	v_mul_f64 v[196:197], v[196:197], v[114:115]
	v_fmac_f64_e32 v[196:197], v[198:199], v[206:207]
	s_waitcnt vmcnt(25)
	v_add_f64 v[96:97], v[96:97], -v[112:113]
	v_add_f64 v[98:99], v[98:99], -v[196:197]
	ds_read2_b64 v[196:199], v208 offset0:50 offset1:51
	s_waitcnt lgkmcnt(1)
	v_mul_f64 v[112:113], v[214:215], v[114:115]
	v_fma_f64 v[112:113], v[212:213], v[206:207], -v[112:113]
	v_mul_f64 v[212:213], v[212:213], v[114:115]
	v_fmac_f64_e32 v[212:213], v[214:215], v[206:207]
	s_waitcnt vmcnt(24)
	v_add_f64 v[94:95], v[94:95], -v[212:213]
	ds_read2_b64 v[212:215], v208 offset0:52 offset1:53
	v_add_f64 v[92:93], v[92:93], -v[112:113]
	s_waitcnt lgkmcnt(1)
	v_mul_f64 v[112:113], v[198:199], v[114:115]
	v_fma_f64 v[112:113], v[196:197], v[206:207], -v[112:113]
	v_mul_f64 v[196:197], v[196:197], v[114:115]
	v_fmac_f64_e32 v[196:197], v[198:199], v[206:207]
	s_waitcnt vmcnt(23)
	v_add_f64 v[88:89], v[88:89], -v[112:113]
	v_add_f64 v[90:91], v[90:91], -v[196:197]
	ds_read2_b64 v[196:199], v208 offset0:54 offset1:55
	s_waitcnt lgkmcnt(1)
	v_mul_f64 v[112:113], v[214:215], v[114:115]
	v_fma_f64 v[112:113], v[212:213], v[206:207], -v[112:113]
	v_mul_f64 v[212:213], v[212:213], v[114:115]
	v_fmac_f64_e32 v[212:213], v[214:215], v[206:207]
	s_waitcnt vmcnt(22)
	v_add_f64 v[86:87], v[86:87], -v[212:213]
	ds_read2_b64 v[212:215], v208 offset0:56 offset1:57
	v_add_f64 v[84:85], v[84:85], -v[112:113]
	s_waitcnt lgkmcnt(1)
	v_mul_f64 v[112:113], v[198:199], v[114:115]
	v_fma_f64 v[112:113], v[196:197], v[206:207], -v[112:113]
	v_mul_f64 v[196:197], v[196:197], v[114:115]
	v_fmac_f64_e32 v[196:197], v[198:199], v[206:207]
	s_waitcnt vmcnt(21)
	v_add_f64 v[80:81], v[80:81], -v[112:113]
	v_add_f64 v[82:83], v[82:83], -v[196:197]
	ds_read2_b64 v[196:199], v208 offset0:58 offset1:59
	s_waitcnt lgkmcnt(1)
	v_mul_f64 v[112:113], v[214:215], v[114:115]
	v_fma_f64 v[112:113], v[212:213], v[206:207], -v[112:113]
	v_mul_f64 v[212:213], v[212:213], v[114:115]
	v_fmac_f64_e32 v[212:213], v[214:215], v[206:207]
	s_waitcnt vmcnt(20)
	v_add_f64 v[78:79], v[78:79], -v[212:213]
	ds_read2_b64 v[212:215], v208 offset0:60 offset1:61
	v_add_f64 v[76:77], v[76:77], -v[112:113]
	s_waitcnt lgkmcnt(1)
	v_mul_f64 v[112:113], v[198:199], v[114:115]
	v_fma_f64 v[112:113], v[196:197], v[206:207], -v[112:113]
	v_mul_f64 v[196:197], v[196:197], v[114:115]
	v_fmac_f64_e32 v[196:197], v[198:199], v[206:207]
	s_waitcnt vmcnt(19)
	v_add_f64 v[72:73], v[72:73], -v[112:113]
	v_add_f64 v[74:75], v[74:75], -v[196:197]
	ds_read2_b64 v[196:199], v208 offset0:62 offset1:63
	s_waitcnt lgkmcnt(1)
	v_mul_f64 v[112:113], v[214:215], v[114:115]
	v_fma_f64 v[112:113], v[212:213], v[206:207], -v[112:113]
	v_mul_f64 v[212:213], v[212:213], v[114:115]
	v_fmac_f64_e32 v[212:213], v[214:215], v[206:207]
	s_waitcnt vmcnt(18)
	v_add_f64 v[70:71], v[70:71], -v[212:213]
	ds_read2_b64 v[212:215], v208 offset0:64 offset1:65
	v_add_f64 v[68:69], v[68:69], -v[112:113]
	s_waitcnt lgkmcnt(1)
	v_mul_f64 v[112:113], v[198:199], v[114:115]
	v_fma_f64 v[112:113], v[196:197], v[206:207], -v[112:113]
	v_mul_f64 v[196:197], v[196:197], v[114:115]
	v_fmac_f64_e32 v[196:197], v[198:199], v[206:207]
	s_waitcnt vmcnt(17)
	v_add_f64 v[64:65], v[64:65], -v[112:113]
	v_add_f64 v[66:67], v[66:67], -v[196:197]
	ds_read2_b64 v[196:199], v208 offset0:66 offset1:67
	s_waitcnt lgkmcnt(1)
	v_mul_f64 v[112:113], v[214:215], v[114:115]
	v_fma_f64 v[112:113], v[212:213], v[206:207], -v[112:113]
	v_mul_f64 v[212:213], v[212:213], v[114:115]
	v_fmac_f64_e32 v[212:213], v[214:215], v[206:207]
	s_waitcnt vmcnt(16)
	v_add_f64 v[62:63], v[62:63], -v[212:213]
	ds_read2_b64 v[212:215], v208 offset0:68 offset1:69
	v_add_f64 v[60:61], v[60:61], -v[112:113]
	s_waitcnt lgkmcnt(1)
	v_mul_f64 v[112:113], v[198:199], v[114:115]
	v_fma_f64 v[112:113], v[196:197], v[206:207], -v[112:113]
	v_mul_f64 v[196:197], v[196:197], v[114:115]
	v_fmac_f64_e32 v[196:197], v[198:199], v[206:207]
	s_waitcnt vmcnt(15)
	v_add_f64 v[56:57], v[56:57], -v[112:113]
	v_add_f64 v[58:59], v[58:59], -v[196:197]
	ds_read2_b64 v[196:199], v208 offset0:70 offset1:71
	s_waitcnt lgkmcnt(1)
	v_mul_f64 v[112:113], v[214:215], v[114:115]
	v_fma_f64 v[112:113], v[212:213], v[206:207], -v[112:113]
	v_mul_f64 v[212:213], v[212:213], v[114:115]
	v_fmac_f64_e32 v[212:213], v[214:215], v[206:207]
	s_waitcnt vmcnt(14)
	v_add_f64 v[54:55], v[54:55], -v[212:213]
	ds_read2_b64 v[212:215], v208 offset0:72 offset1:73
	v_add_f64 v[52:53], v[52:53], -v[112:113]
	s_waitcnt lgkmcnt(1)
	v_mul_f64 v[112:113], v[198:199], v[114:115]
	v_fma_f64 v[112:113], v[196:197], v[206:207], -v[112:113]
	v_mul_f64 v[196:197], v[196:197], v[114:115]
	v_fmac_f64_e32 v[196:197], v[198:199], v[206:207]
	s_waitcnt vmcnt(13)
	v_add_f64 v[48:49], v[48:49], -v[112:113]
	v_add_f64 v[50:51], v[50:51], -v[196:197]
	ds_read2_b64 v[196:199], v208 offset0:74 offset1:75
	s_waitcnt lgkmcnt(1)
	v_mul_f64 v[112:113], v[214:215], v[114:115]
	v_fma_f64 v[112:113], v[212:213], v[206:207], -v[112:113]
	v_mul_f64 v[212:213], v[212:213], v[114:115]
	v_fmac_f64_e32 v[212:213], v[214:215], v[206:207]
	s_waitcnt vmcnt(12)
	v_add_f64 v[46:47], v[46:47], -v[212:213]
	ds_read2_b64 v[212:215], v208 offset0:76 offset1:77
	v_add_f64 v[44:45], v[44:45], -v[112:113]
	s_waitcnt lgkmcnt(1)
	v_mul_f64 v[112:113], v[198:199], v[114:115]
	v_fma_f64 v[112:113], v[196:197], v[206:207], -v[112:113]
	v_mul_f64 v[196:197], v[196:197], v[114:115]
	v_fmac_f64_e32 v[196:197], v[198:199], v[206:207]
	s_waitcnt vmcnt(11)
	v_add_f64 v[40:41], v[40:41], -v[112:113]
	v_add_f64 v[42:43], v[42:43], -v[196:197]
	ds_read2_b64 v[196:199], v208 offset0:78 offset1:79
	s_waitcnt lgkmcnt(1)
	v_mul_f64 v[112:113], v[214:215], v[114:115]
	v_fma_f64 v[112:113], v[212:213], v[206:207], -v[112:113]
	v_mul_f64 v[212:213], v[212:213], v[114:115]
	v_fmac_f64_e32 v[212:213], v[214:215], v[206:207]
	s_waitcnt vmcnt(10)
	v_add_f64 v[38:39], v[38:39], -v[212:213]
	ds_read2_b64 v[212:215], v208 offset0:80 offset1:81
	v_add_f64 v[36:37], v[36:37], -v[112:113]
	s_waitcnt lgkmcnt(1)
	v_mul_f64 v[112:113], v[198:199], v[114:115]
	v_fma_f64 v[112:113], v[196:197], v[206:207], -v[112:113]
	v_mul_f64 v[196:197], v[196:197], v[114:115]
	v_fmac_f64_e32 v[196:197], v[198:199], v[206:207]
	s_waitcnt vmcnt(9)
	v_add_f64 v[32:33], v[32:33], -v[112:113]
	v_add_f64 v[34:35], v[34:35], -v[196:197]
	ds_read2_b64 v[196:199], v208 offset0:82 offset1:83
	s_waitcnt lgkmcnt(1)
	v_mul_f64 v[112:113], v[214:215], v[114:115]
	v_fma_f64 v[112:113], v[212:213], v[206:207], -v[112:113]
	v_mul_f64 v[212:213], v[212:213], v[114:115]
	v_fmac_f64_e32 v[212:213], v[214:215], v[206:207]
	s_waitcnt vmcnt(8)
	v_add_f64 v[30:31], v[30:31], -v[212:213]
	ds_read2_b64 v[212:215], v208 offset0:84 offset1:85
	v_add_f64 v[28:29], v[28:29], -v[112:113]
	s_waitcnt lgkmcnt(1)
	v_mul_f64 v[112:113], v[198:199], v[114:115]
	v_fma_f64 v[112:113], v[196:197], v[206:207], -v[112:113]
	v_mul_f64 v[196:197], v[196:197], v[114:115]
	v_fmac_f64_e32 v[196:197], v[198:199], v[206:207]
	s_waitcnt vmcnt(7)
	v_add_f64 v[24:25], v[24:25], -v[112:113]
	v_add_f64 v[26:27], v[26:27], -v[196:197]
	ds_read2_b64 v[196:199], v208 offset0:86 offset1:87
	s_waitcnt lgkmcnt(1)
	v_mul_f64 v[112:113], v[214:215], v[114:115]
	v_fma_f64 v[112:113], v[212:213], v[206:207], -v[112:113]
	v_mul_f64 v[212:213], v[212:213], v[114:115]
	v_fmac_f64_e32 v[212:213], v[214:215], v[206:207]
	s_waitcnt vmcnt(6)
	v_add_f64 v[22:23], v[22:23], -v[212:213]
	ds_read2_b64 v[212:215], v208 offset0:88 offset1:89
	v_add_f64 v[20:21], v[20:21], -v[112:113]
	s_waitcnt lgkmcnt(1)
	v_mul_f64 v[112:113], v[198:199], v[114:115]
	v_fma_f64 v[112:113], v[196:197], v[206:207], -v[112:113]
	v_mul_f64 v[196:197], v[196:197], v[114:115]
	v_fmac_f64_e32 v[196:197], v[198:199], v[206:207]
	s_waitcnt vmcnt(5)
	v_add_f64 v[16:17], v[16:17], -v[112:113]
	v_add_f64 v[18:19], v[18:19], -v[196:197]
	ds_read2_b64 v[196:199], v208 offset0:90 offset1:91
	s_waitcnt lgkmcnt(1)
	v_mul_f64 v[112:113], v[214:215], v[114:115]
	v_fma_f64 v[112:113], v[212:213], v[206:207], -v[112:113]
	v_mul_f64 v[212:213], v[212:213], v[114:115]
	v_fmac_f64_e32 v[212:213], v[214:215], v[206:207]
	s_waitcnt vmcnt(4)
	v_add_f64 v[14:15], v[14:15], -v[212:213]
	ds_read2_b64 v[212:215], v208 offset0:92 offset1:93
	v_add_f64 v[12:13], v[12:13], -v[112:113]
	s_waitcnt lgkmcnt(1)
	v_mul_f64 v[112:113], v[198:199], v[114:115]
	v_fma_f64 v[112:113], v[196:197], v[206:207], -v[112:113]
	v_mul_f64 v[196:197], v[196:197], v[114:115]
	v_fmac_f64_e32 v[196:197], v[198:199], v[206:207]
	s_waitcnt vmcnt(3)
	v_add_f64 v[8:9], v[8:9], -v[112:113]
	v_add_f64 v[10:11], v[10:11], -v[196:197]
	ds_read2_b64 v[196:199], v208 offset0:94 offset1:95
	s_waitcnt lgkmcnt(1)
	v_mul_f64 v[112:113], v[214:215], v[114:115]
	v_fma_f64 v[112:113], v[212:213], v[206:207], -v[112:113]
	v_mul_f64 v[212:213], v[212:213], v[114:115]
	v_fmac_f64_e32 v[212:213], v[214:215], v[206:207]
	s_waitcnt vmcnt(2)
	v_add_f64 v[6:7], v[6:7], -v[212:213]
	ds_read2_b64 v[212:215], v208 offset0:96 offset1:97
	v_add_f64 v[4:5], v[4:5], -v[112:113]
	s_waitcnt lgkmcnt(1)
	v_mul_f64 v[112:113], v[198:199], v[114:115]
	v_fma_f64 v[112:113], v[196:197], v[206:207], -v[112:113]
	v_mul_f64 v[196:197], v[196:197], v[114:115]
	v_fmac_f64_e32 v[196:197], v[198:199], v[206:207]
	s_waitcnt vmcnt(1)
	v_add_f64 v[0:1], v[0:1], -v[112:113]
	v_add_f64 v[2:3], v[2:3], -v[196:197]
	s_waitcnt lgkmcnt(0)
	v_mul_f64 v[112:113], v[214:215], v[114:115]
	v_mul_f64 v[196:197], v[212:213], v[114:115]
	v_fma_f64 v[112:113], v[212:213], v[206:207], -v[112:113]
	v_fmac_f64_e32 v[196:197], v[214:215], v[206:207]
	s_waitcnt vmcnt(0)
	v_add_f64 v[192:193], v[192:193], -v[112:113]
	v_add_f64 v[194:195], v[194:195], -v[196:197]
	v_mov_b64_e32 v[112:113], v[206:207]
.LBB96_419:
	s_or_b64 exec, exec, s[0:1]
	v_lshl_add_u32 v196, v209, 4, v208
	s_barrier
	s_waitcnt vmcnt(28)
	ds_write2_b64 v196, v[108:109], v[110:111] offset1:1
	s_waitcnt lgkmcnt(0)
	s_barrier
	ds_read2_b64 v[196:199], v208 offset0:40 offset1:41
	s_cmp_lt_i32 s20, 22
	v_mov_b32_e32 v206, 20
	s_cbranch_scc1 .LBB96_422
; %bb.420:
	v_add_u32_e32 v207, 0x150, v208
	s_mov_b32 s16, 21
	v_mov_b32_e32 v206, 20
.LBB96_421:                             ; =>This Inner Loop Header: Depth=1
	ds_read2_b64 v[212:215], v207 offset1:1
	s_waitcnt lgkmcnt(1)
	v_xor_b32_e32 v217, 0x80000000, v197
	v_xor_b32_e32 v219, 0x80000000, v199
	v_cmp_gt_f64_e32 vcc, 0, v[198:199]
	v_cmp_gt_f64_e64 s[0:1], 0, v[196:197]
	v_mov_b32_e32 v216, v196
	v_mov_b32_e32 v218, v198
	v_cndmask_b32_e64 v217, v197, v217, s[0:1]
	v_cndmask_b32_e32 v219, v199, v219, vcc
	v_add_f64 v[216:217], v[216:217], v[218:219]
	s_waitcnt lgkmcnt(0)
	v_xor_b32_e32 v219, 0x80000000, v213
	v_xor_b32_e32 v221, 0x80000000, v215
	v_cmp_gt_f64_e32 vcc, 0, v[214:215]
	v_cmp_gt_f64_e64 s[0:1], 0, v[212:213]
	v_mov_b32_e32 v218, v212
	v_mov_b32_e32 v220, v214
	v_cndmask_b32_e64 v219, v213, v219, s[0:1]
	v_cndmask_b32_e32 v221, v215, v221, vcc
	v_add_f64 v[218:219], v[218:219], v[220:221]
	v_mov_b32_e32 v222, s16
	s_add_i32 s16, s16, 1
	v_cmp_lt_f64_e32 vcc, v[216:217], v[218:219]
	v_add_u32_e32 v207, 16, v207
	s_cmp_lg_u32 s20, s16
	v_cndmask_b32_e32 v197, v197, v213, vcc
	v_cndmask_b32_e32 v196, v196, v212, vcc
	;; [unrolled: 1-line block ×5, first 2 shown]
	s_cbranch_scc1 .LBB96_421
.LBB96_422:
	s_waitcnt lgkmcnt(0)
	v_cmp_eq_f64_e32 vcc, 0, v[196:197]
	v_cmp_eq_f64_e64 s[0:1], 0, v[198:199]
	s_and_b64 s[0:1], vcc, s[0:1]
	s_and_saveexec_b64 s[16:17], s[0:1]
	s_xor_b64 s[0:1], exec, s[16:17]
; %bb.423:
	v_cmp_ne_u32_e32 vcc, 0, v210
	s_nop 1
	v_cndmask_b32_e32 v210, 21, v210, vcc
; %bb.424:
	s_andn2_saveexec_b64 s[0:1], s[0:1]
	s_cbranch_execz .LBB96_430
; %bb.425:
	v_cmp_ngt_f64_e64 s[16:17], |v[196:197]|, |v[198:199]|
	s_and_saveexec_b64 s[18:19], s[16:17]
	s_xor_b64 s[16:17], exec, s[18:19]
	s_cbranch_execz .LBB96_427
; %bb.426:
	v_div_scale_f64 v[212:213], s[18:19], v[198:199], v[198:199], v[196:197]
	v_rcp_f64_e32 v[214:215], v[212:213]
	v_div_scale_f64 v[216:217], vcc, v[196:197], v[198:199], v[196:197]
	v_fma_f64 v[218:219], -v[212:213], v[214:215], 1.0
	v_fmac_f64_e32 v[214:215], v[214:215], v[218:219]
	v_fma_f64 v[218:219], -v[212:213], v[214:215], 1.0
	v_fmac_f64_e32 v[214:215], v[214:215], v[218:219]
	v_mul_f64 v[218:219], v[216:217], v[214:215]
	v_fma_f64 v[212:213], -v[212:213], v[218:219], v[216:217]
	v_div_fmas_f64 v[212:213], v[212:213], v[214:215], v[218:219]
	v_div_fixup_f64 v[212:213], v[212:213], v[198:199], v[196:197]
	v_fmac_f64_e32 v[198:199], v[196:197], v[212:213]
	v_div_scale_f64 v[196:197], s[18:19], v[198:199], v[198:199], 1.0
	v_rcp_f64_e32 v[214:215], v[196:197]
	s_nop 0
	v_fma_f64 v[216:217], -v[196:197], v[214:215], 1.0
	v_fmac_f64_e32 v[214:215], v[214:215], v[216:217]
	v_fma_f64 v[216:217], -v[196:197], v[214:215], 1.0
	v_fmac_f64_e32 v[214:215], v[214:215], v[216:217]
	v_div_scale_f64 v[216:217], vcc, 1.0, v[198:199], 1.0
	v_mul_f64 v[218:219], v[216:217], v[214:215]
	v_fma_f64 v[196:197], -v[196:197], v[218:219], v[216:217]
	s_nop 1
	v_div_fmas_f64 v[196:197], v[196:197], v[214:215], v[218:219]
	v_div_fixup_f64 v[198:199], v[196:197], v[198:199], 1.0
	v_mul_f64 v[196:197], v[212:213], v[198:199]
	v_xor_b32_e32 v199, 0x80000000, v199
.LBB96_427:
	s_andn2_saveexec_b64 s[16:17], s[16:17]
	s_cbranch_execz .LBB96_429
; %bb.428:
	v_div_scale_f64 v[212:213], s[18:19], v[196:197], v[196:197], v[198:199]
	v_rcp_f64_e32 v[214:215], v[212:213]
	v_div_scale_f64 v[216:217], vcc, v[198:199], v[196:197], v[198:199]
	v_fma_f64 v[218:219], -v[212:213], v[214:215], 1.0
	v_fmac_f64_e32 v[214:215], v[214:215], v[218:219]
	v_fma_f64 v[218:219], -v[212:213], v[214:215], 1.0
	v_fmac_f64_e32 v[214:215], v[214:215], v[218:219]
	v_mul_f64 v[218:219], v[216:217], v[214:215]
	v_fma_f64 v[212:213], -v[212:213], v[218:219], v[216:217]
	v_div_fmas_f64 v[212:213], v[212:213], v[214:215], v[218:219]
	v_div_fixup_f64 v[212:213], v[212:213], v[196:197], v[198:199]
	v_fmac_f64_e32 v[196:197], v[198:199], v[212:213]
	v_div_scale_f64 v[198:199], s[18:19], v[196:197], v[196:197], 1.0
	v_rcp_f64_e32 v[214:215], v[198:199]
	s_nop 0
	v_fma_f64 v[216:217], -v[198:199], v[214:215], 1.0
	v_fmac_f64_e32 v[214:215], v[214:215], v[216:217]
	v_fma_f64 v[216:217], -v[198:199], v[214:215], 1.0
	v_fmac_f64_e32 v[214:215], v[214:215], v[216:217]
	v_div_scale_f64 v[216:217], vcc, 1.0, v[196:197], 1.0
	v_mul_f64 v[218:219], v[216:217], v[214:215]
	v_fma_f64 v[198:199], -v[198:199], v[218:219], v[216:217]
	s_nop 1
	v_div_fmas_f64 v[198:199], v[198:199], v[214:215], v[218:219]
	v_div_fixup_f64 v[196:197], v[198:199], v[196:197], 1.0
	v_mul_f64 v[198:199], v[212:213], -v[196:197]
.LBB96_429:
	s_or_b64 exec, exec, s[16:17]
.LBB96_430:
	s_or_b64 exec, exec, s[0:1]
	v_cmp_ne_u32_e32 vcc, v209, v206
	s_and_saveexec_b64 s[0:1], vcc
	s_xor_b64 s[0:1], exec, s[0:1]
	s_cbranch_execz .LBB96_436
; %bb.431:
	v_cmp_eq_u32_e32 vcc, 20, v209
	s_and_saveexec_b64 s[16:17], vcc
	s_cbranch_execz .LBB96_435
; %bb.432:
	v_cmp_ne_u32_e32 vcc, 20, v206
	s_xor_b64 s[18:19], s[14:15], -1
	s_and_b64 s[22:23], s[18:19], vcc
	s_and_saveexec_b64 s[18:19], s[22:23]
	s_cbranch_execz .LBB96_434
; %bb.433:
	v_ashrrev_i32_e32 v207, 31, v206
	v_lshl_add_u64 v[212:213], v[206:207], 2, v[204:205]
	global_load_dword v207, v[212:213], off
	global_load_dword v209, v[204:205], off offset:80
	s_waitcnt vmcnt(1)
	global_store_dword v[204:205], v207, off offset:80
	s_waitcnt vmcnt(1)
	global_store_dword v[212:213], v209, off
.LBB96_434:
	s_or_b64 exec, exec, s[18:19]
	v_mov_b32_e32 v209, v206
	v_mov_b32_e32 v211, v206
.LBB96_435:
	s_or_b64 exec, exec, s[16:17]
.LBB96_436:
	s_andn2_saveexec_b64 s[0:1], s[0:1]
	s_cbranch_execz .LBB96_438
; %bb.437:
	v_mov_b32_e32 v209, 20
	s_waitcnt vmcnt(27)
	ds_write2_b64 v208, v[104:105], v[106:107] offset0:42 offset1:43
	s_waitcnt vmcnt(26)
	ds_write2_b64 v208, v[100:101], v[102:103] offset0:44 offset1:45
	;; [unrolled: 2-line block ×28, first 2 shown]
.LBB96_438:
	s_or_b64 exec, exec, s[0:1]
	v_cmp_lt_i32_e32 vcc, 20, v209
	s_waitcnt lgkmcnt(0)
	s_barrier
	s_and_saveexec_b64 s[0:1], vcc
	s_cbranch_execz .LBB96_440
; %bb.439:
	ds_read2_b64 v[212:215], v208 offset0:42 offset1:43
	v_mul_f64 v[206:207], v[198:199], v[110:111]
	v_mul_f64 v[110:111], v[196:197], v[110:111]
	v_fma_f64 v[206:207], v[196:197], v[108:109], -v[206:207]
	v_fmac_f64_e32 v[110:111], v[198:199], v[108:109]
	ds_read2_b64 v[196:199], v208 offset0:44 offset1:45
	s_waitcnt lgkmcnt(1)
	v_mul_f64 v[108:109], v[214:215], v[110:111]
	v_fma_f64 v[108:109], v[212:213], v[206:207], -v[108:109]
	v_mul_f64 v[212:213], v[212:213], v[110:111]
	v_fmac_f64_e32 v[212:213], v[214:215], v[206:207]
	s_waitcnt vmcnt(27)
	v_add_f64 v[104:105], v[104:105], -v[108:109]
	s_waitcnt lgkmcnt(0)
	v_mul_f64 v[108:109], v[198:199], v[110:111]
	v_add_f64 v[106:107], v[106:107], -v[212:213]
	v_fma_f64 v[108:109], v[196:197], v[206:207], -v[108:109]
	v_mul_f64 v[196:197], v[196:197], v[110:111]
	ds_read2_b64 v[212:215], v208 offset0:46 offset1:47
	v_fmac_f64_e32 v[196:197], v[198:199], v[206:207]
	s_waitcnt vmcnt(26)
	v_add_f64 v[102:103], v[102:103], -v[196:197]
	ds_read2_b64 v[196:199], v208 offset0:48 offset1:49
	v_add_f64 v[100:101], v[100:101], -v[108:109]
	s_waitcnt lgkmcnt(1)
	v_mul_f64 v[108:109], v[214:215], v[110:111]
	v_fma_f64 v[108:109], v[212:213], v[206:207], -v[108:109]
	v_mul_f64 v[212:213], v[212:213], v[110:111]
	v_fmac_f64_e32 v[212:213], v[214:215], v[206:207]
	s_waitcnt vmcnt(25)
	v_add_f64 v[96:97], v[96:97], -v[108:109]
	s_waitcnt lgkmcnt(0)
	v_mul_f64 v[108:109], v[198:199], v[110:111]
	v_add_f64 v[98:99], v[98:99], -v[212:213]
	v_fma_f64 v[108:109], v[196:197], v[206:207], -v[108:109]
	v_mul_f64 v[196:197], v[196:197], v[110:111]
	ds_read2_b64 v[212:215], v208 offset0:50 offset1:51
	v_fmac_f64_e32 v[196:197], v[198:199], v[206:207]
	s_waitcnt vmcnt(24)
	v_add_f64 v[94:95], v[94:95], -v[196:197]
	ds_read2_b64 v[196:199], v208 offset0:52 offset1:53
	v_add_f64 v[92:93], v[92:93], -v[108:109]
	;; [unrolled: 18-line block ×13, first 2 shown]
	s_waitcnt lgkmcnt(1)
	v_mul_f64 v[108:109], v[214:215], v[110:111]
	v_fma_f64 v[108:109], v[212:213], v[206:207], -v[108:109]
	s_waitcnt vmcnt(1)
	v_add_f64 v[0:1], v[0:1], -v[108:109]
	s_waitcnt lgkmcnt(0)
	v_mul_f64 v[108:109], v[198:199], v[110:111]
	v_mul_f64 v[212:213], v[212:213], v[110:111]
	v_fma_f64 v[108:109], v[196:197], v[206:207], -v[108:109]
	v_mul_f64 v[196:197], v[196:197], v[110:111]
	v_fmac_f64_e32 v[212:213], v[214:215], v[206:207]
	v_fmac_f64_e32 v[196:197], v[198:199], v[206:207]
	v_add_f64 v[2:3], v[2:3], -v[212:213]
	s_waitcnt vmcnt(0)
	v_add_f64 v[192:193], v[192:193], -v[108:109]
	v_add_f64 v[194:195], v[194:195], -v[196:197]
	v_mov_b64_e32 v[108:109], v[206:207]
.LBB96_440:
	s_or_b64 exec, exec, s[0:1]
	v_lshl_add_u32 v196, v209, 4, v208
	s_barrier
	s_waitcnt vmcnt(27)
	ds_write2_b64 v196, v[104:105], v[106:107] offset1:1
	s_waitcnt lgkmcnt(0)
	s_barrier
	ds_read2_b64 v[196:199], v208 offset0:42 offset1:43
	s_cmp_lt_i32 s20, 23
	v_mov_b32_e32 v206, 21
	s_cbranch_scc1 .LBB96_443
; %bb.441:
	v_add_u32_e32 v207, 0x160, v208
	s_mov_b32 s16, 22
	v_mov_b32_e32 v206, 21
.LBB96_442:                             ; =>This Inner Loop Header: Depth=1
	ds_read2_b64 v[212:215], v207 offset1:1
	s_waitcnt lgkmcnt(1)
	v_xor_b32_e32 v217, 0x80000000, v197
	v_xor_b32_e32 v219, 0x80000000, v199
	v_cmp_gt_f64_e32 vcc, 0, v[198:199]
	v_cmp_gt_f64_e64 s[0:1], 0, v[196:197]
	v_mov_b32_e32 v216, v196
	v_mov_b32_e32 v218, v198
	v_cndmask_b32_e64 v217, v197, v217, s[0:1]
	v_cndmask_b32_e32 v219, v199, v219, vcc
	v_add_f64 v[216:217], v[216:217], v[218:219]
	s_waitcnt lgkmcnt(0)
	v_xor_b32_e32 v219, 0x80000000, v213
	v_xor_b32_e32 v221, 0x80000000, v215
	v_cmp_gt_f64_e32 vcc, 0, v[214:215]
	v_cmp_gt_f64_e64 s[0:1], 0, v[212:213]
	v_mov_b32_e32 v218, v212
	v_mov_b32_e32 v220, v214
	v_cndmask_b32_e64 v219, v213, v219, s[0:1]
	v_cndmask_b32_e32 v221, v215, v221, vcc
	v_add_f64 v[218:219], v[218:219], v[220:221]
	v_mov_b32_e32 v222, s16
	s_add_i32 s16, s16, 1
	v_cmp_lt_f64_e32 vcc, v[216:217], v[218:219]
	v_add_u32_e32 v207, 16, v207
	s_cmp_lg_u32 s20, s16
	v_cndmask_b32_e32 v197, v197, v213, vcc
	v_cndmask_b32_e32 v196, v196, v212, vcc
	;; [unrolled: 1-line block ×5, first 2 shown]
	s_cbranch_scc1 .LBB96_442
.LBB96_443:
	s_waitcnt lgkmcnt(0)
	v_cmp_eq_f64_e32 vcc, 0, v[196:197]
	v_cmp_eq_f64_e64 s[0:1], 0, v[198:199]
	s_and_b64 s[0:1], vcc, s[0:1]
	s_and_saveexec_b64 s[16:17], s[0:1]
	s_xor_b64 s[0:1], exec, s[16:17]
; %bb.444:
	v_cmp_ne_u32_e32 vcc, 0, v210
	s_nop 1
	v_cndmask_b32_e32 v210, 22, v210, vcc
; %bb.445:
	s_andn2_saveexec_b64 s[0:1], s[0:1]
	s_cbranch_execz .LBB96_451
; %bb.446:
	v_cmp_ngt_f64_e64 s[16:17], |v[196:197]|, |v[198:199]|
	s_and_saveexec_b64 s[18:19], s[16:17]
	s_xor_b64 s[16:17], exec, s[18:19]
	s_cbranch_execz .LBB96_448
; %bb.447:
	v_div_scale_f64 v[212:213], s[18:19], v[198:199], v[198:199], v[196:197]
	v_rcp_f64_e32 v[214:215], v[212:213]
	v_div_scale_f64 v[216:217], vcc, v[196:197], v[198:199], v[196:197]
	v_fma_f64 v[218:219], -v[212:213], v[214:215], 1.0
	v_fmac_f64_e32 v[214:215], v[214:215], v[218:219]
	v_fma_f64 v[218:219], -v[212:213], v[214:215], 1.0
	v_fmac_f64_e32 v[214:215], v[214:215], v[218:219]
	v_mul_f64 v[218:219], v[216:217], v[214:215]
	v_fma_f64 v[212:213], -v[212:213], v[218:219], v[216:217]
	v_div_fmas_f64 v[212:213], v[212:213], v[214:215], v[218:219]
	v_div_fixup_f64 v[212:213], v[212:213], v[198:199], v[196:197]
	v_fmac_f64_e32 v[198:199], v[196:197], v[212:213]
	v_div_scale_f64 v[196:197], s[18:19], v[198:199], v[198:199], 1.0
	v_rcp_f64_e32 v[214:215], v[196:197]
	s_nop 0
	v_fma_f64 v[216:217], -v[196:197], v[214:215], 1.0
	v_fmac_f64_e32 v[214:215], v[214:215], v[216:217]
	v_fma_f64 v[216:217], -v[196:197], v[214:215], 1.0
	v_fmac_f64_e32 v[214:215], v[214:215], v[216:217]
	v_div_scale_f64 v[216:217], vcc, 1.0, v[198:199], 1.0
	v_mul_f64 v[218:219], v[216:217], v[214:215]
	v_fma_f64 v[196:197], -v[196:197], v[218:219], v[216:217]
	s_nop 1
	v_div_fmas_f64 v[196:197], v[196:197], v[214:215], v[218:219]
	v_div_fixup_f64 v[198:199], v[196:197], v[198:199], 1.0
	v_mul_f64 v[196:197], v[212:213], v[198:199]
	v_xor_b32_e32 v199, 0x80000000, v199
.LBB96_448:
	s_andn2_saveexec_b64 s[16:17], s[16:17]
	s_cbranch_execz .LBB96_450
; %bb.449:
	v_div_scale_f64 v[212:213], s[18:19], v[196:197], v[196:197], v[198:199]
	v_rcp_f64_e32 v[214:215], v[212:213]
	v_div_scale_f64 v[216:217], vcc, v[198:199], v[196:197], v[198:199]
	v_fma_f64 v[218:219], -v[212:213], v[214:215], 1.0
	v_fmac_f64_e32 v[214:215], v[214:215], v[218:219]
	v_fma_f64 v[218:219], -v[212:213], v[214:215], 1.0
	v_fmac_f64_e32 v[214:215], v[214:215], v[218:219]
	v_mul_f64 v[218:219], v[216:217], v[214:215]
	v_fma_f64 v[212:213], -v[212:213], v[218:219], v[216:217]
	v_div_fmas_f64 v[212:213], v[212:213], v[214:215], v[218:219]
	v_div_fixup_f64 v[212:213], v[212:213], v[196:197], v[198:199]
	v_fmac_f64_e32 v[196:197], v[198:199], v[212:213]
	v_div_scale_f64 v[198:199], s[18:19], v[196:197], v[196:197], 1.0
	v_rcp_f64_e32 v[214:215], v[198:199]
	s_nop 0
	v_fma_f64 v[216:217], -v[198:199], v[214:215], 1.0
	v_fmac_f64_e32 v[214:215], v[214:215], v[216:217]
	v_fma_f64 v[216:217], -v[198:199], v[214:215], 1.0
	v_fmac_f64_e32 v[214:215], v[214:215], v[216:217]
	v_div_scale_f64 v[216:217], vcc, 1.0, v[196:197], 1.0
	v_mul_f64 v[218:219], v[216:217], v[214:215]
	v_fma_f64 v[198:199], -v[198:199], v[218:219], v[216:217]
	s_nop 1
	v_div_fmas_f64 v[198:199], v[198:199], v[214:215], v[218:219]
	v_div_fixup_f64 v[196:197], v[198:199], v[196:197], 1.0
	v_mul_f64 v[198:199], v[212:213], -v[196:197]
.LBB96_450:
	s_or_b64 exec, exec, s[16:17]
.LBB96_451:
	s_or_b64 exec, exec, s[0:1]
	v_cmp_ne_u32_e32 vcc, v209, v206
	s_and_saveexec_b64 s[0:1], vcc
	s_xor_b64 s[0:1], exec, s[0:1]
	s_cbranch_execz .LBB96_457
; %bb.452:
	v_cmp_eq_u32_e32 vcc, 21, v209
	s_and_saveexec_b64 s[16:17], vcc
	s_cbranch_execz .LBB96_456
; %bb.453:
	v_cmp_ne_u32_e32 vcc, 21, v206
	s_xor_b64 s[18:19], s[14:15], -1
	s_and_b64 s[22:23], s[18:19], vcc
	s_and_saveexec_b64 s[18:19], s[22:23]
	s_cbranch_execz .LBB96_455
; %bb.454:
	v_ashrrev_i32_e32 v207, 31, v206
	v_lshl_add_u64 v[212:213], v[206:207], 2, v[204:205]
	global_load_dword v207, v[212:213], off
	global_load_dword v209, v[204:205], off offset:84
	s_waitcnt vmcnt(1)
	global_store_dword v[204:205], v207, off offset:84
	s_waitcnt vmcnt(1)
	global_store_dword v[212:213], v209, off
.LBB96_455:
	s_or_b64 exec, exec, s[18:19]
	v_mov_b32_e32 v209, v206
	v_mov_b32_e32 v211, v206
.LBB96_456:
	s_or_b64 exec, exec, s[16:17]
.LBB96_457:
	s_andn2_saveexec_b64 s[0:1], s[0:1]
	s_cbranch_execz .LBB96_459
; %bb.458:
	v_mov_b32_e32 v209, 21
	s_waitcnt vmcnt(26)
	ds_write2_b64 v208, v[100:101], v[102:103] offset0:44 offset1:45
	s_waitcnt vmcnt(25)
	ds_write2_b64 v208, v[96:97], v[98:99] offset0:46 offset1:47
	;; [unrolled: 2-line block ×27, first 2 shown]
.LBB96_459:
	s_or_b64 exec, exec, s[0:1]
	v_cmp_lt_i32_e32 vcc, 21, v209
	s_waitcnt lgkmcnt(0)
	s_barrier
	s_and_saveexec_b64 s[0:1], vcc
	s_cbranch_execz .LBB96_461
; %bb.460:
	ds_read2_b64 v[212:215], v208 offset0:44 offset1:45
	v_mul_f64 v[206:207], v[198:199], v[106:107]
	v_mul_f64 v[106:107], v[196:197], v[106:107]
	v_fmac_f64_e32 v[106:107], v[198:199], v[104:105]
	v_fma_f64 v[206:207], v[196:197], v[104:105], -v[206:207]
	ds_read2_b64 v[196:199], v208 offset0:46 offset1:47
	s_waitcnt lgkmcnt(1)
	v_mul_f64 v[104:105], v[214:215], v[106:107]
	v_fma_f64 v[104:105], v[212:213], v[206:207], -v[104:105]
	v_mul_f64 v[212:213], v[212:213], v[106:107]
	v_fmac_f64_e32 v[212:213], v[214:215], v[206:207]
	s_waitcnt vmcnt(26)
	v_add_f64 v[102:103], v[102:103], -v[212:213]
	ds_read2_b64 v[212:215], v208 offset0:48 offset1:49
	v_add_f64 v[100:101], v[100:101], -v[104:105]
	s_waitcnt lgkmcnt(1)
	v_mul_f64 v[104:105], v[198:199], v[106:107]
	v_fma_f64 v[104:105], v[196:197], v[206:207], -v[104:105]
	v_mul_f64 v[196:197], v[196:197], v[106:107]
	v_fmac_f64_e32 v[196:197], v[198:199], v[206:207]
	s_waitcnt vmcnt(25)
	v_add_f64 v[96:97], v[96:97], -v[104:105]
	v_add_f64 v[98:99], v[98:99], -v[196:197]
	ds_read2_b64 v[196:199], v208 offset0:50 offset1:51
	s_waitcnt lgkmcnt(1)
	v_mul_f64 v[104:105], v[214:215], v[106:107]
	v_fma_f64 v[104:105], v[212:213], v[206:207], -v[104:105]
	v_mul_f64 v[212:213], v[212:213], v[106:107]
	v_fmac_f64_e32 v[212:213], v[214:215], v[206:207]
	s_waitcnt vmcnt(24)
	v_add_f64 v[94:95], v[94:95], -v[212:213]
	ds_read2_b64 v[212:215], v208 offset0:52 offset1:53
	v_add_f64 v[92:93], v[92:93], -v[104:105]
	s_waitcnt lgkmcnt(1)
	v_mul_f64 v[104:105], v[198:199], v[106:107]
	v_fma_f64 v[104:105], v[196:197], v[206:207], -v[104:105]
	v_mul_f64 v[196:197], v[196:197], v[106:107]
	v_fmac_f64_e32 v[196:197], v[198:199], v[206:207]
	s_waitcnt vmcnt(23)
	v_add_f64 v[88:89], v[88:89], -v[104:105]
	v_add_f64 v[90:91], v[90:91], -v[196:197]
	;; [unrolled: 18-line block ×13, first 2 shown]
	s_waitcnt lgkmcnt(0)
	v_mul_f64 v[104:105], v[214:215], v[106:107]
	v_mul_f64 v[196:197], v[212:213], v[106:107]
	v_fma_f64 v[104:105], v[212:213], v[206:207], -v[104:105]
	v_fmac_f64_e32 v[196:197], v[214:215], v[206:207]
	s_waitcnt vmcnt(0)
	v_add_f64 v[192:193], v[192:193], -v[104:105]
	v_add_f64 v[194:195], v[194:195], -v[196:197]
	v_mov_b64_e32 v[104:105], v[206:207]
.LBB96_461:
	s_or_b64 exec, exec, s[0:1]
	v_lshl_add_u32 v196, v209, 4, v208
	s_barrier
	s_waitcnt vmcnt(26)
	ds_write2_b64 v196, v[100:101], v[102:103] offset1:1
	s_waitcnt lgkmcnt(0)
	s_barrier
	ds_read2_b64 v[196:199], v208 offset0:44 offset1:45
	s_cmp_lt_i32 s20, 24
	v_mov_b32_e32 v206, 22
	s_cbranch_scc1 .LBB96_464
; %bb.462:
	v_add_u32_e32 v207, 0x170, v208
	s_mov_b32 s16, 23
	v_mov_b32_e32 v206, 22
.LBB96_463:                             ; =>This Inner Loop Header: Depth=1
	ds_read2_b64 v[212:215], v207 offset1:1
	s_waitcnt lgkmcnt(1)
	v_xor_b32_e32 v217, 0x80000000, v197
	v_xor_b32_e32 v219, 0x80000000, v199
	v_cmp_gt_f64_e32 vcc, 0, v[198:199]
	v_cmp_gt_f64_e64 s[0:1], 0, v[196:197]
	v_mov_b32_e32 v216, v196
	v_mov_b32_e32 v218, v198
	v_cndmask_b32_e64 v217, v197, v217, s[0:1]
	v_cndmask_b32_e32 v219, v199, v219, vcc
	v_add_f64 v[216:217], v[216:217], v[218:219]
	s_waitcnt lgkmcnt(0)
	v_xor_b32_e32 v219, 0x80000000, v213
	v_xor_b32_e32 v221, 0x80000000, v215
	v_cmp_gt_f64_e32 vcc, 0, v[214:215]
	v_cmp_gt_f64_e64 s[0:1], 0, v[212:213]
	v_mov_b32_e32 v218, v212
	v_mov_b32_e32 v220, v214
	v_cndmask_b32_e64 v219, v213, v219, s[0:1]
	v_cndmask_b32_e32 v221, v215, v221, vcc
	v_add_f64 v[218:219], v[218:219], v[220:221]
	v_mov_b32_e32 v222, s16
	s_add_i32 s16, s16, 1
	v_cmp_lt_f64_e32 vcc, v[216:217], v[218:219]
	v_add_u32_e32 v207, 16, v207
	s_cmp_lg_u32 s20, s16
	v_cndmask_b32_e32 v197, v197, v213, vcc
	v_cndmask_b32_e32 v196, v196, v212, vcc
	v_cndmask_b32_e32 v199, v199, v215, vcc
	v_cndmask_b32_e32 v198, v198, v214, vcc
	v_cndmask_b32_e32 v206, v206, v222, vcc
	s_cbranch_scc1 .LBB96_463
.LBB96_464:
	s_waitcnt lgkmcnt(0)
	v_cmp_eq_f64_e32 vcc, 0, v[196:197]
	v_cmp_eq_f64_e64 s[0:1], 0, v[198:199]
	s_and_b64 s[0:1], vcc, s[0:1]
	s_and_saveexec_b64 s[16:17], s[0:1]
	s_xor_b64 s[0:1], exec, s[16:17]
; %bb.465:
	v_cmp_ne_u32_e32 vcc, 0, v210
	s_nop 1
	v_cndmask_b32_e32 v210, 23, v210, vcc
; %bb.466:
	s_andn2_saveexec_b64 s[0:1], s[0:1]
	s_cbranch_execz .LBB96_472
; %bb.467:
	v_cmp_ngt_f64_e64 s[16:17], |v[196:197]|, |v[198:199]|
	s_and_saveexec_b64 s[18:19], s[16:17]
	s_xor_b64 s[16:17], exec, s[18:19]
	s_cbranch_execz .LBB96_469
; %bb.468:
	v_div_scale_f64 v[212:213], s[18:19], v[198:199], v[198:199], v[196:197]
	v_rcp_f64_e32 v[214:215], v[212:213]
	v_div_scale_f64 v[216:217], vcc, v[196:197], v[198:199], v[196:197]
	v_fma_f64 v[218:219], -v[212:213], v[214:215], 1.0
	v_fmac_f64_e32 v[214:215], v[214:215], v[218:219]
	v_fma_f64 v[218:219], -v[212:213], v[214:215], 1.0
	v_fmac_f64_e32 v[214:215], v[214:215], v[218:219]
	v_mul_f64 v[218:219], v[216:217], v[214:215]
	v_fma_f64 v[212:213], -v[212:213], v[218:219], v[216:217]
	v_div_fmas_f64 v[212:213], v[212:213], v[214:215], v[218:219]
	v_div_fixup_f64 v[212:213], v[212:213], v[198:199], v[196:197]
	v_fmac_f64_e32 v[198:199], v[196:197], v[212:213]
	v_div_scale_f64 v[196:197], s[18:19], v[198:199], v[198:199], 1.0
	v_rcp_f64_e32 v[214:215], v[196:197]
	s_nop 0
	v_fma_f64 v[216:217], -v[196:197], v[214:215], 1.0
	v_fmac_f64_e32 v[214:215], v[214:215], v[216:217]
	v_fma_f64 v[216:217], -v[196:197], v[214:215], 1.0
	v_fmac_f64_e32 v[214:215], v[214:215], v[216:217]
	v_div_scale_f64 v[216:217], vcc, 1.0, v[198:199], 1.0
	v_mul_f64 v[218:219], v[216:217], v[214:215]
	v_fma_f64 v[196:197], -v[196:197], v[218:219], v[216:217]
	s_nop 1
	v_div_fmas_f64 v[196:197], v[196:197], v[214:215], v[218:219]
	v_div_fixup_f64 v[198:199], v[196:197], v[198:199], 1.0
	v_mul_f64 v[196:197], v[212:213], v[198:199]
	v_xor_b32_e32 v199, 0x80000000, v199
.LBB96_469:
	s_andn2_saveexec_b64 s[16:17], s[16:17]
	s_cbranch_execz .LBB96_471
; %bb.470:
	v_div_scale_f64 v[212:213], s[18:19], v[196:197], v[196:197], v[198:199]
	v_rcp_f64_e32 v[214:215], v[212:213]
	v_div_scale_f64 v[216:217], vcc, v[198:199], v[196:197], v[198:199]
	v_fma_f64 v[218:219], -v[212:213], v[214:215], 1.0
	v_fmac_f64_e32 v[214:215], v[214:215], v[218:219]
	v_fma_f64 v[218:219], -v[212:213], v[214:215], 1.0
	v_fmac_f64_e32 v[214:215], v[214:215], v[218:219]
	v_mul_f64 v[218:219], v[216:217], v[214:215]
	v_fma_f64 v[212:213], -v[212:213], v[218:219], v[216:217]
	v_div_fmas_f64 v[212:213], v[212:213], v[214:215], v[218:219]
	v_div_fixup_f64 v[212:213], v[212:213], v[196:197], v[198:199]
	v_fmac_f64_e32 v[196:197], v[198:199], v[212:213]
	v_div_scale_f64 v[198:199], s[18:19], v[196:197], v[196:197], 1.0
	v_rcp_f64_e32 v[214:215], v[198:199]
	s_nop 0
	v_fma_f64 v[216:217], -v[198:199], v[214:215], 1.0
	v_fmac_f64_e32 v[214:215], v[214:215], v[216:217]
	v_fma_f64 v[216:217], -v[198:199], v[214:215], 1.0
	v_fmac_f64_e32 v[214:215], v[214:215], v[216:217]
	v_div_scale_f64 v[216:217], vcc, 1.0, v[196:197], 1.0
	v_mul_f64 v[218:219], v[216:217], v[214:215]
	v_fma_f64 v[198:199], -v[198:199], v[218:219], v[216:217]
	s_nop 1
	v_div_fmas_f64 v[198:199], v[198:199], v[214:215], v[218:219]
	v_div_fixup_f64 v[196:197], v[198:199], v[196:197], 1.0
	v_mul_f64 v[198:199], v[212:213], -v[196:197]
.LBB96_471:
	s_or_b64 exec, exec, s[16:17]
.LBB96_472:
	s_or_b64 exec, exec, s[0:1]
	v_cmp_ne_u32_e32 vcc, v209, v206
	s_and_saveexec_b64 s[0:1], vcc
	s_xor_b64 s[0:1], exec, s[0:1]
	s_cbranch_execz .LBB96_478
; %bb.473:
	v_cmp_eq_u32_e32 vcc, 22, v209
	s_and_saveexec_b64 s[16:17], vcc
	s_cbranch_execz .LBB96_477
; %bb.474:
	v_cmp_ne_u32_e32 vcc, 22, v206
	s_xor_b64 s[18:19], s[14:15], -1
	s_and_b64 s[22:23], s[18:19], vcc
	s_and_saveexec_b64 s[18:19], s[22:23]
	s_cbranch_execz .LBB96_476
; %bb.475:
	v_ashrrev_i32_e32 v207, 31, v206
	v_lshl_add_u64 v[212:213], v[206:207], 2, v[204:205]
	global_load_dword v207, v[212:213], off
	global_load_dword v209, v[204:205], off offset:88
	s_waitcnt vmcnt(1)
	global_store_dword v[204:205], v207, off offset:88
	s_waitcnt vmcnt(1)
	global_store_dword v[212:213], v209, off
.LBB96_476:
	s_or_b64 exec, exec, s[18:19]
	v_mov_b32_e32 v209, v206
	v_mov_b32_e32 v211, v206
.LBB96_477:
	s_or_b64 exec, exec, s[16:17]
.LBB96_478:
	s_andn2_saveexec_b64 s[0:1], s[0:1]
	s_cbranch_execz .LBB96_480
; %bb.479:
	v_mov_b32_e32 v209, 22
	s_waitcnt vmcnt(25)
	ds_write2_b64 v208, v[96:97], v[98:99] offset0:46 offset1:47
	s_waitcnt vmcnt(24)
	ds_write2_b64 v208, v[92:93], v[94:95] offset0:48 offset1:49
	;; [unrolled: 2-line block ×26, first 2 shown]
.LBB96_480:
	s_or_b64 exec, exec, s[0:1]
	v_cmp_lt_i32_e32 vcc, 22, v209
	s_waitcnt lgkmcnt(0)
	s_barrier
	s_and_saveexec_b64 s[0:1], vcc
	s_cbranch_execz .LBB96_482
; %bb.481:
	ds_read2_b64 v[212:215], v208 offset0:46 offset1:47
	v_mul_f64 v[206:207], v[198:199], v[102:103]
	v_mul_f64 v[102:103], v[196:197], v[102:103]
	v_fma_f64 v[206:207], v[196:197], v[100:101], -v[206:207]
	v_fmac_f64_e32 v[102:103], v[198:199], v[100:101]
	ds_read2_b64 v[196:199], v208 offset0:48 offset1:49
	s_waitcnt lgkmcnt(1)
	v_mul_f64 v[100:101], v[214:215], v[102:103]
	v_fma_f64 v[100:101], v[212:213], v[206:207], -v[100:101]
	v_mul_f64 v[212:213], v[212:213], v[102:103]
	v_fmac_f64_e32 v[212:213], v[214:215], v[206:207]
	s_waitcnt vmcnt(25)
	v_add_f64 v[96:97], v[96:97], -v[100:101]
	s_waitcnt lgkmcnt(0)
	v_mul_f64 v[100:101], v[198:199], v[102:103]
	v_add_f64 v[98:99], v[98:99], -v[212:213]
	v_fma_f64 v[100:101], v[196:197], v[206:207], -v[100:101]
	v_mul_f64 v[196:197], v[196:197], v[102:103]
	ds_read2_b64 v[212:215], v208 offset0:50 offset1:51
	v_fmac_f64_e32 v[196:197], v[198:199], v[206:207]
	s_waitcnt vmcnt(24)
	v_add_f64 v[94:95], v[94:95], -v[196:197]
	ds_read2_b64 v[196:199], v208 offset0:52 offset1:53
	v_add_f64 v[92:93], v[92:93], -v[100:101]
	s_waitcnt lgkmcnt(1)
	v_mul_f64 v[100:101], v[214:215], v[102:103]
	v_fma_f64 v[100:101], v[212:213], v[206:207], -v[100:101]
	v_mul_f64 v[212:213], v[212:213], v[102:103]
	v_fmac_f64_e32 v[212:213], v[214:215], v[206:207]
	s_waitcnt vmcnt(23)
	v_add_f64 v[88:89], v[88:89], -v[100:101]
	s_waitcnt lgkmcnt(0)
	v_mul_f64 v[100:101], v[198:199], v[102:103]
	v_add_f64 v[90:91], v[90:91], -v[212:213]
	v_fma_f64 v[100:101], v[196:197], v[206:207], -v[100:101]
	v_mul_f64 v[196:197], v[196:197], v[102:103]
	ds_read2_b64 v[212:215], v208 offset0:54 offset1:55
	v_fmac_f64_e32 v[196:197], v[198:199], v[206:207]
	s_waitcnt vmcnt(22)
	v_add_f64 v[86:87], v[86:87], -v[196:197]
	ds_read2_b64 v[196:199], v208 offset0:56 offset1:57
	v_add_f64 v[84:85], v[84:85], -v[100:101]
	s_waitcnt lgkmcnt(1)
	v_mul_f64 v[100:101], v[214:215], v[102:103]
	v_fma_f64 v[100:101], v[212:213], v[206:207], -v[100:101]
	v_mul_f64 v[212:213], v[212:213], v[102:103]
	v_fmac_f64_e32 v[212:213], v[214:215], v[206:207]
	s_waitcnt vmcnt(21)
	v_add_f64 v[80:81], v[80:81], -v[100:101]
	s_waitcnt lgkmcnt(0)
	v_mul_f64 v[100:101], v[198:199], v[102:103]
	v_add_f64 v[82:83], v[82:83], -v[212:213]
	v_fma_f64 v[100:101], v[196:197], v[206:207], -v[100:101]
	v_mul_f64 v[196:197], v[196:197], v[102:103]
	ds_read2_b64 v[212:215], v208 offset0:58 offset1:59
	v_fmac_f64_e32 v[196:197], v[198:199], v[206:207]
	s_waitcnt vmcnt(20)
	v_add_f64 v[78:79], v[78:79], -v[196:197]
	ds_read2_b64 v[196:199], v208 offset0:60 offset1:61
	v_add_f64 v[76:77], v[76:77], -v[100:101]
	s_waitcnt lgkmcnt(1)
	v_mul_f64 v[100:101], v[214:215], v[102:103]
	v_fma_f64 v[100:101], v[212:213], v[206:207], -v[100:101]
	v_mul_f64 v[212:213], v[212:213], v[102:103]
	v_fmac_f64_e32 v[212:213], v[214:215], v[206:207]
	s_waitcnt vmcnt(19)
	v_add_f64 v[72:73], v[72:73], -v[100:101]
	s_waitcnt lgkmcnt(0)
	v_mul_f64 v[100:101], v[198:199], v[102:103]
	v_add_f64 v[74:75], v[74:75], -v[212:213]
	v_fma_f64 v[100:101], v[196:197], v[206:207], -v[100:101]
	v_mul_f64 v[196:197], v[196:197], v[102:103]
	ds_read2_b64 v[212:215], v208 offset0:62 offset1:63
	v_fmac_f64_e32 v[196:197], v[198:199], v[206:207]
	s_waitcnt vmcnt(18)
	v_add_f64 v[70:71], v[70:71], -v[196:197]
	ds_read2_b64 v[196:199], v208 offset0:64 offset1:65
	v_add_f64 v[68:69], v[68:69], -v[100:101]
	s_waitcnt lgkmcnt(1)
	v_mul_f64 v[100:101], v[214:215], v[102:103]
	v_fma_f64 v[100:101], v[212:213], v[206:207], -v[100:101]
	v_mul_f64 v[212:213], v[212:213], v[102:103]
	v_fmac_f64_e32 v[212:213], v[214:215], v[206:207]
	s_waitcnt vmcnt(17)
	v_add_f64 v[64:65], v[64:65], -v[100:101]
	s_waitcnt lgkmcnt(0)
	v_mul_f64 v[100:101], v[198:199], v[102:103]
	v_add_f64 v[66:67], v[66:67], -v[212:213]
	v_fma_f64 v[100:101], v[196:197], v[206:207], -v[100:101]
	v_mul_f64 v[196:197], v[196:197], v[102:103]
	ds_read2_b64 v[212:215], v208 offset0:66 offset1:67
	v_fmac_f64_e32 v[196:197], v[198:199], v[206:207]
	s_waitcnt vmcnt(16)
	v_add_f64 v[62:63], v[62:63], -v[196:197]
	ds_read2_b64 v[196:199], v208 offset0:68 offset1:69
	v_add_f64 v[60:61], v[60:61], -v[100:101]
	s_waitcnt lgkmcnt(1)
	v_mul_f64 v[100:101], v[214:215], v[102:103]
	v_fma_f64 v[100:101], v[212:213], v[206:207], -v[100:101]
	v_mul_f64 v[212:213], v[212:213], v[102:103]
	v_fmac_f64_e32 v[212:213], v[214:215], v[206:207]
	s_waitcnt vmcnt(15)
	v_add_f64 v[56:57], v[56:57], -v[100:101]
	s_waitcnt lgkmcnt(0)
	v_mul_f64 v[100:101], v[198:199], v[102:103]
	v_add_f64 v[58:59], v[58:59], -v[212:213]
	v_fma_f64 v[100:101], v[196:197], v[206:207], -v[100:101]
	v_mul_f64 v[196:197], v[196:197], v[102:103]
	ds_read2_b64 v[212:215], v208 offset0:70 offset1:71
	v_fmac_f64_e32 v[196:197], v[198:199], v[206:207]
	s_waitcnt vmcnt(14)
	v_add_f64 v[54:55], v[54:55], -v[196:197]
	ds_read2_b64 v[196:199], v208 offset0:72 offset1:73
	v_add_f64 v[52:53], v[52:53], -v[100:101]
	s_waitcnt lgkmcnt(1)
	v_mul_f64 v[100:101], v[214:215], v[102:103]
	v_fma_f64 v[100:101], v[212:213], v[206:207], -v[100:101]
	v_mul_f64 v[212:213], v[212:213], v[102:103]
	v_fmac_f64_e32 v[212:213], v[214:215], v[206:207]
	s_waitcnt vmcnt(13)
	v_add_f64 v[48:49], v[48:49], -v[100:101]
	s_waitcnt lgkmcnt(0)
	v_mul_f64 v[100:101], v[198:199], v[102:103]
	v_add_f64 v[50:51], v[50:51], -v[212:213]
	v_fma_f64 v[100:101], v[196:197], v[206:207], -v[100:101]
	v_mul_f64 v[196:197], v[196:197], v[102:103]
	ds_read2_b64 v[212:215], v208 offset0:74 offset1:75
	v_fmac_f64_e32 v[196:197], v[198:199], v[206:207]
	s_waitcnt vmcnt(12)
	v_add_f64 v[46:47], v[46:47], -v[196:197]
	ds_read2_b64 v[196:199], v208 offset0:76 offset1:77
	v_add_f64 v[44:45], v[44:45], -v[100:101]
	s_waitcnt lgkmcnt(1)
	v_mul_f64 v[100:101], v[214:215], v[102:103]
	v_fma_f64 v[100:101], v[212:213], v[206:207], -v[100:101]
	v_mul_f64 v[212:213], v[212:213], v[102:103]
	v_fmac_f64_e32 v[212:213], v[214:215], v[206:207]
	s_waitcnt vmcnt(11)
	v_add_f64 v[40:41], v[40:41], -v[100:101]
	s_waitcnt lgkmcnt(0)
	v_mul_f64 v[100:101], v[198:199], v[102:103]
	v_add_f64 v[42:43], v[42:43], -v[212:213]
	v_fma_f64 v[100:101], v[196:197], v[206:207], -v[100:101]
	v_mul_f64 v[196:197], v[196:197], v[102:103]
	ds_read2_b64 v[212:215], v208 offset0:78 offset1:79
	v_fmac_f64_e32 v[196:197], v[198:199], v[206:207]
	s_waitcnt vmcnt(10)
	v_add_f64 v[38:39], v[38:39], -v[196:197]
	ds_read2_b64 v[196:199], v208 offset0:80 offset1:81
	v_add_f64 v[36:37], v[36:37], -v[100:101]
	s_waitcnt lgkmcnt(1)
	v_mul_f64 v[100:101], v[214:215], v[102:103]
	v_fma_f64 v[100:101], v[212:213], v[206:207], -v[100:101]
	v_mul_f64 v[212:213], v[212:213], v[102:103]
	v_fmac_f64_e32 v[212:213], v[214:215], v[206:207]
	s_waitcnt vmcnt(9)
	v_add_f64 v[32:33], v[32:33], -v[100:101]
	s_waitcnt lgkmcnt(0)
	v_mul_f64 v[100:101], v[198:199], v[102:103]
	v_add_f64 v[34:35], v[34:35], -v[212:213]
	v_fma_f64 v[100:101], v[196:197], v[206:207], -v[100:101]
	v_mul_f64 v[196:197], v[196:197], v[102:103]
	ds_read2_b64 v[212:215], v208 offset0:82 offset1:83
	v_fmac_f64_e32 v[196:197], v[198:199], v[206:207]
	s_waitcnt vmcnt(8)
	v_add_f64 v[30:31], v[30:31], -v[196:197]
	ds_read2_b64 v[196:199], v208 offset0:84 offset1:85
	v_add_f64 v[28:29], v[28:29], -v[100:101]
	s_waitcnt lgkmcnt(1)
	v_mul_f64 v[100:101], v[214:215], v[102:103]
	v_fma_f64 v[100:101], v[212:213], v[206:207], -v[100:101]
	v_mul_f64 v[212:213], v[212:213], v[102:103]
	v_fmac_f64_e32 v[212:213], v[214:215], v[206:207]
	s_waitcnt vmcnt(7)
	v_add_f64 v[24:25], v[24:25], -v[100:101]
	s_waitcnt lgkmcnt(0)
	v_mul_f64 v[100:101], v[198:199], v[102:103]
	v_add_f64 v[26:27], v[26:27], -v[212:213]
	v_fma_f64 v[100:101], v[196:197], v[206:207], -v[100:101]
	v_mul_f64 v[196:197], v[196:197], v[102:103]
	ds_read2_b64 v[212:215], v208 offset0:86 offset1:87
	v_fmac_f64_e32 v[196:197], v[198:199], v[206:207]
	s_waitcnt vmcnt(6)
	v_add_f64 v[22:23], v[22:23], -v[196:197]
	ds_read2_b64 v[196:199], v208 offset0:88 offset1:89
	v_add_f64 v[20:21], v[20:21], -v[100:101]
	s_waitcnt lgkmcnt(1)
	v_mul_f64 v[100:101], v[214:215], v[102:103]
	v_fma_f64 v[100:101], v[212:213], v[206:207], -v[100:101]
	v_mul_f64 v[212:213], v[212:213], v[102:103]
	v_fmac_f64_e32 v[212:213], v[214:215], v[206:207]
	s_waitcnt vmcnt(5)
	v_add_f64 v[16:17], v[16:17], -v[100:101]
	s_waitcnt lgkmcnt(0)
	v_mul_f64 v[100:101], v[198:199], v[102:103]
	v_add_f64 v[18:19], v[18:19], -v[212:213]
	v_fma_f64 v[100:101], v[196:197], v[206:207], -v[100:101]
	v_mul_f64 v[196:197], v[196:197], v[102:103]
	ds_read2_b64 v[212:215], v208 offset0:90 offset1:91
	v_fmac_f64_e32 v[196:197], v[198:199], v[206:207]
	s_waitcnt vmcnt(4)
	v_add_f64 v[14:15], v[14:15], -v[196:197]
	ds_read2_b64 v[196:199], v208 offset0:92 offset1:93
	v_add_f64 v[12:13], v[12:13], -v[100:101]
	s_waitcnt lgkmcnt(1)
	v_mul_f64 v[100:101], v[214:215], v[102:103]
	v_fma_f64 v[100:101], v[212:213], v[206:207], -v[100:101]
	v_mul_f64 v[212:213], v[212:213], v[102:103]
	v_fmac_f64_e32 v[212:213], v[214:215], v[206:207]
	s_waitcnt vmcnt(3)
	v_add_f64 v[8:9], v[8:9], -v[100:101]
	s_waitcnt lgkmcnt(0)
	v_mul_f64 v[100:101], v[198:199], v[102:103]
	v_add_f64 v[10:11], v[10:11], -v[212:213]
	v_fma_f64 v[100:101], v[196:197], v[206:207], -v[100:101]
	v_mul_f64 v[196:197], v[196:197], v[102:103]
	ds_read2_b64 v[212:215], v208 offset0:94 offset1:95
	v_fmac_f64_e32 v[196:197], v[198:199], v[206:207]
	s_waitcnt vmcnt(2)
	v_add_f64 v[6:7], v[6:7], -v[196:197]
	ds_read2_b64 v[196:199], v208 offset0:96 offset1:97
	v_add_f64 v[4:5], v[4:5], -v[100:101]
	s_waitcnt lgkmcnt(1)
	v_mul_f64 v[100:101], v[214:215], v[102:103]
	v_fma_f64 v[100:101], v[212:213], v[206:207], -v[100:101]
	s_waitcnt vmcnt(1)
	v_add_f64 v[0:1], v[0:1], -v[100:101]
	s_waitcnt lgkmcnt(0)
	v_mul_f64 v[100:101], v[198:199], v[102:103]
	v_mul_f64 v[212:213], v[212:213], v[102:103]
	v_fma_f64 v[100:101], v[196:197], v[206:207], -v[100:101]
	v_mul_f64 v[196:197], v[196:197], v[102:103]
	v_fmac_f64_e32 v[212:213], v[214:215], v[206:207]
	v_fmac_f64_e32 v[196:197], v[198:199], v[206:207]
	v_add_f64 v[2:3], v[2:3], -v[212:213]
	s_waitcnt vmcnt(0)
	v_add_f64 v[192:193], v[192:193], -v[100:101]
	v_add_f64 v[194:195], v[194:195], -v[196:197]
	v_mov_b64_e32 v[100:101], v[206:207]
.LBB96_482:
	s_or_b64 exec, exec, s[0:1]
	v_lshl_add_u32 v196, v209, 4, v208
	s_barrier
	s_waitcnt vmcnt(25)
	ds_write2_b64 v196, v[96:97], v[98:99] offset1:1
	s_waitcnt lgkmcnt(0)
	s_barrier
	ds_read2_b64 v[196:199], v208 offset0:46 offset1:47
	s_cmp_lt_i32 s20, 25
	v_mov_b32_e32 v206, 23
	s_cbranch_scc1 .LBB96_485
; %bb.483:
	v_add_u32_e32 v207, 0x180, v208
	s_mov_b32 s16, 24
	v_mov_b32_e32 v206, 23
.LBB96_484:                             ; =>This Inner Loop Header: Depth=1
	ds_read2_b64 v[212:215], v207 offset1:1
	s_waitcnt lgkmcnt(1)
	v_xor_b32_e32 v217, 0x80000000, v197
	v_xor_b32_e32 v219, 0x80000000, v199
	v_cmp_gt_f64_e32 vcc, 0, v[198:199]
	v_cmp_gt_f64_e64 s[0:1], 0, v[196:197]
	v_mov_b32_e32 v216, v196
	v_mov_b32_e32 v218, v198
	v_cndmask_b32_e64 v217, v197, v217, s[0:1]
	v_cndmask_b32_e32 v219, v199, v219, vcc
	v_add_f64 v[216:217], v[216:217], v[218:219]
	s_waitcnt lgkmcnt(0)
	v_xor_b32_e32 v219, 0x80000000, v213
	v_xor_b32_e32 v221, 0x80000000, v215
	v_cmp_gt_f64_e32 vcc, 0, v[214:215]
	v_cmp_gt_f64_e64 s[0:1], 0, v[212:213]
	v_mov_b32_e32 v218, v212
	v_mov_b32_e32 v220, v214
	v_cndmask_b32_e64 v219, v213, v219, s[0:1]
	v_cndmask_b32_e32 v221, v215, v221, vcc
	v_add_f64 v[218:219], v[218:219], v[220:221]
	v_mov_b32_e32 v222, s16
	s_add_i32 s16, s16, 1
	v_cmp_lt_f64_e32 vcc, v[216:217], v[218:219]
	v_add_u32_e32 v207, 16, v207
	s_cmp_lg_u32 s20, s16
	v_cndmask_b32_e32 v197, v197, v213, vcc
	v_cndmask_b32_e32 v196, v196, v212, vcc
	;; [unrolled: 1-line block ×5, first 2 shown]
	s_cbranch_scc1 .LBB96_484
.LBB96_485:
	s_waitcnt lgkmcnt(0)
	v_cmp_eq_f64_e32 vcc, 0, v[196:197]
	v_cmp_eq_f64_e64 s[0:1], 0, v[198:199]
	s_and_b64 s[0:1], vcc, s[0:1]
	s_and_saveexec_b64 s[16:17], s[0:1]
	s_xor_b64 s[0:1], exec, s[16:17]
; %bb.486:
	v_cmp_ne_u32_e32 vcc, 0, v210
	s_nop 1
	v_cndmask_b32_e32 v210, 24, v210, vcc
; %bb.487:
	s_andn2_saveexec_b64 s[0:1], s[0:1]
	s_cbranch_execz .LBB96_493
; %bb.488:
	v_cmp_ngt_f64_e64 s[16:17], |v[196:197]|, |v[198:199]|
	s_and_saveexec_b64 s[18:19], s[16:17]
	s_xor_b64 s[16:17], exec, s[18:19]
	s_cbranch_execz .LBB96_490
; %bb.489:
	v_div_scale_f64 v[212:213], s[18:19], v[198:199], v[198:199], v[196:197]
	v_rcp_f64_e32 v[214:215], v[212:213]
	v_div_scale_f64 v[216:217], vcc, v[196:197], v[198:199], v[196:197]
	v_fma_f64 v[218:219], -v[212:213], v[214:215], 1.0
	v_fmac_f64_e32 v[214:215], v[214:215], v[218:219]
	v_fma_f64 v[218:219], -v[212:213], v[214:215], 1.0
	v_fmac_f64_e32 v[214:215], v[214:215], v[218:219]
	v_mul_f64 v[218:219], v[216:217], v[214:215]
	v_fma_f64 v[212:213], -v[212:213], v[218:219], v[216:217]
	v_div_fmas_f64 v[212:213], v[212:213], v[214:215], v[218:219]
	v_div_fixup_f64 v[212:213], v[212:213], v[198:199], v[196:197]
	v_fmac_f64_e32 v[198:199], v[196:197], v[212:213]
	v_div_scale_f64 v[196:197], s[18:19], v[198:199], v[198:199], 1.0
	v_rcp_f64_e32 v[214:215], v[196:197]
	s_nop 0
	v_fma_f64 v[216:217], -v[196:197], v[214:215], 1.0
	v_fmac_f64_e32 v[214:215], v[214:215], v[216:217]
	v_fma_f64 v[216:217], -v[196:197], v[214:215], 1.0
	v_fmac_f64_e32 v[214:215], v[214:215], v[216:217]
	v_div_scale_f64 v[216:217], vcc, 1.0, v[198:199], 1.0
	v_mul_f64 v[218:219], v[216:217], v[214:215]
	v_fma_f64 v[196:197], -v[196:197], v[218:219], v[216:217]
	s_nop 1
	v_div_fmas_f64 v[196:197], v[196:197], v[214:215], v[218:219]
	v_div_fixup_f64 v[198:199], v[196:197], v[198:199], 1.0
	v_mul_f64 v[196:197], v[212:213], v[198:199]
	v_xor_b32_e32 v199, 0x80000000, v199
.LBB96_490:
	s_andn2_saveexec_b64 s[16:17], s[16:17]
	s_cbranch_execz .LBB96_492
; %bb.491:
	v_div_scale_f64 v[212:213], s[18:19], v[196:197], v[196:197], v[198:199]
	v_rcp_f64_e32 v[214:215], v[212:213]
	v_div_scale_f64 v[216:217], vcc, v[198:199], v[196:197], v[198:199]
	v_fma_f64 v[218:219], -v[212:213], v[214:215], 1.0
	v_fmac_f64_e32 v[214:215], v[214:215], v[218:219]
	v_fma_f64 v[218:219], -v[212:213], v[214:215], 1.0
	v_fmac_f64_e32 v[214:215], v[214:215], v[218:219]
	v_mul_f64 v[218:219], v[216:217], v[214:215]
	v_fma_f64 v[212:213], -v[212:213], v[218:219], v[216:217]
	v_div_fmas_f64 v[212:213], v[212:213], v[214:215], v[218:219]
	v_div_fixup_f64 v[212:213], v[212:213], v[196:197], v[198:199]
	v_fmac_f64_e32 v[196:197], v[198:199], v[212:213]
	v_div_scale_f64 v[198:199], s[18:19], v[196:197], v[196:197], 1.0
	v_rcp_f64_e32 v[214:215], v[198:199]
	s_nop 0
	v_fma_f64 v[216:217], -v[198:199], v[214:215], 1.0
	v_fmac_f64_e32 v[214:215], v[214:215], v[216:217]
	v_fma_f64 v[216:217], -v[198:199], v[214:215], 1.0
	v_fmac_f64_e32 v[214:215], v[214:215], v[216:217]
	v_div_scale_f64 v[216:217], vcc, 1.0, v[196:197], 1.0
	v_mul_f64 v[218:219], v[216:217], v[214:215]
	v_fma_f64 v[198:199], -v[198:199], v[218:219], v[216:217]
	s_nop 1
	v_div_fmas_f64 v[198:199], v[198:199], v[214:215], v[218:219]
	v_div_fixup_f64 v[196:197], v[198:199], v[196:197], 1.0
	v_mul_f64 v[198:199], v[212:213], -v[196:197]
.LBB96_492:
	s_or_b64 exec, exec, s[16:17]
.LBB96_493:
	s_or_b64 exec, exec, s[0:1]
	v_cmp_ne_u32_e32 vcc, v209, v206
	s_and_saveexec_b64 s[0:1], vcc
	s_xor_b64 s[0:1], exec, s[0:1]
	s_cbranch_execz .LBB96_499
; %bb.494:
	v_cmp_eq_u32_e32 vcc, 23, v209
	s_and_saveexec_b64 s[16:17], vcc
	s_cbranch_execz .LBB96_498
; %bb.495:
	v_cmp_ne_u32_e32 vcc, 23, v206
	s_xor_b64 s[18:19], s[14:15], -1
	s_and_b64 s[22:23], s[18:19], vcc
	s_and_saveexec_b64 s[18:19], s[22:23]
	s_cbranch_execz .LBB96_497
; %bb.496:
	v_ashrrev_i32_e32 v207, 31, v206
	v_lshl_add_u64 v[212:213], v[206:207], 2, v[204:205]
	global_load_dword v207, v[212:213], off
	global_load_dword v209, v[204:205], off offset:92
	s_waitcnt vmcnt(1)
	global_store_dword v[204:205], v207, off offset:92
	s_waitcnt vmcnt(1)
	global_store_dword v[212:213], v209, off
.LBB96_497:
	s_or_b64 exec, exec, s[18:19]
	v_mov_b32_e32 v209, v206
	v_mov_b32_e32 v211, v206
.LBB96_498:
	s_or_b64 exec, exec, s[16:17]
.LBB96_499:
	s_andn2_saveexec_b64 s[0:1], s[0:1]
	s_cbranch_execz .LBB96_501
; %bb.500:
	v_mov_b32_e32 v209, 23
	s_waitcnt vmcnt(24)
	ds_write2_b64 v208, v[92:93], v[94:95] offset0:48 offset1:49
	s_waitcnt vmcnt(23)
	ds_write2_b64 v208, v[88:89], v[90:91] offset0:50 offset1:51
	s_waitcnt vmcnt(22)
	ds_write2_b64 v208, v[84:85], v[86:87] offset0:52 offset1:53
	s_waitcnt vmcnt(21)
	ds_write2_b64 v208, v[80:81], v[82:83] offset0:54 offset1:55
	s_waitcnt vmcnt(20)
	ds_write2_b64 v208, v[76:77], v[78:79] offset0:56 offset1:57
	s_waitcnt vmcnt(19)
	ds_write2_b64 v208, v[72:73], v[74:75] offset0:58 offset1:59
	s_waitcnt vmcnt(18)
	ds_write2_b64 v208, v[68:69], v[70:71] offset0:60 offset1:61
	s_waitcnt vmcnt(17)
	ds_write2_b64 v208, v[64:65], v[66:67] offset0:62 offset1:63
	s_waitcnt vmcnt(16)
	ds_write2_b64 v208, v[60:61], v[62:63] offset0:64 offset1:65
	s_waitcnt vmcnt(15)
	ds_write2_b64 v208, v[56:57], v[58:59] offset0:66 offset1:67
	s_waitcnt vmcnt(14)
	ds_write2_b64 v208, v[52:53], v[54:55] offset0:68 offset1:69
	s_waitcnt vmcnt(13)
	ds_write2_b64 v208, v[48:49], v[50:51] offset0:70 offset1:71
	s_waitcnt vmcnt(12)
	ds_write2_b64 v208, v[44:45], v[46:47] offset0:72 offset1:73
	s_waitcnt vmcnt(11)
	ds_write2_b64 v208, v[40:41], v[42:43] offset0:74 offset1:75
	s_waitcnt vmcnt(10)
	ds_write2_b64 v208, v[36:37], v[38:39] offset0:76 offset1:77
	s_waitcnt vmcnt(9)
	ds_write2_b64 v208, v[32:33], v[34:35] offset0:78 offset1:79
	s_waitcnt vmcnt(8)
	ds_write2_b64 v208, v[28:29], v[30:31] offset0:80 offset1:81
	s_waitcnt vmcnt(7)
	ds_write2_b64 v208, v[24:25], v[26:27] offset0:82 offset1:83
	s_waitcnt vmcnt(6)
	ds_write2_b64 v208, v[20:21], v[22:23] offset0:84 offset1:85
	s_waitcnt vmcnt(5)
	ds_write2_b64 v208, v[16:17], v[18:19] offset0:86 offset1:87
	s_waitcnt vmcnt(4)
	ds_write2_b64 v208, v[12:13], v[14:15] offset0:88 offset1:89
	s_waitcnt vmcnt(3)
	ds_write2_b64 v208, v[8:9], v[10:11] offset0:90 offset1:91
	s_waitcnt vmcnt(2)
	ds_write2_b64 v208, v[4:5], v[6:7] offset0:92 offset1:93
	s_waitcnt vmcnt(1)
	ds_write2_b64 v208, v[0:1], v[2:3] offset0:94 offset1:95
	s_waitcnt vmcnt(0)
	ds_write2_b64 v208, v[192:193], v[194:195] offset0:96 offset1:97
.LBB96_501:
	s_or_b64 exec, exec, s[0:1]
	v_cmp_lt_i32_e32 vcc, 23, v209
	s_waitcnt lgkmcnt(0)
	s_barrier
	s_and_saveexec_b64 s[0:1], vcc
	s_cbranch_execz .LBB96_503
; %bb.502:
	ds_read2_b64 v[212:215], v208 offset0:48 offset1:49
	v_mul_f64 v[206:207], v[198:199], v[98:99]
	v_mul_f64 v[98:99], v[196:197], v[98:99]
	v_fmac_f64_e32 v[98:99], v[198:199], v[96:97]
	v_fma_f64 v[206:207], v[196:197], v[96:97], -v[206:207]
	ds_read2_b64 v[196:199], v208 offset0:50 offset1:51
	s_waitcnt lgkmcnt(1)
	v_mul_f64 v[96:97], v[214:215], v[98:99]
	v_fma_f64 v[96:97], v[212:213], v[206:207], -v[96:97]
	v_mul_f64 v[212:213], v[212:213], v[98:99]
	v_fmac_f64_e32 v[212:213], v[214:215], v[206:207]
	s_waitcnt vmcnt(24)
	v_add_f64 v[94:95], v[94:95], -v[212:213]
	ds_read2_b64 v[212:215], v208 offset0:52 offset1:53
	v_add_f64 v[92:93], v[92:93], -v[96:97]
	s_waitcnt lgkmcnt(1)
	v_mul_f64 v[96:97], v[198:199], v[98:99]
	v_fma_f64 v[96:97], v[196:197], v[206:207], -v[96:97]
	v_mul_f64 v[196:197], v[196:197], v[98:99]
	v_fmac_f64_e32 v[196:197], v[198:199], v[206:207]
	s_waitcnt vmcnt(23)
	v_add_f64 v[88:89], v[88:89], -v[96:97]
	v_add_f64 v[90:91], v[90:91], -v[196:197]
	ds_read2_b64 v[196:199], v208 offset0:54 offset1:55
	s_waitcnt lgkmcnt(1)
	v_mul_f64 v[96:97], v[214:215], v[98:99]
	v_fma_f64 v[96:97], v[212:213], v[206:207], -v[96:97]
	v_mul_f64 v[212:213], v[212:213], v[98:99]
	v_fmac_f64_e32 v[212:213], v[214:215], v[206:207]
	s_waitcnt vmcnt(22)
	v_add_f64 v[86:87], v[86:87], -v[212:213]
	ds_read2_b64 v[212:215], v208 offset0:56 offset1:57
	v_add_f64 v[84:85], v[84:85], -v[96:97]
	s_waitcnt lgkmcnt(1)
	v_mul_f64 v[96:97], v[198:199], v[98:99]
	v_fma_f64 v[96:97], v[196:197], v[206:207], -v[96:97]
	v_mul_f64 v[196:197], v[196:197], v[98:99]
	v_fmac_f64_e32 v[196:197], v[198:199], v[206:207]
	s_waitcnt vmcnt(21)
	v_add_f64 v[80:81], v[80:81], -v[96:97]
	v_add_f64 v[82:83], v[82:83], -v[196:197]
	;; [unrolled: 18-line block ×12, first 2 shown]
	s_waitcnt lgkmcnt(0)
	v_mul_f64 v[96:97], v[214:215], v[98:99]
	v_mul_f64 v[196:197], v[212:213], v[98:99]
	v_fma_f64 v[96:97], v[212:213], v[206:207], -v[96:97]
	v_fmac_f64_e32 v[196:197], v[214:215], v[206:207]
	s_waitcnt vmcnt(0)
	v_add_f64 v[192:193], v[192:193], -v[96:97]
	v_add_f64 v[194:195], v[194:195], -v[196:197]
	v_mov_b64_e32 v[96:97], v[206:207]
.LBB96_503:
	s_or_b64 exec, exec, s[0:1]
	v_lshl_add_u32 v196, v209, 4, v208
	s_barrier
	s_waitcnt vmcnt(24)
	ds_write2_b64 v196, v[92:93], v[94:95] offset1:1
	s_waitcnt lgkmcnt(0)
	s_barrier
	ds_read2_b64 v[196:199], v208 offset0:48 offset1:49
	s_cmp_lt_i32 s20, 26
	v_mov_b32_e32 v206, 24
	s_cbranch_scc1 .LBB96_506
; %bb.504:
	v_add_u32_e32 v207, 0x190, v208
	s_mov_b32 s16, 25
	v_mov_b32_e32 v206, 24
.LBB96_505:                             ; =>This Inner Loop Header: Depth=1
	ds_read2_b64 v[212:215], v207 offset1:1
	s_waitcnt lgkmcnt(1)
	v_xor_b32_e32 v217, 0x80000000, v197
	v_xor_b32_e32 v219, 0x80000000, v199
	v_cmp_gt_f64_e32 vcc, 0, v[198:199]
	v_cmp_gt_f64_e64 s[0:1], 0, v[196:197]
	v_mov_b32_e32 v216, v196
	v_mov_b32_e32 v218, v198
	v_cndmask_b32_e64 v217, v197, v217, s[0:1]
	v_cndmask_b32_e32 v219, v199, v219, vcc
	v_add_f64 v[216:217], v[216:217], v[218:219]
	s_waitcnt lgkmcnt(0)
	v_xor_b32_e32 v219, 0x80000000, v213
	v_xor_b32_e32 v221, 0x80000000, v215
	v_cmp_gt_f64_e32 vcc, 0, v[214:215]
	v_cmp_gt_f64_e64 s[0:1], 0, v[212:213]
	v_mov_b32_e32 v218, v212
	v_mov_b32_e32 v220, v214
	v_cndmask_b32_e64 v219, v213, v219, s[0:1]
	v_cndmask_b32_e32 v221, v215, v221, vcc
	v_add_f64 v[218:219], v[218:219], v[220:221]
	v_mov_b32_e32 v222, s16
	s_add_i32 s16, s16, 1
	v_cmp_lt_f64_e32 vcc, v[216:217], v[218:219]
	v_add_u32_e32 v207, 16, v207
	s_cmp_lg_u32 s20, s16
	v_cndmask_b32_e32 v197, v197, v213, vcc
	v_cndmask_b32_e32 v196, v196, v212, vcc
	;; [unrolled: 1-line block ×5, first 2 shown]
	s_cbranch_scc1 .LBB96_505
.LBB96_506:
	s_waitcnt lgkmcnt(0)
	v_cmp_eq_f64_e32 vcc, 0, v[196:197]
	v_cmp_eq_f64_e64 s[0:1], 0, v[198:199]
	s_and_b64 s[0:1], vcc, s[0:1]
	s_and_saveexec_b64 s[16:17], s[0:1]
	s_xor_b64 s[0:1], exec, s[16:17]
; %bb.507:
	v_cmp_ne_u32_e32 vcc, 0, v210
	s_nop 1
	v_cndmask_b32_e32 v210, 25, v210, vcc
; %bb.508:
	s_andn2_saveexec_b64 s[0:1], s[0:1]
	s_cbranch_execz .LBB96_514
; %bb.509:
	v_cmp_ngt_f64_e64 s[16:17], |v[196:197]|, |v[198:199]|
	s_and_saveexec_b64 s[18:19], s[16:17]
	s_xor_b64 s[16:17], exec, s[18:19]
	s_cbranch_execz .LBB96_511
; %bb.510:
	v_div_scale_f64 v[212:213], s[18:19], v[198:199], v[198:199], v[196:197]
	v_rcp_f64_e32 v[214:215], v[212:213]
	v_div_scale_f64 v[216:217], vcc, v[196:197], v[198:199], v[196:197]
	v_fma_f64 v[218:219], -v[212:213], v[214:215], 1.0
	v_fmac_f64_e32 v[214:215], v[214:215], v[218:219]
	v_fma_f64 v[218:219], -v[212:213], v[214:215], 1.0
	v_fmac_f64_e32 v[214:215], v[214:215], v[218:219]
	v_mul_f64 v[218:219], v[216:217], v[214:215]
	v_fma_f64 v[212:213], -v[212:213], v[218:219], v[216:217]
	v_div_fmas_f64 v[212:213], v[212:213], v[214:215], v[218:219]
	v_div_fixup_f64 v[212:213], v[212:213], v[198:199], v[196:197]
	v_fmac_f64_e32 v[198:199], v[196:197], v[212:213]
	v_div_scale_f64 v[196:197], s[18:19], v[198:199], v[198:199], 1.0
	v_rcp_f64_e32 v[214:215], v[196:197]
	s_nop 0
	v_fma_f64 v[216:217], -v[196:197], v[214:215], 1.0
	v_fmac_f64_e32 v[214:215], v[214:215], v[216:217]
	v_fma_f64 v[216:217], -v[196:197], v[214:215], 1.0
	v_fmac_f64_e32 v[214:215], v[214:215], v[216:217]
	v_div_scale_f64 v[216:217], vcc, 1.0, v[198:199], 1.0
	v_mul_f64 v[218:219], v[216:217], v[214:215]
	v_fma_f64 v[196:197], -v[196:197], v[218:219], v[216:217]
	s_nop 1
	v_div_fmas_f64 v[196:197], v[196:197], v[214:215], v[218:219]
	v_div_fixup_f64 v[198:199], v[196:197], v[198:199], 1.0
	v_mul_f64 v[196:197], v[212:213], v[198:199]
	v_xor_b32_e32 v199, 0x80000000, v199
.LBB96_511:
	s_andn2_saveexec_b64 s[16:17], s[16:17]
	s_cbranch_execz .LBB96_513
; %bb.512:
	v_div_scale_f64 v[212:213], s[18:19], v[196:197], v[196:197], v[198:199]
	v_rcp_f64_e32 v[214:215], v[212:213]
	v_div_scale_f64 v[216:217], vcc, v[198:199], v[196:197], v[198:199]
	v_fma_f64 v[218:219], -v[212:213], v[214:215], 1.0
	v_fmac_f64_e32 v[214:215], v[214:215], v[218:219]
	v_fma_f64 v[218:219], -v[212:213], v[214:215], 1.0
	v_fmac_f64_e32 v[214:215], v[214:215], v[218:219]
	v_mul_f64 v[218:219], v[216:217], v[214:215]
	v_fma_f64 v[212:213], -v[212:213], v[218:219], v[216:217]
	v_div_fmas_f64 v[212:213], v[212:213], v[214:215], v[218:219]
	v_div_fixup_f64 v[212:213], v[212:213], v[196:197], v[198:199]
	v_fmac_f64_e32 v[196:197], v[198:199], v[212:213]
	v_div_scale_f64 v[198:199], s[18:19], v[196:197], v[196:197], 1.0
	v_rcp_f64_e32 v[214:215], v[198:199]
	s_nop 0
	v_fma_f64 v[216:217], -v[198:199], v[214:215], 1.0
	v_fmac_f64_e32 v[214:215], v[214:215], v[216:217]
	v_fma_f64 v[216:217], -v[198:199], v[214:215], 1.0
	v_fmac_f64_e32 v[214:215], v[214:215], v[216:217]
	v_div_scale_f64 v[216:217], vcc, 1.0, v[196:197], 1.0
	v_mul_f64 v[218:219], v[216:217], v[214:215]
	v_fma_f64 v[198:199], -v[198:199], v[218:219], v[216:217]
	s_nop 1
	v_div_fmas_f64 v[198:199], v[198:199], v[214:215], v[218:219]
	v_div_fixup_f64 v[196:197], v[198:199], v[196:197], 1.0
	v_mul_f64 v[198:199], v[212:213], -v[196:197]
.LBB96_513:
	s_or_b64 exec, exec, s[16:17]
.LBB96_514:
	s_or_b64 exec, exec, s[0:1]
	v_cmp_ne_u32_e32 vcc, v209, v206
	s_and_saveexec_b64 s[0:1], vcc
	s_xor_b64 s[0:1], exec, s[0:1]
	s_cbranch_execz .LBB96_520
; %bb.515:
	v_cmp_eq_u32_e32 vcc, 24, v209
	s_and_saveexec_b64 s[16:17], vcc
	s_cbranch_execz .LBB96_519
; %bb.516:
	v_cmp_ne_u32_e32 vcc, 24, v206
	s_xor_b64 s[18:19], s[14:15], -1
	s_and_b64 s[22:23], s[18:19], vcc
	s_and_saveexec_b64 s[18:19], s[22:23]
	s_cbranch_execz .LBB96_518
; %bb.517:
	v_ashrrev_i32_e32 v207, 31, v206
	v_lshl_add_u64 v[212:213], v[206:207], 2, v[204:205]
	global_load_dword v207, v[212:213], off
	global_load_dword v209, v[204:205], off offset:96
	s_waitcnt vmcnt(1)
	global_store_dword v[204:205], v207, off offset:96
	s_waitcnt vmcnt(1)
	global_store_dword v[212:213], v209, off
.LBB96_518:
	s_or_b64 exec, exec, s[18:19]
	v_mov_b32_e32 v209, v206
	v_mov_b32_e32 v211, v206
.LBB96_519:
	s_or_b64 exec, exec, s[16:17]
.LBB96_520:
	s_andn2_saveexec_b64 s[0:1], s[0:1]
	s_cbranch_execz .LBB96_522
; %bb.521:
	v_mov_b32_e32 v209, 24
	s_waitcnt vmcnt(23)
	ds_write2_b64 v208, v[88:89], v[90:91] offset0:50 offset1:51
	s_waitcnt vmcnt(22)
	ds_write2_b64 v208, v[84:85], v[86:87] offset0:52 offset1:53
	;; [unrolled: 2-line block ×24, first 2 shown]
.LBB96_522:
	s_or_b64 exec, exec, s[0:1]
	v_cmp_lt_i32_e32 vcc, 24, v209
	s_waitcnt lgkmcnt(0)
	s_barrier
	s_and_saveexec_b64 s[0:1], vcc
	s_cbranch_execz .LBB96_524
; %bb.523:
	ds_read2_b64 v[212:215], v208 offset0:50 offset1:51
	v_mul_f64 v[206:207], v[198:199], v[94:95]
	v_mul_f64 v[94:95], v[196:197], v[94:95]
	v_fma_f64 v[206:207], v[196:197], v[92:93], -v[206:207]
	v_fmac_f64_e32 v[94:95], v[198:199], v[92:93]
	ds_read2_b64 v[196:199], v208 offset0:52 offset1:53
	s_waitcnt lgkmcnt(1)
	v_mul_f64 v[92:93], v[214:215], v[94:95]
	v_fma_f64 v[92:93], v[212:213], v[206:207], -v[92:93]
	v_mul_f64 v[212:213], v[212:213], v[94:95]
	v_fmac_f64_e32 v[212:213], v[214:215], v[206:207]
	s_waitcnt vmcnt(23)
	v_add_f64 v[88:89], v[88:89], -v[92:93]
	s_waitcnt lgkmcnt(0)
	v_mul_f64 v[92:93], v[198:199], v[94:95]
	v_add_f64 v[90:91], v[90:91], -v[212:213]
	v_fma_f64 v[92:93], v[196:197], v[206:207], -v[92:93]
	v_mul_f64 v[196:197], v[196:197], v[94:95]
	ds_read2_b64 v[212:215], v208 offset0:54 offset1:55
	v_fmac_f64_e32 v[196:197], v[198:199], v[206:207]
	s_waitcnt vmcnt(22)
	v_add_f64 v[86:87], v[86:87], -v[196:197]
	ds_read2_b64 v[196:199], v208 offset0:56 offset1:57
	v_add_f64 v[84:85], v[84:85], -v[92:93]
	s_waitcnt lgkmcnt(1)
	v_mul_f64 v[92:93], v[214:215], v[94:95]
	v_fma_f64 v[92:93], v[212:213], v[206:207], -v[92:93]
	v_mul_f64 v[212:213], v[212:213], v[94:95]
	v_fmac_f64_e32 v[212:213], v[214:215], v[206:207]
	s_waitcnt vmcnt(21)
	v_add_f64 v[80:81], v[80:81], -v[92:93]
	s_waitcnt lgkmcnt(0)
	v_mul_f64 v[92:93], v[198:199], v[94:95]
	v_add_f64 v[82:83], v[82:83], -v[212:213]
	v_fma_f64 v[92:93], v[196:197], v[206:207], -v[92:93]
	v_mul_f64 v[196:197], v[196:197], v[94:95]
	ds_read2_b64 v[212:215], v208 offset0:58 offset1:59
	v_fmac_f64_e32 v[196:197], v[198:199], v[206:207]
	s_waitcnt vmcnt(20)
	v_add_f64 v[78:79], v[78:79], -v[196:197]
	ds_read2_b64 v[196:199], v208 offset0:60 offset1:61
	v_add_f64 v[76:77], v[76:77], -v[92:93]
	;; [unrolled: 18-line block ×11, first 2 shown]
	s_waitcnt lgkmcnt(1)
	v_mul_f64 v[92:93], v[214:215], v[94:95]
	v_fma_f64 v[92:93], v[212:213], v[206:207], -v[92:93]
	s_waitcnt vmcnt(1)
	v_add_f64 v[0:1], v[0:1], -v[92:93]
	s_waitcnt lgkmcnt(0)
	v_mul_f64 v[92:93], v[198:199], v[94:95]
	v_mul_f64 v[212:213], v[212:213], v[94:95]
	v_fma_f64 v[92:93], v[196:197], v[206:207], -v[92:93]
	v_mul_f64 v[196:197], v[196:197], v[94:95]
	v_fmac_f64_e32 v[212:213], v[214:215], v[206:207]
	v_fmac_f64_e32 v[196:197], v[198:199], v[206:207]
	v_add_f64 v[2:3], v[2:3], -v[212:213]
	s_waitcnt vmcnt(0)
	v_add_f64 v[192:193], v[192:193], -v[92:93]
	v_add_f64 v[194:195], v[194:195], -v[196:197]
	v_mov_b64_e32 v[92:93], v[206:207]
.LBB96_524:
	s_or_b64 exec, exec, s[0:1]
	v_lshl_add_u32 v196, v209, 4, v208
	s_barrier
	s_waitcnt vmcnt(23)
	ds_write2_b64 v196, v[88:89], v[90:91] offset1:1
	s_waitcnt lgkmcnt(0)
	s_barrier
	ds_read2_b64 v[196:199], v208 offset0:50 offset1:51
	s_cmp_lt_i32 s20, 27
	v_mov_b32_e32 v206, 25
	s_cbranch_scc1 .LBB96_527
; %bb.525:
	v_add_u32_e32 v207, 0x1a0, v208
	s_mov_b32 s16, 26
	v_mov_b32_e32 v206, 25
.LBB96_526:                             ; =>This Inner Loop Header: Depth=1
	ds_read2_b64 v[212:215], v207 offset1:1
	s_waitcnt lgkmcnt(1)
	v_xor_b32_e32 v217, 0x80000000, v197
	v_xor_b32_e32 v219, 0x80000000, v199
	v_cmp_gt_f64_e32 vcc, 0, v[198:199]
	v_cmp_gt_f64_e64 s[0:1], 0, v[196:197]
	v_mov_b32_e32 v216, v196
	v_mov_b32_e32 v218, v198
	v_cndmask_b32_e64 v217, v197, v217, s[0:1]
	v_cndmask_b32_e32 v219, v199, v219, vcc
	v_add_f64 v[216:217], v[216:217], v[218:219]
	s_waitcnt lgkmcnt(0)
	v_xor_b32_e32 v219, 0x80000000, v213
	v_xor_b32_e32 v221, 0x80000000, v215
	v_cmp_gt_f64_e32 vcc, 0, v[214:215]
	v_cmp_gt_f64_e64 s[0:1], 0, v[212:213]
	v_mov_b32_e32 v218, v212
	v_mov_b32_e32 v220, v214
	v_cndmask_b32_e64 v219, v213, v219, s[0:1]
	v_cndmask_b32_e32 v221, v215, v221, vcc
	v_add_f64 v[218:219], v[218:219], v[220:221]
	v_mov_b32_e32 v222, s16
	s_add_i32 s16, s16, 1
	v_cmp_lt_f64_e32 vcc, v[216:217], v[218:219]
	v_add_u32_e32 v207, 16, v207
	s_cmp_lg_u32 s20, s16
	v_cndmask_b32_e32 v197, v197, v213, vcc
	v_cndmask_b32_e32 v196, v196, v212, vcc
	;; [unrolled: 1-line block ×5, first 2 shown]
	s_cbranch_scc1 .LBB96_526
.LBB96_527:
	s_waitcnt lgkmcnt(0)
	v_cmp_eq_f64_e32 vcc, 0, v[196:197]
	v_cmp_eq_f64_e64 s[0:1], 0, v[198:199]
	s_and_b64 s[0:1], vcc, s[0:1]
	s_and_saveexec_b64 s[16:17], s[0:1]
	s_xor_b64 s[0:1], exec, s[16:17]
; %bb.528:
	v_cmp_ne_u32_e32 vcc, 0, v210
	s_nop 1
	v_cndmask_b32_e32 v210, 26, v210, vcc
; %bb.529:
	s_andn2_saveexec_b64 s[0:1], s[0:1]
	s_cbranch_execz .LBB96_535
; %bb.530:
	v_cmp_ngt_f64_e64 s[16:17], |v[196:197]|, |v[198:199]|
	s_and_saveexec_b64 s[18:19], s[16:17]
	s_xor_b64 s[16:17], exec, s[18:19]
	s_cbranch_execz .LBB96_532
; %bb.531:
	v_div_scale_f64 v[212:213], s[18:19], v[198:199], v[198:199], v[196:197]
	v_rcp_f64_e32 v[214:215], v[212:213]
	v_div_scale_f64 v[216:217], vcc, v[196:197], v[198:199], v[196:197]
	v_fma_f64 v[218:219], -v[212:213], v[214:215], 1.0
	v_fmac_f64_e32 v[214:215], v[214:215], v[218:219]
	v_fma_f64 v[218:219], -v[212:213], v[214:215], 1.0
	v_fmac_f64_e32 v[214:215], v[214:215], v[218:219]
	v_mul_f64 v[218:219], v[216:217], v[214:215]
	v_fma_f64 v[212:213], -v[212:213], v[218:219], v[216:217]
	v_div_fmas_f64 v[212:213], v[212:213], v[214:215], v[218:219]
	v_div_fixup_f64 v[212:213], v[212:213], v[198:199], v[196:197]
	v_fmac_f64_e32 v[198:199], v[196:197], v[212:213]
	v_div_scale_f64 v[196:197], s[18:19], v[198:199], v[198:199], 1.0
	v_rcp_f64_e32 v[214:215], v[196:197]
	s_nop 0
	v_fma_f64 v[216:217], -v[196:197], v[214:215], 1.0
	v_fmac_f64_e32 v[214:215], v[214:215], v[216:217]
	v_fma_f64 v[216:217], -v[196:197], v[214:215], 1.0
	v_fmac_f64_e32 v[214:215], v[214:215], v[216:217]
	v_div_scale_f64 v[216:217], vcc, 1.0, v[198:199], 1.0
	v_mul_f64 v[218:219], v[216:217], v[214:215]
	v_fma_f64 v[196:197], -v[196:197], v[218:219], v[216:217]
	s_nop 1
	v_div_fmas_f64 v[196:197], v[196:197], v[214:215], v[218:219]
	v_div_fixup_f64 v[198:199], v[196:197], v[198:199], 1.0
	v_mul_f64 v[196:197], v[212:213], v[198:199]
	v_xor_b32_e32 v199, 0x80000000, v199
.LBB96_532:
	s_andn2_saveexec_b64 s[16:17], s[16:17]
	s_cbranch_execz .LBB96_534
; %bb.533:
	v_div_scale_f64 v[212:213], s[18:19], v[196:197], v[196:197], v[198:199]
	v_rcp_f64_e32 v[214:215], v[212:213]
	v_div_scale_f64 v[216:217], vcc, v[198:199], v[196:197], v[198:199]
	v_fma_f64 v[218:219], -v[212:213], v[214:215], 1.0
	v_fmac_f64_e32 v[214:215], v[214:215], v[218:219]
	v_fma_f64 v[218:219], -v[212:213], v[214:215], 1.0
	v_fmac_f64_e32 v[214:215], v[214:215], v[218:219]
	v_mul_f64 v[218:219], v[216:217], v[214:215]
	v_fma_f64 v[212:213], -v[212:213], v[218:219], v[216:217]
	v_div_fmas_f64 v[212:213], v[212:213], v[214:215], v[218:219]
	v_div_fixup_f64 v[212:213], v[212:213], v[196:197], v[198:199]
	v_fmac_f64_e32 v[196:197], v[198:199], v[212:213]
	v_div_scale_f64 v[198:199], s[18:19], v[196:197], v[196:197], 1.0
	v_rcp_f64_e32 v[214:215], v[198:199]
	s_nop 0
	v_fma_f64 v[216:217], -v[198:199], v[214:215], 1.0
	v_fmac_f64_e32 v[214:215], v[214:215], v[216:217]
	v_fma_f64 v[216:217], -v[198:199], v[214:215], 1.0
	v_fmac_f64_e32 v[214:215], v[214:215], v[216:217]
	v_div_scale_f64 v[216:217], vcc, 1.0, v[196:197], 1.0
	v_mul_f64 v[218:219], v[216:217], v[214:215]
	v_fma_f64 v[198:199], -v[198:199], v[218:219], v[216:217]
	s_nop 1
	v_div_fmas_f64 v[198:199], v[198:199], v[214:215], v[218:219]
	v_div_fixup_f64 v[196:197], v[198:199], v[196:197], 1.0
	v_mul_f64 v[198:199], v[212:213], -v[196:197]
.LBB96_534:
	s_or_b64 exec, exec, s[16:17]
.LBB96_535:
	s_or_b64 exec, exec, s[0:1]
	v_cmp_ne_u32_e32 vcc, v209, v206
	s_and_saveexec_b64 s[0:1], vcc
	s_xor_b64 s[0:1], exec, s[0:1]
	s_cbranch_execz .LBB96_541
; %bb.536:
	v_cmp_eq_u32_e32 vcc, 25, v209
	s_and_saveexec_b64 s[16:17], vcc
	s_cbranch_execz .LBB96_540
; %bb.537:
	v_cmp_ne_u32_e32 vcc, 25, v206
	s_xor_b64 s[18:19], s[14:15], -1
	s_and_b64 s[22:23], s[18:19], vcc
	s_and_saveexec_b64 s[18:19], s[22:23]
	s_cbranch_execz .LBB96_539
; %bb.538:
	v_ashrrev_i32_e32 v207, 31, v206
	v_lshl_add_u64 v[212:213], v[206:207], 2, v[204:205]
	global_load_dword v207, v[212:213], off
	global_load_dword v209, v[204:205], off offset:100
	s_waitcnt vmcnt(1)
	global_store_dword v[204:205], v207, off offset:100
	s_waitcnt vmcnt(1)
	global_store_dword v[212:213], v209, off
.LBB96_539:
	s_or_b64 exec, exec, s[18:19]
	v_mov_b32_e32 v209, v206
	v_mov_b32_e32 v211, v206
.LBB96_540:
	s_or_b64 exec, exec, s[16:17]
.LBB96_541:
	s_andn2_saveexec_b64 s[0:1], s[0:1]
	s_cbranch_execz .LBB96_543
; %bb.542:
	v_mov_b32_e32 v209, 25
	s_waitcnt vmcnt(22)
	ds_write2_b64 v208, v[84:85], v[86:87] offset0:52 offset1:53
	s_waitcnt vmcnt(21)
	ds_write2_b64 v208, v[80:81], v[82:83] offset0:54 offset1:55
	s_waitcnt vmcnt(20)
	ds_write2_b64 v208, v[76:77], v[78:79] offset0:56 offset1:57
	s_waitcnt vmcnt(19)
	ds_write2_b64 v208, v[72:73], v[74:75] offset0:58 offset1:59
	s_waitcnt vmcnt(18)
	ds_write2_b64 v208, v[68:69], v[70:71] offset0:60 offset1:61
	s_waitcnt vmcnt(17)
	ds_write2_b64 v208, v[64:65], v[66:67] offset0:62 offset1:63
	s_waitcnt vmcnt(16)
	ds_write2_b64 v208, v[60:61], v[62:63] offset0:64 offset1:65
	s_waitcnt vmcnt(15)
	ds_write2_b64 v208, v[56:57], v[58:59] offset0:66 offset1:67
	s_waitcnt vmcnt(14)
	ds_write2_b64 v208, v[52:53], v[54:55] offset0:68 offset1:69
	s_waitcnt vmcnt(13)
	ds_write2_b64 v208, v[48:49], v[50:51] offset0:70 offset1:71
	s_waitcnt vmcnt(12)
	ds_write2_b64 v208, v[44:45], v[46:47] offset0:72 offset1:73
	s_waitcnt vmcnt(11)
	ds_write2_b64 v208, v[40:41], v[42:43] offset0:74 offset1:75
	s_waitcnt vmcnt(10)
	ds_write2_b64 v208, v[36:37], v[38:39] offset0:76 offset1:77
	s_waitcnt vmcnt(9)
	ds_write2_b64 v208, v[32:33], v[34:35] offset0:78 offset1:79
	s_waitcnt vmcnt(8)
	ds_write2_b64 v208, v[28:29], v[30:31] offset0:80 offset1:81
	s_waitcnt vmcnt(7)
	ds_write2_b64 v208, v[24:25], v[26:27] offset0:82 offset1:83
	s_waitcnt vmcnt(6)
	ds_write2_b64 v208, v[20:21], v[22:23] offset0:84 offset1:85
	s_waitcnt vmcnt(5)
	ds_write2_b64 v208, v[16:17], v[18:19] offset0:86 offset1:87
	s_waitcnt vmcnt(4)
	ds_write2_b64 v208, v[12:13], v[14:15] offset0:88 offset1:89
	s_waitcnt vmcnt(3)
	ds_write2_b64 v208, v[8:9], v[10:11] offset0:90 offset1:91
	s_waitcnt vmcnt(2)
	ds_write2_b64 v208, v[4:5], v[6:7] offset0:92 offset1:93
	s_waitcnt vmcnt(1)
	ds_write2_b64 v208, v[0:1], v[2:3] offset0:94 offset1:95
	s_waitcnt vmcnt(0)
	ds_write2_b64 v208, v[192:193], v[194:195] offset0:96 offset1:97
.LBB96_543:
	s_or_b64 exec, exec, s[0:1]
	v_cmp_lt_i32_e32 vcc, 25, v209
	s_waitcnt lgkmcnt(0)
	s_barrier
	s_and_saveexec_b64 s[0:1], vcc
	s_cbranch_execz .LBB96_545
; %bb.544:
	ds_read2_b64 v[212:215], v208 offset0:52 offset1:53
	v_mul_f64 v[206:207], v[198:199], v[90:91]
	v_mul_f64 v[90:91], v[196:197], v[90:91]
	v_fmac_f64_e32 v[90:91], v[198:199], v[88:89]
	v_fma_f64 v[206:207], v[196:197], v[88:89], -v[206:207]
	ds_read2_b64 v[196:199], v208 offset0:54 offset1:55
	s_waitcnt lgkmcnt(1)
	v_mul_f64 v[88:89], v[214:215], v[90:91]
	v_fma_f64 v[88:89], v[212:213], v[206:207], -v[88:89]
	v_mul_f64 v[212:213], v[212:213], v[90:91]
	v_fmac_f64_e32 v[212:213], v[214:215], v[206:207]
	s_waitcnt vmcnt(22)
	v_add_f64 v[86:87], v[86:87], -v[212:213]
	ds_read2_b64 v[212:215], v208 offset0:56 offset1:57
	v_add_f64 v[84:85], v[84:85], -v[88:89]
	s_waitcnt lgkmcnt(1)
	v_mul_f64 v[88:89], v[198:199], v[90:91]
	v_fma_f64 v[88:89], v[196:197], v[206:207], -v[88:89]
	v_mul_f64 v[196:197], v[196:197], v[90:91]
	v_fmac_f64_e32 v[196:197], v[198:199], v[206:207]
	s_waitcnt vmcnt(21)
	v_add_f64 v[80:81], v[80:81], -v[88:89]
	v_add_f64 v[82:83], v[82:83], -v[196:197]
	ds_read2_b64 v[196:199], v208 offset0:58 offset1:59
	s_waitcnt lgkmcnt(1)
	v_mul_f64 v[88:89], v[214:215], v[90:91]
	v_fma_f64 v[88:89], v[212:213], v[206:207], -v[88:89]
	v_mul_f64 v[212:213], v[212:213], v[90:91]
	v_fmac_f64_e32 v[212:213], v[214:215], v[206:207]
	s_waitcnt vmcnt(20)
	v_add_f64 v[78:79], v[78:79], -v[212:213]
	ds_read2_b64 v[212:215], v208 offset0:60 offset1:61
	v_add_f64 v[76:77], v[76:77], -v[88:89]
	s_waitcnt lgkmcnt(1)
	v_mul_f64 v[88:89], v[198:199], v[90:91]
	v_fma_f64 v[88:89], v[196:197], v[206:207], -v[88:89]
	v_mul_f64 v[196:197], v[196:197], v[90:91]
	v_fmac_f64_e32 v[196:197], v[198:199], v[206:207]
	s_waitcnt vmcnt(19)
	v_add_f64 v[72:73], v[72:73], -v[88:89]
	v_add_f64 v[74:75], v[74:75], -v[196:197]
	;; [unrolled: 18-line block ×11, first 2 shown]
	s_waitcnt lgkmcnt(0)
	v_mul_f64 v[88:89], v[214:215], v[90:91]
	v_mul_f64 v[196:197], v[212:213], v[90:91]
	v_fma_f64 v[88:89], v[212:213], v[206:207], -v[88:89]
	v_fmac_f64_e32 v[196:197], v[214:215], v[206:207]
	s_waitcnt vmcnt(0)
	v_add_f64 v[192:193], v[192:193], -v[88:89]
	v_add_f64 v[194:195], v[194:195], -v[196:197]
	v_mov_b64_e32 v[88:89], v[206:207]
.LBB96_545:
	s_or_b64 exec, exec, s[0:1]
	v_lshl_add_u32 v196, v209, 4, v208
	s_barrier
	s_waitcnt vmcnt(22)
	ds_write2_b64 v196, v[84:85], v[86:87] offset1:1
	s_waitcnt lgkmcnt(0)
	s_barrier
	ds_read2_b64 v[196:199], v208 offset0:52 offset1:53
	s_cmp_lt_i32 s20, 28
	v_mov_b32_e32 v206, 26
	s_cbranch_scc1 .LBB96_548
; %bb.546:
	v_add_u32_e32 v207, 0x1b0, v208
	s_mov_b32 s16, 27
	v_mov_b32_e32 v206, 26
.LBB96_547:                             ; =>This Inner Loop Header: Depth=1
	ds_read2_b64 v[212:215], v207 offset1:1
	s_waitcnt lgkmcnt(1)
	v_xor_b32_e32 v217, 0x80000000, v197
	v_xor_b32_e32 v219, 0x80000000, v199
	v_cmp_gt_f64_e32 vcc, 0, v[198:199]
	v_cmp_gt_f64_e64 s[0:1], 0, v[196:197]
	v_mov_b32_e32 v216, v196
	v_mov_b32_e32 v218, v198
	v_cndmask_b32_e64 v217, v197, v217, s[0:1]
	v_cndmask_b32_e32 v219, v199, v219, vcc
	v_add_f64 v[216:217], v[216:217], v[218:219]
	s_waitcnt lgkmcnt(0)
	v_xor_b32_e32 v219, 0x80000000, v213
	v_xor_b32_e32 v221, 0x80000000, v215
	v_cmp_gt_f64_e32 vcc, 0, v[214:215]
	v_cmp_gt_f64_e64 s[0:1], 0, v[212:213]
	v_mov_b32_e32 v218, v212
	v_mov_b32_e32 v220, v214
	v_cndmask_b32_e64 v219, v213, v219, s[0:1]
	v_cndmask_b32_e32 v221, v215, v221, vcc
	v_add_f64 v[218:219], v[218:219], v[220:221]
	v_mov_b32_e32 v222, s16
	s_add_i32 s16, s16, 1
	v_cmp_lt_f64_e32 vcc, v[216:217], v[218:219]
	v_add_u32_e32 v207, 16, v207
	s_cmp_lg_u32 s20, s16
	v_cndmask_b32_e32 v197, v197, v213, vcc
	v_cndmask_b32_e32 v196, v196, v212, vcc
	;; [unrolled: 1-line block ×5, first 2 shown]
	s_cbranch_scc1 .LBB96_547
.LBB96_548:
	s_waitcnt lgkmcnt(0)
	v_cmp_eq_f64_e32 vcc, 0, v[196:197]
	v_cmp_eq_f64_e64 s[0:1], 0, v[198:199]
	s_and_b64 s[0:1], vcc, s[0:1]
	s_and_saveexec_b64 s[16:17], s[0:1]
	s_xor_b64 s[0:1], exec, s[16:17]
; %bb.549:
	v_cmp_ne_u32_e32 vcc, 0, v210
	s_nop 1
	v_cndmask_b32_e32 v210, 27, v210, vcc
; %bb.550:
	s_andn2_saveexec_b64 s[0:1], s[0:1]
	s_cbranch_execz .LBB96_556
; %bb.551:
	v_cmp_ngt_f64_e64 s[16:17], |v[196:197]|, |v[198:199]|
	s_and_saveexec_b64 s[18:19], s[16:17]
	s_xor_b64 s[16:17], exec, s[18:19]
	s_cbranch_execz .LBB96_553
; %bb.552:
	v_div_scale_f64 v[212:213], s[18:19], v[198:199], v[198:199], v[196:197]
	v_rcp_f64_e32 v[214:215], v[212:213]
	v_div_scale_f64 v[216:217], vcc, v[196:197], v[198:199], v[196:197]
	v_fma_f64 v[218:219], -v[212:213], v[214:215], 1.0
	v_fmac_f64_e32 v[214:215], v[214:215], v[218:219]
	v_fma_f64 v[218:219], -v[212:213], v[214:215], 1.0
	v_fmac_f64_e32 v[214:215], v[214:215], v[218:219]
	v_mul_f64 v[218:219], v[216:217], v[214:215]
	v_fma_f64 v[212:213], -v[212:213], v[218:219], v[216:217]
	v_div_fmas_f64 v[212:213], v[212:213], v[214:215], v[218:219]
	v_div_fixup_f64 v[212:213], v[212:213], v[198:199], v[196:197]
	v_fmac_f64_e32 v[198:199], v[196:197], v[212:213]
	v_div_scale_f64 v[196:197], s[18:19], v[198:199], v[198:199], 1.0
	v_rcp_f64_e32 v[214:215], v[196:197]
	s_nop 0
	v_fma_f64 v[216:217], -v[196:197], v[214:215], 1.0
	v_fmac_f64_e32 v[214:215], v[214:215], v[216:217]
	v_fma_f64 v[216:217], -v[196:197], v[214:215], 1.0
	v_fmac_f64_e32 v[214:215], v[214:215], v[216:217]
	v_div_scale_f64 v[216:217], vcc, 1.0, v[198:199], 1.0
	v_mul_f64 v[218:219], v[216:217], v[214:215]
	v_fma_f64 v[196:197], -v[196:197], v[218:219], v[216:217]
	s_nop 1
	v_div_fmas_f64 v[196:197], v[196:197], v[214:215], v[218:219]
	v_div_fixup_f64 v[198:199], v[196:197], v[198:199], 1.0
	v_mul_f64 v[196:197], v[212:213], v[198:199]
	v_xor_b32_e32 v199, 0x80000000, v199
.LBB96_553:
	s_andn2_saveexec_b64 s[16:17], s[16:17]
	s_cbranch_execz .LBB96_555
; %bb.554:
	v_div_scale_f64 v[212:213], s[18:19], v[196:197], v[196:197], v[198:199]
	v_rcp_f64_e32 v[214:215], v[212:213]
	v_div_scale_f64 v[216:217], vcc, v[198:199], v[196:197], v[198:199]
	v_fma_f64 v[218:219], -v[212:213], v[214:215], 1.0
	v_fmac_f64_e32 v[214:215], v[214:215], v[218:219]
	v_fma_f64 v[218:219], -v[212:213], v[214:215], 1.0
	v_fmac_f64_e32 v[214:215], v[214:215], v[218:219]
	v_mul_f64 v[218:219], v[216:217], v[214:215]
	v_fma_f64 v[212:213], -v[212:213], v[218:219], v[216:217]
	v_div_fmas_f64 v[212:213], v[212:213], v[214:215], v[218:219]
	v_div_fixup_f64 v[212:213], v[212:213], v[196:197], v[198:199]
	v_fmac_f64_e32 v[196:197], v[198:199], v[212:213]
	v_div_scale_f64 v[198:199], s[18:19], v[196:197], v[196:197], 1.0
	v_rcp_f64_e32 v[214:215], v[198:199]
	s_nop 0
	v_fma_f64 v[216:217], -v[198:199], v[214:215], 1.0
	v_fmac_f64_e32 v[214:215], v[214:215], v[216:217]
	v_fma_f64 v[216:217], -v[198:199], v[214:215], 1.0
	v_fmac_f64_e32 v[214:215], v[214:215], v[216:217]
	v_div_scale_f64 v[216:217], vcc, 1.0, v[196:197], 1.0
	v_mul_f64 v[218:219], v[216:217], v[214:215]
	v_fma_f64 v[198:199], -v[198:199], v[218:219], v[216:217]
	s_nop 1
	v_div_fmas_f64 v[198:199], v[198:199], v[214:215], v[218:219]
	v_div_fixup_f64 v[196:197], v[198:199], v[196:197], 1.0
	v_mul_f64 v[198:199], v[212:213], -v[196:197]
.LBB96_555:
	s_or_b64 exec, exec, s[16:17]
.LBB96_556:
	s_or_b64 exec, exec, s[0:1]
	v_cmp_ne_u32_e32 vcc, v209, v206
	s_and_saveexec_b64 s[0:1], vcc
	s_xor_b64 s[0:1], exec, s[0:1]
	s_cbranch_execz .LBB96_562
; %bb.557:
	v_cmp_eq_u32_e32 vcc, 26, v209
	s_and_saveexec_b64 s[16:17], vcc
	s_cbranch_execz .LBB96_561
; %bb.558:
	v_cmp_ne_u32_e32 vcc, 26, v206
	s_xor_b64 s[18:19], s[14:15], -1
	s_and_b64 s[22:23], s[18:19], vcc
	s_and_saveexec_b64 s[18:19], s[22:23]
	s_cbranch_execz .LBB96_560
; %bb.559:
	v_ashrrev_i32_e32 v207, 31, v206
	v_lshl_add_u64 v[212:213], v[206:207], 2, v[204:205]
	global_load_dword v207, v[212:213], off
	global_load_dword v209, v[204:205], off offset:104
	s_waitcnt vmcnt(1)
	global_store_dword v[204:205], v207, off offset:104
	s_waitcnt vmcnt(1)
	global_store_dword v[212:213], v209, off
.LBB96_560:
	s_or_b64 exec, exec, s[18:19]
	v_mov_b32_e32 v209, v206
	v_mov_b32_e32 v211, v206
.LBB96_561:
	s_or_b64 exec, exec, s[16:17]
.LBB96_562:
	s_andn2_saveexec_b64 s[0:1], s[0:1]
	s_cbranch_execz .LBB96_564
; %bb.563:
	v_mov_b32_e32 v209, 26
	s_waitcnt vmcnt(21)
	ds_write2_b64 v208, v[80:81], v[82:83] offset0:54 offset1:55
	s_waitcnt vmcnt(20)
	ds_write2_b64 v208, v[76:77], v[78:79] offset0:56 offset1:57
	;; [unrolled: 2-line block ×22, first 2 shown]
.LBB96_564:
	s_or_b64 exec, exec, s[0:1]
	v_cmp_lt_i32_e32 vcc, 26, v209
	s_waitcnt lgkmcnt(0)
	s_barrier
	s_and_saveexec_b64 s[0:1], vcc
	s_cbranch_execz .LBB96_566
; %bb.565:
	ds_read2_b64 v[212:215], v208 offset0:54 offset1:55
	v_mul_f64 v[206:207], v[198:199], v[86:87]
	v_mul_f64 v[86:87], v[196:197], v[86:87]
	v_fma_f64 v[206:207], v[196:197], v[84:85], -v[206:207]
	v_fmac_f64_e32 v[86:87], v[198:199], v[84:85]
	ds_read2_b64 v[196:199], v208 offset0:56 offset1:57
	s_waitcnt lgkmcnt(1)
	v_mul_f64 v[84:85], v[214:215], v[86:87]
	v_fma_f64 v[84:85], v[212:213], v[206:207], -v[84:85]
	v_mul_f64 v[212:213], v[212:213], v[86:87]
	v_fmac_f64_e32 v[212:213], v[214:215], v[206:207]
	s_waitcnt vmcnt(21)
	v_add_f64 v[80:81], v[80:81], -v[84:85]
	s_waitcnt lgkmcnt(0)
	v_mul_f64 v[84:85], v[198:199], v[86:87]
	v_add_f64 v[82:83], v[82:83], -v[212:213]
	v_fma_f64 v[84:85], v[196:197], v[206:207], -v[84:85]
	v_mul_f64 v[196:197], v[196:197], v[86:87]
	ds_read2_b64 v[212:215], v208 offset0:58 offset1:59
	v_fmac_f64_e32 v[196:197], v[198:199], v[206:207]
	s_waitcnt vmcnt(20)
	v_add_f64 v[78:79], v[78:79], -v[196:197]
	ds_read2_b64 v[196:199], v208 offset0:60 offset1:61
	v_add_f64 v[76:77], v[76:77], -v[84:85]
	s_waitcnt lgkmcnt(1)
	v_mul_f64 v[84:85], v[214:215], v[86:87]
	v_fma_f64 v[84:85], v[212:213], v[206:207], -v[84:85]
	v_mul_f64 v[212:213], v[212:213], v[86:87]
	v_fmac_f64_e32 v[212:213], v[214:215], v[206:207]
	s_waitcnt vmcnt(19)
	v_add_f64 v[72:73], v[72:73], -v[84:85]
	s_waitcnt lgkmcnt(0)
	v_mul_f64 v[84:85], v[198:199], v[86:87]
	v_add_f64 v[74:75], v[74:75], -v[212:213]
	v_fma_f64 v[84:85], v[196:197], v[206:207], -v[84:85]
	v_mul_f64 v[196:197], v[196:197], v[86:87]
	ds_read2_b64 v[212:215], v208 offset0:62 offset1:63
	v_fmac_f64_e32 v[196:197], v[198:199], v[206:207]
	s_waitcnt vmcnt(18)
	v_add_f64 v[70:71], v[70:71], -v[196:197]
	ds_read2_b64 v[196:199], v208 offset0:64 offset1:65
	v_add_f64 v[68:69], v[68:69], -v[84:85]
	;; [unrolled: 18-line block ×10, first 2 shown]
	s_waitcnt lgkmcnt(1)
	v_mul_f64 v[84:85], v[214:215], v[86:87]
	v_fma_f64 v[84:85], v[212:213], v[206:207], -v[84:85]
	s_waitcnt vmcnt(1)
	v_add_f64 v[0:1], v[0:1], -v[84:85]
	s_waitcnt lgkmcnt(0)
	v_mul_f64 v[84:85], v[198:199], v[86:87]
	v_mul_f64 v[212:213], v[212:213], v[86:87]
	v_fma_f64 v[84:85], v[196:197], v[206:207], -v[84:85]
	v_mul_f64 v[196:197], v[196:197], v[86:87]
	v_fmac_f64_e32 v[212:213], v[214:215], v[206:207]
	v_fmac_f64_e32 v[196:197], v[198:199], v[206:207]
	v_add_f64 v[2:3], v[2:3], -v[212:213]
	s_waitcnt vmcnt(0)
	v_add_f64 v[192:193], v[192:193], -v[84:85]
	v_add_f64 v[194:195], v[194:195], -v[196:197]
	v_mov_b64_e32 v[84:85], v[206:207]
.LBB96_566:
	s_or_b64 exec, exec, s[0:1]
	v_lshl_add_u32 v196, v209, 4, v208
	s_barrier
	s_waitcnt vmcnt(21)
	ds_write2_b64 v196, v[80:81], v[82:83] offset1:1
	s_waitcnt lgkmcnt(0)
	s_barrier
	ds_read2_b64 v[196:199], v208 offset0:54 offset1:55
	s_cmp_lt_i32 s20, 29
	v_mov_b32_e32 v206, 27
	s_cbranch_scc1 .LBB96_569
; %bb.567:
	v_add_u32_e32 v207, 0x1c0, v208
	s_mov_b32 s16, 28
	v_mov_b32_e32 v206, 27
.LBB96_568:                             ; =>This Inner Loop Header: Depth=1
	ds_read2_b64 v[212:215], v207 offset1:1
	s_waitcnt lgkmcnt(1)
	v_xor_b32_e32 v217, 0x80000000, v197
	v_xor_b32_e32 v219, 0x80000000, v199
	v_cmp_gt_f64_e32 vcc, 0, v[198:199]
	v_cmp_gt_f64_e64 s[0:1], 0, v[196:197]
	v_mov_b32_e32 v216, v196
	v_mov_b32_e32 v218, v198
	v_cndmask_b32_e64 v217, v197, v217, s[0:1]
	v_cndmask_b32_e32 v219, v199, v219, vcc
	v_add_f64 v[216:217], v[216:217], v[218:219]
	s_waitcnt lgkmcnt(0)
	v_xor_b32_e32 v219, 0x80000000, v213
	v_xor_b32_e32 v221, 0x80000000, v215
	v_cmp_gt_f64_e32 vcc, 0, v[214:215]
	v_cmp_gt_f64_e64 s[0:1], 0, v[212:213]
	v_mov_b32_e32 v218, v212
	v_mov_b32_e32 v220, v214
	v_cndmask_b32_e64 v219, v213, v219, s[0:1]
	v_cndmask_b32_e32 v221, v215, v221, vcc
	v_add_f64 v[218:219], v[218:219], v[220:221]
	v_mov_b32_e32 v222, s16
	s_add_i32 s16, s16, 1
	v_cmp_lt_f64_e32 vcc, v[216:217], v[218:219]
	v_add_u32_e32 v207, 16, v207
	s_cmp_lg_u32 s20, s16
	v_cndmask_b32_e32 v197, v197, v213, vcc
	v_cndmask_b32_e32 v196, v196, v212, vcc
	;; [unrolled: 1-line block ×5, first 2 shown]
	s_cbranch_scc1 .LBB96_568
.LBB96_569:
	s_waitcnt lgkmcnt(0)
	v_cmp_eq_f64_e32 vcc, 0, v[196:197]
	v_cmp_eq_f64_e64 s[0:1], 0, v[198:199]
	s_and_b64 s[0:1], vcc, s[0:1]
	s_and_saveexec_b64 s[16:17], s[0:1]
	s_xor_b64 s[0:1], exec, s[16:17]
; %bb.570:
	v_cmp_ne_u32_e32 vcc, 0, v210
	s_nop 1
	v_cndmask_b32_e32 v210, 28, v210, vcc
; %bb.571:
	s_andn2_saveexec_b64 s[0:1], s[0:1]
	s_cbranch_execz .LBB96_577
; %bb.572:
	v_cmp_ngt_f64_e64 s[16:17], |v[196:197]|, |v[198:199]|
	s_and_saveexec_b64 s[18:19], s[16:17]
	s_xor_b64 s[16:17], exec, s[18:19]
	s_cbranch_execz .LBB96_574
; %bb.573:
	v_div_scale_f64 v[212:213], s[18:19], v[198:199], v[198:199], v[196:197]
	v_rcp_f64_e32 v[214:215], v[212:213]
	v_div_scale_f64 v[216:217], vcc, v[196:197], v[198:199], v[196:197]
	v_fma_f64 v[218:219], -v[212:213], v[214:215], 1.0
	v_fmac_f64_e32 v[214:215], v[214:215], v[218:219]
	v_fma_f64 v[218:219], -v[212:213], v[214:215], 1.0
	v_fmac_f64_e32 v[214:215], v[214:215], v[218:219]
	v_mul_f64 v[218:219], v[216:217], v[214:215]
	v_fma_f64 v[212:213], -v[212:213], v[218:219], v[216:217]
	v_div_fmas_f64 v[212:213], v[212:213], v[214:215], v[218:219]
	v_div_fixup_f64 v[212:213], v[212:213], v[198:199], v[196:197]
	v_fmac_f64_e32 v[198:199], v[196:197], v[212:213]
	v_div_scale_f64 v[196:197], s[18:19], v[198:199], v[198:199], 1.0
	v_rcp_f64_e32 v[214:215], v[196:197]
	s_nop 0
	v_fma_f64 v[216:217], -v[196:197], v[214:215], 1.0
	v_fmac_f64_e32 v[214:215], v[214:215], v[216:217]
	v_fma_f64 v[216:217], -v[196:197], v[214:215], 1.0
	v_fmac_f64_e32 v[214:215], v[214:215], v[216:217]
	v_div_scale_f64 v[216:217], vcc, 1.0, v[198:199], 1.0
	v_mul_f64 v[218:219], v[216:217], v[214:215]
	v_fma_f64 v[196:197], -v[196:197], v[218:219], v[216:217]
	s_nop 1
	v_div_fmas_f64 v[196:197], v[196:197], v[214:215], v[218:219]
	v_div_fixup_f64 v[198:199], v[196:197], v[198:199], 1.0
	v_mul_f64 v[196:197], v[212:213], v[198:199]
	v_xor_b32_e32 v199, 0x80000000, v199
.LBB96_574:
	s_andn2_saveexec_b64 s[16:17], s[16:17]
	s_cbranch_execz .LBB96_576
; %bb.575:
	v_div_scale_f64 v[212:213], s[18:19], v[196:197], v[196:197], v[198:199]
	v_rcp_f64_e32 v[214:215], v[212:213]
	v_div_scale_f64 v[216:217], vcc, v[198:199], v[196:197], v[198:199]
	v_fma_f64 v[218:219], -v[212:213], v[214:215], 1.0
	v_fmac_f64_e32 v[214:215], v[214:215], v[218:219]
	v_fma_f64 v[218:219], -v[212:213], v[214:215], 1.0
	v_fmac_f64_e32 v[214:215], v[214:215], v[218:219]
	v_mul_f64 v[218:219], v[216:217], v[214:215]
	v_fma_f64 v[212:213], -v[212:213], v[218:219], v[216:217]
	v_div_fmas_f64 v[212:213], v[212:213], v[214:215], v[218:219]
	v_div_fixup_f64 v[212:213], v[212:213], v[196:197], v[198:199]
	v_fmac_f64_e32 v[196:197], v[198:199], v[212:213]
	v_div_scale_f64 v[198:199], s[18:19], v[196:197], v[196:197], 1.0
	v_rcp_f64_e32 v[214:215], v[198:199]
	s_nop 0
	v_fma_f64 v[216:217], -v[198:199], v[214:215], 1.0
	v_fmac_f64_e32 v[214:215], v[214:215], v[216:217]
	v_fma_f64 v[216:217], -v[198:199], v[214:215], 1.0
	v_fmac_f64_e32 v[214:215], v[214:215], v[216:217]
	v_div_scale_f64 v[216:217], vcc, 1.0, v[196:197], 1.0
	v_mul_f64 v[218:219], v[216:217], v[214:215]
	v_fma_f64 v[198:199], -v[198:199], v[218:219], v[216:217]
	s_nop 1
	v_div_fmas_f64 v[198:199], v[198:199], v[214:215], v[218:219]
	v_div_fixup_f64 v[196:197], v[198:199], v[196:197], 1.0
	v_mul_f64 v[198:199], v[212:213], -v[196:197]
.LBB96_576:
	s_or_b64 exec, exec, s[16:17]
.LBB96_577:
	s_or_b64 exec, exec, s[0:1]
	v_cmp_ne_u32_e32 vcc, v209, v206
	s_and_saveexec_b64 s[0:1], vcc
	s_xor_b64 s[0:1], exec, s[0:1]
	s_cbranch_execz .LBB96_583
; %bb.578:
	v_cmp_eq_u32_e32 vcc, 27, v209
	s_and_saveexec_b64 s[16:17], vcc
	s_cbranch_execz .LBB96_582
; %bb.579:
	v_cmp_ne_u32_e32 vcc, 27, v206
	s_xor_b64 s[18:19], s[14:15], -1
	s_and_b64 s[22:23], s[18:19], vcc
	s_and_saveexec_b64 s[18:19], s[22:23]
	s_cbranch_execz .LBB96_581
; %bb.580:
	v_ashrrev_i32_e32 v207, 31, v206
	v_lshl_add_u64 v[212:213], v[206:207], 2, v[204:205]
	global_load_dword v207, v[212:213], off
	global_load_dword v209, v[204:205], off offset:108
	s_waitcnt vmcnt(1)
	global_store_dword v[204:205], v207, off offset:108
	s_waitcnt vmcnt(1)
	global_store_dword v[212:213], v209, off
.LBB96_581:
	s_or_b64 exec, exec, s[18:19]
	v_mov_b32_e32 v209, v206
	v_mov_b32_e32 v211, v206
.LBB96_582:
	s_or_b64 exec, exec, s[16:17]
.LBB96_583:
	s_andn2_saveexec_b64 s[0:1], s[0:1]
	s_cbranch_execz .LBB96_585
; %bb.584:
	v_mov_b32_e32 v209, 27
	s_waitcnt vmcnt(20)
	ds_write2_b64 v208, v[76:77], v[78:79] offset0:56 offset1:57
	s_waitcnt vmcnt(19)
	ds_write2_b64 v208, v[72:73], v[74:75] offset0:58 offset1:59
	;; [unrolled: 2-line block ×21, first 2 shown]
.LBB96_585:
	s_or_b64 exec, exec, s[0:1]
	v_cmp_lt_i32_e32 vcc, 27, v209
	s_waitcnt lgkmcnt(0)
	s_barrier
	s_and_saveexec_b64 s[0:1], vcc
	s_cbranch_execz .LBB96_587
; %bb.586:
	ds_read2_b64 v[212:215], v208 offset0:56 offset1:57
	v_mul_f64 v[206:207], v[198:199], v[82:83]
	v_mul_f64 v[82:83], v[196:197], v[82:83]
	v_fmac_f64_e32 v[82:83], v[198:199], v[80:81]
	v_fma_f64 v[206:207], v[196:197], v[80:81], -v[206:207]
	ds_read2_b64 v[196:199], v208 offset0:58 offset1:59
	s_waitcnt lgkmcnt(1)
	v_mul_f64 v[80:81], v[214:215], v[82:83]
	v_fma_f64 v[80:81], v[212:213], v[206:207], -v[80:81]
	v_mul_f64 v[212:213], v[212:213], v[82:83]
	v_fmac_f64_e32 v[212:213], v[214:215], v[206:207]
	s_waitcnt vmcnt(20)
	v_add_f64 v[78:79], v[78:79], -v[212:213]
	ds_read2_b64 v[212:215], v208 offset0:60 offset1:61
	v_add_f64 v[76:77], v[76:77], -v[80:81]
	s_waitcnt lgkmcnt(1)
	v_mul_f64 v[80:81], v[198:199], v[82:83]
	v_fma_f64 v[80:81], v[196:197], v[206:207], -v[80:81]
	v_mul_f64 v[196:197], v[196:197], v[82:83]
	v_fmac_f64_e32 v[196:197], v[198:199], v[206:207]
	s_waitcnt vmcnt(19)
	v_add_f64 v[72:73], v[72:73], -v[80:81]
	v_add_f64 v[74:75], v[74:75], -v[196:197]
	ds_read2_b64 v[196:199], v208 offset0:62 offset1:63
	s_waitcnt lgkmcnt(1)
	v_mul_f64 v[80:81], v[214:215], v[82:83]
	v_fma_f64 v[80:81], v[212:213], v[206:207], -v[80:81]
	v_mul_f64 v[212:213], v[212:213], v[82:83]
	v_fmac_f64_e32 v[212:213], v[214:215], v[206:207]
	s_waitcnt vmcnt(18)
	v_add_f64 v[70:71], v[70:71], -v[212:213]
	ds_read2_b64 v[212:215], v208 offset0:64 offset1:65
	v_add_f64 v[68:69], v[68:69], -v[80:81]
	s_waitcnt lgkmcnt(1)
	v_mul_f64 v[80:81], v[198:199], v[82:83]
	v_fma_f64 v[80:81], v[196:197], v[206:207], -v[80:81]
	v_mul_f64 v[196:197], v[196:197], v[82:83]
	v_fmac_f64_e32 v[196:197], v[198:199], v[206:207]
	s_waitcnt vmcnt(17)
	v_add_f64 v[64:65], v[64:65], -v[80:81]
	v_add_f64 v[66:67], v[66:67], -v[196:197]
	;; [unrolled: 18-line block ×10, first 2 shown]
	s_waitcnt lgkmcnt(0)
	v_mul_f64 v[80:81], v[214:215], v[82:83]
	v_mul_f64 v[196:197], v[212:213], v[82:83]
	v_fma_f64 v[80:81], v[212:213], v[206:207], -v[80:81]
	v_fmac_f64_e32 v[196:197], v[214:215], v[206:207]
	s_waitcnt vmcnt(0)
	v_add_f64 v[192:193], v[192:193], -v[80:81]
	v_add_f64 v[194:195], v[194:195], -v[196:197]
	v_mov_b64_e32 v[80:81], v[206:207]
.LBB96_587:
	s_or_b64 exec, exec, s[0:1]
	v_lshl_add_u32 v196, v209, 4, v208
	s_barrier
	s_waitcnt vmcnt(20)
	ds_write2_b64 v196, v[76:77], v[78:79] offset1:1
	s_waitcnt lgkmcnt(0)
	s_barrier
	ds_read2_b64 v[196:199], v208 offset0:56 offset1:57
	s_cmp_lt_i32 s20, 30
	v_mov_b32_e32 v206, 28
	s_cbranch_scc1 .LBB96_590
; %bb.588:
	v_add_u32_e32 v207, 0x1d0, v208
	s_mov_b32 s16, 29
	v_mov_b32_e32 v206, 28
.LBB96_589:                             ; =>This Inner Loop Header: Depth=1
	ds_read2_b64 v[212:215], v207 offset1:1
	s_waitcnt lgkmcnt(1)
	v_xor_b32_e32 v217, 0x80000000, v197
	v_xor_b32_e32 v219, 0x80000000, v199
	v_cmp_gt_f64_e32 vcc, 0, v[198:199]
	v_cmp_gt_f64_e64 s[0:1], 0, v[196:197]
	v_mov_b32_e32 v216, v196
	v_mov_b32_e32 v218, v198
	v_cndmask_b32_e64 v217, v197, v217, s[0:1]
	v_cndmask_b32_e32 v219, v199, v219, vcc
	v_add_f64 v[216:217], v[216:217], v[218:219]
	s_waitcnt lgkmcnt(0)
	v_xor_b32_e32 v219, 0x80000000, v213
	v_xor_b32_e32 v221, 0x80000000, v215
	v_cmp_gt_f64_e32 vcc, 0, v[214:215]
	v_cmp_gt_f64_e64 s[0:1], 0, v[212:213]
	v_mov_b32_e32 v218, v212
	v_mov_b32_e32 v220, v214
	v_cndmask_b32_e64 v219, v213, v219, s[0:1]
	v_cndmask_b32_e32 v221, v215, v221, vcc
	v_add_f64 v[218:219], v[218:219], v[220:221]
	v_mov_b32_e32 v222, s16
	s_add_i32 s16, s16, 1
	v_cmp_lt_f64_e32 vcc, v[216:217], v[218:219]
	v_add_u32_e32 v207, 16, v207
	s_cmp_lg_u32 s20, s16
	v_cndmask_b32_e32 v197, v197, v213, vcc
	v_cndmask_b32_e32 v196, v196, v212, vcc
	v_cndmask_b32_e32 v199, v199, v215, vcc
	v_cndmask_b32_e32 v198, v198, v214, vcc
	v_cndmask_b32_e32 v206, v206, v222, vcc
	s_cbranch_scc1 .LBB96_589
.LBB96_590:
	s_waitcnt lgkmcnt(0)
	v_cmp_eq_f64_e32 vcc, 0, v[196:197]
	v_cmp_eq_f64_e64 s[0:1], 0, v[198:199]
	s_and_b64 s[0:1], vcc, s[0:1]
	s_and_saveexec_b64 s[16:17], s[0:1]
	s_xor_b64 s[0:1], exec, s[16:17]
; %bb.591:
	v_cmp_ne_u32_e32 vcc, 0, v210
	s_nop 1
	v_cndmask_b32_e32 v210, 29, v210, vcc
; %bb.592:
	s_andn2_saveexec_b64 s[0:1], s[0:1]
	s_cbranch_execz .LBB96_598
; %bb.593:
	v_cmp_ngt_f64_e64 s[16:17], |v[196:197]|, |v[198:199]|
	s_and_saveexec_b64 s[18:19], s[16:17]
	s_xor_b64 s[16:17], exec, s[18:19]
	s_cbranch_execz .LBB96_595
; %bb.594:
	v_div_scale_f64 v[212:213], s[18:19], v[198:199], v[198:199], v[196:197]
	v_rcp_f64_e32 v[214:215], v[212:213]
	v_div_scale_f64 v[216:217], vcc, v[196:197], v[198:199], v[196:197]
	v_fma_f64 v[218:219], -v[212:213], v[214:215], 1.0
	v_fmac_f64_e32 v[214:215], v[214:215], v[218:219]
	v_fma_f64 v[218:219], -v[212:213], v[214:215], 1.0
	v_fmac_f64_e32 v[214:215], v[214:215], v[218:219]
	v_mul_f64 v[218:219], v[216:217], v[214:215]
	v_fma_f64 v[212:213], -v[212:213], v[218:219], v[216:217]
	v_div_fmas_f64 v[212:213], v[212:213], v[214:215], v[218:219]
	v_div_fixup_f64 v[212:213], v[212:213], v[198:199], v[196:197]
	v_fmac_f64_e32 v[198:199], v[196:197], v[212:213]
	v_div_scale_f64 v[196:197], s[18:19], v[198:199], v[198:199], 1.0
	v_rcp_f64_e32 v[214:215], v[196:197]
	s_nop 0
	v_fma_f64 v[216:217], -v[196:197], v[214:215], 1.0
	v_fmac_f64_e32 v[214:215], v[214:215], v[216:217]
	v_fma_f64 v[216:217], -v[196:197], v[214:215], 1.0
	v_fmac_f64_e32 v[214:215], v[214:215], v[216:217]
	v_div_scale_f64 v[216:217], vcc, 1.0, v[198:199], 1.0
	v_mul_f64 v[218:219], v[216:217], v[214:215]
	v_fma_f64 v[196:197], -v[196:197], v[218:219], v[216:217]
	s_nop 1
	v_div_fmas_f64 v[196:197], v[196:197], v[214:215], v[218:219]
	v_div_fixup_f64 v[198:199], v[196:197], v[198:199], 1.0
	v_mul_f64 v[196:197], v[212:213], v[198:199]
	v_xor_b32_e32 v199, 0x80000000, v199
.LBB96_595:
	s_andn2_saveexec_b64 s[16:17], s[16:17]
	s_cbranch_execz .LBB96_597
; %bb.596:
	v_div_scale_f64 v[212:213], s[18:19], v[196:197], v[196:197], v[198:199]
	v_rcp_f64_e32 v[214:215], v[212:213]
	v_div_scale_f64 v[216:217], vcc, v[198:199], v[196:197], v[198:199]
	v_fma_f64 v[218:219], -v[212:213], v[214:215], 1.0
	v_fmac_f64_e32 v[214:215], v[214:215], v[218:219]
	v_fma_f64 v[218:219], -v[212:213], v[214:215], 1.0
	v_fmac_f64_e32 v[214:215], v[214:215], v[218:219]
	v_mul_f64 v[218:219], v[216:217], v[214:215]
	v_fma_f64 v[212:213], -v[212:213], v[218:219], v[216:217]
	v_div_fmas_f64 v[212:213], v[212:213], v[214:215], v[218:219]
	v_div_fixup_f64 v[212:213], v[212:213], v[196:197], v[198:199]
	v_fmac_f64_e32 v[196:197], v[198:199], v[212:213]
	v_div_scale_f64 v[198:199], s[18:19], v[196:197], v[196:197], 1.0
	v_rcp_f64_e32 v[214:215], v[198:199]
	s_nop 0
	v_fma_f64 v[216:217], -v[198:199], v[214:215], 1.0
	v_fmac_f64_e32 v[214:215], v[214:215], v[216:217]
	v_fma_f64 v[216:217], -v[198:199], v[214:215], 1.0
	v_fmac_f64_e32 v[214:215], v[214:215], v[216:217]
	v_div_scale_f64 v[216:217], vcc, 1.0, v[196:197], 1.0
	v_mul_f64 v[218:219], v[216:217], v[214:215]
	v_fma_f64 v[198:199], -v[198:199], v[218:219], v[216:217]
	s_nop 1
	v_div_fmas_f64 v[198:199], v[198:199], v[214:215], v[218:219]
	v_div_fixup_f64 v[196:197], v[198:199], v[196:197], 1.0
	v_mul_f64 v[198:199], v[212:213], -v[196:197]
.LBB96_597:
	s_or_b64 exec, exec, s[16:17]
.LBB96_598:
	s_or_b64 exec, exec, s[0:1]
	v_cmp_ne_u32_e32 vcc, v209, v206
	s_and_saveexec_b64 s[0:1], vcc
	s_xor_b64 s[0:1], exec, s[0:1]
	s_cbranch_execz .LBB96_604
; %bb.599:
	v_cmp_eq_u32_e32 vcc, 28, v209
	s_and_saveexec_b64 s[16:17], vcc
	s_cbranch_execz .LBB96_603
; %bb.600:
	v_cmp_ne_u32_e32 vcc, 28, v206
	s_xor_b64 s[18:19], s[14:15], -1
	s_and_b64 s[22:23], s[18:19], vcc
	s_and_saveexec_b64 s[18:19], s[22:23]
	s_cbranch_execz .LBB96_602
; %bb.601:
	v_ashrrev_i32_e32 v207, 31, v206
	v_lshl_add_u64 v[212:213], v[206:207], 2, v[204:205]
	global_load_dword v207, v[212:213], off
	global_load_dword v209, v[204:205], off offset:112
	s_waitcnt vmcnt(1)
	global_store_dword v[204:205], v207, off offset:112
	s_waitcnt vmcnt(1)
	global_store_dword v[212:213], v209, off
.LBB96_602:
	s_or_b64 exec, exec, s[18:19]
	v_mov_b32_e32 v209, v206
	v_mov_b32_e32 v211, v206
.LBB96_603:
	s_or_b64 exec, exec, s[16:17]
.LBB96_604:
	s_andn2_saveexec_b64 s[0:1], s[0:1]
	s_cbranch_execz .LBB96_606
; %bb.605:
	v_mov_b32_e32 v209, 28
	s_waitcnt vmcnt(19)
	ds_write2_b64 v208, v[72:73], v[74:75] offset0:58 offset1:59
	s_waitcnt vmcnt(18)
	ds_write2_b64 v208, v[68:69], v[70:71] offset0:60 offset1:61
	;; [unrolled: 2-line block ×20, first 2 shown]
.LBB96_606:
	s_or_b64 exec, exec, s[0:1]
	v_cmp_lt_i32_e32 vcc, 28, v209
	s_waitcnt lgkmcnt(0)
	s_barrier
	s_and_saveexec_b64 s[0:1], vcc
	s_cbranch_execz .LBB96_608
; %bb.607:
	ds_read2_b64 v[212:215], v208 offset0:58 offset1:59
	v_mul_f64 v[206:207], v[198:199], v[78:79]
	v_mul_f64 v[78:79], v[196:197], v[78:79]
	v_fma_f64 v[206:207], v[196:197], v[76:77], -v[206:207]
	v_fmac_f64_e32 v[78:79], v[198:199], v[76:77]
	ds_read2_b64 v[196:199], v208 offset0:60 offset1:61
	s_waitcnt lgkmcnt(1)
	v_mul_f64 v[76:77], v[214:215], v[78:79]
	v_fma_f64 v[76:77], v[212:213], v[206:207], -v[76:77]
	v_mul_f64 v[212:213], v[212:213], v[78:79]
	v_fmac_f64_e32 v[212:213], v[214:215], v[206:207]
	s_waitcnt vmcnt(19)
	v_add_f64 v[72:73], v[72:73], -v[76:77]
	s_waitcnt lgkmcnt(0)
	v_mul_f64 v[76:77], v[198:199], v[78:79]
	v_add_f64 v[74:75], v[74:75], -v[212:213]
	v_fma_f64 v[76:77], v[196:197], v[206:207], -v[76:77]
	v_mul_f64 v[196:197], v[196:197], v[78:79]
	ds_read2_b64 v[212:215], v208 offset0:62 offset1:63
	v_fmac_f64_e32 v[196:197], v[198:199], v[206:207]
	s_waitcnt vmcnt(18)
	v_add_f64 v[70:71], v[70:71], -v[196:197]
	ds_read2_b64 v[196:199], v208 offset0:64 offset1:65
	v_add_f64 v[68:69], v[68:69], -v[76:77]
	s_waitcnt lgkmcnt(1)
	v_mul_f64 v[76:77], v[214:215], v[78:79]
	v_fma_f64 v[76:77], v[212:213], v[206:207], -v[76:77]
	v_mul_f64 v[212:213], v[212:213], v[78:79]
	v_fmac_f64_e32 v[212:213], v[214:215], v[206:207]
	s_waitcnt vmcnt(17)
	v_add_f64 v[64:65], v[64:65], -v[76:77]
	s_waitcnt lgkmcnt(0)
	v_mul_f64 v[76:77], v[198:199], v[78:79]
	v_add_f64 v[66:67], v[66:67], -v[212:213]
	v_fma_f64 v[76:77], v[196:197], v[206:207], -v[76:77]
	v_mul_f64 v[196:197], v[196:197], v[78:79]
	ds_read2_b64 v[212:215], v208 offset0:66 offset1:67
	v_fmac_f64_e32 v[196:197], v[198:199], v[206:207]
	s_waitcnt vmcnt(16)
	v_add_f64 v[62:63], v[62:63], -v[196:197]
	ds_read2_b64 v[196:199], v208 offset0:68 offset1:69
	v_add_f64 v[60:61], v[60:61], -v[76:77]
	;; [unrolled: 18-line block ×9, first 2 shown]
	s_waitcnt lgkmcnt(1)
	v_mul_f64 v[76:77], v[214:215], v[78:79]
	v_fma_f64 v[76:77], v[212:213], v[206:207], -v[76:77]
	s_waitcnt vmcnt(1)
	v_add_f64 v[0:1], v[0:1], -v[76:77]
	s_waitcnt lgkmcnt(0)
	v_mul_f64 v[76:77], v[198:199], v[78:79]
	v_mul_f64 v[212:213], v[212:213], v[78:79]
	v_fma_f64 v[76:77], v[196:197], v[206:207], -v[76:77]
	v_mul_f64 v[196:197], v[196:197], v[78:79]
	v_fmac_f64_e32 v[212:213], v[214:215], v[206:207]
	v_fmac_f64_e32 v[196:197], v[198:199], v[206:207]
	v_add_f64 v[2:3], v[2:3], -v[212:213]
	s_waitcnt vmcnt(0)
	v_add_f64 v[192:193], v[192:193], -v[76:77]
	v_add_f64 v[194:195], v[194:195], -v[196:197]
	v_mov_b64_e32 v[76:77], v[206:207]
.LBB96_608:
	s_or_b64 exec, exec, s[0:1]
	v_lshl_add_u32 v196, v209, 4, v208
	s_barrier
	s_waitcnt vmcnt(19)
	ds_write2_b64 v196, v[72:73], v[74:75] offset1:1
	s_waitcnt lgkmcnt(0)
	s_barrier
	ds_read2_b64 v[196:199], v208 offset0:58 offset1:59
	s_cmp_lt_i32 s20, 31
	v_mov_b32_e32 v206, 29
	s_cbranch_scc1 .LBB96_611
; %bb.609:
	v_add_u32_e32 v207, 0x1e0, v208
	s_mov_b32 s16, 30
	v_mov_b32_e32 v206, 29
.LBB96_610:                             ; =>This Inner Loop Header: Depth=1
	ds_read2_b64 v[212:215], v207 offset1:1
	s_waitcnt lgkmcnt(1)
	v_xor_b32_e32 v217, 0x80000000, v197
	v_xor_b32_e32 v219, 0x80000000, v199
	v_cmp_gt_f64_e32 vcc, 0, v[198:199]
	v_cmp_gt_f64_e64 s[0:1], 0, v[196:197]
	v_mov_b32_e32 v216, v196
	v_mov_b32_e32 v218, v198
	v_cndmask_b32_e64 v217, v197, v217, s[0:1]
	v_cndmask_b32_e32 v219, v199, v219, vcc
	v_add_f64 v[216:217], v[216:217], v[218:219]
	s_waitcnt lgkmcnt(0)
	v_xor_b32_e32 v219, 0x80000000, v213
	v_xor_b32_e32 v221, 0x80000000, v215
	v_cmp_gt_f64_e32 vcc, 0, v[214:215]
	v_cmp_gt_f64_e64 s[0:1], 0, v[212:213]
	v_mov_b32_e32 v218, v212
	v_mov_b32_e32 v220, v214
	v_cndmask_b32_e64 v219, v213, v219, s[0:1]
	v_cndmask_b32_e32 v221, v215, v221, vcc
	v_add_f64 v[218:219], v[218:219], v[220:221]
	v_mov_b32_e32 v222, s16
	s_add_i32 s16, s16, 1
	v_cmp_lt_f64_e32 vcc, v[216:217], v[218:219]
	v_add_u32_e32 v207, 16, v207
	s_cmp_lg_u32 s20, s16
	v_cndmask_b32_e32 v197, v197, v213, vcc
	v_cndmask_b32_e32 v196, v196, v212, vcc
	;; [unrolled: 1-line block ×5, first 2 shown]
	s_cbranch_scc1 .LBB96_610
.LBB96_611:
	s_waitcnt lgkmcnt(0)
	v_cmp_eq_f64_e32 vcc, 0, v[196:197]
	v_cmp_eq_f64_e64 s[0:1], 0, v[198:199]
	s_and_b64 s[0:1], vcc, s[0:1]
	s_and_saveexec_b64 s[16:17], s[0:1]
	s_xor_b64 s[0:1], exec, s[16:17]
; %bb.612:
	v_cmp_ne_u32_e32 vcc, 0, v210
	s_nop 1
	v_cndmask_b32_e32 v210, 30, v210, vcc
; %bb.613:
	s_andn2_saveexec_b64 s[0:1], s[0:1]
	s_cbranch_execz .LBB96_619
; %bb.614:
	v_cmp_ngt_f64_e64 s[16:17], |v[196:197]|, |v[198:199]|
	s_and_saveexec_b64 s[18:19], s[16:17]
	s_xor_b64 s[16:17], exec, s[18:19]
	s_cbranch_execz .LBB96_616
; %bb.615:
	v_div_scale_f64 v[212:213], s[18:19], v[198:199], v[198:199], v[196:197]
	v_rcp_f64_e32 v[214:215], v[212:213]
	v_div_scale_f64 v[216:217], vcc, v[196:197], v[198:199], v[196:197]
	v_fma_f64 v[218:219], -v[212:213], v[214:215], 1.0
	v_fmac_f64_e32 v[214:215], v[214:215], v[218:219]
	v_fma_f64 v[218:219], -v[212:213], v[214:215], 1.0
	v_fmac_f64_e32 v[214:215], v[214:215], v[218:219]
	v_mul_f64 v[218:219], v[216:217], v[214:215]
	v_fma_f64 v[212:213], -v[212:213], v[218:219], v[216:217]
	v_div_fmas_f64 v[212:213], v[212:213], v[214:215], v[218:219]
	v_div_fixup_f64 v[212:213], v[212:213], v[198:199], v[196:197]
	v_fmac_f64_e32 v[198:199], v[196:197], v[212:213]
	v_div_scale_f64 v[196:197], s[18:19], v[198:199], v[198:199], 1.0
	v_rcp_f64_e32 v[214:215], v[196:197]
	s_nop 0
	v_fma_f64 v[216:217], -v[196:197], v[214:215], 1.0
	v_fmac_f64_e32 v[214:215], v[214:215], v[216:217]
	v_fma_f64 v[216:217], -v[196:197], v[214:215], 1.0
	v_fmac_f64_e32 v[214:215], v[214:215], v[216:217]
	v_div_scale_f64 v[216:217], vcc, 1.0, v[198:199], 1.0
	v_mul_f64 v[218:219], v[216:217], v[214:215]
	v_fma_f64 v[196:197], -v[196:197], v[218:219], v[216:217]
	s_nop 1
	v_div_fmas_f64 v[196:197], v[196:197], v[214:215], v[218:219]
	v_div_fixup_f64 v[198:199], v[196:197], v[198:199], 1.0
	v_mul_f64 v[196:197], v[212:213], v[198:199]
	v_xor_b32_e32 v199, 0x80000000, v199
.LBB96_616:
	s_andn2_saveexec_b64 s[16:17], s[16:17]
	s_cbranch_execz .LBB96_618
; %bb.617:
	v_div_scale_f64 v[212:213], s[18:19], v[196:197], v[196:197], v[198:199]
	v_rcp_f64_e32 v[214:215], v[212:213]
	v_div_scale_f64 v[216:217], vcc, v[198:199], v[196:197], v[198:199]
	v_fma_f64 v[218:219], -v[212:213], v[214:215], 1.0
	v_fmac_f64_e32 v[214:215], v[214:215], v[218:219]
	v_fma_f64 v[218:219], -v[212:213], v[214:215], 1.0
	v_fmac_f64_e32 v[214:215], v[214:215], v[218:219]
	v_mul_f64 v[218:219], v[216:217], v[214:215]
	v_fma_f64 v[212:213], -v[212:213], v[218:219], v[216:217]
	v_div_fmas_f64 v[212:213], v[212:213], v[214:215], v[218:219]
	v_div_fixup_f64 v[212:213], v[212:213], v[196:197], v[198:199]
	v_fmac_f64_e32 v[196:197], v[198:199], v[212:213]
	v_div_scale_f64 v[198:199], s[18:19], v[196:197], v[196:197], 1.0
	v_rcp_f64_e32 v[214:215], v[198:199]
	s_nop 0
	v_fma_f64 v[216:217], -v[198:199], v[214:215], 1.0
	v_fmac_f64_e32 v[214:215], v[214:215], v[216:217]
	v_fma_f64 v[216:217], -v[198:199], v[214:215], 1.0
	v_fmac_f64_e32 v[214:215], v[214:215], v[216:217]
	v_div_scale_f64 v[216:217], vcc, 1.0, v[196:197], 1.0
	v_mul_f64 v[218:219], v[216:217], v[214:215]
	v_fma_f64 v[198:199], -v[198:199], v[218:219], v[216:217]
	s_nop 1
	v_div_fmas_f64 v[198:199], v[198:199], v[214:215], v[218:219]
	v_div_fixup_f64 v[196:197], v[198:199], v[196:197], 1.0
	v_mul_f64 v[198:199], v[212:213], -v[196:197]
.LBB96_618:
	s_or_b64 exec, exec, s[16:17]
.LBB96_619:
	s_or_b64 exec, exec, s[0:1]
	v_cmp_ne_u32_e32 vcc, v209, v206
	s_and_saveexec_b64 s[0:1], vcc
	s_xor_b64 s[0:1], exec, s[0:1]
	s_cbranch_execz .LBB96_625
; %bb.620:
	v_cmp_eq_u32_e32 vcc, 29, v209
	s_and_saveexec_b64 s[16:17], vcc
	s_cbranch_execz .LBB96_624
; %bb.621:
	v_cmp_ne_u32_e32 vcc, 29, v206
	s_xor_b64 s[18:19], s[14:15], -1
	s_and_b64 s[22:23], s[18:19], vcc
	s_and_saveexec_b64 s[18:19], s[22:23]
	s_cbranch_execz .LBB96_623
; %bb.622:
	v_ashrrev_i32_e32 v207, 31, v206
	v_lshl_add_u64 v[212:213], v[206:207], 2, v[204:205]
	global_load_dword v207, v[212:213], off
	global_load_dword v209, v[204:205], off offset:116
	s_waitcnt vmcnt(1)
	global_store_dword v[204:205], v207, off offset:116
	s_waitcnt vmcnt(1)
	global_store_dword v[212:213], v209, off
.LBB96_623:
	s_or_b64 exec, exec, s[18:19]
	v_mov_b32_e32 v209, v206
	v_mov_b32_e32 v211, v206
.LBB96_624:
	s_or_b64 exec, exec, s[16:17]
.LBB96_625:
	s_andn2_saveexec_b64 s[0:1], s[0:1]
	s_cbranch_execz .LBB96_627
; %bb.626:
	v_mov_b32_e32 v209, 29
	s_waitcnt vmcnt(18)
	ds_write2_b64 v208, v[68:69], v[70:71] offset0:60 offset1:61
	s_waitcnt vmcnt(17)
	ds_write2_b64 v208, v[64:65], v[66:67] offset0:62 offset1:63
	;; [unrolled: 2-line block ×19, first 2 shown]
.LBB96_627:
	s_or_b64 exec, exec, s[0:1]
	v_cmp_lt_i32_e32 vcc, 29, v209
	s_waitcnt lgkmcnt(0)
	s_barrier
	s_and_saveexec_b64 s[0:1], vcc
	s_cbranch_execz .LBB96_629
; %bb.628:
	ds_read2_b64 v[212:215], v208 offset0:60 offset1:61
	v_mul_f64 v[206:207], v[198:199], v[74:75]
	v_mul_f64 v[74:75], v[196:197], v[74:75]
	v_fmac_f64_e32 v[74:75], v[198:199], v[72:73]
	v_fma_f64 v[206:207], v[196:197], v[72:73], -v[206:207]
	ds_read2_b64 v[196:199], v208 offset0:62 offset1:63
	s_waitcnt lgkmcnt(1)
	v_mul_f64 v[72:73], v[214:215], v[74:75]
	v_fma_f64 v[72:73], v[212:213], v[206:207], -v[72:73]
	v_mul_f64 v[212:213], v[212:213], v[74:75]
	v_fmac_f64_e32 v[212:213], v[214:215], v[206:207]
	s_waitcnt vmcnt(18)
	v_add_f64 v[70:71], v[70:71], -v[212:213]
	ds_read2_b64 v[212:215], v208 offset0:64 offset1:65
	v_add_f64 v[68:69], v[68:69], -v[72:73]
	s_waitcnt lgkmcnt(1)
	v_mul_f64 v[72:73], v[198:199], v[74:75]
	v_fma_f64 v[72:73], v[196:197], v[206:207], -v[72:73]
	v_mul_f64 v[196:197], v[196:197], v[74:75]
	v_fmac_f64_e32 v[196:197], v[198:199], v[206:207]
	s_waitcnt vmcnt(17)
	v_add_f64 v[64:65], v[64:65], -v[72:73]
	v_add_f64 v[66:67], v[66:67], -v[196:197]
	ds_read2_b64 v[196:199], v208 offset0:66 offset1:67
	s_waitcnt lgkmcnt(1)
	v_mul_f64 v[72:73], v[214:215], v[74:75]
	v_fma_f64 v[72:73], v[212:213], v[206:207], -v[72:73]
	v_mul_f64 v[212:213], v[212:213], v[74:75]
	v_fmac_f64_e32 v[212:213], v[214:215], v[206:207]
	s_waitcnt vmcnt(16)
	v_add_f64 v[62:63], v[62:63], -v[212:213]
	ds_read2_b64 v[212:215], v208 offset0:68 offset1:69
	v_add_f64 v[60:61], v[60:61], -v[72:73]
	s_waitcnt lgkmcnt(1)
	v_mul_f64 v[72:73], v[198:199], v[74:75]
	v_fma_f64 v[72:73], v[196:197], v[206:207], -v[72:73]
	v_mul_f64 v[196:197], v[196:197], v[74:75]
	v_fmac_f64_e32 v[196:197], v[198:199], v[206:207]
	s_waitcnt vmcnt(15)
	v_add_f64 v[56:57], v[56:57], -v[72:73]
	v_add_f64 v[58:59], v[58:59], -v[196:197]
	;; [unrolled: 18-line block ×9, first 2 shown]
	s_waitcnt lgkmcnt(0)
	v_mul_f64 v[72:73], v[214:215], v[74:75]
	v_mul_f64 v[196:197], v[212:213], v[74:75]
	v_fma_f64 v[72:73], v[212:213], v[206:207], -v[72:73]
	v_fmac_f64_e32 v[196:197], v[214:215], v[206:207]
	s_waitcnt vmcnt(0)
	v_add_f64 v[192:193], v[192:193], -v[72:73]
	v_add_f64 v[194:195], v[194:195], -v[196:197]
	v_mov_b64_e32 v[72:73], v[206:207]
.LBB96_629:
	s_or_b64 exec, exec, s[0:1]
	v_lshl_add_u32 v196, v209, 4, v208
	s_barrier
	s_waitcnt vmcnt(18)
	ds_write2_b64 v196, v[68:69], v[70:71] offset1:1
	s_waitcnt lgkmcnt(0)
	s_barrier
	ds_read2_b64 v[196:199], v208 offset0:60 offset1:61
	s_cmp_lt_i32 s20, 32
	v_mov_b32_e32 v206, 30
	s_cbranch_scc1 .LBB96_632
; %bb.630:
	v_add_u32_e32 v207, 0x1f0, v208
	s_mov_b32 s16, 31
	v_mov_b32_e32 v206, 30
.LBB96_631:                             ; =>This Inner Loop Header: Depth=1
	ds_read2_b64 v[212:215], v207 offset1:1
	s_waitcnt lgkmcnt(1)
	v_xor_b32_e32 v217, 0x80000000, v197
	v_xor_b32_e32 v219, 0x80000000, v199
	v_cmp_gt_f64_e32 vcc, 0, v[198:199]
	v_cmp_gt_f64_e64 s[0:1], 0, v[196:197]
	v_mov_b32_e32 v216, v196
	v_mov_b32_e32 v218, v198
	v_cndmask_b32_e64 v217, v197, v217, s[0:1]
	v_cndmask_b32_e32 v219, v199, v219, vcc
	v_add_f64 v[216:217], v[216:217], v[218:219]
	s_waitcnt lgkmcnt(0)
	v_xor_b32_e32 v219, 0x80000000, v213
	v_xor_b32_e32 v221, 0x80000000, v215
	v_cmp_gt_f64_e32 vcc, 0, v[214:215]
	v_cmp_gt_f64_e64 s[0:1], 0, v[212:213]
	v_mov_b32_e32 v218, v212
	v_mov_b32_e32 v220, v214
	v_cndmask_b32_e64 v219, v213, v219, s[0:1]
	v_cndmask_b32_e32 v221, v215, v221, vcc
	v_add_f64 v[218:219], v[218:219], v[220:221]
	v_mov_b32_e32 v222, s16
	s_add_i32 s16, s16, 1
	v_cmp_lt_f64_e32 vcc, v[216:217], v[218:219]
	v_add_u32_e32 v207, 16, v207
	s_cmp_lg_u32 s20, s16
	v_cndmask_b32_e32 v197, v197, v213, vcc
	v_cndmask_b32_e32 v196, v196, v212, vcc
	v_cndmask_b32_e32 v199, v199, v215, vcc
	v_cndmask_b32_e32 v198, v198, v214, vcc
	v_cndmask_b32_e32 v206, v206, v222, vcc
	s_cbranch_scc1 .LBB96_631
.LBB96_632:
	s_waitcnt lgkmcnt(0)
	v_cmp_eq_f64_e32 vcc, 0, v[196:197]
	v_cmp_eq_f64_e64 s[0:1], 0, v[198:199]
	s_and_b64 s[0:1], vcc, s[0:1]
	s_and_saveexec_b64 s[16:17], s[0:1]
	s_xor_b64 s[0:1], exec, s[16:17]
; %bb.633:
	v_cmp_ne_u32_e32 vcc, 0, v210
	s_nop 1
	v_cndmask_b32_e32 v210, 31, v210, vcc
; %bb.634:
	s_andn2_saveexec_b64 s[0:1], s[0:1]
	s_cbranch_execz .LBB96_640
; %bb.635:
	v_cmp_ngt_f64_e64 s[16:17], |v[196:197]|, |v[198:199]|
	s_and_saveexec_b64 s[18:19], s[16:17]
	s_xor_b64 s[16:17], exec, s[18:19]
	s_cbranch_execz .LBB96_637
; %bb.636:
	v_div_scale_f64 v[212:213], s[18:19], v[198:199], v[198:199], v[196:197]
	v_rcp_f64_e32 v[214:215], v[212:213]
	v_div_scale_f64 v[216:217], vcc, v[196:197], v[198:199], v[196:197]
	v_fma_f64 v[218:219], -v[212:213], v[214:215], 1.0
	v_fmac_f64_e32 v[214:215], v[214:215], v[218:219]
	v_fma_f64 v[218:219], -v[212:213], v[214:215], 1.0
	v_fmac_f64_e32 v[214:215], v[214:215], v[218:219]
	v_mul_f64 v[218:219], v[216:217], v[214:215]
	v_fma_f64 v[212:213], -v[212:213], v[218:219], v[216:217]
	v_div_fmas_f64 v[212:213], v[212:213], v[214:215], v[218:219]
	v_div_fixup_f64 v[212:213], v[212:213], v[198:199], v[196:197]
	v_fmac_f64_e32 v[198:199], v[196:197], v[212:213]
	v_div_scale_f64 v[196:197], s[18:19], v[198:199], v[198:199], 1.0
	v_rcp_f64_e32 v[214:215], v[196:197]
	s_nop 0
	v_fma_f64 v[216:217], -v[196:197], v[214:215], 1.0
	v_fmac_f64_e32 v[214:215], v[214:215], v[216:217]
	v_fma_f64 v[216:217], -v[196:197], v[214:215], 1.0
	v_fmac_f64_e32 v[214:215], v[214:215], v[216:217]
	v_div_scale_f64 v[216:217], vcc, 1.0, v[198:199], 1.0
	v_mul_f64 v[218:219], v[216:217], v[214:215]
	v_fma_f64 v[196:197], -v[196:197], v[218:219], v[216:217]
	s_nop 1
	v_div_fmas_f64 v[196:197], v[196:197], v[214:215], v[218:219]
	v_div_fixup_f64 v[198:199], v[196:197], v[198:199], 1.0
	v_mul_f64 v[196:197], v[212:213], v[198:199]
	v_xor_b32_e32 v199, 0x80000000, v199
.LBB96_637:
	s_andn2_saveexec_b64 s[16:17], s[16:17]
	s_cbranch_execz .LBB96_639
; %bb.638:
	v_div_scale_f64 v[212:213], s[18:19], v[196:197], v[196:197], v[198:199]
	v_rcp_f64_e32 v[214:215], v[212:213]
	v_div_scale_f64 v[216:217], vcc, v[198:199], v[196:197], v[198:199]
	v_fma_f64 v[218:219], -v[212:213], v[214:215], 1.0
	v_fmac_f64_e32 v[214:215], v[214:215], v[218:219]
	v_fma_f64 v[218:219], -v[212:213], v[214:215], 1.0
	v_fmac_f64_e32 v[214:215], v[214:215], v[218:219]
	v_mul_f64 v[218:219], v[216:217], v[214:215]
	v_fma_f64 v[212:213], -v[212:213], v[218:219], v[216:217]
	v_div_fmas_f64 v[212:213], v[212:213], v[214:215], v[218:219]
	v_div_fixup_f64 v[212:213], v[212:213], v[196:197], v[198:199]
	v_fmac_f64_e32 v[196:197], v[198:199], v[212:213]
	v_div_scale_f64 v[198:199], s[18:19], v[196:197], v[196:197], 1.0
	v_rcp_f64_e32 v[214:215], v[198:199]
	s_nop 0
	v_fma_f64 v[216:217], -v[198:199], v[214:215], 1.0
	v_fmac_f64_e32 v[214:215], v[214:215], v[216:217]
	v_fma_f64 v[216:217], -v[198:199], v[214:215], 1.0
	v_fmac_f64_e32 v[214:215], v[214:215], v[216:217]
	v_div_scale_f64 v[216:217], vcc, 1.0, v[196:197], 1.0
	v_mul_f64 v[218:219], v[216:217], v[214:215]
	v_fma_f64 v[198:199], -v[198:199], v[218:219], v[216:217]
	s_nop 1
	v_div_fmas_f64 v[198:199], v[198:199], v[214:215], v[218:219]
	v_div_fixup_f64 v[196:197], v[198:199], v[196:197], 1.0
	v_mul_f64 v[198:199], v[212:213], -v[196:197]
.LBB96_639:
	s_or_b64 exec, exec, s[16:17]
.LBB96_640:
	s_or_b64 exec, exec, s[0:1]
	v_cmp_ne_u32_e32 vcc, v209, v206
	s_and_saveexec_b64 s[0:1], vcc
	s_xor_b64 s[0:1], exec, s[0:1]
	s_cbranch_execz .LBB96_646
; %bb.641:
	v_cmp_eq_u32_e32 vcc, 30, v209
	s_and_saveexec_b64 s[16:17], vcc
	s_cbranch_execz .LBB96_645
; %bb.642:
	v_cmp_ne_u32_e32 vcc, 30, v206
	s_xor_b64 s[18:19], s[14:15], -1
	s_and_b64 s[22:23], s[18:19], vcc
	s_and_saveexec_b64 s[18:19], s[22:23]
	s_cbranch_execz .LBB96_644
; %bb.643:
	v_ashrrev_i32_e32 v207, 31, v206
	v_lshl_add_u64 v[212:213], v[206:207], 2, v[204:205]
	global_load_dword v207, v[212:213], off
	global_load_dword v209, v[204:205], off offset:120
	s_waitcnt vmcnt(1)
	global_store_dword v[204:205], v207, off offset:120
	s_waitcnt vmcnt(1)
	global_store_dword v[212:213], v209, off
.LBB96_644:
	s_or_b64 exec, exec, s[18:19]
	v_mov_b32_e32 v209, v206
	v_mov_b32_e32 v211, v206
.LBB96_645:
	s_or_b64 exec, exec, s[16:17]
.LBB96_646:
	s_andn2_saveexec_b64 s[0:1], s[0:1]
	s_cbranch_execz .LBB96_648
; %bb.647:
	v_mov_b32_e32 v209, 30
	s_waitcnt vmcnt(17)
	ds_write2_b64 v208, v[64:65], v[66:67] offset0:62 offset1:63
	s_waitcnt vmcnt(16)
	ds_write2_b64 v208, v[60:61], v[62:63] offset0:64 offset1:65
	;; [unrolled: 2-line block ×18, first 2 shown]
.LBB96_648:
	s_or_b64 exec, exec, s[0:1]
	v_cmp_lt_i32_e32 vcc, 30, v209
	s_waitcnt lgkmcnt(0)
	s_barrier
	s_and_saveexec_b64 s[0:1], vcc
	s_cbranch_execz .LBB96_650
; %bb.649:
	ds_read2_b64 v[212:215], v208 offset0:62 offset1:63
	v_mul_f64 v[206:207], v[198:199], v[70:71]
	v_mul_f64 v[70:71], v[196:197], v[70:71]
	v_fma_f64 v[206:207], v[196:197], v[68:69], -v[206:207]
	v_fmac_f64_e32 v[70:71], v[198:199], v[68:69]
	ds_read2_b64 v[196:199], v208 offset0:64 offset1:65
	s_waitcnt lgkmcnt(1)
	v_mul_f64 v[68:69], v[214:215], v[70:71]
	v_fma_f64 v[68:69], v[212:213], v[206:207], -v[68:69]
	v_mul_f64 v[212:213], v[212:213], v[70:71]
	v_fmac_f64_e32 v[212:213], v[214:215], v[206:207]
	s_waitcnt vmcnt(17)
	v_add_f64 v[64:65], v[64:65], -v[68:69]
	s_waitcnt lgkmcnt(0)
	v_mul_f64 v[68:69], v[198:199], v[70:71]
	v_add_f64 v[66:67], v[66:67], -v[212:213]
	v_fma_f64 v[68:69], v[196:197], v[206:207], -v[68:69]
	v_mul_f64 v[196:197], v[196:197], v[70:71]
	ds_read2_b64 v[212:215], v208 offset0:66 offset1:67
	v_fmac_f64_e32 v[196:197], v[198:199], v[206:207]
	s_waitcnt vmcnt(16)
	v_add_f64 v[62:63], v[62:63], -v[196:197]
	ds_read2_b64 v[196:199], v208 offset0:68 offset1:69
	v_add_f64 v[60:61], v[60:61], -v[68:69]
	s_waitcnt lgkmcnt(1)
	v_mul_f64 v[68:69], v[214:215], v[70:71]
	v_fma_f64 v[68:69], v[212:213], v[206:207], -v[68:69]
	v_mul_f64 v[212:213], v[212:213], v[70:71]
	v_fmac_f64_e32 v[212:213], v[214:215], v[206:207]
	s_waitcnt vmcnt(15)
	v_add_f64 v[56:57], v[56:57], -v[68:69]
	s_waitcnt lgkmcnt(0)
	v_mul_f64 v[68:69], v[198:199], v[70:71]
	v_add_f64 v[58:59], v[58:59], -v[212:213]
	v_fma_f64 v[68:69], v[196:197], v[206:207], -v[68:69]
	v_mul_f64 v[196:197], v[196:197], v[70:71]
	ds_read2_b64 v[212:215], v208 offset0:70 offset1:71
	v_fmac_f64_e32 v[196:197], v[198:199], v[206:207]
	s_waitcnt vmcnt(14)
	v_add_f64 v[54:55], v[54:55], -v[196:197]
	ds_read2_b64 v[196:199], v208 offset0:72 offset1:73
	v_add_f64 v[52:53], v[52:53], -v[68:69]
	;; [unrolled: 18-line block ×8, first 2 shown]
	s_waitcnt lgkmcnt(1)
	v_mul_f64 v[68:69], v[214:215], v[70:71]
	v_fma_f64 v[68:69], v[212:213], v[206:207], -v[68:69]
	s_waitcnt vmcnt(1)
	v_add_f64 v[0:1], v[0:1], -v[68:69]
	s_waitcnt lgkmcnt(0)
	v_mul_f64 v[68:69], v[198:199], v[70:71]
	v_mul_f64 v[212:213], v[212:213], v[70:71]
	v_fma_f64 v[68:69], v[196:197], v[206:207], -v[68:69]
	v_mul_f64 v[196:197], v[196:197], v[70:71]
	v_fmac_f64_e32 v[212:213], v[214:215], v[206:207]
	v_fmac_f64_e32 v[196:197], v[198:199], v[206:207]
	v_add_f64 v[2:3], v[2:3], -v[212:213]
	s_waitcnt vmcnt(0)
	v_add_f64 v[192:193], v[192:193], -v[68:69]
	v_add_f64 v[194:195], v[194:195], -v[196:197]
	v_mov_b64_e32 v[68:69], v[206:207]
.LBB96_650:
	s_or_b64 exec, exec, s[0:1]
	v_lshl_add_u32 v196, v209, 4, v208
	s_barrier
	s_waitcnt vmcnt(17)
	ds_write2_b64 v196, v[64:65], v[66:67] offset1:1
	s_waitcnt lgkmcnt(0)
	s_barrier
	ds_read2_b64 v[196:199], v208 offset0:62 offset1:63
	s_cmp_lt_i32 s20, 33
	v_mov_b32_e32 v206, 31
	s_cbranch_scc1 .LBB96_653
; %bb.651:
	v_add_u32_e32 v207, 0x200, v208
	s_mov_b32 s16, 32
	v_mov_b32_e32 v206, 31
.LBB96_652:                             ; =>This Inner Loop Header: Depth=1
	ds_read2_b64 v[212:215], v207 offset1:1
	s_waitcnt lgkmcnt(1)
	v_xor_b32_e32 v217, 0x80000000, v197
	v_xor_b32_e32 v219, 0x80000000, v199
	v_cmp_gt_f64_e32 vcc, 0, v[198:199]
	v_cmp_gt_f64_e64 s[0:1], 0, v[196:197]
	v_mov_b32_e32 v216, v196
	v_mov_b32_e32 v218, v198
	v_cndmask_b32_e64 v217, v197, v217, s[0:1]
	v_cndmask_b32_e32 v219, v199, v219, vcc
	v_add_f64 v[216:217], v[216:217], v[218:219]
	s_waitcnt lgkmcnt(0)
	v_xor_b32_e32 v219, 0x80000000, v213
	v_xor_b32_e32 v221, 0x80000000, v215
	v_cmp_gt_f64_e32 vcc, 0, v[214:215]
	v_cmp_gt_f64_e64 s[0:1], 0, v[212:213]
	v_mov_b32_e32 v218, v212
	v_mov_b32_e32 v220, v214
	v_cndmask_b32_e64 v219, v213, v219, s[0:1]
	v_cndmask_b32_e32 v221, v215, v221, vcc
	v_add_f64 v[218:219], v[218:219], v[220:221]
	v_mov_b32_e32 v222, s16
	s_add_i32 s16, s16, 1
	v_cmp_lt_f64_e32 vcc, v[216:217], v[218:219]
	v_add_u32_e32 v207, 16, v207
	s_cmp_lg_u32 s20, s16
	v_cndmask_b32_e32 v197, v197, v213, vcc
	v_cndmask_b32_e32 v196, v196, v212, vcc
	;; [unrolled: 1-line block ×5, first 2 shown]
	s_cbranch_scc1 .LBB96_652
.LBB96_653:
	s_waitcnt lgkmcnt(0)
	v_cmp_eq_f64_e32 vcc, 0, v[196:197]
	v_cmp_eq_f64_e64 s[0:1], 0, v[198:199]
	s_and_b64 s[0:1], vcc, s[0:1]
	s_and_saveexec_b64 s[16:17], s[0:1]
	s_xor_b64 s[0:1], exec, s[16:17]
; %bb.654:
	v_cmp_ne_u32_e32 vcc, 0, v210
	s_nop 1
	v_cndmask_b32_e32 v210, 32, v210, vcc
; %bb.655:
	s_andn2_saveexec_b64 s[0:1], s[0:1]
	s_cbranch_execz .LBB96_661
; %bb.656:
	v_cmp_ngt_f64_e64 s[16:17], |v[196:197]|, |v[198:199]|
	s_and_saveexec_b64 s[18:19], s[16:17]
	s_xor_b64 s[16:17], exec, s[18:19]
	s_cbranch_execz .LBB96_658
; %bb.657:
	v_div_scale_f64 v[212:213], s[18:19], v[198:199], v[198:199], v[196:197]
	v_rcp_f64_e32 v[214:215], v[212:213]
	v_div_scale_f64 v[216:217], vcc, v[196:197], v[198:199], v[196:197]
	v_fma_f64 v[218:219], -v[212:213], v[214:215], 1.0
	v_fmac_f64_e32 v[214:215], v[214:215], v[218:219]
	v_fma_f64 v[218:219], -v[212:213], v[214:215], 1.0
	v_fmac_f64_e32 v[214:215], v[214:215], v[218:219]
	v_mul_f64 v[218:219], v[216:217], v[214:215]
	v_fma_f64 v[212:213], -v[212:213], v[218:219], v[216:217]
	v_div_fmas_f64 v[212:213], v[212:213], v[214:215], v[218:219]
	v_div_fixup_f64 v[212:213], v[212:213], v[198:199], v[196:197]
	v_fmac_f64_e32 v[198:199], v[196:197], v[212:213]
	v_div_scale_f64 v[196:197], s[18:19], v[198:199], v[198:199], 1.0
	v_rcp_f64_e32 v[214:215], v[196:197]
	s_nop 0
	v_fma_f64 v[216:217], -v[196:197], v[214:215], 1.0
	v_fmac_f64_e32 v[214:215], v[214:215], v[216:217]
	v_fma_f64 v[216:217], -v[196:197], v[214:215], 1.0
	v_fmac_f64_e32 v[214:215], v[214:215], v[216:217]
	v_div_scale_f64 v[216:217], vcc, 1.0, v[198:199], 1.0
	v_mul_f64 v[218:219], v[216:217], v[214:215]
	v_fma_f64 v[196:197], -v[196:197], v[218:219], v[216:217]
	s_nop 1
	v_div_fmas_f64 v[196:197], v[196:197], v[214:215], v[218:219]
	v_div_fixup_f64 v[198:199], v[196:197], v[198:199], 1.0
	v_mul_f64 v[196:197], v[212:213], v[198:199]
	v_xor_b32_e32 v199, 0x80000000, v199
.LBB96_658:
	s_andn2_saveexec_b64 s[16:17], s[16:17]
	s_cbranch_execz .LBB96_660
; %bb.659:
	v_div_scale_f64 v[212:213], s[18:19], v[196:197], v[196:197], v[198:199]
	v_rcp_f64_e32 v[214:215], v[212:213]
	v_div_scale_f64 v[216:217], vcc, v[198:199], v[196:197], v[198:199]
	v_fma_f64 v[218:219], -v[212:213], v[214:215], 1.0
	v_fmac_f64_e32 v[214:215], v[214:215], v[218:219]
	v_fma_f64 v[218:219], -v[212:213], v[214:215], 1.0
	v_fmac_f64_e32 v[214:215], v[214:215], v[218:219]
	v_mul_f64 v[218:219], v[216:217], v[214:215]
	v_fma_f64 v[212:213], -v[212:213], v[218:219], v[216:217]
	v_div_fmas_f64 v[212:213], v[212:213], v[214:215], v[218:219]
	v_div_fixup_f64 v[212:213], v[212:213], v[196:197], v[198:199]
	v_fmac_f64_e32 v[196:197], v[198:199], v[212:213]
	v_div_scale_f64 v[198:199], s[18:19], v[196:197], v[196:197], 1.0
	v_rcp_f64_e32 v[214:215], v[198:199]
	s_nop 0
	v_fma_f64 v[216:217], -v[198:199], v[214:215], 1.0
	v_fmac_f64_e32 v[214:215], v[214:215], v[216:217]
	v_fma_f64 v[216:217], -v[198:199], v[214:215], 1.0
	v_fmac_f64_e32 v[214:215], v[214:215], v[216:217]
	v_div_scale_f64 v[216:217], vcc, 1.0, v[196:197], 1.0
	v_mul_f64 v[218:219], v[216:217], v[214:215]
	v_fma_f64 v[198:199], -v[198:199], v[218:219], v[216:217]
	s_nop 1
	v_div_fmas_f64 v[198:199], v[198:199], v[214:215], v[218:219]
	v_div_fixup_f64 v[196:197], v[198:199], v[196:197], 1.0
	v_mul_f64 v[198:199], v[212:213], -v[196:197]
.LBB96_660:
	s_or_b64 exec, exec, s[16:17]
.LBB96_661:
	s_or_b64 exec, exec, s[0:1]
	v_cmp_ne_u32_e32 vcc, v209, v206
	s_and_saveexec_b64 s[0:1], vcc
	s_xor_b64 s[0:1], exec, s[0:1]
	s_cbranch_execz .LBB96_667
; %bb.662:
	v_cmp_eq_u32_e32 vcc, 31, v209
	s_and_saveexec_b64 s[16:17], vcc
	s_cbranch_execz .LBB96_666
; %bb.663:
	v_cmp_ne_u32_e32 vcc, 31, v206
	s_xor_b64 s[18:19], s[14:15], -1
	s_and_b64 s[22:23], s[18:19], vcc
	s_and_saveexec_b64 s[18:19], s[22:23]
	s_cbranch_execz .LBB96_665
; %bb.664:
	v_ashrrev_i32_e32 v207, 31, v206
	v_lshl_add_u64 v[212:213], v[206:207], 2, v[204:205]
	global_load_dword v207, v[212:213], off
	global_load_dword v209, v[204:205], off offset:124
	s_waitcnt vmcnt(1)
	global_store_dword v[204:205], v207, off offset:124
	s_waitcnt vmcnt(1)
	global_store_dword v[212:213], v209, off
.LBB96_665:
	s_or_b64 exec, exec, s[18:19]
	v_mov_b32_e32 v209, v206
	v_mov_b32_e32 v211, v206
.LBB96_666:
	s_or_b64 exec, exec, s[16:17]
.LBB96_667:
	s_andn2_saveexec_b64 s[0:1], s[0:1]
	s_cbranch_execz .LBB96_669
; %bb.668:
	v_mov_b32_e32 v209, 31
	s_waitcnt vmcnt(16)
	ds_write2_b64 v208, v[60:61], v[62:63] offset0:64 offset1:65
	s_waitcnt vmcnt(15)
	ds_write2_b64 v208, v[56:57], v[58:59] offset0:66 offset1:67
	s_waitcnt vmcnt(14)
	ds_write2_b64 v208, v[52:53], v[54:55] offset0:68 offset1:69
	s_waitcnt vmcnt(13)
	ds_write2_b64 v208, v[48:49], v[50:51] offset0:70 offset1:71
	s_waitcnt vmcnt(12)
	ds_write2_b64 v208, v[44:45], v[46:47] offset0:72 offset1:73
	s_waitcnt vmcnt(11)
	ds_write2_b64 v208, v[40:41], v[42:43] offset0:74 offset1:75
	s_waitcnt vmcnt(10)
	ds_write2_b64 v208, v[36:37], v[38:39] offset0:76 offset1:77
	s_waitcnt vmcnt(9)
	ds_write2_b64 v208, v[32:33], v[34:35] offset0:78 offset1:79
	s_waitcnt vmcnt(8)
	ds_write2_b64 v208, v[28:29], v[30:31] offset0:80 offset1:81
	s_waitcnt vmcnt(7)
	ds_write2_b64 v208, v[24:25], v[26:27] offset0:82 offset1:83
	s_waitcnt vmcnt(6)
	ds_write2_b64 v208, v[20:21], v[22:23] offset0:84 offset1:85
	s_waitcnt vmcnt(5)
	ds_write2_b64 v208, v[16:17], v[18:19] offset0:86 offset1:87
	s_waitcnt vmcnt(4)
	ds_write2_b64 v208, v[12:13], v[14:15] offset0:88 offset1:89
	s_waitcnt vmcnt(3)
	ds_write2_b64 v208, v[8:9], v[10:11] offset0:90 offset1:91
	s_waitcnt vmcnt(2)
	ds_write2_b64 v208, v[4:5], v[6:7] offset0:92 offset1:93
	s_waitcnt vmcnt(1)
	ds_write2_b64 v208, v[0:1], v[2:3] offset0:94 offset1:95
	s_waitcnt vmcnt(0)
	ds_write2_b64 v208, v[192:193], v[194:195] offset0:96 offset1:97
.LBB96_669:
	s_or_b64 exec, exec, s[0:1]
	v_cmp_lt_i32_e32 vcc, 31, v209
	s_waitcnt lgkmcnt(0)
	s_barrier
	s_and_saveexec_b64 s[0:1], vcc
	s_cbranch_execz .LBB96_671
; %bb.670:
	ds_read2_b64 v[212:215], v208 offset0:64 offset1:65
	v_mul_f64 v[206:207], v[198:199], v[66:67]
	v_mul_f64 v[66:67], v[196:197], v[66:67]
	v_fmac_f64_e32 v[66:67], v[198:199], v[64:65]
	v_fma_f64 v[206:207], v[196:197], v[64:65], -v[206:207]
	ds_read2_b64 v[196:199], v208 offset0:66 offset1:67
	s_waitcnt lgkmcnt(1)
	v_mul_f64 v[64:65], v[214:215], v[66:67]
	v_fma_f64 v[64:65], v[212:213], v[206:207], -v[64:65]
	v_mul_f64 v[212:213], v[212:213], v[66:67]
	v_fmac_f64_e32 v[212:213], v[214:215], v[206:207]
	s_waitcnt vmcnt(16)
	v_add_f64 v[62:63], v[62:63], -v[212:213]
	ds_read2_b64 v[212:215], v208 offset0:68 offset1:69
	v_add_f64 v[60:61], v[60:61], -v[64:65]
	s_waitcnt lgkmcnt(1)
	v_mul_f64 v[64:65], v[198:199], v[66:67]
	v_fma_f64 v[64:65], v[196:197], v[206:207], -v[64:65]
	v_mul_f64 v[196:197], v[196:197], v[66:67]
	v_fmac_f64_e32 v[196:197], v[198:199], v[206:207]
	s_waitcnt vmcnt(15)
	v_add_f64 v[56:57], v[56:57], -v[64:65]
	v_add_f64 v[58:59], v[58:59], -v[196:197]
	ds_read2_b64 v[196:199], v208 offset0:70 offset1:71
	s_waitcnt lgkmcnt(1)
	v_mul_f64 v[64:65], v[214:215], v[66:67]
	v_fma_f64 v[64:65], v[212:213], v[206:207], -v[64:65]
	v_mul_f64 v[212:213], v[212:213], v[66:67]
	v_fmac_f64_e32 v[212:213], v[214:215], v[206:207]
	s_waitcnt vmcnt(14)
	v_add_f64 v[54:55], v[54:55], -v[212:213]
	ds_read2_b64 v[212:215], v208 offset0:72 offset1:73
	v_add_f64 v[52:53], v[52:53], -v[64:65]
	s_waitcnt lgkmcnt(1)
	v_mul_f64 v[64:65], v[198:199], v[66:67]
	v_fma_f64 v[64:65], v[196:197], v[206:207], -v[64:65]
	v_mul_f64 v[196:197], v[196:197], v[66:67]
	v_fmac_f64_e32 v[196:197], v[198:199], v[206:207]
	s_waitcnt vmcnt(13)
	v_add_f64 v[48:49], v[48:49], -v[64:65]
	v_add_f64 v[50:51], v[50:51], -v[196:197]
	;; [unrolled: 18-line block ×8, first 2 shown]
	s_waitcnt lgkmcnt(0)
	v_mul_f64 v[64:65], v[214:215], v[66:67]
	v_mul_f64 v[196:197], v[212:213], v[66:67]
	v_fma_f64 v[64:65], v[212:213], v[206:207], -v[64:65]
	v_fmac_f64_e32 v[196:197], v[214:215], v[206:207]
	s_waitcnt vmcnt(0)
	v_add_f64 v[192:193], v[192:193], -v[64:65]
	v_add_f64 v[194:195], v[194:195], -v[196:197]
	v_mov_b64_e32 v[64:65], v[206:207]
.LBB96_671:
	s_or_b64 exec, exec, s[0:1]
	v_lshl_add_u32 v196, v209, 4, v208
	s_barrier
	s_waitcnt vmcnt(16)
	ds_write2_b64 v196, v[60:61], v[62:63] offset1:1
	s_waitcnt lgkmcnt(0)
	s_barrier
	ds_read2_b64 v[196:199], v208 offset0:64 offset1:65
	s_cmp_lt_i32 s20, 34
	v_mov_b32_e32 v206, 32
	s_cbranch_scc1 .LBB96_674
; %bb.672:
	v_add_u32_e32 v207, 0x210, v208
	s_mov_b32 s16, 33
	v_mov_b32_e32 v206, 32
.LBB96_673:                             ; =>This Inner Loop Header: Depth=1
	ds_read2_b64 v[212:215], v207 offset1:1
	s_waitcnt lgkmcnt(1)
	v_xor_b32_e32 v217, 0x80000000, v197
	v_xor_b32_e32 v219, 0x80000000, v199
	v_cmp_gt_f64_e32 vcc, 0, v[198:199]
	v_cmp_gt_f64_e64 s[0:1], 0, v[196:197]
	v_mov_b32_e32 v216, v196
	v_mov_b32_e32 v218, v198
	v_cndmask_b32_e64 v217, v197, v217, s[0:1]
	v_cndmask_b32_e32 v219, v199, v219, vcc
	v_add_f64 v[216:217], v[216:217], v[218:219]
	s_waitcnt lgkmcnt(0)
	v_xor_b32_e32 v219, 0x80000000, v213
	v_xor_b32_e32 v221, 0x80000000, v215
	v_cmp_gt_f64_e32 vcc, 0, v[214:215]
	v_cmp_gt_f64_e64 s[0:1], 0, v[212:213]
	v_mov_b32_e32 v218, v212
	v_mov_b32_e32 v220, v214
	v_cndmask_b32_e64 v219, v213, v219, s[0:1]
	v_cndmask_b32_e32 v221, v215, v221, vcc
	v_add_f64 v[218:219], v[218:219], v[220:221]
	v_mov_b32_e32 v222, s16
	s_add_i32 s16, s16, 1
	v_cmp_lt_f64_e32 vcc, v[216:217], v[218:219]
	v_add_u32_e32 v207, 16, v207
	s_cmp_lg_u32 s20, s16
	v_cndmask_b32_e32 v197, v197, v213, vcc
	v_cndmask_b32_e32 v196, v196, v212, vcc
	v_cndmask_b32_e32 v199, v199, v215, vcc
	v_cndmask_b32_e32 v198, v198, v214, vcc
	v_cndmask_b32_e32 v206, v206, v222, vcc
	s_cbranch_scc1 .LBB96_673
.LBB96_674:
	s_waitcnt lgkmcnt(0)
	v_cmp_eq_f64_e32 vcc, 0, v[196:197]
	v_cmp_eq_f64_e64 s[0:1], 0, v[198:199]
	s_and_b64 s[0:1], vcc, s[0:1]
	s_and_saveexec_b64 s[16:17], s[0:1]
	s_xor_b64 s[0:1], exec, s[16:17]
; %bb.675:
	v_cmp_ne_u32_e32 vcc, 0, v210
	s_nop 1
	v_cndmask_b32_e32 v210, 33, v210, vcc
; %bb.676:
	s_andn2_saveexec_b64 s[0:1], s[0:1]
	s_cbranch_execz .LBB96_682
; %bb.677:
	v_cmp_ngt_f64_e64 s[16:17], |v[196:197]|, |v[198:199]|
	s_and_saveexec_b64 s[18:19], s[16:17]
	s_xor_b64 s[16:17], exec, s[18:19]
	s_cbranch_execz .LBB96_679
; %bb.678:
	v_div_scale_f64 v[212:213], s[18:19], v[198:199], v[198:199], v[196:197]
	v_rcp_f64_e32 v[214:215], v[212:213]
	v_div_scale_f64 v[216:217], vcc, v[196:197], v[198:199], v[196:197]
	v_fma_f64 v[218:219], -v[212:213], v[214:215], 1.0
	v_fmac_f64_e32 v[214:215], v[214:215], v[218:219]
	v_fma_f64 v[218:219], -v[212:213], v[214:215], 1.0
	v_fmac_f64_e32 v[214:215], v[214:215], v[218:219]
	v_mul_f64 v[218:219], v[216:217], v[214:215]
	v_fma_f64 v[212:213], -v[212:213], v[218:219], v[216:217]
	v_div_fmas_f64 v[212:213], v[212:213], v[214:215], v[218:219]
	v_div_fixup_f64 v[212:213], v[212:213], v[198:199], v[196:197]
	v_fmac_f64_e32 v[198:199], v[196:197], v[212:213]
	v_div_scale_f64 v[196:197], s[18:19], v[198:199], v[198:199], 1.0
	v_rcp_f64_e32 v[214:215], v[196:197]
	s_nop 0
	v_fma_f64 v[216:217], -v[196:197], v[214:215], 1.0
	v_fmac_f64_e32 v[214:215], v[214:215], v[216:217]
	v_fma_f64 v[216:217], -v[196:197], v[214:215], 1.0
	v_fmac_f64_e32 v[214:215], v[214:215], v[216:217]
	v_div_scale_f64 v[216:217], vcc, 1.0, v[198:199], 1.0
	v_mul_f64 v[218:219], v[216:217], v[214:215]
	v_fma_f64 v[196:197], -v[196:197], v[218:219], v[216:217]
	s_nop 1
	v_div_fmas_f64 v[196:197], v[196:197], v[214:215], v[218:219]
	v_div_fixup_f64 v[198:199], v[196:197], v[198:199], 1.0
	v_mul_f64 v[196:197], v[212:213], v[198:199]
	v_xor_b32_e32 v199, 0x80000000, v199
.LBB96_679:
	s_andn2_saveexec_b64 s[16:17], s[16:17]
	s_cbranch_execz .LBB96_681
; %bb.680:
	v_div_scale_f64 v[212:213], s[18:19], v[196:197], v[196:197], v[198:199]
	v_rcp_f64_e32 v[214:215], v[212:213]
	v_div_scale_f64 v[216:217], vcc, v[198:199], v[196:197], v[198:199]
	v_fma_f64 v[218:219], -v[212:213], v[214:215], 1.0
	v_fmac_f64_e32 v[214:215], v[214:215], v[218:219]
	v_fma_f64 v[218:219], -v[212:213], v[214:215], 1.0
	v_fmac_f64_e32 v[214:215], v[214:215], v[218:219]
	v_mul_f64 v[218:219], v[216:217], v[214:215]
	v_fma_f64 v[212:213], -v[212:213], v[218:219], v[216:217]
	v_div_fmas_f64 v[212:213], v[212:213], v[214:215], v[218:219]
	v_div_fixup_f64 v[212:213], v[212:213], v[196:197], v[198:199]
	v_fmac_f64_e32 v[196:197], v[198:199], v[212:213]
	v_div_scale_f64 v[198:199], s[18:19], v[196:197], v[196:197], 1.0
	v_rcp_f64_e32 v[214:215], v[198:199]
	s_nop 0
	v_fma_f64 v[216:217], -v[198:199], v[214:215], 1.0
	v_fmac_f64_e32 v[214:215], v[214:215], v[216:217]
	v_fma_f64 v[216:217], -v[198:199], v[214:215], 1.0
	v_fmac_f64_e32 v[214:215], v[214:215], v[216:217]
	v_div_scale_f64 v[216:217], vcc, 1.0, v[196:197], 1.0
	v_mul_f64 v[218:219], v[216:217], v[214:215]
	v_fma_f64 v[198:199], -v[198:199], v[218:219], v[216:217]
	s_nop 1
	v_div_fmas_f64 v[198:199], v[198:199], v[214:215], v[218:219]
	v_div_fixup_f64 v[196:197], v[198:199], v[196:197], 1.0
	v_mul_f64 v[198:199], v[212:213], -v[196:197]
.LBB96_681:
	s_or_b64 exec, exec, s[16:17]
.LBB96_682:
	s_or_b64 exec, exec, s[0:1]
	v_cmp_ne_u32_e32 vcc, v209, v206
	s_and_saveexec_b64 s[0:1], vcc
	s_xor_b64 s[0:1], exec, s[0:1]
	s_cbranch_execz .LBB96_688
; %bb.683:
	v_cmp_eq_u32_e32 vcc, 32, v209
	s_and_saveexec_b64 s[16:17], vcc
	s_cbranch_execz .LBB96_687
; %bb.684:
	v_cmp_ne_u32_e32 vcc, 32, v206
	s_xor_b64 s[18:19], s[14:15], -1
	s_and_b64 s[22:23], s[18:19], vcc
	s_and_saveexec_b64 s[18:19], s[22:23]
	s_cbranch_execz .LBB96_686
; %bb.685:
	v_ashrrev_i32_e32 v207, 31, v206
	v_lshl_add_u64 v[212:213], v[206:207], 2, v[204:205]
	global_load_dword v207, v[212:213], off
	global_load_dword v209, v[204:205], off offset:128
	s_waitcnt vmcnt(1)
	global_store_dword v[204:205], v207, off offset:128
	s_waitcnt vmcnt(1)
	global_store_dword v[212:213], v209, off
.LBB96_686:
	s_or_b64 exec, exec, s[18:19]
	v_mov_b32_e32 v209, v206
	v_mov_b32_e32 v211, v206
.LBB96_687:
	s_or_b64 exec, exec, s[16:17]
.LBB96_688:
	s_andn2_saveexec_b64 s[0:1], s[0:1]
	s_cbranch_execz .LBB96_690
; %bb.689:
	v_mov_b32_e32 v209, 32
	s_waitcnt vmcnt(15)
	ds_write2_b64 v208, v[56:57], v[58:59] offset0:66 offset1:67
	s_waitcnt vmcnt(14)
	ds_write2_b64 v208, v[52:53], v[54:55] offset0:68 offset1:69
	;; [unrolled: 2-line block ×16, first 2 shown]
.LBB96_690:
	s_or_b64 exec, exec, s[0:1]
	v_cmp_lt_i32_e32 vcc, 32, v209
	s_waitcnt lgkmcnt(0)
	s_barrier
	s_and_saveexec_b64 s[0:1], vcc
	s_cbranch_execz .LBB96_692
; %bb.691:
	ds_read2_b64 v[212:215], v208 offset0:66 offset1:67
	v_mul_f64 v[206:207], v[196:197], v[62:63]
	v_mul_f64 v[62:63], v[198:199], v[62:63]
	v_fmac_f64_e32 v[206:207], v[198:199], v[60:61]
	v_fma_f64 v[60:61], v[196:197], v[60:61], -v[62:63]
	ds_read2_b64 v[196:199], v208 offset0:68 offset1:69
	s_waitcnt lgkmcnt(1)
	v_mul_f64 v[62:63], v[214:215], v[206:207]
	v_fma_f64 v[62:63], v[212:213], v[60:61], -v[62:63]
	v_mul_f64 v[212:213], v[212:213], v[206:207]
	v_fmac_f64_e32 v[212:213], v[214:215], v[60:61]
	s_waitcnt vmcnt(15)
	v_add_f64 v[56:57], v[56:57], -v[62:63]
	s_waitcnt lgkmcnt(0)
	v_mul_f64 v[62:63], v[198:199], v[206:207]
	v_add_f64 v[58:59], v[58:59], -v[212:213]
	v_fma_f64 v[62:63], v[196:197], v[60:61], -v[62:63]
	v_mul_f64 v[196:197], v[196:197], v[206:207]
	ds_read2_b64 v[212:215], v208 offset0:70 offset1:71
	v_fmac_f64_e32 v[196:197], v[198:199], v[60:61]
	s_waitcnt vmcnt(14)
	v_add_f64 v[54:55], v[54:55], -v[196:197]
	ds_read2_b64 v[196:199], v208 offset0:72 offset1:73
	v_add_f64 v[52:53], v[52:53], -v[62:63]
	s_waitcnt lgkmcnt(1)
	v_mul_f64 v[62:63], v[214:215], v[206:207]
	v_fma_f64 v[62:63], v[212:213], v[60:61], -v[62:63]
	v_mul_f64 v[212:213], v[212:213], v[206:207]
	v_fmac_f64_e32 v[212:213], v[214:215], v[60:61]
	s_waitcnt vmcnt(13)
	v_add_f64 v[48:49], v[48:49], -v[62:63]
	s_waitcnt lgkmcnt(0)
	v_mul_f64 v[62:63], v[198:199], v[206:207]
	v_add_f64 v[50:51], v[50:51], -v[212:213]
	v_fma_f64 v[62:63], v[196:197], v[60:61], -v[62:63]
	v_mul_f64 v[196:197], v[196:197], v[206:207]
	ds_read2_b64 v[212:215], v208 offset0:74 offset1:75
	v_fmac_f64_e32 v[196:197], v[198:199], v[60:61]
	s_waitcnt vmcnt(12)
	v_add_f64 v[46:47], v[46:47], -v[196:197]
	ds_read2_b64 v[196:199], v208 offset0:76 offset1:77
	v_add_f64 v[44:45], v[44:45], -v[62:63]
	;; [unrolled: 18-line block ×7, first 2 shown]
	s_waitcnt lgkmcnt(1)
	v_mul_f64 v[62:63], v[214:215], v[206:207]
	v_fma_f64 v[62:63], v[212:213], v[60:61], -v[62:63]
	s_waitcnt vmcnt(1)
	v_add_f64 v[0:1], v[0:1], -v[62:63]
	s_waitcnt lgkmcnt(0)
	v_mul_f64 v[62:63], v[198:199], v[206:207]
	v_mul_f64 v[212:213], v[212:213], v[206:207]
	v_fma_f64 v[62:63], v[196:197], v[60:61], -v[62:63]
	v_mul_f64 v[196:197], v[196:197], v[206:207]
	v_fmac_f64_e32 v[212:213], v[214:215], v[60:61]
	v_fmac_f64_e32 v[196:197], v[198:199], v[60:61]
	v_add_f64 v[2:3], v[2:3], -v[212:213]
	s_waitcnt vmcnt(0)
	v_add_f64 v[192:193], v[192:193], -v[62:63]
	v_add_f64 v[194:195], v[194:195], -v[196:197]
	v_mov_b64_e32 v[62:63], v[206:207]
.LBB96_692:
	s_or_b64 exec, exec, s[0:1]
	v_lshl_add_u32 v196, v209, 4, v208
	s_barrier
	s_waitcnt vmcnt(15)
	ds_write2_b64 v196, v[56:57], v[58:59] offset1:1
	s_waitcnt lgkmcnt(0)
	s_barrier
	ds_read2_b64 v[196:199], v208 offset0:66 offset1:67
	s_cmp_lt_i32 s20, 35
	v_mov_b32_e32 v206, 33
	s_cbranch_scc1 .LBB96_695
; %bb.693:
	v_add_u32_e32 v207, 0x220, v208
	s_mov_b32 s16, 34
	v_mov_b32_e32 v206, 33
.LBB96_694:                             ; =>This Inner Loop Header: Depth=1
	ds_read2_b64 v[212:215], v207 offset1:1
	s_waitcnt lgkmcnt(1)
	v_xor_b32_e32 v217, 0x80000000, v197
	v_xor_b32_e32 v219, 0x80000000, v199
	v_cmp_gt_f64_e32 vcc, 0, v[198:199]
	v_cmp_gt_f64_e64 s[0:1], 0, v[196:197]
	v_mov_b32_e32 v216, v196
	v_mov_b32_e32 v218, v198
	v_cndmask_b32_e64 v217, v197, v217, s[0:1]
	v_cndmask_b32_e32 v219, v199, v219, vcc
	v_add_f64 v[216:217], v[216:217], v[218:219]
	s_waitcnt lgkmcnt(0)
	v_xor_b32_e32 v219, 0x80000000, v213
	v_xor_b32_e32 v221, 0x80000000, v215
	v_cmp_gt_f64_e32 vcc, 0, v[214:215]
	v_cmp_gt_f64_e64 s[0:1], 0, v[212:213]
	v_mov_b32_e32 v218, v212
	v_mov_b32_e32 v220, v214
	v_cndmask_b32_e64 v219, v213, v219, s[0:1]
	v_cndmask_b32_e32 v221, v215, v221, vcc
	v_add_f64 v[218:219], v[218:219], v[220:221]
	v_mov_b32_e32 v222, s16
	s_add_i32 s16, s16, 1
	v_cmp_lt_f64_e32 vcc, v[216:217], v[218:219]
	v_add_u32_e32 v207, 16, v207
	s_cmp_lg_u32 s20, s16
	v_cndmask_b32_e32 v197, v197, v213, vcc
	v_cndmask_b32_e32 v196, v196, v212, vcc
	;; [unrolled: 1-line block ×5, first 2 shown]
	s_cbranch_scc1 .LBB96_694
.LBB96_695:
	s_waitcnt lgkmcnt(0)
	v_cmp_eq_f64_e32 vcc, 0, v[196:197]
	v_cmp_eq_f64_e64 s[0:1], 0, v[198:199]
	s_and_b64 s[0:1], vcc, s[0:1]
	s_and_saveexec_b64 s[16:17], s[0:1]
	s_xor_b64 s[0:1], exec, s[16:17]
; %bb.696:
	v_cmp_ne_u32_e32 vcc, 0, v210
	s_nop 1
	v_cndmask_b32_e32 v210, 34, v210, vcc
; %bb.697:
	s_andn2_saveexec_b64 s[0:1], s[0:1]
	s_cbranch_execz .LBB96_703
; %bb.698:
	v_cmp_ngt_f64_e64 s[16:17], |v[196:197]|, |v[198:199]|
	s_and_saveexec_b64 s[18:19], s[16:17]
	s_xor_b64 s[16:17], exec, s[18:19]
	s_cbranch_execz .LBB96_700
; %bb.699:
	v_div_scale_f64 v[212:213], s[18:19], v[198:199], v[198:199], v[196:197]
	v_rcp_f64_e32 v[214:215], v[212:213]
	v_div_scale_f64 v[216:217], vcc, v[196:197], v[198:199], v[196:197]
	v_fma_f64 v[218:219], -v[212:213], v[214:215], 1.0
	v_fmac_f64_e32 v[214:215], v[214:215], v[218:219]
	v_fma_f64 v[218:219], -v[212:213], v[214:215], 1.0
	v_fmac_f64_e32 v[214:215], v[214:215], v[218:219]
	v_mul_f64 v[218:219], v[216:217], v[214:215]
	v_fma_f64 v[212:213], -v[212:213], v[218:219], v[216:217]
	v_div_fmas_f64 v[212:213], v[212:213], v[214:215], v[218:219]
	v_div_fixup_f64 v[212:213], v[212:213], v[198:199], v[196:197]
	v_fmac_f64_e32 v[198:199], v[196:197], v[212:213]
	v_div_scale_f64 v[196:197], s[18:19], v[198:199], v[198:199], 1.0
	v_rcp_f64_e32 v[214:215], v[196:197]
	s_nop 0
	v_fma_f64 v[216:217], -v[196:197], v[214:215], 1.0
	v_fmac_f64_e32 v[214:215], v[214:215], v[216:217]
	v_fma_f64 v[216:217], -v[196:197], v[214:215], 1.0
	v_fmac_f64_e32 v[214:215], v[214:215], v[216:217]
	v_div_scale_f64 v[216:217], vcc, 1.0, v[198:199], 1.0
	v_mul_f64 v[218:219], v[216:217], v[214:215]
	v_fma_f64 v[196:197], -v[196:197], v[218:219], v[216:217]
	s_nop 1
	v_div_fmas_f64 v[196:197], v[196:197], v[214:215], v[218:219]
	v_div_fixup_f64 v[198:199], v[196:197], v[198:199], 1.0
	v_mul_f64 v[196:197], v[212:213], v[198:199]
	v_xor_b32_e32 v199, 0x80000000, v199
.LBB96_700:
	s_andn2_saveexec_b64 s[16:17], s[16:17]
	s_cbranch_execz .LBB96_702
; %bb.701:
	v_div_scale_f64 v[212:213], s[18:19], v[196:197], v[196:197], v[198:199]
	v_rcp_f64_e32 v[214:215], v[212:213]
	v_div_scale_f64 v[216:217], vcc, v[198:199], v[196:197], v[198:199]
	v_fma_f64 v[218:219], -v[212:213], v[214:215], 1.0
	v_fmac_f64_e32 v[214:215], v[214:215], v[218:219]
	v_fma_f64 v[218:219], -v[212:213], v[214:215], 1.0
	v_fmac_f64_e32 v[214:215], v[214:215], v[218:219]
	v_mul_f64 v[218:219], v[216:217], v[214:215]
	v_fma_f64 v[212:213], -v[212:213], v[218:219], v[216:217]
	v_div_fmas_f64 v[212:213], v[212:213], v[214:215], v[218:219]
	v_div_fixup_f64 v[212:213], v[212:213], v[196:197], v[198:199]
	v_fmac_f64_e32 v[196:197], v[198:199], v[212:213]
	v_div_scale_f64 v[198:199], s[18:19], v[196:197], v[196:197], 1.0
	v_rcp_f64_e32 v[214:215], v[198:199]
	s_nop 0
	v_fma_f64 v[216:217], -v[198:199], v[214:215], 1.0
	v_fmac_f64_e32 v[214:215], v[214:215], v[216:217]
	v_fma_f64 v[216:217], -v[198:199], v[214:215], 1.0
	v_fmac_f64_e32 v[214:215], v[214:215], v[216:217]
	v_div_scale_f64 v[216:217], vcc, 1.0, v[196:197], 1.0
	v_mul_f64 v[218:219], v[216:217], v[214:215]
	v_fma_f64 v[198:199], -v[198:199], v[218:219], v[216:217]
	s_nop 1
	v_div_fmas_f64 v[198:199], v[198:199], v[214:215], v[218:219]
	v_div_fixup_f64 v[196:197], v[198:199], v[196:197], 1.0
	v_mul_f64 v[198:199], v[212:213], -v[196:197]
.LBB96_702:
	s_or_b64 exec, exec, s[16:17]
.LBB96_703:
	s_or_b64 exec, exec, s[0:1]
	v_cmp_ne_u32_e32 vcc, v209, v206
	s_and_saveexec_b64 s[0:1], vcc
	s_xor_b64 s[0:1], exec, s[0:1]
	s_cbranch_execz .LBB96_709
; %bb.704:
	v_cmp_eq_u32_e32 vcc, 33, v209
	s_and_saveexec_b64 s[16:17], vcc
	s_cbranch_execz .LBB96_708
; %bb.705:
	v_cmp_ne_u32_e32 vcc, 33, v206
	s_xor_b64 s[18:19], s[14:15], -1
	s_and_b64 s[22:23], s[18:19], vcc
	s_and_saveexec_b64 s[18:19], s[22:23]
	s_cbranch_execz .LBB96_707
; %bb.706:
	v_ashrrev_i32_e32 v207, 31, v206
	v_lshl_add_u64 v[212:213], v[206:207], 2, v[204:205]
	global_load_dword v207, v[212:213], off
	global_load_dword v209, v[204:205], off offset:132
	s_waitcnt vmcnt(1)
	global_store_dword v[204:205], v207, off offset:132
	s_waitcnt vmcnt(1)
	global_store_dword v[212:213], v209, off
.LBB96_707:
	s_or_b64 exec, exec, s[18:19]
	v_mov_b32_e32 v209, v206
	v_mov_b32_e32 v211, v206
.LBB96_708:
	s_or_b64 exec, exec, s[16:17]
.LBB96_709:
	s_andn2_saveexec_b64 s[0:1], s[0:1]
	s_cbranch_execz .LBB96_711
; %bb.710:
	v_mov_b32_e32 v209, 33
	s_waitcnt vmcnt(14)
	ds_write2_b64 v208, v[52:53], v[54:55] offset0:68 offset1:69
	s_waitcnt vmcnt(13)
	ds_write2_b64 v208, v[48:49], v[50:51] offset0:70 offset1:71
	;; [unrolled: 2-line block ×15, first 2 shown]
.LBB96_711:
	s_or_b64 exec, exec, s[0:1]
	v_cmp_lt_i32_e32 vcc, 33, v209
	s_waitcnt lgkmcnt(0)
	s_barrier
	s_and_saveexec_b64 s[0:1], vcc
	s_cbranch_execz .LBB96_713
; %bb.712:
	ds_read2_b64 v[212:215], v208 offset0:68 offset1:69
	v_mul_f64 v[206:207], v[196:197], v[58:59]
	v_fmac_f64_e32 v[206:207], v[198:199], v[56:57]
	v_mul_f64 v[58:59], v[198:199], v[58:59]
	v_fma_f64 v[56:57], v[196:197], v[56:57], -v[58:59]
	ds_read2_b64 v[196:199], v208 offset0:70 offset1:71
	s_waitcnt lgkmcnt(1)
	v_mul_f64 v[58:59], v[214:215], v[206:207]
	v_fma_f64 v[58:59], v[212:213], v[56:57], -v[58:59]
	v_mul_f64 v[212:213], v[212:213], v[206:207]
	v_fmac_f64_e32 v[212:213], v[214:215], v[56:57]
	s_waitcnt vmcnt(14)
	v_add_f64 v[54:55], v[54:55], -v[212:213]
	ds_read2_b64 v[212:215], v208 offset0:72 offset1:73
	v_add_f64 v[52:53], v[52:53], -v[58:59]
	s_waitcnt lgkmcnt(1)
	v_mul_f64 v[58:59], v[198:199], v[206:207]
	v_fma_f64 v[58:59], v[196:197], v[56:57], -v[58:59]
	v_mul_f64 v[196:197], v[196:197], v[206:207]
	v_fmac_f64_e32 v[196:197], v[198:199], v[56:57]
	s_waitcnt vmcnt(13)
	v_add_f64 v[48:49], v[48:49], -v[58:59]
	v_add_f64 v[50:51], v[50:51], -v[196:197]
	ds_read2_b64 v[196:199], v208 offset0:74 offset1:75
	s_waitcnt lgkmcnt(1)
	v_mul_f64 v[58:59], v[214:215], v[206:207]
	v_fma_f64 v[58:59], v[212:213], v[56:57], -v[58:59]
	v_mul_f64 v[212:213], v[212:213], v[206:207]
	v_fmac_f64_e32 v[212:213], v[214:215], v[56:57]
	s_waitcnt vmcnt(12)
	v_add_f64 v[46:47], v[46:47], -v[212:213]
	ds_read2_b64 v[212:215], v208 offset0:76 offset1:77
	v_add_f64 v[44:45], v[44:45], -v[58:59]
	s_waitcnt lgkmcnt(1)
	v_mul_f64 v[58:59], v[198:199], v[206:207]
	v_fma_f64 v[58:59], v[196:197], v[56:57], -v[58:59]
	v_mul_f64 v[196:197], v[196:197], v[206:207]
	v_fmac_f64_e32 v[196:197], v[198:199], v[56:57]
	s_waitcnt vmcnt(11)
	v_add_f64 v[40:41], v[40:41], -v[58:59]
	v_add_f64 v[42:43], v[42:43], -v[196:197]
	;; [unrolled: 18-line block ×7, first 2 shown]
	s_waitcnt lgkmcnt(0)
	v_mul_f64 v[58:59], v[214:215], v[206:207]
	v_mul_f64 v[196:197], v[212:213], v[206:207]
	v_fma_f64 v[58:59], v[212:213], v[56:57], -v[58:59]
	v_fmac_f64_e32 v[196:197], v[214:215], v[56:57]
	s_waitcnt vmcnt(0)
	v_add_f64 v[192:193], v[192:193], -v[58:59]
	v_add_f64 v[194:195], v[194:195], -v[196:197]
	v_mov_b64_e32 v[58:59], v[206:207]
.LBB96_713:
	s_or_b64 exec, exec, s[0:1]
	v_lshl_add_u32 v196, v209, 4, v208
	s_barrier
	s_waitcnt vmcnt(14)
	ds_write2_b64 v196, v[52:53], v[54:55] offset1:1
	s_waitcnt lgkmcnt(0)
	s_barrier
	ds_read2_b64 v[196:199], v208 offset0:68 offset1:69
	s_cmp_lt_i32 s20, 36
	v_mov_b32_e32 v206, 34
	s_cbranch_scc1 .LBB96_716
; %bb.714:
	v_add_u32_e32 v207, 0x230, v208
	s_mov_b32 s16, 35
	v_mov_b32_e32 v206, 34
.LBB96_715:                             ; =>This Inner Loop Header: Depth=1
	ds_read2_b64 v[212:215], v207 offset1:1
	s_waitcnt lgkmcnt(1)
	v_xor_b32_e32 v217, 0x80000000, v197
	v_xor_b32_e32 v219, 0x80000000, v199
	v_cmp_gt_f64_e32 vcc, 0, v[198:199]
	v_cmp_gt_f64_e64 s[0:1], 0, v[196:197]
	v_mov_b32_e32 v216, v196
	v_mov_b32_e32 v218, v198
	v_cndmask_b32_e64 v217, v197, v217, s[0:1]
	v_cndmask_b32_e32 v219, v199, v219, vcc
	v_add_f64 v[216:217], v[216:217], v[218:219]
	s_waitcnt lgkmcnt(0)
	v_xor_b32_e32 v219, 0x80000000, v213
	v_xor_b32_e32 v221, 0x80000000, v215
	v_cmp_gt_f64_e32 vcc, 0, v[214:215]
	v_cmp_gt_f64_e64 s[0:1], 0, v[212:213]
	v_mov_b32_e32 v218, v212
	v_mov_b32_e32 v220, v214
	v_cndmask_b32_e64 v219, v213, v219, s[0:1]
	v_cndmask_b32_e32 v221, v215, v221, vcc
	v_add_f64 v[218:219], v[218:219], v[220:221]
	v_mov_b32_e32 v222, s16
	s_add_i32 s16, s16, 1
	v_cmp_lt_f64_e32 vcc, v[216:217], v[218:219]
	v_add_u32_e32 v207, 16, v207
	s_cmp_lg_u32 s20, s16
	v_cndmask_b32_e32 v197, v197, v213, vcc
	v_cndmask_b32_e32 v196, v196, v212, vcc
	;; [unrolled: 1-line block ×5, first 2 shown]
	s_cbranch_scc1 .LBB96_715
.LBB96_716:
	s_waitcnt lgkmcnt(0)
	v_cmp_eq_f64_e32 vcc, 0, v[196:197]
	v_cmp_eq_f64_e64 s[0:1], 0, v[198:199]
	s_and_b64 s[0:1], vcc, s[0:1]
	s_and_saveexec_b64 s[16:17], s[0:1]
	s_xor_b64 s[0:1], exec, s[16:17]
; %bb.717:
	v_cmp_ne_u32_e32 vcc, 0, v210
	s_nop 1
	v_cndmask_b32_e32 v210, 35, v210, vcc
; %bb.718:
	s_andn2_saveexec_b64 s[0:1], s[0:1]
	s_cbranch_execz .LBB96_724
; %bb.719:
	v_cmp_ngt_f64_e64 s[16:17], |v[196:197]|, |v[198:199]|
	s_and_saveexec_b64 s[18:19], s[16:17]
	s_xor_b64 s[16:17], exec, s[18:19]
	s_cbranch_execz .LBB96_721
; %bb.720:
	v_div_scale_f64 v[212:213], s[18:19], v[198:199], v[198:199], v[196:197]
	v_rcp_f64_e32 v[214:215], v[212:213]
	v_div_scale_f64 v[216:217], vcc, v[196:197], v[198:199], v[196:197]
	v_fma_f64 v[218:219], -v[212:213], v[214:215], 1.0
	v_fmac_f64_e32 v[214:215], v[214:215], v[218:219]
	v_fma_f64 v[218:219], -v[212:213], v[214:215], 1.0
	v_fmac_f64_e32 v[214:215], v[214:215], v[218:219]
	v_mul_f64 v[218:219], v[216:217], v[214:215]
	v_fma_f64 v[212:213], -v[212:213], v[218:219], v[216:217]
	v_div_fmas_f64 v[212:213], v[212:213], v[214:215], v[218:219]
	v_div_fixup_f64 v[212:213], v[212:213], v[198:199], v[196:197]
	v_fmac_f64_e32 v[198:199], v[196:197], v[212:213]
	v_div_scale_f64 v[196:197], s[18:19], v[198:199], v[198:199], 1.0
	v_rcp_f64_e32 v[214:215], v[196:197]
	s_nop 0
	v_fma_f64 v[216:217], -v[196:197], v[214:215], 1.0
	v_fmac_f64_e32 v[214:215], v[214:215], v[216:217]
	v_fma_f64 v[216:217], -v[196:197], v[214:215], 1.0
	v_fmac_f64_e32 v[214:215], v[214:215], v[216:217]
	v_div_scale_f64 v[216:217], vcc, 1.0, v[198:199], 1.0
	v_mul_f64 v[218:219], v[216:217], v[214:215]
	v_fma_f64 v[196:197], -v[196:197], v[218:219], v[216:217]
	s_nop 1
	v_div_fmas_f64 v[196:197], v[196:197], v[214:215], v[218:219]
	v_div_fixup_f64 v[198:199], v[196:197], v[198:199], 1.0
	v_mul_f64 v[196:197], v[212:213], v[198:199]
	v_xor_b32_e32 v199, 0x80000000, v199
.LBB96_721:
	s_andn2_saveexec_b64 s[16:17], s[16:17]
	s_cbranch_execz .LBB96_723
; %bb.722:
	v_div_scale_f64 v[212:213], s[18:19], v[196:197], v[196:197], v[198:199]
	v_rcp_f64_e32 v[214:215], v[212:213]
	v_div_scale_f64 v[216:217], vcc, v[198:199], v[196:197], v[198:199]
	v_fma_f64 v[218:219], -v[212:213], v[214:215], 1.0
	v_fmac_f64_e32 v[214:215], v[214:215], v[218:219]
	v_fma_f64 v[218:219], -v[212:213], v[214:215], 1.0
	v_fmac_f64_e32 v[214:215], v[214:215], v[218:219]
	v_mul_f64 v[218:219], v[216:217], v[214:215]
	v_fma_f64 v[212:213], -v[212:213], v[218:219], v[216:217]
	v_div_fmas_f64 v[212:213], v[212:213], v[214:215], v[218:219]
	v_div_fixup_f64 v[212:213], v[212:213], v[196:197], v[198:199]
	v_fmac_f64_e32 v[196:197], v[198:199], v[212:213]
	v_div_scale_f64 v[198:199], s[18:19], v[196:197], v[196:197], 1.0
	v_rcp_f64_e32 v[214:215], v[198:199]
	s_nop 0
	v_fma_f64 v[216:217], -v[198:199], v[214:215], 1.0
	v_fmac_f64_e32 v[214:215], v[214:215], v[216:217]
	v_fma_f64 v[216:217], -v[198:199], v[214:215], 1.0
	v_fmac_f64_e32 v[214:215], v[214:215], v[216:217]
	v_div_scale_f64 v[216:217], vcc, 1.0, v[196:197], 1.0
	v_mul_f64 v[218:219], v[216:217], v[214:215]
	v_fma_f64 v[198:199], -v[198:199], v[218:219], v[216:217]
	s_nop 1
	v_div_fmas_f64 v[198:199], v[198:199], v[214:215], v[218:219]
	v_div_fixup_f64 v[196:197], v[198:199], v[196:197], 1.0
	v_mul_f64 v[198:199], v[212:213], -v[196:197]
.LBB96_723:
	s_or_b64 exec, exec, s[16:17]
.LBB96_724:
	s_or_b64 exec, exec, s[0:1]
	v_cmp_ne_u32_e32 vcc, v209, v206
	s_and_saveexec_b64 s[0:1], vcc
	s_xor_b64 s[0:1], exec, s[0:1]
	s_cbranch_execz .LBB96_730
; %bb.725:
	v_cmp_eq_u32_e32 vcc, 34, v209
	s_and_saveexec_b64 s[16:17], vcc
	s_cbranch_execz .LBB96_729
; %bb.726:
	v_cmp_ne_u32_e32 vcc, 34, v206
	s_xor_b64 s[18:19], s[14:15], -1
	s_and_b64 s[22:23], s[18:19], vcc
	s_and_saveexec_b64 s[18:19], s[22:23]
	s_cbranch_execz .LBB96_728
; %bb.727:
	v_ashrrev_i32_e32 v207, 31, v206
	v_lshl_add_u64 v[212:213], v[206:207], 2, v[204:205]
	global_load_dword v207, v[212:213], off
	global_load_dword v209, v[204:205], off offset:136
	s_waitcnt vmcnt(1)
	global_store_dword v[204:205], v207, off offset:136
	s_waitcnt vmcnt(1)
	global_store_dword v[212:213], v209, off
.LBB96_728:
	s_or_b64 exec, exec, s[18:19]
	v_mov_b32_e32 v209, v206
	v_mov_b32_e32 v211, v206
.LBB96_729:
	s_or_b64 exec, exec, s[16:17]
.LBB96_730:
	s_andn2_saveexec_b64 s[0:1], s[0:1]
	s_cbranch_execz .LBB96_732
; %bb.731:
	v_mov_b32_e32 v209, 34
	s_waitcnt vmcnt(13)
	ds_write2_b64 v208, v[48:49], v[50:51] offset0:70 offset1:71
	s_waitcnt vmcnt(12)
	ds_write2_b64 v208, v[44:45], v[46:47] offset0:72 offset1:73
	;; [unrolled: 2-line block ×14, first 2 shown]
.LBB96_732:
	s_or_b64 exec, exec, s[0:1]
	v_cmp_lt_i32_e32 vcc, 34, v209
	s_waitcnt lgkmcnt(0)
	s_barrier
	s_and_saveexec_b64 s[0:1], vcc
	s_cbranch_execz .LBB96_734
; %bb.733:
	ds_read2_b64 v[212:215], v208 offset0:70 offset1:71
	v_mul_f64 v[206:207], v[196:197], v[54:55]
	v_mul_f64 v[54:55], v[198:199], v[54:55]
	v_fmac_f64_e32 v[206:207], v[198:199], v[52:53]
	v_fma_f64 v[52:53], v[196:197], v[52:53], -v[54:55]
	ds_read2_b64 v[196:199], v208 offset0:72 offset1:73
	s_waitcnt lgkmcnt(1)
	v_mul_f64 v[54:55], v[214:215], v[206:207]
	v_fma_f64 v[54:55], v[212:213], v[52:53], -v[54:55]
	v_mul_f64 v[212:213], v[212:213], v[206:207]
	v_fmac_f64_e32 v[212:213], v[214:215], v[52:53]
	s_waitcnt vmcnt(13)
	v_add_f64 v[48:49], v[48:49], -v[54:55]
	s_waitcnt lgkmcnt(0)
	v_mul_f64 v[54:55], v[198:199], v[206:207]
	v_add_f64 v[50:51], v[50:51], -v[212:213]
	v_fma_f64 v[54:55], v[196:197], v[52:53], -v[54:55]
	v_mul_f64 v[196:197], v[196:197], v[206:207]
	ds_read2_b64 v[212:215], v208 offset0:74 offset1:75
	v_fmac_f64_e32 v[196:197], v[198:199], v[52:53]
	s_waitcnt vmcnt(12)
	v_add_f64 v[46:47], v[46:47], -v[196:197]
	ds_read2_b64 v[196:199], v208 offset0:76 offset1:77
	v_add_f64 v[44:45], v[44:45], -v[54:55]
	s_waitcnt lgkmcnt(1)
	v_mul_f64 v[54:55], v[214:215], v[206:207]
	v_fma_f64 v[54:55], v[212:213], v[52:53], -v[54:55]
	v_mul_f64 v[212:213], v[212:213], v[206:207]
	v_fmac_f64_e32 v[212:213], v[214:215], v[52:53]
	s_waitcnt vmcnt(11)
	v_add_f64 v[40:41], v[40:41], -v[54:55]
	s_waitcnt lgkmcnt(0)
	v_mul_f64 v[54:55], v[198:199], v[206:207]
	v_add_f64 v[42:43], v[42:43], -v[212:213]
	v_fma_f64 v[54:55], v[196:197], v[52:53], -v[54:55]
	v_mul_f64 v[196:197], v[196:197], v[206:207]
	ds_read2_b64 v[212:215], v208 offset0:78 offset1:79
	v_fmac_f64_e32 v[196:197], v[198:199], v[52:53]
	s_waitcnt vmcnt(10)
	v_add_f64 v[38:39], v[38:39], -v[196:197]
	ds_read2_b64 v[196:199], v208 offset0:80 offset1:81
	v_add_f64 v[36:37], v[36:37], -v[54:55]
	;; [unrolled: 18-line block ×6, first 2 shown]
	s_waitcnt lgkmcnt(1)
	v_mul_f64 v[54:55], v[214:215], v[206:207]
	v_fma_f64 v[54:55], v[212:213], v[52:53], -v[54:55]
	s_waitcnt vmcnt(1)
	v_add_f64 v[0:1], v[0:1], -v[54:55]
	s_waitcnt lgkmcnt(0)
	v_mul_f64 v[54:55], v[198:199], v[206:207]
	v_mul_f64 v[212:213], v[212:213], v[206:207]
	v_fma_f64 v[54:55], v[196:197], v[52:53], -v[54:55]
	v_mul_f64 v[196:197], v[196:197], v[206:207]
	v_fmac_f64_e32 v[212:213], v[214:215], v[52:53]
	v_fmac_f64_e32 v[196:197], v[198:199], v[52:53]
	v_add_f64 v[2:3], v[2:3], -v[212:213]
	s_waitcnt vmcnt(0)
	v_add_f64 v[192:193], v[192:193], -v[54:55]
	v_add_f64 v[194:195], v[194:195], -v[196:197]
	v_mov_b64_e32 v[54:55], v[206:207]
.LBB96_734:
	s_or_b64 exec, exec, s[0:1]
	v_lshl_add_u32 v196, v209, 4, v208
	s_barrier
	s_waitcnt vmcnt(13)
	ds_write2_b64 v196, v[48:49], v[50:51] offset1:1
	s_waitcnt lgkmcnt(0)
	s_barrier
	ds_read2_b64 v[196:199], v208 offset0:70 offset1:71
	s_cmp_lt_i32 s20, 37
	v_mov_b32_e32 v206, 35
	s_cbranch_scc1 .LBB96_737
; %bb.735:
	v_add_u32_e32 v207, 0x240, v208
	s_mov_b32 s16, 36
	v_mov_b32_e32 v206, 35
.LBB96_736:                             ; =>This Inner Loop Header: Depth=1
	ds_read2_b64 v[212:215], v207 offset1:1
	s_waitcnt lgkmcnt(1)
	v_xor_b32_e32 v217, 0x80000000, v197
	v_xor_b32_e32 v219, 0x80000000, v199
	v_cmp_gt_f64_e32 vcc, 0, v[198:199]
	v_cmp_gt_f64_e64 s[0:1], 0, v[196:197]
	v_mov_b32_e32 v216, v196
	v_mov_b32_e32 v218, v198
	v_cndmask_b32_e64 v217, v197, v217, s[0:1]
	v_cndmask_b32_e32 v219, v199, v219, vcc
	v_add_f64 v[216:217], v[216:217], v[218:219]
	s_waitcnt lgkmcnt(0)
	v_xor_b32_e32 v219, 0x80000000, v213
	v_xor_b32_e32 v221, 0x80000000, v215
	v_cmp_gt_f64_e32 vcc, 0, v[214:215]
	v_cmp_gt_f64_e64 s[0:1], 0, v[212:213]
	v_mov_b32_e32 v218, v212
	v_mov_b32_e32 v220, v214
	v_cndmask_b32_e64 v219, v213, v219, s[0:1]
	v_cndmask_b32_e32 v221, v215, v221, vcc
	v_add_f64 v[218:219], v[218:219], v[220:221]
	v_mov_b32_e32 v222, s16
	s_add_i32 s16, s16, 1
	v_cmp_lt_f64_e32 vcc, v[216:217], v[218:219]
	v_add_u32_e32 v207, 16, v207
	s_cmp_lg_u32 s20, s16
	v_cndmask_b32_e32 v197, v197, v213, vcc
	v_cndmask_b32_e32 v196, v196, v212, vcc
	;; [unrolled: 1-line block ×5, first 2 shown]
	s_cbranch_scc1 .LBB96_736
.LBB96_737:
	s_waitcnt lgkmcnt(0)
	v_cmp_eq_f64_e32 vcc, 0, v[196:197]
	v_cmp_eq_f64_e64 s[0:1], 0, v[198:199]
	s_and_b64 s[0:1], vcc, s[0:1]
	s_and_saveexec_b64 s[16:17], s[0:1]
	s_xor_b64 s[0:1], exec, s[16:17]
; %bb.738:
	v_cmp_ne_u32_e32 vcc, 0, v210
	s_nop 1
	v_cndmask_b32_e32 v210, 36, v210, vcc
; %bb.739:
	s_andn2_saveexec_b64 s[0:1], s[0:1]
	s_cbranch_execz .LBB96_745
; %bb.740:
	v_cmp_ngt_f64_e64 s[16:17], |v[196:197]|, |v[198:199]|
	s_and_saveexec_b64 s[18:19], s[16:17]
	s_xor_b64 s[16:17], exec, s[18:19]
	s_cbranch_execz .LBB96_742
; %bb.741:
	v_div_scale_f64 v[212:213], s[18:19], v[198:199], v[198:199], v[196:197]
	v_rcp_f64_e32 v[214:215], v[212:213]
	v_div_scale_f64 v[216:217], vcc, v[196:197], v[198:199], v[196:197]
	v_fma_f64 v[218:219], -v[212:213], v[214:215], 1.0
	v_fmac_f64_e32 v[214:215], v[214:215], v[218:219]
	v_fma_f64 v[218:219], -v[212:213], v[214:215], 1.0
	v_fmac_f64_e32 v[214:215], v[214:215], v[218:219]
	v_mul_f64 v[218:219], v[216:217], v[214:215]
	v_fma_f64 v[212:213], -v[212:213], v[218:219], v[216:217]
	v_div_fmas_f64 v[212:213], v[212:213], v[214:215], v[218:219]
	v_div_fixup_f64 v[212:213], v[212:213], v[198:199], v[196:197]
	v_fmac_f64_e32 v[198:199], v[196:197], v[212:213]
	v_div_scale_f64 v[196:197], s[18:19], v[198:199], v[198:199], 1.0
	v_rcp_f64_e32 v[214:215], v[196:197]
	s_nop 0
	v_fma_f64 v[216:217], -v[196:197], v[214:215], 1.0
	v_fmac_f64_e32 v[214:215], v[214:215], v[216:217]
	v_fma_f64 v[216:217], -v[196:197], v[214:215], 1.0
	v_fmac_f64_e32 v[214:215], v[214:215], v[216:217]
	v_div_scale_f64 v[216:217], vcc, 1.0, v[198:199], 1.0
	v_mul_f64 v[218:219], v[216:217], v[214:215]
	v_fma_f64 v[196:197], -v[196:197], v[218:219], v[216:217]
	s_nop 1
	v_div_fmas_f64 v[196:197], v[196:197], v[214:215], v[218:219]
	v_div_fixup_f64 v[198:199], v[196:197], v[198:199], 1.0
	v_mul_f64 v[196:197], v[212:213], v[198:199]
	v_xor_b32_e32 v199, 0x80000000, v199
.LBB96_742:
	s_andn2_saveexec_b64 s[16:17], s[16:17]
	s_cbranch_execz .LBB96_744
; %bb.743:
	v_div_scale_f64 v[212:213], s[18:19], v[196:197], v[196:197], v[198:199]
	v_rcp_f64_e32 v[214:215], v[212:213]
	v_div_scale_f64 v[216:217], vcc, v[198:199], v[196:197], v[198:199]
	v_fma_f64 v[218:219], -v[212:213], v[214:215], 1.0
	v_fmac_f64_e32 v[214:215], v[214:215], v[218:219]
	v_fma_f64 v[218:219], -v[212:213], v[214:215], 1.0
	v_fmac_f64_e32 v[214:215], v[214:215], v[218:219]
	v_mul_f64 v[218:219], v[216:217], v[214:215]
	v_fma_f64 v[212:213], -v[212:213], v[218:219], v[216:217]
	v_div_fmas_f64 v[212:213], v[212:213], v[214:215], v[218:219]
	v_div_fixup_f64 v[212:213], v[212:213], v[196:197], v[198:199]
	v_fmac_f64_e32 v[196:197], v[198:199], v[212:213]
	v_div_scale_f64 v[198:199], s[18:19], v[196:197], v[196:197], 1.0
	v_rcp_f64_e32 v[214:215], v[198:199]
	s_nop 0
	v_fma_f64 v[216:217], -v[198:199], v[214:215], 1.0
	v_fmac_f64_e32 v[214:215], v[214:215], v[216:217]
	v_fma_f64 v[216:217], -v[198:199], v[214:215], 1.0
	v_fmac_f64_e32 v[214:215], v[214:215], v[216:217]
	v_div_scale_f64 v[216:217], vcc, 1.0, v[196:197], 1.0
	v_mul_f64 v[218:219], v[216:217], v[214:215]
	v_fma_f64 v[198:199], -v[198:199], v[218:219], v[216:217]
	s_nop 1
	v_div_fmas_f64 v[198:199], v[198:199], v[214:215], v[218:219]
	v_div_fixup_f64 v[196:197], v[198:199], v[196:197], 1.0
	v_mul_f64 v[198:199], v[212:213], -v[196:197]
.LBB96_744:
	s_or_b64 exec, exec, s[16:17]
.LBB96_745:
	s_or_b64 exec, exec, s[0:1]
	v_cmp_ne_u32_e32 vcc, v209, v206
	s_and_saveexec_b64 s[0:1], vcc
	s_xor_b64 s[0:1], exec, s[0:1]
	s_cbranch_execz .LBB96_751
; %bb.746:
	v_cmp_eq_u32_e32 vcc, 35, v209
	s_and_saveexec_b64 s[16:17], vcc
	s_cbranch_execz .LBB96_750
; %bb.747:
	v_cmp_ne_u32_e32 vcc, 35, v206
	s_xor_b64 s[18:19], s[14:15], -1
	s_and_b64 s[22:23], s[18:19], vcc
	s_and_saveexec_b64 s[18:19], s[22:23]
	s_cbranch_execz .LBB96_749
; %bb.748:
	v_ashrrev_i32_e32 v207, 31, v206
	v_lshl_add_u64 v[212:213], v[206:207], 2, v[204:205]
	global_load_dword v207, v[212:213], off
	global_load_dword v209, v[204:205], off offset:140
	s_waitcnt vmcnt(1)
	global_store_dword v[204:205], v207, off offset:140
	s_waitcnt vmcnt(1)
	global_store_dword v[212:213], v209, off
.LBB96_749:
	s_or_b64 exec, exec, s[18:19]
	v_mov_b32_e32 v209, v206
	v_mov_b32_e32 v211, v206
.LBB96_750:
	s_or_b64 exec, exec, s[16:17]
.LBB96_751:
	s_andn2_saveexec_b64 s[0:1], s[0:1]
	s_cbranch_execz .LBB96_753
; %bb.752:
	v_mov_b32_e32 v209, 35
	s_waitcnt vmcnt(12)
	ds_write2_b64 v208, v[44:45], v[46:47] offset0:72 offset1:73
	s_waitcnt vmcnt(11)
	ds_write2_b64 v208, v[40:41], v[42:43] offset0:74 offset1:75
	;; [unrolled: 2-line block ×13, first 2 shown]
.LBB96_753:
	s_or_b64 exec, exec, s[0:1]
	v_cmp_lt_i32_e32 vcc, 35, v209
	s_waitcnt lgkmcnt(0)
	s_barrier
	s_and_saveexec_b64 s[0:1], vcc
	s_cbranch_execz .LBB96_755
; %bb.754:
	ds_read2_b64 v[212:215], v208 offset0:72 offset1:73
	v_mul_f64 v[206:207], v[196:197], v[50:51]
	v_fmac_f64_e32 v[206:207], v[198:199], v[48:49]
	v_mul_f64 v[50:51], v[198:199], v[50:51]
	v_fma_f64 v[48:49], v[196:197], v[48:49], -v[50:51]
	ds_read2_b64 v[196:199], v208 offset0:74 offset1:75
	s_waitcnt lgkmcnt(1)
	v_mul_f64 v[50:51], v[214:215], v[206:207]
	v_fma_f64 v[50:51], v[212:213], v[48:49], -v[50:51]
	v_mul_f64 v[212:213], v[212:213], v[206:207]
	v_fmac_f64_e32 v[212:213], v[214:215], v[48:49]
	s_waitcnt vmcnt(12)
	v_add_f64 v[46:47], v[46:47], -v[212:213]
	ds_read2_b64 v[212:215], v208 offset0:76 offset1:77
	v_add_f64 v[44:45], v[44:45], -v[50:51]
	s_waitcnt lgkmcnt(1)
	v_mul_f64 v[50:51], v[198:199], v[206:207]
	v_fma_f64 v[50:51], v[196:197], v[48:49], -v[50:51]
	v_mul_f64 v[196:197], v[196:197], v[206:207]
	v_fmac_f64_e32 v[196:197], v[198:199], v[48:49]
	s_waitcnt vmcnt(11)
	v_add_f64 v[40:41], v[40:41], -v[50:51]
	v_add_f64 v[42:43], v[42:43], -v[196:197]
	ds_read2_b64 v[196:199], v208 offset0:78 offset1:79
	s_waitcnt lgkmcnt(1)
	v_mul_f64 v[50:51], v[214:215], v[206:207]
	v_fma_f64 v[50:51], v[212:213], v[48:49], -v[50:51]
	v_mul_f64 v[212:213], v[212:213], v[206:207]
	v_fmac_f64_e32 v[212:213], v[214:215], v[48:49]
	s_waitcnt vmcnt(10)
	v_add_f64 v[38:39], v[38:39], -v[212:213]
	ds_read2_b64 v[212:215], v208 offset0:80 offset1:81
	v_add_f64 v[36:37], v[36:37], -v[50:51]
	s_waitcnt lgkmcnt(1)
	v_mul_f64 v[50:51], v[198:199], v[206:207]
	v_fma_f64 v[50:51], v[196:197], v[48:49], -v[50:51]
	v_mul_f64 v[196:197], v[196:197], v[206:207]
	v_fmac_f64_e32 v[196:197], v[198:199], v[48:49]
	s_waitcnt vmcnt(9)
	v_add_f64 v[32:33], v[32:33], -v[50:51]
	v_add_f64 v[34:35], v[34:35], -v[196:197]
	;; [unrolled: 18-line block ×6, first 2 shown]
	s_waitcnt lgkmcnt(0)
	v_mul_f64 v[50:51], v[214:215], v[206:207]
	v_mul_f64 v[196:197], v[212:213], v[206:207]
	v_fma_f64 v[50:51], v[212:213], v[48:49], -v[50:51]
	v_fmac_f64_e32 v[196:197], v[214:215], v[48:49]
	s_waitcnt vmcnt(0)
	v_add_f64 v[192:193], v[192:193], -v[50:51]
	v_add_f64 v[194:195], v[194:195], -v[196:197]
	v_mov_b64_e32 v[50:51], v[206:207]
.LBB96_755:
	s_or_b64 exec, exec, s[0:1]
	v_lshl_add_u32 v196, v209, 4, v208
	s_barrier
	s_waitcnt vmcnt(12)
	ds_write2_b64 v196, v[44:45], v[46:47] offset1:1
	s_waitcnt lgkmcnt(0)
	s_barrier
	ds_read2_b64 v[196:199], v208 offset0:72 offset1:73
	s_cmp_lt_i32 s20, 38
	v_mov_b32_e32 v206, 36
	s_cbranch_scc1 .LBB96_758
; %bb.756:
	v_add_u32_e32 v207, 0x250, v208
	s_mov_b32 s16, 37
	v_mov_b32_e32 v206, 36
.LBB96_757:                             ; =>This Inner Loop Header: Depth=1
	ds_read2_b64 v[212:215], v207 offset1:1
	s_waitcnt lgkmcnt(1)
	v_xor_b32_e32 v217, 0x80000000, v197
	v_xor_b32_e32 v219, 0x80000000, v199
	v_cmp_gt_f64_e32 vcc, 0, v[198:199]
	v_cmp_gt_f64_e64 s[0:1], 0, v[196:197]
	v_mov_b32_e32 v216, v196
	v_mov_b32_e32 v218, v198
	v_cndmask_b32_e64 v217, v197, v217, s[0:1]
	v_cndmask_b32_e32 v219, v199, v219, vcc
	v_add_f64 v[216:217], v[216:217], v[218:219]
	s_waitcnt lgkmcnt(0)
	v_xor_b32_e32 v219, 0x80000000, v213
	v_xor_b32_e32 v221, 0x80000000, v215
	v_cmp_gt_f64_e32 vcc, 0, v[214:215]
	v_cmp_gt_f64_e64 s[0:1], 0, v[212:213]
	v_mov_b32_e32 v218, v212
	v_mov_b32_e32 v220, v214
	v_cndmask_b32_e64 v219, v213, v219, s[0:1]
	v_cndmask_b32_e32 v221, v215, v221, vcc
	v_add_f64 v[218:219], v[218:219], v[220:221]
	v_mov_b32_e32 v222, s16
	s_add_i32 s16, s16, 1
	v_cmp_lt_f64_e32 vcc, v[216:217], v[218:219]
	v_add_u32_e32 v207, 16, v207
	s_cmp_lg_u32 s20, s16
	v_cndmask_b32_e32 v197, v197, v213, vcc
	v_cndmask_b32_e32 v196, v196, v212, vcc
	;; [unrolled: 1-line block ×5, first 2 shown]
	s_cbranch_scc1 .LBB96_757
.LBB96_758:
	s_waitcnt lgkmcnt(0)
	v_cmp_eq_f64_e32 vcc, 0, v[196:197]
	v_cmp_eq_f64_e64 s[0:1], 0, v[198:199]
	s_and_b64 s[0:1], vcc, s[0:1]
	s_and_saveexec_b64 s[16:17], s[0:1]
	s_xor_b64 s[0:1], exec, s[16:17]
; %bb.759:
	v_cmp_ne_u32_e32 vcc, 0, v210
	s_nop 1
	v_cndmask_b32_e32 v210, 37, v210, vcc
; %bb.760:
	s_andn2_saveexec_b64 s[0:1], s[0:1]
	s_cbranch_execz .LBB96_766
; %bb.761:
	v_cmp_ngt_f64_e64 s[16:17], |v[196:197]|, |v[198:199]|
	s_and_saveexec_b64 s[18:19], s[16:17]
	s_xor_b64 s[16:17], exec, s[18:19]
	s_cbranch_execz .LBB96_763
; %bb.762:
	v_div_scale_f64 v[212:213], s[18:19], v[198:199], v[198:199], v[196:197]
	v_rcp_f64_e32 v[214:215], v[212:213]
	v_div_scale_f64 v[216:217], vcc, v[196:197], v[198:199], v[196:197]
	v_fma_f64 v[218:219], -v[212:213], v[214:215], 1.0
	v_fmac_f64_e32 v[214:215], v[214:215], v[218:219]
	v_fma_f64 v[218:219], -v[212:213], v[214:215], 1.0
	v_fmac_f64_e32 v[214:215], v[214:215], v[218:219]
	v_mul_f64 v[218:219], v[216:217], v[214:215]
	v_fma_f64 v[212:213], -v[212:213], v[218:219], v[216:217]
	v_div_fmas_f64 v[212:213], v[212:213], v[214:215], v[218:219]
	v_div_fixup_f64 v[212:213], v[212:213], v[198:199], v[196:197]
	v_fmac_f64_e32 v[198:199], v[196:197], v[212:213]
	v_div_scale_f64 v[196:197], s[18:19], v[198:199], v[198:199], 1.0
	v_rcp_f64_e32 v[214:215], v[196:197]
	s_nop 0
	v_fma_f64 v[216:217], -v[196:197], v[214:215], 1.0
	v_fmac_f64_e32 v[214:215], v[214:215], v[216:217]
	v_fma_f64 v[216:217], -v[196:197], v[214:215], 1.0
	v_fmac_f64_e32 v[214:215], v[214:215], v[216:217]
	v_div_scale_f64 v[216:217], vcc, 1.0, v[198:199], 1.0
	v_mul_f64 v[218:219], v[216:217], v[214:215]
	v_fma_f64 v[196:197], -v[196:197], v[218:219], v[216:217]
	s_nop 1
	v_div_fmas_f64 v[196:197], v[196:197], v[214:215], v[218:219]
	v_div_fixup_f64 v[198:199], v[196:197], v[198:199], 1.0
	v_mul_f64 v[196:197], v[212:213], v[198:199]
	v_xor_b32_e32 v199, 0x80000000, v199
.LBB96_763:
	s_andn2_saveexec_b64 s[16:17], s[16:17]
	s_cbranch_execz .LBB96_765
; %bb.764:
	v_div_scale_f64 v[212:213], s[18:19], v[196:197], v[196:197], v[198:199]
	v_rcp_f64_e32 v[214:215], v[212:213]
	v_div_scale_f64 v[216:217], vcc, v[198:199], v[196:197], v[198:199]
	v_fma_f64 v[218:219], -v[212:213], v[214:215], 1.0
	v_fmac_f64_e32 v[214:215], v[214:215], v[218:219]
	v_fma_f64 v[218:219], -v[212:213], v[214:215], 1.0
	v_fmac_f64_e32 v[214:215], v[214:215], v[218:219]
	v_mul_f64 v[218:219], v[216:217], v[214:215]
	v_fma_f64 v[212:213], -v[212:213], v[218:219], v[216:217]
	v_div_fmas_f64 v[212:213], v[212:213], v[214:215], v[218:219]
	v_div_fixup_f64 v[212:213], v[212:213], v[196:197], v[198:199]
	v_fmac_f64_e32 v[196:197], v[198:199], v[212:213]
	v_div_scale_f64 v[198:199], s[18:19], v[196:197], v[196:197], 1.0
	v_rcp_f64_e32 v[214:215], v[198:199]
	s_nop 0
	v_fma_f64 v[216:217], -v[198:199], v[214:215], 1.0
	v_fmac_f64_e32 v[214:215], v[214:215], v[216:217]
	v_fma_f64 v[216:217], -v[198:199], v[214:215], 1.0
	v_fmac_f64_e32 v[214:215], v[214:215], v[216:217]
	v_div_scale_f64 v[216:217], vcc, 1.0, v[196:197], 1.0
	v_mul_f64 v[218:219], v[216:217], v[214:215]
	v_fma_f64 v[198:199], -v[198:199], v[218:219], v[216:217]
	s_nop 1
	v_div_fmas_f64 v[198:199], v[198:199], v[214:215], v[218:219]
	v_div_fixup_f64 v[196:197], v[198:199], v[196:197], 1.0
	v_mul_f64 v[198:199], v[212:213], -v[196:197]
.LBB96_765:
	s_or_b64 exec, exec, s[16:17]
.LBB96_766:
	s_or_b64 exec, exec, s[0:1]
	v_cmp_ne_u32_e32 vcc, v209, v206
	s_and_saveexec_b64 s[0:1], vcc
	s_xor_b64 s[0:1], exec, s[0:1]
	s_cbranch_execz .LBB96_772
; %bb.767:
	v_cmp_eq_u32_e32 vcc, 36, v209
	s_and_saveexec_b64 s[16:17], vcc
	s_cbranch_execz .LBB96_771
; %bb.768:
	v_cmp_ne_u32_e32 vcc, 36, v206
	s_xor_b64 s[18:19], s[14:15], -1
	s_and_b64 s[22:23], s[18:19], vcc
	s_and_saveexec_b64 s[18:19], s[22:23]
	s_cbranch_execz .LBB96_770
; %bb.769:
	v_ashrrev_i32_e32 v207, 31, v206
	v_lshl_add_u64 v[212:213], v[206:207], 2, v[204:205]
	global_load_dword v207, v[212:213], off
	global_load_dword v209, v[204:205], off offset:144
	s_waitcnt vmcnt(1)
	global_store_dword v[204:205], v207, off offset:144
	s_waitcnt vmcnt(1)
	global_store_dword v[212:213], v209, off
.LBB96_770:
	s_or_b64 exec, exec, s[18:19]
	v_mov_b32_e32 v209, v206
	v_mov_b32_e32 v211, v206
.LBB96_771:
	s_or_b64 exec, exec, s[16:17]
.LBB96_772:
	s_andn2_saveexec_b64 s[0:1], s[0:1]
	s_cbranch_execz .LBB96_774
; %bb.773:
	v_mov_b32_e32 v209, 36
	s_waitcnt vmcnt(11)
	ds_write2_b64 v208, v[40:41], v[42:43] offset0:74 offset1:75
	s_waitcnt vmcnt(10)
	ds_write2_b64 v208, v[36:37], v[38:39] offset0:76 offset1:77
	;; [unrolled: 2-line block ×12, first 2 shown]
.LBB96_774:
	s_or_b64 exec, exec, s[0:1]
	v_cmp_lt_i32_e32 vcc, 36, v209
	s_waitcnt lgkmcnt(0)
	s_barrier
	s_and_saveexec_b64 s[0:1], vcc
	s_cbranch_execz .LBB96_776
; %bb.775:
	ds_read2_b64 v[212:215], v208 offset0:74 offset1:75
	v_mul_f64 v[206:207], v[196:197], v[46:47]
	v_mul_f64 v[46:47], v[198:199], v[46:47]
	v_fmac_f64_e32 v[206:207], v[198:199], v[44:45]
	v_fma_f64 v[44:45], v[196:197], v[44:45], -v[46:47]
	ds_read2_b64 v[196:199], v208 offset0:76 offset1:77
	s_waitcnt lgkmcnt(1)
	v_mul_f64 v[46:47], v[214:215], v[206:207]
	v_fma_f64 v[46:47], v[212:213], v[44:45], -v[46:47]
	v_mul_f64 v[212:213], v[212:213], v[206:207]
	v_fmac_f64_e32 v[212:213], v[214:215], v[44:45]
	s_waitcnt vmcnt(11)
	v_add_f64 v[40:41], v[40:41], -v[46:47]
	s_waitcnt lgkmcnt(0)
	v_mul_f64 v[46:47], v[198:199], v[206:207]
	v_add_f64 v[42:43], v[42:43], -v[212:213]
	v_fma_f64 v[46:47], v[196:197], v[44:45], -v[46:47]
	v_mul_f64 v[196:197], v[196:197], v[206:207]
	ds_read2_b64 v[212:215], v208 offset0:78 offset1:79
	v_fmac_f64_e32 v[196:197], v[198:199], v[44:45]
	s_waitcnt vmcnt(10)
	v_add_f64 v[38:39], v[38:39], -v[196:197]
	ds_read2_b64 v[196:199], v208 offset0:80 offset1:81
	v_add_f64 v[36:37], v[36:37], -v[46:47]
	s_waitcnt lgkmcnt(1)
	v_mul_f64 v[46:47], v[214:215], v[206:207]
	v_fma_f64 v[46:47], v[212:213], v[44:45], -v[46:47]
	v_mul_f64 v[212:213], v[212:213], v[206:207]
	v_fmac_f64_e32 v[212:213], v[214:215], v[44:45]
	s_waitcnt vmcnt(9)
	v_add_f64 v[32:33], v[32:33], -v[46:47]
	s_waitcnt lgkmcnt(0)
	v_mul_f64 v[46:47], v[198:199], v[206:207]
	v_add_f64 v[34:35], v[34:35], -v[212:213]
	v_fma_f64 v[46:47], v[196:197], v[44:45], -v[46:47]
	v_mul_f64 v[196:197], v[196:197], v[206:207]
	ds_read2_b64 v[212:215], v208 offset0:82 offset1:83
	v_fmac_f64_e32 v[196:197], v[198:199], v[44:45]
	s_waitcnt vmcnt(8)
	v_add_f64 v[30:31], v[30:31], -v[196:197]
	ds_read2_b64 v[196:199], v208 offset0:84 offset1:85
	v_add_f64 v[28:29], v[28:29], -v[46:47]
	;; [unrolled: 18-line block ×5, first 2 shown]
	s_waitcnt lgkmcnt(1)
	v_mul_f64 v[46:47], v[214:215], v[206:207]
	v_fma_f64 v[46:47], v[212:213], v[44:45], -v[46:47]
	s_waitcnt vmcnt(1)
	v_add_f64 v[0:1], v[0:1], -v[46:47]
	s_waitcnt lgkmcnt(0)
	v_mul_f64 v[46:47], v[198:199], v[206:207]
	v_mul_f64 v[212:213], v[212:213], v[206:207]
	v_fma_f64 v[46:47], v[196:197], v[44:45], -v[46:47]
	v_mul_f64 v[196:197], v[196:197], v[206:207]
	v_fmac_f64_e32 v[212:213], v[214:215], v[44:45]
	v_fmac_f64_e32 v[196:197], v[198:199], v[44:45]
	v_add_f64 v[2:3], v[2:3], -v[212:213]
	s_waitcnt vmcnt(0)
	v_add_f64 v[192:193], v[192:193], -v[46:47]
	v_add_f64 v[194:195], v[194:195], -v[196:197]
	v_mov_b64_e32 v[46:47], v[206:207]
.LBB96_776:
	s_or_b64 exec, exec, s[0:1]
	v_lshl_add_u32 v196, v209, 4, v208
	s_barrier
	s_waitcnt vmcnt(11)
	ds_write2_b64 v196, v[40:41], v[42:43] offset1:1
	s_waitcnt lgkmcnt(0)
	s_barrier
	ds_read2_b64 v[196:199], v208 offset0:74 offset1:75
	s_cmp_lt_i32 s20, 39
	v_mov_b32_e32 v206, 37
	s_cbranch_scc1 .LBB96_779
; %bb.777:
	v_add_u32_e32 v207, 0x260, v208
	s_mov_b32 s16, 38
	v_mov_b32_e32 v206, 37
.LBB96_778:                             ; =>This Inner Loop Header: Depth=1
	ds_read2_b64 v[212:215], v207 offset1:1
	s_waitcnt lgkmcnt(1)
	v_xor_b32_e32 v217, 0x80000000, v197
	v_xor_b32_e32 v219, 0x80000000, v199
	v_cmp_gt_f64_e32 vcc, 0, v[198:199]
	v_cmp_gt_f64_e64 s[0:1], 0, v[196:197]
	v_mov_b32_e32 v216, v196
	v_mov_b32_e32 v218, v198
	v_cndmask_b32_e64 v217, v197, v217, s[0:1]
	v_cndmask_b32_e32 v219, v199, v219, vcc
	v_add_f64 v[216:217], v[216:217], v[218:219]
	s_waitcnt lgkmcnt(0)
	v_xor_b32_e32 v219, 0x80000000, v213
	v_xor_b32_e32 v221, 0x80000000, v215
	v_cmp_gt_f64_e32 vcc, 0, v[214:215]
	v_cmp_gt_f64_e64 s[0:1], 0, v[212:213]
	v_mov_b32_e32 v218, v212
	v_mov_b32_e32 v220, v214
	v_cndmask_b32_e64 v219, v213, v219, s[0:1]
	v_cndmask_b32_e32 v221, v215, v221, vcc
	v_add_f64 v[218:219], v[218:219], v[220:221]
	v_mov_b32_e32 v222, s16
	s_add_i32 s16, s16, 1
	v_cmp_lt_f64_e32 vcc, v[216:217], v[218:219]
	v_add_u32_e32 v207, 16, v207
	s_cmp_lg_u32 s20, s16
	v_cndmask_b32_e32 v197, v197, v213, vcc
	v_cndmask_b32_e32 v196, v196, v212, vcc
	;; [unrolled: 1-line block ×5, first 2 shown]
	s_cbranch_scc1 .LBB96_778
.LBB96_779:
	s_waitcnt lgkmcnt(0)
	v_cmp_eq_f64_e32 vcc, 0, v[196:197]
	v_cmp_eq_f64_e64 s[0:1], 0, v[198:199]
	s_and_b64 s[0:1], vcc, s[0:1]
	s_and_saveexec_b64 s[16:17], s[0:1]
	s_xor_b64 s[0:1], exec, s[16:17]
; %bb.780:
	v_cmp_ne_u32_e32 vcc, 0, v210
	s_nop 1
	v_cndmask_b32_e32 v210, 38, v210, vcc
; %bb.781:
	s_andn2_saveexec_b64 s[0:1], s[0:1]
	s_cbranch_execz .LBB96_787
; %bb.782:
	v_cmp_ngt_f64_e64 s[16:17], |v[196:197]|, |v[198:199]|
	s_and_saveexec_b64 s[18:19], s[16:17]
	s_xor_b64 s[16:17], exec, s[18:19]
	s_cbranch_execz .LBB96_784
; %bb.783:
	v_div_scale_f64 v[212:213], s[18:19], v[198:199], v[198:199], v[196:197]
	v_rcp_f64_e32 v[214:215], v[212:213]
	v_div_scale_f64 v[216:217], vcc, v[196:197], v[198:199], v[196:197]
	v_fma_f64 v[218:219], -v[212:213], v[214:215], 1.0
	v_fmac_f64_e32 v[214:215], v[214:215], v[218:219]
	v_fma_f64 v[218:219], -v[212:213], v[214:215], 1.0
	v_fmac_f64_e32 v[214:215], v[214:215], v[218:219]
	v_mul_f64 v[218:219], v[216:217], v[214:215]
	v_fma_f64 v[212:213], -v[212:213], v[218:219], v[216:217]
	v_div_fmas_f64 v[212:213], v[212:213], v[214:215], v[218:219]
	v_div_fixup_f64 v[212:213], v[212:213], v[198:199], v[196:197]
	v_fmac_f64_e32 v[198:199], v[196:197], v[212:213]
	v_div_scale_f64 v[196:197], s[18:19], v[198:199], v[198:199], 1.0
	v_rcp_f64_e32 v[214:215], v[196:197]
	s_nop 0
	v_fma_f64 v[216:217], -v[196:197], v[214:215], 1.0
	v_fmac_f64_e32 v[214:215], v[214:215], v[216:217]
	v_fma_f64 v[216:217], -v[196:197], v[214:215], 1.0
	v_fmac_f64_e32 v[214:215], v[214:215], v[216:217]
	v_div_scale_f64 v[216:217], vcc, 1.0, v[198:199], 1.0
	v_mul_f64 v[218:219], v[216:217], v[214:215]
	v_fma_f64 v[196:197], -v[196:197], v[218:219], v[216:217]
	s_nop 1
	v_div_fmas_f64 v[196:197], v[196:197], v[214:215], v[218:219]
	v_div_fixup_f64 v[198:199], v[196:197], v[198:199], 1.0
	v_mul_f64 v[196:197], v[212:213], v[198:199]
	v_xor_b32_e32 v199, 0x80000000, v199
.LBB96_784:
	s_andn2_saveexec_b64 s[16:17], s[16:17]
	s_cbranch_execz .LBB96_786
; %bb.785:
	v_div_scale_f64 v[212:213], s[18:19], v[196:197], v[196:197], v[198:199]
	v_rcp_f64_e32 v[214:215], v[212:213]
	v_div_scale_f64 v[216:217], vcc, v[198:199], v[196:197], v[198:199]
	v_fma_f64 v[218:219], -v[212:213], v[214:215], 1.0
	v_fmac_f64_e32 v[214:215], v[214:215], v[218:219]
	v_fma_f64 v[218:219], -v[212:213], v[214:215], 1.0
	v_fmac_f64_e32 v[214:215], v[214:215], v[218:219]
	v_mul_f64 v[218:219], v[216:217], v[214:215]
	v_fma_f64 v[212:213], -v[212:213], v[218:219], v[216:217]
	v_div_fmas_f64 v[212:213], v[212:213], v[214:215], v[218:219]
	v_div_fixup_f64 v[212:213], v[212:213], v[196:197], v[198:199]
	v_fmac_f64_e32 v[196:197], v[198:199], v[212:213]
	v_div_scale_f64 v[198:199], s[18:19], v[196:197], v[196:197], 1.0
	v_rcp_f64_e32 v[214:215], v[198:199]
	s_nop 0
	v_fma_f64 v[216:217], -v[198:199], v[214:215], 1.0
	v_fmac_f64_e32 v[214:215], v[214:215], v[216:217]
	v_fma_f64 v[216:217], -v[198:199], v[214:215], 1.0
	v_fmac_f64_e32 v[214:215], v[214:215], v[216:217]
	v_div_scale_f64 v[216:217], vcc, 1.0, v[196:197], 1.0
	v_mul_f64 v[218:219], v[216:217], v[214:215]
	v_fma_f64 v[198:199], -v[198:199], v[218:219], v[216:217]
	s_nop 1
	v_div_fmas_f64 v[198:199], v[198:199], v[214:215], v[218:219]
	v_div_fixup_f64 v[196:197], v[198:199], v[196:197], 1.0
	v_mul_f64 v[198:199], v[212:213], -v[196:197]
.LBB96_786:
	s_or_b64 exec, exec, s[16:17]
.LBB96_787:
	s_or_b64 exec, exec, s[0:1]
	v_cmp_ne_u32_e32 vcc, v209, v206
	s_and_saveexec_b64 s[0:1], vcc
	s_xor_b64 s[0:1], exec, s[0:1]
	s_cbranch_execz .LBB96_793
; %bb.788:
	v_cmp_eq_u32_e32 vcc, 37, v209
	s_and_saveexec_b64 s[16:17], vcc
	s_cbranch_execz .LBB96_792
; %bb.789:
	v_cmp_ne_u32_e32 vcc, 37, v206
	s_xor_b64 s[18:19], s[14:15], -1
	s_and_b64 s[22:23], s[18:19], vcc
	s_and_saveexec_b64 s[18:19], s[22:23]
	s_cbranch_execz .LBB96_791
; %bb.790:
	v_ashrrev_i32_e32 v207, 31, v206
	v_lshl_add_u64 v[212:213], v[206:207], 2, v[204:205]
	global_load_dword v207, v[212:213], off
	global_load_dword v209, v[204:205], off offset:148
	s_waitcnt vmcnt(1)
	global_store_dword v[204:205], v207, off offset:148
	s_waitcnt vmcnt(1)
	global_store_dword v[212:213], v209, off
.LBB96_791:
	s_or_b64 exec, exec, s[18:19]
	v_mov_b32_e32 v209, v206
	v_mov_b32_e32 v211, v206
.LBB96_792:
	s_or_b64 exec, exec, s[16:17]
.LBB96_793:
	s_andn2_saveexec_b64 s[0:1], s[0:1]
	s_cbranch_execz .LBB96_795
; %bb.794:
	v_mov_b32_e32 v209, 37
	s_waitcnt vmcnt(10)
	ds_write2_b64 v208, v[36:37], v[38:39] offset0:76 offset1:77
	s_waitcnt vmcnt(9)
	ds_write2_b64 v208, v[32:33], v[34:35] offset0:78 offset1:79
	;; [unrolled: 2-line block ×11, first 2 shown]
.LBB96_795:
	s_or_b64 exec, exec, s[0:1]
	v_cmp_lt_i32_e32 vcc, 37, v209
	s_waitcnt lgkmcnt(0)
	s_barrier
	s_and_saveexec_b64 s[0:1], vcc
	s_cbranch_execz .LBB96_797
; %bb.796:
	ds_read2_b64 v[212:215], v208 offset0:76 offset1:77
	v_mul_f64 v[206:207], v[196:197], v[42:43]
	v_fmac_f64_e32 v[206:207], v[198:199], v[40:41]
	v_mul_f64 v[42:43], v[198:199], v[42:43]
	v_fma_f64 v[40:41], v[196:197], v[40:41], -v[42:43]
	ds_read2_b64 v[196:199], v208 offset0:78 offset1:79
	s_waitcnt lgkmcnt(1)
	v_mul_f64 v[42:43], v[214:215], v[206:207]
	v_fma_f64 v[42:43], v[212:213], v[40:41], -v[42:43]
	v_mul_f64 v[212:213], v[212:213], v[206:207]
	v_fmac_f64_e32 v[212:213], v[214:215], v[40:41]
	s_waitcnt vmcnt(10)
	v_add_f64 v[38:39], v[38:39], -v[212:213]
	ds_read2_b64 v[212:215], v208 offset0:80 offset1:81
	v_add_f64 v[36:37], v[36:37], -v[42:43]
	s_waitcnt lgkmcnt(1)
	v_mul_f64 v[42:43], v[198:199], v[206:207]
	v_fma_f64 v[42:43], v[196:197], v[40:41], -v[42:43]
	v_mul_f64 v[196:197], v[196:197], v[206:207]
	v_fmac_f64_e32 v[196:197], v[198:199], v[40:41]
	s_waitcnt vmcnt(9)
	v_add_f64 v[32:33], v[32:33], -v[42:43]
	v_add_f64 v[34:35], v[34:35], -v[196:197]
	ds_read2_b64 v[196:199], v208 offset0:82 offset1:83
	s_waitcnt lgkmcnt(1)
	v_mul_f64 v[42:43], v[214:215], v[206:207]
	v_fma_f64 v[42:43], v[212:213], v[40:41], -v[42:43]
	v_mul_f64 v[212:213], v[212:213], v[206:207]
	v_fmac_f64_e32 v[212:213], v[214:215], v[40:41]
	s_waitcnt vmcnt(8)
	v_add_f64 v[30:31], v[30:31], -v[212:213]
	ds_read2_b64 v[212:215], v208 offset0:84 offset1:85
	v_add_f64 v[28:29], v[28:29], -v[42:43]
	s_waitcnt lgkmcnt(1)
	v_mul_f64 v[42:43], v[198:199], v[206:207]
	v_fma_f64 v[42:43], v[196:197], v[40:41], -v[42:43]
	v_mul_f64 v[196:197], v[196:197], v[206:207]
	v_fmac_f64_e32 v[196:197], v[198:199], v[40:41]
	s_waitcnt vmcnt(7)
	v_add_f64 v[24:25], v[24:25], -v[42:43]
	v_add_f64 v[26:27], v[26:27], -v[196:197]
	;; [unrolled: 18-line block ×5, first 2 shown]
	s_waitcnt lgkmcnt(0)
	v_mul_f64 v[42:43], v[214:215], v[206:207]
	v_mul_f64 v[196:197], v[212:213], v[206:207]
	v_fma_f64 v[42:43], v[212:213], v[40:41], -v[42:43]
	v_fmac_f64_e32 v[196:197], v[214:215], v[40:41]
	s_waitcnt vmcnt(0)
	v_add_f64 v[192:193], v[192:193], -v[42:43]
	v_add_f64 v[194:195], v[194:195], -v[196:197]
	v_mov_b64_e32 v[42:43], v[206:207]
.LBB96_797:
	s_or_b64 exec, exec, s[0:1]
	v_lshl_add_u32 v196, v209, 4, v208
	s_barrier
	s_waitcnt vmcnt(10)
	ds_write2_b64 v196, v[36:37], v[38:39] offset1:1
	s_waitcnt lgkmcnt(0)
	s_barrier
	ds_read2_b64 v[196:199], v208 offset0:76 offset1:77
	s_cmp_lt_i32 s20, 40
	v_mov_b32_e32 v206, 38
	s_cbranch_scc1 .LBB96_800
; %bb.798:
	v_add_u32_e32 v207, 0x270, v208
	s_mov_b32 s16, 39
	v_mov_b32_e32 v206, 38
.LBB96_799:                             ; =>This Inner Loop Header: Depth=1
	ds_read2_b64 v[212:215], v207 offset1:1
	s_waitcnt lgkmcnt(1)
	v_xor_b32_e32 v217, 0x80000000, v197
	v_xor_b32_e32 v219, 0x80000000, v199
	v_cmp_gt_f64_e32 vcc, 0, v[198:199]
	v_cmp_gt_f64_e64 s[0:1], 0, v[196:197]
	v_mov_b32_e32 v216, v196
	v_mov_b32_e32 v218, v198
	v_cndmask_b32_e64 v217, v197, v217, s[0:1]
	v_cndmask_b32_e32 v219, v199, v219, vcc
	v_add_f64 v[216:217], v[216:217], v[218:219]
	s_waitcnt lgkmcnt(0)
	v_xor_b32_e32 v219, 0x80000000, v213
	v_xor_b32_e32 v221, 0x80000000, v215
	v_cmp_gt_f64_e32 vcc, 0, v[214:215]
	v_cmp_gt_f64_e64 s[0:1], 0, v[212:213]
	v_mov_b32_e32 v218, v212
	v_mov_b32_e32 v220, v214
	v_cndmask_b32_e64 v219, v213, v219, s[0:1]
	v_cndmask_b32_e32 v221, v215, v221, vcc
	v_add_f64 v[218:219], v[218:219], v[220:221]
	v_mov_b32_e32 v222, s16
	s_add_i32 s16, s16, 1
	v_cmp_lt_f64_e32 vcc, v[216:217], v[218:219]
	v_add_u32_e32 v207, 16, v207
	s_cmp_lg_u32 s20, s16
	v_cndmask_b32_e32 v197, v197, v213, vcc
	v_cndmask_b32_e32 v196, v196, v212, vcc
	;; [unrolled: 1-line block ×5, first 2 shown]
	s_cbranch_scc1 .LBB96_799
.LBB96_800:
	s_waitcnt lgkmcnt(0)
	v_cmp_eq_f64_e32 vcc, 0, v[196:197]
	v_cmp_eq_f64_e64 s[0:1], 0, v[198:199]
	s_and_b64 s[0:1], vcc, s[0:1]
	s_and_saveexec_b64 s[16:17], s[0:1]
	s_xor_b64 s[0:1], exec, s[16:17]
; %bb.801:
	v_cmp_ne_u32_e32 vcc, 0, v210
	s_nop 1
	v_cndmask_b32_e32 v210, 39, v210, vcc
; %bb.802:
	s_andn2_saveexec_b64 s[0:1], s[0:1]
	s_cbranch_execz .LBB96_808
; %bb.803:
	v_cmp_ngt_f64_e64 s[16:17], |v[196:197]|, |v[198:199]|
	s_and_saveexec_b64 s[18:19], s[16:17]
	s_xor_b64 s[16:17], exec, s[18:19]
	s_cbranch_execz .LBB96_805
; %bb.804:
	v_div_scale_f64 v[212:213], s[18:19], v[198:199], v[198:199], v[196:197]
	v_rcp_f64_e32 v[214:215], v[212:213]
	v_div_scale_f64 v[216:217], vcc, v[196:197], v[198:199], v[196:197]
	v_fma_f64 v[218:219], -v[212:213], v[214:215], 1.0
	v_fmac_f64_e32 v[214:215], v[214:215], v[218:219]
	v_fma_f64 v[218:219], -v[212:213], v[214:215], 1.0
	v_fmac_f64_e32 v[214:215], v[214:215], v[218:219]
	v_mul_f64 v[218:219], v[216:217], v[214:215]
	v_fma_f64 v[212:213], -v[212:213], v[218:219], v[216:217]
	v_div_fmas_f64 v[212:213], v[212:213], v[214:215], v[218:219]
	v_div_fixup_f64 v[212:213], v[212:213], v[198:199], v[196:197]
	v_fmac_f64_e32 v[198:199], v[196:197], v[212:213]
	v_div_scale_f64 v[196:197], s[18:19], v[198:199], v[198:199], 1.0
	v_rcp_f64_e32 v[214:215], v[196:197]
	s_nop 0
	v_fma_f64 v[216:217], -v[196:197], v[214:215], 1.0
	v_fmac_f64_e32 v[214:215], v[214:215], v[216:217]
	v_fma_f64 v[216:217], -v[196:197], v[214:215], 1.0
	v_fmac_f64_e32 v[214:215], v[214:215], v[216:217]
	v_div_scale_f64 v[216:217], vcc, 1.0, v[198:199], 1.0
	v_mul_f64 v[218:219], v[216:217], v[214:215]
	v_fma_f64 v[196:197], -v[196:197], v[218:219], v[216:217]
	s_nop 1
	v_div_fmas_f64 v[196:197], v[196:197], v[214:215], v[218:219]
	v_div_fixup_f64 v[198:199], v[196:197], v[198:199], 1.0
	v_mul_f64 v[196:197], v[212:213], v[198:199]
	v_xor_b32_e32 v199, 0x80000000, v199
.LBB96_805:
	s_andn2_saveexec_b64 s[16:17], s[16:17]
	s_cbranch_execz .LBB96_807
; %bb.806:
	v_div_scale_f64 v[212:213], s[18:19], v[196:197], v[196:197], v[198:199]
	v_rcp_f64_e32 v[214:215], v[212:213]
	v_div_scale_f64 v[216:217], vcc, v[198:199], v[196:197], v[198:199]
	v_fma_f64 v[218:219], -v[212:213], v[214:215], 1.0
	v_fmac_f64_e32 v[214:215], v[214:215], v[218:219]
	v_fma_f64 v[218:219], -v[212:213], v[214:215], 1.0
	v_fmac_f64_e32 v[214:215], v[214:215], v[218:219]
	v_mul_f64 v[218:219], v[216:217], v[214:215]
	v_fma_f64 v[212:213], -v[212:213], v[218:219], v[216:217]
	v_div_fmas_f64 v[212:213], v[212:213], v[214:215], v[218:219]
	v_div_fixup_f64 v[212:213], v[212:213], v[196:197], v[198:199]
	v_fmac_f64_e32 v[196:197], v[198:199], v[212:213]
	v_div_scale_f64 v[198:199], s[18:19], v[196:197], v[196:197], 1.0
	v_rcp_f64_e32 v[214:215], v[198:199]
	s_nop 0
	v_fma_f64 v[216:217], -v[198:199], v[214:215], 1.0
	v_fmac_f64_e32 v[214:215], v[214:215], v[216:217]
	v_fma_f64 v[216:217], -v[198:199], v[214:215], 1.0
	v_fmac_f64_e32 v[214:215], v[214:215], v[216:217]
	v_div_scale_f64 v[216:217], vcc, 1.0, v[196:197], 1.0
	v_mul_f64 v[218:219], v[216:217], v[214:215]
	v_fma_f64 v[198:199], -v[198:199], v[218:219], v[216:217]
	s_nop 1
	v_div_fmas_f64 v[198:199], v[198:199], v[214:215], v[218:219]
	v_div_fixup_f64 v[196:197], v[198:199], v[196:197], 1.0
	v_mul_f64 v[198:199], v[212:213], -v[196:197]
.LBB96_807:
	s_or_b64 exec, exec, s[16:17]
.LBB96_808:
	s_or_b64 exec, exec, s[0:1]
	v_cmp_ne_u32_e32 vcc, v209, v206
	s_and_saveexec_b64 s[0:1], vcc
	s_xor_b64 s[0:1], exec, s[0:1]
	s_cbranch_execz .LBB96_814
; %bb.809:
	v_cmp_eq_u32_e32 vcc, 38, v209
	s_and_saveexec_b64 s[16:17], vcc
	s_cbranch_execz .LBB96_813
; %bb.810:
	v_cmp_ne_u32_e32 vcc, 38, v206
	s_xor_b64 s[18:19], s[14:15], -1
	s_and_b64 s[22:23], s[18:19], vcc
	s_and_saveexec_b64 s[18:19], s[22:23]
	s_cbranch_execz .LBB96_812
; %bb.811:
	v_ashrrev_i32_e32 v207, 31, v206
	v_lshl_add_u64 v[212:213], v[206:207], 2, v[204:205]
	global_load_dword v207, v[212:213], off
	global_load_dword v209, v[204:205], off offset:152
	s_waitcnt vmcnt(1)
	global_store_dword v[204:205], v207, off offset:152
	s_waitcnt vmcnt(1)
	global_store_dword v[212:213], v209, off
.LBB96_812:
	s_or_b64 exec, exec, s[18:19]
	v_mov_b32_e32 v209, v206
	v_mov_b32_e32 v211, v206
.LBB96_813:
	s_or_b64 exec, exec, s[16:17]
.LBB96_814:
	s_andn2_saveexec_b64 s[0:1], s[0:1]
	s_cbranch_execz .LBB96_816
; %bb.815:
	v_mov_b32_e32 v209, 38
	s_waitcnt vmcnt(9)
	ds_write2_b64 v208, v[32:33], v[34:35] offset0:78 offset1:79
	s_waitcnt vmcnt(8)
	ds_write2_b64 v208, v[28:29], v[30:31] offset0:80 offset1:81
	;; [unrolled: 2-line block ×10, first 2 shown]
.LBB96_816:
	s_or_b64 exec, exec, s[0:1]
	v_cmp_lt_i32_e32 vcc, 38, v209
	s_waitcnt lgkmcnt(0)
	s_barrier
	s_and_saveexec_b64 s[0:1], vcc
	s_cbranch_execz .LBB96_818
; %bb.817:
	ds_read2_b64 v[212:215], v208 offset0:78 offset1:79
	v_mul_f64 v[206:207], v[196:197], v[38:39]
	v_mul_f64 v[38:39], v[198:199], v[38:39]
	v_fmac_f64_e32 v[206:207], v[198:199], v[36:37]
	v_fma_f64 v[36:37], v[196:197], v[36:37], -v[38:39]
	ds_read2_b64 v[196:199], v208 offset0:80 offset1:81
	s_waitcnt lgkmcnt(1)
	v_mul_f64 v[38:39], v[214:215], v[206:207]
	v_fma_f64 v[38:39], v[212:213], v[36:37], -v[38:39]
	v_mul_f64 v[212:213], v[212:213], v[206:207]
	v_fmac_f64_e32 v[212:213], v[214:215], v[36:37]
	s_waitcnt vmcnt(9)
	v_add_f64 v[32:33], v[32:33], -v[38:39]
	s_waitcnt lgkmcnt(0)
	v_mul_f64 v[38:39], v[198:199], v[206:207]
	v_add_f64 v[34:35], v[34:35], -v[212:213]
	v_fma_f64 v[38:39], v[196:197], v[36:37], -v[38:39]
	v_mul_f64 v[196:197], v[196:197], v[206:207]
	ds_read2_b64 v[212:215], v208 offset0:82 offset1:83
	v_fmac_f64_e32 v[196:197], v[198:199], v[36:37]
	s_waitcnt vmcnt(8)
	v_add_f64 v[30:31], v[30:31], -v[196:197]
	ds_read2_b64 v[196:199], v208 offset0:84 offset1:85
	v_add_f64 v[28:29], v[28:29], -v[38:39]
	s_waitcnt lgkmcnt(1)
	v_mul_f64 v[38:39], v[214:215], v[206:207]
	v_fma_f64 v[38:39], v[212:213], v[36:37], -v[38:39]
	v_mul_f64 v[212:213], v[212:213], v[206:207]
	v_fmac_f64_e32 v[212:213], v[214:215], v[36:37]
	s_waitcnt vmcnt(7)
	v_add_f64 v[24:25], v[24:25], -v[38:39]
	s_waitcnt lgkmcnt(0)
	v_mul_f64 v[38:39], v[198:199], v[206:207]
	v_add_f64 v[26:27], v[26:27], -v[212:213]
	v_fma_f64 v[38:39], v[196:197], v[36:37], -v[38:39]
	v_mul_f64 v[196:197], v[196:197], v[206:207]
	ds_read2_b64 v[212:215], v208 offset0:86 offset1:87
	v_fmac_f64_e32 v[196:197], v[198:199], v[36:37]
	s_waitcnt vmcnt(6)
	v_add_f64 v[22:23], v[22:23], -v[196:197]
	ds_read2_b64 v[196:199], v208 offset0:88 offset1:89
	v_add_f64 v[20:21], v[20:21], -v[38:39]
	;; [unrolled: 18-line block ×4, first 2 shown]
	s_waitcnt lgkmcnt(1)
	v_mul_f64 v[38:39], v[214:215], v[206:207]
	v_fma_f64 v[38:39], v[212:213], v[36:37], -v[38:39]
	s_waitcnt vmcnt(1)
	v_add_f64 v[0:1], v[0:1], -v[38:39]
	s_waitcnt lgkmcnt(0)
	v_mul_f64 v[38:39], v[198:199], v[206:207]
	v_mul_f64 v[212:213], v[212:213], v[206:207]
	v_fma_f64 v[38:39], v[196:197], v[36:37], -v[38:39]
	v_mul_f64 v[196:197], v[196:197], v[206:207]
	v_fmac_f64_e32 v[212:213], v[214:215], v[36:37]
	v_fmac_f64_e32 v[196:197], v[198:199], v[36:37]
	v_add_f64 v[2:3], v[2:3], -v[212:213]
	s_waitcnt vmcnt(0)
	v_add_f64 v[192:193], v[192:193], -v[38:39]
	v_add_f64 v[194:195], v[194:195], -v[196:197]
	v_mov_b64_e32 v[38:39], v[206:207]
.LBB96_818:
	s_or_b64 exec, exec, s[0:1]
	v_lshl_add_u32 v196, v209, 4, v208
	s_barrier
	s_waitcnt vmcnt(9)
	ds_write2_b64 v196, v[32:33], v[34:35] offset1:1
	s_waitcnt lgkmcnt(0)
	s_barrier
	ds_read2_b64 v[196:199], v208 offset0:78 offset1:79
	s_cmp_lt_i32 s20, 41
	v_mov_b32_e32 v206, 39
	s_cbranch_scc1 .LBB96_821
; %bb.819:
	v_add_u32_e32 v207, 0x280, v208
	s_mov_b32 s16, 40
	v_mov_b32_e32 v206, 39
.LBB96_820:                             ; =>This Inner Loop Header: Depth=1
	ds_read2_b64 v[212:215], v207 offset1:1
	s_waitcnt lgkmcnt(1)
	v_xor_b32_e32 v217, 0x80000000, v197
	v_xor_b32_e32 v219, 0x80000000, v199
	v_cmp_gt_f64_e32 vcc, 0, v[198:199]
	v_cmp_gt_f64_e64 s[0:1], 0, v[196:197]
	v_mov_b32_e32 v216, v196
	v_mov_b32_e32 v218, v198
	v_cndmask_b32_e64 v217, v197, v217, s[0:1]
	v_cndmask_b32_e32 v219, v199, v219, vcc
	v_add_f64 v[216:217], v[216:217], v[218:219]
	s_waitcnt lgkmcnt(0)
	v_xor_b32_e32 v219, 0x80000000, v213
	v_xor_b32_e32 v221, 0x80000000, v215
	v_cmp_gt_f64_e32 vcc, 0, v[214:215]
	v_cmp_gt_f64_e64 s[0:1], 0, v[212:213]
	v_mov_b32_e32 v218, v212
	v_mov_b32_e32 v220, v214
	v_cndmask_b32_e64 v219, v213, v219, s[0:1]
	v_cndmask_b32_e32 v221, v215, v221, vcc
	v_add_f64 v[218:219], v[218:219], v[220:221]
	v_mov_b32_e32 v222, s16
	s_add_i32 s16, s16, 1
	v_cmp_lt_f64_e32 vcc, v[216:217], v[218:219]
	v_add_u32_e32 v207, 16, v207
	s_cmp_lg_u32 s20, s16
	v_cndmask_b32_e32 v197, v197, v213, vcc
	v_cndmask_b32_e32 v196, v196, v212, vcc
	;; [unrolled: 1-line block ×5, first 2 shown]
	s_cbranch_scc1 .LBB96_820
.LBB96_821:
	s_waitcnt lgkmcnt(0)
	v_cmp_eq_f64_e32 vcc, 0, v[196:197]
	v_cmp_eq_f64_e64 s[0:1], 0, v[198:199]
	s_and_b64 s[0:1], vcc, s[0:1]
	s_and_saveexec_b64 s[16:17], s[0:1]
	s_xor_b64 s[0:1], exec, s[16:17]
; %bb.822:
	v_cmp_ne_u32_e32 vcc, 0, v210
	s_nop 1
	v_cndmask_b32_e32 v210, 40, v210, vcc
; %bb.823:
	s_andn2_saveexec_b64 s[0:1], s[0:1]
	s_cbranch_execz .LBB96_829
; %bb.824:
	v_cmp_ngt_f64_e64 s[16:17], |v[196:197]|, |v[198:199]|
	s_and_saveexec_b64 s[18:19], s[16:17]
	s_xor_b64 s[16:17], exec, s[18:19]
	s_cbranch_execz .LBB96_826
; %bb.825:
	v_div_scale_f64 v[212:213], s[18:19], v[198:199], v[198:199], v[196:197]
	v_rcp_f64_e32 v[214:215], v[212:213]
	v_div_scale_f64 v[216:217], vcc, v[196:197], v[198:199], v[196:197]
	v_fma_f64 v[218:219], -v[212:213], v[214:215], 1.0
	v_fmac_f64_e32 v[214:215], v[214:215], v[218:219]
	v_fma_f64 v[218:219], -v[212:213], v[214:215], 1.0
	v_fmac_f64_e32 v[214:215], v[214:215], v[218:219]
	v_mul_f64 v[218:219], v[216:217], v[214:215]
	v_fma_f64 v[212:213], -v[212:213], v[218:219], v[216:217]
	v_div_fmas_f64 v[212:213], v[212:213], v[214:215], v[218:219]
	v_div_fixup_f64 v[212:213], v[212:213], v[198:199], v[196:197]
	v_fmac_f64_e32 v[198:199], v[196:197], v[212:213]
	v_div_scale_f64 v[196:197], s[18:19], v[198:199], v[198:199], 1.0
	v_rcp_f64_e32 v[214:215], v[196:197]
	s_nop 0
	v_fma_f64 v[216:217], -v[196:197], v[214:215], 1.0
	v_fmac_f64_e32 v[214:215], v[214:215], v[216:217]
	v_fma_f64 v[216:217], -v[196:197], v[214:215], 1.0
	v_fmac_f64_e32 v[214:215], v[214:215], v[216:217]
	v_div_scale_f64 v[216:217], vcc, 1.0, v[198:199], 1.0
	v_mul_f64 v[218:219], v[216:217], v[214:215]
	v_fma_f64 v[196:197], -v[196:197], v[218:219], v[216:217]
	s_nop 1
	v_div_fmas_f64 v[196:197], v[196:197], v[214:215], v[218:219]
	v_div_fixup_f64 v[198:199], v[196:197], v[198:199], 1.0
	v_mul_f64 v[196:197], v[212:213], v[198:199]
	v_xor_b32_e32 v199, 0x80000000, v199
.LBB96_826:
	s_andn2_saveexec_b64 s[16:17], s[16:17]
	s_cbranch_execz .LBB96_828
; %bb.827:
	v_div_scale_f64 v[212:213], s[18:19], v[196:197], v[196:197], v[198:199]
	v_rcp_f64_e32 v[214:215], v[212:213]
	v_div_scale_f64 v[216:217], vcc, v[198:199], v[196:197], v[198:199]
	v_fma_f64 v[218:219], -v[212:213], v[214:215], 1.0
	v_fmac_f64_e32 v[214:215], v[214:215], v[218:219]
	v_fma_f64 v[218:219], -v[212:213], v[214:215], 1.0
	v_fmac_f64_e32 v[214:215], v[214:215], v[218:219]
	v_mul_f64 v[218:219], v[216:217], v[214:215]
	v_fma_f64 v[212:213], -v[212:213], v[218:219], v[216:217]
	v_div_fmas_f64 v[212:213], v[212:213], v[214:215], v[218:219]
	v_div_fixup_f64 v[212:213], v[212:213], v[196:197], v[198:199]
	v_fmac_f64_e32 v[196:197], v[198:199], v[212:213]
	v_div_scale_f64 v[198:199], s[18:19], v[196:197], v[196:197], 1.0
	v_rcp_f64_e32 v[214:215], v[198:199]
	s_nop 0
	v_fma_f64 v[216:217], -v[198:199], v[214:215], 1.0
	v_fmac_f64_e32 v[214:215], v[214:215], v[216:217]
	v_fma_f64 v[216:217], -v[198:199], v[214:215], 1.0
	v_fmac_f64_e32 v[214:215], v[214:215], v[216:217]
	v_div_scale_f64 v[216:217], vcc, 1.0, v[196:197], 1.0
	v_mul_f64 v[218:219], v[216:217], v[214:215]
	v_fma_f64 v[198:199], -v[198:199], v[218:219], v[216:217]
	s_nop 1
	v_div_fmas_f64 v[198:199], v[198:199], v[214:215], v[218:219]
	v_div_fixup_f64 v[196:197], v[198:199], v[196:197], 1.0
	v_mul_f64 v[198:199], v[212:213], -v[196:197]
.LBB96_828:
	s_or_b64 exec, exec, s[16:17]
.LBB96_829:
	s_or_b64 exec, exec, s[0:1]
	v_cmp_ne_u32_e32 vcc, v209, v206
	s_and_saveexec_b64 s[0:1], vcc
	s_xor_b64 s[0:1], exec, s[0:1]
	s_cbranch_execz .LBB96_835
; %bb.830:
	v_cmp_eq_u32_e32 vcc, 39, v209
	s_and_saveexec_b64 s[16:17], vcc
	s_cbranch_execz .LBB96_834
; %bb.831:
	v_cmp_ne_u32_e32 vcc, 39, v206
	s_xor_b64 s[18:19], s[14:15], -1
	s_and_b64 s[22:23], s[18:19], vcc
	s_and_saveexec_b64 s[18:19], s[22:23]
	s_cbranch_execz .LBB96_833
; %bb.832:
	v_ashrrev_i32_e32 v207, 31, v206
	v_lshl_add_u64 v[212:213], v[206:207], 2, v[204:205]
	global_load_dword v207, v[212:213], off
	global_load_dword v209, v[204:205], off offset:156
	s_waitcnt vmcnt(1)
	global_store_dword v[204:205], v207, off offset:156
	s_waitcnt vmcnt(1)
	global_store_dword v[212:213], v209, off
.LBB96_833:
	s_or_b64 exec, exec, s[18:19]
	v_mov_b32_e32 v209, v206
	v_mov_b32_e32 v211, v206
.LBB96_834:
	s_or_b64 exec, exec, s[16:17]
.LBB96_835:
	s_andn2_saveexec_b64 s[0:1], s[0:1]
	s_cbranch_execz .LBB96_837
; %bb.836:
	v_mov_b32_e32 v209, 39
	s_waitcnt vmcnt(8)
	ds_write2_b64 v208, v[28:29], v[30:31] offset0:80 offset1:81
	s_waitcnt vmcnt(7)
	ds_write2_b64 v208, v[24:25], v[26:27] offset0:82 offset1:83
	;; [unrolled: 2-line block ×9, first 2 shown]
.LBB96_837:
	s_or_b64 exec, exec, s[0:1]
	v_cmp_lt_i32_e32 vcc, 39, v209
	s_waitcnt lgkmcnt(0)
	s_barrier
	s_and_saveexec_b64 s[0:1], vcc
	s_cbranch_execz .LBB96_839
; %bb.838:
	ds_read2_b64 v[212:215], v208 offset0:80 offset1:81
	v_mul_f64 v[206:207], v[196:197], v[34:35]
	v_fmac_f64_e32 v[206:207], v[198:199], v[32:33]
	v_mul_f64 v[34:35], v[198:199], v[34:35]
	v_fma_f64 v[32:33], v[196:197], v[32:33], -v[34:35]
	ds_read2_b64 v[196:199], v208 offset0:82 offset1:83
	s_waitcnt lgkmcnt(1)
	v_mul_f64 v[34:35], v[214:215], v[206:207]
	v_fma_f64 v[34:35], v[212:213], v[32:33], -v[34:35]
	v_mul_f64 v[212:213], v[212:213], v[206:207]
	v_fmac_f64_e32 v[212:213], v[214:215], v[32:33]
	s_waitcnt vmcnt(8)
	v_add_f64 v[30:31], v[30:31], -v[212:213]
	ds_read2_b64 v[212:215], v208 offset0:84 offset1:85
	v_add_f64 v[28:29], v[28:29], -v[34:35]
	s_waitcnt lgkmcnt(1)
	v_mul_f64 v[34:35], v[198:199], v[206:207]
	v_fma_f64 v[34:35], v[196:197], v[32:33], -v[34:35]
	v_mul_f64 v[196:197], v[196:197], v[206:207]
	v_fmac_f64_e32 v[196:197], v[198:199], v[32:33]
	s_waitcnt vmcnt(7)
	v_add_f64 v[24:25], v[24:25], -v[34:35]
	v_add_f64 v[26:27], v[26:27], -v[196:197]
	ds_read2_b64 v[196:199], v208 offset0:86 offset1:87
	s_waitcnt lgkmcnt(1)
	v_mul_f64 v[34:35], v[214:215], v[206:207]
	v_fma_f64 v[34:35], v[212:213], v[32:33], -v[34:35]
	v_mul_f64 v[212:213], v[212:213], v[206:207]
	v_fmac_f64_e32 v[212:213], v[214:215], v[32:33]
	s_waitcnt vmcnt(6)
	v_add_f64 v[22:23], v[22:23], -v[212:213]
	ds_read2_b64 v[212:215], v208 offset0:88 offset1:89
	v_add_f64 v[20:21], v[20:21], -v[34:35]
	s_waitcnt lgkmcnt(1)
	v_mul_f64 v[34:35], v[198:199], v[206:207]
	v_fma_f64 v[34:35], v[196:197], v[32:33], -v[34:35]
	v_mul_f64 v[196:197], v[196:197], v[206:207]
	v_fmac_f64_e32 v[196:197], v[198:199], v[32:33]
	s_waitcnt vmcnt(5)
	v_add_f64 v[16:17], v[16:17], -v[34:35]
	v_add_f64 v[18:19], v[18:19], -v[196:197]
	;; [unrolled: 18-line block ×4, first 2 shown]
	s_waitcnt lgkmcnt(0)
	v_mul_f64 v[34:35], v[214:215], v[206:207]
	v_mul_f64 v[196:197], v[212:213], v[206:207]
	v_fma_f64 v[34:35], v[212:213], v[32:33], -v[34:35]
	v_fmac_f64_e32 v[196:197], v[214:215], v[32:33]
	s_waitcnt vmcnt(0)
	v_add_f64 v[192:193], v[192:193], -v[34:35]
	v_add_f64 v[194:195], v[194:195], -v[196:197]
	v_mov_b64_e32 v[34:35], v[206:207]
.LBB96_839:
	s_or_b64 exec, exec, s[0:1]
	v_lshl_add_u32 v196, v209, 4, v208
	s_barrier
	s_waitcnt vmcnt(8)
	ds_write2_b64 v196, v[28:29], v[30:31] offset1:1
	s_waitcnt lgkmcnt(0)
	s_barrier
	ds_read2_b64 v[196:199], v208 offset0:80 offset1:81
	s_cmp_lt_i32 s20, 42
	v_mov_b32_e32 v206, 40
	s_cbranch_scc1 .LBB96_842
; %bb.840:
	v_add_u32_e32 v207, 0x290, v208
	s_mov_b32 s16, 41
	v_mov_b32_e32 v206, 40
.LBB96_841:                             ; =>This Inner Loop Header: Depth=1
	ds_read2_b64 v[212:215], v207 offset1:1
	s_waitcnt lgkmcnt(1)
	v_xor_b32_e32 v217, 0x80000000, v197
	v_xor_b32_e32 v219, 0x80000000, v199
	v_cmp_gt_f64_e32 vcc, 0, v[198:199]
	v_cmp_gt_f64_e64 s[0:1], 0, v[196:197]
	v_mov_b32_e32 v216, v196
	v_mov_b32_e32 v218, v198
	v_cndmask_b32_e64 v217, v197, v217, s[0:1]
	v_cndmask_b32_e32 v219, v199, v219, vcc
	v_add_f64 v[216:217], v[216:217], v[218:219]
	s_waitcnt lgkmcnt(0)
	v_xor_b32_e32 v219, 0x80000000, v213
	v_xor_b32_e32 v221, 0x80000000, v215
	v_cmp_gt_f64_e32 vcc, 0, v[214:215]
	v_cmp_gt_f64_e64 s[0:1], 0, v[212:213]
	v_mov_b32_e32 v218, v212
	v_mov_b32_e32 v220, v214
	v_cndmask_b32_e64 v219, v213, v219, s[0:1]
	v_cndmask_b32_e32 v221, v215, v221, vcc
	v_add_f64 v[218:219], v[218:219], v[220:221]
	v_mov_b32_e32 v222, s16
	s_add_i32 s16, s16, 1
	v_cmp_lt_f64_e32 vcc, v[216:217], v[218:219]
	v_add_u32_e32 v207, 16, v207
	s_cmp_lg_u32 s20, s16
	v_cndmask_b32_e32 v197, v197, v213, vcc
	v_cndmask_b32_e32 v196, v196, v212, vcc
	;; [unrolled: 1-line block ×5, first 2 shown]
	s_cbranch_scc1 .LBB96_841
.LBB96_842:
	s_waitcnt lgkmcnt(0)
	v_cmp_eq_f64_e32 vcc, 0, v[196:197]
	v_cmp_eq_f64_e64 s[0:1], 0, v[198:199]
	s_and_b64 s[0:1], vcc, s[0:1]
	s_and_saveexec_b64 s[16:17], s[0:1]
	s_xor_b64 s[0:1], exec, s[16:17]
; %bb.843:
	v_cmp_ne_u32_e32 vcc, 0, v210
	s_nop 1
	v_cndmask_b32_e32 v210, 41, v210, vcc
; %bb.844:
	s_andn2_saveexec_b64 s[0:1], s[0:1]
	s_cbranch_execz .LBB96_850
; %bb.845:
	v_cmp_ngt_f64_e64 s[16:17], |v[196:197]|, |v[198:199]|
	s_and_saveexec_b64 s[18:19], s[16:17]
	s_xor_b64 s[16:17], exec, s[18:19]
	s_cbranch_execz .LBB96_847
; %bb.846:
	v_div_scale_f64 v[212:213], s[18:19], v[198:199], v[198:199], v[196:197]
	v_rcp_f64_e32 v[214:215], v[212:213]
	v_div_scale_f64 v[216:217], vcc, v[196:197], v[198:199], v[196:197]
	v_fma_f64 v[218:219], -v[212:213], v[214:215], 1.0
	v_fmac_f64_e32 v[214:215], v[214:215], v[218:219]
	v_fma_f64 v[218:219], -v[212:213], v[214:215], 1.0
	v_fmac_f64_e32 v[214:215], v[214:215], v[218:219]
	v_mul_f64 v[218:219], v[216:217], v[214:215]
	v_fma_f64 v[212:213], -v[212:213], v[218:219], v[216:217]
	v_div_fmas_f64 v[212:213], v[212:213], v[214:215], v[218:219]
	v_div_fixup_f64 v[212:213], v[212:213], v[198:199], v[196:197]
	v_fmac_f64_e32 v[198:199], v[196:197], v[212:213]
	v_div_scale_f64 v[196:197], s[18:19], v[198:199], v[198:199], 1.0
	v_rcp_f64_e32 v[214:215], v[196:197]
	s_nop 0
	v_fma_f64 v[216:217], -v[196:197], v[214:215], 1.0
	v_fmac_f64_e32 v[214:215], v[214:215], v[216:217]
	v_fma_f64 v[216:217], -v[196:197], v[214:215], 1.0
	v_fmac_f64_e32 v[214:215], v[214:215], v[216:217]
	v_div_scale_f64 v[216:217], vcc, 1.0, v[198:199], 1.0
	v_mul_f64 v[218:219], v[216:217], v[214:215]
	v_fma_f64 v[196:197], -v[196:197], v[218:219], v[216:217]
	s_nop 1
	v_div_fmas_f64 v[196:197], v[196:197], v[214:215], v[218:219]
	v_div_fixup_f64 v[198:199], v[196:197], v[198:199], 1.0
	v_mul_f64 v[196:197], v[212:213], v[198:199]
	v_xor_b32_e32 v199, 0x80000000, v199
.LBB96_847:
	s_andn2_saveexec_b64 s[16:17], s[16:17]
	s_cbranch_execz .LBB96_849
; %bb.848:
	v_div_scale_f64 v[212:213], s[18:19], v[196:197], v[196:197], v[198:199]
	v_rcp_f64_e32 v[214:215], v[212:213]
	v_div_scale_f64 v[216:217], vcc, v[198:199], v[196:197], v[198:199]
	v_fma_f64 v[218:219], -v[212:213], v[214:215], 1.0
	v_fmac_f64_e32 v[214:215], v[214:215], v[218:219]
	v_fma_f64 v[218:219], -v[212:213], v[214:215], 1.0
	v_fmac_f64_e32 v[214:215], v[214:215], v[218:219]
	v_mul_f64 v[218:219], v[216:217], v[214:215]
	v_fma_f64 v[212:213], -v[212:213], v[218:219], v[216:217]
	v_div_fmas_f64 v[212:213], v[212:213], v[214:215], v[218:219]
	v_div_fixup_f64 v[212:213], v[212:213], v[196:197], v[198:199]
	v_fmac_f64_e32 v[196:197], v[198:199], v[212:213]
	v_div_scale_f64 v[198:199], s[18:19], v[196:197], v[196:197], 1.0
	v_rcp_f64_e32 v[214:215], v[198:199]
	s_nop 0
	v_fma_f64 v[216:217], -v[198:199], v[214:215], 1.0
	v_fmac_f64_e32 v[214:215], v[214:215], v[216:217]
	v_fma_f64 v[216:217], -v[198:199], v[214:215], 1.0
	v_fmac_f64_e32 v[214:215], v[214:215], v[216:217]
	v_div_scale_f64 v[216:217], vcc, 1.0, v[196:197], 1.0
	v_mul_f64 v[218:219], v[216:217], v[214:215]
	v_fma_f64 v[198:199], -v[198:199], v[218:219], v[216:217]
	s_nop 1
	v_div_fmas_f64 v[198:199], v[198:199], v[214:215], v[218:219]
	v_div_fixup_f64 v[196:197], v[198:199], v[196:197], 1.0
	v_mul_f64 v[198:199], v[212:213], -v[196:197]
.LBB96_849:
	s_or_b64 exec, exec, s[16:17]
.LBB96_850:
	s_or_b64 exec, exec, s[0:1]
	v_cmp_ne_u32_e32 vcc, v209, v206
	s_and_saveexec_b64 s[0:1], vcc
	s_xor_b64 s[0:1], exec, s[0:1]
	s_cbranch_execz .LBB96_856
; %bb.851:
	v_cmp_eq_u32_e32 vcc, 40, v209
	s_and_saveexec_b64 s[16:17], vcc
	s_cbranch_execz .LBB96_855
; %bb.852:
	v_cmp_ne_u32_e32 vcc, 40, v206
	s_xor_b64 s[18:19], s[14:15], -1
	s_and_b64 s[22:23], s[18:19], vcc
	s_and_saveexec_b64 s[18:19], s[22:23]
	s_cbranch_execz .LBB96_854
; %bb.853:
	v_ashrrev_i32_e32 v207, 31, v206
	v_lshl_add_u64 v[212:213], v[206:207], 2, v[204:205]
	global_load_dword v207, v[212:213], off
	global_load_dword v209, v[204:205], off offset:160
	s_waitcnt vmcnt(1)
	global_store_dword v[204:205], v207, off offset:160
	s_waitcnt vmcnt(1)
	global_store_dword v[212:213], v209, off
.LBB96_854:
	s_or_b64 exec, exec, s[18:19]
	v_mov_b32_e32 v209, v206
	v_mov_b32_e32 v211, v206
.LBB96_855:
	s_or_b64 exec, exec, s[16:17]
.LBB96_856:
	s_andn2_saveexec_b64 s[0:1], s[0:1]
	s_cbranch_execz .LBB96_858
; %bb.857:
	v_mov_b32_e32 v209, 40
	s_waitcnt vmcnt(7)
	ds_write2_b64 v208, v[24:25], v[26:27] offset0:82 offset1:83
	s_waitcnt vmcnt(6)
	ds_write2_b64 v208, v[20:21], v[22:23] offset0:84 offset1:85
	s_waitcnt vmcnt(5)
	ds_write2_b64 v208, v[16:17], v[18:19] offset0:86 offset1:87
	s_waitcnt vmcnt(4)
	ds_write2_b64 v208, v[12:13], v[14:15] offset0:88 offset1:89
	s_waitcnt vmcnt(3)
	ds_write2_b64 v208, v[8:9], v[10:11] offset0:90 offset1:91
	s_waitcnt vmcnt(2)
	ds_write2_b64 v208, v[4:5], v[6:7] offset0:92 offset1:93
	s_waitcnt vmcnt(1)
	ds_write2_b64 v208, v[0:1], v[2:3] offset0:94 offset1:95
	s_waitcnt vmcnt(0)
	ds_write2_b64 v208, v[192:193], v[194:195] offset0:96 offset1:97
.LBB96_858:
	s_or_b64 exec, exec, s[0:1]
	v_cmp_lt_i32_e32 vcc, 40, v209
	s_waitcnt lgkmcnt(0)
	s_barrier
	s_and_saveexec_b64 s[0:1], vcc
	s_cbranch_execz .LBB96_860
; %bb.859:
	ds_read2_b64 v[212:215], v208 offset0:82 offset1:83
	v_mul_f64 v[206:207], v[196:197], v[30:31]
	v_mul_f64 v[30:31], v[198:199], v[30:31]
	v_fmac_f64_e32 v[206:207], v[198:199], v[28:29]
	v_fma_f64 v[28:29], v[196:197], v[28:29], -v[30:31]
	ds_read2_b64 v[196:199], v208 offset0:84 offset1:85
	s_waitcnt lgkmcnt(1)
	v_mul_f64 v[30:31], v[214:215], v[206:207]
	v_fma_f64 v[30:31], v[212:213], v[28:29], -v[30:31]
	v_mul_f64 v[212:213], v[212:213], v[206:207]
	v_fmac_f64_e32 v[212:213], v[214:215], v[28:29]
	s_waitcnt vmcnt(7)
	v_add_f64 v[24:25], v[24:25], -v[30:31]
	s_waitcnt lgkmcnt(0)
	v_mul_f64 v[30:31], v[198:199], v[206:207]
	v_add_f64 v[26:27], v[26:27], -v[212:213]
	v_fma_f64 v[30:31], v[196:197], v[28:29], -v[30:31]
	v_mul_f64 v[196:197], v[196:197], v[206:207]
	ds_read2_b64 v[212:215], v208 offset0:86 offset1:87
	v_fmac_f64_e32 v[196:197], v[198:199], v[28:29]
	s_waitcnt vmcnt(6)
	v_add_f64 v[22:23], v[22:23], -v[196:197]
	ds_read2_b64 v[196:199], v208 offset0:88 offset1:89
	v_add_f64 v[20:21], v[20:21], -v[30:31]
	s_waitcnt lgkmcnt(1)
	v_mul_f64 v[30:31], v[214:215], v[206:207]
	v_fma_f64 v[30:31], v[212:213], v[28:29], -v[30:31]
	v_mul_f64 v[212:213], v[212:213], v[206:207]
	v_fmac_f64_e32 v[212:213], v[214:215], v[28:29]
	s_waitcnt vmcnt(5)
	v_add_f64 v[16:17], v[16:17], -v[30:31]
	s_waitcnt lgkmcnt(0)
	v_mul_f64 v[30:31], v[198:199], v[206:207]
	v_add_f64 v[18:19], v[18:19], -v[212:213]
	v_fma_f64 v[30:31], v[196:197], v[28:29], -v[30:31]
	v_mul_f64 v[196:197], v[196:197], v[206:207]
	ds_read2_b64 v[212:215], v208 offset0:90 offset1:91
	v_fmac_f64_e32 v[196:197], v[198:199], v[28:29]
	s_waitcnt vmcnt(4)
	v_add_f64 v[14:15], v[14:15], -v[196:197]
	ds_read2_b64 v[196:199], v208 offset0:92 offset1:93
	v_add_f64 v[12:13], v[12:13], -v[30:31]
	;; [unrolled: 18-line block ×3, first 2 shown]
	s_waitcnt lgkmcnt(1)
	v_mul_f64 v[30:31], v[214:215], v[206:207]
	v_fma_f64 v[30:31], v[212:213], v[28:29], -v[30:31]
	s_waitcnt vmcnt(1)
	v_add_f64 v[0:1], v[0:1], -v[30:31]
	s_waitcnt lgkmcnt(0)
	v_mul_f64 v[30:31], v[198:199], v[206:207]
	v_mul_f64 v[212:213], v[212:213], v[206:207]
	v_fma_f64 v[30:31], v[196:197], v[28:29], -v[30:31]
	v_mul_f64 v[196:197], v[196:197], v[206:207]
	v_fmac_f64_e32 v[212:213], v[214:215], v[28:29]
	v_fmac_f64_e32 v[196:197], v[198:199], v[28:29]
	v_add_f64 v[2:3], v[2:3], -v[212:213]
	s_waitcnt vmcnt(0)
	v_add_f64 v[192:193], v[192:193], -v[30:31]
	v_add_f64 v[194:195], v[194:195], -v[196:197]
	v_mov_b64_e32 v[30:31], v[206:207]
.LBB96_860:
	s_or_b64 exec, exec, s[0:1]
	v_lshl_add_u32 v196, v209, 4, v208
	s_barrier
	s_waitcnt vmcnt(7)
	ds_write2_b64 v196, v[24:25], v[26:27] offset1:1
	s_waitcnt lgkmcnt(0)
	s_barrier
	ds_read2_b64 v[196:199], v208 offset0:82 offset1:83
	s_cmp_lt_i32 s20, 43
	v_mov_b32_e32 v206, 41
	s_cbranch_scc1 .LBB96_863
; %bb.861:
	v_add_u32_e32 v207, 0x2a0, v208
	s_mov_b32 s16, 42
	v_mov_b32_e32 v206, 41
.LBB96_862:                             ; =>This Inner Loop Header: Depth=1
	ds_read2_b64 v[212:215], v207 offset1:1
	s_waitcnt lgkmcnt(1)
	v_xor_b32_e32 v217, 0x80000000, v197
	v_xor_b32_e32 v219, 0x80000000, v199
	v_cmp_gt_f64_e32 vcc, 0, v[198:199]
	v_cmp_gt_f64_e64 s[0:1], 0, v[196:197]
	v_mov_b32_e32 v216, v196
	v_mov_b32_e32 v218, v198
	v_cndmask_b32_e64 v217, v197, v217, s[0:1]
	v_cndmask_b32_e32 v219, v199, v219, vcc
	v_add_f64 v[216:217], v[216:217], v[218:219]
	s_waitcnt lgkmcnt(0)
	v_xor_b32_e32 v219, 0x80000000, v213
	v_xor_b32_e32 v221, 0x80000000, v215
	v_cmp_gt_f64_e32 vcc, 0, v[214:215]
	v_cmp_gt_f64_e64 s[0:1], 0, v[212:213]
	v_mov_b32_e32 v218, v212
	v_mov_b32_e32 v220, v214
	v_cndmask_b32_e64 v219, v213, v219, s[0:1]
	v_cndmask_b32_e32 v221, v215, v221, vcc
	v_add_f64 v[218:219], v[218:219], v[220:221]
	v_mov_b32_e32 v222, s16
	s_add_i32 s16, s16, 1
	v_cmp_lt_f64_e32 vcc, v[216:217], v[218:219]
	v_add_u32_e32 v207, 16, v207
	s_cmp_lg_u32 s20, s16
	v_cndmask_b32_e32 v197, v197, v213, vcc
	v_cndmask_b32_e32 v196, v196, v212, vcc
	;; [unrolled: 1-line block ×5, first 2 shown]
	s_cbranch_scc1 .LBB96_862
.LBB96_863:
	s_waitcnt lgkmcnt(0)
	v_cmp_eq_f64_e32 vcc, 0, v[196:197]
	v_cmp_eq_f64_e64 s[0:1], 0, v[198:199]
	s_and_b64 s[0:1], vcc, s[0:1]
	s_and_saveexec_b64 s[16:17], s[0:1]
	s_xor_b64 s[0:1], exec, s[16:17]
; %bb.864:
	v_cmp_ne_u32_e32 vcc, 0, v210
	s_nop 1
	v_cndmask_b32_e32 v210, 42, v210, vcc
; %bb.865:
	s_andn2_saveexec_b64 s[0:1], s[0:1]
	s_cbranch_execz .LBB96_871
; %bb.866:
	v_cmp_ngt_f64_e64 s[16:17], |v[196:197]|, |v[198:199]|
	s_and_saveexec_b64 s[18:19], s[16:17]
	s_xor_b64 s[16:17], exec, s[18:19]
	s_cbranch_execz .LBB96_868
; %bb.867:
	v_div_scale_f64 v[212:213], s[18:19], v[198:199], v[198:199], v[196:197]
	v_rcp_f64_e32 v[214:215], v[212:213]
	v_div_scale_f64 v[216:217], vcc, v[196:197], v[198:199], v[196:197]
	v_fma_f64 v[218:219], -v[212:213], v[214:215], 1.0
	v_fmac_f64_e32 v[214:215], v[214:215], v[218:219]
	v_fma_f64 v[218:219], -v[212:213], v[214:215], 1.0
	v_fmac_f64_e32 v[214:215], v[214:215], v[218:219]
	v_mul_f64 v[218:219], v[216:217], v[214:215]
	v_fma_f64 v[212:213], -v[212:213], v[218:219], v[216:217]
	v_div_fmas_f64 v[212:213], v[212:213], v[214:215], v[218:219]
	v_div_fixup_f64 v[212:213], v[212:213], v[198:199], v[196:197]
	v_fmac_f64_e32 v[198:199], v[196:197], v[212:213]
	v_div_scale_f64 v[196:197], s[18:19], v[198:199], v[198:199], 1.0
	v_rcp_f64_e32 v[214:215], v[196:197]
	s_nop 0
	v_fma_f64 v[216:217], -v[196:197], v[214:215], 1.0
	v_fmac_f64_e32 v[214:215], v[214:215], v[216:217]
	v_fma_f64 v[216:217], -v[196:197], v[214:215], 1.0
	v_fmac_f64_e32 v[214:215], v[214:215], v[216:217]
	v_div_scale_f64 v[216:217], vcc, 1.0, v[198:199], 1.0
	v_mul_f64 v[218:219], v[216:217], v[214:215]
	v_fma_f64 v[196:197], -v[196:197], v[218:219], v[216:217]
	s_nop 1
	v_div_fmas_f64 v[196:197], v[196:197], v[214:215], v[218:219]
	v_div_fixup_f64 v[198:199], v[196:197], v[198:199], 1.0
	v_mul_f64 v[196:197], v[212:213], v[198:199]
	v_xor_b32_e32 v199, 0x80000000, v199
.LBB96_868:
	s_andn2_saveexec_b64 s[16:17], s[16:17]
	s_cbranch_execz .LBB96_870
; %bb.869:
	v_div_scale_f64 v[212:213], s[18:19], v[196:197], v[196:197], v[198:199]
	v_rcp_f64_e32 v[214:215], v[212:213]
	v_div_scale_f64 v[216:217], vcc, v[198:199], v[196:197], v[198:199]
	v_fma_f64 v[218:219], -v[212:213], v[214:215], 1.0
	v_fmac_f64_e32 v[214:215], v[214:215], v[218:219]
	v_fma_f64 v[218:219], -v[212:213], v[214:215], 1.0
	v_fmac_f64_e32 v[214:215], v[214:215], v[218:219]
	v_mul_f64 v[218:219], v[216:217], v[214:215]
	v_fma_f64 v[212:213], -v[212:213], v[218:219], v[216:217]
	v_div_fmas_f64 v[212:213], v[212:213], v[214:215], v[218:219]
	v_div_fixup_f64 v[212:213], v[212:213], v[196:197], v[198:199]
	v_fmac_f64_e32 v[196:197], v[198:199], v[212:213]
	v_div_scale_f64 v[198:199], s[18:19], v[196:197], v[196:197], 1.0
	v_rcp_f64_e32 v[214:215], v[198:199]
	s_nop 0
	v_fma_f64 v[216:217], -v[198:199], v[214:215], 1.0
	v_fmac_f64_e32 v[214:215], v[214:215], v[216:217]
	v_fma_f64 v[216:217], -v[198:199], v[214:215], 1.0
	v_fmac_f64_e32 v[214:215], v[214:215], v[216:217]
	v_div_scale_f64 v[216:217], vcc, 1.0, v[196:197], 1.0
	v_mul_f64 v[218:219], v[216:217], v[214:215]
	v_fma_f64 v[198:199], -v[198:199], v[218:219], v[216:217]
	s_nop 1
	v_div_fmas_f64 v[198:199], v[198:199], v[214:215], v[218:219]
	v_div_fixup_f64 v[196:197], v[198:199], v[196:197], 1.0
	v_mul_f64 v[198:199], v[212:213], -v[196:197]
.LBB96_870:
	s_or_b64 exec, exec, s[16:17]
.LBB96_871:
	s_or_b64 exec, exec, s[0:1]
	v_cmp_ne_u32_e32 vcc, v209, v206
	s_and_saveexec_b64 s[0:1], vcc
	s_xor_b64 s[0:1], exec, s[0:1]
	s_cbranch_execz .LBB96_877
; %bb.872:
	v_cmp_eq_u32_e32 vcc, 41, v209
	s_and_saveexec_b64 s[16:17], vcc
	s_cbranch_execz .LBB96_876
; %bb.873:
	v_cmp_ne_u32_e32 vcc, 41, v206
	s_xor_b64 s[18:19], s[14:15], -1
	s_and_b64 s[22:23], s[18:19], vcc
	s_and_saveexec_b64 s[18:19], s[22:23]
	s_cbranch_execz .LBB96_875
; %bb.874:
	v_ashrrev_i32_e32 v207, 31, v206
	v_lshl_add_u64 v[212:213], v[206:207], 2, v[204:205]
	global_load_dword v207, v[212:213], off
	global_load_dword v209, v[204:205], off offset:164
	s_waitcnt vmcnt(1)
	global_store_dword v[204:205], v207, off offset:164
	s_waitcnt vmcnt(1)
	global_store_dword v[212:213], v209, off
.LBB96_875:
	s_or_b64 exec, exec, s[18:19]
	v_mov_b32_e32 v209, v206
	v_mov_b32_e32 v211, v206
.LBB96_876:
	s_or_b64 exec, exec, s[16:17]
.LBB96_877:
	s_andn2_saveexec_b64 s[0:1], s[0:1]
	s_cbranch_execz .LBB96_879
; %bb.878:
	v_mov_b32_e32 v209, 41
	s_waitcnt vmcnt(6)
	ds_write2_b64 v208, v[20:21], v[22:23] offset0:84 offset1:85
	s_waitcnt vmcnt(5)
	ds_write2_b64 v208, v[16:17], v[18:19] offset0:86 offset1:87
	;; [unrolled: 2-line block ×7, first 2 shown]
.LBB96_879:
	s_or_b64 exec, exec, s[0:1]
	v_cmp_lt_i32_e32 vcc, 41, v209
	s_waitcnt lgkmcnt(0)
	s_barrier
	s_and_saveexec_b64 s[0:1], vcc
	s_cbranch_execz .LBB96_881
; %bb.880:
	ds_read2_b64 v[212:215], v208 offset0:84 offset1:85
	v_mul_f64 v[206:207], v[196:197], v[26:27]
	v_fmac_f64_e32 v[206:207], v[198:199], v[24:25]
	v_mul_f64 v[26:27], v[198:199], v[26:27]
	v_fma_f64 v[24:25], v[196:197], v[24:25], -v[26:27]
	ds_read2_b64 v[196:199], v208 offset0:86 offset1:87
	s_waitcnt lgkmcnt(1)
	v_mul_f64 v[26:27], v[214:215], v[206:207]
	v_fma_f64 v[26:27], v[212:213], v[24:25], -v[26:27]
	v_mul_f64 v[212:213], v[212:213], v[206:207]
	v_fmac_f64_e32 v[212:213], v[214:215], v[24:25]
	s_waitcnt vmcnt(6)
	v_add_f64 v[22:23], v[22:23], -v[212:213]
	ds_read2_b64 v[212:215], v208 offset0:88 offset1:89
	v_add_f64 v[20:21], v[20:21], -v[26:27]
	s_waitcnt lgkmcnt(1)
	v_mul_f64 v[26:27], v[198:199], v[206:207]
	v_fma_f64 v[26:27], v[196:197], v[24:25], -v[26:27]
	v_mul_f64 v[196:197], v[196:197], v[206:207]
	v_fmac_f64_e32 v[196:197], v[198:199], v[24:25]
	s_waitcnt vmcnt(5)
	v_add_f64 v[16:17], v[16:17], -v[26:27]
	v_add_f64 v[18:19], v[18:19], -v[196:197]
	ds_read2_b64 v[196:199], v208 offset0:90 offset1:91
	s_waitcnt lgkmcnt(1)
	v_mul_f64 v[26:27], v[214:215], v[206:207]
	v_fma_f64 v[26:27], v[212:213], v[24:25], -v[26:27]
	v_mul_f64 v[212:213], v[212:213], v[206:207]
	v_fmac_f64_e32 v[212:213], v[214:215], v[24:25]
	s_waitcnt vmcnt(4)
	v_add_f64 v[14:15], v[14:15], -v[212:213]
	ds_read2_b64 v[212:215], v208 offset0:92 offset1:93
	v_add_f64 v[12:13], v[12:13], -v[26:27]
	s_waitcnt lgkmcnt(1)
	v_mul_f64 v[26:27], v[198:199], v[206:207]
	v_fma_f64 v[26:27], v[196:197], v[24:25], -v[26:27]
	v_mul_f64 v[196:197], v[196:197], v[206:207]
	v_fmac_f64_e32 v[196:197], v[198:199], v[24:25]
	s_waitcnt vmcnt(3)
	v_add_f64 v[8:9], v[8:9], -v[26:27]
	v_add_f64 v[10:11], v[10:11], -v[196:197]
	;; [unrolled: 18-line block ×3, first 2 shown]
	s_waitcnt lgkmcnt(0)
	v_mul_f64 v[26:27], v[214:215], v[206:207]
	v_mul_f64 v[196:197], v[212:213], v[206:207]
	v_fma_f64 v[26:27], v[212:213], v[24:25], -v[26:27]
	v_fmac_f64_e32 v[196:197], v[214:215], v[24:25]
	s_waitcnt vmcnt(0)
	v_add_f64 v[192:193], v[192:193], -v[26:27]
	v_add_f64 v[194:195], v[194:195], -v[196:197]
	v_mov_b64_e32 v[26:27], v[206:207]
.LBB96_881:
	s_or_b64 exec, exec, s[0:1]
	v_lshl_add_u32 v196, v209, 4, v208
	s_barrier
	s_waitcnt vmcnt(6)
	ds_write2_b64 v196, v[20:21], v[22:23] offset1:1
	s_waitcnt lgkmcnt(0)
	s_barrier
	ds_read2_b64 v[196:199], v208 offset0:84 offset1:85
	s_cmp_lt_i32 s20, 44
	v_mov_b32_e32 v206, 42
	s_cbranch_scc1 .LBB96_884
; %bb.882:
	v_add_u32_e32 v207, 0x2b0, v208
	s_mov_b32 s16, 43
	v_mov_b32_e32 v206, 42
.LBB96_883:                             ; =>This Inner Loop Header: Depth=1
	ds_read2_b64 v[212:215], v207 offset1:1
	s_waitcnt lgkmcnt(1)
	v_xor_b32_e32 v217, 0x80000000, v197
	v_xor_b32_e32 v219, 0x80000000, v199
	v_cmp_gt_f64_e32 vcc, 0, v[198:199]
	v_cmp_gt_f64_e64 s[0:1], 0, v[196:197]
	v_mov_b32_e32 v216, v196
	v_mov_b32_e32 v218, v198
	v_cndmask_b32_e64 v217, v197, v217, s[0:1]
	v_cndmask_b32_e32 v219, v199, v219, vcc
	v_add_f64 v[216:217], v[216:217], v[218:219]
	s_waitcnt lgkmcnt(0)
	v_xor_b32_e32 v219, 0x80000000, v213
	v_xor_b32_e32 v221, 0x80000000, v215
	v_cmp_gt_f64_e32 vcc, 0, v[214:215]
	v_cmp_gt_f64_e64 s[0:1], 0, v[212:213]
	v_mov_b32_e32 v218, v212
	v_mov_b32_e32 v220, v214
	v_cndmask_b32_e64 v219, v213, v219, s[0:1]
	v_cndmask_b32_e32 v221, v215, v221, vcc
	v_add_f64 v[218:219], v[218:219], v[220:221]
	v_mov_b32_e32 v222, s16
	s_add_i32 s16, s16, 1
	v_cmp_lt_f64_e32 vcc, v[216:217], v[218:219]
	v_add_u32_e32 v207, 16, v207
	s_cmp_lg_u32 s20, s16
	v_cndmask_b32_e32 v197, v197, v213, vcc
	v_cndmask_b32_e32 v196, v196, v212, vcc
	;; [unrolled: 1-line block ×5, first 2 shown]
	s_cbranch_scc1 .LBB96_883
.LBB96_884:
	s_waitcnt lgkmcnt(0)
	v_cmp_eq_f64_e32 vcc, 0, v[196:197]
	v_cmp_eq_f64_e64 s[0:1], 0, v[198:199]
	s_and_b64 s[0:1], vcc, s[0:1]
	s_and_saveexec_b64 s[16:17], s[0:1]
	s_xor_b64 s[0:1], exec, s[16:17]
; %bb.885:
	v_cmp_ne_u32_e32 vcc, 0, v210
	s_nop 1
	v_cndmask_b32_e32 v210, 43, v210, vcc
; %bb.886:
	s_andn2_saveexec_b64 s[0:1], s[0:1]
	s_cbranch_execz .LBB96_892
; %bb.887:
	v_cmp_ngt_f64_e64 s[16:17], |v[196:197]|, |v[198:199]|
	s_and_saveexec_b64 s[18:19], s[16:17]
	s_xor_b64 s[16:17], exec, s[18:19]
	s_cbranch_execz .LBB96_889
; %bb.888:
	v_div_scale_f64 v[212:213], s[18:19], v[198:199], v[198:199], v[196:197]
	v_rcp_f64_e32 v[214:215], v[212:213]
	v_div_scale_f64 v[216:217], vcc, v[196:197], v[198:199], v[196:197]
	v_fma_f64 v[218:219], -v[212:213], v[214:215], 1.0
	v_fmac_f64_e32 v[214:215], v[214:215], v[218:219]
	v_fma_f64 v[218:219], -v[212:213], v[214:215], 1.0
	v_fmac_f64_e32 v[214:215], v[214:215], v[218:219]
	v_mul_f64 v[218:219], v[216:217], v[214:215]
	v_fma_f64 v[212:213], -v[212:213], v[218:219], v[216:217]
	v_div_fmas_f64 v[212:213], v[212:213], v[214:215], v[218:219]
	v_div_fixup_f64 v[212:213], v[212:213], v[198:199], v[196:197]
	v_fmac_f64_e32 v[198:199], v[196:197], v[212:213]
	v_div_scale_f64 v[196:197], s[18:19], v[198:199], v[198:199], 1.0
	v_rcp_f64_e32 v[214:215], v[196:197]
	s_nop 0
	v_fma_f64 v[216:217], -v[196:197], v[214:215], 1.0
	v_fmac_f64_e32 v[214:215], v[214:215], v[216:217]
	v_fma_f64 v[216:217], -v[196:197], v[214:215], 1.0
	v_fmac_f64_e32 v[214:215], v[214:215], v[216:217]
	v_div_scale_f64 v[216:217], vcc, 1.0, v[198:199], 1.0
	v_mul_f64 v[218:219], v[216:217], v[214:215]
	v_fma_f64 v[196:197], -v[196:197], v[218:219], v[216:217]
	s_nop 1
	v_div_fmas_f64 v[196:197], v[196:197], v[214:215], v[218:219]
	v_div_fixup_f64 v[198:199], v[196:197], v[198:199], 1.0
	v_mul_f64 v[196:197], v[212:213], v[198:199]
	v_xor_b32_e32 v199, 0x80000000, v199
.LBB96_889:
	s_andn2_saveexec_b64 s[16:17], s[16:17]
	s_cbranch_execz .LBB96_891
; %bb.890:
	v_div_scale_f64 v[212:213], s[18:19], v[196:197], v[196:197], v[198:199]
	v_rcp_f64_e32 v[214:215], v[212:213]
	v_div_scale_f64 v[216:217], vcc, v[198:199], v[196:197], v[198:199]
	v_fma_f64 v[218:219], -v[212:213], v[214:215], 1.0
	v_fmac_f64_e32 v[214:215], v[214:215], v[218:219]
	v_fma_f64 v[218:219], -v[212:213], v[214:215], 1.0
	v_fmac_f64_e32 v[214:215], v[214:215], v[218:219]
	v_mul_f64 v[218:219], v[216:217], v[214:215]
	v_fma_f64 v[212:213], -v[212:213], v[218:219], v[216:217]
	v_div_fmas_f64 v[212:213], v[212:213], v[214:215], v[218:219]
	v_div_fixup_f64 v[212:213], v[212:213], v[196:197], v[198:199]
	v_fmac_f64_e32 v[196:197], v[198:199], v[212:213]
	v_div_scale_f64 v[198:199], s[18:19], v[196:197], v[196:197], 1.0
	v_rcp_f64_e32 v[214:215], v[198:199]
	s_nop 0
	v_fma_f64 v[216:217], -v[198:199], v[214:215], 1.0
	v_fmac_f64_e32 v[214:215], v[214:215], v[216:217]
	v_fma_f64 v[216:217], -v[198:199], v[214:215], 1.0
	v_fmac_f64_e32 v[214:215], v[214:215], v[216:217]
	v_div_scale_f64 v[216:217], vcc, 1.0, v[196:197], 1.0
	v_mul_f64 v[218:219], v[216:217], v[214:215]
	v_fma_f64 v[198:199], -v[198:199], v[218:219], v[216:217]
	s_nop 1
	v_div_fmas_f64 v[198:199], v[198:199], v[214:215], v[218:219]
	v_div_fixup_f64 v[196:197], v[198:199], v[196:197], 1.0
	v_mul_f64 v[198:199], v[212:213], -v[196:197]
.LBB96_891:
	s_or_b64 exec, exec, s[16:17]
.LBB96_892:
	s_or_b64 exec, exec, s[0:1]
	v_cmp_ne_u32_e32 vcc, v209, v206
	s_and_saveexec_b64 s[0:1], vcc
	s_xor_b64 s[0:1], exec, s[0:1]
	s_cbranch_execz .LBB96_898
; %bb.893:
	v_cmp_eq_u32_e32 vcc, 42, v209
	s_and_saveexec_b64 s[16:17], vcc
	s_cbranch_execz .LBB96_897
; %bb.894:
	v_cmp_ne_u32_e32 vcc, 42, v206
	s_xor_b64 s[18:19], s[14:15], -1
	s_and_b64 s[22:23], s[18:19], vcc
	s_and_saveexec_b64 s[18:19], s[22:23]
	s_cbranch_execz .LBB96_896
; %bb.895:
	v_ashrrev_i32_e32 v207, 31, v206
	v_lshl_add_u64 v[212:213], v[206:207], 2, v[204:205]
	global_load_dword v207, v[212:213], off
	global_load_dword v209, v[204:205], off offset:168
	s_waitcnt vmcnt(1)
	global_store_dword v[204:205], v207, off offset:168
	s_waitcnt vmcnt(1)
	global_store_dword v[212:213], v209, off
.LBB96_896:
	s_or_b64 exec, exec, s[18:19]
	v_mov_b32_e32 v209, v206
	v_mov_b32_e32 v211, v206
.LBB96_897:
	s_or_b64 exec, exec, s[16:17]
.LBB96_898:
	s_andn2_saveexec_b64 s[0:1], s[0:1]
	s_cbranch_execz .LBB96_900
; %bb.899:
	v_mov_b32_e32 v209, 42
	s_waitcnt vmcnt(5)
	ds_write2_b64 v208, v[16:17], v[18:19] offset0:86 offset1:87
	s_waitcnt vmcnt(4)
	ds_write2_b64 v208, v[12:13], v[14:15] offset0:88 offset1:89
	s_waitcnt vmcnt(3)
	ds_write2_b64 v208, v[8:9], v[10:11] offset0:90 offset1:91
	s_waitcnt vmcnt(2)
	ds_write2_b64 v208, v[4:5], v[6:7] offset0:92 offset1:93
	s_waitcnt vmcnt(1)
	ds_write2_b64 v208, v[0:1], v[2:3] offset0:94 offset1:95
	s_waitcnt vmcnt(0)
	ds_write2_b64 v208, v[192:193], v[194:195] offset0:96 offset1:97
.LBB96_900:
	s_or_b64 exec, exec, s[0:1]
	v_cmp_lt_i32_e32 vcc, 42, v209
	s_waitcnt lgkmcnt(0)
	s_barrier
	s_and_saveexec_b64 s[0:1], vcc
	s_cbranch_execz .LBB96_902
; %bb.901:
	ds_read2_b64 v[212:215], v208 offset0:86 offset1:87
	v_mul_f64 v[206:207], v[196:197], v[22:23]
	v_mul_f64 v[22:23], v[198:199], v[22:23]
	v_fmac_f64_e32 v[206:207], v[198:199], v[20:21]
	v_fma_f64 v[20:21], v[196:197], v[20:21], -v[22:23]
	ds_read2_b64 v[196:199], v208 offset0:88 offset1:89
	s_waitcnt lgkmcnt(1)
	v_mul_f64 v[22:23], v[214:215], v[206:207]
	v_fma_f64 v[22:23], v[212:213], v[20:21], -v[22:23]
	v_mul_f64 v[212:213], v[212:213], v[206:207]
	v_fmac_f64_e32 v[212:213], v[214:215], v[20:21]
	s_waitcnt vmcnt(5)
	v_add_f64 v[16:17], v[16:17], -v[22:23]
	s_waitcnt lgkmcnt(0)
	v_mul_f64 v[22:23], v[198:199], v[206:207]
	v_add_f64 v[18:19], v[18:19], -v[212:213]
	v_fma_f64 v[22:23], v[196:197], v[20:21], -v[22:23]
	v_mul_f64 v[196:197], v[196:197], v[206:207]
	ds_read2_b64 v[212:215], v208 offset0:90 offset1:91
	v_fmac_f64_e32 v[196:197], v[198:199], v[20:21]
	s_waitcnt vmcnt(4)
	v_add_f64 v[14:15], v[14:15], -v[196:197]
	ds_read2_b64 v[196:199], v208 offset0:92 offset1:93
	v_add_f64 v[12:13], v[12:13], -v[22:23]
	s_waitcnt lgkmcnt(1)
	v_mul_f64 v[22:23], v[214:215], v[206:207]
	v_fma_f64 v[22:23], v[212:213], v[20:21], -v[22:23]
	v_mul_f64 v[212:213], v[212:213], v[206:207]
	v_fmac_f64_e32 v[212:213], v[214:215], v[20:21]
	s_waitcnt vmcnt(3)
	v_add_f64 v[8:9], v[8:9], -v[22:23]
	s_waitcnt lgkmcnt(0)
	v_mul_f64 v[22:23], v[198:199], v[206:207]
	v_add_f64 v[10:11], v[10:11], -v[212:213]
	v_fma_f64 v[22:23], v[196:197], v[20:21], -v[22:23]
	v_mul_f64 v[196:197], v[196:197], v[206:207]
	ds_read2_b64 v[212:215], v208 offset0:94 offset1:95
	v_fmac_f64_e32 v[196:197], v[198:199], v[20:21]
	s_waitcnt vmcnt(2)
	v_add_f64 v[6:7], v[6:7], -v[196:197]
	ds_read2_b64 v[196:199], v208 offset0:96 offset1:97
	v_add_f64 v[4:5], v[4:5], -v[22:23]
	s_waitcnt lgkmcnt(1)
	v_mul_f64 v[22:23], v[214:215], v[206:207]
	v_fma_f64 v[22:23], v[212:213], v[20:21], -v[22:23]
	s_waitcnt vmcnt(1)
	v_add_f64 v[0:1], v[0:1], -v[22:23]
	s_waitcnt lgkmcnt(0)
	v_mul_f64 v[22:23], v[198:199], v[206:207]
	v_mul_f64 v[212:213], v[212:213], v[206:207]
	v_fma_f64 v[22:23], v[196:197], v[20:21], -v[22:23]
	v_mul_f64 v[196:197], v[196:197], v[206:207]
	v_fmac_f64_e32 v[212:213], v[214:215], v[20:21]
	v_fmac_f64_e32 v[196:197], v[198:199], v[20:21]
	v_add_f64 v[2:3], v[2:3], -v[212:213]
	s_waitcnt vmcnt(0)
	v_add_f64 v[192:193], v[192:193], -v[22:23]
	v_add_f64 v[194:195], v[194:195], -v[196:197]
	v_mov_b64_e32 v[22:23], v[206:207]
.LBB96_902:
	s_or_b64 exec, exec, s[0:1]
	v_lshl_add_u32 v196, v209, 4, v208
	s_barrier
	s_waitcnt vmcnt(5)
	ds_write2_b64 v196, v[16:17], v[18:19] offset1:1
	s_waitcnt lgkmcnt(0)
	s_barrier
	ds_read2_b64 v[196:199], v208 offset0:86 offset1:87
	s_cmp_lt_i32 s20, 45
	v_mov_b32_e32 v206, 43
	s_cbranch_scc1 .LBB96_905
; %bb.903:
	v_add_u32_e32 v207, 0x2c0, v208
	s_mov_b32 s16, 44
	v_mov_b32_e32 v206, 43
.LBB96_904:                             ; =>This Inner Loop Header: Depth=1
	ds_read2_b64 v[212:215], v207 offset1:1
	s_waitcnt lgkmcnt(1)
	v_xor_b32_e32 v217, 0x80000000, v197
	v_xor_b32_e32 v219, 0x80000000, v199
	v_cmp_gt_f64_e32 vcc, 0, v[198:199]
	v_cmp_gt_f64_e64 s[0:1], 0, v[196:197]
	v_mov_b32_e32 v216, v196
	v_mov_b32_e32 v218, v198
	v_cndmask_b32_e64 v217, v197, v217, s[0:1]
	v_cndmask_b32_e32 v219, v199, v219, vcc
	v_add_f64 v[216:217], v[216:217], v[218:219]
	s_waitcnt lgkmcnt(0)
	v_xor_b32_e32 v219, 0x80000000, v213
	v_xor_b32_e32 v221, 0x80000000, v215
	v_cmp_gt_f64_e32 vcc, 0, v[214:215]
	v_cmp_gt_f64_e64 s[0:1], 0, v[212:213]
	v_mov_b32_e32 v218, v212
	v_mov_b32_e32 v220, v214
	v_cndmask_b32_e64 v219, v213, v219, s[0:1]
	v_cndmask_b32_e32 v221, v215, v221, vcc
	v_add_f64 v[218:219], v[218:219], v[220:221]
	v_mov_b32_e32 v222, s16
	s_add_i32 s16, s16, 1
	v_cmp_lt_f64_e32 vcc, v[216:217], v[218:219]
	v_add_u32_e32 v207, 16, v207
	s_cmp_lg_u32 s20, s16
	v_cndmask_b32_e32 v197, v197, v213, vcc
	v_cndmask_b32_e32 v196, v196, v212, vcc
	;; [unrolled: 1-line block ×5, first 2 shown]
	s_cbranch_scc1 .LBB96_904
.LBB96_905:
	s_waitcnt lgkmcnt(0)
	v_cmp_eq_f64_e32 vcc, 0, v[196:197]
	v_cmp_eq_f64_e64 s[0:1], 0, v[198:199]
	s_and_b64 s[0:1], vcc, s[0:1]
	s_and_saveexec_b64 s[16:17], s[0:1]
	s_xor_b64 s[0:1], exec, s[16:17]
; %bb.906:
	v_cmp_ne_u32_e32 vcc, 0, v210
	s_nop 1
	v_cndmask_b32_e32 v210, 44, v210, vcc
; %bb.907:
	s_andn2_saveexec_b64 s[0:1], s[0:1]
	s_cbranch_execz .LBB96_913
; %bb.908:
	v_cmp_ngt_f64_e64 s[16:17], |v[196:197]|, |v[198:199]|
	s_and_saveexec_b64 s[18:19], s[16:17]
	s_xor_b64 s[16:17], exec, s[18:19]
	s_cbranch_execz .LBB96_910
; %bb.909:
	v_div_scale_f64 v[212:213], s[18:19], v[198:199], v[198:199], v[196:197]
	v_rcp_f64_e32 v[214:215], v[212:213]
	v_div_scale_f64 v[216:217], vcc, v[196:197], v[198:199], v[196:197]
	v_fma_f64 v[218:219], -v[212:213], v[214:215], 1.0
	v_fmac_f64_e32 v[214:215], v[214:215], v[218:219]
	v_fma_f64 v[218:219], -v[212:213], v[214:215], 1.0
	v_fmac_f64_e32 v[214:215], v[214:215], v[218:219]
	v_mul_f64 v[218:219], v[216:217], v[214:215]
	v_fma_f64 v[212:213], -v[212:213], v[218:219], v[216:217]
	v_div_fmas_f64 v[212:213], v[212:213], v[214:215], v[218:219]
	v_div_fixup_f64 v[212:213], v[212:213], v[198:199], v[196:197]
	v_fmac_f64_e32 v[198:199], v[196:197], v[212:213]
	v_div_scale_f64 v[196:197], s[18:19], v[198:199], v[198:199], 1.0
	v_rcp_f64_e32 v[214:215], v[196:197]
	s_nop 0
	v_fma_f64 v[216:217], -v[196:197], v[214:215], 1.0
	v_fmac_f64_e32 v[214:215], v[214:215], v[216:217]
	v_fma_f64 v[216:217], -v[196:197], v[214:215], 1.0
	v_fmac_f64_e32 v[214:215], v[214:215], v[216:217]
	v_div_scale_f64 v[216:217], vcc, 1.0, v[198:199], 1.0
	v_mul_f64 v[218:219], v[216:217], v[214:215]
	v_fma_f64 v[196:197], -v[196:197], v[218:219], v[216:217]
	s_nop 1
	v_div_fmas_f64 v[196:197], v[196:197], v[214:215], v[218:219]
	v_div_fixup_f64 v[198:199], v[196:197], v[198:199], 1.0
	v_mul_f64 v[196:197], v[212:213], v[198:199]
	v_xor_b32_e32 v199, 0x80000000, v199
.LBB96_910:
	s_andn2_saveexec_b64 s[16:17], s[16:17]
	s_cbranch_execz .LBB96_912
; %bb.911:
	v_div_scale_f64 v[212:213], s[18:19], v[196:197], v[196:197], v[198:199]
	v_rcp_f64_e32 v[214:215], v[212:213]
	v_div_scale_f64 v[216:217], vcc, v[198:199], v[196:197], v[198:199]
	v_fma_f64 v[218:219], -v[212:213], v[214:215], 1.0
	v_fmac_f64_e32 v[214:215], v[214:215], v[218:219]
	v_fma_f64 v[218:219], -v[212:213], v[214:215], 1.0
	v_fmac_f64_e32 v[214:215], v[214:215], v[218:219]
	v_mul_f64 v[218:219], v[216:217], v[214:215]
	v_fma_f64 v[212:213], -v[212:213], v[218:219], v[216:217]
	v_div_fmas_f64 v[212:213], v[212:213], v[214:215], v[218:219]
	v_div_fixup_f64 v[212:213], v[212:213], v[196:197], v[198:199]
	v_fmac_f64_e32 v[196:197], v[198:199], v[212:213]
	v_div_scale_f64 v[198:199], s[18:19], v[196:197], v[196:197], 1.0
	v_rcp_f64_e32 v[214:215], v[198:199]
	s_nop 0
	v_fma_f64 v[216:217], -v[198:199], v[214:215], 1.0
	v_fmac_f64_e32 v[214:215], v[214:215], v[216:217]
	v_fma_f64 v[216:217], -v[198:199], v[214:215], 1.0
	v_fmac_f64_e32 v[214:215], v[214:215], v[216:217]
	v_div_scale_f64 v[216:217], vcc, 1.0, v[196:197], 1.0
	v_mul_f64 v[218:219], v[216:217], v[214:215]
	v_fma_f64 v[198:199], -v[198:199], v[218:219], v[216:217]
	s_nop 1
	v_div_fmas_f64 v[198:199], v[198:199], v[214:215], v[218:219]
	v_div_fixup_f64 v[196:197], v[198:199], v[196:197], 1.0
	v_mul_f64 v[198:199], v[212:213], -v[196:197]
.LBB96_912:
	s_or_b64 exec, exec, s[16:17]
.LBB96_913:
	s_or_b64 exec, exec, s[0:1]
	v_cmp_ne_u32_e32 vcc, v209, v206
	s_and_saveexec_b64 s[0:1], vcc
	s_xor_b64 s[0:1], exec, s[0:1]
	s_cbranch_execz .LBB96_919
; %bb.914:
	v_cmp_eq_u32_e32 vcc, 43, v209
	s_and_saveexec_b64 s[16:17], vcc
	s_cbranch_execz .LBB96_918
; %bb.915:
	v_cmp_ne_u32_e32 vcc, 43, v206
	s_xor_b64 s[18:19], s[14:15], -1
	s_and_b64 s[22:23], s[18:19], vcc
	s_and_saveexec_b64 s[18:19], s[22:23]
	s_cbranch_execz .LBB96_917
; %bb.916:
	v_ashrrev_i32_e32 v207, 31, v206
	v_lshl_add_u64 v[212:213], v[206:207], 2, v[204:205]
	global_load_dword v207, v[212:213], off
	global_load_dword v209, v[204:205], off offset:172
	s_waitcnt vmcnt(1)
	global_store_dword v[204:205], v207, off offset:172
	s_waitcnt vmcnt(1)
	global_store_dword v[212:213], v209, off
.LBB96_917:
	s_or_b64 exec, exec, s[18:19]
	v_mov_b32_e32 v209, v206
	v_mov_b32_e32 v211, v206
.LBB96_918:
	s_or_b64 exec, exec, s[16:17]
.LBB96_919:
	s_andn2_saveexec_b64 s[0:1], s[0:1]
	s_cbranch_execz .LBB96_921
; %bb.920:
	v_mov_b32_e32 v209, 43
	s_waitcnt vmcnt(4)
	ds_write2_b64 v208, v[12:13], v[14:15] offset0:88 offset1:89
	s_waitcnt vmcnt(3)
	ds_write2_b64 v208, v[8:9], v[10:11] offset0:90 offset1:91
	;; [unrolled: 2-line block ×5, first 2 shown]
.LBB96_921:
	s_or_b64 exec, exec, s[0:1]
	v_cmp_lt_i32_e32 vcc, 43, v209
	s_waitcnt lgkmcnt(0)
	s_barrier
	s_and_saveexec_b64 s[0:1], vcc
	s_cbranch_execz .LBB96_923
; %bb.922:
	ds_read2_b64 v[212:215], v208 offset0:88 offset1:89
	v_mul_f64 v[206:207], v[196:197], v[18:19]
	v_fmac_f64_e32 v[206:207], v[198:199], v[16:17]
	v_mul_f64 v[18:19], v[198:199], v[18:19]
	v_fma_f64 v[16:17], v[196:197], v[16:17], -v[18:19]
	ds_read2_b64 v[196:199], v208 offset0:90 offset1:91
	s_waitcnt lgkmcnt(1)
	v_mul_f64 v[18:19], v[214:215], v[206:207]
	v_fma_f64 v[18:19], v[212:213], v[16:17], -v[18:19]
	v_mul_f64 v[212:213], v[212:213], v[206:207]
	v_fmac_f64_e32 v[212:213], v[214:215], v[16:17]
	s_waitcnt vmcnt(4)
	v_add_f64 v[14:15], v[14:15], -v[212:213]
	ds_read2_b64 v[212:215], v208 offset0:92 offset1:93
	v_add_f64 v[12:13], v[12:13], -v[18:19]
	s_waitcnt lgkmcnt(1)
	v_mul_f64 v[18:19], v[198:199], v[206:207]
	v_fma_f64 v[18:19], v[196:197], v[16:17], -v[18:19]
	v_mul_f64 v[196:197], v[196:197], v[206:207]
	v_fmac_f64_e32 v[196:197], v[198:199], v[16:17]
	s_waitcnt vmcnt(3)
	v_add_f64 v[8:9], v[8:9], -v[18:19]
	v_add_f64 v[10:11], v[10:11], -v[196:197]
	ds_read2_b64 v[196:199], v208 offset0:94 offset1:95
	s_waitcnt lgkmcnt(1)
	v_mul_f64 v[18:19], v[214:215], v[206:207]
	v_fma_f64 v[18:19], v[212:213], v[16:17], -v[18:19]
	v_mul_f64 v[212:213], v[212:213], v[206:207]
	v_fmac_f64_e32 v[212:213], v[214:215], v[16:17]
	s_waitcnt vmcnt(2)
	v_add_f64 v[6:7], v[6:7], -v[212:213]
	ds_read2_b64 v[212:215], v208 offset0:96 offset1:97
	v_add_f64 v[4:5], v[4:5], -v[18:19]
	s_waitcnt lgkmcnt(1)
	v_mul_f64 v[18:19], v[198:199], v[206:207]
	v_fma_f64 v[18:19], v[196:197], v[16:17], -v[18:19]
	v_mul_f64 v[196:197], v[196:197], v[206:207]
	v_fmac_f64_e32 v[196:197], v[198:199], v[16:17]
	s_waitcnt vmcnt(1)
	v_add_f64 v[0:1], v[0:1], -v[18:19]
	v_add_f64 v[2:3], v[2:3], -v[196:197]
	s_waitcnt lgkmcnt(0)
	v_mul_f64 v[18:19], v[214:215], v[206:207]
	v_mul_f64 v[196:197], v[212:213], v[206:207]
	v_fma_f64 v[18:19], v[212:213], v[16:17], -v[18:19]
	v_fmac_f64_e32 v[196:197], v[214:215], v[16:17]
	s_waitcnt vmcnt(0)
	v_add_f64 v[192:193], v[192:193], -v[18:19]
	v_add_f64 v[194:195], v[194:195], -v[196:197]
	v_mov_b64_e32 v[18:19], v[206:207]
.LBB96_923:
	s_or_b64 exec, exec, s[0:1]
	v_lshl_add_u32 v196, v209, 4, v208
	s_barrier
	s_waitcnt vmcnt(4)
	ds_write2_b64 v196, v[12:13], v[14:15] offset1:1
	s_waitcnt lgkmcnt(0)
	s_barrier
	ds_read2_b64 v[196:199], v208 offset0:88 offset1:89
	s_cmp_lt_i32 s20, 46
	v_mov_b32_e32 v206, 44
	s_cbranch_scc1 .LBB96_926
; %bb.924:
	v_add_u32_e32 v207, 0x2d0, v208
	s_mov_b32 s16, 45
	v_mov_b32_e32 v206, 44
.LBB96_925:                             ; =>This Inner Loop Header: Depth=1
	ds_read2_b64 v[212:215], v207 offset1:1
	s_waitcnt lgkmcnt(1)
	v_xor_b32_e32 v217, 0x80000000, v197
	v_xor_b32_e32 v219, 0x80000000, v199
	v_cmp_gt_f64_e32 vcc, 0, v[198:199]
	v_cmp_gt_f64_e64 s[0:1], 0, v[196:197]
	v_mov_b32_e32 v216, v196
	v_mov_b32_e32 v218, v198
	v_cndmask_b32_e64 v217, v197, v217, s[0:1]
	v_cndmask_b32_e32 v219, v199, v219, vcc
	v_add_f64 v[216:217], v[216:217], v[218:219]
	s_waitcnt lgkmcnt(0)
	v_xor_b32_e32 v219, 0x80000000, v213
	v_xor_b32_e32 v221, 0x80000000, v215
	v_cmp_gt_f64_e32 vcc, 0, v[214:215]
	v_cmp_gt_f64_e64 s[0:1], 0, v[212:213]
	v_mov_b32_e32 v218, v212
	v_mov_b32_e32 v220, v214
	v_cndmask_b32_e64 v219, v213, v219, s[0:1]
	v_cndmask_b32_e32 v221, v215, v221, vcc
	v_add_f64 v[218:219], v[218:219], v[220:221]
	v_mov_b32_e32 v222, s16
	s_add_i32 s16, s16, 1
	v_cmp_lt_f64_e32 vcc, v[216:217], v[218:219]
	v_add_u32_e32 v207, 16, v207
	s_cmp_lg_u32 s20, s16
	v_cndmask_b32_e32 v197, v197, v213, vcc
	v_cndmask_b32_e32 v196, v196, v212, vcc
	;; [unrolled: 1-line block ×5, first 2 shown]
	s_cbranch_scc1 .LBB96_925
.LBB96_926:
	s_waitcnt lgkmcnt(0)
	v_cmp_eq_f64_e32 vcc, 0, v[196:197]
	v_cmp_eq_f64_e64 s[0:1], 0, v[198:199]
	s_and_b64 s[0:1], vcc, s[0:1]
	s_and_saveexec_b64 s[16:17], s[0:1]
	s_xor_b64 s[0:1], exec, s[16:17]
; %bb.927:
	v_cmp_ne_u32_e32 vcc, 0, v210
	s_nop 1
	v_cndmask_b32_e32 v210, 45, v210, vcc
; %bb.928:
	s_andn2_saveexec_b64 s[0:1], s[0:1]
	s_cbranch_execz .LBB96_934
; %bb.929:
	v_cmp_ngt_f64_e64 s[16:17], |v[196:197]|, |v[198:199]|
	s_and_saveexec_b64 s[18:19], s[16:17]
	s_xor_b64 s[16:17], exec, s[18:19]
	s_cbranch_execz .LBB96_931
; %bb.930:
	v_div_scale_f64 v[212:213], s[18:19], v[198:199], v[198:199], v[196:197]
	v_rcp_f64_e32 v[214:215], v[212:213]
	v_div_scale_f64 v[216:217], vcc, v[196:197], v[198:199], v[196:197]
	v_fma_f64 v[218:219], -v[212:213], v[214:215], 1.0
	v_fmac_f64_e32 v[214:215], v[214:215], v[218:219]
	v_fma_f64 v[218:219], -v[212:213], v[214:215], 1.0
	v_fmac_f64_e32 v[214:215], v[214:215], v[218:219]
	v_mul_f64 v[218:219], v[216:217], v[214:215]
	v_fma_f64 v[212:213], -v[212:213], v[218:219], v[216:217]
	v_div_fmas_f64 v[212:213], v[212:213], v[214:215], v[218:219]
	v_div_fixup_f64 v[212:213], v[212:213], v[198:199], v[196:197]
	v_fmac_f64_e32 v[198:199], v[196:197], v[212:213]
	v_div_scale_f64 v[196:197], s[18:19], v[198:199], v[198:199], 1.0
	v_rcp_f64_e32 v[214:215], v[196:197]
	s_nop 0
	v_fma_f64 v[216:217], -v[196:197], v[214:215], 1.0
	v_fmac_f64_e32 v[214:215], v[214:215], v[216:217]
	v_fma_f64 v[216:217], -v[196:197], v[214:215], 1.0
	v_fmac_f64_e32 v[214:215], v[214:215], v[216:217]
	v_div_scale_f64 v[216:217], vcc, 1.0, v[198:199], 1.0
	v_mul_f64 v[218:219], v[216:217], v[214:215]
	v_fma_f64 v[196:197], -v[196:197], v[218:219], v[216:217]
	s_nop 1
	v_div_fmas_f64 v[196:197], v[196:197], v[214:215], v[218:219]
	v_div_fixup_f64 v[198:199], v[196:197], v[198:199], 1.0
	v_mul_f64 v[196:197], v[212:213], v[198:199]
	v_xor_b32_e32 v199, 0x80000000, v199
.LBB96_931:
	s_andn2_saveexec_b64 s[16:17], s[16:17]
	s_cbranch_execz .LBB96_933
; %bb.932:
	v_div_scale_f64 v[212:213], s[18:19], v[196:197], v[196:197], v[198:199]
	v_rcp_f64_e32 v[214:215], v[212:213]
	v_div_scale_f64 v[216:217], vcc, v[198:199], v[196:197], v[198:199]
	v_fma_f64 v[218:219], -v[212:213], v[214:215], 1.0
	v_fmac_f64_e32 v[214:215], v[214:215], v[218:219]
	v_fma_f64 v[218:219], -v[212:213], v[214:215], 1.0
	v_fmac_f64_e32 v[214:215], v[214:215], v[218:219]
	v_mul_f64 v[218:219], v[216:217], v[214:215]
	v_fma_f64 v[212:213], -v[212:213], v[218:219], v[216:217]
	v_div_fmas_f64 v[212:213], v[212:213], v[214:215], v[218:219]
	v_div_fixup_f64 v[212:213], v[212:213], v[196:197], v[198:199]
	v_fmac_f64_e32 v[196:197], v[198:199], v[212:213]
	v_div_scale_f64 v[198:199], s[18:19], v[196:197], v[196:197], 1.0
	v_rcp_f64_e32 v[214:215], v[198:199]
	s_nop 0
	v_fma_f64 v[216:217], -v[198:199], v[214:215], 1.0
	v_fmac_f64_e32 v[214:215], v[214:215], v[216:217]
	v_fma_f64 v[216:217], -v[198:199], v[214:215], 1.0
	v_fmac_f64_e32 v[214:215], v[214:215], v[216:217]
	v_div_scale_f64 v[216:217], vcc, 1.0, v[196:197], 1.0
	v_mul_f64 v[218:219], v[216:217], v[214:215]
	v_fma_f64 v[198:199], -v[198:199], v[218:219], v[216:217]
	s_nop 1
	v_div_fmas_f64 v[198:199], v[198:199], v[214:215], v[218:219]
	v_div_fixup_f64 v[196:197], v[198:199], v[196:197], 1.0
	v_mul_f64 v[198:199], v[212:213], -v[196:197]
.LBB96_933:
	s_or_b64 exec, exec, s[16:17]
.LBB96_934:
	s_or_b64 exec, exec, s[0:1]
	v_cmp_ne_u32_e32 vcc, v209, v206
	s_and_saveexec_b64 s[0:1], vcc
	s_xor_b64 s[0:1], exec, s[0:1]
	s_cbranch_execz .LBB96_940
; %bb.935:
	v_cmp_eq_u32_e32 vcc, 44, v209
	s_and_saveexec_b64 s[16:17], vcc
	s_cbranch_execz .LBB96_939
; %bb.936:
	v_cmp_ne_u32_e32 vcc, 44, v206
	s_xor_b64 s[18:19], s[14:15], -1
	s_and_b64 s[22:23], s[18:19], vcc
	s_and_saveexec_b64 s[18:19], s[22:23]
	s_cbranch_execz .LBB96_938
; %bb.937:
	v_ashrrev_i32_e32 v207, 31, v206
	v_lshl_add_u64 v[212:213], v[206:207], 2, v[204:205]
	global_load_dword v207, v[212:213], off
	global_load_dword v209, v[204:205], off offset:176
	s_waitcnt vmcnt(1)
	global_store_dword v[204:205], v207, off offset:176
	s_waitcnt vmcnt(1)
	global_store_dword v[212:213], v209, off
.LBB96_938:
	s_or_b64 exec, exec, s[18:19]
	v_mov_b32_e32 v209, v206
	v_mov_b32_e32 v211, v206
.LBB96_939:
	s_or_b64 exec, exec, s[16:17]
.LBB96_940:
	s_andn2_saveexec_b64 s[0:1], s[0:1]
	s_cbranch_execz .LBB96_942
; %bb.941:
	v_mov_b32_e32 v209, 44
	s_waitcnt vmcnt(3)
	ds_write2_b64 v208, v[8:9], v[10:11] offset0:90 offset1:91
	s_waitcnt vmcnt(2)
	ds_write2_b64 v208, v[4:5], v[6:7] offset0:92 offset1:93
	;; [unrolled: 2-line block ×4, first 2 shown]
.LBB96_942:
	s_or_b64 exec, exec, s[0:1]
	v_cmp_lt_i32_e32 vcc, 44, v209
	s_waitcnt lgkmcnt(0)
	s_barrier
	s_and_saveexec_b64 s[0:1], vcc
	s_cbranch_execz .LBB96_944
; %bb.943:
	ds_read2_b64 v[212:215], v208 offset0:90 offset1:91
	v_mul_f64 v[206:207], v[196:197], v[14:15]
	v_mul_f64 v[14:15], v[198:199], v[14:15]
	v_fmac_f64_e32 v[206:207], v[198:199], v[12:13]
	v_fma_f64 v[12:13], v[196:197], v[12:13], -v[14:15]
	ds_read2_b64 v[196:199], v208 offset0:92 offset1:93
	s_waitcnt lgkmcnt(1)
	v_mul_f64 v[14:15], v[214:215], v[206:207]
	v_fma_f64 v[14:15], v[212:213], v[12:13], -v[14:15]
	v_mul_f64 v[212:213], v[212:213], v[206:207]
	v_fmac_f64_e32 v[212:213], v[214:215], v[12:13]
	s_waitcnt vmcnt(3)
	v_add_f64 v[8:9], v[8:9], -v[14:15]
	s_waitcnt lgkmcnt(0)
	v_mul_f64 v[14:15], v[198:199], v[206:207]
	v_add_f64 v[10:11], v[10:11], -v[212:213]
	v_fma_f64 v[14:15], v[196:197], v[12:13], -v[14:15]
	v_mul_f64 v[196:197], v[196:197], v[206:207]
	ds_read2_b64 v[212:215], v208 offset0:94 offset1:95
	v_fmac_f64_e32 v[196:197], v[198:199], v[12:13]
	s_waitcnt vmcnt(2)
	v_add_f64 v[6:7], v[6:7], -v[196:197]
	ds_read2_b64 v[196:199], v208 offset0:96 offset1:97
	v_add_f64 v[4:5], v[4:5], -v[14:15]
	s_waitcnt lgkmcnt(1)
	v_mul_f64 v[14:15], v[214:215], v[206:207]
	v_fma_f64 v[14:15], v[212:213], v[12:13], -v[14:15]
	s_waitcnt vmcnt(1)
	v_add_f64 v[0:1], v[0:1], -v[14:15]
	s_waitcnt lgkmcnt(0)
	v_mul_f64 v[14:15], v[198:199], v[206:207]
	v_mul_f64 v[212:213], v[212:213], v[206:207]
	v_fma_f64 v[14:15], v[196:197], v[12:13], -v[14:15]
	v_mul_f64 v[196:197], v[196:197], v[206:207]
	v_fmac_f64_e32 v[212:213], v[214:215], v[12:13]
	v_fmac_f64_e32 v[196:197], v[198:199], v[12:13]
	v_add_f64 v[2:3], v[2:3], -v[212:213]
	s_waitcnt vmcnt(0)
	v_add_f64 v[192:193], v[192:193], -v[14:15]
	v_add_f64 v[194:195], v[194:195], -v[196:197]
	v_mov_b64_e32 v[14:15], v[206:207]
.LBB96_944:
	s_or_b64 exec, exec, s[0:1]
	v_lshl_add_u32 v196, v209, 4, v208
	s_barrier
	s_waitcnt vmcnt(3)
	ds_write2_b64 v196, v[8:9], v[10:11] offset1:1
	s_waitcnt lgkmcnt(0)
	s_barrier
	ds_read2_b64 v[196:199], v208 offset0:90 offset1:91
	s_cmp_lt_i32 s20, 47
	v_mov_b32_e32 v206, 45
	s_cbranch_scc1 .LBB96_947
; %bb.945:
	v_add_u32_e32 v207, 0x2e0, v208
	s_mov_b32 s16, 46
	v_mov_b32_e32 v206, 45
.LBB96_946:                             ; =>This Inner Loop Header: Depth=1
	ds_read2_b64 v[212:215], v207 offset1:1
	s_waitcnt lgkmcnt(1)
	v_xor_b32_e32 v217, 0x80000000, v197
	v_xor_b32_e32 v219, 0x80000000, v199
	v_cmp_gt_f64_e32 vcc, 0, v[198:199]
	v_cmp_gt_f64_e64 s[0:1], 0, v[196:197]
	v_mov_b32_e32 v216, v196
	v_mov_b32_e32 v218, v198
	v_cndmask_b32_e64 v217, v197, v217, s[0:1]
	v_cndmask_b32_e32 v219, v199, v219, vcc
	v_add_f64 v[216:217], v[216:217], v[218:219]
	s_waitcnt lgkmcnt(0)
	v_xor_b32_e32 v219, 0x80000000, v213
	v_xor_b32_e32 v221, 0x80000000, v215
	v_cmp_gt_f64_e32 vcc, 0, v[214:215]
	v_cmp_gt_f64_e64 s[0:1], 0, v[212:213]
	v_mov_b32_e32 v218, v212
	v_mov_b32_e32 v220, v214
	v_cndmask_b32_e64 v219, v213, v219, s[0:1]
	v_cndmask_b32_e32 v221, v215, v221, vcc
	v_add_f64 v[218:219], v[218:219], v[220:221]
	v_mov_b32_e32 v222, s16
	s_add_i32 s16, s16, 1
	v_cmp_lt_f64_e32 vcc, v[216:217], v[218:219]
	v_add_u32_e32 v207, 16, v207
	s_cmp_lg_u32 s20, s16
	v_cndmask_b32_e32 v197, v197, v213, vcc
	v_cndmask_b32_e32 v196, v196, v212, vcc
	v_cndmask_b32_e32 v199, v199, v215, vcc
	v_cndmask_b32_e32 v198, v198, v214, vcc
	v_cndmask_b32_e32 v206, v206, v222, vcc
	s_cbranch_scc1 .LBB96_946
.LBB96_947:
	s_waitcnt lgkmcnt(0)
	v_cmp_eq_f64_e32 vcc, 0, v[196:197]
	v_cmp_eq_f64_e64 s[0:1], 0, v[198:199]
	s_and_b64 s[0:1], vcc, s[0:1]
	s_and_saveexec_b64 s[16:17], s[0:1]
	s_xor_b64 s[0:1], exec, s[16:17]
; %bb.948:
	v_cmp_ne_u32_e32 vcc, 0, v210
	s_nop 1
	v_cndmask_b32_e32 v210, 46, v210, vcc
; %bb.949:
	s_andn2_saveexec_b64 s[0:1], s[0:1]
	s_cbranch_execz .LBB96_955
; %bb.950:
	v_cmp_ngt_f64_e64 s[16:17], |v[196:197]|, |v[198:199]|
	s_and_saveexec_b64 s[18:19], s[16:17]
	s_xor_b64 s[16:17], exec, s[18:19]
	s_cbranch_execz .LBB96_952
; %bb.951:
	v_div_scale_f64 v[212:213], s[18:19], v[198:199], v[198:199], v[196:197]
	v_rcp_f64_e32 v[214:215], v[212:213]
	v_div_scale_f64 v[216:217], vcc, v[196:197], v[198:199], v[196:197]
	v_fma_f64 v[218:219], -v[212:213], v[214:215], 1.0
	v_fmac_f64_e32 v[214:215], v[214:215], v[218:219]
	v_fma_f64 v[218:219], -v[212:213], v[214:215], 1.0
	v_fmac_f64_e32 v[214:215], v[214:215], v[218:219]
	v_mul_f64 v[218:219], v[216:217], v[214:215]
	v_fma_f64 v[212:213], -v[212:213], v[218:219], v[216:217]
	v_div_fmas_f64 v[212:213], v[212:213], v[214:215], v[218:219]
	v_div_fixup_f64 v[212:213], v[212:213], v[198:199], v[196:197]
	v_fmac_f64_e32 v[198:199], v[196:197], v[212:213]
	v_div_scale_f64 v[196:197], s[18:19], v[198:199], v[198:199], 1.0
	v_rcp_f64_e32 v[214:215], v[196:197]
	s_nop 0
	v_fma_f64 v[216:217], -v[196:197], v[214:215], 1.0
	v_fmac_f64_e32 v[214:215], v[214:215], v[216:217]
	v_fma_f64 v[216:217], -v[196:197], v[214:215], 1.0
	v_fmac_f64_e32 v[214:215], v[214:215], v[216:217]
	v_div_scale_f64 v[216:217], vcc, 1.0, v[198:199], 1.0
	v_mul_f64 v[218:219], v[216:217], v[214:215]
	v_fma_f64 v[196:197], -v[196:197], v[218:219], v[216:217]
	s_nop 1
	v_div_fmas_f64 v[196:197], v[196:197], v[214:215], v[218:219]
	v_div_fixup_f64 v[198:199], v[196:197], v[198:199], 1.0
	v_mul_f64 v[196:197], v[212:213], v[198:199]
	v_xor_b32_e32 v199, 0x80000000, v199
.LBB96_952:
	s_andn2_saveexec_b64 s[16:17], s[16:17]
	s_cbranch_execz .LBB96_954
; %bb.953:
	v_div_scale_f64 v[212:213], s[18:19], v[196:197], v[196:197], v[198:199]
	v_rcp_f64_e32 v[214:215], v[212:213]
	v_div_scale_f64 v[216:217], vcc, v[198:199], v[196:197], v[198:199]
	v_fma_f64 v[218:219], -v[212:213], v[214:215], 1.0
	v_fmac_f64_e32 v[214:215], v[214:215], v[218:219]
	v_fma_f64 v[218:219], -v[212:213], v[214:215], 1.0
	v_fmac_f64_e32 v[214:215], v[214:215], v[218:219]
	v_mul_f64 v[218:219], v[216:217], v[214:215]
	v_fma_f64 v[212:213], -v[212:213], v[218:219], v[216:217]
	v_div_fmas_f64 v[212:213], v[212:213], v[214:215], v[218:219]
	v_div_fixup_f64 v[212:213], v[212:213], v[196:197], v[198:199]
	v_fmac_f64_e32 v[196:197], v[198:199], v[212:213]
	v_div_scale_f64 v[198:199], s[18:19], v[196:197], v[196:197], 1.0
	v_rcp_f64_e32 v[214:215], v[198:199]
	s_nop 0
	v_fma_f64 v[216:217], -v[198:199], v[214:215], 1.0
	v_fmac_f64_e32 v[214:215], v[214:215], v[216:217]
	v_fma_f64 v[216:217], -v[198:199], v[214:215], 1.0
	v_fmac_f64_e32 v[214:215], v[214:215], v[216:217]
	v_div_scale_f64 v[216:217], vcc, 1.0, v[196:197], 1.0
	v_mul_f64 v[218:219], v[216:217], v[214:215]
	v_fma_f64 v[198:199], -v[198:199], v[218:219], v[216:217]
	s_nop 1
	v_div_fmas_f64 v[198:199], v[198:199], v[214:215], v[218:219]
	v_div_fixup_f64 v[196:197], v[198:199], v[196:197], 1.0
	v_mul_f64 v[198:199], v[212:213], -v[196:197]
.LBB96_954:
	s_or_b64 exec, exec, s[16:17]
.LBB96_955:
	s_or_b64 exec, exec, s[0:1]
	v_cmp_ne_u32_e32 vcc, v209, v206
	s_and_saveexec_b64 s[0:1], vcc
	s_xor_b64 s[0:1], exec, s[0:1]
	s_cbranch_execz .LBB96_961
; %bb.956:
	v_cmp_eq_u32_e32 vcc, 45, v209
	s_and_saveexec_b64 s[16:17], vcc
	s_cbranch_execz .LBB96_960
; %bb.957:
	v_cmp_ne_u32_e32 vcc, 45, v206
	s_xor_b64 s[18:19], s[14:15], -1
	s_and_b64 s[22:23], s[18:19], vcc
	s_and_saveexec_b64 s[18:19], s[22:23]
	s_cbranch_execz .LBB96_959
; %bb.958:
	v_ashrrev_i32_e32 v207, 31, v206
	v_lshl_add_u64 v[212:213], v[206:207], 2, v[204:205]
	global_load_dword v207, v[212:213], off
	global_load_dword v209, v[204:205], off offset:180
	s_waitcnt vmcnt(1)
	global_store_dword v[204:205], v207, off offset:180
	s_waitcnt vmcnt(1)
	global_store_dword v[212:213], v209, off
.LBB96_959:
	s_or_b64 exec, exec, s[18:19]
	v_mov_b32_e32 v209, v206
	v_mov_b32_e32 v211, v206
.LBB96_960:
	s_or_b64 exec, exec, s[16:17]
.LBB96_961:
	s_andn2_saveexec_b64 s[0:1], s[0:1]
	s_cbranch_execz .LBB96_963
; %bb.962:
	v_mov_b32_e32 v209, 45
	s_waitcnt vmcnt(2)
	ds_write2_b64 v208, v[4:5], v[6:7] offset0:92 offset1:93
	s_waitcnt vmcnt(1)
	ds_write2_b64 v208, v[0:1], v[2:3] offset0:94 offset1:95
	;; [unrolled: 2-line block ×3, first 2 shown]
.LBB96_963:
	s_or_b64 exec, exec, s[0:1]
	v_cmp_lt_i32_e32 vcc, 45, v209
	s_waitcnt lgkmcnt(0)
	s_barrier
	s_and_saveexec_b64 s[0:1], vcc
	s_cbranch_execz .LBB96_965
; %bb.964:
	ds_read2_b64 v[212:215], v208 offset0:92 offset1:93
	v_mul_f64 v[206:207], v[196:197], v[10:11]
	v_fmac_f64_e32 v[206:207], v[198:199], v[8:9]
	v_mul_f64 v[10:11], v[198:199], v[10:11]
	v_fma_f64 v[8:9], v[196:197], v[8:9], -v[10:11]
	ds_read2_b64 v[196:199], v208 offset0:94 offset1:95
	s_waitcnt lgkmcnt(1)
	v_mul_f64 v[10:11], v[214:215], v[206:207]
	v_fma_f64 v[10:11], v[212:213], v[8:9], -v[10:11]
	v_mul_f64 v[212:213], v[212:213], v[206:207]
	v_fmac_f64_e32 v[212:213], v[214:215], v[8:9]
	s_waitcnt vmcnt(2)
	v_add_f64 v[6:7], v[6:7], -v[212:213]
	ds_read2_b64 v[212:215], v208 offset0:96 offset1:97
	v_add_f64 v[4:5], v[4:5], -v[10:11]
	s_waitcnt lgkmcnt(1)
	v_mul_f64 v[10:11], v[198:199], v[206:207]
	v_fma_f64 v[10:11], v[196:197], v[8:9], -v[10:11]
	v_mul_f64 v[196:197], v[196:197], v[206:207]
	v_fmac_f64_e32 v[196:197], v[198:199], v[8:9]
	s_waitcnt vmcnt(1)
	v_add_f64 v[0:1], v[0:1], -v[10:11]
	v_add_f64 v[2:3], v[2:3], -v[196:197]
	s_waitcnt lgkmcnt(0)
	v_mul_f64 v[10:11], v[214:215], v[206:207]
	v_mul_f64 v[196:197], v[212:213], v[206:207]
	v_fma_f64 v[10:11], v[212:213], v[8:9], -v[10:11]
	v_fmac_f64_e32 v[196:197], v[214:215], v[8:9]
	s_waitcnt vmcnt(0)
	v_add_f64 v[192:193], v[192:193], -v[10:11]
	v_add_f64 v[194:195], v[194:195], -v[196:197]
	v_mov_b64_e32 v[10:11], v[206:207]
.LBB96_965:
	s_or_b64 exec, exec, s[0:1]
	v_lshl_add_u32 v196, v209, 4, v208
	s_barrier
	s_waitcnt vmcnt(2)
	ds_write2_b64 v196, v[4:5], v[6:7] offset1:1
	s_waitcnt lgkmcnt(0)
	s_barrier
	ds_read2_b64 v[196:199], v208 offset0:92 offset1:93
	s_cmp_lt_i32 s20, 48
	v_mov_b32_e32 v206, 46
	s_cbranch_scc1 .LBB96_968
; %bb.966:
	v_add_u32_e32 v207, 0x2f0, v208
	s_mov_b32 s16, 47
	v_mov_b32_e32 v206, 46
.LBB96_967:                             ; =>This Inner Loop Header: Depth=1
	ds_read2_b64 v[212:215], v207 offset1:1
	s_waitcnt lgkmcnt(1)
	v_xor_b32_e32 v217, 0x80000000, v197
	v_xor_b32_e32 v219, 0x80000000, v199
	v_cmp_gt_f64_e32 vcc, 0, v[198:199]
	v_cmp_gt_f64_e64 s[0:1], 0, v[196:197]
	v_mov_b32_e32 v216, v196
	v_mov_b32_e32 v218, v198
	v_cndmask_b32_e64 v217, v197, v217, s[0:1]
	v_cndmask_b32_e32 v219, v199, v219, vcc
	v_add_f64 v[216:217], v[216:217], v[218:219]
	s_waitcnt lgkmcnt(0)
	v_xor_b32_e32 v219, 0x80000000, v213
	v_xor_b32_e32 v221, 0x80000000, v215
	v_cmp_gt_f64_e32 vcc, 0, v[214:215]
	v_cmp_gt_f64_e64 s[0:1], 0, v[212:213]
	v_mov_b32_e32 v218, v212
	v_mov_b32_e32 v220, v214
	v_cndmask_b32_e64 v219, v213, v219, s[0:1]
	v_cndmask_b32_e32 v221, v215, v221, vcc
	v_add_f64 v[218:219], v[218:219], v[220:221]
	v_mov_b32_e32 v222, s16
	s_add_i32 s16, s16, 1
	v_cmp_lt_f64_e32 vcc, v[216:217], v[218:219]
	v_add_u32_e32 v207, 16, v207
	s_cmp_lg_u32 s20, s16
	v_cndmask_b32_e32 v197, v197, v213, vcc
	v_cndmask_b32_e32 v196, v196, v212, vcc
	;; [unrolled: 1-line block ×5, first 2 shown]
	s_cbranch_scc1 .LBB96_967
.LBB96_968:
	s_waitcnt lgkmcnt(0)
	v_cmp_eq_f64_e32 vcc, 0, v[196:197]
	v_cmp_eq_f64_e64 s[0:1], 0, v[198:199]
	s_and_b64 s[0:1], vcc, s[0:1]
	s_and_saveexec_b64 s[16:17], s[0:1]
	s_xor_b64 s[0:1], exec, s[16:17]
; %bb.969:
	v_cmp_ne_u32_e32 vcc, 0, v210
	s_nop 1
	v_cndmask_b32_e32 v210, 47, v210, vcc
; %bb.970:
	s_andn2_saveexec_b64 s[0:1], s[0:1]
	s_cbranch_execz .LBB96_976
; %bb.971:
	v_cmp_ngt_f64_e64 s[16:17], |v[196:197]|, |v[198:199]|
	s_and_saveexec_b64 s[18:19], s[16:17]
	s_xor_b64 s[16:17], exec, s[18:19]
	s_cbranch_execz .LBB96_973
; %bb.972:
	v_div_scale_f64 v[212:213], s[18:19], v[198:199], v[198:199], v[196:197]
	v_rcp_f64_e32 v[214:215], v[212:213]
	v_div_scale_f64 v[216:217], vcc, v[196:197], v[198:199], v[196:197]
	v_fma_f64 v[218:219], -v[212:213], v[214:215], 1.0
	v_fmac_f64_e32 v[214:215], v[214:215], v[218:219]
	v_fma_f64 v[218:219], -v[212:213], v[214:215], 1.0
	v_fmac_f64_e32 v[214:215], v[214:215], v[218:219]
	v_mul_f64 v[218:219], v[216:217], v[214:215]
	v_fma_f64 v[212:213], -v[212:213], v[218:219], v[216:217]
	v_div_fmas_f64 v[212:213], v[212:213], v[214:215], v[218:219]
	v_div_fixup_f64 v[212:213], v[212:213], v[198:199], v[196:197]
	v_fmac_f64_e32 v[198:199], v[196:197], v[212:213]
	v_div_scale_f64 v[196:197], s[18:19], v[198:199], v[198:199], 1.0
	v_rcp_f64_e32 v[214:215], v[196:197]
	s_nop 0
	v_fma_f64 v[216:217], -v[196:197], v[214:215], 1.0
	v_fmac_f64_e32 v[214:215], v[214:215], v[216:217]
	v_fma_f64 v[216:217], -v[196:197], v[214:215], 1.0
	v_fmac_f64_e32 v[214:215], v[214:215], v[216:217]
	v_div_scale_f64 v[216:217], vcc, 1.0, v[198:199], 1.0
	v_mul_f64 v[218:219], v[216:217], v[214:215]
	v_fma_f64 v[196:197], -v[196:197], v[218:219], v[216:217]
	s_nop 1
	v_div_fmas_f64 v[196:197], v[196:197], v[214:215], v[218:219]
	v_div_fixup_f64 v[198:199], v[196:197], v[198:199], 1.0
	v_mul_f64 v[196:197], v[212:213], v[198:199]
	v_xor_b32_e32 v199, 0x80000000, v199
.LBB96_973:
	s_andn2_saveexec_b64 s[16:17], s[16:17]
	s_cbranch_execz .LBB96_975
; %bb.974:
	v_div_scale_f64 v[212:213], s[18:19], v[196:197], v[196:197], v[198:199]
	v_rcp_f64_e32 v[214:215], v[212:213]
	v_div_scale_f64 v[216:217], vcc, v[198:199], v[196:197], v[198:199]
	v_fma_f64 v[218:219], -v[212:213], v[214:215], 1.0
	v_fmac_f64_e32 v[214:215], v[214:215], v[218:219]
	v_fma_f64 v[218:219], -v[212:213], v[214:215], 1.0
	v_fmac_f64_e32 v[214:215], v[214:215], v[218:219]
	v_mul_f64 v[218:219], v[216:217], v[214:215]
	v_fma_f64 v[212:213], -v[212:213], v[218:219], v[216:217]
	v_div_fmas_f64 v[212:213], v[212:213], v[214:215], v[218:219]
	v_div_fixup_f64 v[212:213], v[212:213], v[196:197], v[198:199]
	v_fmac_f64_e32 v[196:197], v[198:199], v[212:213]
	v_div_scale_f64 v[198:199], s[18:19], v[196:197], v[196:197], 1.0
	v_rcp_f64_e32 v[214:215], v[198:199]
	s_nop 0
	v_fma_f64 v[216:217], -v[198:199], v[214:215], 1.0
	v_fmac_f64_e32 v[214:215], v[214:215], v[216:217]
	v_fma_f64 v[216:217], -v[198:199], v[214:215], 1.0
	v_fmac_f64_e32 v[214:215], v[214:215], v[216:217]
	v_div_scale_f64 v[216:217], vcc, 1.0, v[196:197], 1.0
	v_mul_f64 v[218:219], v[216:217], v[214:215]
	v_fma_f64 v[198:199], -v[198:199], v[218:219], v[216:217]
	s_nop 1
	v_div_fmas_f64 v[198:199], v[198:199], v[214:215], v[218:219]
	v_div_fixup_f64 v[196:197], v[198:199], v[196:197], 1.0
	v_mul_f64 v[198:199], v[212:213], -v[196:197]
.LBB96_975:
	s_or_b64 exec, exec, s[16:17]
.LBB96_976:
	s_or_b64 exec, exec, s[0:1]
	v_cmp_ne_u32_e32 vcc, v209, v206
	s_and_saveexec_b64 s[0:1], vcc
	s_xor_b64 s[0:1], exec, s[0:1]
	s_cbranch_execz .LBB96_982
; %bb.977:
	v_cmp_eq_u32_e32 vcc, 46, v209
	s_and_saveexec_b64 s[16:17], vcc
	s_cbranch_execz .LBB96_981
; %bb.978:
	v_cmp_ne_u32_e32 vcc, 46, v206
	s_xor_b64 s[18:19], s[14:15], -1
	s_and_b64 s[22:23], s[18:19], vcc
	s_and_saveexec_b64 s[18:19], s[22:23]
	s_cbranch_execz .LBB96_980
; %bb.979:
	v_ashrrev_i32_e32 v207, 31, v206
	v_lshl_add_u64 v[212:213], v[206:207], 2, v[204:205]
	global_load_dword v207, v[212:213], off
	global_load_dword v209, v[204:205], off offset:184
	s_waitcnt vmcnt(1)
	global_store_dword v[204:205], v207, off offset:184
	s_waitcnt vmcnt(1)
	global_store_dword v[212:213], v209, off
.LBB96_980:
	s_or_b64 exec, exec, s[18:19]
	v_mov_b32_e32 v209, v206
	v_mov_b32_e32 v211, v206
.LBB96_981:
	s_or_b64 exec, exec, s[16:17]
.LBB96_982:
	s_andn2_saveexec_b64 s[0:1], s[0:1]
	s_cbranch_execz .LBB96_984
; %bb.983:
	v_mov_b32_e32 v209, 46
	s_waitcnt vmcnt(1)
	ds_write2_b64 v208, v[0:1], v[2:3] offset0:94 offset1:95
	s_waitcnt vmcnt(0)
	ds_write2_b64 v208, v[192:193], v[194:195] offset0:96 offset1:97
.LBB96_984:
	s_or_b64 exec, exec, s[0:1]
	v_cmp_lt_i32_e32 vcc, 46, v209
	s_waitcnt lgkmcnt(0)
	s_barrier
	s_and_saveexec_b64 s[0:1], vcc
	s_cbranch_execz .LBB96_986
; %bb.985:
	ds_read2_b64 v[212:215], v208 offset0:94 offset1:95
	v_mul_f64 v[206:207], v[196:197], v[6:7]
	v_mul_f64 v[6:7], v[198:199], v[6:7]
	v_fmac_f64_e32 v[206:207], v[198:199], v[4:5]
	v_fma_f64 v[4:5], v[196:197], v[4:5], -v[6:7]
	ds_read2_b64 v[196:199], v208 offset0:96 offset1:97
	s_waitcnt lgkmcnt(1)
	v_mul_f64 v[6:7], v[214:215], v[206:207]
	v_fma_f64 v[6:7], v[212:213], v[4:5], -v[6:7]
	s_waitcnt vmcnt(1)
	v_add_f64 v[0:1], v[0:1], -v[6:7]
	v_mul_f64 v[212:213], v[212:213], v[206:207]
	s_waitcnt lgkmcnt(0)
	v_mul_f64 v[6:7], v[198:199], v[206:207]
	v_fma_f64 v[6:7], v[196:197], v[4:5], -v[6:7]
	v_mul_f64 v[196:197], v[196:197], v[206:207]
	v_fmac_f64_e32 v[212:213], v[214:215], v[4:5]
	v_fmac_f64_e32 v[196:197], v[198:199], v[4:5]
	v_add_f64 v[2:3], v[2:3], -v[212:213]
	s_waitcnt vmcnt(0)
	v_add_f64 v[192:193], v[192:193], -v[6:7]
	v_add_f64 v[194:195], v[194:195], -v[196:197]
	v_mov_b64_e32 v[6:7], v[206:207]
.LBB96_986:
	s_or_b64 exec, exec, s[0:1]
	v_lshl_add_u32 v196, v209, 4, v208
	s_barrier
	s_waitcnt vmcnt(1)
	ds_write2_b64 v196, v[0:1], v[2:3] offset1:1
	s_waitcnt lgkmcnt(0)
	s_barrier
	ds_read2_b64 v[196:199], v208 offset0:94 offset1:95
	s_cmp_lt_i32 s20, 49
	v_mov_b32_e32 v206, 47
	s_cbranch_scc1 .LBB96_989
; %bb.987:
	v_add_u32_e32 v207, 0x300, v208
	s_mov_b32 s16, 48
	v_mov_b32_e32 v206, 47
.LBB96_988:                             ; =>This Inner Loop Header: Depth=1
	ds_read2_b64 v[212:215], v207 offset1:1
	s_waitcnt lgkmcnt(1)
	v_xor_b32_e32 v217, 0x80000000, v197
	v_xor_b32_e32 v219, 0x80000000, v199
	v_cmp_gt_f64_e32 vcc, 0, v[198:199]
	v_cmp_gt_f64_e64 s[0:1], 0, v[196:197]
	v_mov_b32_e32 v216, v196
	v_mov_b32_e32 v218, v198
	v_cndmask_b32_e64 v217, v197, v217, s[0:1]
	v_cndmask_b32_e32 v219, v199, v219, vcc
	v_add_f64 v[216:217], v[216:217], v[218:219]
	s_waitcnt lgkmcnt(0)
	v_xor_b32_e32 v219, 0x80000000, v213
	v_xor_b32_e32 v221, 0x80000000, v215
	v_cmp_gt_f64_e32 vcc, 0, v[214:215]
	v_cmp_gt_f64_e64 s[0:1], 0, v[212:213]
	v_mov_b32_e32 v218, v212
	v_mov_b32_e32 v220, v214
	v_cndmask_b32_e64 v219, v213, v219, s[0:1]
	v_cndmask_b32_e32 v221, v215, v221, vcc
	v_add_f64 v[218:219], v[218:219], v[220:221]
	v_mov_b32_e32 v222, s16
	s_add_i32 s16, s16, 1
	v_cmp_lt_f64_e32 vcc, v[216:217], v[218:219]
	v_add_u32_e32 v207, 16, v207
	s_cmp_lg_u32 s20, s16
	v_cndmask_b32_e32 v197, v197, v213, vcc
	v_cndmask_b32_e32 v196, v196, v212, vcc
	;; [unrolled: 1-line block ×5, first 2 shown]
	s_cbranch_scc1 .LBB96_988
.LBB96_989:
	s_waitcnt lgkmcnt(0)
	v_cmp_eq_f64_e32 vcc, 0, v[196:197]
	v_cmp_eq_f64_e64 s[0:1], 0, v[198:199]
	s_and_b64 s[0:1], vcc, s[0:1]
	s_and_saveexec_b64 s[16:17], s[0:1]
	s_xor_b64 s[0:1], exec, s[16:17]
; %bb.990:
	v_cmp_ne_u32_e32 vcc, 0, v210
	s_nop 1
	v_cndmask_b32_e32 v210, 48, v210, vcc
; %bb.991:
	s_andn2_saveexec_b64 s[0:1], s[0:1]
	s_cbranch_execz .LBB96_997
; %bb.992:
	v_cmp_ngt_f64_e64 s[16:17], |v[196:197]|, |v[198:199]|
	s_and_saveexec_b64 s[18:19], s[16:17]
	s_xor_b64 s[16:17], exec, s[18:19]
	s_cbranch_execz .LBB96_994
; %bb.993:
	v_div_scale_f64 v[212:213], s[18:19], v[198:199], v[198:199], v[196:197]
	v_rcp_f64_e32 v[214:215], v[212:213]
	v_div_scale_f64 v[216:217], vcc, v[196:197], v[198:199], v[196:197]
	v_fma_f64 v[218:219], -v[212:213], v[214:215], 1.0
	v_fmac_f64_e32 v[214:215], v[214:215], v[218:219]
	v_fma_f64 v[218:219], -v[212:213], v[214:215], 1.0
	v_fmac_f64_e32 v[214:215], v[214:215], v[218:219]
	v_mul_f64 v[218:219], v[216:217], v[214:215]
	v_fma_f64 v[212:213], -v[212:213], v[218:219], v[216:217]
	v_div_fmas_f64 v[212:213], v[212:213], v[214:215], v[218:219]
	v_div_fixup_f64 v[212:213], v[212:213], v[198:199], v[196:197]
	v_fmac_f64_e32 v[198:199], v[196:197], v[212:213]
	v_div_scale_f64 v[196:197], s[18:19], v[198:199], v[198:199], 1.0
	v_rcp_f64_e32 v[214:215], v[196:197]
	s_nop 0
	v_fma_f64 v[216:217], -v[196:197], v[214:215], 1.0
	v_fmac_f64_e32 v[214:215], v[214:215], v[216:217]
	v_fma_f64 v[216:217], -v[196:197], v[214:215], 1.0
	v_fmac_f64_e32 v[214:215], v[214:215], v[216:217]
	v_div_scale_f64 v[216:217], vcc, 1.0, v[198:199], 1.0
	v_mul_f64 v[218:219], v[216:217], v[214:215]
	v_fma_f64 v[196:197], -v[196:197], v[218:219], v[216:217]
	s_nop 1
	v_div_fmas_f64 v[196:197], v[196:197], v[214:215], v[218:219]
	v_div_fixup_f64 v[198:199], v[196:197], v[198:199], 1.0
	v_mul_f64 v[196:197], v[212:213], v[198:199]
	v_xor_b32_e32 v199, 0x80000000, v199
.LBB96_994:
	s_andn2_saveexec_b64 s[16:17], s[16:17]
	s_cbranch_execz .LBB96_996
; %bb.995:
	v_div_scale_f64 v[212:213], s[18:19], v[196:197], v[196:197], v[198:199]
	v_rcp_f64_e32 v[214:215], v[212:213]
	v_div_scale_f64 v[216:217], vcc, v[198:199], v[196:197], v[198:199]
	v_fma_f64 v[218:219], -v[212:213], v[214:215], 1.0
	v_fmac_f64_e32 v[214:215], v[214:215], v[218:219]
	v_fma_f64 v[218:219], -v[212:213], v[214:215], 1.0
	v_fmac_f64_e32 v[214:215], v[214:215], v[218:219]
	v_mul_f64 v[218:219], v[216:217], v[214:215]
	v_fma_f64 v[212:213], -v[212:213], v[218:219], v[216:217]
	v_div_fmas_f64 v[212:213], v[212:213], v[214:215], v[218:219]
	v_div_fixup_f64 v[212:213], v[212:213], v[196:197], v[198:199]
	v_fmac_f64_e32 v[196:197], v[198:199], v[212:213]
	v_div_scale_f64 v[198:199], s[18:19], v[196:197], v[196:197], 1.0
	v_rcp_f64_e32 v[214:215], v[198:199]
	s_nop 0
	v_fma_f64 v[216:217], -v[198:199], v[214:215], 1.0
	v_fmac_f64_e32 v[214:215], v[214:215], v[216:217]
	v_fma_f64 v[216:217], -v[198:199], v[214:215], 1.0
	v_fmac_f64_e32 v[214:215], v[214:215], v[216:217]
	v_div_scale_f64 v[216:217], vcc, 1.0, v[196:197], 1.0
	v_mul_f64 v[218:219], v[216:217], v[214:215]
	v_fma_f64 v[198:199], -v[198:199], v[218:219], v[216:217]
	s_nop 1
	v_div_fmas_f64 v[198:199], v[198:199], v[214:215], v[218:219]
	v_div_fixup_f64 v[196:197], v[198:199], v[196:197], 1.0
	v_mul_f64 v[198:199], v[212:213], -v[196:197]
.LBB96_996:
	s_or_b64 exec, exec, s[16:17]
.LBB96_997:
	s_or_b64 exec, exec, s[0:1]
	v_cmp_ne_u32_e32 vcc, v209, v206
	s_and_saveexec_b64 s[0:1], vcc
	s_xor_b64 s[0:1], exec, s[0:1]
	s_cbranch_execz .LBB96_1003
; %bb.998:
	v_cmp_eq_u32_e32 vcc, 47, v209
	s_and_saveexec_b64 s[16:17], vcc
	s_cbranch_execz .LBB96_1002
; %bb.999:
	v_cmp_ne_u32_e32 vcc, 47, v206
	s_xor_b64 s[18:19], s[14:15], -1
	s_and_b64 s[22:23], s[18:19], vcc
	s_and_saveexec_b64 s[18:19], s[22:23]
	s_cbranch_execz .LBB96_1001
; %bb.1000:
	v_ashrrev_i32_e32 v207, 31, v206
	v_lshl_add_u64 v[212:213], v[206:207], 2, v[204:205]
	global_load_dword v207, v[212:213], off
	global_load_dword v209, v[204:205], off offset:188
	s_waitcnt vmcnt(1)
	global_store_dword v[204:205], v207, off offset:188
	s_waitcnt vmcnt(1)
	global_store_dword v[212:213], v209, off
.LBB96_1001:
	s_or_b64 exec, exec, s[18:19]
	v_mov_b32_e32 v209, v206
	v_mov_b32_e32 v211, v206
.LBB96_1002:
	s_or_b64 exec, exec, s[16:17]
.LBB96_1003:
	s_andn2_saveexec_b64 s[0:1], s[0:1]
	s_cbranch_execz .LBB96_1005
; %bb.1004:
	v_mov_b32_e32 v209, 47
	s_waitcnt vmcnt(0)
	ds_write2_b64 v208, v[192:193], v[194:195] offset0:96 offset1:97
.LBB96_1005:
	s_or_b64 exec, exec, s[0:1]
	v_cmp_lt_i32_e32 vcc, 47, v209
	s_waitcnt lgkmcnt(0)
	s_barrier
	s_and_saveexec_b64 s[0:1], vcc
	s_cbranch_execz .LBB96_1007
; %bb.1006:
	ds_read2_b64 v[212:215], v208 offset0:96 offset1:97
	v_mul_f64 v[206:207], v[196:197], v[2:3]
	v_mul_f64 v[2:3], v[198:199], v[2:3]
	v_fmac_f64_e32 v[206:207], v[198:199], v[0:1]
	v_fma_f64 v[0:1], v[196:197], v[0:1], -v[2:3]
	s_waitcnt lgkmcnt(0)
	v_mul_f64 v[2:3], v[214:215], v[206:207]
	v_mul_f64 v[196:197], v[212:213], v[206:207]
	v_fma_f64 v[2:3], v[212:213], v[0:1], -v[2:3]
	v_fmac_f64_e32 v[196:197], v[214:215], v[0:1]
	s_waitcnt vmcnt(0)
	v_add_f64 v[192:193], v[192:193], -v[2:3]
	v_add_f64 v[194:195], v[194:195], -v[196:197]
	v_mov_b64_e32 v[2:3], v[206:207]
.LBB96_1007:
	s_or_b64 exec, exec, s[0:1]
	v_lshl_add_u32 v196, v209, 4, v208
	s_barrier
	s_waitcnt vmcnt(0)
	ds_write2_b64 v196, v[192:193], v[194:195] offset1:1
	s_waitcnt lgkmcnt(0)
	s_barrier
	ds_read2_b64 v[196:199], v208 offset0:96 offset1:97
	s_cmp_lt_i32 s20, 50
	v_mov_b32_e32 v206, 48
	s_cbranch_scc1 .LBB96_1010
; %bb.1008:
	v_add_u32_e32 v207, 0x310, v208
	s_mov_b32 s16, 49
	v_mov_b32_e32 v206, 48
.LBB96_1009:                            ; =>This Inner Loop Header: Depth=1
	ds_read2_b64 v[212:215], v207 offset1:1
	s_waitcnt lgkmcnt(1)
	v_xor_b32_e32 v208, 0x80000000, v197
	v_xor_b32_e32 v219, 0x80000000, v199
	v_cmp_gt_f64_e32 vcc, 0, v[198:199]
	v_cmp_gt_f64_e64 s[0:1], 0, v[196:197]
	v_mov_b32_e32 v216, v196
	v_mov_b32_e32 v218, v198
	v_cndmask_b32_e64 v217, v197, v208, s[0:1]
	v_cndmask_b32_e32 v219, v199, v219, vcc
	s_waitcnt lgkmcnt(0)
	v_xor_b32_e32 v208, 0x80000000, v213
	v_xor_b32_e32 v221, 0x80000000, v215
	v_cmp_gt_f64_e32 vcc, 0, v[214:215]
	v_cmp_gt_f64_e64 s[0:1], 0, v[212:213]
	v_add_f64 v[216:217], v[216:217], v[218:219]
	v_mov_b32_e32 v218, v212
	v_mov_b32_e32 v220, v214
	v_cndmask_b32_e64 v219, v213, v208, s[0:1]
	v_cndmask_b32_e32 v221, v215, v221, vcc
	v_add_f64 v[218:219], v[218:219], v[220:221]
	v_mov_b32_e32 v222, s16
	s_add_i32 s16, s16, 1
	v_cmp_lt_f64_e32 vcc, v[216:217], v[218:219]
	v_add_u32_e32 v207, 16, v207
	s_cmp_lg_u32 s20, s16
	v_cndmask_b32_e32 v197, v197, v213, vcc
	v_cndmask_b32_e32 v196, v196, v212, vcc
	;; [unrolled: 1-line block ×5, first 2 shown]
	s_cbranch_scc1 .LBB96_1009
.LBB96_1010:
	s_waitcnt lgkmcnt(0)
	v_cmp_eq_f64_e32 vcc, 0, v[196:197]
	v_cmp_eq_f64_e64 s[0:1], 0, v[198:199]
	s_and_b64 s[0:1], vcc, s[0:1]
	s_and_saveexec_b64 s[16:17], s[0:1]
	s_xor_b64 s[0:1], exec, s[16:17]
; %bb.1011:
	v_cmp_ne_u32_e32 vcc, 0, v210
	s_nop 1
	v_cndmask_b32_e32 v210, 49, v210, vcc
; %bb.1012:
	s_andn2_saveexec_b64 s[0:1], s[0:1]
	s_cbranch_execz .LBB96_1018
; %bb.1013:
	v_cmp_ngt_f64_e64 s[16:17], |v[196:197]|, |v[198:199]|
	s_and_saveexec_b64 s[18:19], s[16:17]
	s_xor_b64 s[16:17], exec, s[18:19]
	s_cbranch_execz .LBB96_1015
; %bb.1014:
	v_div_scale_f64 v[212:213], s[18:19], v[198:199], v[198:199], v[196:197]
	v_rcp_f64_e32 v[214:215], v[212:213]
	v_div_scale_f64 v[216:217], vcc, v[196:197], v[198:199], v[196:197]
	v_fma_f64 v[218:219], -v[212:213], v[214:215], 1.0
	v_fmac_f64_e32 v[214:215], v[214:215], v[218:219]
	v_fma_f64 v[218:219], -v[212:213], v[214:215], 1.0
	v_fmac_f64_e32 v[214:215], v[214:215], v[218:219]
	v_mul_f64 v[218:219], v[216:217], v[214:215]
	v_fma_f64 v[212:213], -v[212:213], v[218:219], v[216:217]
	v_div_fmas_f64 v[212:213], v[212:213], v[214:215], v[218:219]
	v_div_fixup_f64 v[212:213], v[212:213], v[198:199], v[196:197]
	v_fmac_f64_e32 v[198:199], v[196:197], v[212:213]
	v_div_scale_f64 v[196:197], s[18:19], v[198:199], v[198:199], 1.0
	v_rcp_f64_e32 v[214:215], v[196:197]
	s_nop 0
	v_fma_f64 v[216:217], -v[196:197], v[214:215], 1.0
	v_fmac_f64_e32 v[214:215], v[214:215], v[216:217]
	v_fma_f64 v[216:217], -v[196:197], v[214:215], 1.0
	v_fmac_f64_e32 v[214:215], v[214:215], v[216:217]
	v_div_scale_f64 v[216:217], vcc, 1.0, v[198:199], 1.0
	v_mul_f64 v[218:219], v[216:217], v[214:215]
	v_fma_f64 v[196:197], -v[196:197], v[218:219], v[216:217]
	s_nop 1
	v_div_fmas_f64 v[196:197], v[196:197], v[214:215], v[218:219]
	v_div_fixup_f64 v[198:199], v[196:197], v[198:199], 1.0
	v_mul_f64 v[196:197], v[212:213], v[198:199]
	v_xor_b32_e32 v199, 0x80000000, v199
.LBB96_1015:
	s_andn2_saveexec_b64 s[16:17], s[16:17]
	s_cbranch_execz .LBB96_1017
; %bb.1016:
	v_div_scale_f64 v[212:213], s[18:19], v[196:197], v[196:197], v[198:199]
	v_rcp_f64_e32 v[214:215], v[212:213]
	v_div_scale_f64 v[216:217], vcc, v[198:199], v[196:197], v[198:199]
	v_fma_f64 v[218:219], -v[212:213], v[214:215], 1.0
	v_fmac_f64_e32 v[214:215], v[214:215], v[218:219]
	v_fma_f64 v[218:219], -v[212:213], v[214:215], 1.0
	v_fmac_f64_e32 v[214:215], v[214:215], v[218:219]
	v_mul_f64 v[218:219], v[216:217], v[214:215]
	v_fma_f64 v[212:213], -v[212:213], v[218:219], v[216:217]
	v_div_fmas_f64 v[212:213], v[212:213], v[214:215], v[218:219]
	v_div_fixup_f64 v[212:213], v[212:213], v[196:197], v[198:199]
	v_fmac_f64_e32 v[196:197], v[198:199], v[212:213]
	v_div_scale_f64 v[198:199], s[18:19], v[196:197], v[196:197], 1.0
	v_rcp_f64_e32 v[214:215], v[198:199]
	s_nop 0
	v_fma_f64 v[216:217], -v[198:199], v[214:215], 1.0
	v_fmac_f64_e32 v[214:215], v[214:215], v[216:217]
	v_fma_f64 v[216:217], -v[198:199], v[214:215], 1.0
	v_fmac_f64_e32 v[214:215], v[214:215], v[216:217]
	v_div_scale_f64 v[216:217], vcc, 1.0, v[196:197], 1.0
	v_mul_f64 v[218:219], v[216:217], v[214:215]
	v_fma_f64 v[198:199], -v[198:199], v[218:219], v[216:217]
	s_nop 1
	v_div_fmas_f64 v[198:199], v[198:199], v[214:215], v[218:219]
	v_div_fixup_f64 v[196:197], v[198:199], v[196:197], 1.0
	v_mul_f64 v[198:199], v[212:213], -v[196:197]
.LBB96_1017:
	s_or_b64 exec, exec, s[16:17]
.LBB96_1018:
	s_or_b64 exec, exec, s[0:1]
	v_cmp_ne_u32_e32 vcc, v209, v206
	v_mov_b32_e32 v208, 48
	s_and_saveexec_b64 s[0:1], vcc
	s_cbranch_execz .LBB96_1024
; %bb.1019:
	v_cmp_eq_u32_e32 vcc, 48, v209
	s_and_saveexec_b64 s[16:17], vcc
	s_cbranch_execz .LBB96_1023
; %bb.1020:
	v_cmp_ne_u32_e32 vcc, 48, v206
	s_xor_b64 s[14:15], s[14:15], -1
	s_and_b64 s[18:19], s[14:15], vcc
	s_and_saveexec_b64 s[14:15], s[18:19]
	s_cbranch_execz .LBB96_1022
; %bb.1021:
	v_ashrrev_i32_e32 v207, 31, v206
	v_lshl_add_u64 v[208:209], v[206:207], 2, v[204:205]
	global_load_dword v207, v[208:209], off
	global_load_dword v211, v[204:205], off offset:192
	s_waitcnt vmcnt(1)
	global_store_dword v[204:205], v207, off offset:192
	s_waitcnt vmcnt(1)
	global_store_dword v[208:209], v211, off
.LBB96_1022:
	s_or_b64 exec, exec, s[14:15]
	v_mov_b32_e32 v209, v206
	v_mov_b32_e32 v211, v206
.LBB96_1023:
	s_or_b64 exec, exec, s[16:17]
	v_mov_b32_e32 v208, v209
.LBB96_1024:
	s_or_b64 exec, exec, s[0:1]
	v_cmp_gt_i32_e32 vcc, 49, v208
	v_ashrrev_i32_e32 v209, 31, v208
	s_barrier
	s_barrier
	s_and_saveexec_b64 s[0:1], vcc
	s_cbranch_execz .LBB96_1026
; %bb.1025:
	v_mov_b32_e32 v204, s6
	v_mov_b32_e32 v205, s7
	v_mul_lo_u32 v212, s11, v202
	v_mul_lo_u32 v213, s10, v203
	v_mad_u64_u32 v[206:207], s[6:7], s10, v202, 0
	v_add3_u32 v207, v207, v213, v212
	v_lshl_add_u64 v[204:205], v[206:207], 2, v[204:205]
	v_lshl_add_u64 v[204:205], s[8:9], 2, v[204:205]
	;; [unrolled: 1-line block ×3, first 2 shown]
	v_add3_u32 v206, v211, s13, 1
	global_store_dword v[204:205], v206, off
.LBB96_1026:
	s_or_b64 exec, exec, s[0:1]
	v_cmp_eq_u32_e32 vcc, 0, v208
	s_and_saveexec_b64 s[6:7], vcc
	s_cbranch_execz .LBB96_1029
; %bb.1027:
	v_mov_b32_e32 v204, s4
	v_mov_b32_e32 v205, s5
	v_lshl_add_u64 v[202:203], v[202:203], 2, v[204:205]
	global_load_dword v204, v[202:203], off
	v_cmp_ne_u32_e64 s[0:1], 0, v210
	s_waitcnt vmcnt(0)
	v_cmp_eq_u32_e32 vcc, 0, v204
	s_and_b64 s[0:1], vcc, s[0:1]
	s_and_b64 exec, exec, s[0:1]
	s_cbranch_execz .LBB96_1029
; %bb.1028:
	v_add_u32_e32 v204, s13, v210
	global_store_dword v[202:203], v204, off
.LBB96_1029:
	s_or_b64 exec, exec, s[6:7]
	v_mul_f64 v[202:203], v[198:199], v[194:195]
	v_fma_f64 v[202:203], v[196:197], v[192:193], -v[202:203]
	v_mul_f64 v[196:197], v[196:197], v[194:195]
	v_fmac_f64_e32 v[196:197], v[198:199], v[192:193]
	v_cmp_lt_i32_e32 vcc, 48, v208
	s_nop 1
	v_cndmask_b32_e32 v195, v195, v197, vcc
	v_cndmask_b32_e32 v194, v194, v196, vcc
	v_lshl_add_u64 v[196:197], v[208:209], 4, v[200:201]
	global_store_dwordx4 v[196:197], v[132:135], off
	v_cndmask_b32_e32 v193, v193, v203, vcc
	v_cndmask_b32_e32 v192, v192, v202, vcc
	v_lshl_add_u64 v[132:133], s[2:3], 4, v[196:197]
	global_store_dwordx4 v[132:133], v[124:127], off
	s_nop 1
	v_add_u32_e32 v124, s12, v208
	v_ashrrev_i32_e32 v125, 31, v124
	v_lshl_add_u64 v[126:127], v[124:125], 4, v[200:201]
	v_add_u32_e32 v124, s2, v124
	v_ashrrev_i32_e32 v125, 31, v124
	global_store_dwordx4 v[126:127], v[188:191], off
	v_lshl_add_u64 v[126:127], v[124:125], 4, v[200:201]
	v_add_u32_e32 v124, s2, v124
	v_ashrrev_i32_e32 v125, 31, v124
	global_store_dwordx4 v[126:127], v[184:187], off
	;; [unrolled: 4-line block ×15, first 2 shown]
	v_lshl_add_u64 v[126:127], v[124:125], 4, v[200:201]
	global_store_dwordx4 v[126:127], v[120:123], off
	s_nop 1
	v_add_u32_e32 v120, s2, v124
	v_ashrrev_i32_e32 v121, 31, v120
	v_lshl_add_u64 v[122:123], v[120:121], 4, v[200:201]
	global_store_dwordx4 v[122:123], v[116:119], off
	s_nop 1
	v_add_u32_e32 v116, s2, v120
	v_ashrrev_i32_e32 v117, 31, v116
	;; [unrolled: 5-line block ×31, first 2 shown]
	v_lshl_add_u64 v[0:1], v[0:1], 4, v[200:201]
	global_store_dwordx4 v[0:1], v[192:195], off
.LBB96_1030:
	s_endpgm
	.section	.rodata,"a",@progbits
	.p2align	6, 0x0
	.amdhsa_kernel _ZN9rocsolver6v33100L18getf2_small_kernelILi49E19rocblas_complex_numIdEiiPS3_EEvT1_T3_lS5_lPS5_llPT2_S5_S5_S7_l
		.amdhsa_group_segment_fixed_size 0
		.amdhsa_private_segment_fixed_size 0
		.amdhsa_kernarg_size 352
		.amdhsa_user_sgpr_count 2
		.amdhsa_user_sgpr_dispatch_ptr 0
		.amdhsa_user_sgpr_queue_ptr 0
		.amdhsa_user_sgpr_kernarg_segment_ptr 1
		.amdhsa_user_sgpr_dispatch_id 0
		.amdhsa_user_sgpr_kernarg_preload_length 0
		.amdhsa_user_sgpr_kernarg_preload_offset 0
		.amdhsa_user_sgpr_private_segment_size 0
		.amdhsa_uses_dynamic_stack 0
		.amdhsa_enable_private_segment 0
		.amdhsa_system_sgpr_workgroup_id_x 1
		.amdhsa_system_sgpr_workgroup_id_y 1
		.amdhsa_system_sgpr_workgroup_id_z 0
		.amdhsa_system_sgpr_workgroup_info 0
		.amdhsa_system_vgpr_workitem_id 1
		.amdhsa_next_free_vgpr 236
		.amdhsa_next_free_sgpr 24
		.amdhsa_accum_offset 236
		.amdhsa_reserve_vcc 1
		.amdhsa_float_round_mode_32 0
		.amdhsa_float_round_mode_16_64 0
		.amdhsa_float_denorm_mode_32 3
		.amdhsa_float_denorm_mode_16_64 3
		.amdhsa_dx10_clamp 1
		.amdhsa_ieee_mode 1
		.amdhsa_fp16_overflow 0
		.amdhsa_tg_split 0
		.amdhsa_exception_fp_ieee_invalid_op 0
		.amdhsa_exception_fp_denorm_src 0
		.amdhsa_exception_fp_ieee_div_zero 0
		.amdhsa_exception_fp_ieee_overflow 0
		.amdhsa_exception_fp_ieee_underflow 0
		.amdhsa_exception_fp_ieee_inexact 0
		.amdhsa_exception_int_div_zero 0
	.end_amdhsa_kernel
	.section	.text._ZN9rocsolver6v33100L18getf2_small_kernelILi49E19rocblas_complex_numIdEiiPS3_EEvT1_T3_lS5_lPS5_llPT2_S5_S5_S7_l,"axG",@progbits,_ZN9rocsolver6v33100L18getf2_small_kernelILi49E19rocblas_complex_numIdEiiPS3_EEvT1_T3_lS5_lPS5_llPT2_S5_S5_S7_l,comdat
.Lfunc_end96:
	.size	_ZN9rocsolver6v33100L18getf2_small_kernelILi49E19rocblas_complex_numIdEiiPS3_EEvT1_T3_lS5_lPS5_llPT2_S5_S5_S7_l, .Lfunc_end96-_ZN9rocsolver6v33100L18getf2_small_kernelILi49E19rocblas_complex_numIdEiiPS3_EEvT1_T3_lS5_lPS5_llPT2_S5_S5_S7_l
                                        ; -- End function
	.set _ZN9rocsolver6v33100L18getf2_small_kernelILi49E19rocblas_complex_numIdEiiPS3_EEvT1_T3_lS5_lPS5_llPT2_S5_S5_S7_l.num_vgpr, 236
	.set _ZN9rocsolver6v33100L18getf2_small_kernelILi49E19rocblas_complex_numIdEiiPS3_EEvT1_T3_lS5_lPS5_llPT2_S5_S5_S7_l.num_agpr, 0
	.set _ZN9rocsolver6v33100L18getf2_small_kernelILi49E19rocblas_complex_numIdEiiPS3_EEvT1_T3_lS5_lPS5_llPT2_S5_S5_S7_l.numbered_sgpr, 24
	.set _ZN9rocsolver6v33100L18getf2_small_kernelILi49E19rocblas_complex_numIdEiiPS3_EEvT1_T3_lS5_lPS5_llPT2_S5_S5_S7_l.num_named_barrier, 0
	.set _ZN9rocsolver6v33100L18getf2_small_kernelILi49E19rocblas_complex_numIdEiiPS3_EEvT1_T3_lS5_lPS5_llPT2_S5_S5_S7_l.private_seg_size, 0
	.set _ZN9rocsolver6v33100L18getf2_small_kernelILi49E19rocblas_complex_numIdEiiPS3_EEvT1_T3_lS5_lPS5_llPT2_S5_S5_S7_l.uses_vcc, 1
	.set _ZN9rocsolver6v33100L18getf2_small_kernelILi49E19rocblas_complex_numIdEiiPS3_EEvT1_T3_lS5_lPS5_llPT2_S5_S5_S7_l.uses_flat_scratch, 0
	.set _ZN9rocsolver6v33100L18getf2_small_kernelILi49E19rocblas_complex_numIdEiiPS3_EEvT1_T3_lS5_lPS5_llPT2_S5_S5_S7_l.has_dyn_sized_stack, 0
	.set _ZN9rocsolver6v33100L18getf2_small_kernelILi49E19rocblas_complex_numIdEiiPS3_EEvT1_T3_lS5_lPS5_llPT2_S5_S5_S7_l.has_recursion, 0
	.set _ZN9rocsolver6v33100L18getf2_small_kernelILi49E19rocblas_complex_numIdEiiPS3_EEvT1_T3_lS5_lPS5_llPT2_S5_S5_S7_l.has_indirect_call, 0
	.section	.AMDGPU.csdata,"",@progbits
; Kernel info:
; codeLenInByte = 129896
; TotalNumSgprs: 30
; NumVgprs: 236
; NumAgprs: 0
; TotalNumVgprs: 236
; ScratchSize: 0
; MemoryBound: 0
; FloatMode: 240
; IeeeMode: 1
; LDSByteSize: 0 bytes/workgroup (compile time only)
; SGPRBlocks: 3
; VGPRBlocks: 29
; NumSGPRsForWavesPerEU: 30
; NumVGPRsForWavesPerEU: 236
; AccumOffset: 236
; Occupancy: 2
; WaveLimiterHint : 0
; COMPUTE_PGM_RSRC2:SCRATCH_EN: 0
; COMPUTE_PGM_RSRC2:USER_SGPR: 2
; COMPUTE_PGM_RSRC2:TRAP_HANDLER: 0
; COMPUTE_PGM_RSRC2:TGID_X_EN: 1
; COMPUTE_PGM_RSRC2:TGID_Y_EN: 1
; COMPUTE_PGM_RSRC2:TGID_Z_EN: 0
; COMPUTE_PGM_RSRC2:TIDIG_COMP_CNT: 1
; COMPUTE_PGM_RSRC3_GFX90A:ACCUM_OFFSET: 58
; COMPUTE_PGM_RSRC3_GFX90A:TG_SPLIT: 0
	.section	.text._ZN9rocsolver6v33100L23getf2_npvt_small_kernelILi49E19rocblas_complex_numIdEiiPS3_EEvT1_T3_lS5_lPT2_S5_S5_,"axG",@progbits,_ZN9rocsolver6v33100L23getf2_npvt_small_kernelILi49E19rocblas_complex_numIdEiiPS3_EEvT1_T3_lS5_lPT2_S5_S5_,comdat
	.globl	_ZN9rocsolver6v33100L23getf2_npvt_small_kernelILi49E19rocblas_complex_numIdEiiPS3_EEvT1_T3_lS5_lPT2_S5_S5_ ; -- Begin function _ZN9rocsolver6v33100L23getf2_npvt_small_kernelILi49E19rocblas_complex_numIdEiiPS3_EEvT1_T3_lS5_lPT2_S5_S5_
	.p2align	8
	.type	_ZN9rocsolver6v33100L23getf2_npvt_small_kernelILi49E19rocblas_complex_numIdEiiPS3_EEvT1_T3_lS5_lPT2_S5_S5_,@function
_ZN9rocsolver6v33100L23getf2_npvt_small_kernelILi49E19rocblas_complex_numIdEiiPS3_EEvT1_T3_lS5_lPT2_S5_S5_: ; @_ZN9rocsolver6v33100L23getf2_npvt_small_kernelILi49E19rocblas_complex_numIdEiiPS3_EEvT1_T3_lS5_lPT2_S5_S5_
; %bb.0:
	s_load_dword s2, s[0:1], 0x44
	s_load_dwordx2 s[8:9], s[0:1], 0x30
	v_bfe_u32 v2, v0, 10, 10
	s_waitcnt lgkmcnt(0)
	s_lshr_b32 s2, s2, 16
	s_mul_i32 s3, s3, s2
	v_add_u32_e32 v178, s3, v2
	v_cmp_gt_i32_e32 vcc, s8, v178
	s_and_saveexec_b64 s[4:5], vcc
	s_cbranch_execz .LBB97_444
; %bb.1:
	s_load_dwordx4 s[12:15], s[0:1], 0x8
	s_load_dword s10, s[0:1], 0x18
	s_load_dwordx4 s[4:7], s[0:1], 0x20
	v_ashrrev_i32_e32 v179, 31, v178
	v_and_b32_e32 v214, 0x3ff, v0
	s_waitcnt lgkmcnt(0)
	v_mov_b32_e32 v0, s12
	v_mov_b32_e32 v1, s13
	v_mul_lo_u32 v3, s5, v178
	v_mul_lo_u32 v6, s4, v179
	v_mad_u64_u32 v[4:5], s[0:1], s4, v178, 0
	v_add3_u32 v5, v5, v6, v3
	v_lshl_add_u64 v[0:1], v[4:5], 4, v[0:1]
	v_lshl_add_u64 v[0:1], s[14:15], 4, v[0:1]
	v_lshlrev_b32_e32 v4, 4, v214
	v_mov_b32_e32 v5, 0
	s_add_i32 s0, s10, s10
	v_lshl_add_u64 v[220:221], v[0:1], 0, v[4:5]
	v_add_u32_e32 v4, s0, v214
	v_ashrrev_i32_e32 v5, 31, v4
	v_lshl_add_u64 v[6:7], v[4:5], 4, v[0:1]
	v_add_u32_e32 v4, s10, v4
	v_ashrrev_i32_e32 v5, 31, v4
	;; [unrolled: 3-line block ×46, first 2 shown]
	v_lshl_add_u64 v[114:115], v[4:5], 4, v[0:1]
	v_add_u32_e32 v4, s10, v4
	s_mulk_i32 s2, 0x310
	v_ashrrev_i32_e32 v5, 31, v4
	s_movk_i32 s0, 0x310
	s_add_i32 s1, s2, 0
	v_lshl_add_u64 v[112:113], v[4:5], 4, v[0:1]
	v_mad_u32_u24 v213, v2, s0, 0
	v_lshl_add_u32 v215, v2, 4, s1
	global_load_dwordx4 v[0:3], v[220:221], off
	s_ashr_i32 s11, s10, 31
	v_lshl_add_u64 v[248:249], s[10:11], 4, v[220:221]
	v_cmp_ne_u32_e64 s[2:3], 0, v214
	v_cmp_eq_u32_e64 s[0:1], 0, v214
	s_waitcnt vmcnt(0)
	scratch_store_dwordx4 off, v[0:3], off offset:256 ; 16-byte Folded Spill
	global_load_dwordx4 v[0:3], v[248:249], off
	s_waitcnt vmcnt(0)
	scratch_store_dwordx4 off, v[0:3], off offset:240 ; 16-byte Folded Spill
	scratch_store_dwordx2 off, v[6:7], off offset:272 ; 8-byte Folded Spill
	global_load_dwordx4 v[0:3], v[6:7], off
	s_waitcnt vmcnt(0)
	scratch_store_dwordx4 off, v[0:3], off offset:224 ; 16-byte Folded Spill
	scratch_store_dwordx2 off, v[8:9], off offset:280 ; 8-byte Folded Spill
	;; [unrolled: 4-line block ×3, first 2 shown]
	global_load_dwordx4 v[0:3], v[10:11], off
	s_waitcnt vmcnt(0)
	scratch_store_dwordx4 off, v[0:3], off offset:192 ; 16-byte Folded Spill
	global_load_dwordx4 v[0:3], v[190:191], off
	s_waitcnt vmcnt(0)
	scratch_store_dwordx4 off, v[0:3], off offset:176 ; 16-byte Folded Spill
	;; [unrolled: 3-line block ×12, first 2 shown]
	global_load_dwordx4 v[244:247], v[168:169], off
	global_load_dwordx4 v[192:195], v[166:167], off
	;; [unrolled: 1-line block ×33, first 2 shown]
	s_waitcnt vmcnt(0)
	scratch_store_dwordx4 off, v[196:199], off ; 16-byte Folded Spill
	s_and_saveexec_b64 s[10:11], s[0:1]
	s_cbranch_execz .LBB97_8
; %bb.2:
	scratch_load_dwordx4 v[196:199], off, off offset:256 ; 16-byte Folded Reload
	s_waitcnt vmcnt(0)
	ds_write2_b64 v215, v[196:197], v[198:199] offset1:1
	scratch_load_dwordx4 v[196:199], off, off offset:240 ; 16-byte Folded Reload
	s_waitcnt vmcnt(0)
	ds_write2_b64 v213, v[196:197], v[198:199] offset0:2 offset1:3
	scratch_load_dwordx4 v[196:199], off, off offset:224 ; 16-byte Folded Reload
	s_waitcnt vmcnt(0)
	ds_write2_b64 v213, v[196:197], v[198:199] offset0:4 offset1:5
	;; [unrolled: 3-line block ×15, first 2 shown]
	ds_write2_b64 v213, v[244:245], v[246:247] offset0:32 offset1:33
	ds_write2_b64 v213, v[192:193], v[194:195] offset0:34 offset1:35
	;; [unrolled: 1-line block ×32, first 2 shown]
	scratch_load_dwordx4 v[196:199], off, off ; 16-byte Folded Reload
	s_waitcnt vmcnt(0)
	ds_write2_b64 v213, v[196:197], v[198:199] offset0:96 offset1:97
	ds_read2_b64 v[196:199], v215 offset1:1
	s_waitcnt lgkmcnt(0)
	v_cmp_neq_f64_e32 vcc, 0, v[196:197]
	v_cmp_neq_f64_e64 s[4:5], 0, v[198:199]
	s_or_b64 s[4:5], vcc, s[4:5]
	s_and_b64 exec, exec, s[4:5]
	s_cbranch_execz .LBB97_8
; %bb.3:
	v_cmp_ngt_f64_e64 s[4:5], |v[196:197]|, |v[198:199]|
                                        ; implicit-def: $vgpr200_vgpr201
	s_and_saveexec_b64 s[12:13], s[4:5]
	s_xor_b64 s[4:5], exec, s[12:13]
                                        ; implicit-def: $vgpr202_vgpr203
	s_cbranch_execz .LBB97_5
; %bb.4:
	v_div_scale_f64 v[200:201], s[12:13], v[198:199], v[198:199], v[196:197]
	v_rcp_f64_e32 v[202:203], v[200:201]
	v_div_scale_f64 v[204:205], vcc, v[196:197], v[198:199], v[196:197]
	v_fma_f64 v[206:207], -v[200:201], v[202:203], 1.0
	v_fmac_f64_e32 v[202:203], v[202:203], v[206:207]
	v_fma_f64 v[206:207], -v[200:201], v[202:203], 1.0
	v_fmac_f64_e32 v[202:203], v[202:203], v[206:207]
	v_mul_f64 v[206:207], v[204:205], v[202:203]
	v_fma_f64 v[200:201], -v[200:201], v[206:207], v[204:205]
	v_div_fmas_f64 v[200:201], v[200:201], v[202:203], v[206:207]
	v_div_fixup_f64 v[200:201], v[200:201], v[198:199], v[196:197]
	v_fmac_f64_e32 v[198:199], v[196:197], v[200:201]
	v_div_scale_f64 v[196:197], s[12:13], v[198:199], v[198:199], 1.0
	v_rcp_f64_e32 v[202:203], v[196:197]
	s_nop 0
	v_fma_f64 v[204:205], -v[196:197], v[202:203], 1.0
	v_fmac_f64_e32 v[202:203], v[202:203], v[204:205]
	v_fma_f64 v[204:205], -v[196:197], v[202:203], 1.0
	v_fmac_f64_e32 v[202:203], v[202:203], v[204:205]
	v_div_scale_f64 v[204:205], vcc, 1.0, v[198:199], 1.0
	v_mul_f64 v[206:207], v[204:205], v[202:203]
	v_fma_f64 v[196:197], -v[196:197], v[206:207], v[204:205]
	s_nop 1
	v_div_fmas_f64 v[196:197], v[196:197], v[202:203], v[206:207]
	v_div_fixup_f64 v[202:203], v[196:197], v[198:199], 1.0
	v_mul_f64 v[200:201], v[200:201], v[202:203]
	v_xor_b32_e32 v203, 0x80000000, v203
                                        ; implicit-def: $vgpr196_vgpr197
.LBB97_5:
	s_andn2_saveexec_b64 s[4:5], s[4:5]
	s_cbranch_execz .LBB97_7
; %bb.6:
	v_div_scale_f64 v[200:201], s[12:13], v[196:197], v[196:197], v[198:199]
	v_rcp_f64_e32 v[202:203], v[200:201]
	v_div_scale_f64 v[204:205], vcc, v[198:199], v[196:197], v[198:199]
	v_fma_f64 v[206:207], -v[200:201], v[202:203], 1.0
	v_fmac_f64_e32 v[202:203], v[202:203], v[206:207]
	v_fma_f64 v[206:207], -v[200:201], v[202:203], 1.0
	v_fmac_f64_e32 v[202:203], v[202:203], v[206:207]
	v_mul_f64 v[206:207], v[204:205], v[202:203]
	v_fma_f64 v[200:201], -v[200:201], v[206:207], v[204:205]
	v_div_fmas_f64 v[200:201], v[200:201], v[202:203], v[206:207]
	v_div_fixup_f64 v[202:203], v[200:201], v[196:197], v[198:199]
	v_fmac_f64_e32 v[196:197], v[198:199], v[202:203]
	v_div_scale_f64 v[198:199], s[12:13], v[196:197], v[196:197], 1.0
	v_rcp_f64_e32 v[200:201], v[198:199]
	s_nop 0
	v_fma_f64 v[204:205], -v[198:199], v[200:201], 1.0
	v_fmac_f64_e32 v[200:201], v[200:201], v[204:205]
	v_fma_f64 v[204:205], -v[198:199], v[200:201], 1.0
	v_fmac_f64_e32 v[200:201], v[200:201], v[204:205]
	v_div_scale_f64 v[204:205], vcc, 1.0, v[196:197], 1.0
	v_mul_f64 v[206:207], v[204:205], v[200:201]
	v_fma_f64 v[198:199], -v[198:199], v[206:207], v[204:205]
	s_nop 1
	v_div_fmas_f64 v[198:199], v[198:199], v[200:201], v[206:207]
	v_div_fixup_f64 v[200:201], v[198:199], v[196:197], 1.0
	v_mul_f64 v[202:203], v[202:203], -v[200:201]
.LBB97_7:
	s_or_b64 exec, exec, s[4:5]
	ds_write2_b64 v215, v[200:201], v[202:203] offset1:1
.LBB97_8:
	s_or_b64 exec, exec, s[10:11]
	s_waitcnt lgkmcnt(0)
	s_barrier
	ds_read2_b64 v[196:199], v215 offset1:1
	s_waitcnt lgkmcnt(0)
	scratch_store_dwordx4 off, v[196:199], off offset:296 ; 16-byte Folded Spill
	s_and_saveexec_b64 s[4:5], s[2:3]
	s_cbranch_execz .LBB97_10
; %bb.9:
	scratch_load_dwordx4 v[202:205], off, off offset:256 ; 16-byte Folded Reload
	scratch_load_dwordx4 v[198:201], off, off offset:296 ; 16-byte Folded Reload
	s_waitcnt vmcnt(0)
	v_mul_f64 v[196:197], v[200:201], v[204:205]
	v_mul_f64 v[204:205], v[198:199], v[204:205]
	v_fma_f64 v[196:197], v[198:199], v[202:203], -v[196:197]
	v_fmac_f64_e32 v[204:205], v[200:201], v[202:203]
	ds_read2_b64 v[198:201], v213 offset0:2 offset1:3
	s_waitcnt lgkmcnt(0)
	v_mul_f64 v[188:189], v[200:201], v[204:205]
	v_fma_f64 v[188:189], v[198:199], v[196:197], -v[188:189]
	v_mul_f64 v[198:199], v[198:199], v[204:205]
	v_fmac_f64_e32 v[198:199], v[200:201], v[196:197]
	scratch_load_dwordx4 v[200:203], off, off offset:240 ; 16-byte Folded Reload
	s_waitcnt vmcnt(0)
	v_add_f64 v[200:201], v[200:201], -v[188:189]
	v_add_f64 v[202:203], v[202:203], -v[198:199]
	scratch_store_dwordx4 off, v[200:203], off offset:240 ; 16-byte Folded Spill
	ds_read2_b64 v[198:201], v213 offset0:4 offset1:5
	s_waitcnt lgkmcnt(0)
	v_mul_f64 v[188:189], v[200:201], v[204:205]
	v_fma_f64 v[188:189], v[198:199], v[196:197], -v[188:189]
	v_mul_f64 v[198:199], v[198:199], v[204:205]
	v_fmac_f64_e32 v[198:199], v[200:201], v[196:197]
	scratch_load_dwordx4 v[200:203], off, off offset:224 ; 16-byte Folded Reload
	s_waitcnt vmcnt(0)
	v_add_f64 v[200:201], v[200:201], -v[188:189]
	v_add_f64 v[202:203], v[202:203], -v[198:199]
	scratch_store_dwordx4 off, v[200:203], off offset:224 ; 16-byte Folded Spill
	;; [unrolled: 11-line block ×15, first 2 shown]
	ds_read2_b64 v[198:201], v213 offset0:32 offset1:33
	s_waitcnt lgkmcnt(0)
	v_mul_f64 v[188:189], v[200:201], v[204:205]
	v_fma_f64 v[188:189], v[198:199], v[196:197], -v[188:189]
	v_mul_f64 v[198:199], v[198:199], v[204:205]
	v_fmac_f64_e32 v[198:199], v[200:201], v[196:197]
	v_add_f64 v[246:247], v[246:247], -v[198:199]
	ds_read2_b64 v[198:201], v213 offset0:34 offset1:35
	v_add_f64 v[244:245], v[244:245], -v[188:189]
	s_waitcnt lgkmcnt(0)
	v_mul_f64 v[188:189], v[200:201], v[204:205]
	v_fma_f64 v[188:189], v[198:199], v[196:197], -v[188:189]
	v_mul_f64 v[198:199], v[198:199], v[204:205]
	v_fmac_f64_e32 v[198:199], v[200:201], v[196:197]
	v_add_f64 v[194:195], v[194:195], -v[198:199]
	ds_read2_b64 v[198:201], v213 offset0:36 offset1:37
	v_add_f64 v[192:193], v[192:193], -v[188:189]
	s_waitcnt lgkmcnt(0)
	v_mul_f64 v[188:189], v[200:201], v[204:205]
	v_fma_f64 v[188:189], v[198:199], v[196:197], -v[188:189]
	v_mul_f64 v[198:199], v[198:199], v[204:205]
	v_fmac_f64_e32 v[198:199], v[200:201], v[196:197]
	v_add_f64 v[228:229], v[228:229], -v[198:199]
	ds_read2_b64 v[198:201], v213 offset0:38 offset1:39
	v_add_f64 v[226:227], v[226:227], -v[188:189]
	s_waitcnt lgkmcnt(0)
	v_mul_f64 v[188:189], v[200:201], v[204:205]
	v_fma_f64 v[188:189], v[198:199], v[196:197], -v[188:189]
	v_mul_f64 v[198:199], v[198:199], v[204:205]
	v_fmac_f64_e32 v[198:199], v[200:201], v[196:197]
	v_add_f64 v[242:243], v[242:243], -v[198:199]
	ds_read2_b64 v[198:201], v213 offset0:40 offset1:41
	v_add_f64 v[240:241], v[240:241], -v[188:189]
	s_waitcnt lgkmcnt(0)
	v_mul_f64 v[188:189], v[200:201], v[204:205]
	v_fma_f64 v[188:189], v[198:199], v[196:197], -v[188:189]
	v_mul_f64 v[198:199], v[198:199], v[204:205]
	v_fmac_f64_e32 v[198:199], v[200:201], v[196:197]
	v_add_f64 v[110:111], v[110:111], -v[198:199]
	ds_read2_b64 v[198:201], v213 offset0:42 offset1:43
	v_add_f64 v[108:109], v[108:109], -v[188:189]
	s_waitcnt lgkmcnt(0)
	v_mul_f64 v[188:189], v[200:201], v[204:205]
	v_fma_f64 v[188:189], v[198:199], v[196:197], -v[188:189]
	v_mul_f64 v[198:199], v[198:199], v[204:205]
	v_fmac_f64_e32 v[198:199], v[200:201], v[196:197]
	v_add_f64 v[106:107], v[106:107], -v[198:199]
	ds_read2_b64 v[198:201], v213 offset0:44 offset1:45
	v_add_f64 v[104:105], v[104:105], -v[188:189]
	s_waitcnt lgkmcnt(0)
	v_mul_f64 v[188:189], v[200:201], v[204:205]
	v_fma_f64 v[188:189], v[198:199], v[196:197], -v[188:189]
	v_mul_f64 v[198:199], v[198:199], v[204:205]
	v_fmac_f64_e32 v[198:199], v[200:201], v[196:197]
	v_add_f64 v[102:103], v[102:103], -v[198:199]
	ds_read2_b64 v[198:201], v213 offset0:46 offset1:47
	v_add_f64 v[100:101], v[100:101], -v[188:189]
	s_waitcnt lgkmcnt(0)
	v_mul_f64 v[188:189], v[200:201], v[204:205]
	v_fma_f64 v[188:189], v[198:199], v[196:197], -v[188:189]
	v_mul_f64 v[198:199], v[198:199], v[204:205]
	v_fmac_f64_e32 v[198:199], v[200:201], v[196:197]
	v_add_f64 v[98:99], v[98:99], -v[198:199]
	ds_read2_b64 v[198:201], v213 offset0:48 offset1:49
	v_add_f64 v[96:97], v[96:97], -v[188:189]
	s_waitcnt lgkmcnt(0)
	v_mul_f64 v[188:189], v[200:201], v[204:205]
	v_fma_f64 v[188:189], v[198:199], v[196:197], -v[188:189]
	v_mul_f64 v[198:199], v[198:199], v[204:205]
	v_fmac_f64_e32 v[198:199], v[200:201], v[196:197]
	v_add_f64 v[94:95], v[94:95], -v[198:199]
	ds_read2_b64 v[198:201], v213 offset0:50 offset1:51
	v_add_f64 v[92:93], v[92:93], -v[188:189]
	s_waitcnt lgkmcnt(0)
	v_mul_f64 v[188:189], v[200:201], v[204:205]
	v_fma_f64 v[188:189], v[198:199], v[196:197], -v[188:189]
	v_mul_f64 v[198:199], v[198:199], v[204:205]
	v_fmac_f64_e32 v[198:199], v[200:201], v[196:197]
	v_add_f64 v[90:91], v[90:91], -v[198:199]
	ds_read2_b64 v[198:201], v213 offset0:52 offset1:53
	v_add_f64 v[88:89], v[88:89], -v[188:189]
	s_waitcnt lgkmcnt(0)
	v_mul_f64 v[188:189], v[200:201], v[204:205]
	v_fma_f64 v[188:189], v[198:199], v[196:197], -v[188:189]
	v_mul_f64 v[198:199], v[198:199], v[204:205]
	v_fmac_f64_e32 v[198:199], v[200:201], v[196:197]
	v_add_f64 v[86:87], v[86:87], -v[198:199]
	ds_read2_b64 v[198:201], v213 offset0:54 offset1:55
	v_add_f64 v[84:85], v[84:85], -v[188:189]
	s_waitcnt lgkmcnt(0)
	v_mul_f64 v[188:189], v[200:201], v[204:205]
	v_fma_f64 v[188:189], v[198:199], v[196:197], -v[188:189]
	v_mul_f64 v[198:199], v[198:199], v[204:205]
	v_fmac_f64_e32 v[198:199], v[200:201], v[196:197]
	v_add_f64 v[82:83], v[82:83], -v[198:199]
	ds_read2_b64 v[198:201], v213 offset0:56 offset1:57
	v_add_f64 v[80:81], v[80:81], -v[188:189]
	s_waitcnt lgkmcnt(0)
	v_mul_f64 v[188:189], v[200:201], v[204:205]
	v_fma_f64 v[188:189], v[198:199], v[196:197], -v[188:189]
	v_mul_f64 v[198:199], v[198:199], v[204:205]
	v_fmac_f64_e32 v[198:199], v[200:201], v[196:197]
	v_add_f64 v[78:79], v[78:79], -v[198:199]
	ds_read2_b64 v[198:201], v213 offset0:58 offset1:59
	v_add_f64 v[76:77], v[76:77], -v[188:189]
	s_waitcnt lgkmcnt(0)
	v_mul_f64 v[188:189], v[200:201], v[204:205]
	v_fma_f64 v[188:189], v[198:199], v[196:197], -v[188:189]
	v_mul_f64 v[198:199], v[198:199], v[204:205]
	v_fmac_f64_e32 v[198:199], v[200:201], v[196:197]
	v_add_f64 v[74:75], v[74:75], -v[198:199]
	ds_read2_b64 v[198:201], v213 offset0:60 offset1:61
	v_add_f64 v[72:73], v[72:73], -v[188:189]
	s_waitcnt lgkmcnt(0)
	v_mul_f64 v[188:189], v[200:201], v[204:205]
	v_fma_f64 v[188:189], v[198:199], v[196:197], -v[188:189]
	v_mul_f64 v[198:199], v[198:199], v[204:205]
	v_fmac_f64_e32 v[198:199], v[200:201], v[196:197]
	v_add_f64 v[70:71], v[70:71], -v[198:199]
	ds_read2_b64 v[198:201], v213 offset0:62 offset1:63
	v_add_f64 v[68:69], v[68:69], -v[188:189]
	s_waitcnt lgkmcnt(0)
	v_mul_f64 v[188:189], v[200:201], v[204:205]
	v_fma_f64 v[188:189], v[198:199], v[196:197], -v[188:189]
	v_mul_f64 v[198:199], v[198:199], v[204:205]
	v_fmac_f64_e32 v[198:199], v[200:201], v[196:197]
	v_add_f64 v[66:67], v[66:67], -v[198:199]
	ds_read2_b64 v[198:201], v213 offset0:64 offset1:65
	v_add_f64 v[64:65], v[64:65], -v[188:189]
	s_waitcnt lgkmcnt(0)
	v_mul_f64 v[188:189], v[200:201], v[204:205]
	v_fma_f64 v[188:189], v[198:199], v[196:197], -v[188:189]
	v_mul_f64 v[198:199], v[198:199], v[204:205]
	v_fmac_f64_e32 v[198:199], v[200:201], v[196:197]
	v_add_f64 v[62:63], v[62:63], -v[198:199]
	ds_read2_b64 v[198:201], v213 offset0:66 offset1:67
	v_add_f64 v[60:61], v[60:61], -v[188:189]
	s_waitcnt lgkmcnt(0)
	v_mul_f64 v[188:189], v[200:201], v[204:205]
	v_fma_f64 v[188:189], v[198:199], v[196:197], -v[188:189]
	v_mul_f64 v[198:199], v[198:199], v[204:205]
	v_fmac_f64_e32 v[198:199], v[200:201], v[196:197]
	v_add_f64 v[58:59], v[58:59], -v[198:199]
	ds_read2_b64 v[198:201], v213 offset0:68 offset1:69
	v_add_f64 v[56:57], v[56:57], -v[188:189]
	s_waitcnt lgkmcnt(0)
	v_mul_f64 v[188:189], v[200:201], v[204:205]
	v_fma_f64 v[188:189], v[198:199], v[196:197], -v[188:189]
	v_mul_f64 v[198:199], v[198:199], v[204:205]
	v_fmac_f64_e32 v[198:199], v[200:201], v[196:197]
	v_add_f64 v[54:55], v[54:55], -v[198:199]
	ds_read2_b64 v[198:201], v213 offset0:70 offset1:71
	v_add_f64 v[52:53], v[52:53], -v[188:189]
	s_waitcnt lgkmcnt(0)
	v_mul_f64 v[188:189], v[200:201], v[204:205]
	v_fma_f64 v[188:189], v[198:199], v[196:197], -v[188:189]
	v_mul_f64 v[198:199], v[198:199], v[204:205]
	v_fmac_f64_e32 v[198:199], v[200:201], v[196:197]
	v_add_f64 v[50:51], v[50:51], -v[198:199]
	ds_read2_b64 v[198:201], v213 offset0:72 offset1:73
	v_add_f64 v[48:49], v[48:49], -v[188:189]
	s_waitcnt lgkmcnt(0)
	v_mul_f64 v[188:189], v[200:201], v[204:205]
	v_fma_f64 v[188:189], v[198:199], v[196:197], -v[188:189]
	v_mul_f64 v[198:199], v[198:199], v[204:205]
	v_fmac_f64_e32 v[198:199], v[200:201], v[196:197]
	v_add_f64 v[46:47], v[46:47], -v[198:199]
	ds_read2_b64 v[198:201], v213 offset0:74 offset1:75
	v_add_f64 v[44:45], v[44:45], -v[188:189]
	s_waitcnt lgkmcnt(0)
	v_mul_f64 v[188:189], v[200:201], v[204:205]
	v_fma_f64 v[188:189], v[198:199], v[196:197], -v[188:189]
	v_mul_f64 v[198:199], v[198:199], v[204:205]
	v_fmac_f64_e32 v[198:199], v[200:201], v[196:197]
	v_add_f64 v[42:43], v[42:43], -v[198:199]
	ds_read2_b64 v[198:201], v213 offset0:76 offset1:77
	v_add_f64 v[40:41], v[40:41], -v[188:189]
	s_waitcnt lgkmcnt(0)
	v_mul_f64 v[188:189], v[200:201], v[204:205]
	v_fma_f64 v[188:189], v[198:199], v[196:197], -v[188:189]
	v_mul_f64 v[198:199], v[198:199], v[204:205]
	v_fmac_f64_e32 v[198:199], v[200:201], v[196:197]
	v_add_f64 v[38:39], v[38:39], -v[198:199]
	ds_read2_b64 v[198:201], v213 offset0:78 offset1:79
	v_add_f64 v[36:37], v[36:37], -v[188:189]
	s_waitcnt lgkmcnt(0)
	v_mul_f64 v[188:189], v[200:201], v[204:205]
	v_fma_f64 v[188:189], v[198:199], v[196:197], -v[188:189]
	v_mul_f64 v[198:199], v[198:199], v[204:205]
	v_fmac_f64_e32 v[198:199], v[200:201], v[196:197]
	v_add_f64 v[34:35], v[34:35], -v[198:199]
	ds_read2_b64 v[198:201], v213 offset0:80 offset1:81
	v_add_f64 v[32:33], v[32:33], -v[188:189]
	s_waitcnt lgkmcnt(0)
	v_mul_f64 v[188:189], v[200:201], v[204:205]
	v_fma_f64 v[188:189], v[198:199], v[196:197], -v[188:189]
	v_mul_f64 v[198:199], v[198:199], v[204:205]
	v_fmac_f64_e32 v[198:199], v[200:201], v[196:197]
	v_add_f64 v[30:31], v[30:31], -v[198:199]
	ds_read2_b64 v[198:201], v213 offset0:82 offset1:83
	v_add_f64 v[28:29], v[28:29], -v[188:189]
	s_waitcnt lgkmcnt(0)
	v_mul_f64 v[188:189], v[200:201], v[204:205]
	v_fma_f64 v[188:189], v[198:199], v[196:197], -v[188:189]
	v_mul_f64 v[198:199], v[198:199], v[204:205]
	v_fmac_f64_e32 v[198:199], v[200:201], v[196:197]
	v_add_f64 v[26:27], v[26:27], -v[198:199]
	ds_read2_b64 v[198:201], v213 offset0:84 offset1:85
	v_add_f64 v[24:25], v[24:25], -v[188:189]
	s_waitcnt lgkmcnt(0)
	v_mul_f64 v[188:189], v[200:201], v[204:205]
	v_fma_f64 v[188:189], v[198:199], v[196:197], -v[188:189]
	v_mul_f64 v[198:199], v[198:199], v[204:205]
	v_fmac_f64_e32 v[198:199], v[200:201], v[196:197]
	v_add_f64 v[22:23], v[22:23], -v[198:199]
	ds_read2_b64 v[198:201], v213 offset0:86 offset1:87
	v_add_f64 v[20:21], v[20:21], -v[188:189]
	s_waitcnt lgkmcnt(0)
	v_mul_f64 v[188:189], v[200:201], v[204:205]
	v_fma_f64 v[188:189], v[198:199], v[196:197], -v[188:189]
	v_mul_f64 v[198:199], v[198:199], v[204:205]
	v_fmac_f64_e32 v[198:199], v[200:201], v[196:197]
	v_add_f64 v[18:19], v[18:19], -v[198:199]
	ds_read2_b64 v[198:201], v213 offset0:88 offset1:89
	v_add_f64 v[16:17], v[16:17], -v[188:189]
	s_waitcnt lgkmcnt(0)
	v_mul_f64 v[188:189], v[200:201], v[204:205]
	v_fma_f64 v[188:189], v[198:199], v[196:197], -v[188:189]
	v_mul_f64 v[198:199], v[198:199], v[204:205]
	v_fmac_f64_e32 v[198:199], v[200:201], v[196:197]
	v_add_f64 v[14:15], v[14:15], -v[198:199]
	ds_read2_b64 v[198:201], v213 offset0:90 offset1:91
	v_add_f64 v[12:13], v[12:13], -v[188:189]
	s_waitcnt lgkmcnt(0)
	v_mul_f64 v[188:189], v[200:201], v[204:205]
	v_fma_f64 v[188:189], v[198:199], v[196:197], -v[188:189]
	v_mul_f64 v[198:199], v[198:199], v[204:205]
	v_fmac_f64_e32 v[198:199], v[200:201], v[196:197]
	v_add_f64 v[10:11], v[10:11], -v[198:199]
	ds_read2_b64 v[198:201], v213 offset0:92 offset1:93
	v_add_f64 v[8:9], v[8:9], -v[188:189]
	s_waitcnt lgkmcnt(0)
	v_mul_f64 v[188:189], v[200:201], v[204:205]
	v_fma_f64 v[188:189], v[198:199], v[196:197], -v[188:189]
	v_mul_f64 v[198:199], v[198:199], v[204:205]
	v_fmac_f64_e32 v[198:199], v[200:201], v[196:197]
	v_add_f64 v[6:7], v[6:7], -v[198:199]
	ds_read2_b64 v[198:201], v213 offset0:94 offset1:95
	v_add_f64 v[4:5], v[4:5], -v[188:189]
	s_waitcnt lgkmcnt(0)
	v_mul_f64 v[188:189], v[200:201], v[204:205]
	v_fma_f64 v[188:189], v[198:199], v[196:197], -v[188:189]
	v_mul_f64 v[198:199], v[198:199], v[204:205]
	v_fmac_f64_e32 v[198:199], v[200:201], v[196:197]
	v_add_f64 v[2:3], v[2:3], -v[198:199]
	ds_read2_b64 v[198:201], v213 offset0:96 offset1:97
	v_add_f64 v[0:1], v[0:1], -v[188:189]
	s_waitcnt lgkmcnt(0)
	v_mul_f64 v[188:189], v[200:201], v[204:205]
	v_fma_f64 v[188:189], v[198:199], v[196:197], -v[188:189]
	v_mul_f64 v[198:199], v[198:199], v[204:205]
	v_fmac_f64_e32 v[198:199], v[200:201], v[196:197]
	scratch_load_dwordx4 v[200:203], off, off ; 16-byte Folded Reload
	s_waitcnt vmcnt(0)
	v_add_f64 v[200:201], v[200:201], -v[188:189]
	v_add_f64 v[202:203], v[202:203], -v[198:199]
	scratch_store_dwordx4 off, v[200:203], off ; 16-byte Folded Spill
	s_nop 1
	v_mov_b64_e32 v[202:203], v[196:197]
	scratch_store_dwordx4 off, v[202:205], off offset:256 ; 16-byte Folded Spill
.LBB97_10:
	s_or_b64 exec, exec, s[4:5]
	v_cmp_eq_u32_e32 vcc, 1, v214
	s_barrier
	s_and_saveexec_b64 s[4:5], vcc
	s_cbranch_execz .LBB97_17
; %bb.11:
	scratch_load_dwordx4 v[196:199], off, off offset:240 ; 16-byte Folded Reload
	s_waitcnt vmcnt(0)
	ds_write2_b64 v215, v[196:197], v[198:199] offset1:1
	scratch_load_dwordx4 v[196:199], off, off offset:224 ; 16-byte Folded Reload
	s_waitcnt vmcnt(0)
	ds_write2_b64 v213, v[196:197], v[198:199] offset0:4 offset1:5
	scratch_load_dwordx4 v[196:199], off, off offset:208 ; 16-byte Folded Reload
	s_waitcnt vmcnt(0)
	ds_write2_b64 v213, v[196:197], v[198:199] offset0:6 offset1:7
	;; [unrolled: 3-line block ×14, first 2 shown]
	ds_write2_b64 v213, v[244:245], v[246:247] offset0:32 offset1:33
	ds_write2_b64 v213, v[192:193], v[194:195] offset0:34 offset1:35
	;; [unrolled: 1-line block ×32, first 2 shown]
	scratch_load_dwordx4 v[196:199], off, off ; 16-byte Folded Reload
	s_waitcnt vmcnt(0)
	ds_write2_b64 v213, v[196:197], v[198:199] offset0:96 offset1:97
	ds_read2_b64 v[196:199], v215 offset1:1
	s_waitcnt lgkmcnt(0)
	v_cmp_neq_f64_e32 vcc, 0, v[196:197]
	v_cmp_neq_f64_e64 s[2:3], 0, v[198:199]
	s_or_b64 s[2:3], vcc, s[2:3]
	s_and_b64 exec, exec, s[2:3]
	s_cbranch_execz .LBB97_17
; %bb.12:
	v_cmp_ngt_f64_e64 s[2:3], |v[196:197]|, |v[198:199]|
                                        ; implicit-def: $vgpr200_vgpr201
	s_and_saveexec_b64 s[10:11], s[2:3]
	s_xor_b64 s[2:3], exec, s[10:11]
                                        ; implicit-def: $vgpr202_vgpr203
	s_cbranch_execz .LBB97_14
; %bb.13:
	v_div_scale_f64 v[200:201], s[10:11], v[198:199], v[198:199], v[196:197]
	v_rcp_f64_e32 v[202:203], v[200:201]
	v_div_scale_f64 v[204:205], vcc, v[196:197], v[198:199], v[196:197]
	v_fma_f64 v[206:207], -v[200:201], v[202:203], 1.0
	v_fmac_f64_e32 v[202:203], v[202:203], v[206:207]
	v_fma_f64 v[206:207], -v[200:201], v[202:203], 1.0
	v_fmac_f64_e32 v[202:203], v[202:203], v[206:207]
	v_mul_f64 v[206:207], v[204:205], v[202:203]
	v_fma_f64 v[200:201], -v[200:201], v[206:207], v[204:205]
	v_div_fmas_f64 v[200:201], v[200:201], v[202:203], v[206:207]
	v_div_fixup_f64 v[200:201], v[200:201], v[198:199], v[196:197]
	v_fmac_f64_e32 v[198:199], v[196:197], v[200:201]
	v_div_scale_f64 v[196:197], s[10:11], v[198:199], v[198:199], 1.0
	v_rcp_f64_e32 v[202:203], v[196:197]
	s_nop 0
	v_fma_f64 v[204:205], -v[196:197], v[202:203], 1.0
	v_fmac_f64_e32 v[202:203], v[202:203], v[204:205]
	v_fma_f64 v[204:205], -v[196:197], v[202:203], 1.0
	v_fmac_f64_e32 v[202:203], v[202:203], v[204:205]
	v_div_scale_f64 v[204:205], vcc, 1.0, v[198:199], 1.0
	v_mul_f64 v[206:207], v[204:205], v[202:203]
	v_fma_f64 v[196:197], -v[196:197], v[206:207], v[204:205]
	s_nop 1
	v_div_fmas_f64 v[196:197], v[196:197], v[202:203], v[206:207]
	v_div_fixup_f64 v[202:203], v[196:197], v[198:199], 1.0
	v_mul_f64 v[200:201], v[200:201], v[202:203]
	v_xor_b32_e32 v203, 0x80000000, v203
                                        ; implicit-def: $vgpr196_vgpr197
.LBB97_14:
	s_andn2_saveexec_b64 s[2:3], s[2:3]
	s_cbranch_execz .LBB97_16
; %bb.15:
	v_div_scale_f64 v[200:201], s[10:11], v[196:197], v[196:197], v[198:199]
	v_rcp_f64_e32 v[202:203], v[200:201]
	v_div_scale_f64 v[204:205], vcc, v[198:199], v[196:197], v[198:199]
	v_fma_f64 v[206:207], -v[200:201], v[202:203], 1.0
	v_fmac_f64_e32 v[202:203], v[202:203], v[206:207]
	v_fma_f64 v[206:207], -v[200:201], v[202:203], 1.0
	v_fmac_f64_e32 v[202:203], v[202:203], v[206:207]
	v_mul_f64 v[206:207], v[204:205], v[202:203]
	v_fma_f64 v[200:201], -v[200:201], v[206:207], v[204:205]
	v_div_fmas_f64 v[200:201], v[200:201], v[202:203], v[206:207]
	v_div_fixup_f64 v[202:203], v[200:201], v[196:197], v[198:199]
	v_fmac_f64_e32 v[196:197], v[198:199], v[202:203]
	v_div_scale_f64 v[198:199], s[10:11], v[196:197], v[196:197], 1.0
	v_rcp_f64_e32 v[200:201], v[198:199]
	s_nop 0
	v_fma_f64 v[204:205], -v[198:199], v[200:201], 1.0
	v_fmac_f64_e32 v[200:201], v[200:201], v[204:205]
	v_fma_f64 v[204:205], -v[198:199], v[200:201], 1.0
	v_fmac_f64_e32 v[200:201], v[200:201], v[204:205]
	v_div_scale_f64 v[204:205], vcc, 1.0, v[196:197], 1.0
	v_mul_f64 v[206:207], v[204:205], v[200:201]
	v_fma_f64 v[198:199], -v[198:199], v[206:207], v[204:205]
	s_nop 1
	v_div_fmas_f64 v[198:199], v[198:199], v[200:201], v[206:207]
	v_div_fixup_f64 v[200:201], v[198:199], v[196:197], 1.0
	v_mul_f64 v[202:203], v[202:203], -v[200:201]
.LBB97_16:
	s_or_b64 exec, exec, s[2:3]
	ds_write2_b64 v215, v[200:201], v[202:203] offset1:1
.LBB97_17:
	s_or_b64 exec, exec, s[4:5]
	s_waitcnt lgkmcnt(0)
	s_barrier
	ds_read2_b64 v[196:199], v215 offset1:1
	v_cmp_lt_u32_e32 vcc, 1, v214
	s_waitcnt lgkmcnt(0)
	scratch_store_dwordx4 off, v[196:199], off offset:312 ; 16-byte Folded Spill
	s_and_saveexec_b64 s[2:3], vcc
	s_cbranch_execz .LBB97_19
; %bb.18:
	scratch_load_dwordx4 v[202:205], off, off offset:240 ; 16-byte Folded Reload
	scratch_load_dwordx4 v[198:201], off, off offset:312 ; 16-byte Folded Reload
	s_waitcnt vmcnt(0)
	v_mul_f64 v[196:197], v[200:201], v[204:205]
	v_mul_f64 v[204:205], v[198:199], v[204:205]
	v_fma_f64 v[196:197], v[198:199], v[202:203], -v[196:197]
	v_fmac_f64_e32 v[204:205], v[200:201], v[202:203]
	ds_read2_b64 v[198:201], v213 offset0:4 offset1:5
	s_waitcnt lgkmcnt(0)
	v_mul_f64 v[184:185], v[200:201], v[204:205]
	v_fma_f64 v[184:185], v[198:199], v[196:197], -v[184:185]
	v_mul_f64 v[198:199], v[198:199], v[204:205]
	v_fmac_f64_e32 v[198:199], v[200:201], v[196:197]
	scratch_load_dwordx4 v[200:203], off, off offset:224 ; 16-byte Folded Reload
	s_waitcnt vmcnt(0)
	v_add_f64 v[200:201], v[200:201], -v[184:185]
	v_add_f64 v[202:203], v[202:203], -v[198:199]
	scratch_store_dwordx4 off, v[200:203], off offset:224 ; 16-byte Folded Spill
	ds_read2_b64 v[198:201], v213 offset0:6 offset1:7
	s_waitcnt lgkmcnt(0)
	v_mul_f64 v[184:185], v[200:201], v[204:205]
	v_fma_f64 v[184:185], v[198:199], v[196:197], -v[184:185]
	v_mul_f64 v[198:199], v[198:199], v[204:205]
	v_fmac_f64_e32 v[198:199], v[200:201], v[196:197]
	scratch_load_dwordx4 v[200:203], off, off offset:208 ; 16-byte Folded Reload
	s_waitcnt vmcnt(0)
	v_add_f64 v[200:201], v[200:201], -v[184:185]
	v_add_f64 v[202:203], v[202:203], -v[198:199]
	scratch_store_dwordx4 off, v[200:203], off offset:208 ; 16-byte Folded Spill
	;; [unrolled: 11-line block ×14, first 2 shown]
	ds_read2_b64 v[198:201], v213 offset0:32 offset1:33
	s_waitcnt lgkmcnt(0)
	v_mul_f64 v[184:185], v[200:201], v[204:205]
	v_fma_f64 v[184:185], v[198:199], v[196:197], -v[184:185]
	v_mul_f64 v[198:199], v[198:199], v[204:205]
	v_fmac_f64_e32 v[198:199], v[200:201], v[196:197]
	v_add_f64 v[246:247], v[246:247], -v[198:199]
	ds_read2_b64 v[198:201], v213 offset0:34 offset1:35
	v_add_f64 v[244:245], v[244:245], -v[184:185]
	s_waitcnt lgkmcnt(0)
	v_mul_f64 v[184:185], v[200:201], v[204:205]
	v_fma_f64 v[184:185], v[198:199], v[196:197], -v[184:185]
	v_mul_f64 v[198:199], v[198:199], v[204:205]
	v_fmac_f64_e32 v[198:199], v[200:201], v[196:197]
	v_add_f64 v[194:195], v[194:195], -v[198:199]
	ds_read2_b64 v[198:201], v213 offset0:36 offset1:37
	v_add_f64 v[192:193], v[192:193], -v[184:185]
	s_waitcnt lgkmcnt(0)
	v_mul_f64 v[184:185], v[200:201], v[204:205]
	v_fma_f64 v[184:185], v[198:199], v[196:197], -v[184:185]
	v_mul_f64 v[198:199], v[198:199], v[204:205]
	v_fmac_f64_e32 v[198:199], v[200:201], v[196:197]
	v_add_f64 v[228:229], v[228:229], -v[198:199]
	ds_read2_b64 v[198:201], v213 offset0:38 offset1:39
	v_add_f64 v[226:227], v[226:227], -v[184:185]
	s_waitcnt lgkmcnt(0)
	v_mul_f64 v[184:185], v[200:201], v[204:205]
	v_fma_f64 v[184:185], v[198:199], v[196:197], -v[184:185]
	v_mul_f64 v[198:199], v[198:199], v[204:205]
	v_fmac_f64_e32 v[198:199], v[200:201], v[196:197]
	v_add_f64 v[242:243], v[242:243], -v[198:199]
	ds_read2_b64 v[198:201], v213 offset0:40 offset1:41
	v_add_f64 v[240:241], v[240:241], -v[184:185]
	s_waitcnt lgkmcnt(0)
	v_mul_f64 v[184:185], v[200:201], v[204:205]
	v_fma_f64 v[184:185], v[198:199], v[196:197], -v[184:185]
	v_mul_f64 v[198:199], v[198:199], v[204:205]
	v_fmac_f64_e32 v[198:199], v[200:201], v[196:197]
	v_add_f64 v[110:111], v[110:111], -v[198:199]
	ds_read2_b64 v[198:201], v213 offset0:42 offset1:43
	v_add_f64 v[108:109], v[108:109], -v[184:185]
	s_waitcnt lgkmcnt(0)
	v_mul_f64 v[184:185], v[200:201], v[204:205]
	v_fma_f64 v[184:185], v[198:199], v[196:197], -v[184:185]
	v_mul_f64 v[198:199], v[198:199], v[204:205]
	v_fmac_f64_e32 v[198:199], v[200:201], v[196:197]
	v_add_f64 v[106:107], v[106:107], -v[198:199]
	ds_read2_b64 v[198:201], v213 offset0:44 offset1:45
	v_add_f64 v[104:105], v[104:105], -v[184:185]
	s_waitcnt lgkmcnt(0)
	v_mul_f64 v[184:185], v[200:201], v[204:205]
	v_fma_f64 v[184:185], v[198:199], v[196:197], -v[184:185]
	v_mul_f64 v[198:199], v[198:199], v[204:205]
	v_fmac_f64_e32 v[198:199], v[200:201], v[196:197]
	v_add_f64 v[102:103], v[102:103], -v[198:199]
	ds_read2_b64 v[198:201], v213 offset0:46 offset1:47
	v_add_f64 v[100:101], v[100:101], -v[184:185]
	s_waitcnt lgkmcnt(0)
	v_mul_f64 v[184:185], v[200:201], v[204:205]
	v_fma_f64 v[184:185], v[198:199], v[196:197], -v[184:185]
	v_mul_f64 v[198:199], v[198:199], v[204:205]
	v_fmac_f64_e32 v[198:199], v[200:201], v[196:197]
	v_add_f64 v[98:99], v[98:99], -v[198:199]
	ds_read2_b64 v[198:201], v213 offset0:48 offset1:49
	v_add_f64 v[96:97], v[96:97], -v[184:185]
	s_waitcnt lgkmcnt(0)
	v_mul_f64 v[184:185], v[200:201], v[204:205]
	v_fma_f64 v[184:185], v[198:199], v[196:197], -v[184:185]
	v_mul_f64 v[198:199], v[198:199], v[204:205]
	v_fmac_f64_e32 v[198:199], v[200:201], v[196:197]
	v_add_f64 v[94:95], v[94:95], -v[198:199]
	ds_read2_b64 v[198:201], v213 offset0:50 offset1:51
	v_add_f64 v[92:93], v[92:93], -v[184:185]
	s_waitcnt lgkmcnt(0)
	v_mul_f64 v[184:185], v[200:201], v[204:205]
	v_fma_f64 v[184:185], v[198:199], v[196:197], -v[184:185]
	v_mul_f64 v[198:199], v[198:199], v[204:205]
	v_fmac_f64_e32 v[198:199], v[200:201], v[196:197]
	v_add_f64 v[90:91], v[90:91], -v[198:199]
	ds_read2_b64 v[198:201], v213 offset0:52 offset1:53
	v_add_f64 v[88:89], v[88:89], -v[184:185]
	s_waitcnt lgkmcnt(0)
	v_mul_f64 v[184:185], v[200:201], v[204:205]
	v_fma_f64 v[184:185], v[198:199], v[196:197], -v[184:185]
	v_mul_f64 v[198:199], v[198:199], v[204:205]
	v_fmac_f64_e32 v[198:199], v[200:201], v[196:197]
	v_add_f64 v[86:87], v[86:87], -v[198:199]
	ds_read2_b64 v[198:201], v213 offset0:54 offset1:55
	v_add_f64 v[84:85], v[84:85], -v[184:185]
	s_waitcnt lgkmcnt(0)
	v_mul_f64 v[184:185], v[200:201], v[204:205]
	v_fma_f64 v[184:185], v[198:199], v[196:197], -v[184:185]
	v_mul_f64 v[198:199], v[198:199], v[204:205]
	v_fmac_f64_e32 v[198:199], v[200:201], v[196:197]
	v_add_f64 v[82:83], v[82:83], -v[198:199]
	ds_read2_b64 v[198:201], v213 offset0:56 offset1:57
	v_add_f64 v[80:81], v[80:81], -v[184:185]
	s_waitcnt lgkmcnt(0)
	v_mul_f64 v[184:185], v[200:201], v[204:205]
	v_fma_f64 v[184:185], v[198:199], v[196:197], -v[184:185]
	v_mul_f64 v[198:199], v[198:199], v[204:205]
	v_fmac_f64_e32 v[198:199], v[200:201], v[196:197]
	v_add_f64 v[78:79], v[78:79], -v[198:199]
	ds_read2_b64 v[198:201], v213 offset0:58 offset1:59
	v_add_f64 v[76:77], v[76:77], -v[184:185]
	s_waitcnt lgkmcnt(0)
	v_mul_f64 v[184:185], v[200:201], v[204:205]
	v_fma_f64 v[184:185], v[198:199], v[196:197], -v[184:185]
	v_mul_f64 v[198:199], v[198:199], v[204:205]
	v_fmac_f64_e32 v[198:199], v[200:201], v[196:197]
	v_add_f64 v[74:75], v[74:75], -v[198:199]
	ds_read2_b64 v[198:201], v213 offset0:60 offset1:61
	v_add_f64 v[72:73], v[72:73], -v[184:185]
	s_waitcnt lgkmcnt(0)
	v_mul_f64 v[184:185], v[200:201], v[204:205]
	v_fma_f64 v[184:185], v[198:199], v[196:197], -v[184:185]
	v_mul_f64 v[198:199], v[198:199], v[204:205]
	v_fmac_f64_e32 v[198:199], v[200:201], v[196:197]
	v_add_f64 v[70:71], v[70:71], -v[198:199]
	ds_read2_b64 v[198:201], v213 offset0:62 offset1:63
	v_add_f64 v[68:69], v[68:69], -v[184:185]
	s_waitcnt lgkmcnt(0)
	v_mul_f64 v[184:185], v[200:201], v[204:205]
	v_fma_f64 v[184:185], v[198:199], v[196:197], -v[184:185]
	v_mul_f64 v[198:199], v[198:199], v[204:205]
	v_fmac_f64_e32 v[198:199], v[200:201], v[196:197]
	v_add_f64 v[66:67], v[66:67], -v[198:199]
	ds_read2_b64 v[198:201], v213 offset0:64 offset1:65
	v_add_f64 v[64:65], v[64:65], -v[184:185]
	s_waitcnt lgkmcnt(0)
	v_mul_f64 v[184:185], v[200:201], v[204:205]
	v_fma_f64 v[184:185], v[198:199], v[196:197], -v[184:185]
	v_mul_f64 v[198:199], v[198:199], v[204:205]
	v_fmac_f64_e32 v[198:199], v[200:201], v[196:197]
	v_add_f64 v[62:63], v[62:63], -v[198:199]
	ds_read2_b64 v[198:201], v213 offset0:66 offset1:67
	v_add_f64 v[60:61], v[60:61], -v[184:185]
	s_waitcnt lgkmcnt(0)
	v_mul_f64 v[184:185], v[200:201], v[204:205]
	v_fma_f64 v[184:185], v[198:199], v[196:197], -v[184:185]
	v_mul_f64 v[198:199], v[198:199], v[204:205]
	v_fmac_f64_e32 v[198:199], v[200:201], v[196:197]
	v_add_f64 v[58:59], v[58:59], -v[198:199]
	ds_read2_b64 v[198:201], v213 offset0:68 offset1:69
	v_add_f64 v[56:57], v[56:57], -v[184:185]
	s_waitcnt lgkmcnt(0)
	v_mul_f64 v[184:185], v[200:201], v[204:205]
	v_fma_f64 v[184:185], v[198:199], v[196:197], -v[184:185]
	v_mul_f64 v[198:199], v[198:199], v[204:205]
	v_fmac_f64_e32 v[198:199], v[200:201], v[196:197]
	v_add_f64 v[54:55], v[54:55], -v[198:199]
	ds_read2_b64 v[198:201], v213 offset0:70 offset1:71
	v_add_f64 v[52:53], v[52:53], -v[184:185]
	s_waitcnt lgkmcnt(0)
	v_mul_f64 v[184:185], v[200:201], v[204:205]
	v_fma_f64 v[184:185], v[198:199], v[196:197], -v[184:185]
	v_mul_f64 v[198:199], v[198:199], v[204:205]
	v_fmac_f64_e32 v[198:199], v[200:201], v[196:197]
	v_add_f64 v[50:51], v[50:51], -v[198:199]
	ds_read2_b64 v[198:201], v213 offset0:72 offset1:73
	v_add_f64 v[48:49], v[48:49], -v[184:185]
	s_waitcnt lgkmcnt(0)
	v_mul_f64 v[184:185], v[200:201], v[204:205]
	v_fma_f64 v[184:185], v[198:199], v[196:197], -v[184:185]
	v_mul_f64 v[198:199], v[198:199], v[204:205]
	v_fmac_f64_e32 v[198:199], v[200:201], v[196:197]
	v_add_f64 v[46:47], v[46:47], -v[198:199]
	ds_read2_b64 v[198:201], v213 offset0:74 offset1:75
	v_add_f64 v[44:45], v[44:45], -v[184:185]
	s_waitcnt lgkmcnt(0)
	v_mul_f64 v[184:185], v[200:201], v[204:205]
	v_fma_f64 v[184:185], v[198:199], v[196:197], -v[184:185]
	v_mul_f64 v[198:199], v[198:199], v[204:205]
	v_fmac_f64_e32 v[198:199], v[200:201], v[196:197]
	v_add_f64 v[42:43], v[42:43], -v[198:199]
	ds_read2_b64 v[198:201], v213 offset0:76 offset1:77
	v_add_f64 v[40:41], v[40:41], -v[184:185]
	s_waitcnt lgkmcnt(0)
	v_mul_f64 v[184:185], v[200:201], v[204:205]
	v_fma_f64 v[184:185], v[198:199], v[196:197], -v[184:185]
	v_mul_f64 v[198:199], v[198:199], v[204:205]
	v_fmac_f64_e32 v[198:199], v[200:201], v[196:197]
	v_add_f64 v[38:39], v[38:39], -v[198:199]
	ds_read2_b64 v[198:201], v213 offset0:78 offset1:79
	v_add_f64 v[36:37], v[36:37], -v[184:185]
	s_waitcnt lgkmcnt(0)
	v_mul_f64 v[184:185], v[200:201], v[204:205]
	v_fma_f64 v[184:185], v[198:199], v[196:197], -v[184:185]
	v_mul_f64 v[198:199], v[198:199], v[204:205]
	v_fmac_f64_e32 v[198:199], v[200:201], v[196:197]
	v_add_f64 v[34:35], v[34:35], -v[198:199]
	ds_read2_b64 v[198:201], v213 offset0:80 offset1:81
	v_add_f64 v[32:33], v[32:33], -v[184:185]
	s_waitcnt lgkmcnt(0)
	v_mul_f64 v[184:185], v[200:201], v[204:205]
	v_fma_f64 v[184:185], v[198:199], v[196:197], -v[184:185]
	v_mul_f64 v[198:199], v[198:199], v[204:205]
	v_fmac_f64_e32 v[198:199], v[200:201], v[196:197]
	v_add_f64 v[30:31], v[30:31], -v[198:199]
	ds_read2_b64 v[198:201], v213 offset0:82 offset1:83
	v_add_f64 v[28:29], v[28:29], -v[184:185]
	s_waitcnt lgkmcnt(0)
	v_mul_f64 v[184:185], v[200:201], v[204:205]
	v_fma_f64 v[184:185], v[198:199], v[196:197], -v[184:185]
	v_mul_f64 v[198:199], v[198:199], v[204:205]
	v_fmac_f64_e32 v[198:199], v[200:201], v[196:197]
	v_add_f64 v[26:27], v[26:27], -v[198:199]
	ds_read2_b64 v[198:201], v213 offset0:84 offset1:85
	v_add_f64 v[24:25], v[24:25], -v[184:185]
	s_waitcnt lgkmcnt(0)
	v_mul_f64 v[184:185], v[200:201], v[204:205]
	v_fma_f64 v[184:185], v[198:199], v[196:197], -v[184:185]
	v_mul_f64 v[198:199], v[198:199], v[204:205]
	v_fmac_f64_e32 v[198:199], v[200:201], v[196:197]
	v_add_f64 v[22:23], v[22:23], -v[198:199]
	ds_read2_b64 v[198:201], v213 offset0:86 offset1:87
	v_add_f64 v[20:21], v[20:21], -v[184:185]
	s_waitcnt lgkmcnt(0)
	v_mul_f64 v[184:185], v[200:201], v[204:205]
	v_fma_f64 v[184:185], v[198:199], v[196:197], -v[184:185]
	v_mul_f64 v[198:199], v[198:199], v[204:205]
	v_fmac_f64_e32 v[198:199], v[200:201], v[196:197]
	v_add_f64 v[18:19], v[18:19], -v[198:199]
	ds_read2_b64 v[198:201], v213 offset0:88 offset1:89
	v_add_f64 v[16:17], v[16:17], -v[184:185]
	s_waitcnt lgkmcnt(0)
	v_mul_f64 v[184:185], v[200:201], v[204:205]
	v_fma_f64 v[184:185], v[198:199], v[196:197], -v[184:185]
	v_mul_f64 v[198:199], v[198:199], v[204:205]
	v_fmac_f64_e32 v[198:199], v[200:201], v[196:197]
	v_add_f64 v[14:15], v[14:15], -v[198:199]
	ds_read2_b64 v[198:201], v213 offset0:90 offset1:91
	v_add_f64 v[12:13], v[12:13], -v[184:185]
	s_waitcnt lgkmcnt(0)
	v_mul_f64 v[184:185], v[200:201], v[204:205]
	v_fma_f64 v[184:185], v[198:199], v[196:197], -v[184:185]
	v_mul_f64 v[198:199], v[198:199], v[204:205]
	v_fmac_f64_e32 v[198:199], v[200:201], v[196:197]
	v_add_f64 v[10:11], v[10:11], -v[198:199]
	ds_read2_b64 v[198:201], v213 offset0:92 offset1:93
	v_add_f64 v[8:9], v[8:9], -v[184:185]
	s_waitcnt lgkmcnt(0)
	v_mul_f64 v[184:185], v[200:201], v[204:205]
	v_fma_f64 v[184:185], v[198:199], v[196:197], -v[184:185]
	v_mul_f64 v[198:199], v[198:199], v[204:205]
	v_fmac_f64_e32 v[198:199], v[200:201], v[196:197]
	v_add_f64 v[6:7], v[6:7], -v[198:199]
	ds_read2_b64 v[198:201], v213 offset0:94 offset1:95
	v_add_f64 v[4:5], v[4:5], -v[184:185]
	s_waitcnt lgkmcnt(0)
	v_mul_f64 v[184:185], v[200:201], v[204:205]
	v_fma_f64 v[184:185], v[198:199], v[196:197], -v[184:185]
	v_mul_f64 v[198:199], v[198:199], v[204:205]
	v_fmac_f64_e32 v[198:199], v[200:201], v[196:197]
	v_add_f64 v[2:3], v[2:3], -v[198:199]
	ds_read2_b64 v[198:201], v213 offset0:96 offset1:97
	v_add_f64 v[0:1], v[0:1], -v[184:185]
	s_waitcnt lgkmcnt(0)
	v_mul_f64 v[184:185], v[200:201], v[204:205]
	v_fma_f64 v[184:185], v[198:199], v[196:197], -v[184:185]
	v_mul_f64 v[198:199], v[198:199], v[204:205]
	v_fmac_f64_e32 v[198:199], v[200:201], v[196:197]
	scratch_load_dwordx4 v[200:203], off, off ; 16-byte Folded Reload
	s_waitcnt vmcnt(0)
	v_add_f64 v[200:201], v[200:201], -v[184:185]
	v_add_f64 v[202:203], v[202:203], -v[198:199]
	scratch_store_dwordx4 off, v[200:203], off ; 16-byte Folded Spill
	s_nop 1
	v_mov_b64_e32 v[202:203], v[196:197]
	scratch_store_dwordx4 off, v[202:205], off offset:240 ; 16-byte Folded Spill
.LBB97_19:
	s_or_b64 exec, exec, s[2:3]
	v_cmp_eq_u32_e32 vcc, 2, v214
	s_barrier
	s_and_saveexec_b64 s[4:5], vcc
	s_cbranch_execz .LBB97_26
; %bb.20:
	scratch_load_dwordx4 v[196:199], off, off offset:224 ; 16-byte Folded Reload
	s_waitcnt vmcnt(0)
	ds_write2_b64 v215, v[196:197], v[198:199] offset1:1
	scratch_load_dwordx4 v[196:199], off, off offset:208 ; 16-byte Folded Reload
	s_waitcnt vmcnt(0)
	ds_write2_b64 v213, v[196:197], v[198:199] offset0:6 offset1:7
	scratch_load_dwordx4 v[196:199], off, off offset:192 ; 16-byte Folded Reload
	s_waitcnt vmcnt(0)
	ds_write2_b64 v213, v[196:197], v[198:199] offset0:8 offset1:9
	;; [unrolled: 3-line block ×13, first 2 shown]
	ds_write2_b64 v213, v[244:245], v[246:247] offset0:32 offset1:33
	ds_write2_b64 v213, v[192:193], v[194:195] offset0:34 offset1:35
	;; [unrolled: 1-line block ×32, first 2 shown]
	scratch_load_dwordx4 v[196:199], off, off ; 16-byte Folded Reload
	s_waitcnt vmcnt(0)
	ds_write2_b64 v213, v[196:197], v[198:199] offset0:96 offset1:97
	ds_read2_b64 v[196:199], v215 offset1:1
	s_waitcnt lgkmcnt(0)
	v_cmp_neq_f64_e32 vcc, 0, v[196:197]
	v_cmp_neq_f64_e64 s[2:3], 0, v[198:199]
	s_or_b64 s[2:3], vcc, s[2:3]
	s_and_b64 exec, exec, s[2:3]
	s_cbranch_execz .LBB97_26
; %bb.21:
	v_cmp_ngt_f64_e64 s[2:3], |v[196:197]|, |v[198:199]|
                                        ; implicit-def: $vgpr200_vgpr201
	s_and_saveexec_b64 s[10:11], s[2:3]
	s_xor_b64 s[2:3], exec, s[10:11]
                                        ; implicit-def: $vgpr202_vgpr203
	s_cbranch_execz .LBB97_23
; %bb.22:
	v_div_scale_f64 v[200:201], s[10:11], v[198:199], v[198:199], v[196:197]
	v_rcp_f64_e32 v[202:203], v[200:201]
	v_div_scale_f64 v[204:205], vcc, v[196:197], v[198:199], v[196:197]
	v_fma_f64 v[206:207], -v[200:201], v[202:203], 1.0
	v_fmac_f64_e32 v[202:203], v[202:203], v[206:207]
	v_fma_f64 v[206:207], -v[200:201], v[202:203], 1.0
	v_fmac_f64_e32 v[202:203], v[202:203], v[206:207]
	v_mul_f64 v[206:207], v[204:205], v[202:203]
	v_fma_f64 v[200:201], -v[200:201], v[206:207], v[204:205]
	v_div_fmas_f64 v[200:201], v[200:201], v[202:203], v[206:207]
	v_div_fixup_f64 v[200:201], v[200:201], v[198:199], v[196:197]
	v_fmac_f64_e32 v[198:199], v[196:197], v[200:201]
	v_div_scale_f64 v[196:197], s[10:11], v[198:199], v[198:199], 1.0
	v_rcp_f64_e32 v[202:203], v[196:197]
	s_nop 0
	v_fma_f64 v[204:205], -v[196:197], v[202:203], 1.0
	v_fmac_f64_e32 v[202:203], v[202:203], v[204:205]
	v_fma_f64 v[204:205], -v[196:197], v[202:203], 1.0
	v_fmac_f64_e32 v[202:203], v[202:203], v[204:205]
	v_div_scale_f64 v[204:205], vcc, 1.0, v[198:199], 1.0
	v_mul_f64 v[206:207], v[204:205], v[202:203]
	v_fma_f64 v[196:197], -v[196:197], v[206:207], v[204:205]
	s_nop 1
	v_div_fmas_f64 v[196:197], v[196:197], v[202:203], v[206:207]
	v_div_fixup_f64 v[202:203], v[196:197], v[198:199], 1.0
	v_mul_f64 v[200:201], v[200:201], v[202:203]
	v_xor_b32_e32 v203, 0x80000000, v203
                                        ; implicit-def: $vgpr196_vgpr197
.LBB97_23:
	s_andn2_saveexec_b64 s[2:3], s[2:3]
	s_cbranch_execz .LBB97_25
; %bb.24:
	v_div_scale_f64 v[200:201], s[10:11], v[196:197], v[196:197], v[198:199]
	v_rcp_f64_e32 v[202:203], v[200:201]
	v_div_scale_f64 v[204:205], vcc, v[198:199], v[196:197], v[198:199]
	v_fma_f64 v[206:207], -v[200:201], v[202:203], 1.0
	v_fmac_f64_e32 v[202:203], v[202:203], v[206:207]
	v_fma_f64 v[206:207], -v[200:201], v[202:203], 1.0
	v_fmac_f64_e32 v[202:203], v[202:203], v[206:207]
	v_mul_f64 v[206:207], v[204:205], v[202:203]
	v_fma_f64 v[200:201], -v[200:201], v[206:207], v[204:205]
	v_div_fmas_f64 v[200:201], v[200:201], v[202:203], v[206:207]
	v_div_fixup_f64 v[202:203], v[200:201], v[196:197], v[198:199]
	v_fmac_f64_e32 v[196:197], v[198:199], v[202:203]
	v_div_scale_f64 v[198:199], s[10:11], v[196:197], v[196:197], 1.0
	v_rcp_f64_e32 v[200:201], v[198:199]
	s_nop 0
	v_fma_f64 v[204:205], -v[198:199], v[200:201], 1.0
	v_fmac_f64_e32 v[200:201], v[200:201], v[204:205]
	v_fma_f64 v[204:205], -v[198:199], v[200:201], 1.0
	v_fmac_f64_e32 v[200:201], v[200:201], v[204:205]
	v_div_scale_f64 v[204:205], vcc, 1.0, v[196:197], 1.0
	v_mul_f64 v[206:207], v[204:205], v[200:201]
	v_fma_f64 v[198:199], -v[198:199], v[206:207], v[204:205]
	s_nop 1
	v_div_fmas_f64 v[198:199], v[198:199], v[200:201], v[206:207]
	v_div_fixup_f64 v[200:201], v[198:199], v[196:197], 1.0
	v_mul_f64 v[202:203], v[202:203], -v[200:201]
.LBB97_25:
	s_or_b64 exec, exec, s[2:3]
	ds_write2_b64 v215, v[200:201], v[202:203] offset1:1
.LBB97_26:
	s_or_b64 exec, exec, s[4:5]
	s_waitcnt lgkmcnt(0)
	s_barrier
	ds_read2_b64 v[196:199], v215 offset1:1
	v_cmp_lt_u32_e32 vcc, 2, v214
	s_waitcnt lgkmcnt(0)
	scratch_store_dwordx4 off, v[196:199], off offset:328 ; 16-byte Folded Spill
	s_and_saveexec_b64 s[2:3], vcc
	s_cbranch_execz .LBB97_28
; %bb.27:
	scratch_load_dwordx4 v[202:205], off, off offset:224 ; 16-byte Folded Reload
	scratch_load_dwordx4 v[198:201], off, off offset:328 ; 16-byte Folded Reload
	v_mov_b64_e32 v[184:185], v[180:181]
	s_waitcnt vmcnt(0)
	v_mul_f64 v[196:197], v[200:201], v[204:205]
	v_mul_f64 v[204:205], v[198:199], v[204:205]
	v_fma_f64 v[196:197], v[198:199], v[202:203], -v[196:197]
	v_fmac_f64_e32 v[204:205], v[200:201], v[202:203]
	ds_read2_b64 v[198:201], v213 offset0:6 offset1:7
	s_waitcnt lgkmcnt(0)
	v_mul_f64 v[180:181], v[200:201], v[204:205]
	v_fma_f64 v[180:181], v[198:199], v[196:197], -v[180:181]
	v_mul_f64 v[198:199], v[198:199], v[204:205]
	v_fmac_f64_e32 v[198:199], v[200:201], v[196:197]
	scratch_load_dwordx4 v[200:203], off, off offset:208 ; 16-byte Folded Reload
	s_waitcnt vmcnt(0)
	v_add_f64 v[200:201], v[200:201], -v[180:181]
	v_add_f64 v[202:203], v[202:203], -v[198:199]
	scratch_store_dwordx4 off, v[200:203], off offset:208 ; 16-byte Folded Spill
	ds_read2_b64 v[198:201], v213 offset0:8 offset1:9
	s_waitcnt lgkmcnt(0)
	v_mul_f64 v[180:181], v[200:201], v[204:205]
	v_fma_f64 v[180:181], v[198:199], v[196:197], -v[180:181]
	v_mul_f64 v[198:199], v[198:199], v[204:205]
	v_fmac_f64_e32 v[198:199], v[200:201], v[196:197]
	scratch_load_dwordx4 v[200:203], off, off offset:192 ; 16-byte Folded Reload
	s_waitcnt vmcnt(0)
	v_add_f64 v[200:201], v[200:201], -v[180:181]
	v_add_f64 v[202:203], v[202:203], -v[198:199]
	scratch_store_dwordx4 off, v[200:203], off offset:192 ; 16-byte Folded Spill
	;; [unrolled: 11-line block ×13, first 2 shown]
	ds_read2_b64 v[198:201], v213 offset0:32 offset1:33
	s_waitcnt lgkmcnt(0)
	v_mul_f64 v[180:181], v[200:201], v[204:205]
	v_fma_f64 v[180:181], v[198:199], v[196:197], -v[180:181]
	v_mul_f64 v[198:199], v[198:199], v[204:205]
	v_fmac_f64_e32 v[198:199], v[200:201], v[196:197]
	v_add_f64 v[246:247], v[246:247], -v[198:199]
	ds_read2_b64 v[198:201], v213 offset0:34 offset1:35
	v_add_f64 v[244:245], v[244:245], -v[180:181]
	s_waitcnt lgkmcnt(0)
	v_mul_f64 v[180:181], v[200:201], v[204:205]
	v_fma_f64 v[180:181], v[198:199], v[196:197], -v[180:181]
	v_mul_f64 v[198:199], v[198:199], v[204:205]
	v_fmac_f64_e32 v[198:199], v[200:201], v[196:197]
	v_add_f64 v[194:195], v[194:195], -v[198:199]
	ds_read2_b64 v[198:201], v213 offset0:36 offset1:37
	v_add_f64 v[192:193], v[192:193], -v[180:181]
	;; [unrolled: 8-line block ×32, first 2 shown]
	s_waitcnt lgkmcnt(0)
	v_mul_f64 v[180:181], v[200:201], v[204:205]
	v_fma_f64 v[180:181], v[198:199], v[196:197], -v[180:181]
	v_mul_f64 v[198:199], v[198:199], v[204:205]
	v_fmac_f64_e32 v[198:199], v[200:201], v[196:197]
	scratch_load_dwordx4 v[200:203], off, off ; 16-byte Folded Reload
	s_waitcnt vmcnt(0)
	v_add_f64 v[200:201], v[200:201], -v[180:181]
	v_add_f64 v[202:203], v[202:203], -v[198:199]
	v_mov_b64_e32 v[180:181], v[184:185]
	scratch_store_dwordx4 off, v[200:203], off ; 16-byte Folded Spill
	s_nop 1
	v_mov_b64_e32 v[202:203], v[196:197]
	scratch_store_dwordx4 off, v[202:205], off offset:224 ; 16-byte Folded Spill
.LBB97_28:
	s_or_b64 exec, exec, s[2:3]
	v_cmp_eq_u32_e32 vcc, 3, v214
	s_barrier
	s_and_saveexec_b64 s[4:5], vcc
	s_cbranch_execz .LBB97_35
; %bb.29:
	scratch_load_dwordx4 v[196:199], off, off offset:208 ; 16-byte Folded Reload
	s_waitcnt vmcnt(0)
	ds_write2_b64 v215, v[196:197], v[198:199] offset1:1
	scratch_load_dwordx4 v[196:199], off, off offset:192 ; 16-byte Folded Reload
	s_waitcnt vmcnt(0)
	ds_write2_b64 v213, v[196:197], v[198:199] offset0:8 offset1:9
	scratch_load_dwordx4 v[196:199], off, off offset:176 ; 16-byte Folded Reload
	s_waitcnt vmcnt(0)
	ds_write2_b64 v213, v[196:197], v[198:199] offset0:10 offset1:11
	scratch_load_dwordx4 v[196:199], off, off offset:160 ; 16-byte Folded Reload
	s_waitcnt vmcnt(0)
	ds_write2_b64 v213, v[196:197], v[198:199] offset0:12 offset1:13
	scratch_load_dwordx4 v[196:199], off, off offset:144 ; 16-byte Folded Reload
	s_waitcnt vmcnt(0)
	ds_write2_b64 v213, v[196:197], v[198:199] offset0:14 offset1:15
	scratch_load_dwordx4 v[196:199], off, off offset:128 ; 16-byte Folded Reload
	s_waitcnt vmcnt(0)
	ds_write2_b64 v213, v[196:197], v[198:199] offset0:16 offset1:17
	scratch_load_dwordx4 v[196:199], off, off offset:112 ; 16-byte Folded Reload
	s_waitcnt vmcnt(0)
	ds_write2_b64 v213, v[196:197], v[198:199] offset0:18 offset1:19
	scratch_load_dwordx4 v[196:199], off, off offset:96 ; 16-byte Folded Reload
	s_waitcnt vmcnt(0)
	ds_write2_b64 v213, v[196:197], v[198:199] offset0:20 offset1:21
	scratch_load_dwordx4 v[196:199], off, off offset:80 ; 16-byte Folded Reload
	s_waitcnt vmcnt(0)
	ds_write2_b64 v213, v[196:197], v[198:199] offset0:22 offset1:23
	scratch_load_dwordx4 v[196:199], off, off offset:64 ; 16-byte Folded Reload
	s_waitcnt vmcnt(0)
	ds_write2_b64 v213, v[196:197], v[198:199] offset0:24 offset1:25
	scratch_load_dwordx4 v[196:199], off, off offset:48 ; 16-byte Folded Reload
	s_waitcnt vmcnt(0)
	ds_write2_b64 v213, v[196:197], v[198:199] offset0:26 offset1:27
	scratch_load_dwordx4 v[196:199], off, off offset:32 ; 16-byte Folded Reload
	s_waitcnt vmcnt(0)
	ds_write2_b64 v213, v[196:197], v[198:199] offset0:28 offset1:29
	scratch_load_dwordx4 v[196:199], off, off offset:16 ; 16-byte Folded Reload
	s_waitcnt vmcnt(0)
	ds_write2_b64 v213, v[196:197], v[198:199] offset0:30 offset1:31
	ds_write2_b64 v213, v[244:245], v[246:247] offset0:32 offset1:33
	ds_write2_b64 v213, v[192:193], v[194:195] offset0:34 offset1:35
	;; [unrolled: 1-line block ×32, first 2 shown]
	scratch_load_dwordx4 v[196:199], off, off ; 16-byte Folded Reload
	s_waitcnt vmcnt(0)
	ds_write2_b64 v213, v[196:197], v[198:199] offset0:96 offset1:97
	ds_read2_b64 v[196:199], v215 offset1:1
	s_waitcnt lgkmcnt(0)
	v_cmp_neq_f64_e32 vcc, 0, v[196:197]
	v_cmp_neq_f64_e64 s[2:3], 0, v[198:199]
	s_or_b64 s[2:3], vcc, s[2:3]
	s_and_b64 exec, exec, s[2:3]
	s_cbranch_execz .LBB97_35
; %bb.30:
	v_cmp_ngt_f64_e64 s[2:3], |v[196:197]|, |v[198:199]|
                                        ; implicit-def: $vgpr200_vgpr201
	s_and_saveexec_b64 s[10:11], s[2:3]
	s_xor_b64 s[2:3], exec, s[10:11]
                                        ; implicit-def: $vgpr202_vgpr203
	s_cbranch_execz .LBB97_32
; %bb.31:
	v_div_scale_f64 v[200:201], s[10:11], v[198:199], v[198:199], v[196:197]
	v_rcp_f64_e32 v[202:203], v[200:201]
	v_div_scale_f64 v[204:205], vcc, v[196:197], v[198:199], v[196:197]
	v_fma_f64 v[206:207], -v[200:201], v[202:203], 1.0
	v_fmac_f64_e32 v[202:203], v[202:203], v[206:207]
	v_fma_f64 v[206:207], -v[200:201], v[202:203], 1.0
	v_fmac_f64_e32 v[202:203], v[202:203], v[206:207]
	v_mul_f64 v[206:207], v[204:205], v[202:203]
	v_fma_f64 v[200:201], -v[200:201], v[206:207], v[204:205]
	v_div_fmas_f64 v[200:201], v[200:201], v[202:203], v[206:207]
	v_div_fixup_f64 v[200:201], v[200:201], v[198:199], v[196:197]
	v_fmac_f64_e32 v[198:199], v[196:197], v[200:201]
	v_div_scale_f64 v[196:197], s[10:11], v[198:199], v[198:199], 1.0
	v_rcp_f64_e32 v[202:203], v[196:197]
	s_nop 0
	v_fma_f64 v[204:205], -v[196:197], v[202:203], 1.0
	v_fmac_f64_e32 v[202:203], v[202:203], v[204:205]
	v_fma_f64 v[204:205], -v[196:197], v[202:203], 1.0
	v_fmac_f64_e32 v[202:203], v[202:203], v[204:205]
	v_div_scale_f64 v[204:205], vcc, 1.0, v[198:199], 1.0
	v_mul_f64 v[206:207], v[204:205], v[202:203]
	v_fma_f64 v[196:197], -v[196:197], v[206:207], v[204:205]
	s_nop 1
	v_div_fmas_f64 v[196:197], v[196:197], v[202:203], v[206:207]
	v_div_fixup_f64 v[202:203], v[196:197], v[198:199], 1.0
	v_mul_f64 v[200:201], v[200:201], v[202:203]
	v_xor_b32_e32 v203, 0x80000000, v203
                                        ; implicit-def: $vgpr196_vgpr197
.LBB97_32:
	s_andn2_saveexec_b64 s[2:3], s[2:3]
	s_cbranch_execz .LBB97_34
; %bb.33:
	v_div_scale_f64 v[200:201], s[10:11], v[196:197], v[196:197], v[198:199]
	v_rcp_f64_e32 v[202:203], v[200:201]
	v_div_scale_f64 v[204:205], vcc, v[198:199], v[196:197], v[198:199]
	v_fma_f64 v[206:207], -v[200:201], v[202:203], 1.0
	v_fmac_f64_e32 v[202:203], v[202:203], v[206:207]
	v_fma_f64 v[206:207], -v[200:201], v[202:203], 1.0
	v_fmac_f64_e32 v[202:203], v[202:203], v[206:207]
	v_mul_f64 v[206:207], v[204:205], v[202:203]
	v_fma_f64 v[200:201], -v[200:201], v[206:207], v[204:205]
	v_div_fmas_f64 v[200:201], v[200:201], v[202:203], v[206:207]
	v_div_fixup_f64 v[202:203], v[200:201], v[196:197], v[198:199]
	v_fmac_f64_e32 v[196:197], v[198:199], v[202:203]
	v_div_scale_f64 v[198:199], s[10:11], v[196:197], v[196:197], 1.0
	v_rcp_f64_e32 v[200:201], v[198:199]
	s_nop 0
	v_fma_f64 v[204:205], -v[198:199], v[200:201], 1.0
	v_fmac_f64_e32 v[200:201], v[200:201], v[204:205]
	v_fma_f64 v[204:205], -v[198:199], v[200:201], 1.0
	v_fmac_f64_e32 v[200:201], v[200:201], v[204:205]
	v_div_scale_f64 v[204:205], vcc, 1.0, v[196:197], 1.0
	v_mul_f64 v[206:207], v[204:205], v[200:201]
	v_fma_f64 v[198:199], -v[198:199], v[206:207], v[204:205]
	s_nop 1
	v_div_fmas_f64 v[198:199], v[198:199], v[200:201], v[206:207]
	v_div_fixup_f64 v[200:201], v[198:199], v[196:197], 1.0
	v_mul_f64 v[202:203], v[202:203], -v[200:201]
.LBB97_34:
	s_or_b64 exec, exec, s[2:3]
	ds_write2_b64 v215, v[200:201], v[202:203] offset1:1
.LBB97_35:
	s_or_b64 exec, exec, s[4:5]
	s_waitcnt lgkmcnt(0)
	s_barrier
	ds_read2_b64 v[196:199], v215 offset1:1
	v_cmp_lt_u32_e32 vcc, 3, v214
	s_waitcnt lgkmcnt(0)
	scratch_store_dwordx4 off, v[196:199], off offset:344 ; 16-byte Folded Spill
	s_and_saveexec_b64 s[2:3], vcc
	s_cbranch_execz .LBB97_37
; %bb.36:
	scratch_load_dwordx4 v[202:205], off, off offset:208 ; 16-byte Folded Reload
	scratch_load_dwordx4 v[198:201], off, off offset:344 ; 16-byte Folded Reload
	v_mov_b64_e32 v[184:185], v[176:177]
	s_waitcnt vmcnt(0)
	v_mul_f64 v[196:197], v[200:201], v[204:205]
	v_mul_f64 v[204:205], v[198:199], v[204:205]
	v_fma_f64 v[196:197], v[198:199], v[202:203], -v[196:197]
	v_fmac_f64_e32 v[204:205], v[200:201], v[202:203]
	ds_read2_b64 v[198:201], v213 offset0:8 offset1:9
	s_waitcnt lgkmcnt(0)
	v_mul_f64 v[176:177], v[200:201], v[204:205]
	v_fma_f64 v[176:177], v[198:199], v[196:197], -v[176:177]
	v_mul_f64 v[198:199], v[198:199], v[204:205]
	v_fmac_f64_e32 v[198:199], v[200:201], v[196:197]
	scratch_load_dwordx4 v[200:203], off, off offset:192 ; 16-byte Folded Reload
	s_waitcnt vmcnt(0)
	v_add_f64 v[200:201], v[200:201], -v[176:177]
	v_add_f64 v[202:203], v[202:203], -v[198:199]
	scratch_store_dwordx4 off, v[200:203], off offset:192 ; 16-byte Folded Spill
	ds_read2_b64 v[198:201], v213 offset0:10 offset1:11
	s_waitcnt lgkmcnt(0)
	v_mul_f64 v[176:177], v[200:201], v[204:205]
	v_fma_f64 v[176:177], v[198:199], v[196:197], -v[176:177]
	v_mul_f64 v[198:199], v[198:199], v[204:205]
	v_fmac_f64_e32 v[198:199], v[200:201], v[196:197]
	scratch_load_dwordx4 v[200:203], off, off offset:176 ; 16-byte Folded Reload
	s_waitcnt vmcnt(0)
	v_add_f64 v[200:201], v[200:201], -v[176:177]
	v_add_f64 v[202:203], v[202:203], -v[198:199]
	scratch_store_dwordx4 off, v[200:203], off offset:176 ; 16-byte Folded Spill
	;; [unrolled: 11-line block ×12, first 2 shown]
	ds_read2_b64 v[198:201], v213 offset0:32 offset1:33
	s_waitcnt lgkmcnt(0)
	v_mul_f64 v[176:177], v[200:201], v[204:205]
	v_fma_f64 v[176:177], v[198:199], v[196:197], -v[176:177]
	v_mul_f64 v[198:199], v[198:199], v[204:205]
	v_fmac_f64_e32 v[198:199], v[200:201], v[196:197]
	v_add_f64 v[246:247], v[246:247], -v[198:199]
	ds_read2_b64 v[198:201], v213 offset0:34 offset1:35
	v_add_f64 v[244:245], v[244:245], -v[176:177]
	s_waitcnt lgkmcnt(0)
	v_mul_f64 v[176:177], v[200:201], v[204:205]
	v_fma_f64 v[176:177], v[198:199], v[196:197], -v[176:177]
	v_mul_f64 v[198:199], v[198:199], v[204:205]
	v_fmac_f64_e32 v[198:199], v[200:201], v[196:197]
	v_add_f64 v[194:195], v[194:195], -v[198:199]
	ds_read2_b64 v[198:201], v213 offset0:36 offset1:37
	v_add_f64 v[192:193], v[192:193], -v[176:177]
	;; [unrolled: 8-line block ×32, first 2 shown]
	s_waitcnt lgkmcnt(0)
	v_mul_f64 v[176:177], v[200:201], v[204:205]
	v_fma_f64 v[176:177], v[198:199], v[196:197], -v[176:177]
	v_mul_f64 v[198:199], v[198:199], v[204:205]
	v_fmac_f64_e32 v[198:199], v[200:201], v[196:197]
	scratch_load_dwordx4 v[200:203], off, off ; 16-byte Folded Reload
	s_waitcnt vmcnt(0)
	v_add_f64 v[200:201], v[200:201], -v[176:177]
	v_add_f64 v[202:203], v[202:203], -v[198:199]
	v_mov_b64_e32 v[176:177], v[184:185]
	scratch_store_dwordx4 off, v[200:203], off ; 16-byte Folded Spill
	s_nop 1
	v_mov_b64_e32 v[202:203], v[196:197]
	scratch_store_dwordx4 off, v[202:205], off offset:208 ; 16-byte Folded Spill
.LBB97_37:
	s_or_b64 exec, exec, s[2:3]
	v_cmp_eq_u32_e32 vcc, 4, v214
	s_barrier
	s_and_saveexec_b64 s[4:5], vcc
	s_cbranch_execz .LBB97_44
; %bb.38:
	scratch_load_dwordx4 v[196:199], off, off offset:192 ; 16-byte Folded Reload
	s_waitcnt vmcnt(0)
	ds_write2_b64 v215, v[196:197], v[198:199] offset1:1
	scratch_load_dwordx4 v[196:199], off, off offset:176 ; 16-byte Folded Reload
	s_waitcnt vmcnt(0)
	ds_write2_b64 v213, v[196:197], v[198:199] offset0:10 offset1:11
	scratch_load_dwordx4 v[196:199], off, off offset:160 ; 16-byte Folded Reload
	s_waitcnt vmcnt(0)
	ds_write2_b64 v213, v[196:197], v[198:199] offset0:12 offset1:13
	;; [unrolled: 3-line block ×11, first 2 shown]
	ds_write2_b64 v213, v[244:245], v[246:247] offset0:32 offset1:33
	ds_write2_b64 v213, v[192:193], v[194:195] offset0:34 offset1:35
	;; [unrolled: 1-line block ×32, first 2 shown]
	scratch_load_dwordx4 v[196:199], off, off ; 16-byte Folded Reload
	s_waitcnt vmcnt(0)
	ds_write2_b64 v213, v[196:197], v[198:199] offset0:96 offset1:97
	ds_read2_b64 v[196:199], v215 offset1:1
	s_waitcnt lgkmcnt(0)
	v_cmp_neq_f64_e32 vcc, 0, v[196:197]
	v_cmp_neq_f64_e64 s[2:3], 0, v[198:199]
	s_or_b64 s[2:3], vcc, s[2:3]
	s_and_b64 exec, exec, s[2:3]
	s_cbranch_execz .LBB97_44
; %bb.39:
	v_cmp_ngt_f64_e64 s[2:3], |v[196:197]|, |v[198:199]|
                                        ; implicit-def: $vgpr200_vgpr201
	s_and_saveexec_b64 s[10:11], s[2:3]
	s_xor_b64 s[2:3], exec, s[10:11]
                                        ; implicit-def: $vgpr202_vgpr203
	s_cbranch_execz .LBB97_41
; %bb.40:
	v_div_scale_f64 v[200:201], s[10:11], v[198:199], v[198:199], v[196:197]
	v_rcp_f64_e32 v[202:203], v[200:201]
	v_div_scale_f64 v[204:205], vcc, v[196:197], v[198:199], v[196:197]
	v_fma_f64 v[206:207], -v[200:201], v[202:203], 1.0
	v_fmac_f64_e32 v[202:203], v[202:203], v[206:207]
	v_fma_f64 v[206:207], -v[200:201], v[202:203], 1.0
	v_fmac_f64_e32 v[202:203], v[202:203], v[206:207]
	v_mul_f64 v[206:207], v[204:205], v[202:203]
	v_fma_f64 v[200:201], -v[200:201], v[206:207], v[204:205]
	v_div_fmas_f64 v[200:201], v[200:201], v[202:203], v[206:207]
	v_div_fixup_f64 v[200:201], v[200:201], v[198:199], v[196:197]
	v_fmac_f64_e32 v[198:199], v[196:197], v[200:201]
	v_div_scale_f64 v[196:197], s[10:11], v[198:199], v[198:199], 1.0
	v_rcp_f64_e32 v[202:203], v[196:197]
	s_nop 0
	v_fma_f64 v[204:205], -v[196:197], v[202:203], 1.0
	v_fmac_f64_e32 v[202:203], v[202:203], v[204:205]
	v_fma_f64 v[204:205], -v[196:197], v[202:203], 1.0
	v_fmac_f64_e32 v[202:203], v[202:203], v[204:205]
	v_div_scale_f64 v[204:205], vcc, 1.0, v[198:199], 1.0
	v_mul_f64 v[206:207], v[204:205], v[202:203]
	v_fma_f64 v[196:197], -v[196:197], v[206:207], v[204:205]
	s_nop 1
	v_div_fmas_f64 v[196:197], v[196:197], v[202:203], v[206:207]
	v_div_fixup_f64 v[202:203], v[196:197], v[198:199], 1.0
	v_mul_f64 v[200:201], v[200:201], v[202:203]
	v_xor_b32_e32 v203, 0x80000000, v203
                                        ; implicit-def: $vgpr196_vgpr197
.LBB97_41:
	s_andn2_saveexec_b64 s[2:3], s[2:3]
	s_cbranch_execz .LBB97_43
; %bb.42:
	v_div_scale_f64 v[200:201], s[10:11], v[196:197], v[196:197], v[198:199]
	v_rcp_f64_e32 v[202:203], v[200:201]
	v_div_scale_f64 v[204:205], vcc, v[198:199], v[196:197], v[198:199]
	v_fma_f64 v[206:207], -v[200:201], v[202:203], 1.0
	v_fmac_f64_e32 v[202:203], v[202:203], v[206:207]
	v_fma_f64 v[206:207], -v[200:201], v[202:203], 1.0
	v_fmac_f64_e32 v[202:203], v[202:203], v[206:207]
	v_mul_f64 v[206:207], v[204:205], v[202:203]
	v_fma_f64 v[200:201], -v[200:201], v[206:207], v[204:205]
	v_div_fmas_f64 v[200:201], v[200:201], v[202:203], v[206:207]
	v_div_fixup_f64 v[202:203], v[200:201], v[196:197], v[198:199]
	v_fmac_f64_e32 v[196:197], v[198:199], v[202:203]
	v_div_scale_f64 v[198:199], s[10:11], v[196:197], v[196:197], 1.0
	v_rcp_f64_e32 v[200:201], v[198:199]
	s_nop 0
	v_fma_f64 v[204:205], -v[198:199], v[200:201], 1.0
	v_fmac_f64_e32 v[200:201], v[200:201], v[204:205]
	v_fma_f64 v[204:205], -v[198:199], v[200:201], 1.0
	v_fmac_f64_e32 v[200:201], v[200:201], v[204:205]
	v_div_scale_f64 v[204:205], vcc, 1.0, v[196:197], 1.0
	v_mul_f64 v[206:207], v[204:205], v[200:201]
	v_fma_f64 v[198:199], -v[198:199], v[206:207], v[204:205]
	s_nop 1
	v_div_fmas_f64 v[198:199], v[198:199], v[200:201], v[206:207]
	v_div_fixup_f64 v[200:201], v[198:199], v[196:197], 1.0
	v_mul_f64 v[202:203], v[202:203], -v[200:201]
.LBB97_43:
	s_or_b64 exec, exec, s[2:3]
	ds_write2_b64 v215, v[200:201], v[202:203] offset1:1
.LBB97_44:
	s_or_b64 exec, exec, s[4:5]
	s_waitcnt lgkmcnt(0)
	s_barrier
	ds_read2_b64 v[196:199], v215 offset1:1
	v_cmp_lt_u32_e32 vcc, 4, v214
	s_waitcnt lgkmcnt(0)
	scratch_store_dwordx4 off, v[196:199], off offset:360 ; 16-byte Folded Spill
	s_and_saveexec_b64 s[2:3], vcc
	s_cbranch_execz .LBB97_46
; %bb.45:
	scratch_load_dwordx4 v[202:205], off, off offset:192 ; 16-byte Folded Reload
	scratch_load_dwordx4 v[198:201], off, off offset:360 ; 16-byte Folded Reload
	v_mov_b64_e32 v[184:185], v[172:173]
	s_waitcnt vmcnt(0)
	v_mul_f64 v[196:197], v[200:201], v[204:205]
	v_mul_f64 v[204:205], v[198:199], v[204:205]
	v_fma_f64 v[196:197], v[198:199], v[202:203], -v[196:197]
	v_fmac_f64_e32 v[204:205], v[200:201], v[202:203]
	ds_read2_b64 v[198:201], v213 offset0:10 offset1:11
	s_waitcnt lgkmcnt(0)
	v_mul_f64 v[172:173], v[200:201], v[204:205]
	v_fma_f64 v[172:173], v[198:199], v[196:197], -v[172:173]
	v_mul_f64 v[198:199], v[198:199], v[204:205]
	v_fmac_f64_e32 v[198:199], v[200:201], v[196:197]
	scratch_load_dwordx4 v[200:203], off, off offset:176 ; 16-byte Folded Reload
	s_waitcnt vmcnt(0)
	v_add_f64 v[200:201], v[200:201], -v[172:173]
	v_add_f64 v[202:203], v[202:203], -v[198:199]
	scratch_store_dwordx4 off, v[200:203], off offset:176 ; 16-byte Folded Spill
	ds_read2_b64 v[198:201], v213 offset0:12 offset1:13
	s_waitcnt lgkmcnt(0)
	v_mul_f64 v[172:173], v[200:201], v[204:205]
	v_fma_f64 v[172:173], v[198:199], v[196:197], -v[172:173]
	v_mul_f64 v[198:199], v[198:199], v[204:205]
	v_fmac_f64_e32 v[198:199], v[200:201], v[196:197]
	scratch_load_dwordx4 v[200:203], off, off offset:160 ; 16-byte Folded Reload
	s_waitcnt vmcnt(0)
	v_add_f64 v[200:201], v[200:201], -v[172:173]
	v_add_f64 v[202:203], v[202:203], -v[198:199]
	scratch_store_dwordx4 off, v[200:203], off offset:160 ; 16-byte Folded Spill
	;; [unrolled: 11-line block ×11, first 2 shown]
	ds_read2_b64 v[198:201], v213 offset0:32 offset1:33
	s_waitcnt lgkmcnt(0)
	v_mul_f64 v[172:173], v[200:201], v[204:205]
	v_fma_f64 v[172:173], v[198:199], v[196:197], -v[172:173]
	v_mul_f64 v[198:199], v[198:199], v[204:205]
	v_fmac_f64_e32 v[198:199], v[200:201], v[196:197]
	v_add_f64 v[246:247], v[246:247], -v[198:199]
	ds_read2_b64 v[198:201], v213 offset0:34 offset1:35
	v_add_f64 v[244:245], v[244:245], -v[172:173]
	s_waitcnt lgkmcnt(0)
	v_mul_f64 v[172:173], v[200:201], v[204:205]
	v_fma_f64 v[172:173], v[198:199], v[196:197], -v[172:173]
	v_mul_f64 v[198:199], v[198:199], v[204:205]
	v_fmac_f64_e32 v[198:199], v[200:201], v[196:197]
	v_add_f64 v[194:195], v[194:195], -v[198:199]
	ds_read2_b64 v[198:201], v213 offset0:36 offset1:37
	v_add_f64 v[192:193], v[192:193], -v[172:173]
	;; [unrolled: 8-line block ×32, first 2 shown]
	s_waitcnt lgkmcnt(0)
	v_mul_f64 v[172:173], v[200:201], v[204:205]
	v_fma_f64 v[172:173], v[198:199], v[196:197], -v[172:173]
	v_mul_f64 v[198:199], v[198:199], v[204:205]
	v_fmac_f64_e32 v[198:199], v[200:201], v[196:197]
	scratch_load_dwordx4 v[200:203], off, off ; 16-byte Folded Reload
	s_waitcnt vmcnt(0)
	v_add_f64 v[200:201], v[200:201], -v[172:173]
	v_add_f64 v[202:203], v[202:203], -v[198:199]
	v_mov_b64_e32 v[172:173], v[184:185]
	scratch_store_dwordx4 off, v[200:203], off ; 16-byte Folded Spill
	s_nop 1
	v_mov_b64_e32 v[202:203], v[196:197]
	scratch_store_dwordx4 off, v[202:205], off offset:192 ; 16-byte Folded Spill
.LBB97_46:
	s_or_b64 exec, exec, s[2:3]
	v_cmp_eq_u32_e32 vcc, 5, v214
	s_barrier
	s_and_saveexec_b64 s[4:5], vcc
	s_cbranch_execz .LBB97_53
; %bb.47:
	scratch_load_dwordx4 v[196:199], off, off offset:176 ; 16-byte Folded Reload
	s_waitcnt vmcnt(0)
	ds_write2_b64 v215, v[196:197], v[198:199] offset1:1
	scratch_load_dwordx4 v[196:199], off, off offset:160 ; 16-byte Folded Reload
	s_waitcnt vmcnt(0)
	ds_write2_b64 v213, v[196:197], v[198:199] offset0:12 offset1:13
	scratch_load_dwordx4 v[196:199], off, off offset:144 ; 16-byte Folded Reload
	s_waitcnt vmcnt(0)
	ds_write2_b64 v213, v[196:197], v[198:199] offset0:14 offset1:15
	;; [unrolled: 3-line block ×10, first 2 shown]
	ds_write2_b64 v213, v[244:245], v[246:247] offset0:32 offset1:33
	ds_write2_b64 v213, v[192:193], v[194:195] offset0:34 offset1:35
	;; [unrolled: 1-line block ×32, first 2 shown]
	scratch_load_dwordx4 v[196:199], off, off ; 16-byte Folded Reload
	s_waitcnt vmcnt(0)
	ds_write2_b64 v213, v[196:197], v[198:199] offset0:96 offset1:97
	ds_read2_b64 v[196:199], v215 offset1:1
	s_waitcnt lgkmcnt(0)
	v_cmp_neq_f64_e32 vcc, 0, v[196:197]
	v_cmp_neq_f64_e64 s[2:3], 0, v[198:199]
	s_or_b64 s[2:3], vcc, s[2:3]
	s_and_b64 exec, exec, s[2:3]
	s_cbranch_execz .LBB97_53
; %bb.48:
	v_cmp_ngt_f64_e64 s[2:3], |v[196:197]|, |v[198:199]|
                                        ; implicit-def: $vgpr200_vgpr201
	s_and_saveexec_b64 s[10:11], s[2:3]
	s_xor_b64 s[2:3], exec, s[10:11]
                                        ; implicit-def: $vgpr202_vgpr203
	s_cbranch_execz .LBB97_50
; %bb.49:
	v_div_scale_f64 v[200:201], s[10:11], v[198:199], v[198:199], v[196:197]
	v_rcp_f64_e32 v[202:203], v[200:201]
	v_div_scale_f64 v[204:205], vcc, v[196:197], v[198:199], v[196:197]
	v_fma_f64 v[206:207], -v[200:201], v[202:203], 1.0
	v_fmac_f64_e32 v[202:203], v[202:203], v[206:207]
	v_fma_f64 v[206:207], -v[200:201], v[202:203], 1.0
	v_fmac_f64_e32 v[202:203], v[202:203], v[206:207]
	v_mul_f64 v[206:207], v[204:205], v[202:203]
	v_fma_f64 v[200:201], -v[200:201], v[206:207], v[204:205]
	v_div_fmas_f64 v[200:201], v[200:201], v[202:203], v[206:207]
	v_div_fixup_f64 v[200:201], v[200:201], v[198:199], v[196:197]
	v_fmac_f64_e32 v[198:199], v[196:197], v[200:201]
	v_div_scale_f64 v[196:197], s[10:11], v[198:199], v[198:199], 1.0
	v_rcp_f64_e32 v[202:203], v[196:197]
	s_nop 0
	v_fma_f64 v[204:205], -v[196:197], v[202:203], 1.0
	v_fmac_f64_e32 v[202:203], v[202:203], v[204:205]
	v_fma_f64 v[204:205], -v[196:197], v[202:203], 1.0
	v_fmac_f64_e32 v[202:203], v[202:203], v[204:205]
	v_div_scale_f64 v[204:205], vcc, 1.0, v[198:199], 1.0
	v_mul_f64 v[206:207], v[204:205], v[202:203]
	v_fma_f64 v[196:197], -v[196:197], v[206:207], v[204:205]
	s_nop 1
	v_div_fmas_f64 v[196:197], v[196:197], v[202:203], v[206:207]
	v_div_fixup_f64 v[202:203], v[196:197], v[198:199], 1.0
	v_mul_f64 v[200:201], v[200:201], v[202:203]
	v_xor_b32_e32 v203, 0x80000000, v203
                                        ; implicit-def: $vgpr196_vgpr197
.LBB97_50:
	s_andn2_saveexec_b64 s[2:3], s[2:3]
	s_cbranch_execz .LBB97_52
; %bb.51:
	v_div_scale_f64 v[200:201], s[10:11], v[196:197], v[196:197], v[198:199]
	v_rcp_f64_e32 v[202:203], v[200:201]
	v_div_scale_f64 v[204:205], vcc, v[198:199], v[196:197], v[198:199]
	v_fma_f64 v[206:207], -v[200:201], v[202:203], 1.0
	v_fmac_f64_e32 v[202:203], v[202:203], v[206:207]
	v_fma_f64 v[206:207], -v[200:201], v[202:203], 1.0
	v_fmac_f64_e32 v[202:203], v[202:203], v[206:207]
	v_mul_f64 v[206:207], v[204:205], v[202:203]
	v_fma_f64 v[200:201], -v[200:201], v[206:207], v[204:205]
	v_div_fmas_f64 v[200:201], v[200:201], v[202:203], v[206:207]
	v_div_fixup_f64 v[202:203], v[200:201], v[196:197], v[198:199]
	v_fmac_f64_e32 v[196:197], v[198:199], v[202:203]
	v_div_scale_f64 v[198:199], s[10:11], v[196:197], v[196:197], 1.0
	v_rcp_f64_e32 v[200:201], v[198:199]
	s_nop 0
	v_fma_f64 v[204:205], -v[198:199], v[200:201], 1.0
	v_fmac_f64_e32 v[200:201], v[200:201], v[204:205]
	v_fma_f64 v[204:205], -v[198:199], v[200:201], 1.0
	v_fmac_f64_e32 v[200:201], v[200:201], v[204:205]
	v_div_scale_f64 v[204:205], vcc, 1.0, v[196:197], 1.0
	v_mul_f64 v[206:207], v[204:205], v[200:201]
	v_fma_f64 v[198:199], -v[198:199], v[206:207], v[204:205]
	s_nop 1
	v_div_fmas_f64 v[198:199], v[198:199], v[200:201], v[206:207]
	v_div_fixup_f64 v[200:201], v[198:199], v[196:197], 1.0
	v_mul_f64 v[202:203], v[202:203], -v[200:201]
.LBB97_52:
	s_or_b64 exec, exec, s[2:3]
	ds_write2_b64 v215, v[200:201], v[202:203] offset1:1
.LBB97_53:
	s_or_b64 exec, exec, s[4:5]
	s_waitcnt lgkmcnt(0)
	s_barrier
	ds_read2_b64 v[196:199], v215 offset1:1
	v_cmp_lt_u32_e32 vcc, 5, v214
	s_waitcnt lgkmcnt(0)
	scratch_store_dwordx4 off, v[196:199], off offset:376 ; 16-byte Folded Spill
	s_and_saveexec_b64 s[2:3], vcc
	s_cbranch_execz .LBB97_55
; %bb.54:
	scratch_load_dwordx4 v[202:205], off, off offset:176 ; 16-byte Folded Reload
	scratch_load_dwordx4 v[198:201], off, off offset:376 ; 16-byte Folded Reload
	v_mov_b64_e32 v[184:185], v[168:169]
	s_waitcnt vmcnt(0)
	v_mul_f64 v[196:197], v[200:201], v[204:205]
	v_mul_f64 v[204:205], v[198:199], v[204:205]
	v_fma_f64 v[196:197], v[198:199], v[202:203], -v[196:197]
	v_fmac_f64_e32 v[204:205], v[200:201], v[202:203]
	ds_read2_b64 v[198:201], v213 offset0:12 offset1:13
	s_waitcnt lgkmcnt(0)
	v_mul_f64 v[168:169], v[200:201], v[204:205]
	v_fma_f64 v[168:169], v[198:199], v[196:197], -v[168:169]
	v_mul_f64 v[198:199], v[198:199], v[204:205]
	v_fmac_f64_e32 v[198:199], v[200:201], v[196:197]
	scratch_load_dwordx4 v[200:203], off, off offset:160 ; 16-byte Folded Reload
	s_waitcnt vmcnt(0)
	v_add_f64 v[200:201], v[200:201], -v[168:169]
	v_add_f64 v[202:203], v[202:203], -v[198:199]
	scratch_store_dwordx4 off, v[200:203], off offset:160 ; 16-byte Folded Spill
	ds_read2_b64 v[198:201], v213 offset0:14 offset1:15
	s_waitcnt lgkmcnt(0)
	v_mul_f64 v[168:169], v[200:201], v[204:205]
	v_fma_f64 v[168:169], v[198:199], v[196:197], -v[168:169]
	v_mul_f64 v[198:199], v[198:199], v[204:205]
	v_fmac_f64_e32 v[198:199], v[200:201], v[196:197]
	scratch_load_dwordx4 v[200:203], off, off offset:144 ; 16-byte Folded Reload
	s_waitcnt vmcnt(0)
	v_add_f64 v[200:201], v[200:201], -v[168:169]
	v_add_f64 v[202:203], v[202:203], -v[198:199]
	scratch_store_dwordx4 off, v[200:203], off offset:144 ; 16-byte Folded Spill
	;; [unrolled: 11-line block ×10, first 2 shown]
	ds_read2_b64 v[198:201], v213 offset0:32 offset1:33
	s_waitcnt lgkmcnt(0)
	v_mul_f64 v[168:169], v[200:201], v[204:205]
	v_fma_f64 v[168:169], v[198:199], v[196:197], -v[168:169]
	v_mul_f64 v[198:199], v[198:199], v[204:205]
	v_fmac_f64_e32 v[198:199], v[200:201], v[196:197]
	v_add_f64 v[246:247], v[246:247], -v[198:199]
	ds_read2_b64 v[198:201], v213 offset0:34 offset1:35
	v_add_f64 v[244:245], v[244:245], -v[168:169]
	s_waitcnt lgkmcnt(0)
	v_mul_f64 v[168:169], v[200:201], v[204:205]
	v_fma_f64 v[168:169], v[198:199], v[196:197], -v[168:169]
	v_mul_f64 v[198:199], v[198:199], v[204:205]
	v_fmac_f64_e32 v[198:199], v[200:201], v[196:197]
	v_add_f64 v[194:195], v[194:195], -v[198:199]
	ds_read2_b64 v[198:201], v213 offset0:36 offset1:37
	v_add_f64 v[192:193], v[192:193], -v[168:169]
	;; [unrolled: 8-line block ×32, first 2 shown]
	s_waitcnt lgkmcnt(0)
	v_mul_f64 v[168:169], v[200:201], v[204:205]
	v_fma_f64 v[168:169], v[198:199], v[196:197], -v[168:169]
	v_mul_f64 v[198:199], v[198:199], v[204:205]
	v_fmac_f64_e32 v[198:199], v[200:201], v[196:197]
	scratch_load_dwordx4 v[200:203], off, off ; 16-byte Folded Reload
	s_waitcnt vmcnt(0)
	v_add_f64 v[200:201], v[200:201], -v[168:169]
	v_add_f64 v[202:203], v[202:203], -v[198:199]
	v_mov_b64_e32 v[168:169], v[184:185]
	scratch_store_dwordx4 off, v[200:203], off ; 16-byte Folded Spill
	s_nop 1
	v_mov_b64_e32 v[202:203], v[196:197]
	scratch_store_dwordx4 off, v[202:205], off offset:176 ; 16-byte Folded Spill
.LBB97_55:
	s_or_b64 exec, exec, s[2:3]
	v_cmp_eq_u32_e32 vcc, 6, v214
	s_barrier
	s_and_saveexec_b64 s[4:5], vcc
	s_cbranch_execz .LBB97_62
; %bb.56:
	scratch_load_dwordx4 v[196:199], off, off offset:160 ; 16-byte Folded Reload
	s_waitcnt vmcnt(0)
	ds_write2_b64 v215, v[196:197], v[198:199] offset1:1
	scratch_load_dwordx4 v[196:199], off, off offset:144 ; 16-byte Folded Reload
	s_waitcnt vmcnt(0)
	ds_write2_b64 v213, v[196:197], v[198:199] offset0:14 offset1:15
	scratch_load_dwordx4 v[196:199], off, off offset:128 ; 16-byte Folded Reload
	s_waitcnt vmcnt(0)
	ds_write2_b64 v213, v[196:197], v[198:199] offset0:16 offset1:17
	;; [unrolled: 3-line block ×9, first 2 shown]
	ds_write2_b64 v213, v[244:245], v[246:247] offset0:32 offset1:33
	ds_write2_b64 v213, v[192:193], v[194:195] offset0:34 offset1:35
	;; [unrolled: 1-line block ×32, first 2 shown]
	scratch_load_dwordx4 v[196:199], off, off ; 16-byte Folded Reload
	s_waitcnt vmcnt(0)
	ds_write2_b64 v213, v[196:197], v[198:199] offset0:96 offset1:97
	ds_read2_b64 v[196:199], v215 offset1:1
	s_waitcnt lgkmcnt(0)
	v_cmp_neq_f64_e32 vcc, 0, v[196:197]
	v_cmp_neq_f64_e64 s[2:3], 0, v[198:199]
	s_or_b64 s[2:3], vcc, s[2:3]
	s_and_b64 exec, exec, s[2:3]
	s_cbranch_execz .LBB97_62
; %bb.57:
	v_cmp_ngt_f64_e64 s[2:3], |v[196:197]|, |v[198:199]|
                                        ; implicit-def: $vgpr200_vgpr201
	s_and_saveexec_b64 s[10:11], s[2:3]
	s_xor_b64 s[2:3], exec, s[10:11]
                                        ; implicit-def: $vgpr202_vgpr203
	s_cbranch_execz .LBB97_59
; %bb.58:
	v_div_scale_f64 v[200:201], s[10:11], v[198:199], v[198:199], v[196:197]
	v_rcp_f64_e32 v[202:203], v[200:201]
	v_div_scale_f64 v[204:205], vcc, v[196:197], v[198:199], v[196:197]
	v_fma_f64 v[206:207], -v[200:201], v[202:203], 1.0
	v_fmac_f64_e32 v[202:203], v[202:203], v[206:207]
	v_fma_f64 v[206:207], -v[200:201], v[202:203], 1.0
	v_fmac_f64_e32 v[202:203], v[202:203], v[206:207]
	v_mul_f64 v[206:207], v[204:205], v[202:203]
	v_fma_f64 v[200:201], -v[200:201], v[206:207], v[204:205]
	v_div_fmas_f64 v[200:201], v[200:201], v[202:203], v[206:207]
	v_div_fixup_f64 v[200:201], v[200:201], v[198:199], v[196:197]
	v_fmac_f64_e32 v[198:199], v[196:197], v[200:201]
	v_div_scale_f64 v[196:197], s[10:11], v[198:199], v[198:199], 1.0
	v_rcp_f64_e32 v[202:203], v[196:197]
	s_nop 0
	v_fma_f64 v[204:205], -v[196:197], v[202:203], 1.0
	v_fmac_f64_e32 v[202:203], v[202:203], v[204:205]
	v_fma_f64 v[204:205], -v[196:197], v[202:203], 1.0
	v_fmac_f64_e32 v[202:203], v[202:203], v[204:205]
	v_div_scale_f64 v[204:205], vcc, 1.0, v[198:199], 1.0
	v_mul_f64 v[206:207], v[204:205], v[202:203]
	v_fma_f64 v[196:197], -v[196:197], v[206:207], v[204:205]
	s_nop 1
	v_div_fmas_f64 v[196:197], v[196:197], v[202:203], v[206:207]
	v_div_fixup_f64 v[202:203], v[196:197], v[198:199], 1.0
	v_mul_f64 v[200:201], v[200:201], v[202:203]
	v_xor_b32_e32 v203, 0x80000000, v203
                                        ; implicit-def: $vgpr196_vgpr197
.LBB97_59:
	s_andn2_saveexec_b64 s[2:3], s[2:3]
	s_cbranch_execz .LBB97_61
; %bb.60:
	v_div_scale_f64 v[200:201], s[10:11], v[196:197], v[196:197], v[198:199]
	v_rcp_f64_e32 v[202:203], v[200:201]
	v_div_scale_f64 v[204:205], vcc, v[198:199], v[196:197], v[198:199]
	v_fma_f64 v[206:207], -v[200:201], v[202:203], 1.0
	v_fmac_f64_e32 v[202:203], v[202:203], v[206:207]
	v_fma_f64 v[206:207], -v[200:201], v[202:203], 1.0
	v_fmac_f64_e32 v[202:203], v[202:203], v[206:207]
	v_mul_f64 v[206:207], v[204:205], v[202:203]
	v_fma_f64 v[200:201], -v[200:201], v[206:207], v[204:205]
	v_div_fmas_f64 v[200:201], v[200:201], v[202:203], v[206:207]
	v_div_fixup_f64 v[202:203], v[200:201], v[196:197], v[198:199]
	v_fmac_f64_e32 v[196:197], v[198:199], v[202:203]
	v_div_scale_f64 v[198:199], s[10:11], v[196:197], v[196:197], 1.0
	v_rcp_f64_e32 v[200:201], v[198:199]
	s_nop 0
	v_fma_f64 v[204:205], -v[198:199], v[200:201], 1.0
	v_fmac_f64_e32 v[200:201], v[200:201], v[204:205]
	v_fma_f64 v[204:205], -v[198:199], v[200:201], 1.0
	v_fmac_f64_e32 v[200:201], v[200:201], v[204:205]
	v_div_scale_f64 v[204:205], vcc, 1.0, v[196:197], 1.0
	v_mul_f64 v[206:207], v[204:205], v[200:201]
	v_fma_f64 v[198:199], -v[198:199], v[206:207], v[204:205]
	s_nop 1
	v_div_fmas_f64 v[198:199], v[198:199], v[200:201], v[206:207]
	v_div_fixup_f64 v[200:201], v[198:199], v[196:197], 1.0
	v_mul_f64 v[202:203], v[202:203], -v[200:201]
.LBB97_61:
	s_or_b64 exec, exec, s[2:3]
	ds_write2_b64 v215, v[200:201], v[202:203] offset1:1
.LBB97_62:
	s_or_b64 exec, exec, s[4:5]
	s_waitcnt lgkmcnt(0)
	s_barrier
	ds_read2_b64 v[196:199], v215 offset1:1
	v_cmp_lt_u32_e32 vcc, 6, v214
	s_waitcnt lgkmcnt(0)
	scratch_store_dwordx4 off, v[196:199], off offset:392 ; 16-byte Folded Spill
	s_and_saveexec_b64 s[2:3], vcc
	s_cbranch_execz .LBB97_64
; %bb.63:
	scratch_load_dwordx4 v[202:205], off, off offset:160 ; 16-byte Folded Reload
	scratch_load_dwordx4 v[198:201], off, off offset:392 ; 16-byte Folded Reload
	v_mov_b64_e32 v[184:185], v[164:165]
	s_waitcnt vmcnt(0)
	v_mul_f64 v[196:197], v[200:201], v[204:205]
	v_mul_f64 v[204:205], v[198:199], v[204:205]
	v_fma_f64 v[196:197], v[198:199], v[202:203], -v[196:197]
	v_fmac_f64_e32 v[204:205], v[200:201], v[202:203]
	ds_read2_b64 v[198:201], v213 offset0:14 offset1:15
	s_waitcnt lgkmcnt(0)
	v_mul_f64 v[164:165], v[200:201], v[204:205]
	v_fma_f64 v[164:165], v[198:199], v[196:197], -v[164:165]
	v_mul_f64 v[198:199], v[198:199], v[204:205]
	v_fmac_f64_e32 v[198:199], v[200:201], v[196:197]
	scratch_load_dwordx4 v[200:203], off, off offset:144 ; 16-byte Folded Reload
	s_waitcnt vmcnt(0)
	v_add_f64 v[200:201], v[200:201], -v[164:165]
	v_add_f64 v[202:203], v[202:203], -v[198:199]
	scratch_store_dwordx4 off, v[200:203], off offset:144 ; 16-byte Folded Spill
	ds_read2_b64 v[198:201], v213 offset0:16 offset1:17
	s_waitcnt lgkmcnt(0)
	v_mul_f64 v[164:165], v[200:201], v[204:205]
	v_fma_f64 v[164:165], v[198:199], v[196:197], -v[164:165]
	v_mul_f64 v[198:199], v[198:199], v[204:205]
	v_fmac_f64_e32 v[198:199], v[200:201], v[196:197]
	scratch_load_dwordx4 v[200:203], off, off offset:128 ; 16-byte Folded Reload
	s_waitcnt vmcnt(0)
	v_add_f64 v[200:201], v[200:201], -v[164:165]
	v_add_f64 v[202:203], v[202:203], -v[198:199]
	scratch_store_dwordx4 off, v[200:203], off offset:128 ; 16-byte Folded Spill
	;; [unrolled: 11-line block ×9, first 2 shown]
	ds_read2_b64 v[198:201], v213 offset0:32 offset1:33
	s_waitcnt lgkmcnt(0)
	v_mul_f64 v[164:165], v[200:201], v[204:205]
	v_fma_f64 v[164:165], v[198:199], v[196:197], -v[164:165]
	v_mul_f64 v[198:199], v[198:199], v[204:205]
	v_fmac_f64_e32 v[198:199], v[200:201], v[196:197]
	v_add_f64 v[246:247], v[246:247], -v[198:199]
	ds_read2_b64 v[198:201], v213 offset0:34 offset1:35
	v_add_f64 v[244:245], v[244:245], -v[164:165]
	s_waitcnt lgkmcnt(0)
	v_mul_f64 v[164:165], v[200:201], v[204:205]
	v_fma_f64 v[164:165], v[198:199], v[196:197], -v[164:165]
	v_mul_f64 v[198:199], v[198:199], v[204:205]
	v_fmac_f64_e32 v[198:199], v[200:201], v[196:197]
	v_add_f64 v[194:195], v[194:195], -v[198:199]
	ds_read2_b64 v[198:201], v213 offset0:36 offset1:37
	v_add_f64 v[192:193], v[192:193], -v[164:165]
	;; [unrolled: 8-line block ×32, first 2 shown]
	s_waitcnt lgkmcnt(0)
	v_mul_f64 v[164:165], v[200:201], v[204:205]
	v_fma_f64 v[164:165], v[198:199], v[196:197], -v[164:165]
	v_mul_f64 v[198:199], v[198:199], v[204:205]
	v_fmac_f64_e32 v[198:199], v[200:201], v[196:197]
	scratch_load_dwordx4 v[200:203], off, off ; 16-byte Folded Reload
	s_waitcnt vmcnt(0)
	v_add_f64 v[200:201], v[200:201], -v[164:165]
	v_add_f64 v[202:203], v[202:203], -v[198:199]
	v_mov_b64_e32 v[164:165], v[184:185]
	scratch_store_dwordx4 off, v[200:203], off ; 16-byte Folded Spill
	s_nop 1
	v_mov_b64_e32 v[202:203], v[196:197]
	scratch_store_dwordx4 off, v[202:205], off offset:160 ; 16-byte Folded Spill
.LBB97_64:
	s_or_b64 exec, exec, s[2:3]
	v_cmp_eq_u32_e32 vcc, 7, v214
	s_barrier
	s_and_saveexec_b64 s[4:5], vcc
	s_cbranch_execz .LBB97_71
; %bb.65:
	scratch_load_dwordx4 v[196:199], off, off offset:144 ; 16-byte Folded Reload
	s_waitcnt vmcnt(0)
	ds_write2_b64 v215, v[196:197], v[198:199] offset1:1
	scratch_load_dwordx4 v[196:199], off, off offset:128 ; 16-byte Folded Reload
	s_waitcnt vmcnt(0)
	ds_write2_b64 v213, v[196:197], v[198:199] offset0:16 offset1:17
	scratch_load_dwordx4 v[196:199], off, off offset:112 ; 16-byte Folded Reload
	s_waitcnt vmcnt(0)
	ds_write2_b64 v213, v[196:197], v[198:199] offset0:18 offset1:19
	;; [unrolled: 3-line block ×8, first 2 shown]
	ds_write2_b64 v213, v[244:245], v[246:247] offset0:32 offset1:33
	ds_write2_b64 v213, v[192:193], v[194:195] offset0:34 offset1:35
	;; [unrolled: 1-line block ×32, first 2 shown]
	scratch_load_dwordx4 v[196:199], off, off ; 16-byte Folded Reload
	s_waitcnt vmcnt(0)
	ds_write2_b64 v213, v[196:197], v[198:199] offset0:96 offset1:97
	ds_read2_b64 v[196:199], v215 offset1:1
	s_waitcnt lgkmcnt(0)
	v_cmp_neq_f64_e32 vcc, 0, v[196:197]
	v_cmp_neq_f64_e64 s[2:3], 0, v[198:199]
	s_or_b64 s[2:3], vcc, s[2:3]
	s_and_b64 exec, exec, s[2:3]
	s_cbranch_execz .LBB97_71
; %bb.66:
	v_cmp_ngt_f64_e64 s[2:3], |v[196:197]|, |v[198:199]|
                                        ; implicit-def: $vgpr200_vgpr201
	s_and_saveexec_b64 s[10:11], s[2:3]
	s_xor_b64 s[2:3], exec, s[10:11]
                                        ; implicit-def: $vgpr202_vgpr203
	s_cbranch_execz .LBB97_68
; %bb.67:
	v_div_scale_f64 v[200:201], s[10:11], v[198:199], v[198:199], v[196:197]
	v_rcp_f64_e32 v[202:203], v[200:201]
	v_div_scale_f64 v[204:205], vcc, v[196:197], v[198:199], v[196:197]
	v_fma_f64 v[206:207], -v[200:201], v[202:203], 1.0
	v_fmac_f64_e32 v[202:203], v[202:203], v[206:207]
	v_fma_f64 v[206:207], -v[200:201], v[202:203], 1.0
	v_fmac_f64_e32 v[202:203], v[202:203], v[206:207]
	v_mul_f64 v[206:207], v[204:205], v[202:203]
	v_fma_f64 v[200:201], -v[200:201], v[206:207], v[204:205]
	v_div_fmas_f64 v[200:201], v[200:201], v[202:203], v[206:207]
	v_div_fixup_f64 v[200:201], v[200:201], v[198:199], v[196:197]
	v_fmac_f64_e32 v[198:199], v[196:197], v[200:201]
	v_div_scale_f64 v[196:197], s[10:11], v[198:199], v[198:199], 1.0
	v_rcp_f64_e32 v[202:203], v[196:197]
	s_nop 0
	v_fma_f64 v[204:205], -v[196:197], v[202:203], 1.0
	v_fmac_f64_e32 v[202:203], v[202:203], v[204:205]
	v_fma_f64 v[204:205], -v[196:197], v[202:203], 1.0
	v_fmac_f64_e32 v[202:203], v[202:203], v[204:205]
	v_div_scale_f64 v[204:205], vcc, 1.0, v[198:199], 1.0
	v_mul_f64 v[206:207], v[204:205], v[202:203]
	v_fma_f64 v[196:197], -v[196:197], v[206:207], v[204:205]
	s_nop 1
	v_div_fmas_f64 v[196:197], v[196:197], v[202:203], v[206:207]
	v_div_fixup_f64 v[202:203], v[196:197], v[198:199], 1.0
	v_mul_f64 v[200:201], v[200:201], v[202:203]
	v_xor_b32_e32 v203, 0x80000000, v203
                                        ; implicit-def: $vgpr196_vgpr197
.LBB97_68:
	s_andn2_saveexec_b64 s[2:3], s[2:3]
	s_cbranch_execz .LBB97_70
; %bb.69:
	v_div_scale_f64 v[200:201], s[10:11], v[196:197], v[196:197], v[198:199]
	v_rcp_f64_e32 v[202:203], v[200:201]
	v_div_scale_f64 v[204:205], vcc, v[198:199], v[196:197], v[198:199]
	v_fma_f64 v[206:207], -v[200:201], v[202:203], 1.0
	v_fmac_f64_e32 v[202:203], v[202:203], v[206:207]
	v_fma_f64 v[206:207], -v[200:201], v[202:203], 1.0
	v_fmac_f64_e32 v[202:203], v[202:203], v[206:207]
	v_mul_f64 v[206:207], v[204:205], v[202:203]
	v_fma_f64 v[200:201], -v[200:201], v[206:207], v[204:205]
	v_div_fmas_f64 v[200:201], v[200:201], v[202:203], v[206:207]
	v_div_fixup_f64 v[202:203], v[200:201], v[196:197], v[198:199]
	v_fmac_f64_e32 v[196:197], v[198:199], v[202:203]
	v_div_scale_f64 v[198:199], s[10:11], v[196:197], v[196:197], 1.0
	v_rcp_f64_e32 v[200:201], v[198:199]
	s_nop 0
	v_fma_f64 v[204:205], -v[198:199], v[200:201], 1.0
	v_fmac_f64_e32 v[200:201], v[200:201], v[204:205]
	v_fma_f64 v[204:205], -v[198:199], v[200:201], 1.0
	v_fmac_f64_e32 v[200:201], v[200:201], v[204:205]
	v_div_scale_f64 v[204:205], vcc, 1.0, v[196:197], 1.0
	v_mul_f64 v[206:207], v[204:205], v[200:201]
	v_fma_f64 v[198:199], -v[198:199], v[206:207], v[204:205]
	s_nop 1
	v_div_fmas_f64 v[198:199], v[198:199], v[200:201], v[206:207]
	v_div_fixup_f64 v[200:201], v[198:199], v[196:197], 1.0
	v_mul_f64 v[202:203], v[202:203], -v[200:201]
.LBB97_70:
	s_or_b64 exec, exec, s[2:3]
	ds_write2_b64 v215, v[200:201], v[202:203] offset1:1
.LBB97_71:
	s_or_b64 exec, exec, s[4:5]
	s_waitcnt lgkmcnt(0)
	s_barrier
	ds_read2_b64 v[196:199], v215 offset1:1
	v_cmp_lt_u32_e32 vcc, 7, v214
	s_waitcnt lgkmcnt(0)
	scratch_store_dwordx4 off, v[196:199], off offset:408 ; 16-byte Folded Spill
	s_and_saveexec_b64 s[2:3], vcc
	s_cbranch_execz .LBB97_73
; %bb.72:
	scratch_load_dwordx4 v[202:205], off, off offset:144 ; 16-byte Folded Reload
	scratch_load_dwordx4 v[198:201], off, off offset:408 ; 16-byte Folded Reload
	v_mov_b64_e32 v[184:185], v[160:161]
	s_waitcnt vmcnt(0)
	v_mul_f64 v[196:197], v[200:201], v[204:205]
	v_mul_f64 v[204:205], v[198:199], v[204:205]
	v_fma_f64 v[196:197], v[198:199], v[202:203], -v[196:197]
	v_fmac_f64_e32 v[204:205], v[200:201], v[202:203]
	ds_read2_b64 v[198:201], v213 offset0:16 offset1:17
	s_waitcnt lgkmcnt(0)
	v_mul_f64 v[160:161], v[200:201], v[204:205]
	v_fma_f64 v[160:161], v[198:199], v[196:197], -v[160:161]
	v_mul_f64 v[198:199], v[198:199], v[204:205]
	v_fmac_f64_e32 v[198:199], v[200:201], v[196:197]
	scratch_load_dwordx4 v[200:203], off, off offset:128 ; 16-byte Folded Reload
	s_waitcnt vmcnt(0)
	v_add_f64 v[200:201], v[200:201], -v[160:161]
	v_add_f64 v[202:203], v[202:203], -v[198:199]
	scratch_store_dwordx4 off, v[200:203], off offset:128 ; 16-byte Folded Spill
	ds_read2_b64 v[198:201], v213 offset0:18 offset1:19
	s_waitcnt lgkmcnt(0)
	v_mul_f64 v[160:161], v[200:201], v[204:205]
	v_fma_f64 v[160:161], v[198:199], v[196:197], -v[160:161]
	v_mul_f64 v[198:199], v[198:199], v[204:205]
	v_fmac_f64_e32 v[198:199], v[200:201], v[196:197]
	scratch_load_dwordx4 v[200:203], off, off offset:112 ; 16-byte Folded Reload
	s_waitcnt vmcnt(0)
	v_add_f64 v[200:201], v[200:201], -v[160:161]
	v_add_f64 v[202:203], v[202:203], -v[198:199]
	scratch_store_dwordx4 off, v[200:203], off offset:112 ; 16-byte Folded Spill
	;; [unrolled: 11-line block ×8, first 2 shown]
	ds_read2_b64 v[198:201], v213 offset0:32 offset1:33
	s_waitcnt lgkmcnt(0)
	v_mul_f64 v[160:161], v[200:201], v[204:205]
	v_fma_f64 v[160:161], v[198:199], v[196:197], -v[160:161]
	v_mul_f64 v[198:199], v[198:199], v[204:205]
	v_fmac_f64_e32 v[198:199], v[200:201], v[196:197]
	v_add_f64 v[246:247], v[246:247], -v[198:199]
	ds_read2_b64 v[198:201], v213 offset0:34 offset1:35
	v_add_f64 v[244:245], v[244:245], -v[160:161]
	s_waitcnt lgkmcnt(0)
	v_mul_f64 v[160:161], v[200:201], v[204:205]
	v_fma_f64 v[160:161], v[198:199], v[196:197], -v[160:161]
	v_mul_f64 v[198:199], v[198:199], v[204:205]
	v_fmac_f64_e32 v[198:199], v[200:201], v[196:197]
	v_add_f64 v[194:195], v[194:195], -v[198:199]
	ds_read2_b64 v[198:201], v213 offset0:36 offset1:37
	v_add_f64 v[192:193], v[192:193], -v[160:161]
	;; [unrolled: 8-line block ×32, first 2 shown]
	s_waitcnt lgkmcnt(0)
	v_mul_f64 v[160:161], v[200:201], v[204:205]
	v_fma_f64 v[160:161], v[198:199], v[196:197], -v[160:161]
	v_mul_f64 v[198:199], v[198:199], v[204:205]
	v_fmac_f64_e32 v[198:199], v[200:201], v[196:197]
	scratch_load_dwordx4 v[200:203], off, off ; 16-byte Folded Reload
	s_waitcnt vmcnt(0)
	v_add_f64 v[200:201], v[200:201], -v[160:161]
	v_add_f64 v[202:203], v[202:203], -v[198:199]
	v_mov_b64_e32 v[160:161], v[184:185]
	scratch_store_dwordx4 off, v[200:203], off ; 16-byte Folded Spill
	s_nop 1
	v_mov_b64_e32 v[202:203], v[196:197]
	scratch_store_dwordx4 off, v[202:205], off offset:144 ; 16-byte Folded Spill
.LBB97_73:
	s_or_b64 exec, exec, s[2:3]
	v_cmp_eq_u32_e32 vcc, 8, v214
	s_barrier
	s_and_saveexec_b64 s[4:5], vcc
	s_cbranch_execz .LBB97_80
; %bb.74:
	scratch_load_dwordx4 v[196:199], off, off offset:128 ; 16-byte Folded Reload
	s_waitcnt vmcnt(0)
	ds_write2_b64 v215, v[196:197], v[198:199] offset1:1
	scratch_load_dwordx4 v[196:199], off, off offset:112 ; 16-byte Folded Reload
	s_waitcnt vmcnt(0)
	ds_write2_b64 v213, v[196:197], v[198:199] offset0:18 offset1:19
	scratch_load_dwordx4 v[196:199], off, off offset:96 ; 16-byte Folded Reload
	s_waitcnt vmcnt(0)
	ds_write2_b64 v213, v[196:197], v[198:199] offset0:20 offset1:21
	;; [unrolled: 3-line block ×7, first 2 shown]
	ds_write2_b64 v213, v[244:245], v[246:247] offset0:32 offset1:33
	ds_write2_b64 v213, v[192:193], v[194:195] offset0:34 offset1:35
	;; [unrolled: 1-line block ×32, first 2 shown]
	scratch_load_dwordx4 v[196:199], off, off ; 16-byte Folded Reload
	s_waitcnt vmcnt(0)
	ds_write2_b64 v213, v[196:197], v[198:199] offset0:96 offset1:97
	ds_read2_b64 v[196:199], v215 offset1:1
	s_waitcnt lgkmcnt(0)
	v_cmp_neq_f64_e32 vcc, 0, v[196:197]
	v_cmp_neq_f64_e64 s[2:3], 0, v[198:199]
	s_or_b64 s[2:3], vcc, s[2:3]
	s_and_b64 exec, exec, s[2:3]
	s_cbranch_execz .LBB97_80
; %bb.75:
	v_cmp_ngt_f64_e64 s[2:3], |v[196:197]|, |v[198:199]|
                                        ; implicit-def: $vgpr200_vgpr201
	s_and_saveexec_b64 s[10:11], s[2:3]
	s_xor_b64 s[2:3], exec, s[10:11]
                                        ; implicit-def: $vgpr202_vgpr203
	s_cbranch_execz .LBB97_77
; %bb.76:
	v_div_scale_f64 v[200:201], s[10:11], v[198:199], v[198:199], v[196:197]
	v_rcp_f64_e32 v[202:203], v[200:201]
	v_div_scale_f64 v[204:205], vcc, v[196:197], v[198:199], v[196:197]
	v_fma_f64 v[206:207], -v[200:201], v[202:203], 1.0
	v_fmac_f64_e32 v[202:203], v[202:203], v[206:207]
	v_fma_f64 v[206:207], -v[200:201], v[202:203], 1.0
	v_fmac_f64_e32 v[202:203], v[202:203], v[206:207]
	v_mul_f64 v[206:207], v[204:205], v[202:203]
	v_fma_f64 v[200:201], -v[200:201], v[206:207], v[204:205]
	v_div_fmas_f64 v[200:201], v[200:201], v[202:203], v[206:207]
	v_div_fixup_f64 v[200:201], v[200:201], v[198:199], v[196:197]
	v_fmac_f64_e32 v[198:199], v[196:197], v[200:201]
	v_div_scale_f64 v[196:197], s[10:11], v[198:199], v[198:199], 1.0
	v_rcp_f64_e32 v[202:203], v[196:197]
	s_nop 0
	v_fma_f64 v[204:205], -v[196:197], v[202:203], 1.0
	v_fmac_f64_e32 v[202:203], v[202:203], v[204:205]
	v_fma_f64 v[204:205], -v[196:197], v[202:203], 1.0
	v_fmac_f64_e32 v[202:203], v[202:203], v[204:205]
	v_div_scale_f64 v[204:205], vcc, 1.0, v[198:199], 1.0
	v_mul_f64 v[206:207], v[204:205], v[202:203]
	v_fma_f64 v[196:197], -v[196:197], v[206:207], v[204:205]
	s_nop 1
	v_div_fmas_f64 v[196:197], v[196:197], v[202:203], v[206:207]
	v_div_fixup_f64 v[202:203], v[196:197], v[198:199], 1.0
	v_mul_f64 v[200:201], v[200:201], v[202:203]
	v_xor_b32_e32 v203, 0x80000000, v203
                                        ; implicit-def: $vgpr196_vgpr197
.LBB97_77:
	s_andn2_saveexec_b64 s[2:3], s[2:3]
	s_cbranch_execz .LBB97_79
; %bb.78:
	v_div_scale_f64 v[200:201], s[10:11], v[196:197], v[196:197], v[198:199]
	v_rcp_f64_e32 v[202:203], v[200:201]
	v_div_scale_f64 v[204:205], vcc, v[198:199], v[196:197], v[198:199]
	v_fma_f64 v[206:207], -v[200:201], v[202:203], 1.0
	v_fmac_f64_e32 v[202:203], v[202:203], v[206:207]
	v_fma_f64 v[206:207], -v[200:201], v[202:203], 1.0
	v_fmac_f64_e32 v[202:203], v[202:203], v[206:207]
	v_mul_f64 v[206:207], v[204:205], v[202:203]
	v_fma_f64 v[200:201], -v[200:201], v[206:207], v[204:205]
	v_div_fmas_f64 v[200:201], v[200:201], v[202:203], v[206:207]
	v_div_fixup_f64 v[202:203], v[200:201], v[196:197], v[198:199]
	v_fmac_f64_e32 v[196:197], v[198:199], v[202:203]
	v_div_scale_f64 v[198:199], s[10:11], v[196:197], v[196:197], 1.0
	v_rcp_f64_e32 v[200:201], v[198:199]
	s_nop 0
	v_fma_f64 v[204:205], -v[198:199], v[200:201], 1.0
	v_fmac_f64_e32 v[200:201], v[200:201], v[204:205]
	v_fma_f64 v[204:205], -v[198:199], v[200:201], 1.0
	v_fmac_f64_e32 v[200:201], v[200:201], v[204:205]
	v_div_scale_f64 v[204:205], vcc, 1.0, v[196:197], 1.0
	v_mul_f64 v[206:207], v[204:205], v[200:201]
	v_fma_f64 v[198:199], -v[198:199], v[206:207], v[204:205]
	s_nop 1
	v_div_fmas_f64 v[198:199], v[198:199], v[200:201], v[206:207]
	v_div_fixup_f64 v[200:201], v[198:199], v[196:197], 1.0
	v_mul_f64 v[202:203], v[202:203], -v[200:201]
.LBB97_79:
	s_or_b64 exec, exec, s[2:3]
	ds_write2_b64 v215, v[200:201], v[202:203] offset1:1
.LBB97_80:
	s_or_b64 exec, exec, s[4:5]
	s_waitcnt lgkmcnt(0)
	s_barrier
	ds_read2_b64 v[196:199], v215 offset1:1
	v_cmp_lt_u32_e32 vcc, 8, v214
	s_waitcnt lgkmcnt(0)
	scratch_store_dwordx4 off, v[196:199], off offset:424 ; 16-byte Folded Spill
	s_and_saveexec_b64 s[2:3], vcc
	s_cbranch_execz .LBB97_82
; %bb.81:
	scratch_load_dwordx4 v[202:205], off, off offset:128 ; 16-byte Folded Reload
	scratch_load_dwordx4 v[198:201], off, off offset:424 ; 16-byte Folded Reload
	v_mov_b64_e32 v[184:185], v[156:157]
	s_waitcnt vmcnt(0)
	v_mul_f64 v[196:197], v[200:201], v[204:205]
	v_mul_f64 v[204:205], v[198:199], v[204:205]
	v_fma_f64 v[196:197], v[198:199], v[202:203], -v[196:197]
	v_fmac_f64_e32 v[204:205], v[200:201], v[202:203]
	ds_read2_b64 v[198:201], v213 offset0:18 offset1:19
	s_waitcnt lgkmcnt(0)
	v_mul_f64 v[156:157], v[200:201], v[204:205]
	v_fma_f64 v[156:157], v[198:199], v[196:197], -v[156:157]
	v_mul_f64 v[198:199], v[198:199], v[204:205]
	v_fmac_f64_e32 v[198:199], v[200:201], v[196:197]
	scratch_load_dwordx4 v[200:203], off, off offset:112 ; 16-byte Folded Reload
	s_waitcnt vmcnt(0)
	v_add_f64 v[200:201], v[200:201], -v[156:157]
	v_add_f64 v[202:203], v[202:203], -v[198:199]
	scratch_store_dwordx4 off, v[200:203], off offset:112 ; 16-byte Folded Spill
	ds_read2_b64 v[198:201], v213 offset0:20 offset1:21
	s_waitcnt lgkmcnt(0)
	v_mul_f64 v[156:157], v[200:201], v[204:205]
	v_fma_f64 v[156:157], v[198:199], v[196:197], -v[156:157]
	v_mul_f64 v[198:199], v[198:199], v[204:205]
	v_fmac_f64_e32 v[198:199], v[200:201], v[196:197]
	scratch_load_dwordx4 v[200:203], off, off offset:96 ; 16-byte Folded Reload
	s_waitcnt vmcnt(0)
	v_add_f64 v[200:201], v[200:201], -v[156:157]
	v_add_f64 v[202:203], v[202:203], -v[198:199]
	scratch_store_dwordx4 off, v[200:203], off offset:96 ; 16-byte Folded Spill
	;; [unrolled: 11-line block ×7, first 2 shown]
	ds_read2_b64 v[198:201], v213 offset0:32 offset1:33
	s_waitcnt lgkmcnt(0)
	v_mul_f64 v[156:157], v[200:201], v[204:205]
	v_fma_f64 v[156:157], v[198:199], v[196:197], -v[156:157]
	v_mul_f64 v[198:199], v[198:199], v[204:205]
	v_fmac_f64_e32 v[198:199], v[200:201], v[196:197]
	v_add_f64 v[246:247], v[246:247], -v[198:199]
	ds_read2_b64 v[198:201], v213 offset0:34 offset1:35
	v_add_f64 v[244:245], v[244:245], -v[156:157]
	s_waitcnt lgkmcnt(0)
	v_mul_f64 v[156:157], v[200:201], v[204:205]
	v_fma_f64 v[156:157], v[198:199], v[196:197], -v[156:157]
	v_mul_f64 v[198:199], v[198:199], v[204:205]
	v_fmac_f64_e32 v[198:199], v[200:201], v[196:197]
	v_add_f64 v[194:195], v[194:195], -v[198:199]
	ds_read2_b64 v[198:201], v213 offset0:36 offset1:37
	v_add_f64 v[192:193], v[192:193], -v[156:157]
	;; [unrolled: 8-line block ×32, first 2 shown]
	s_waitcnt lgkmcnt(0)
	v_mul_f64 v[156:157], v[200:201], v[204:205]
	v_fma_f64 v[156:157], v[198:199], v[196:197], -v[156:157]
	v_mul_f64 v[198:199], v[198:199], v[204:205]
	v_fmac_f64_e32 v[198:199], v[200:201], v[196:197]
	scratch_load_dwordx4 v[200:203], off, off ; 16-byte Folded Reload
	s_waitcnt vmcnt(0)
	v_add_f64 v[200:201], v[200:201], -v[156:157]
	v_add_f64 v[202:203], v[202:203], -v[198:199]
	v_mov_b64_e32 v[156:157], v[184:185]
	scratch_store_dwordx4 off, v[200:203], off ; 16-byte Folded Spill
	s_nop 1
	v_mov_b64_e32 v[202:203], v[196:197]
	scratch_store_dwordx4 off, v[202:205], off offset:128 ; 16-byte Folded Spill
.LBB97_82:
	s_or_b64 exec, exec, s[2:3]
	v_cmp_eq_u32_e32 vcc, 9, v214
	s_barrier
	s_and_saveexec_b64 s[4:5], vcc
	s_cbranch_execz .LBB97_89
; %bb.83:
	scratch_load_dwordx4 v[196:199], off, off offset:112 ; 16-byte Folded Reload
	s_waitcnt vmcnt(0)
	ds_write2_b64 v215, v[196:197], v[198:199] offset1:1
	scratch_load_dwordx4 v[196:199], off, off offset:96 ; 16-byte Folded Reload
	s_waitcnt vmcnt(0)
	ds_write2_b64 v213, v[196:197], v[198:199] offset0:20 offset1:21
	scratch_load_dwordx4 v[196:199], off, off offset:80 ; 16-byte Folded Reload
	s_waitcnt vmcnt(0)
	ds_write2_b64 v213, v[196:197], v[198:199] offset0:22 offset1:23
	;; [unrolled: 3-line block ×6, first 2 shown]
	ds_write2_b64 v213, v[244:245], v[246:247] offset0:32 offset1:33
	ds_write2_b64 v213, v[192:193], v[194:195] offset0:34 offset1:35
	;; [unrolled: 1-line block ×32, first 2 shown]
	scratch_load_dwordx4 v[196:199], off, off ; 16-byte Folded Reload
	s_waitcnt vmcnt(0)
	ds_write2_b64 v213, v[196:197], v[198:199] offset0:96 offset1:97
	ds_read2_b64 v[196:199], v215 offset1:1
	s_waitcnt lgkmcnt(0)
	v_cmp_neq_f64_e32 vcc, 0, v[196:197]
	v_cmp_neq_f64_e64 s[2:3], 0, v[198:199]
	s_or_b64 s[2:3], vcc, s[2:3]
	s_and_b64 exec, exec, s[2:3]
	s_cbranch_execz .LBB97_89
; %bb.84:
	v_cmp_ngt_f64_e64 s[2:3], |v[196:197]|, |v[198:199]|
                                        ; implicit-def: $vgpr200_vgpr201
	s_and_saveexec_b64 s[10:11], s[2:3]
	s_xor_b64 s[2:3], exec, s[10:11]
                                        ; implicit-def: $vgpr202_vgpr203
	s_cbranch_execz .LBB97_86
; %bb.85:
	v_div_scale_f64 v[200:201], s[10:11], v[198:199], v[198:199], v[196:197]
	v_rcp_f64_e32 v[202:203], v[200:201]
	v_div_scale_f64 v[204:205], vcc, v[196:197], v[198:199], v[196:197]
	v_fma_f64 v[206:207], -v[200:201], v[202:203], 1.0
	v_fmac_f64_e32 v[202:203], v[202:203], v[206:207]
	v_fma_f64 v[206:207], -v[200:201], v[202:203], 1.0
	v_fmac_f64_e32 v[202:203], v[202:203], v[206:207]
	v_mul_f64 v[206:207], v[204:205], v[202:203]
	v_fma_f64 v[200:201], -v[200:201], v[206:207], v[204:205]
	v_div_fmas_f64 v[200:201], v[200:201], v[202:203], v[206:207]
	v_div_fixup_f64 v[200:201], v[200:201], v[198:199], v[196:197]
	v_fmac_f64_e32 v[198:199], v[196:197], v[200:201]
	v_div_scale_f64 v[196:197], s[10:11], v[198:199], v[198:199], 1.0
	v_rcp_f64_e32 v[202:203], v[196:197]
	s_nop 0
	v_fma_f64 v[204:205], -v[196:197], v[202:203], 1.0
	v_fmac_f64_e32 v[202:203], v[202:203], v[204:205]
	v_fma_f64 v[204:205], -v[196:197], v[202:203], 1.0
	v_fmac_f64_e32 v[202:203], v[202:203], v[204:205]
	v_div_scale_f64 v[204:205], vcc, 1.0, v[198:199], 1.0
	v_mul_f64 v[206:207], v[204:205], v[202:203]
	v_fma_f64 v[196:197], -v[196:197], v[206:207], v[204:205]
	s_nop 1
	v_div_fmas_f64 v[196:197], v[196:197], v[202:203], v[206:207]
	v_div_fixup_f64 v[202:203], v[196:197], v[198:199], 1.0
	v_mul_f64 v[200:201], v[200:201], v[202:203]
	v_xor_b32_e32 v203, 0x80000000, v203
                                        ; implicit-def: $vgpr196_vgpr197
.LBB97_86:
	s_andn2_saveexec_b64 s[2:3], s[2:3]
	s_cbranch_execz .LBB97_88
; %bb.87:
	v_div_scale_f64 v[200:201], s[10:11], v[196:197], v[196:197], v[198:199]
	v_rcp_f64_e32 v[202:203], v[200:201]
	v_div_scale_f64 v[204:205], vcc, v[198:199], v[196:197], v[198:199]
	v_fma_f64 v[206:207], -v[200:201], v[202:203], 1.0
	v_fmac_f64_e32 v[202:203], v[202:203], v[206:207]
	v_fma_f64 v[206:207], -v[200:201], v[202:203], 1.0
	v_fmac_f64_e32 v[202:203], v[202:203], v[206:207]
	v_mul_f64 v[206:207], v[204:205], v[202:203]
	v_fma_f64 v[200:201], -v[200:201], v[206:207], v[204:205]
	v_div_fmas_f64 v[200:201], v[200:201], v[202:203], v[206:207]
	v_div_fixup_f64 v[202:203], v[200:201], v[196:197], v[198:199]
	v_fmac_f64_e32 v[196:197], v[198:199], v[202:203]
	v_div_scale_f64 v[198:199], s[10:11], v[196:197], v[196:197], 1.0
	v_rcp_f64_e32 v[200:201], v[198:199]
	s_nop 0
	v_fma_f64 v[204:205], -v[198:199], v[200:201], 1.0
	v_fmac_f64_e32 v[200:201], v[200:201], v[204:205]
	v_fma_f64 v[204:205], -v[198:199], v[200:201], 1.0
	v_fmac_f64_e32 v[200:201], v[200:201], v[204:205]
	v_div_scale_f64 v[204:205], vcc, 1.0, v[196:197], 1.0
	v_mul_f64 v[206:207], v[204:205], v[200:201]
	v_fma_f64 v[198:199], -v[198:199], v[206:207], v[204:205]
	s_nop 1
	v_div_fmas_f64 v[198:199], v[198:199], v[200:201], v[206:207]
	v_div_fixup_f64 v[200:201], v[198:199], v[196:197], 1.0
	v_mul_f64 v[202:203], v[202:203], -v[200:201]
.LBB97_88:
	s_or_b64 exec, exec, s[2:3]
	ds_write2_b64 v215, v[200:201], v[202:203] offset1:1
.LBB97_89:
	s_or_b64 exec, exec, s[4:5]
	s_waitcnt lgkmcnt(0)
	s_barrier
	ds_read2_b64 v[196:199], v215 offset1:1
	v_cmp_lt_u32_e32 vcc, 9, v214
	s_waitcnt lgkmcnt(0)
	scratch_store_dwordx4 off, v[196:199], off offset:440 ; 16-byte Folded Spill
	s_and_saveexec_b64 s[2:3], vcc
	s_cbranch_execz .LBB97_91
; %bb.90:
	scratch_load_dwordx4 v[202:205], off, off offset:112 ; 16-byte Folded Reload
	scratch_load_dwordx4 v[198:201], off, off offset:440 ; 16-byte Folded Reload
	v_mov_b64_e32 v[184:185], v[152:153]
	s_waitcnt vmcnt(0)
	v_mul_f64 v[196:197], v[200:201], v[204:205]
	v_mul_f64 v[204:205], v[198:199], v[204:205]
	v_fma_f64 v[196:197], v[198:199], v[202:203], -v[196:197]
	v_fmac_f64_e32 v[204:205], v[200:201], v[202:203]
	ds_read2_b64 v[198:201], v213 offset0:20 offset1:21
	s_waitcnt lgkmcnt(0)
	v_mul_f64 v[152:153], v[200:201], v[204:205]
	v_fma_f64 v[152:153], v[198:199], v[196:197], -v[152:153]
	v_mul_f64 v[198:199], v[198:199], v[204:205]
	v_fmac_f64_e32 v[198:199], v[200:201], v[196:197]
	scratch_load_dwordx4 v[200:203], off, off offset:96 ; 16-byte Folded Reload
	s_waitcnt vmcnt(0)
	v_add_f64 v[200:201], v[200:201], -v[152:153]
	v_add_f64 v[202:203], v[202:203], -v[198:199]
	scratch_store_dwordx4 off, v[200:203], off offset:96 ; 16-byte Folded Spill
	ds_read2_b64 v[198:201], v213 offset0:22 offset1:23
	s_waitcnt lgkmcnt(0)
	v_mul_f64 v[152:153], v[200:201], v[204:205]
	v_fma_f64 v[152:153], v[198:199], v[196:197], -v[152:153]
	v_mul_f64 v[198:199], v[198:199], v[204:205]
	v_fmac_f64_e32 v[198:199], v[200:201], v[196:197]
	scratch_load_dwordx4 v[200:203], off, off offset:80 ; 16-byte Folded Reload
	s_waitcnt vmcnt(0)
	v_add_f64 v[200:201], v[200:201], -v[152:153]
	v_add_f64 v[202:203], v[202:203], -v[198:199]
	scratch_store_dwordx4 off, v[200:203], off offset:80 ; 16-byte Folded Spill
	;; [unrolled: 11-line block ×6, first 2 shown]
	ds_read2_b64 v[198:201], v213 offset0:32 offset1:33
	s_waitcnt lgkmcnt(0)
	v_mul_f64 v[152:153], v[200:201], v[204:205]
	v_fma_f64 v[152:153], v[198:199], v[196:197], -v[152:153]
	v_mul_f64 v[198:199], v[198:199], v[204:205]
	v_fmac_f64_e32 v[198:199], v[200:201], v[196:197]
	v_add_f64 v[246:247], v[246:247], -v[198:199]
	ds_read2_b64 v[198:201], v213 offset0:34 offset1:35
	v_add_f64 v[244:245], v[244:245], -v[152:153]
	s_waitcnt lgkmcnt(0)
	v_mul_f64 v[152:153], v[200:201], v[204:205]
	v_fma_f64 v[152:153], v[198:199], v[196:197], -v[152:153]
	v_mul_f64 v[198:199], v[198:199], v[204:205]
	v_fmac_f64_e32 v[198:199], v[200:201], v[196:197]
	v_add_f64 v[194:195], v[194:195], -v[198:199]
	ds_read2_b64 v[198:201], v213 offset0:36 offset1:37
	v_add_f64 v[192:193], v[192:193], -v[152:153]
	;; [unrolled: 8-line block ×32, first 2 shown]
	s_waitcnt lgkmcnt(0)
	v_mul_f64 v[152:153], v[200:201], v[204:205]
	v_fma_f64 v[152:153], v[198:199], v[196:197], -v[152:153]
	v_mul_f64 v[198:199], v[198:199], v[204:205]
	v_fmac_f64_e32 v[198:199], v[200:201], v[196:197]
	scratch_load_dwordx4 v[200:203], off, off ; 16-byte Folded Reload
	s_waitcnt vmcnt(0)
	v_add_f64 v[200:201], v[200:201], -v[152:153]
	v_add_f64 v[202:203], v[202:203], -v[198:199]
	v_mov_b64_e32 v[152:153], v[184:185]
	scratch_store_dwordx4 off, v[200:203], off ; 16-byte Folded Spill
	s_nop 1
	v_mov_b64_e32 v[202:203], v[196:197]
	scratch_store_dwordx4 off, v[202:205], off offset:112 ; 16-byte Folded Spill
.LBB97_91:
	s_or_b64 exec, exec, s[2:3]
	v_cmp_eq_u32_e32 vcc, 10, v214
	s_barrier
	s_and_saveexec_b64 s[4:5], vcc
	s_cbranch_execz .LBB97_98
; %bb.92:
	scratch_load_dwordx4 v[196:199], off, off offset:96 ; 16-byte Folded Reload
	s_waitcnt vmcnt(0)
	ds_write2_b64 v215, v[196:197], v[198:199] offset1:1
	scratch_load_dwordx4 v[196:199], off, off offset:80 ; 16-byte Folded Reload
	s_waitcnt vmcnt(0)
	ds_write2_b64 v213, v[196:197], v[198:199] offset0:22 offset1:23
	scratch_load_dwordx4 v[196:199], off, off offset:64 ; 16-byte Folded Reload
	s_waitcnt vmcnt(0)
	ds_write2_b64 v213, v[196:197], v[198:199] offset0:24 offset1:25
	;; [unrolled: 3-line block ×5, first 2 shown]
	ds_write2_b64 v213, v[244:245], v[246:247] offset0:32 offset1:33
	ds_write2_b64 v213, v[192:193], v[194:195] offset0:34 offset1:35
	;; [unrolled: 1-line block ×32, first 2 shown]
	scratch_load_dwordx4 v[196:199], off, off ; 16-byte Folded Reload
	s_waitcnt vmcnt(0)
	ds_write2_b64 v213, v[196:197], v[198:199] offset0:96 offset1:97
	ds_read2_b64 v[196:199], v215 offset1:1
	s_waitcnt lgkmcnt(0)
	v_cmp_neq_f64_e32 vcc, 0, v[196:197]
	v_cmp_neq_f64_e64 s[2:3], 0, v[198:199]
	s_or_b64 s[2:3], vcc, s[2:3]
	s_and_b64 exec, exec, s[2:3]
	s_cbranch_execz .LBB97_98
; %bb.93:
	v_cmp_ngt_f64_e64 s[2:3], |v[196:197]|, |v[198:199]|
                                        ; implicit-def: $vgpr200_vgpr201
	s_and_saveexec_b64 s[10:11], s[2:3]
	s_xor_b64 s[2:3], exec, s[10:11]
                                        ; implicit-def: $vgpr202_vgpr203
	s_cbranch_execz .LBB97_95
; %bb.94:
	v_div_scale_f64 v[200:201], s[10:11], v[198:199], v[198:199], v[196:197]
	v_rcp_f64_e32 v[202:203], v[200:201]
	v_div_scale_f64 v[204:205], vcc, v[196:197], v[198:199], v[196:197]
	v_fma_f64 v[206:207], -v[200:201], v[202:203], 1.0
	v_fmac_f64_e32 v[202:203], v[202:203], v[206:207]
	v_fma_f64 v[206:207], -v[200:201], v[202:203], 1.0
	v_fmac_f64_e32 v[202:203], v[202:203], v[206:207]
	v_mul_f64 v[206:207], v[204:205], v[202:203]
	v_fma_f64 v[200:201], -v[200:201], v[206:207], v[204:205]
	v_div_fmas_f64 v[200:201], v[200:201], v[202:203], v[206:207]
	v_div_fixup_f64 v[200:201], v[200:201], v[198:199], v[196:197]
	v_fmac_f64_e32 v[198:199], v[196:197], v[200:201]
	v_div_scale_f64 v[196:197], s[10:11], v[198:199], v[198:199], 1.0
	v_rcp_f64_e32 v[202:203], v[196:197]
	s_nop 0
	v_fma_f64 v[204:205], -v[196:197], v[202:203], 1.0
	v_fmac_f64_e32 v[202:203], v[202:203], v[204:205]
	v_fma_f64 v[204:205], -v[196:197], v[202:203], 1.0
	v_fmac_f64_e32 v[202:203], v[202:203], v[204:205]
	v_div_scale_f64 v[204:205], vcc, 1.0, v[198:199], 1.0
	v_mul_f64 v[206:207], v[204:205], v[202:203]
	v_fma_f64 v[196:197], -v[196:197], v[206:207], v[204:205]
	s_nop 1
	v_div_fmas_f64 v[196:197], v[196:197], v[202:203], v[206:207]
	v_div_fixup_f64 v[202:203], v[196:197], v[198:199], 1.0
	v_mul_f64 v[200:201], v[200:201], v[202:203]
	v_xor_b32_e32 v203, 0x80000000, v203
                                        ; implicit-def: $vgpr196_vgpr197
.LBB97_95:
	s_andn2_saveexec_b64 s[2:3], s[2:3]
	s_cbranch_execz .LBB97_97
; %bb.96:
	v_div_scale_f64 v[200:201], s[10:11], v[196:197], v[196:197], v[198:199]
	v_rcp_f64_e32 v[202:203], v[200:201]
	v_div_scale_f64 v[204:205], vcc, v[198:199], v[196:197], v[198:199]
	v_fma_f64 v[206:207], -v[200:201], v[202:203], 1.0
	v_fmac_f64_e32 v[202:203], v[202:203], v[206:207]
	v_fma_f64 v[206:207], -v[200:201], v[202:203], 1.0
	v_fmac_f64_e32 v[202:203], v[202:203], v[206:207]
	v_mul_f64 v[206:207], v[204:205], v[202:203]
	v_fma_f64 v[200:201], -v[200:201], v[206:207], v[204:205]
	v_div_fmas_f64 v[200:201], v[200:201], v[202:203], v[206:207]
	v_div_fixup_f64 v[202:203], v[200:201], v[196:197], v[198:199]
	v_fmac_f64_e32 v[196:197], v[198:199], v[202:203]
	v_div_scale_f64 v[198:199], s[10:11], v[196:197], v[196:197], 1.0
	v_rcp_f64_e32 v[200:201], v[198:199]
	s_nop 0
	v_fma_f64 v[204:205], -v[198:199], v[200:201], 1.0
	v_fmac_f64_e32 v[200:201], v[200:201], v[204:205]
	v_fma_f64 v[204:205], -v[198:199], v[200:201], 1.0
	v_fmac_f64_e32 v[200:201], v[200:201], v[204:205]
	v_div_scale_f64 v[204:205], vcc, 1.0, v[196:197], 1.0
	v_mul_f64 v[206:207], v[204:205], v[200:201]
	v_fma_f64 v[198:199], -v[198:199], v[206:207], v[204:205]
	s_nop 1
	v_div_fmas_f64 v[198:199], v[198:199], v[200:201], v[206:207]
	v_div_fixup_f64 v[200:201], v[198:199], v[196:197], 1.0
	v_mul_f64 v[202:203], v[202:203], -v[200:201]
.LBB97_97:
	s_or_b64 exec, exec, s[2:3]
	ds_write2_b64 v215, v[200:201], v[202:203] offset1:1
.LBB97_98:
	s_or_b64 exec, exec, s[4:5]
	s_waitcnt lgkmcnt(0)
	s_barrier
	ds_read2_b64 v[196:199], v215 offset1:1
	v_cmp_lt_u32_e32 vcc, 10, v214
	s_waitcnt lgkmcnt(0)
	scratch_store_dwordx4 off, v[196:199], off offset:456 ; 16-byte Folded Spill
	s_and_saveexec_b64 s[2:3], vcc
	s_cbranch_execz .LBB97_100
; %bb.99:
	scratch_load_dwordx4 v[202:205], off, off offset:96 ; 16-byte Folded Reload
	scratch_load_dwordx4 v[198:201], off, off offset:456 ; 16-byte Folded Reload
	v_mov_b64_e32 v[184:185], v[148:149]
	s_waitcnt vmcnt(0)
	v_mul_f64 v[196:197], v[200:201], v[204:205]
	v_mul_f64 v[204:205], v[198:199], v[204:205]
	v_fma_f64 v[196:197], v[198:199], v[202:203], -v[196:197]
	v_fmac_f64_e32 v[204:205], v[200:201], v[202:203]
	ds_read2_b64 v[198:201], v213 offset0:22 offset1:23
	s_waitcnt lgkmcnt(0)
	v_mul_f64 v[148:149], v[200:201], v[204:205]
	v_fma_f64 v[148:149], v[198:199], v[196:197], -v[148:149]
	v_mul_f64 v[198:199], v[198:199], v[204:205]
	v_fmac_f64_e32 v[198:199], v[200:201], v[196:197]
	scratch_load_dwordx4 v[200:203], off, off offset:80 ; 16-byte Folded Reload
	s_waitcnt vmcnt(0)
	v_add_f64 v[200:201], v[200:201], -v[148:149]
	v_add_f64 v[202:203], v[202:203], -v[198:199]
	scratch_store_dwordx4 off, v[200:203], off offset:80 ; 16-byte Folded Spill
	ds_read2_b64 v[198:201], v213 offset0:24 offset1:25
	s_waitcnt lgkmcnt(0)
	v_mul_f64 v[148:149], v[200:201], v[204:205]
	v_fma_f64 v[148:149], v[198:199], v[196:197], -v[148:149]
	v_mul_f64 v[198:199], v[198:199], v[204:205]
	v_fmac_f64_e32 v[198:199], v[200:201], v[196:197]
	scratch_load_dwordx4 v[200:203], off, off offset:64 ; 16-byte Folded Reload
	s_waitcnt vmcnt(0)
	v_add_f64 v[200:201], v[200:201], -v[148:149]
	v_add_f64 v[202:203], v[202:203], -v[198:199]
	scratch_store_dwordx4 off, v[200:203], off offset:64 ; 16-byte Folded Spill
	;; [unrolled: 11-line block ×5, first 2 shown]
	ds_read2_b64 v[198:201], v213 offset0:32 offset1:33
	s_waitcnt lgkmcnt(0)
	v_mul_f64 v[148:149], v[200:201], v[204:205]
	v_fma_f64 v[148:149], v[198:199], v[196:197], -v[148:149]
	v_mul_f64 v[198:199], v[198:199], v[204:205]
	v_fmac_f64_e32 v[198:199], v[200:201], v[196:197]
	v_add_f64 v[246:247], v[246:247], -v[198:199]
	ds_read2_b64 v[198:201], v213 offset0:34 offset1:35
	v_add_f64 v[244:245], v[244:245], -v[148:149]
	s_waitcnt lgkmcnt(0)
	v_mul_f64 v[148:149], v[200:201], v[204:205]
	v_fma_f64 v[148:149], v[198:199], v[196:197], -v[148:149]
	v_mul_f64 v[198:199], v[198:199], v[204:205]
	v_fmac_f64_e32 v[198:199], v[200:201], v[196:197]
	v_add_f64 v[194:195], v[194:195], -v[198:199]
	ds_read2_b64 v[198:201], v213 offset0:36 offset1:37
	v_add_f64 v[192:193], v[192:193], -v[148:149]
	;; [unrolled: 8-line block ×32, first 2 shown]
	s_waitcnt lgkmcnt(0)
	v_mul_f64 v[148:149], v[200:201], v[204:205]
	v_fma_f64 v[148:149], v[198:199], v[196:197], -v[148:149]
	v_mul_f64 v[198:199], v[198:199], v[204:205]
	v_fmac_f64_e32 v[198:199], v[200:201], v[196:197]
	scratch_load_dwordx4 v[200:203], off, off ; 16-byte Folded Reload
	s_waitcnt vmcnt(0)
	v_add_f64 v[200:201], v[200:201], -v[148:149]
	v_add_f64 v[202:203], v[202:203], -v[198:199]
	v_mov_b64_e32 v[148:149], v[184:185]
	scratch_store_dwordx4 off, v[200:203], off ; 16-byte Folded Spill
	s_nop 1
	v_mov_b64_e32 v[202:203], v[196:197]
	scratch_store_dwordx4 off, v[202:205], off offset:96 ; 16-byte Folded Spill
.LBB97_100:
	s_or_b64 exec, exec, s[2:3]
	v_cmp_eq_u32_e32 vcc, 11, v214
	s_barrier
	s_and_saveexec_b64 s[4:5], vcc
	s_cbranch_execz .LBB97_107
; %bb.101:
	scratch_load_dwordx4 v[196:199], off, off offset:80 ; 16-byte Folded Reload
	s_waitcnt vmcnt(0)
	ds_write2_b64 v215, v[196:197], v[198:199] offset1:1
	scratch_load_dwordx4 v[196:199], off, off offset:64 ; 16-byte Folded Reload
	s_waitcnt vmcnt(0)
	ds_write2_b64 v213, v[196:197], v[198:199] offset0:24 offset1:25
	scratch_load_dwordx4 v[196:199], off, off offset:48 ; 16-byte Folded Reload
	s_waitcnt vmcnt(0)
	ds_write2_b64 v213, v[196:197], v[198:199] offset0:26 offset1:27
	;; [unrolled: 3-line block ×4, first 2 shown]
	ds_write2_b64 v213, v[244:245], v[246:247] offset0:32 offset1:33
	ds_write2_b64 v213, v[192:193], v[194:195] offset0:34 offset1:35
	;; [unrolled: 1-line block ×32, first 2 shown]
	scratch_load_dwordx4 v[196:199], off, off ; 16-byte Folded Reload
	s_waitcnt vmcnt(0)
	ds_write2_b64 v213, v[196:197], v[198:199] offset0:96 offset1:97
	ds_read2_b64 v[196:199], v215 offset1:1
	s_waitcnt lgkmcnt(0)
	v_cmp_neq_f64_e32 vcc, 0, v[196:197]
	v_cmp_neq_f64_e64 s[2:3], 0, v[198:199]
	s_or_b64 s[2:3], vcc, s[2:3]
	s_and_b64 exec, exec, s[2:3]
	s_cbranch_execz .LBB97_107
; %bb.102:
	v_cmp_ngt_f64_e64 s[2:3], |v[196:197]|, |v[198:199]|
                                        ; implicit-def: $vgpr200_vgpr201
	s_and_saveexec_b64 s[10:11], s[2:3]
	s_xor_b64 s[2:3], exec, s[10:11]
                                        ; implicit-def: $vgpr202_vgpr203
	s_cbranch_execz .LBB97_104
; %bb.103:
	v_div_scale_f64 v[200:201], s[10:11], v[198:199], v[198:199], v[196:197]
	v_rcp_f64_e32 v[202:203], v[200:201]
	v_div_scale_f64 v[204:205], vcc, v[196:197], v[198:199], v[196:197]
	v_fma_f64 v[206:207], -v[200:201], v[202:203], 1.0
	v_fmac_f64_e32 v[202:203], v[202:203], v[206:207]
	v_fma_f64 v[206:207], -v[200:201], v[202:203], 1.0
	v_fmac_f64_e32 v[202:203], v[202:203], v[206:207]
	v_mul_f64 v[206:207], v[204:205], v[202:203]
	v_fma_f64 v[200:201], -v[200:201], v[206:207], v[204:205]
	v_div_fmas_f64 v[200:201], v[200:201], v[202:203], v[206:207]
	v_div_fixup_f64 v[200:201], v[200:201], v[198:199], v[196:197]
	v_fmac_f64_e32 v[198:199], v[196:197], v[200:201]
	v_div_scale_f64 v[196:197], s[10:11], v[198:199], v[198:199], 1.0
	v_rcp_f64_e32 v[202:203], v[196:197]
	s_nop 0
	v_fma_f64 v[204:205], -v[196:197], v[202:203], 1.0
	v_fmac_f64_e32 v[202:203], v[202:203], v[204:205]
	v_fma_f64 v[204:205], -v[196:197], v[202:203], 1.0
	v_fmac_f64_e32 v[202:203], v[202:203], v[204:205]
	v_div_scale_f64 v[204:205], vcc, 1.0, v[198:199], 1.0
	v_mul_f64 v[206:207], v[204:205], v[202:203]
	v_fma_f64 v[196:197], -v[196:197], v[206:207], v[204:205]
	s_nop 1
	v_div_fmas_f64 v[196:197], v[196:197], v[202:203], v[206:207]
	v_div_fixup_f64 v[202:203], v[196:197], v[198:199], 1.0
	v_mul_f64 v[200:201], v[200:201], v[202:203]
	v_xor_b32_e32 v203, 0x80000000, v203
                                        ; implicit-def: $vgpr196_vgpr197
.LBB97_104:
	s_andn2_saveexec_b64 s[2:3], s[2:3]
	s_cbranch_execz .LBB97_106
; %bb.105:
	v_div_scale_f64 v[200:201], s[10:11], v[196:197], v[196:197], v[198:199]
	v_rcp_f64_e32 v[202:203], v[200:201]
	v_div_scale_f64 v[204:205], vcc, v[198:199], v[196:197], v[198:199]
	v_fma_f64 v[206:207], -v[200:201], v[202:203], 1.0
	v_fmac_f64_e32 v[202:203], v[202:203], v[206:207]
	v_fma_f64 v[206:207], -v[200:201], v[202:203], 1.0
	v_fmac_f64_e32 v[202:203], v[202:203], v[206:207]
	v_mul_f64 v[206:207], v[204:205], v[202:203]
	v_fma_f64 v[200:201], -v[200:201], v[206:207], v[204:205]
	v_div_fmas_f64 v[200:201], v[200:201], v[202:203], v[206:207]
	v_div_fixup_f64 v[202:203], v[200:201], v[196:197], v[198:199]
	v_fmac_f64_e32 v[196:197], v[198:199], v[202:203]
	v_div_scale_f64 v[198:199], s[10:11], v[196:197], v[196:197], 1.0
	v_rcp_f64_e32 v[200:201], v[198:199]
	s_nop 0
	v_fma_f64 v[204:205], -v[198:199], v[200:201], 1.0
	v_fmac_f64_e32 v[200:201], v[200:201], v[204:205]
	v_fma_f64 v[204:205], -v[198:199], v[200:201], 1.0
	v_fmac_f64_e32 v[200:201], v[200:201], v[204:205]
	v_div_scale_f64 v[204:205], vcc, 1.0, v[196:197], 1.0
	v_mul_f64 v[206:207], v[204:205], v[200:201]
	v_fma_f64 v[198:199], -v[198:199], v[206:207], v[204:205]
	s_nop 1
	v_div_fmas_f64 v[198:199], v[198:199], v[200:201], v[206:207]
	v_div_fixup_f64 v[200:201], v[198:199], v[196:197], 1.0
	v_mul_f64 v[202:203], v[202:203], -v[200:201]
.LBB97_106:
	s_or_b64 exec, exec, s[2:3]
	ds_write2_b64 v215, v[200:201], v[202:203] offset1:1
.LBB97_107:
	s_or_b64 exec, exec, s[4:5]
	s_waitcnt lgkmcnt(0)
	s_barrier
	ds_read2_b64 v[196:199], v215 offset1:1
	v_cmp_lt_u32_e32 vcc, 11, v214
	s_waitcnt lgkmcnt(0)
	scratch_store_dwordx4 off, v[196:199], off offset:472 ; 16-byte Folded Spill
	s_and_saveexec_b64 s[2:3], vcc
	s_cbranch_execz .LBB97_109
; %bb.108:
	scratch_load_dwordx4 v[202:205], off, off offset:80 ; 16-byte Folded Reload
	scratch_load_dwordx4 v[198:201], off, off offset:472 ; 16-byte Folded Reload
	v_mov_b64_e32 v[184:185], v[144:145]
	s_waitcnt vmcnt(0)
	v_mul_f64 v[196:197], v[200:201], v[204:205]
	v_mul_f64 v[204:205], v[198:199], v[204:205]
	v_fma_f64 v[196:197], v[198:199], v[202:203], -v[196:197]
	v_fmac_f64_e32 v[204:205], v[200:201], v[202:203]
	ds_read2_b64 v[198:201], v213 offset0:24 offset1:25
	s_waitcnt lgkmcnt(0)
	v_mul_f64 v[144:145], v[200:201], v[204:205]
	v_fma_f64 v[144:145], v[198:199], v[196:197], -v[144:145]
	v_mul_f64 v[198:199], v[198:199], v[204:205]
	v_fmac_f64_e32 v[198:199], v[200:201], v[196:197]
	scratch_load_dwordx4 v[200:203], off, off offset:64 ; 16-byte Folded Reload
	s_waitcnt vmcnt(0)
	v_add_f64 v[200:201], v[200:201], -v[144:145]
	v_add_f64 v[202:203], v[202:203], -v[198:199]
	scratch_store_dwordx4 off, v[200:203], off offset:64 ; 16-byte Folded Spill
	ds_read2_b64 v[198:201], v213 offset0:26 offset1:27
	s_waitcnt lgkmcnt(0)
	v_mul_f64 v[144:145], v[200:201], v[204:205]
	v_fma_f64 v[144:145], v[198:199], v[196:197], -v[144:145]
	v_mul_f64 v[198:199], v[198:199], v[204:205]
	v_fmac_f64_e32 v[198:199], v[200:201], v[196:197]
	scratch_load_dwordx4 v[200:203], off, off offset:48 ; 16-byte Folded Reload
	s_waitcnt vmcnt(0)
	v_add_f64 v[200:201], v[200:201], -v[144:145]
	v_add_f64 v[202:203], v[202:203], -v[198:199]
	scratch_store_dwordx4 off, v[200:203], off offset:48 ; 16-byte Folded Spill
	;; [unrolled: 11-line block ×4, first 2 shown]
	ds_read2_b64 v[198:201], v213 offset0:32 offset1:33
	s_waitcnt lgkmcnt(0)
	v_mul_f64 v[144:145], v[200:201], v[204:205]
	v_fma_f64 v[144:145], v[198:199], v[196:197], -v[144:145]
	v_mul_f64 v[198:199], v[198:199], v[204:205]
	v_fmac_f64_e32 v[198:199], v[200:201], v[196:197]
	v_add_f64 v[246:247], v[246:247], -v[198:199]
	ds_read2_b64 v[198:201], v213 offset0:34 offset1:35
	v_add_f64 v[244:245], v[244:245], -v[144:145]
	s_waitcnt lgkmcnt(0)
	v_mul_f64 v[144:145], v[200:201], v[204:205]
	v_fma_f64 v[144:145], v[198:199], v[196:197], -v[144:145]
	v_mul_f64 v[198:199], v[198:199], v[204:205]
	v_fmac_f64_e32 v[198:199], v[200:201], v[196:197]
	v_add_f64 v[194:195], v[194:195], -v[198:199]
	ds_read2_b64 v[198:201], v213 offset0:36 offset1:37
	v_add_f64 v[192:193], v[192:193], -v[144:145]
	;; [unrolled: 8-line block ×32, first 2 shown]
	s_waitcnt lgkmcnt(0)
	v_mul_f64 v[144:145], v[200:201], v[204:205]
	v_fma_f64 v[144:145], v[198:199], v[196:197], -v[144:145]
	v_mul_f64 v[198:199], v[198:199], v[204:205]
	v_fmac_f64_e32 v[198:199], v[200:201], v[196:197]
	scratch_load_dwordx4 v[200:203], off, off ; 16-byte Folded Reload
	s_waitcnt vmcnt(0)
	v_add_f64 v[200:201], v[200:201], -v[144:145]
	v_add_f64 v[202:203], v[202:203], -v[198:199]
	v_mov_b64_e32 v[144:145], v[184:185]
	scratch_store_dwordx4 off, v[200:203], off ; 16-byte Folded Spill
	s_nop 1
	v_mov_b64_e32 v[202:203], v[196:197]
	scratch_store_dwordx4 off, v[202:205], off offset:80 ; 16-byte Folded Spill
.LBB97_109:
	s_or_b64 exec, exec, s[2:3]
	v_cmp_eq_u32_e32 vcc, 12, v214
	s_barrier
	s_and_saveexec_b64 s[4:5], vcc
	s_cbranch_execz .LBB97_116
; %bb.110:
	scratch_load_dwordx4 v[196:199], off, off offset:64 ; 16-byte Folded Reload
	s_waitcnt vmcnt(0)
	ds_write2_b64 v215, v[196:197], v[198:199] offset1:1
	scratch_load_dwordx4 v[196:199], off, off offset:48 ; 16-byte Folded Reload
	s_waitcnt vmcnt(0)
	ds_write2_b64 v213, v[196:197], v[198:199] offset0:26 offset1:27
	scratch_load_dwordx4 v[196:199], off, off offset:32 ; 16-byte Folded Reload
	s_waitcnt vmcnt(0)
	ds_write2_b64 v213, v[196:197], v[198:199] offset0:28 offset1:29
	;; [unrolled: 3-line block ×3, first 2 shown]
	ds_write2_b64 v213, v[244:245], v[246:247] offset0:32 offset1:33
	ds_write2_b64 v213, v[192:193], v[194:195] offset0:34 offset1:35
	;; [unrolled: 1-line block ×32, first 2 shown]
	scratch_load_dwordx4 v[196:199], off, off ; 16-byte Folded Reload
	s_waitcnt vmcnt(0)
	ds_write2_b64 v213, v[196:197], v[198:199] offset0:96 offset1:97
	ds_read2_b64 v[196:199], v215 offset1:1
	s_waitcnt lgkmcnt(0)
	v_cmp_neq_f64_e32 vcc, 0, v[196:197]
	v_cmp_neq_f64_e64 s[2:3], 0, v[198:199]
	s_or_b64 s[2:3], vcc, s[2:3]
	s_and_b64 exec, exec, s[2:3]
	s_cbranch_execz .LBB97_116
; %bb.111:
	v_cmp_ngt_f64_e64 s[2:3], |v[196:197]|, |v[198:199]|
                                        ; implicit-def: $vgpr200_vgpr201
	s_and_saveexec_b64 s[10:11], s[2:3]
	s_xor_b64 s[2:3], exec, s[10:11]
                                        ; implicit-def: $vgpr202_vgpr203
	s_cbranch_execz .LBB97_113
; %bb.112:
	v_div_scale_f64 v[200:201], s[10:11], v[198:199], v[198:199], v[196:197]
	v_rcp_f64_e32 v[202:203], v[200:201]
	v_div_scale_f64 v[204:205], vcc, v[196:197], v[198:199], v[196:197]
	v_fma_f64 v[206:207], -v[200:201], v[202:203], 1.0
	v_fmac_f64_e32 v[202:203], v[202:203], v[206:207]
	v_fma_f64 v[206:207], -v[200:201], v[202:203], 1.0
	v_fmac_f64_e32 v[202:203], v[202:203], v[206:207]
	v_mul_f64 v[206:207], v[204:205], v[202:203]
	v_fma_f64 v[200:201], -v[200:201], v[206:207], v[204:205]
	v_div_fmas_f64 v[200:201], v[200:201], v[202:203], v[206:207]
	v_div_fixup_f64 v[200:201], v[200:201], v[198:199], v[196:197]
	v_fmac_f64_e32 v[198:199], v[196:197], v[200:201]
	v_div_scale_f64 v[196:197], s[10:11], v[198:199], v[198:199], 1.0
	v_rcp_f64_e32 v[202:203], v[196:197]
	s_nop 0
	v_fma_f64 v[204:205], -v[196:197], v[202:203], 1.0
	v_fmac_f64_e32 v[202:203], v[202:203], v[204:205]
	v_fma_f64 v[204:205], -v[196:197], v[202:203], 1.0
	v_fmac_f64_e32 v[202:203], v[202:203], v[204:205]
	v_div_scale_f64 v[204:205], vcc, 1.0, v[198:199], 1.0
	v_mul_f64 v[206:207], v[204:205], v[202:203]
	v_fma_f64 v[196:197], -v[196:197], v[206:207], v[204:205]
	s_nop 1
	v_div_fmas_f64 v[196:197], v[196:197], v[202:203], v[206:207]
	v_div_fixup_f64 v[202:203], v[196:197], v[198:199], 1.0
	v_mul_f64 v[200:201], v[200:201], v[202:203]
	v_xor_b32_e32 v203, 0x80000000, v203
                                        ; implicit-def: $vgpr196_vgpr197
.LBB97_113:
	s_andn2_saveexec_b64 s[2:3], s[2:3]
	s_cbranch_execz .LBB97_115
; %bb.114:
	v_div_scale_f64 v[200:201], s[10:11], v[196:197], v[196:197], v[198:199]
	v_rcp_f64_e32 v[202:203], v[200:201]
	v_div_scale_f64 v[204:205], vcc, v[198:199], v[196:197], v[198:199]
	v_fma_f64 v[206:207], -v[200:201], v[202:203], 1.0
	v_fmac_f64_e32 v[202:203], v[202:203], v[206:207]
	v_fma_f64 v[206:207], -v[200:201], v[202:203], 1.0
	v_fmac_f64_e32 v[202:203], v[202:203], v[206:207]
	v_mul_f64 v[206:207], v[204:205], v[202:203]
	v_fma_f64 v[200:201], -v[200:201], v[206:207], v[204:205]
	v_div_fmas_f64 v[200:201], v[200:201], v[202:203], v[206:207]
	v_div_fixup_f64 v[202:203], v[200:201], v[196:197], v[198:199]
	v_fmac_f64_e32 v[196:197], v[198:199], v[202:203]
	v_div_scale_f64 v[198:199], s[10:11], v[196:197], v[196:197], 1.0
	v_rcp_f64_e32 v[200:201], v[198:199]
	s_nop 0
	v_fma_f64 v[204:205], -v[198:199], v[200:201], 1.0
	v_fmac_f64_e32 v[200:201], v[200:201], v[204:205]
	v_fma_f64 v[204:205], -v[198:199], v[200:201], 1.0
	v_fmac_f64_e32 v[200:201], v[200:201], v[204:205]
	v_div_scale_f64 v[204:205], vcc, 1.0, v[196:197], 1.0
	v_mul_f64 v[206:207], v[204:205], v[200:201]
	v_fma_f64 v[198:199], -v[198:199], v[206:207], v[204:205]
	s_nop 1
	v_div_fmas_f64 v[198:199], v[198:199], v[200:201], v[206:207]
	v_div_fixup_f64 v[200:201], v[198:199], v[196:197], 1.0
	v_mul_f64 v[202:203], v[202:203], -v[200:201]
.LBB97_115:
	s_or_b64 exec, exec, s[2:3]
	ds_write2_b64 v215, v[200:201], v[202:203] offset1:1
.LBB97_116:
	s_or_b64 exec, exec, s[4:5]
	s_waitcnt lgkmcnt(0)
	s_barrier
	ds_read2_b64 v[196:199], v215 offset1:1
	v_cmp_lt_u32_e32 vcc, 12, v214
	s_waitcnt lgkmcnt(0)
	scratch_store_dwordx4 off, v[196:199], off offset:488 ; 16-byte Folded Spill
	s_and_saveexec_b64 s[2:3], vcc
	s_cbranch_execz .LBB97_118
; %bb.117:
	scratch_load_dwordx4 v[202:205], off, off offset:64 ; 16-byte Folded Reload
	scratch_load_dwordx4 v[198:201], off, off offset:488 ; 16-byte Folded Reload
	v_mov_b64_e32 v[184:185], v[140:141]
	s_waitcnt vmcnt(0)
	v_mul_f64 v[196:197], v[200:201], v[204:205]
	v_mul_f64 v[204:205], v[198:199], v[204:205]
	v_fma_f64 v[196:197], v[198:199], v[202:203], -v[196:197]
	v_fmac_f64_e32 v[204:205], v[200:201], v[202:203]
	ds_read2_b64 v[198:201], v213 offset0:26 offset1:27
	s_waitcnt lgkmcnt(0)
	v_mul_f64 v[140:141], v[200:201], v[204:205]
	v_fma_f64 v[140:141], v[198:199], v[196:197], -v[140:141]
	v_mul_f64 v[198:199], v[198:199], v[204:205]
	v_fmac_f64_e32 v[198:199], v[200:201], v[196:197]
	scratch_load_dwordx4 v[200:203], off, off offset:48 ; 16-byte Folded Reload
	s_waitcnt vmcnt(0)
	v_add_f64 v[200:201], v[200:201], -v[140:141]
	v_add_f64 v[202:203], v[202:203], -v[198:199]
	scratch_store_dwordx4 off, v[200:203], off offset:48 ; 16-byte Folded Spill
	ds_read2_b64 v[198:201], v213 offset0:28 offset1:29
	s_waitcnt lgkmcnt(0)
	v_mul_f64 v[140:141], v[200:201], v[204:205]
	v_fma_f64 v[140:141], v[198:199], v[196:197], -v[140:141]
	v_mul_f64 v[198:199], v[198:199], v[204:205]
	v_fmac_f64_e32 v[198:199], v[200:201], v[196:197]
	scratch_load_dwordx4 v[200:203], off, off offset:32 ; 16-byte Folded Reload
	s_waitcnt vmcnt(0)
	v_add_f64 v[200:201], v[200:201], -v[140:141]
	v_add_f64 v[202:203], v[202:203], -v[198:199]
	scratch_store_dwordx4 off, v[200:203], off offset:32 ; 16-byte Folded Spill
	;; [unrolled: 11-line block ×3, first 2 shown]
	ds_read2_b64 v[198:201], v213 offset0:32 offset1:33
	s_waitcnt lgkmcnt(0)
	v_mul_f64 v[140:141], v[200:201], v[204:205]
	v_fma_f64 v[140:141], v[198:199], v[196:197], -v[140:141]
	v_mul_f64 v[198:199], v[198:199], v[204:205]
	v_fmac_f64_e32 v[198:199], v[200:201], v[196:197]
	v_add_f64 v[246:247], v[246:247], -v[198:199]
	ds_read2_b64 v[198:201], v213 offset0:34 offset1:35
	v_add_f64 v[244:245], v[244:245], -v[140:141]
	s_waitcnt lgkmcnt(0)
	v_mul_f64 v[140:141], v[200:201], v[204:205]
	v_fma_f64 v[140:141], v[198:199], v[196:197], -v[140:141]
	v_mul_f64 v[198:199], v[198:199], v[204:205]
	v_fmac_f64_e32 v[198:199], v[200:201], v[196:197]
	v_add_f64 v[194:195], v[194:195], -v[198:199]
	ds_read2_b64 v[198:201], v213 offset0:36 offset1:37
	v_add_f64 v[192:193], v[192:193], -v[140:141]
	;; [unrolled: 8-line block ×32, first 2 shown]
	s_waitcnt lgkmcnt(0)
	v_mul_f64 v[140:141], v[200:201], v[204:205]
	v_fma_f64 v[140:141], v[198:199], v[196:197], -v[140:141]
	v_mul_f64 v[198:199], v[198:199], v[204:205]
	v_fmac_f64_e32 v[198:199], v[200:201], v[196:197]
	scratch_load_dwordx4 v[200:203], off, off ; 16-byte Folded Reload
	s_waitcnt vmcnt(0)
	v_add_f64 v[200:201], v[200:201], -v[140:141]
	v_add_f64 v[202:203], v[202:203], -v[198:199]
	v_mov_b64_e32 v[140:141], v[184:185]
	scratch_store_dwordx4 off, v[200:203], off ; 16-byte Folded Spill
	s_nop 1
	v_mov_b64_e32 v[202:203], v[196:197]
	scratch_store_dwordx4 off, v[202:205], off offset:64 ; 16-byte Folded Spill
.LBB97_118:
	s_or_b64 exec, exec, s[2:3]
	v_cmp_eq_u32_e32 vcc, 13, v214
	s_barrier
	s_and_saveexec_b64 s[4:5], vcc
	s_cbranch_execz .LBB97_125
; %bb.119:
	scratch_load_dwordx4 v[196:199], off, off offset:48 ; 16-byte Folded Reload
	s_waitcnt vmcnt(0)
	ds_write2_b64 v215, v[196:197], v[198:199] offset1:1
	scratch_load_dwordx4 v[196:199], off, off offset:32 ; 16-byte Folded Reload
	s_waitcnt vmcnt(0)
	ds_write2_b64 v213, v[196:197], v[198:199] offset0:28 offset1:29
	scratch_load_dwordx4 v[196:199], off, off offset:16 ; 16-byte Folded Reload
	s_waitcnt vmcnt(0)
	ds_write2_b64 v213, v[196:197], v[198:199] offset0:30 offset1:31
	ds_write2_b64 v213, v[244:245], v[246:247] offset0:32 offset1:33
	;; [unrolled: 1-line block ×33, first 2 shown]
	scratch_load_dwordx4 v[196:199], off, off ; 16-byte Folded Reload
	s_waitcnt vmcnt(0)
	ds_write2_b64 v213, v[196:197], v[198:199] offset0:96 offset1:97
	ds_read2_b64 v[196:199], v215 offset1:1
	s_waitcnt lgkmcnt(0)
	v_cmp_neq_f64_e32 vcc, 0, v[196:197]
	v_cmp_neq_f64_e64 s[2:3], 0, v[198:199]
	s_or_b64 s[2:3], vcc, s[2:3]
	s_and_b64 exec, exec, s[2:3]
	s_cbranch_execz .LBB97_125
; %bb.120:
	v_cmp_ngt_f64_e64 s[2:3], |v[196:197]|, |v[198:199]|
                                        ; implicit-def: $vgpr200_vgpr201
	s_and_saveexec_b64 s[10:11], s[2:3]
	s_xor_b64 s[2:3], exec, s[10:11]
                                        ; implicit-def: $vgpr202_vgpr203
	s_cbranch_execz .LBB97_122
; %bb.121:
	v_div_scale_f64 v[200:201], s[10:11], v[198:199], v[198:199], v[196:197]
	v_rcp_f64_e32 v[202:203], v[200:201]
	v_div_scale_f64 v[204:205], vcc, v[196:197], v[198:199], v[196:197]
	v_fma_f64 v[206:207], -v[200:201], v[202:203], 1.0
	v_fmac_f64_e32 v[202:203], v[202:203], v[206:207]
	v_fma_f64 v[206:207], -v[200:201], v[202:203], 1.0
	v_fmac_f64_e32 v[202:203], v[202:203], v[206:207]
	v_mul_f64 v[206:207], v[204:205], v[202:203]
	v_fma_f64 v[200:201], -v[200:201], v[206:207], v[204:205]
	v_div_fmas_f64 v[200:201], v[200:201], v[202:203], v[206:207]
	v_div_fixup_f64 v[200:201], v[200:201], v[198:199], v[196:197]
	v_fmac_f64_e32 v[198:199], v[196:197], v[200:201]
	v_div_scale_f64 v[196:197], s[10:11], v[198:199], v[198:199], 1.0
	v_rcp_f64_e32 v[202:203], v[196:197]
	s_nop 0
	v_fma_f64 v[204:205], -v[196:197], v[202:203], 1.0
	v_fmac_f64_e32 v[202:203], v[202:203], v[204:205]
	v_fma_f64 v[204:205], -v[196:197], v[202:203], 1.0
	v_fmac_f64_e32 v[202:203], v[202:203], v[204:205]
	v_div_scale_f64 v[204:205], vcc, 1.0, v[198:199], 1.0
	v_mul_f64 v[206:207], v[204:205], v[202:203]
	v_fma_f64 v[196:197], -v[196:197], v[206:207], v[204:205]
	s_nop 1
	v_div_fmas_f64 v[196:197], v[196:197], v[202:203], v[206:207]
	v_div_fixup_f64 v[202:203], v[196:197], v[198:199], 1.0
	v_mul_f64 v[200:201], v[200:201], v[202:203]
	v_xor_b32_e32 v203, 0x80000000, v203
                                        ; implicit-def: $vgpr196_vgpr197
.LBB97_122:
	s_andn2_saveexec_b64 s[2:3], s[2:3]
	s_cbranch_execz .LBB97_124
; %bb.123:
	v_div_scale_f64 v[200:201], s[10:11], v[196:197], v[196:197], v[198:199]
	v_rcp_f64_e32 v[202:203], v[200:201]
	v_div_scale_f64 v[204:205], vcc, v[198:199], v[196:197], v[198:199]
	v_fma_f64 v[206:207], -v[200:201], v[202:203], 1.0
	v_fmac_f64_e32 v[202:203], v[202:203], v[206:207]
	v_fma_f64 v[206:207], -v[200:201], v[202:203], 1.0
	v_fmac_f64_e32 v[202:203], v[202:203], v[206:207]
	v_mul_f64 v[206:207], v[204:205], v[202:203]
	v_fma_f64 v[200:201], -v[200:201], v[206:207], v[204:205]
	v_div_fmas_f64 v[200:201], v[200:201], v[202:203], v[206:207]
	v_div_fixup_f64 v[202:203], v[200:201], v[196:197], v[198:199]
	v_fmac_f64_e32 v[196:197], v[198:199], v[202:203]
	v_div_scale_f64 v[198:199], s[10:11], v[196:197], v[196:197], 1.0
	v_rcp_f64_e32 v[200:201], v[198:199]
	s_nop 0
	v_fma_f64 v[204:205], -v[198:199], v[200:201], 1.0
	v_fmac_f64_e32 v[200:201], v[200:201], v[204:205]
	v_fma_f64 v[204:205], -v[198:199], v[200:201], 1.0
	v_fmac_f64_e32 v[200:201], v[200:201], v[204:205]
	v_div_scale_f64 v[204:205], vcc, 1.0, v[196:197], 1.0
	v_mul_f64 v[206:207], v[204:205], v[200:201]
	v_fma_f64 v[198:199], -v[198:199], v[206:207], v[204:205]
	s_nop 1
	v_div_fmas_f64 v[198:199], v[198:199], v[200:201], v[206:207]
	v_div_fixup_f64 v[200:201], v[198:199], v[196:197], 1.0
	v_mul_f64 v[202:203], v[202:203], -v[200:201]
.LBB97_124:
	s_or_b64 exec, exec, s[2:3]
	ds_write2_b64 v215, v[200:201], v[202:203] offset1:1
.LBB97_125:
	s_or_b64 exec, exec, s[4:5]
	s_waitcnt lgkmcnt(0)
	s_barrier
	ds_read2_b64 v[196:199], v215 offset1:1
	v_cmp_lt_u32_e32 vcc, 13, v214
	s_waitcnt lgkmcnt(0)
	scratch_store_dwordx4 off, v[196:199], off offset:504 ; 16-byte Folded Spill
	s_and_saveexec_b64 s[2:3], vcc
	s_cbranch_execz .LBB97_127
; %bb.126:
	scratch_load_dwordx4 v[202:205], off, off offset:48 ; 16-byte Folded Reload
	scratch_load_dwordx4 v[198:201], off, off offset:504 ; 16-byte Folded Reload
	v_mov_b64_e32 v[184:185], v[136:137]
	s_waitcnt vmcnt(0)
	v_mul_f64 v[196:197], v[200:201], v[204:205]
	v_mul_f64 v[204:205], v[198:199], v[204:205]
	v_fma_f64 v[196:197], v[198:199], v[202:203], -v[196:197]
	v_fmac_f64_e32 v[204:205], v[200:201], v[202:203]
	ds_read2_b64 v[198:201], v213 offset0:28 offset1:29
	s_waitcnt lgkmcnt(0)
	v_mul_f64 v[136:137], v[200:201], v[204:205]
	v_fma_f64 v[136:137], v[198:199], v[196:197], -v[136:137]
	v_mul_f64 v[198:199], v[198:199], v[204:205]
	v_fmac_f64_e32 v[198:199], v[200:201], v[196:197]
	scratch_load_dwordx4 v[200:203], off, off offset:32 ; 16-byte Folded Reload
	s_waitcnt vmcnt(0)
	v_add_f64 v[200:201], v[200:201], -v[136:137]
	v_add_f64 v[202:203], v[202:203], -v[198:199]
	scratch_store_dwordx4 off, v[200:203], off offset:32 ; 16-byte Folded Spill
	ds_read2_b64 v[198:201], v213 offset0:30 offset1:31
	s_waitcnt lgkmcnt(0)
	v_mul_f64 v[136:137], v[200:201], v[204:205]
	v_fma_f64 v[136:137], v[198:199], v[196:197], -v[136:137]
	v_mul_f64 v[198:199], v[198:199], v[204:205]
	v_fmac_f64_e32 v[198:199], v[200:201], v[196:197]
	scratch_load_dwordx4 v[200:203], off, off offset:16 ; 16-byte Folded Reload
	s_waitcnt vmcnt(0)
	v_add_f64 v[200:201], v[200:201], -v[136:137]
	v_add_f64 v[202:203], v[202:203], -v[198:199]
	scratch_store_dwordx4 off, v[200:203], off offset:16 ; 16-byte Folded Spill
	ds_read2_b64 v[198:201], v213 offset0:32 offset1:33
	s_waitcnt lgkmcnt(0)
	v_mul_f64 v[136:137], v[200:201], v[204:205]
	v_fma_f64 v[136:137], v[198:199], v[196:197], -v[136:137]
	v_mul_f64 v[198:199], v[198:199], v[204:205]
	v_fmac_f64_e32 v[198:199], v[200:201], v[196:197]
	v_add_f64 v[246:247], v[246:247], -v[198:199]
	ds_read2_b64 v[198:201], v213 offset0:34 offset1:35
	v_add_f64 v[244:245], v[244:245], -v[136:137]
	s_waitcnt lgkmcnt(0)
	v_mul_f64 v[136:137], v[200:201], v[204:205]
	v_fma_f64 v[136:137], v[198:199], v[196:197], -v[136:137]
	v_mul_f64 v[198:199], v[198:199], v[204:205]
	v_fmac_f64_e32 v[198:199], v[200:201], v[196:197]
	v_add_f64 v[194:195], v[194:195], -v[198:199]
	ds_read2_b64 v[198:201], v213 offset0:36 offset1:37
	v_add_f64 v[192:193], v[192:193], -v[136:137]
	;; [unrolled: 8-line block ×32, first 2 shown]
	s_waitcnt lgkmcnt(0)
	v_mul_f64 v[136:137], v[200:201], v[204:205]
	v_fma_f64 v[136:137], v[198:199], v[196:197], -v[136:137]
	v_mul_f64 v[198:199], v[198:199], v[204:205]
	v_fmac_f64_e32 v[198:199], v[200:201], v[196:197]
	scratch_load_dwordx4 v[200:203], off, off ; 16-byte Folded Reload
	s_waitcnt vmcnt(0)
	v_add_f64 v[200:201], v[200:201], -v[136:137]
	v_add_f64 v[202:203], v[202:203], -v[198:199]
	v_mov_b64_e32 v[136:137], v[184:185]
	scratch_store_dwordx4 off, v[200:203], off ; 16-byte Folded Spill
	s_nop 1
	v_mov_b64_e32 v[202:203], v[196:197]
	scratch_store_dwordx4 off, v[202:205], off offset:48 ; 16-byte Folded Spill
.LBB97_127:
	s_or_b64 exec, exec, s[2:3]
	v_cmp_eq_u32_e32 vcc, 14, v214
	s_barrier
	s_and_saveexec_b64 s[4:5], vcc
	s_cbranch_execz .LBB97_134
; %bb.128:
	scratch_load_dwordx4 v[196:199], off, off offset:32 ; 16-byte Folded Reload
	s_waitcnt vmcnt(0)
	ds_write2_b64 v215, v[196:197], v[198:199] offset1:1
	scratch_load_dwordx4 v[196:199], off, off offset:16 ; 16-byte Folded Reload
	s_waitcnt vmcnt(0)
	ds_write2_b64 v213, v[196:197], v[198:199] offset0:30 offset1:31
	ds_write2_b64 v213, v[244:245], v[246:247] offset0:32 offset1:33
	;; [unrolled: 1-line block ×33, first 2 shown]
	scratch_load_dwordx4 v[196:199], off, off ; 16-byte Folded Reload
	s_waitcnt vmcnt(0)
	ds_write2_b64 v213, v[196:197], v[198:199] offset0:96 offset1:97
	ds_read2_b64 v[196:199], v215 offset1:1
	s_waitcnt lgkmcnt(0)
	v_cmp_neq_f64_e32 vcc, 0, v[196:197]
	v_cmp_neq_f64_e64 s[2:3], 0, v[198:199]
	s_or_b64 s[2:3], vcc, s[2:3]
	s_and_b64 exec, exec, s[2:3]
	s_cbranch_execz .LBB97_134
; %bb.129:
	v_cmp_ngt_f64_e64 s[2:3], |v[196:197]|, |v[198:199]|
                                        ; implicit-def: $vgpr200_vgpr201
	s_and_saveexec_b64 s[10:11], s[2:3]
	s_xor_b64 s[2:3], exec, s[10:11]
                                        ; implicit-def: $vgpr202_vgpr203
	s_cbranch_execz .LBB97_131
; %bb.130:
	v_div_scale_f64 v[200:201], s[10:11], v[198:199], v[198:199], v[196:197]
	v_rcp_f64_e32 v[202:203], v[200:201]
	v_div_scale_f64 v[204:205], vcc, v[196:197], v[198:199], v[196:197]
	v_fma_f64 v[206:207], -v[200:201], v[202:203], 1.0
	v_fmac_f64_e32 v[202:203], v[202:203], v[206:207]
	v_fma_f64 v[206:207], -v[200:201], v[202:203], 1.0
	v_fmac_f64_e32 v[202:203], v[202:203], v[206:207]
	v_mul_f64 v[206:207], v[204:205], v[202:203]
	v_fma_f64 v[200:201], -v[200:201], v[206:207], v[204:205]
	v_div_fmas_f64 v[200:201], v[200:201], v[202:203], v[206:207]
	v_div_fixup_f64 v[200:201], v[200:201], v[198:199], v[196:197]
	v_fmac_f64_e32 v[198:199], v[196:197], v[200:201]
	v_div_scale_f64 v[196:197], s[10:11], v[198:199], v[198:199], 1.0
	v_rcp_f64_e32 v[202:203], v[196:197]
	s_nop 0
	v_fma_f64 v[204:205], -v[196:197], v[202:203], 1.0
	v_fmac_f64_e32 v[202:203], v[202:203], v[204:205]
	v_fma_f64 v[204:205], -v[196:197], v[202:203], 1.0
	v_fmac_f64_e32 v[202:203], v[202:203], v[204:205]
	v_div_scale_f64 v[204:205], vcc, 1.0, v[198:199], 1.0
	v_mul_f64 v[206:207], v[204:205], v[202:203]
	v_fma_f64 v[196:197], -v[196:197], v[206:207], v[204:205]
	s_nop 1
	v_div_fmas_f64 v[196:197], v[196:197], v[202:203], v[206:207]
	v_div_fixup_f64 v[202:203], v[196:197], v[198:199], 1.0
	v_mul_f64 v[200:201], v[200:201], v[202:203]
	v_xor_b32_e32 v203, 0x80000000, v203
                                        ; implicit-def: $vgpr196_vgpr197
.LBB97_131:
	s_andn2_saveexec_b64 s[2:3], s[2:3]
	s_cbranch_execz .LBB97_133
; %bb.132:
	v_div_scale_f64 v[200:201], s[10:11], v[196:197], v[196:197], v[198:199]
	v_rcp_f64_e32 v[202:203], v[200:201]
	v_div_scale_f64 v[204:205], vcc, v[198:199], v[196:197], v[198:199]
	v_fma_f64 v[206:207], -v[200:201], v[202:203], 1.0
	v_fmac_f64_e32 v[202:203], v[202:203], v[206:207]
	v_fma_f64 v[206:207], -v[200:201], v[202:203], 1.0
	v_fmac_f64_e32 v[202:203], v[202:203], v[206:207]
	v_mul_f64 v[206:207], v[204:205], v[202:203]
	v_fma_f64 v[200:201], -v[200:201], v[206:207], v[204:205]
	v_div_fmas_f64 v[200:201], v[200:201], v[202:203], v[206:207]
	v_div_fixup_f64 v[202:203], v[200:201], v[196:197], v[198:199]
	v_fmac_f64_e32 v[196:197], v[198:199], v[202:203]
	v_div_scale_f64 v[198:199], s[10:11], v[196:197], v[196:197], 1.0
	v_rcp_f64_e32 v[200:201], v[198:199]
	s_nop 0
	v_fma_f64 v[204:205], -v[198:199], v[200:201], 1.0
	v_fmac_f64_e32 v[200:201], v[200:201], v[204:205]
	v_fma_f64 v[204:205], -v[198:199], v[200:201], 1.0
	v_fmac_f64_e32 v[200:201], v[200:201], v[204:205]
	v_div_scale_f64 v[204:205], vcc, 1.0, v[196:197], 1.0
	v_mul_f64 v[206:207], v[204:205], v[200:201]
	v_fma_f64 v[198:199], -v[198:199], v[206:207], v[204:205]
	s_nop 1
	v_div_fmas_f64 v[198:199], v[198:199], v[200:201], v[206:207]
	v_div_fixup_f64 v[200:201], v[198:199], v[196:197], 1.0
	v_mul_f64 v[202:203], v[202:203], -v[200:201]
.LBB97_133:
	s_or_b64 exec, exec, s[2:3]
	ds_write2_b64 v215, v[200:201], v[202:203] offset1:1
.LBB97_134:
	s_or_b64 exec, exec, s[4:5]
	s_waitcnt lgkmcnt(0)
	s_barrier
	ds_read2_b64 v[196:199], v215 offset1:1
	v_cmp_lt_u32_e32 vcc, 14, v214
	s_waitcnt lgkmcnt(0)
	scratch_store_dwordx4 off, v[196:199], off offset:520 ; 16-byte Folded Spill
	s_and_saveexec_b64 s[2:3], vcc
	s_cbranch_execz .LBB97_136
; %bb.135:
	scratch_load_dwordx4 v[202:205], off, off offset:32 ; 16-byte Folded Reload
	scratch_load_dwordx4 v[198:201], off, off offset:520 ; 16-byte Folded Reload
	v_mov_b64_e32 v[184:185], v[132:133]
	s_waitcnt vmcnt(0)
	v_mul_f64 v[196:197], v[200:201], v[204:205]
	v_mul_f64 v[204:205], v[198:199], v[204:205]
	v_fma_f64 v[196:197], v[198:199], v[202:203], -v[196:197]
	v_fmac_f64_e32 v[204:205], v[200:201], v[202:203]
	ds_read2_b64 v[198:201], v213 offset0:30 offset1:31
	s_waitcnt lgkmcnt(0)
	v_mul_f64 v[132:133], v[200:201], v[204:205]
	v_fma_f64 v[132:133], v[198:199], v[196:197], -v[132:133]
	v_mul_f64 v[198:199], v[198:199], v[204:205]
	v_fmac_f64_e32 v[198:199], v[200:201], v[196:197]
	scratch_load_dwordx4 v[200:203], off, off offset:16 ; 16-byte Folded Reload
	s_waitcnt vmcnt(0)
	v_add_f64 v[200:201], v[200:201], -v[132:133]
	v_add_f64 v[202:203], v[202:203], -v[198:199]
	scratch_store_dwordx4 off, v[200:203], off offset:16 ; 16-byte Folded Spill
	ds_read2_b64 v[198:201], v213 offset0:32 offset1:33
	s_waitcnt lgkmcnt(0)
	v_mul_f64 v[132:133], v[200:201], v[204:205]
	v_fma_f64 v[132:133], v[198:199], v[196:197], -v[132:133]
	v_mul_f64 v[198:199], v[198:199], v[204:205]
	v_fmac_f64_e32 v[198:199], v[200:201], v[196:197]
	v_add_f64 v[246:247], v[246:247], -v[198:199]
	ds_read2_b64 v[198:201], v213 offset0:34 offset1:35
	v_add_f64 v[244:245], v[244:245], -v[132:133]
	s_waitcnt lgkmcnt(0)
	v_mul_f64 v[132:133], v[200:201], v[204:205]
	v_fma_f64 v[132:133], v[198:199], v[196:197], -v[132:133]
	v_mul_f64 v[198:199], v[198:199], v[204:205]
	v_fmac_f64_e32 v[198:199], v[200:201], v[196:197]
	v_add_f64 v[194:195], v[194:195], -v[198:199]
	ds_read2_b64 v[198:201], v213 offset0:36 offset1:37
	v_add_f64 v[192:193], v[192:193], -v[132:133]
	s_waitcnt lgkmcnt(0)
	v_mul_f64 v[132:133], v[200:201], v[204:205]
	v_fma_f64 v[132:133], v[198:199], v[196:197], -v[132:133]
	v_mul_f64 v[198:199], v[198:199], v[204:205]
	v_fmac_f64_e32 v[198:199], v[200:201], v[196:197]
	v_add_f64 v[228:229], v[228:229], -v[198:199]
	ds_read2_b64 v[198:201], v213 offset0:38 offset1:39
	v_add_f64 v[226:227], v[226:227], -v[132:133]
	s_waitcnt lgkmcnt(0)
	v_mul_f64 v[132:133], v[200:201], v[204:205]
	v_fma_f64 v[132:133], v[198:199], v[196:197], -v[132:133]
	v_mul_f64 v[198:199], v[198:199], v[204:205]
	v_fmac_f64_e32 v[198:199], v[200:201], v[196:197]
	v_add_f64 v[242:243], v[242:243], -v[198:199]
	ds_read2_b64 v[198:201], v213 offset0:40 offset1:41
	v_add_f64 v[240:241], v[240:241], -v[132:133]
	s_waitcnt lgkmcnt(0)
	v_mul_f64 v[132:133], v[200:201], v[204:205]
	v_fma_f64 v[132:133], v[198:199], v[196:197], -v[132:133]
	v_mul_f64 v[198:199], v[198:199], v[204:205]
	v_fmac_f64_e32 v[198:199], v[200:201], v[196:197]
	v_add_f64 v[110:111], v[110:111], -v[198:199]
	ds_read2_b64 v[198:201], v213 offset0:42 offset1:43
	v_add_f64 v[108:109], v[108:109], -v[132:133]
	s_waitcnt lgkmcnt(0)
	v_mul_f64 v[132:133], v[200:201], v[204:205]
	v_fma_f64 v[132:133], v[198:199], v[196:197], -v[132:133]
	v_mul_f64 v[198:199], v[198:199], v[204:205]
	v_fmac_f64_e32 v[198:199], v[200:201], v[196:197]
	v_add_f64 v[106:107], v[106:107], -v[198:199]
	ds_read2_b64 v[198:201], v213 offset0:44 offset1:45
	v_add_f64 v[104:105], v[104:105], -v[132:133]
	s_waitcnt lgkmcnt(0)
	v_mul_f64 v[132:133], v[200:201], v[204:205]
	v_fma_f64 v[132:133], v[198:199], v[196:197], -v[132:133]
	v_mul_f64 v[198:199], v[198:199], v[204:205]
	v_fmac_f64_e32 v[198:199], v[200:201], v[196:197]
	v_add_f64 v[102:103], v[102:103], -v[198:199]
	ds_read2_b64 v[198:201], v213 offset0:46 offset1:47
	v_add_f64 v[100:101], v[100:101], -v[132:133]
	s_waitcnt lgkmcnt(0)
	v_mul_f64 v[132:133], v[200:201], v[204:205]
	v_fma_f64 v[132:133], v[198:199], v[196:197], -v[132:133]
	v_mul_f64 v[198:199], v[198:199], v[204:205]
	v_fmac_f64_e32 v[198:199], v[200:201], v[196:197]
	v_add_f64 v[98:99], v[98:99], -v[198:199]
	ds_read2_b64 v[198:201], v213 offset0:48 offset1:49
	v_add_f64 v[96:97], v[96:97], -v[132:133]
	s_waitcnt lgkmcnt(0)
	v_mul_f64 v[132:133], v[200:201], v[204:205]
	v_fma_f64 v[132:133], v[198:199], v[196:197], -v[132:133]
	v_mul_f64 v[198:199], v[198:199], v[204:205]
	v_fmac_f64_e32 v[198:199], v[200:201], v[196:197]
	v_add_f64 v[94:95], v[94:95], -v[198:199]
	ds_read2_b64 v[198:201], v213 offset0:50 offset1:51
	v_add_f64 v[92:93], v[92:93], -v[132:133]
	s_waitcnt lgkmcnt(0)
	v_mul_f64 v[132:133], v[200:201], v[204:205]
	v_fma_f64 v[132:133], v[198:199], v[196:197], -v[132:133]
	v_mul_f64 v[198:199], v[198:199], v[204:205]
	v_fmac_f64_e32 v[198:199], v[200:201], v[196:197]
	v_add_f64 v[90:91], v[90:91], -v[198:199]
	ds_read2_b64 v[198:201], v213 offset0:52 offset1:53
	v_add_f64 v[88:89], v[88:89], -v[132:133]
	s_waitcnt lgkmcnt(0)
	v_mul_f64 v[132:133], v[200:201], v[204:205]
	v_fma_f64 v[132:133], v[198:199], v[196:197], -v[132:133]
	v_mul_f64 v[198:199], v[198:199], v[204:205]
	v_fmac_f64_e32 v[198:199], v[200:201], v[196:197]
	v_add_f64 v[86:87], v[86:87], -v[198:199]
	ds_read2_b64 v[198:201], v213 offset0:54 offset1:55
	v_add_f64 v[84:85], v[84:85], -v[132:133]
	s_waitcnt lgkmcnt(0)
	v_mul_f64 v[132:133], v[200:201], v[204:205]
	v_fma_f64 v[132:133], v[198:199], v[196:197], -v[132:133]
	v_mul_f64 v[198:199], v[198:199], v[204:205]
	v_fmac_f64_e32 v[198:199], v[200:201], v[196:197]
	v_add_f64 v[82:83], v[82:83], -v[198:199]
	ds_read2_b64 v[198:201], v213 offset0:56 offset1:57
	v_add_f64 v[80:81], v[80:81], -v[132:133]
	s_waitcnt lgkmcnt(0)
	v_mul_f64 v[132:133], v[200:201], v[204:205]
	v_fma_f64 v[132:133], v[198:199], v[196:197], -v[132:133]
	v_mul_f64 v[198:199], v[198:199], v[204:205]
	v_fmac_f64_e32 v[198:199], v[200:201], v[196:197]
	v_add_f64 v[78:79], v[78:79], -v[198:199]
	ds_read2_b64 v[198:201], v213 offset0:58 offset1:59
	v_add_f64 v[76:77], v[76:77], -v[132:133]
	s_waitcnt lgkmcnt(0)
	v_mul_f64 v[132:133], v[200:201], v[204:205]
	v_fma_f64 v[132:133], v[198:199], v[196:197], -v[132:133]
	v_mul_f64 v[198:199], v[198:199], v[204:205]
	v_fmac_f64_e32 v[198:199], v[200:201], v[196:197]
	v_add_f64 v[74:75], v[74:75], -v[198:199]
	ds_read2_b64 v[198:201], v213 offset0:60 offset1:61
	v_add_f64 v[72:73], v[72:73], -v[132:133]
	s_waitcnt lgkmcnt(0)
	v_mul_f64 v[132:133], v[200:201], v[204:205]
	v_fma_f64 v[132:133], v[198:199], v[196:197], -v[132:133]
	v_mul_f64 v[198:199], v[198:199], v[204:205]
	v_fmac_f64_e32 v[198:199], v[200:201], v[196:197]
	v_add_f64 v[70:71], v[70:71], -v[198:199]
	ds_read2_b64 v[198:201], v213 offset0:62 offset1:63
	v_add_f64 v[68:69], v[68:69], -v[132:133]
	s_waitcnt lgkmcnt(0)
	v_mul_f64 v[132:133], v[200:201], v[204:205]
	v_fma_f64 v[132:133], v[198:199], v[196:197], -v[132:133]
	v_mul_f64 v[198:199], v[198:199], v[204:205]
	v_fmac_f64_e32 v[198:199], v[200:201], v[196:197]
	v_add_f64 v[66:67], v[66:67], -v[198:199]
	ds_read2_b64 v[198:201], v213 offset0:64 offset1:65
	v_add_f64 v[64:65], v[64:65], -v[132:133]
	s_waitcnt lgkmcnt(0)
	v_mul_f64 v[132:133], v[200:201], v[204:205]
	v_fma_f64 v[132:133], v[198:199], v[196:197], -v[132:133]
	v_mul_f64 v[198:199], v[198:199], v[204:205]
	v_fmac_f64_e32 v[198:199], v[200:201], v[196:197]
	v_add_f64 v[62:63], v[62:63], -v[198:199]
	ds_read2_b64 v[198:201], v213 offset0:66 offset1:67
	v_add_f64 v[60:61], v[60:61], -v[132:133]
	s_waitcnt lgkmcnt(0)
	v_mul_f64 v[132:133], v[200:201], v[204:205]
	v_fma_f64 v[132:133], v[198:199], v[196:197], -v[132:133]
	v_mul_f64 v[198:199], v[198:199], v[204:205]
	v_fmac_f64_e32 v[198:199], v[200:201], v[196:197]
	v_add_f64 v[58:59], v[58:59], -v[198:199]
	ds_read2_b64 v[198:201], v213 offset0:68 offset1:69
	v_add_f64 v[56:57], v[56:57], -v[132:133]
	s_waitcnt lgkmcnt(0)
	v_mul_f64 v[132:133], v[200:201], v[204:205]
	v_fma_f64 v[132:133], v[198:199], v[196:197], -v[132:133]
	v_mul_f64 v[198:199], v[198:199], v[204:205]
	v_fmac_f64_e32 v[198:199], v[200:201], v[196:197]
	v_add_f64 v[54:55], v[54:55], -v[198:199]
	ds_read2_b64 v[198:201], v213 offset0:70 offset1:71
	v_add_f64 v[52:53], v[52:53], -v[132:133]
	s_waitcnt lgkmcnt(0)
	v_mul_f64 v[132:133], v[200:201], v[204:205]
	v_fma_f64 v[132:133], v[198:199], v[196:197], -v[132:133]
	v_mul_f64 v[198:199], v[198:199], v[204:205]
	v_fmac_f64_e32 v[198:199], v[200:201], v[196:197]
	v_add_f64 v[50:51], v[50:51], -v[198:199]
	ds_read2_b64 v[198:201], v213 offset0:72 offset1:73
	v_add_f64 v[48:49], v[48:49], -v[132:133]
	s_waitcnt lgkmcnt(0)
	v_mul_f64 v[132:133], v[200:201], v[204:205]
	v_fma_f64 v[132:133], v[198:199], v[196:197], -v[132:133]
	v_mul_f64 v[198:199], v[198:199], v[204:205]
	v_fmac_f64_e32 v[198:199], v[200:201], v[196:197]
	v_add_f64 v[46:47], v[46:47], -v[198:199]
	ds_read2_b64 v[198:201], v213 offset0:74 offset1:75
	v_add_f64 v[44:45], v[44:45], -v[132:133]
	s_waitcnt lgkmcnt(0)
	v_mul_f64 v[132:133], v[200:201], v[204:205]
	v_fma_f64 v[132:133], v[198:199], v[196:197], -v[132:133]
	v_mul_f64 v[198:199], v[198:199], v[204:205]
	v_fmac_f64_e32 v[198:199], v[200:201], v[196:197]
	v_add_f64 v[42:43], v[42:43], -v[198:199]
	ds_read2_b64 v[198:201], v213 offset0:76 offset1:77
	v_add_f64 v[40:41], v[40:41], -v[132:133]
	s_waitcnt lgkmcnt(0)
	v_mul_f64 v[132:133], v[200:201], v[204:205]
	v_fma_f64 v[132:133], v[198:199], v[196:197], -v[132:133]
	v_mul_f64 v[198:199], v[198:199], v[204:205]
	v_fmac_f64_e32 v[198:199], v[200:201], v[196:197]
	v_add_f64 v[38:39], v[38:39], -v[198:199]
	ds_read2_b64 v[198:201], v213 offset0:78 offset1:79
	v_add_f64 v[36:37], v[36:37], -v[132:133]
	s_waitcnt lgkmcnt(0)
	v_mul_f64 v[132:133], v[200:201], v[204:205]
	v_fma_f64 v[132:133], v[198:199], v[196:197], -v[132:133]
	v_mul_f64 v[198:199], v[198:199], v[204:205]
	v_fmac_f64_e32 v[198:199], v[200:201], v[196:197]
	v_add_f64 v[34:35], v[34:35], -v[198:199]
	ds_read2_b64 v[198:201], v213 offset0:80 offset1:81
	v_add_f64 v[32:33], v[32:33], -v[132:133]
	s_waitcnt lgkmcnt(0)
	v_mul_f64 v[132:133], v[200:201], v[204:205]
	v_fma_f64 v[132:133], v[198:199], v[196:197], -v[132:133]
	v_mul_f64 v[198:199], v[198:199], v[204:205]
	v_fmac_f64_e32 v[198:199], v[200:201], v[196:197]
	v_add_f64 v[30:31], v[30:31], -v[198:199]
	ds_read2_b64 v[198:201], v213 offset0:82 offset1:83
	v_add_f64 v[28:29], v[28:29], -v[132:133]
	s_waitcnt lgkmcnt(0)
	v_mul_f64 v[132:133], v[200:201], v[204:205]
	v_fma_f64 v[132:133], v[198:199], v[196:197], -v[132:133]
	v_mul_f64 v[198:199], v[198:199], v[204:205]
	v_fmac_f64_e32 v[198:199], v[200:201], v[196:197]
	v_add_f64 v[26:27], v[26:27], -v[198:199]
	ds_read2_b64 v[198:201], v213 offset0:84 offset1:85
	v_add_f64 v[24:25], v[24:25], -v[132:133]
	s_waitcnt lgkmcnt(0)
	v_mul_f64 v[132:133], v[200:201], v[204:205]
	v_fma_f64 v[132:133], v[198:199], v[196:197], -v[132:133]
	v_mul_f64 v[198:199], v[198:199], v[204:205]
	v_fmac_f64_e32 v[198:199], v[200:201], v[196:197]
	v_add_f64 v[22:23], v[22:23], -v[198:199]
	ds_read2_b64 v[198:201], v213 offset0:86 offset1:87
	v_add_f64 v[20:21], v[20:21], -v[132:133]
	s_waitcnt lgkmcnt(0)
	v_mul_f64 v[132:133], v[200:201], v[204:205]
	v_fma_f64 v[132:133], v[198:199], v[196:197], -v[132:133]
	v_mul_f64 v[198:199], v[198:199], v[204:205]
	v_fmac_f64_e32 v[198:199], v[200:201], v[196:197]
	v_add_f64 v[18:19], v[18:19], -v[198:199]
	ds_read2_b64 v[198:201], v213 offset0:88 offset1:89
	v_add_f64 v[16:17], v[16:17], -v[132:133]
	s_waitcnt lgkmcnt(0)
	v_mul_f64 v[132:133], v[200:201], v[204:205]
	v_fma_f64 v[132:133], v[198:199], v[196:197], -v[132:133]
	v_mul_f64 v[198:199], v[198:199], v[204:205]
	v_fmac_f64_e32 v[198:199], v[200:201], v[196:197]
	v_add_f64 v[14:15], v[14:15], -v[198:199]
	ds_read2_b64 v[198:201], v213 offset0:90 offset1:91
	v_add_f64 v[12:13], v[12:13], -v[132:133]
	s_waitcnt lgkmcnt(0)
	v_mul_f64 v[132:133], v[200:201], v[204:205]
	v_fma_f64 v[132:133], v[198:199], v[196:197], -v[132:133]
	v_mul_f64 v[198:199], v[198:199], v[204:205]
	v_fmac_f64_e32 v[198:199], v[200:201], v[196:197]
	v_add_f64 v[10:11], v[10:11], -v[198:199]
	ds_read2_b64 v[198:201], v213 offset0:92 offset1:93
	v_add_f64 v[8:9], v[8:9], -v[132:133]
	s_waitcnt lgkmcnt(0)
	v_mul_f64 v[132:133], v[200:201], v[204:205]
	v_fma_f64 v[132:133], v[198:199], v[196:197], -v[132:133]
	v_mul_f64 v[198:199], v[198:199], v[204:205]
	v_fmac_f64_e32 v[198:199], v[200:201], v[196:197]
	v_add_f64 v[6:7], v[6:7], -v[198:199]
	ds_read2_b64 v[198:201], v213 offset0:94 offset1:95
	v_add_f64 v[4:5], v[4:5], -v[132:133]
	s_waitcnt lgkmcnt(0)
	v_mul_f64 v[132:133], v[200:201], v[204:205]
	v_fma_f64 v[132:133], v[198:199], v[196:197], -v[132:133]
	v_mul_f64 v[198:199], v[198:199], v[204:205]
	v_fmac_f64_e32 v[198:199], v[200:201], v[196:197]
	v_add_f64 v[2:3], v[2:3], -v[198:199]
	ds_read2_b64 v[198:201], v213 offset0:96 offset1:97
	v_add_f64 v[0:1], v[0:1], -v[132:133]
	s_waitcnt lgkmcnt(0)
	v_mul_f64 v[132:133], v[200:201], v[204:205]
	v_fma_f64 v[132:133], v[198:199], v[196:197], -v[132:133]
	v_mul_f64 v[198:199], v[198:199], v[204:205]
	v_fmac_f64_e32 v[198:199], v[200:201], v[196:197]
	scratch_load_dwordx4 v[200:203], off, off ; 16-byte Folded Reload
	s_waitcnt vmcnt(0)
	v_add_f64 v[200:201], v[200:201], -v[132:133]
	v_add_f64 v[202:203], v[202:203], -v[198:199]
	v_mov_b64_e32 v[132:133], v[184:185]
	scratch_store_dwordx4 off, v[200:203], off ; 16-byte Folded Spill
	s_nop 1
	v_mov_b64_e32 v[202:203], v[196:197]
	scratch_store_dwordx4 off, v[202:205], off offset:32 ; 16-byte Folded Spill
.LBB97_136:
	s_or_b64 exec, exec, s[2:3]
	v_cmp_eq_u32_e32 vcc, 15, v214
	s_barrier
	s_and_saveexec_b64 s[4:5], vcc
	s_cbranch_execz .LBB97_143
; %bb.137:
	scratch_load_dwordx4 v[196:199], off, off offset:16 ; 16-byte Folded Reload
	s_waitcnt vmcnt(0)
	ds_write2_b64 v215, v[196:197], v[198:199] offset1:1
	ds_write2_b64 v213, v[244:245], v[246:247] offset0:32 offset1:33
	ds_write2_b64 v213, v[192:193], v[194:195] offset0:34 offset1:35
	;; [unrolled: 1-line block ×32, first 2 shown]
	scratch_load_dwordx4 v[196:199], off, off ; 16-byte Folded Reload
	s_waitcnt vmcnt(0)
	ds_write2_b64 v213, v[196:197], v[198:199] offset0:96 offset1:97
	ds_read2_b64 v[196:199], v215 offset1:1
	s_waitcnt lgkmcnt(0)
	v_cmp_neq_f64_e32 vcc, 0, v[196:197]
	v_cmp_neq_f64_e64 s[2:3], 0, v[198:199]
	s_or_b64 s[2:3], vcc, s[2:3]
	s_and_b64 exec, exec, s[2:3]
	s_cbranch_execz .LBB97_143
; %bb.138:
	v_cmp_ngt_f64_e64 s[2:3], |v[196:197]|, |v[198:199]|
                                        ; implicit-def: $vgpr200_vgpr201
	s_and_saveexec_b64 s[10:11], s[2:3]
	s_xor_b64 s[2:3], exec, s[10:11]
                                        ; implicit-def: $vgpr202_vgpr203
	s_cbranch_execz .LBB97_140
; %bb.139:
	v_div_scale_f64 v[200:201], s[10:11], v[198:199], v[198:199], v[196:197]
	v_rcp_f64_e32 v[202:203], v[200:201]
	v_div_scale_f64 v[204:205], vcc, v[196:197], v[198:199], v[196:197]
	v_fma_f64 v[206:207], -v[200:201], v[202:203], 1.0
	v_fmac_f64_e32 v[202:203], v[202:203], v[206:207]
	v_fma_f64 v[206:207], -v[200:201], v[202:203], 1.0
	v_fmac_f64_e32 v[202:203], v[202:203], v[206:207]
	v_mul_f64 v[206:207], v[204:205], v[202:203]
	v_fma_f64 v[200:201], -v[200:201], v[206:207], v[204:205]
	v_div_fmas_f64 v[200:201], v[200:201], v[202:203], v[206:207]
	v_div_fixup_f64 v[200:201], v[200:201], v[198:199], v[196:197]
	v_fmac_f64_e32 v[198:199], v[196:197], v[200:201]
	v_div_scale_f64 v[196:197], s[10:11], v[198:199], v[198:199], 1.0
	v_rcp_f64_e32 v[202:203], v[196:197]
	s_nop 0
	v_fma_f64 v[204:205], -v[196:197], v[202:203], 1.0
	v_fmac_f64_e32 v[202:203], v[202:203], v[204:205]
	v_fma_f64 v[204:205], -v[196:197], v[202:203], 1.0
	v_fmac_f64_e32 v[202:203], v[202:203], v[204:205]
	v_div_scale_f64 v[204:205], vcc, 1.0, v[198:199], 1.0
	v_mul_f64 v[206:207], v[204:205], v[202:203]
	v_fma_f64 v[196:197], -v[196:197], v[206:207], v[204:205]
	s_nop 1
	v_div_fmas_f64 v[196:197], v[196:197], v[202:203], v[206:207]
	v_div_fixup_f64 v[202:203], v[196:197], v[198:199], 1.0
	v_mul_f64 v[200:201], v[200:201], v[202:203]
	v_xor_b32_e32 v203, 0x80000000, v203
                                        ; implicit-def: $vgpr196_vgpr197
.LBB97_140:
	s_andn2_saveexec_b64 s[2:3], s[2:3]
	s_cbranch_execz .LBB97_142
; %bb.141:
	v_div_scale_f64 v[200:201], s[10:11], v[196:197], v[196:197], v[198:199]
	v_rcp_f64_e32 v[202:203], v[200:201]
	v_div_scale_f64 v[204:205], vcc, v[198:199], v[196:197], v[198:199]
	v_fma_f64 v[206:207], -v[200:201], v[202:203], 1.0
	v_fmac_f64_e32 v[202:203], v[202:203], v[206:207]
	v_fma_f64 v[206:207], -v[200:201], v[202:203], 1.0
	v_fmac_f64_e32 v[202:203], v[202:203], v[206:207]
	v_mul_f64 v[206:207], v[204:205], v[202:203]
	v_fma_f64 v[200:201], -v[200:201], v[206:207], v[204:205]
	v_div_fmas_f64 v[200:201], v[200:201], v[202:203], v[206:207]
	v_div_fixup_f64 v[202:203], v[200:201], v[196:197], v[198:199]
	v_fmac_f64_e32 v[196:197], v[198:199], v[202:203]
	v_div_scale_f64 v[198:199], s[10:11], v[196:197], v[196:197], 1.0
	v_rcp_f64_e32 v[200:201], v[198:199]
	s_nop 0
	v_fma_f64 v[204:205], -v[198:199], v[200:201], 1.0
	v_fmac_f64_e32 v[200:201], v[200:201], v[204:205]
	v_fma_f64 v[204:205], -v[198:199], v[200:201], 1.0
	v_fmac_f64_e32 v[200:201], v[200:201], v[204:205]
	v_div_scale_f64 v[204:205], vcc, 1.0, v[196:197], 1.0
	v_mul_f64 v[206:207], v[204:205], v[200:201]
	v_fma_f64 v[198:199], -v[198:199], v[206:207], v[204:205]
	s_nop 1
	v_div_fmas_f64 v[198:199], v[198:199], v[200:201], v[206:207]
	v_div_fixup_f64 v[200:201], v[198:199], v[196:197], 1.0
	v_mul_f64 v[202:203], v[202:203], -v[200:201]
.LBB97_142:
	s_or_b64 exec, exec, s[2:3]
	ds_write2_b64 v215, v[200:201], v[202:203] offset1:1
.LBB97_143:
	s_or_b64 exec, exec, s[4:5]
	s_waitcnt lgkmcnt(0)
	s_barrier
	ds_read2_b64 v[196:199], v215 offset1:1
	v_cmp_lt_u32_e32 vcc, 15, v214
	s_waitcnt lgkmcnt(0)
	scratch_store_dwordx4 off, v[196:199], off offset:536 ; 16-byte Folded Spill
	s_and_saveexec_b64 s[2:3], vcc
	s_cbranch_execz .LBB97_145
; %bb.144:
	scratch_load_dwordx4 v[200:203], off, off offset:16 ; 16-byte Folded Reload
	scratch_load_dwordx4 v[204:207], off, off offset:536 ; 16-byte Folded Reload
	v_mov_b64_e32 v[184:185], v[128:129]
	s_waitcnt vmcnt(0)
	v_mul_f64 v[196:197], v[206:207], v[202:203]
	v_mul_f64 v[202:203], v[204:205], v[202:203]
	v_fma_f64 v[196:197], v[204:205], v[200:201], -v[196:197]
	v_fmac_f64_e32 v[202:203], v[206:207], v[200:201]
	ds_read2_b64 v[198:201], v213 offset0:32 offset1:33
	scratch_load_dwordx4 v[204:207], off, off ; 16-byte Folded Reload
	s_waitcnt lgkmcnt(0)
	v_mul_f64 v[128:129], v[200:201], v[202:203]
	v_fma_f64 v[128:129], v[198:199], v[196:197], -v[128:129]
	v_mul_f64 v[198:199], v[198:199], v[202:203]
	v_fmac_f64_e32 v[198:199], v[200:201], v[196:197]
	v_add_f64 v[246:247], v[246:247], -v[198:199]
	ds_read2_b64 v[198:201], v213 offset0:34 offset1:35
	v_add_f64 v[244:245], v[244:245], -v[128:129]
	s_waitcnt lgkmcnt(0)
	v_mul_f64 v[128:129], v[200:201], v[202:203]
	v_fma_f64 v[128:129], v[198:199], v[196:197], -v[128:129]
	v_mul_f64 v[198:199], v[198:199], v[202:203]
	v_fmac_f64_e32 v[198:199], v[200:201], v[196:197]
	v_add_f64 v[194:195], v[194:195], -v[198:199]
	ds_read2_b64 v[198:201], v213 offset0:36 offset1:37
	v_add_f64 v[192:193], v[192:193], -v[128:129]
	s_waitcnt lgkmcnt(0)
	v_mul_f64 v[128:129], v[200:201], v[202:203]
	v_fma_f64 v[128:129], v[198:199], v[196:197], -v[128:129]
	v_mul_f64 v[198:199], v[198:199], v[202:203]
	v_fmac_f64_e32 v[198:199], v[200:201], v[196:197]
	v_add_f64 v[228:229], v[228:229], -v[198:199]
	ds_read2_b64 v[198:201], v213 offset0:38 offset1:39
	v_add_f64 v[226:227], v[226:227], -v[128:129]
	s_waitcnt lgkmcnt(0)
	v_mul_f64 v[128:129], v[200:201], v[202:203]
	v_fma_f64 v[128:129], v[198:199], v[196:197], -v[128:129]
	v_mul_f64 v[198:199], v[198:199], v[202:203]
	v_fmac_f64_e32 v[198:199], v[200:201], v[196:197]
	v_add_f64 v[242:243], v[242:243], -v[198:199]
	ds_read2_b64 v[198:201], v213 offset0:40 offset1:41
	v_add_f64 v[240:241], v[240:241], -v[128:129]
	s_waitcnt lgkmcnt(0)
	v_mul_f64 v[128:129], v[200:201], v[202:203]
	v_fma_f64 v[128:129], v[198:199], v[196:197], -v[128:129]
	v_mul_f64 v[198:199], v[198:199], v[202:203]
	v_fmac_f64_e32 v[198:199], v[200:201], v[196:197]
	v_add_f64 v[110:111], v[110:111], -v[198:199]
	ds_read2_b64 v[198:201], v213 offset0:42 offset1:43
	v_add_f64 v[108:109], v[108:109], -v[128:129]
	s_waitcnt lgkmcnt(0)
	v_mul_f64 v[128:129], v[200:201], v[202:203]
	v_fma_f64 v[128:129], v[198:199], v[196:197], -v[128:129]
	v_mul_f64 v[198:199], v[198:199], v[202:203]
	v_fmac_f64_e32 v[198:199], v[200:201], v[196:197]
	v_add_f64 v[106:107], v[106:107], -v[198:199]
	ds_read2_b64 v[198:201], v213 offset0:44 offset1:45
	v_add_f64 v[104:105], v[104:105], -v[128:129]
	s_waitcnt lgkmcnt(0)
	v_mul_f64 v[128:129], v[200:201], v[202:203]
	v_fma_f64 v[128:129], v[198:199], v[196:197], -v[128:129]
	v_mul_f64 v[198:199], v[198:199], v[202:203]
	v_fmac_f64_e32 v[198:199], v[200:201], v[196:197]
	v_add_f64 v[102:103], v[102:103], -v[198:199]
	ds_read2_b64 v[198:201], v213 offset0:46 offset1:47
	v_add_f64 v[100:101], v[100:101], -v[128:129]
	s_waitcnt lgkmcnt(0)
	v_mul_f64 v[128:129], v[200:201], v[202:203]
	v_fma_f64 v[128:129], v[198:199], v[196:197], -v[128:129]
	v_mul_f64 v[198:199], v[198:199], v[202:203]
	v_fmac_f64_e32 v[198:199], v[200:201], v[196:197]
	v_add_f64 v[98:99], v[98:99], -v[198:199]
	ds_read2_b64 v[198:201], v213 offset0:48 offset1:49
	v_add_f64 v[96:97], v[96:97], -v[128:129]
	s_waitcnt lgkmcnt(0)
	v_mul_f64 v[128:129], v[200:201], v[202:203]
	v_fma_f64 v[128:129], v[198:199], v[196:197], -v[128:129]
	v_mul_f64 v[198:199], v[198:199], v[202:203]
	v_fmac_f64_e32 v[198:199], v[200:201], v[196:197]
	v_add_f64 v[94:95], v[94:95], -v[198:199]
	ds_read2_b64 v[198:201], v213 offset0:50 offset1:51
	v_add_f64 v[92:93], v[92:93], -v[128:129]
	s_waitcnt lgkmcnt(0)
	v_mul_f64 v[128:129], v[200:201], v[202:203]
	v_fma_f64 v[128:129], v[198:199], v[196:197], -v[128:129]
	v_mul_f64 v[198:199], v[198:199], v[202:203]
	v_fmac_f64_e32 v[198:199], v[200:201], v[196:197]
	v_add_f64 v[90:91], v[90:91], -v[198:199]
	ds_read2_b64 v[198:201], v213 offset0:52 offset1:53
	v_add_f64 v[88:89], v[88:89], -v[128:129]
	s_waitcnt lgkmcnt(0)
	v_mul_f64 v[128:129], v[200:201], v[202:203]
	v_fma_f64 v[128:129], v[198:199], v[196:197], -v[128:129]
	v_mul_f64 v[198:199], v[198:199], v[202:203]
	v_fmac_f64_e32 v[198:199], v[200:201], v[196:197]
	v_add_f64 v[86:87], v[86:87], -v[198:199]
	ds_read2_b64 v[198:201], v213 offset0:54 offset1:55
	v_add_f64 v[84:85], v[84:85], -v[128:129]
	s_waitcnt lgkmcnt(0)
	v_mul_f64 v[128:129], v[200:201], v[202:203]
	v_fma_f64 v[128:129], v[198:199], v[196:197], -v[128:129]
	v_mul_f64 v[198:199], v[198:199], v[202:203]
	v_fmac_f64_e32 v[198:199], v[200:201], v[196:197]
	v_add_f64 v[82:83], v[82:83], -v[198:199]
	ds_read2_b64 v[198:201], v213 offset0:56 offset1:57
	v_add_f64 v[80:81], v[80:81], -v[128:129]
	s_waitcnt lgkmcnt(0)
	v_mul_f64 v[128:129], v[200:201], v[202:203]
	v_fma_f64 v[128:129], v[198:199], v[196:197], -v[128:129]
	v_mul_f64 v[198:199], v[198:199], v[202:203]
	v_fmac_f64_e32 v[198:199], v[200:201], v[196:197]
	v_add_f64 v[78:79], v[78:79], -v[198:199]
	ds_read2_b64 v[198:201], v213 offset0:58 offset1:59
	v_add_f64 v[76:77], v[76:77], -v[128:129]
	s_waitcnt lgkmcnt(0)
	v_mul_f64 v[128:129], v[200:201], v[202:203]
	v_fma_f64 v[128:129], v[198:199], v[196:197], -v[128:129]
	v_mul_f64 v[198:199], v[198:199], v[202:203]
	v_fmac_f64_e32 v[198:199], v[200:201], v[196:197]
	v_add_f64 v[74:75], v[74:75], -v[198:199]
	ds_read2_b64 v[198:201], v213 offset0:60 offset1:61
	v_add_f64 v[72:73], v[72:73], -v[128:129]
	s_waitcnt lgkmcnt(0)
	v_mul_f64 v[128:129], v[200:201], v[202:203]
	v_fma_f64 v[128:129], v[198:199], v[196:197], -v[128:129]
	v_mul_f64 v[198:199], v[198:199], v[202:203]
	v_fmac_f64_e32 v[198:199], v[200:201], v[196:197]
	v_add_f64 v[70:71], v[70:71], -v[198:199]
	ds_read2_b64 v[198:201], v213 offset0:62 offset1:63
	v_add_f64 v[68:69], v[68:69], -v[128:129]
	s_waitcnt lgkmcnt(0)
	v_mul_f64 v[128:129], v[200:201], v[202:203]
	v_fma_f64 v[128:129], v[198:199], v[196:197], -v[128:129]
	v_mul_f64 v[198:199], v[198:199], v[202:203]
	v_fmac_f64_e32 v[198:199], v[200:201], v[196:197]
	v_add_f64 v[66:67], v[66:67], -v[198:199]
	ds_read2_b64 v[198:201], v213 offset0:64 offset1:65
	v_add_f64 v[64:65], v[64:65], -v[128:129]
	s_waitcnt lgkmcnt(0)
	v_mul_f64 v[128:129], v[200:201], v[202:203]
	v_fma_f64 v[128:129], v[198:199], v[196:197], -v[128:129]
	v_mul_f64 v[198:199], v[198:199], v[202:203]
	v_fmac_f64_e32 v[198:199], v[200:201], v[196:197]
	v_add_f64 v[62:63], v[62:63], -v[198:199]
	ds_read2_b64 v[198:201], v213 offset0:66 offset1:67
	v_add_f64 v[60:61], v[60:61], -v[128:129]
	s_waitcnt lgkmcnt(0)
	v_mul_f64 v[128:129], v[200:201], v[202:203]
	v_fma_f64 v[128:129], v[198:199], v[196:197], -v[128:129]
	v_mul_f64 v[198:199], v[198:199], v[202:203]
	v_fmac_f64_e32 v[198:199], v[200:201], v[196:197]
	v_add_f64 v[58:59], v[58:59], -v[198:199]
	ds_read2_b64 v[198:201], v213 offset0:68 offset1:69
	v_add_f64 v[56:57], v[56:57], -v[128:129]
	s_waitcnt lgkmcnt(0)
	v_mul_f64 v[128:129], v[200:201], v[202:203]
	v_fma_f64 v[128:129], v[198:199], v[196:197], -v[128:129]
	v_mul_f64 v[198:199], v[198:199], v[202:203]
	v_fmac_f64_e32 v[198:199], v[200:201], v[196:197]
	v_add_f64 v[54:55], v[54:55], -v[198:199]
	ds_read2_b64 v[198:201], v213 offset0:70 offset1:71
	v_add_f64 v[52:53], v[52:53], -v[128:129]
	s_waitcnt lgkmcnt(0)
	v_mul_f64 v[128:129], v[200:201], v[202:203]
	v_fma_f64 v[128:129], v[198:199], v[196:197], -v[128:129]
	v_mul_f64 v[198:199], v[198:199], v[202:203]
	v_fmac_f64_e32 v[198:199], v[200:201], v[196:197]
	v_add_f64 v[50:51], v[50:51], -v[198:199]
	ds_read2_b64 v[198:201], v213 offset0:72 offset1:73
	v_add_f64 v[48:49], v[48:49], -v[128:129]
	s_waitcnt lgkmcnt(0)
	v_mul_f64 v[128:129], v[200:201], v[202:203]
	v_fma_f64 v[128:129], v[198:199], v[196:197], -v[128:129]
	v_mul_f64 v[198:199], v[198:199], v[202:203]
	v_fmac_f64_e32 v[198:199], v[200:201], v[196:197]
	v_add_f64 v[46:47], v[46:47], -v[198:199]
	ds_read2_b64 v[198:201], v213 offset0:74 offset1:75
	v_add_f64 v[44:45], v[44:45], -v[128:129]
	s_waitcnt lgkmcnt(0)
	v_mul_f64 v[128:129], v[200:201], v[202:203]
	v_fma_f64 v[128:129], v[198:199], v[196:197], -v[128:129]
	v_mul_f64 v[198:199], v[198:199], v[202:203]
	v_fmac_f64_e32 v[198:199], v[200:201], v[196:197]
	v_add_f64 v[42:43], v[42:43], -v[198:199]
	ds_read2_b64 v[198:201], v213 offset0:76 offset1:77
	v_add_f64 v[40:41], v[40:41], -v[128:129]
	s_waitcnt lgkmcnt(0)
	v_mul_f64 v[128:129], v[200:201], v[202:203]
	v_fma_f64 v[128:129], v[198:199], v[196:197], -v[128:129]
	v_mul_f64 v[198:199], v[198:199], v[202:203]
	v_fmac_f64_e32 v[198:199], v[200:201], v[196:197]
	v_add_f64 v[38:39], v[38:39], -v[198:199]
	ds_read2_b64 v[198:201], v213 offset0:78 offset1:79
	v_add_f64 v[36:37], v[36:37], -v[128:129]
	s_waitcnt lgkmcnt(0)
	v_mul_f64 v[128:129], v[200:201], v[202:203]
	v_fma_f64 v[128:129], v[198:199], v[196:197], -v[128:129]
	v_mul_f64 v[198:199], v[198:199], v[202:203]
	v_fmac_f64_e32 v[198:199], v[200:201], v[196:197]
	v_add_f64 v[34:35], v[34:35], -v[198:199]
	ds_read2_b64 v[198:201], v213 offset0:80 offset1:81
	v_add_f64 v[32:33], v[32:33], -v[128:129]
	s_waitcnt lgkmcnt(0)
	v_mul_f64 v[128:129], v[200:201], v[202:203]
	v_fma_f64 v[128:129], v[198:199], v[196:197], -v[128:129]
	v_mul_f64 v[198:199], v[198:199], v[202:203]
	v_fmac_f64_e32 v[198:199], v[200:201], v[196:197]
	v_add_f64 v[30:31], v[30:31], -v[198:199]
	ds_read2_b64 v[198:201], v213 offset0:82 offset1:83
	v_add_f64 v[28:29], v[28:29], -v[128:129]
	s_waitcnt lgkmcnt(0)
	v_mul_f64 v[128:129], v[200:201], v[202:203]
	v_fma_f64 v[128:129], v[198:199], v[196:197], -v[128:129]
	v_mul_f64 v[198:199], v[198:199], v[202:203]
	v_fmac_f64_e32 v[198:199], v[200:201], v[196:197]
	v_add_f64 v[26:27], v[26:27], -v[198:199]
	ds_read2_b64 v[198:201], v213 offset0:84 offset1:85
	v_add_f64 v[24:25], v[24:25], -v[128:129]
	s_waitcnt lgkmcnt(0)
	v_mul_f64 v[128:129], v[200:201], v[202:203]
	v_fma_f64 v[128:129], v[198:199], v[196:197], -v[128:129]
	v_mul_f64 v[198:199], v[198:199], v[202:203]
	v_fmac_f64_e32 v[198:199], v[200:201], v[196:197]
	v_add_f64 v[22:23], v[22:23], -v[198:199]
	ds_read2_b64 v[198:201], v213 offset0:86 offset1:87
	v_add_f64 v[20:21], v[20:21], -v[128:129]
	s_waitcnt lgkmcnt(0)
	v_mul_f64 v[128:129], v[200:201], v[202:203]
	v_fma_f64 v[128:129], v[198:199], v[196:197], -v[128:129]
	v_mul_f64 v[198:199], v[198:199], v[202:203]
	v_fmac_f64_e32 v[198:199], v[200:201], v[196:197]
	v_add_f64 v[18:19], v[18:19], -v[198:199]
	ds_read2_b64 v[198:201], v213 offset0:88 offset1:89
	v_add_f64 v[16:17], v[16:17], -v[128:129]
	s_waitcnt lgkmcnt(0)
	v_mul_f64 v[128:129], v[200:201], v[202:203]
	v_fma_f64 v[128:129], v[198:199], v[196:197], -v[128:129]
	v_mul_f64 v[198:199], v[198:199], v[202:203]
	v_fmac_f64_e32 v[198:199], v[200:201], v[196:197]
	v_add_f64 v[14:15], v[14:15], -v[198:199]
	ds_read2_b64 v[198:201], v213 offset0:90 offset1:91
	v_add_f64 v[12:13], v[12:13], -v[128:129]
	s_waitcnt lgkmcnt(0)
	v_mul_f64 v[128:129], v[200:201], v[202:203]
	v_fma_f64 v[128:129], v[198:199], v[196:197], -v[128:129]
	v_mul_f64 v[198:199], v[198:199], v[202:203]
	v_fmac_f64_e32 v[198:199], v[200:201], v[196:197]
	v_add_f64 v[10:11], v[10:11], -v[198:199]
	ds_read2_b64 v[198:201], v213 offset0:92 offset1:93
	v_add_f64 v[8:9], v[8:9], -v[128:129]
	s_waitcnt lgkmcnt(0)
	v_mul_f64 v[128:129], v[200:201], v[202:203]
	v_fma_f64 v[128:129], v[198:199], v[196:197], -v[128:129]
	v_mul_f64 v[198:199], v[198:199], v[202:203]
	v_fmac_f64_e32 v[198:199], v[200:201], v[196:197]
	v_add_f64 v[6:7], v[6:7], -v[198:199]
	ds_read2_b64 v[198:201], v213 offset0:94 offset1:95
	v_add_f64 v[4:5], v[4:5], -v[128:129]
	s_waitcnt lgkmcnt(0)
	v_mul_f64 v[128:129], v[200:201], v[202:203]
	v_fma_f64 v[128:129], v[198:199], v[196:197], -v[128:129]
	v_mul_f64 v[198:199], v[198:199], v[202:203]
	v_fmac_f64_e32 v[198:199], v[200:201], v[196:197]
	v_add_f64 v[2:3], v[2:3], -v[198:199]
	ds_read2_b64 v[198:201], v213 offset0:96 offset1:97
	v_add_f64 v[0:1], v[0:1], -v[128:129]
	s_waitcnt lgkmcnt(0)
	v_mul_f64 v[128:129], v[200:201], v[202:203]
	v_fma_f64 v[128:129], v[198:199], v[196:197], -v[128:129]
	v_mul_f64 v[198:199], v[198:199], v[202:203]
	v_fmac_f64_e32 v[198:199], v[200:201], v[196:197]
	s_waitcnt vmcnt(0)
	v_add_f64 v[204:205], v[204:205], -v[128:129]
	v_mov_b64_e32 v[128:129], v[184:185]
	v_add_f64 v[206:207], v[206:207], -v[198:199]
	v_mov_b64_e32 v[200:201], v[196:197]
	scratch_store_dwordx4 off, v[204:207], off ; 16-byte Folded Spill
	scratch_store_dwordx4 off, v[200:203], off offset:16 ; 16-byte Folded Spill
.LBB97_145:
	s_or_b64 exec, exec, s[2:3]
	v_cmp_eq_u32_e32 vcc, 16, v214
	s_barrier
	s_and_saveexec_b64 s[4:5], vcc
	s_cbranch_execz .LBB97_152
; %bb.146:
	ds_write2_b64 v215, v[244:245], v[246:247] offset1:1
	ds_write2_b64 v213, v[192:193], v[194:195] offset0:34 offset1:35
	ds_write2_b64 v213, v[226:227], v[228:229] offset0:36 offset1:37
	;; [unrolled: 1-line block ×31, first 2 shown]
	scratch_load_dwordx4 v[196:199], off, off ; 16-byte Folded Reload
	s_waitcnt vmcnt(0)
	ds_write2_b64 v213, v[196:197], v[198:199] offset0:96 offset1:97
	ds_read2_b64 v[196:199], v215 offset1:1
	s_waitcnt lgkmcnt(0)
	v_cmp_neq_f64_e32 vcc, 0, v[196:197]
	v_cmp_neq_f64_e64 s[2:3], 0, v[198:199]
	s_or_b64 s[2:3], vcc, s[2:3]
	s_and_b64 exec, exec, s[2:3]
	s_cbranch_execz .LBB97_152
; %bb.147:
	v_cmp_ngt_f64_e64 s[2:3], |v[196:197]|, |v[198:199]|
                                        ; implicit-def: $vgpr200_vgpr201
	s_and_saveexec_b64 s[10:11], s[2:3]
	s_xor_b64 s[2:3], exec, s[10:11]
                                        ; implicit-def: $vgpr202_vgpr203
	s_cbranch_execz .LBB97_149
; %bb.148:
	v_div_scale_f64 v[200:201], s[10:11], v[198:199], v[198:199], v[196:197]
	v_rcp_f64_e32 v[202:203], v[200:201]
	v_div_scale_f64 v[204:205], vcc, v[196:197], v[198:199], v[196:197]
	v_fma_f64 v[206:207], -v[200:201], v[202:203], 1.0
	v_fmac_f64_e32 v[202:203], v[202:203], v[206:207]
	v_fma_f64 v[206:207], -v[200:201], v[202:203], 1.0
	v_fmac_f64_e32 v[202:203], v[202:203], v[206:207]
	v_mul_f64 v[206:207], v[204:205], v[202:203]
	v_fma_f64 v[200:201], -v[200:201], v[206:207], v[204:205]
	v_div_fmas_f64 v[200:201], v[200:201], v[202:203], v[206:207]
	v_div_fixup_f64 v[200:201], v[200:201], v[198:199], v[196:197]
	v_fmac_f64_e32 v[198:199], v[196:197], v[200:201]
	v_div_scale_f64 v[196:197], s[10:11], v[198:199], v[198:199], 1.0
	v_rcp_f64_e32 v[202:203], v[196:197]
	s_nop 0
	v_fma_f64 v[204:205], -v[196:197], v[202:203], 1.0
	v_fmac_f64_e32 v[202:203], v[202:203], v[204:205]
	v_fma_f64 v[204:205], -v[196:197], v[202:203], 1.0
	v_fmac_f64_e32 v[202:203], v[202:203], v[204:205]
	v_div_scale_f64 v[204:205], vcc, 1.0, v[198:199], 1.0
	v_mul_f64 v[206:207], v[204:205], v[202:203]
	v_fma_f64 v[196:197], -v[196:197], v[206:207], v[204:205]
	s_nop 1
	v_div_fmas_f64 v[196:197], v[196:197], v[202:203], v[206:207]
	v_div_fixup_f64 v[202:203], v[196:197], v[198:199], 1.0
	v_mul_f64 v[200:201], v[200:201], v[202:203]
	v_xor_b32_e32 v203, 0x80000000, v203
                                        ; implicit-def: $vgpr196_vgpr197
.LBB97_149:
	s_andn2_saveexec_b64 s[2:3], s[2:3]
	s_cbranch_execz .LBB97_151
; %bb.150:
	v_div_scale_f64 v[200:201], s[10:11], v[196:197], v[196:197], v[198:199]
	v_rcp_f64_e32 v[202:203], v[200:201]
	v_div_scale_f64 v[204:205], vcc, v[198:199], v[196:197], v[198:199]
	v_fma_f64 v[206:207], -v[200:201], v[202:203], 1.0
	v_fmac_f64_e32 v[202:203], v[202:203], v[206:207]
	v_fma_f64 v[206:207], -v[200:201], v[202:203], 1.0
	v_fmac_f64_e32 v[202:203], v[202:203], v[206:207]
	v_mul_f64 v[206:207], v[204:205], v[202:203]
	v_fma_f64 v[200:201], -v[200:201], v[206:207], v[204:205]
	v_div_fmas_f64 v[200:201], v[200:201], v[202:203], v[206:207]
	v_div_fixup_f64 v[202:203], v[200:201], v[196:197], v[198:199]
	v_fmac_f64_e32 v[196:197], v[198:199], v[202:203]
	v_div_scale_f64 v[198:199], s[10:11], v[196:197], v[196:197], 1.0
	v_rcp_f64_e32 v[200:201], v[198:199]
	s_nop 0
	v_fma_f64 v[204:205], -v[198:199], v[200:201], 1.0
	v_fmac_f64_e32 v[200:201], v[200:201], v[204:205]
	v_fma_f64 v[204:205], -v[198:199], v[200:201], 1.0
	v_fmac_f64_e32 v[200:201], v[200:201], v[204:205]
	v_div_scale_f64 v[204:205], vcc, 1.0, v[196:197], 1.0
	v_mul_f64 v[206:207], v[204:205], v[200:201]
	v_fma_f64 v[198:199], -v[198:199], v[206:207], v[204:205]
	s_nop 1
	v_div_fmas_f64 v[198:199], v[198:199], v[200:201], v[206:207]
	v_div_fixup_f64 v[200:201], v[198:199], v[196:197], 1.0
	v_mul_f64 v[202:203], v[202:203], -v[200:201]
.LBB97_151:
	s_or_b64 exec, exec, s[2:3]
	ds_write2_b64 v215, v[200:201], v[202:203] offset1:1
.LBB97_152:
	s_or_b64 exec, exec, s[4:5]
	s_waitcnt lgkmcnt(0)
	s_barrier
	ds_read2_b64 v[196:199], v215 offset1:1
	v_cmp_lt_u32_e32 vcc, 16, v214
	s_waitcnt lgkmcnt(0)
	scratch_store_dwordx4 off, v[196:199], off offset:552 ; 16-byte Folded Spill
	s_and_saveexec_b64 s[2:3], vcc
	s_cbranch_execz .LBB97_154
; %bb.153:
	scratch_load_dwordx4 v[198:201], off, off offset:552 ; 16-byte Folded Reload
	v_mov_b64_e32 v[184:185], v[124:125]
	s_waitcnt vmcnt(0)
	v_mul_f64 v[196:197], v[200:201], v[246:247]
	v_mul_f64 v[246:247], v[198:199], v[246:247]
	v_fma_f64 v[196:197], v[198:199], v[244:245], -v[196:197]
	v_fmac_f64_e32 v[246:247], v[200:201], v[244:245]
	ds_read2_b64 v[198:201], v213 offset0:34 offset1:35
	v_mov_b64_e32 v[244:245], v[196:197]
	s_waitcnt lgkmcnt(0)
	v_mul_f64 v[124:125], v[200:201], v[246:247]
	v_fma_f64 v[124:125], v[198:199], v[196:197], -v[124:125]
	v_mul_f64 v[198:199], v[198:199], v[246:247]
	v_fmac_f64_e32 v[198:199], v[200:201], v[196:197]
	v_add_f64 v[194:195], v[194:195], -v[198:199]
	ds_read2_b64 v[198:201], v213 offset0:36 offset1:37
	v_add_f64 v[192:193], v[192:193], -v[124:125]
	s_waitcnt lgkmcnt(0)
	v_mul_f64 v[124:125], v[200:201], v[246:247]
	v_fma_f64 v[124:125], v[198:199], v[196:197], -v[124:125]
	v_mul_f64 v[198:199], v[198:199], v[246:247]
	v_fmac_f64_e32 v[198:199], v[200:201], v[196:197]
	v_add_f64 v[228:229], v[228:229], -v[198:199]
	ds_read2_b64 v[198:201], v213 offset0:38 offset1:39
	v_add_f64 v[226:227], v[226:227], -v[124:125]
	s_waitcnt lgkmcnt(0)
	v_mul_f64 v[124:125], v[200:201], v[246:247]
	v_fma_f64 v[124:125], v[198:199], v[196:197], -v[124:125]
	v_mul_f64 v[198:199], v[198:199], v[246:247]
	v_fmac_f64_e32 v[198:199], v[200:201], v[196:197]
	v_add_f64 v[242:243], v[242:243], -v[198:199]
	ds_read2_b64 v[198:201], v213 offset0:40 offset1:41
	v_add_f64 v[240:241], v[240:241], -v[124:125]
	s_waitcnt lgkmcnt(0)
	v_mul_f64 v[124:125], v[200:201], v[246:247]
	v_fma_f64 v[124:125], v[198:199], v[196:197], -v[124:125]
	v_mul_f64 v[198:199], v[198:199], v[246:247]
	v_fmac_f64_e32 v[198:199], v[200:201], v[196:197]
	v_add_f64 v[110:111], v[110:111], -v[198:199]
	ds_read2_b64 v[198:201], v213 offset0:42 offset1:43
	v_add_f64 v[108:109], v[108:109], -v[124:125]
	s_waitcnt lgkmcnt(0)
	v_mul_f64 v[124:125], v[200:201], v[246:247]
	v_fma_f64 v[124:125], v[198:199], v[196:197], -v[124:125]
	v_mul_f64 v[198:199], v[198:199], v[246:247]
	v_fmac_f64_e32 v[198:199], v[200:201], v[196:197]
	v_add_f64 v[106:107], v[106:107], -v[198:199]
	ds_read2_b64 v[198:201], v213 offset0:44 offset1:45
	v_add_f64 v[104:105], v[104:105], -v[124:125]
	s_waitcnt lgkmcnt(0)
	v_mul_f64 v[124:125], v[200:201], v[246:247]
	v_fma_f64 v[124:125], v[198:199], v[196:197], -v[124:125]
	v_mul_f64 v[198:199], v[198:199], v[246:247]
	v_fmac_f64_e32 v[198:199], v[200:201], v[196:197]
	v_add_f64 v[102:103], v[102:103], -v[198:199]
	ds_read2_b64 v[198:201], v213 offset0:46 offset1:47
	v_add_f64 v[100:101], v[100:101], -v[124:125]
	s_waitcnt lgkmcnt(0)
	v_mul_f64 v[124:125], v[200:201], v[246:247]
	v_fma_f64 v[124:125], v[198:199], v[196:197], -v[124:125]
	v_mul_f64 v[198:199], v[198:199], v[246:247]
	v_fmac_f64_e32 v[198:199], v[200:201], v[196:197]
	v_add_f64 v[98:99], v[98:99], -v[198:199]
	ds_read2_b64 v[198:201], v213 offset0:48 offset1:49
	v_add_f64 v[96:97], v[96:97], -v[124:125]
	s_waitcnt lgkmcnt(0)
	v_mul_f64 v[124:125], v[200:201], v[246:247]
	v_fma_f64 v[124:125], v[198:199], v[196:197], -v[124:125]
	v_mul_f64 v[198:199], v[198:199], v[246:247]
	v_fmac_f64_e32 v[198:199], v[200:201], v[196:197]
	v_add_f64 v[94:95], v[94:95], -v[198:199]
	ds_read2_b64 v[198:201], v213 offset0:50 offset1:51
	v_add_f64 v[92:93], v[92:93], -v[124:125]
	s_waitcnt lgkmcnt(0)
	v_mul_f64 v[124:125], v[200:201], v[246:247]
	v_fma_f64 v[124:125], v[198:199], v[196:197], -v[124:125]
	v_mul_f64 v[198:199], v[198:199], v[246:247]
	v_fmac_f64_e32 v[198:199], v[200:201], v[196:197]
	v_add_f64 v[90:91], v[90:91], -v[198:199]
	ds_read2_b64 v[198:201], v213 offset0:52 offset1:53
	v_add_f64 v[88:89], v[88:89], -v[124:125]
	s_waitcnt lgkmcnt(0)
	v_mul_f64 v[124:125], v[200:201], v[246:247]
	v_fma_f64 v[124:125], v[198:199], v[196:197], -v[124:125]
	v_mul_f64 v[198:199], v[198:199], v[246:247]
	v_fmac_f64_e32 v[198:199], v[200:201], v[196:197]
	v_add_f64 v[86:87], v[86:87], -v[198:199]
	ds_read2_b64 v[198:201], v213 offset0:54 offset1:55
	v_add_f64 v[84:85], v[84:85], -v[124:125]
	s_waitcnt lgkmcnt(0)
	v_mul_f64 v[124:125], v[200:201], v[246:247]
	v_fma_f64 v[124:125], v[198:199], v[196:197], -v[124:125]
	v_mul_f64 v[198:199], v[198:199], v[246:247]
	v_fmac_f64_e32 v[198:199], v[200:201], v[196:197]
	v_add_f64 v[82:83], v[82:83], -v[198:199]
	ds_read2_b64 v[198:201], v213 offset0:56 offset1:57
	v_add_f64 v[80:81], v[80:81], -v[124:125]
	s_waitcnt lgkmcnt(0)
	v_mul_f64 v[124:125], v[200:201], v[246:247]
	v_fma_f64 v[124:125], v[198:199], v[196:197], -v[124:125]
	v_mul_f64 v[198:199], v[198:199], v[246:247]
	v_fmac_f64_e32 v[198:199], v[200:201], v[196:197]
	v_add_f64 v[78:79], v[78:79], -v[198:199]
	ds_read2_b64 v[198:201], v213 offset0:58 offset1:59
	v_add_f64 v[76:77], v[76:77], -v[124:125]
	s_waitcnt lgkmcnt(0)
	v_mul_f64 v[124:125], v[200:201], v[246:247]
	v_fma_f64 v[124:125], v[198:199], v[196:197], -v[124:125]
	v_mul_f64 v[198:199], v[198:199], v[246:247]
	v_fmac_f64_e32 v[198:199], v[200:201], v[196:197]
	v_add_f64 v[74:75], v[74:75], -v[198:199]
	ds_read2_b64 v[198:201], v213 offset0:60 offset1:61
	v_add_f64 v[72:73], v[72:73], -v[124:125]
	s_waitcnt lgkmcnt(0)
	v_mul_f64 v[124:125], v[200:201], v[246:247]
	v_fma_f64 v[124:125], v[198:199], v[196:197], -v[124:125]
	v_mul_f64 v[198:199], v[198:199], v[246:247]
	v_fmac_f64_e32 v[198:199], v[200:201], v[196:197]
	v_add_f64 v[70:71], v[70:71], -v[198:199]
	ds_read2_b64 v[198:201], v213 offset0:62 offset1:63
	v_add_f64 v[68:69], v[68:69], -v[124:125]
	s_waitcnt lgkmcnt(0)
	v_mul_f64 v[124:125], v[200:201], v[246:247]
	v_fma_f64 v[124:125], v[198:199], v[196:197], -v[124:125]
	v_mul_f64 v[198:199], v[198:199], v[246:247]
	v_fmac_f64_e32 v[198:199], v[200:201], v[196:197]
	v_add_f64 v[66:67], v[66:67], -v[198:199]
	ds_read2_b64 v[198:201], v213 offset0:64 offset1:65
	v_add_f64 v[64:65], v[64:65], -v[124:125]
	s_waitcnt lgkmcnt(0)
	v_mul_f64 v[124:125], v[200:201], v[246:247]
	v_fma_f64 v[124:125], v[198:199], v[196:197], -v[124:125]
	v_mul_f64 v[198:199], v[198:199], v[246:247]
	v_fmac_f64_e32 v[198:199], v[200:201], v[196:197]
	v_add_f64 v[62:63], v[62:63], -v[198:199]
	ds_read2_b64 v[198:201], v213 offset0:66 offset1:67
	v_add_f64 v[60:61], v[60:61], -v[124:125]
	s_waitcnt lgkmcnt(0)
	v_mul_f64 v[124:125], v[200:201], v[246:247]
	v_fma_f64 v[124:125], v[198:199], v[196:197], -v[124:125]
	v_mul_f64 v[198:199], v[198:199], v[246:247]
	v_fmac_f64_e32 v[198:199], v[200:201], v[196:197]
	v_add_f64 v[58:59], v[58:59], -v[198:199]
	ds_read2_b64 v[198:201], v213 offset0:68 offset1:69
	v_add_f64 v[56:57], v[56:57], -v[124:125]
	s_waitcnt lgkmcnt(0)
	v_mul_f64 v[124:125], v[200:201], v[246:247]
	v_fma_f64 v[124:125], v[198:199], v[196:197], -v[124:125]
	v_mul_f64 v[198:199], v[198:199], v[246:247]
	v_fmac_f64_e32 v[198:199], v[200:201], v[196:197]
	v_add_f64 v[54:55], v[54:55], -v[198:199]
	ds_read2_b64 v[198:201], v213 offset0:70 offset1:71
	v_add_f64 v[52:53], v[52:53], -v[124:125]
	s_waitcnt lgkmcnt(0)
	v_mul_f64 v[124:125], v[200:201], v[246:247]
	v_fma_f64 v[124:125], v[198:199], v[196:197], -v[124:125]
	v_mul_f64 v[198:199], v[198:199], v[246:247]
	v_fmac_f64_e32 v[198:199], v[200:201], v[196:197]
	v_add_f64 v[50:51], v[50:51], -v[198:199]
	ds_read2_b64 v[198:201], v213 offset0:72 offset1:73
	v_add_f64 v[48:49], v[48:49], -v[124:125]
	s_waitcnt lgkmcnt(0)
	v_mul_f64 v[124:125], v[200:201], v[246:247]
	v_fma_f64 v[124:125], v[198:199], v[196:197], -v[124:125]
	v_mul_f64 v[198:199], v[198:199], v[246:247]
	v_fmac_f64_e32 v[198:199], v[200:201], v[196:197]
	v_add_f64 v[46:47], v[46:47], -v[198:199]
	ds_read2_b64 v[198:201], v213 offset0:74 offset1:75
	v_add_f64 v[44:45], v[44:45], -v[124:125]
	s_waitcnt lgkmcnt(0)
	v_mul_f64 v[124:125], v[200:201], v[246:247]
	v_fma_f64 v[124:125], v[198:199], v[196:197], -v[124:125]
	v_mul_f64 v[198:199], v[198:199], v[246:247]
	v_fmac_f64_e32 v[198:199], v[200:201], v[196:197]
	v_add_f64 v[42:43], v[42:43], -v[198:199]
	ds_read2_b64 v[198:201], v213 offset0:76 offset1:77
	v_add_f64 v[40:41], v[40:41], -v[124:125]
	s_waitcnt lgkmcnt(0)
	v_mul_f64 v[124:125], v[200:201], v[246:247]
	v_fma_f64 v[124:125], v[198:199], v[196:197], -v[124:125]
	v_mul_f64 v[198:199], v[198:199], v[246:247]
	v_fmac_f64_e32 v[198:199], v[200:201], v[196:197]
	v_add_f64 v[38:39], v[38:39], -v[198:199]
	ds_read2_b64 v[198:201], v213 offset0:78 offset1:79
	v_add_f64 v[36:37], v[36:37], -v[124:125]
	s_waitcnt lgkmcnt(0)
	v_mul_f64 v[124:125], v[200:201], v[246:247]
	v_fma_f64 v[124:125], v[198:199], v[196:197], -v[124:125]
	v_mul_f64 v[198:199], v[198:199], v[246:247]
	v_fmac_f64_e32 v[198:199], v[200:201], v[196:197]
	v_add_f64 v[34:35], v[34:35], -v[198:199]
	ds_read2_b64 v[198:201], v213 offset0:80 offset1:81
	v_add_f64 v[32:33], v[32:33], -v[124:125]
	s_waitcnt lgkmcnt(0)
	v_mul_f64 v[124:125], v[200:201], v[246:247]
	v_fma_f64 v[124:125], v[198:199], v[196:197], -v[124:125]
	v_mul_f64 v[198:199], v[198:199], v[246:247]
	v_fmac_f64_e32 v[198:199], v[200:201], v[196:197]
	v_add_f64 v[30:31], v[30:31], -v[198:199]
	ds_read2_b64 v[198:201], v213 offset0:82 offset1:83
	v_add_f64 v[28:29], v[28:29], -v[124:125]
	s_waitcnt lgkmcnt(0)
	v_mul_f64 v[124:125], v[200:201], v[246:247]
	v_fma_f64 v[124:125], v[198:199], v[196:197], -v[124:125]
	v_mul_f64 v[198:199], v[198:199], v[246:247]
	v_fmac_f64_e32 v[198:199], v[200:201], v[196:197]
	v_add_f64 v[26:27], v[26:27], -v[198:199]
	ds_read2_b64 v[198:201], v213 offset0:84 offset1:85
	v_add_f64 v[24:25], v[24:25], -v[124:125]
	s_waitcnt lgkmcnt(0)
	v_mul_f64 v[124:125], v[200:201], v[246:247]
	v_fma_f64 v[124:125], v[198:199], v[196:197], -v[124:125]
	v_mul_f64 v[198:199], v[198:199], v[246:247]
	v_fmac_f64_e32 v[198:199], v[200:201], v[196:197]
	v_add_f64 v[22:23], v[22:23], -v[198:199]
	ds_read2_b64 v[198:201], v213 offset0:86 offset1:87
	v_add_f64 v[20:21], v[20:21], -v[124:125]
	s_waitcnt lgkmcnt(0)
	v_mul_f64 v[124:125], v[200:201], v[246:247]
	v_fma_f64 v[124:125], v[198:199], v[196:197], -v[124:125]
	v_mul_f64 v[198:199], v[198:199], v[246:247]
	v_fmac_f64_e32 v[198:199], v[200:201], v[196:197]
	v_add_f64 v[18:19], v[18:19], -v[198:199]
	ds_read2_b64 v[198:201], v213 offset0:88 offset1:89
	v_add_f64 v[16:17], v[16:17], -v[124:125]
	s_waitcnt lgkmcnt(0)
	v_mul_f64 v[124:125], v[200:201], v[246:247]
	v_fma_f64 v[124:125], v[198:199], v[196:197], -v[124:125]
	v_mul_f64 v[198:199], v[198:199], v[246:247]
	v_fmac_f64_e32 v[198:199], v[200:201], v[196:197]
	v_add_f64 v[14:15], v[14:15], -v[198:199]
	ds_read2_b64 v[198:201], v213 offset0:90 offset1:91
	v_add_f64 v[12:13], v[12:13], -v[124:125]
	s_waitcnt lgkmcnt(0)
	v_mul_f64 v[124:125], v[200:201], v[246:247]
	v_fma_f64 v[124:125], v[198:199], v[196:197], -v[124:125]
	v_mul_f64 v[198:199], v[198:199], v[246:247]
	v_fmac_f64_e32 v[198:199], v[200:201], v[196:197]
	v_add_f64 v[10:11], v[10:11], -v[198:199]
	ds_read2_b64 v[198:201], v213 offset0:92 offset1:93
	v_add_f64 v[8:9], v[8:9], -v[124:125]
	s_waitcnt lgkmcnt(0)
	v_mul_f64 v[124:125], v[200:201], v[246:247]
	v_fma_f64 v[124:125], v[198:199], v[196:197], -v[124:125]
	v_mul_f64 v[198:199], v[198:199], v[246:247]
	v_fmac_f64_e32 v[198:199], v[200:201], v[196:197]
	v_add_f64 v[6:7], v[6:7], -v[198:199]
	ds_read2_b64 v[198:201], v213 offset0:94 offset1:95
	v_add_f64 v[4:5], v[4:5], -v[124:125]
	s_waitcnt lgkmcnt(0)
	v_mul_f64 v[124:125], v[200:201], v[246:247]
	v_fma_f64 v[124:125], v[198:199], v[196:197], -v[124:125]
	v_mul_f64 v[198:199], v[198:199], v[246:247]
	v_fmac_f64_e32 v[198:199], v[200:201], v[196:197]
	v_add_f64 v[2:3], v[2:3], -v[198:199]
	ds_read2_b64 v[198:201], v213 offset0:96 offset1:97
	v_add_f64 v[0:1], v[0:1], -v[124:125]
	s_waitcnt lgkmcnt(0)
	v_mul_f64 v[124:125], v[200:201], v[246:247]
	v_fma_f64 v[124:125], v[198:199], v[196:197], -v[124:125]
	v_mul_f64 v[198:199], v[198:199], v[246:247]
	v_fmac_f64_e32 v[198:199], v[200:201], v[196:197]
	scratch_load_dwordx4 v[200:203], off, off ; 16-byte Folded Reload
	s_waitcnt vmcnt(0)
	v_add_f64 v[200:201], v[200:201], -v[124:125]
	v_mov_b64_e32 v[124:125], v[184:185]
	v_add_f64 v[202:203], v[202:203], -v[198:199]
	scratch_store_dwordx4 off, v[200:203], off ; 16-byte Folded Spill
.LBB97_154:
	s_or_b64 exec, exec, s[2:3]
	v_cmp_eq_u32_e32 vcc, 17, v214
	s_barrier
	s_and_saveexec_b64 s[4:5], vcc
	s_cbranch_execz .LBB97_161
; %bb.155:
	ds_write2_b64 v215, v[192:193], v[194:195] offset1:1
	ds_write2_b64 v213, v[226:227], v[228:229] offset0:36 offset1:37
	ds_write2_b64 v213, v[240:241], v[242:243] offset0:38 offset1:39
	;; [unrolled: 1-line block ×30, first 2 shown]
	scratch_load_dwordx4 v[196:199], off, off ; 16-byte Folded Reload
	s_waitcnt vmcnt(0)
	ds_write2_b64 v213, v[196:197], v[198:199] offset0:96 offset1:97
	ds_read2_b64 v[196:199], v215 offset1:1
	s_waitcnt lgkmcnt(0)
	v_cmp_neq_f64_e32 vcc, 0, v[196:197]
	v_cmp_neq_f64_e64 s[2:3], 0, v[198:199]
	s_or_b64 s[2:3], vcc, s[2:3]
	s_and_b64 exec, exec, s[2:3]
	s_cbranch_execz .LBB97_161
; %bb.156:
	v_cmp_ngt_f64_e64 s[2:3], |v[196:197]|, |v[198:199]|
                                        ; implicit-def: $vgpr200_vgpr201
	s_and_saveexec_b64 s[10:11], s[2:3]
	s_xor_b64 s[2:3], exec, s[10:11]
                                        ; implicit-def: $vgpr202_vgpr203
	s_cbranch_execz .LBB97_158
; %bb.157:
	v_div_scale_f64 v[200:201], s[10:11], v[198:199], v[198:199], v[196:197]
	v_rcp_f64_e32 v[202:203], v[200:201]
	v_div_scale_f64 v[204:205], vcc, v[196:197], v[198:199], v[196:197]
	v_fma_f64 v[206:207], -v[200:201], v[202:203], 1.0
	v_fmac_f64_e32 v[202:203], v[202:203], v[206:207]
	v_fma_f64 v[206:207], -v[200:201], v[202:203], 1.0
	v_fmac_f64_e32 v[202:203], v[202:203], v[206:207]
	v_mul_f64 v[206:207], v[204:205], v[202:203]
	v_fma_f64 v[200:201], -v[200:201], v[206:207], v[204:205]
	v_div_fmas_f64 v[200:201], v[200:201], v[202:203], v[206:207]
	v_div_fixup_f64 v[200:201], v[200:201], v[198:199], v[196:197]
	v_fmac_f64_e32 v[198:199], v[196:197], v[200:201]
	v_div_scale_f64 v[196:197], s[10:11], v[198:199], v[198:199], 1.0
	v_rcp_f64_e32 v[202:203], v[196:197]
	s_nop 0
	v_fma_f64 v[204:205], -v[196:197], v[202:203], 1.0
	v_fmac_f64_e32 v[202:203], v[202:203], v[204:205]
	v_fma_f64 v[204:205], -v[196:197], v[202:203], 1.0
	v_fmac_f64_e32 v[202:203], v[202:203], v[204:205]
	v_div_scale_f64 v[204:205], vcc, 1.0, v[198:199], 1.0
	v_mul_f64 v[206:207], v[204:205], v[202:203]
	v_fma_f64 v[196:197], -v[196:197], v[206:207], v[204:205]
	s_nop 1
	v_div_fmas_f64 v[196:197], v[196:197], v[202:203], v[206:207]
	v_div_fixup_f64 v[202:203], v[196:197], v[198:199], 1.0
	v_mul_f64 v[200:201], v[200:201], v[202:203]
	v_xor_b32_e32 v203, 0x80000000, v203
                                        ; implicit-def: $vgpr196_vgpr197
.LBB97_158:
	s_andn2_saveexec_b64 s[2:3], s[2:3]
	s_cbranch_execz .LBB97_160
; %bb.159:
	v_div_scale_f64 v[200:201], s[10:11], v[196:197], v[196:197], v[198:199]
	v_rcp_f64_e32 v[202:203], v[200:201]
	v_div_scale_f64 v[204:205], vcc, v[198:199], v[196:197], v[198:199]
	v_fma_f64 v[206:207], -v[200:201], v[202:203], 1.0
	v_fmac_f64_e32 v[202:203], v[202:203], v[206:207]
	v_fma_f64 v[206:207], -v[200:201], v[202:203], 1.0
	v_fmac_f64_e32 v[202:203], v[202:203], v[206:207]
	v_mul_f64 v[206:207], v[204:205], v[202:203]
	v_fma_f64 v[200:201], -v[200:201], v[206:207], v[204:205]
	v_div_fmas_f64 v[200:201], v[200:201], v[202:203], v[206:207]
	v_div_fixup_f64 v[202:203], v[200:201], v[196:197], v[198:199]
	v_fmac_f64_e32 v[196:197], v[198:199], v[202:203]
	v_div_scale_f64 v[198:199], s[10:11], v[196:197], v[196:197], 1.0
	v_rcp_f64_e32 v[200:201], v[198:199]
	s_nop 0
	v_fma_f64 v[204:205], -v[198:199], v[200:201], 1.0
	v_fmac_f64_e32 v[200:201], v[200:201], v[204:205]
	v_fma_f64 v[204:205], -v[198:199], v[200:201], 1.0
	v_fmac_f64_e32 v[200:201], v[200:201], v[204:205]
	v_div_scale_f64 v[204:205], vcc, 1.0, v[196:197], 1.0
	v_mul_f64 v[206:207], v[204:205], v[200:201]
	v_fma_f64 v[198:199], -v[198:199], v[206:207], v[204:205]
	s_nop 1
	v_div_fmas_f64 v[198:199], v[198:199], v[200:201], v[206:207]
	v_div_fixup_f64 v[200:201], v[198:199], v[196:197], 1.0
	v_mul_f64 v[202:203], v[202:203], -v[200:201]
.LBB97_160:
	s_or_b64 exec, exec, s[2:3]
	ds_write2_b64 v215, v[200:201], v[202:203] offset1:1
.LBB97_161:
	s_or_b64 exec, exec, s[4:5]
	s_waitcnt lgkmcnt(0)
	s_barrier
	ds_read2_b64 v[196:199], v215 offset1:1
	v_cmp_lt_u32_e32 vcc, 17, v214
	s_waitcnt lgkmcnt(0)
	scratch_store_dwordx4 off, v[196:199], off offset:568 ; 16-byte Folded Spill
	s_and_saveexec_b64 s[2:3], vcc
	s_cbranch_execz .LBB97_163
; %bb.162:
	scratch_load_dwordx4 v[198:201], off, off offset:568 ; 16-byte Folded Reload
	v_mov_b64_e32 v[184:185], v[120:121]
	s_waitcnt vmcnt(0)
	v_mul_f64 v[196:197], v[200:201], v[194:195]
	v_mul_f64 v[194:195], v[198:199], v[194:195]
	v_fma_f64 v[196:197], v[198:199], v[192:193], -v[196:197]
	v_fmac_f64_e32 v[194:195], v[200:201], v[192:193]
	ds_read2_b64 v[198:201], v213 offset0:36 offset1:37
	v_mov_b64_e32 v[192:193], v[196:197]
	s_waitcnt lgkmcnt(0)
	v_mul_f64 v[120:121], v[200:201], v[194:195]
	v_fma_f64 v[120:121], v[198:199], v[196:197], -v[120:121]
	v_mul_f64 v[198:199], v[198:199], v[194:195]
	v_fmac_f64_e32 v[198:199], v[200:201], v[196:197]
	v_add_f64 v[228:229], v[228:229], -v[198:199]
	ds_read2_b64 v[198:201], v213 offset0:38 offset1:39
	v_add_f64 v[226:227], v[226:227], -v[120:121]
	s_waitcnt lgkmcnt(0)
	v_mul_f64 v[120:121], v[200:201], v[194:195]
	v_fma_f64 v[120:121], v[198:199], v[196:197], -v[120:121]
	v_mul_f64 v[198:199], v[198:199], v[194:195]
	v_fmac_f64_e32 v[198:199], v[200:201], v[196:197]
	v_add_f64 v[242:243], v[242:243], -v[198:199]
	ds_read2_b64 v[198:201], v213 offset0:40 offset1:41
	v_add_f64 v[240:241], v[240:241], -v[120:121]
	;; [unrolled: 8-line block ×30, first 2 shown]
	s_waitcnt lgkmcnt(0)
	v_mul_f64 v[120:121], v[200:201], v[194:195]
	v_fma_f64 v[120:121], v[198:199], v[196:197], -v[120:121]
	v_mul_f64 v[198:199], v[198:199], v[194:195]
	v_fmac_f64_e32 v[198:199], v[200:201], v[196:197]
	scratch_load_dwordx4 v[200:203], off, off ; 16-byte Folded Reload
	s_waitcnt vmcnt(0)
	v_add_f64 v[200:201], v[200:201], -v[120:121]
	v_mov_b64_e32 v[120:121], v[184:185]
	v_add_f64 v[202:203], v[202:203], -v[198:199]
	scratch_store_dwordx4 off, v[200:203], off ; 16-byte Folded Spill
.LBB97_163:
	s_or_b64 exec, exec, s[2:3]
	v_cmp_eq_u32_e32 vcc, 18, v214
	s_barrier
	s_and_saveexec_b64 s[4:5], vcc
	s_cbranch_execz .LBB97_170
; %bb.164:
	ds_write2_b64 v215, v[226:227], v[228:229] offset1:1
	ds_write2_b64 v213, v[240:241], v[242:243] offset0:38 offset1:39
	ds_write2_b64 v213, v[108:109], v[110:111] offset0:40 offset1:41
	;; [unrolled: 1-line block ×29, first 2 shown]
	scratch_load_dwordx4 v[196:199], off, off ; 16-byte Folded Reload
	s_waitcnt vmcnt(0)
	ds_write2_b64 v213, v[196:197], v[198:199] offset0:96 offset1:97
	ds_read2_b64 v[196:199], v215 offset1:1
	s_waitcnt lgkmcnt(0)
	v_cmp_neq_f64_e32 vcc, 0, v[196:197]
	v_cmp_neq_f64_e64 s[2:3], 0, v[198:199]
	s_or_b64 s[2:3], vcc, s[2:3]
	s_and_b64 exec, exec, s[2:3]
	s_cbranch_execz .LBB97_170
; %bb.165:
	v_cmp_ngt_f64_e64 s[2:3], |v[196:197]|, |v[198:199]|
                                        ; implicit-def: $vgpr200_vgpr201
	s_and_saveexec_b64 s[10:11], s[2:3]
	s_xor_b64 s[2:3], exec, s[10:11]
                                        ; implicit-def: $vgpr202_vgpr203
	s_cbranch_execz .LBB97_167
; %bb.166:
	v_div_scale_f64 v[200:201], s[10:11], v[198:199], v[198:199], v[196:197]
	v_rcp_f64_e32 v[202:203], v[200:201]
	v_div_scale_f64 v[204:205], vcc, v[196:197], v[198:199], v[196:197]
	v_fma_f64 v[206:207], -v[200:201], v[202:203], 1.0
	v_fmac_f64_e32 v[202:203], v[202:203], v[206:207]
	v_fma_f64 v[206:207], -v[200:201], v[202:203], 1.0
	v_fmac_f64_e32 v[202:203], v[202:203], v[206:207]
	v_mul_f64 v[206:207], v[204:205], v[202:203]
	v_fma_f64 v[200:201], -v[200:201], v[206:207], v[204:205]
	v_div_fmas_f64 v[200:201], v[200:201], v[202:203], v[206:207]
	v_div_fixup_f64 v[200:201], v[200:201], v[198:199], v[196:197]
	v_fmac_f64_e32 v[198:199], v[196:197], v[200:201]
	v_div_scale_f64 v[196:197], s[10:11], v[198:199], v[198:199], 1.0
	v_rcp_f64_e32 v[202:203], v[196:197]
	s_nop 0
	v_fma_f64 v[204:205], -v[196:197], v[202:203], 1.0
	v_fmac_f64_e32 v[202:203], v[202:203], v[204:205]
	v_fma_f64 v[204:205], -v[196:197], v[202:203], 1.0
	v_fmac_f64_e32 v[202:203], v[202:203], v[204:205]
	v_div_scale_f64 v[204:205], vcc, 1.0, v[198:199], 1.0
	v_mul_f64 v[206:207], v[204:205], v[202:203]
	v_fma_f64 v[196:197], -v[196:197], v[206:207], v[204:205]
	s_nop 1
	v_div_fmas_f64 v[196:197], v[196:197], v[202:203], v[206:207]
	v_div_fixup_f64 v[202:203], v[196:197], v[198:199], 1.0
	v_mul_f64 v[200:201], v[200:201], v[202:203]
	v_xor_b32_e32 v203, 0x80000000, v203
                                        ; implicit-def: $vgpr196_vgpr197
.LBB97_167:
	s_andn2_saveexec_b64 s[2:3], s[2:3]
	s_cbranch_execz .LBB97_169
; %bb.168:
	v_div_scale_f64 v[200:201], s[10:11], v[196:197], v[196:197], v[198:199]
	v_rcp_f64_e32 v[202:203], v[200:201]
	v_div_scale_f64 v[204:205], vcc, v[198:199], v[196:197], v[198:199]
	v_fma_f64 v[206:207], -v[200:201], v[202:203], 1.0
	v_fmac_f64_e32 v[202:203], v[202:203], v[206:207]
	v_fma_f64 v[206:207], -v[200:201], v[202:203], 1.0
	v_fmac_f64_e32 v[202:203], v[202:203], v[206:207]
	v_mul_f64 v[206:207], v[204:205], v[202:203]
	v_fma_f64 v[200:201], -v[200:201], v[206:207], v[204:205]
	v_div_fmas_f64 v[200:201], v[200:201], v[202:203], v[206:207]
	v_div_fixup_f64 v[202:203], v[200:201], v[196:197], v[198:199]
	v_fmac_f64_e32 v[196:197], v[198:199], v[202:203]
	v_div_scale_f64 v[198:199], s[10:11], v[196:197], v[196:197], 1.0
	v_rcp_f64_e32 v[200:201], v[198:199]
	s_nop 0
	v_fma_f64 v[204:205], -v[198:199], v[200:201], 1.0
	v_fmac_f64_e32 v[200:201], v[200:201], v[204:205]
	v_fma_f64 v[204:205], -v[198:199], v[200:201], 1.0
	v_fmac_f64_e32 v[200:201], v[200:201], v[204:205]
	v_div_scale_f64 v[204:205], vcc, 1.0, v[196:197], 1.0
	v_mul_f64 v[206:207], v[204:205], v[200:201]
	v_fma_f64 v[198:199], -v[198:199], v[206:207], v[204:205]
	s_nop 1
	v_div_fmas_f64 v[198:199], v[198:199], v[200:201], v[206:207]
	v_div_fixup_f64 v[200:201], v[198:199], v[196:197], 1.0
	v_mul_f64 v[202:203], v[202:203], -v[200:201]
.LBB97_169:
	s_or_b64 exec, exec, s[2:3]
	ds_write2_b64 v215, v[200:201], v[202:203] offset1:1
.LBB97_170:
	s_or_b64 exec, exec, s[4:5]
	s_waitcnt lgkmcnt(0)
	s_barrier
	ds_read2_b64 v[196:199], v215 offset1:1
	v_cmp_lt_u32_e32 vcc, 18, v214
	s_waitcnt lgkmcnt(0)
	scratch_store_dwordx4 off, v[196:199], off offset:584 ; 16-byte Folded Spill
	s_and_saveexec_b64 s[2:3], vcc
	s_cbranch_execz .LBB97_172
; %bb.171:
	scratch_load_dwordx4 v[198:201], off, off offset:584 ; 16-byte Folded Reload
	v_mov_b64_e32 v[184:185], v[116:117]
	s_waitcnt vmcnt(0)
	v_mul_f64 v[196:197], v[200:201], v[228:229]
	v_mul_f64 v[228:229], v[198:199], v[228:229]
	v_fma_f64 v[196:197], v[198:199], v[226:227], -v[196:197]
	v_fmac_f64_e32 v[228:229], v[200:201], v[226:227]
	ds_read2_b64 v[198:201], v213 offset0:38 offset1:39
	v_mov_b64_e32 v[226:227], v[196:197]
	s_waitcnt lgkmcnt(0)
	v_mul_f64 v[116:117], v[200:201], v[228:229]
	v_fma_f64 v[116:117], v[198:199], v[196:197], -v[116:117]
	v_mul_f64 v[198:199], v[198:199], v[228:229]
	v_fmac_f64_e32 v[198:199], v[200:201], v[196:197]
	v_add_f64 v[242:243], v[242:243], -v[198:199]
	ds_read2_b64 v[198:201], v213 offset0:40 offset1:41
	v_add_f64 v[240:241], v[240:241], -v[116:117]
	s_waitcnt lgkmcnt(0)
	v_mul_f64 v[116:117], v[200:201], v[228:229]
	v_fma_f64 v[116:117], v[198:199], v[196:197], -v[116:117]
	v_mul_f64 v[198:199], v[198:199], v[228:229]
	v_fmac_f64_e32 v[198:199], v[200:201], v[196:197]
	v_add_f64 v[110:111], v[110:111], -v[198:199]
	ds_read2_b64 v[198:201], v213 offset0:42 offset1:43
	v_add_f64 v[108:109], v[108:109], -v[116:117]
	;; [unrolled: 8-line block ×29, first 2 shown]
	s_waitcnt lgkmcnt(0)
	v_mul_f64 v[116:117], v[200:201], v[228:229]
	v_fma_f64 v[116:117], v[198:199], v[196:197], -v[116:117]
	v_mul_f64 v[198:199], v[198:199], v[228:229]
	v_fmac_f64_e32 v[198:199], v[200:201], v[196:197]
	scratch_load_dwordx4 v[200:203], off, off ; 16-byte Folded Reload
	s_waitcnt vmcnt(0)
	v_add_f64 v[200:201], v[200:201], -v[116:117]
	v_mov_b64_e32 v[116:117], v[184:185]
	v_add_f64 v[202:203], v[202:203], -v[198:199]
	scratch_store_dwordx4 off, v[200:203], off ; 16-byte Folded Spill
.LBB97_172:
	s_or_b64 exec, exec, s[2:3]
	v_cmp_eq_u32_e32 vcc, 19, v214
	s_barrier
	s_and_saveexec_b64 s[4:5], vcc
	s_cbranch_execz .LBB97_179
; %bb.173:
	ds_write2_b64 v215, v[240:241], v[242:243] offset1:1
	ds_write2_b64 v213, v[108:109], v[110:111] offset0:40 offset1:41
	ds_write2_b64 v213, v[104:105], v[106:107] offset0:42 offset1:43
	;; [unrolled: 1-line block ×28, first 2 shown]
	scratch_load_dwordx4 v[196:199], off, off ; 16-byte Folded Reload
	s_waitcnt vmcnt(0)
	ds_write2_b64 v213, v[196:197], v[198:199] offset0:96 offset1:97
	ds_read2_b64 v[196:199], v215 offset1:1
	s_waitcnt lgkmcnt(0)
	v_cmp_neq_f64_e32 vcc, 0, v[196:197]
	v_cmp_neq_f64_e64 s[2:3], 0, v[198:199]
	s_or_b64 s[2:3], vcc, s[2:3]
	s_and_b64 exec, exec, s[2:3]
	s_cbranch_execz .LBB97_179
; %bb.174:
	v_cmp_ngt_f64_e64 s[2:3], |v[196:197]|, |v[198:199]|
                                        ; implicit-def: $vgpr200_vgpr201
	s_and_saveexec_b64 s[10:11], s[2:3]
	s_xor_b64 s[2:3], exec, s[10:11]
                                        ; implicit-def: $vgpr202_vgpr203
	s_cbranch_execz .LBB97_176
; %bb.175:
	v_div_scale_f64 v[200:201], s[10:11], v[198:199], v[198:199], v[196:197]
	v_rcp_f64_e32 v[202:203], v[200:201]
	v_div_scale_f64 v[204:205], vcc, v[196:197], v[198:199], v[196:197]
	v_fma_f64 v[206:207], -v[200:201], v[202:203], 1.0
	v_fmac_f64_e32 v[202:203], v[202:203], v[206:207]
	v_fma_f64 v[206:207], -v[200:201], v[202:203], 1.0
	v_fmac_f64_e32 v[202:203], v[202:203], v[206:207]
	v_mul_f64 v[206:207], v[204:205], v[202:203]
	v_fma_f64 v[200:201], -v[200:201], v[206:207], v[204:205]
	v_div_fmas_f64 v[200:201], v[200:201], v[202:203], v[206:207]
	v_div_fixup_f64 v[200:201], v[200:201], v[198:199], v[196:197]
	v_fmac_f64_e32 v[198:199], v[196:197], v[200:201]
	v_div_scale_f64 v[196:197], s[10:11], v[198:199], v[198:199], 1.0
	v_rcp_f64_e32 v[202:203], v[196:197]
	s_nop 0
	v_fma_f64 v[204:205], -v[196:197], v[202:203], 1.0
	v_fmac_f64_e32 v[202:203], v[202:203], v[204:205]
	v_fma_f64 v[204:205], -v[196:197], v[202:203], 1.0
	v_fmac_f64_e32 v[202:203], v[202:203], v[204:205]
	v_div_scale_f64 v[204:205], vcc, 1.0, v[198:199], 1.0
	v_mul_f64 v[206:207], v[204:205], v[202:203]
	v_fma_f64 v[196:197], -v[196:197], v[206:207], v[204:205]
	s_nop 1
	v_div_fmas_f64 v[196:197], v[196:197], v[202:203], v[206:207]
	v_div_fixup_f64 v[202:203], v[196:197], v[198:199], 1.0
	v_mul_f64 v[200:201], v[200:201], v[202:203]
	v_xor_b32_e32 v203, 0x80000000, v203
                                        ; implicit-def: $vgpr196_vgpr197
.LBB97_176:
	s_andn2_saveexec_b64 s[2:3], s[2:3]
	s_cbranch_execz .LBB97_178
; %bb.177:
	v_div_scale_f64 v[200:201], s[10:11], v[196:197], v[196:197], v[198:199]
	v_rcp_f64_e32 v[202:203], v[200:201]
	v_div_scale_f64 v[204:205], vcc, v[198:199], v[196:197], v[198:199]
	v_fma_f64 v[206:207], -v[200:201], v[202:203], 1.0
	v_fmac_f64_e32 v[202:203], v[202:203], v[206:207]
	v_fma_f64 v[206:207], -v[200:201], v[202:203], 1.0
	v_fmac_f64_e32 v[202:203], v[202:203], v[206:207]
	v_mul_f64 v[206:207], v[204:205], v[202:203]
	v_fma_f64 v[200:201], -v[200:201], v[206:207], v[204:205]
	v_div_fmas_f64 v[200:201], v[200:201], v[202:203], v[206:207]
	v_div_fixup_f64 v[202:203], v[200:201], v[196:197], v[198:199]
	v_fmac_f64_e32 v[196:197], v[198:199], v[202:203]
	v_div_scale_f64 v[198:199], s[10:11], v[196:197], v[196:197], 1.0
	v_rcp_f64_e32 v[200:201], v[198:199]
	s_nop 0
	v_fma_f64 v[204:205], -v[198:199], v[200:201], 1.0
	v_fmac_f64_e32 v[200:201], v[200:201], v[204:205]
	v_fma_f64 v[204:205], -v[198:199], v[200:201], 1.0
	v_fmac_f64_e32 v[200:201], v[200:201], v[204:205]
	v_div_scale_f64 v[204:205], vcc, 1.0, v[196:197], 1.0
	v_mul_f64 v[206:207], v[204:205], v[200:201]
	v_fma_f64 v[198:199], -v[198:199], v[206:207], v[204:205]
	s_nop 1
	v_div_fmas_f64 v[198:199], v[198:199], v[200:201], v[206:207]
	v_div_fixup_f64 v[200:201], v[198:199], v[196:197], 1.0
	v_mul_f64 v[202:203], v[202:203], -v[200:201]
.LBB97_178:
	s_or_b64 exec, exec, s[2:3]
	ds_write2_b64 v215, v[200:201], v[202:203] offset1:1
.LBB97_179:
	s_or_b64 exec, exec, s[4:5]
	s_waitcnt lgkmcnt(0)
	s_barrier
	ds_read2_b64 v[196:199], v215 offset1:1
	v_cmp_lt_u32_e32 vcc, 19, v214
	s_waitcnt lgkmcnt(0)
	scratch_store_dwordx4 off, v[196:199], off offset:600 ; 16-byte Folded Spill
	s_and_saveexec_b64 s[2:3], vcc
	s_cbranch_execz .LBB97_181
; %bb.180:
	scratch_load_dwordx4 v[198:201], off, off offset:600 ; 16-byte Folded Reload
	v_mov_b64_e32 v[184:185], v[112:113]
	s_waitcnt vmcnt(0)
	v_mul_f64 v[196:197], v[200:201], v[242:243]
	v_mul_f64 v[242:243], v[198:199], v[242:243]
	v_fma_f64 v[196:197], v[198:199], v[240:241], -v[196:197]
	v_fmac_f64_e32 v[242:243], v[200:201], v[240:241]
	ds_read2_b64 v[198:201], v213 offset0:40 offset1:41
	v_mov_b64_e32 v[240:241], v[196:197]
	s_waitcnt lgkmcnt(0)
	v_mul_f64 v[112:113], v[200:201], v[242:243]
	v_fma_f64 v[112:113], v[198:199], v[196:197], -v[112:113]
	v_mul_f64 v[198:199], v[198:199], v[242:243]
	v_fmac_f64_e32 v[198:199], v[200:201], v[196:197]
	v_add_f64 v[110:111], v[110:111], -v[198:199]
	ds_read2_b64 v[198:201], v213 offset0:42 offset1:43
	v_add_f64 v[108:109], v[108:109], -v[112:113]
	s_waitcnt lgkmcnt(0)
	v_mul_f64 v[112:113], v[200:201], v[242:243]
	v_fma_f64 v[112:113], v[198:199], v[196:197], -v[112:113]
	v_mul_f64 v[198:199], v[198:199], v[242:243]
	v_fmac_f64_e32 v[198:199], v[200:201], v[196:197]
	v_add_f64 v[106:107], v[106:107], -v[198:199]
	ds_read2_b64 v[198:201], v213 offset0:44 offset1:45
	v_add_f64 v[104:105], v[104:105], -v[112:113]
	;; [unrolled: 8-line block ×28, first 2 shown]
	s_waitcnt lgkmcnt(0)
	v_mul_f64 v[112:113], v[200:201], v[242:243]
	v_fma_f64 v[112:113], v[198:199], v[196:197], -v[112:113]
	v_mul_f64 v[198:199], v[198:199], v[242:243]
	v_fmac_f64_e32 v[198:199], v[200:201], v[196:197]
	scratch_load_dwordx4 v[200:203], off, off ; 16-byte Folded Reload
	s_waitcnt vmcnt(0)
	v_add_f64 v[200:201], v[200:201], -v[112:113]
	v_mov_b64_e32 v[112:113], v[184:185]
	v_add_f64 v[202:203], v[202:203], -v[198:199]
	scratch_store_dwordx4 off, v[200:203], off ; 16-byte Folded Spill
.LBB97_181:
	s_or_b64 exec, exec, s[2:3]
	v_cmp_eq_u32_e32 vcc, 20, v214
	s_barrier
	s_and_saveexec_b64 s[4:5], vcc
	s_cbranch_execz .LBB97_188
; %bb.182:
	ds_write2_b64 v215, v[108:109], v[110:111] offset1:1
	ds_write2_b64 v213, v[104:105], v[106:107] offset0:42 offset1:43
	ds_write2_b64 v213, v[100:101], v[102:103] offset0:44 offset1:45
	ds_write2_b64 v213, v[96:97], v[98:99] offset0:46 offset1:47
	ds_write2_b64 v213, v[92:93], v[94:95] offset0:48 offset1:49
	ds_write2_b64 v213, v[88:89], v[90:91] offset0:50 offset1:51
	ds_write2_b64 v213, v[84:85], v[86:87] offset0:52 offset1:53
	ds_write2_b64 v213, v[80:81], v[82:83] offset0:54 offset1:55
	ds_write2_b64 v213, v[76:77], v[78:79] offset0:56 offset1:57
	ds_write2_b64 v213, v[72:73], v[74:75] offset0:58 offset1:59
	ds_write2_b64 v213, v[68:69], v[70:71] offset0:60 offset1:61
	ds_write2_b64 v213, v[64:65], v[66:67] offset0:62 offset1:63
	ds_write2_b64 v213, v[60:61], v[62:63] offset0:64 offset1:65
	ds_write2_b64 v213, v[56:57], v[58:59] offset0:66 offset1:67
	ds_write2_b64 v213, v[52:53], v[54:55] offset0:68 offset1:69
	ds_write2_b64 v213, v[48:49], v[50:51] offset0:70 offset1:71
	ds_write2_b64 v213, v[44:45], v[46:47] offset0:72 offset1:73
	ds_write2_b64 v213, v[40:41], v[42:43] offset0:74 offset1:75
	ds_write2_b64 v213, v[36:37], v[38:39] offset0:76 offset1:77
	ds_write2_b64 v213, v[32:33], v[34:35] offset0:78 offset1:79
	ds_write2_b64 v213, v[28:29], v[30:31] offset0:80 offset1:81
	ds_write2_b64 v213, v[24:25], v[26:27] offset0:82 offset1:83
	ds_write2_b64 v213, v[20:21], v[22:23] offset0:84 offset1:85
	ds_write2_b64 v213, v[16:17], v[18:19] offset0:86 offset1:87
	ds_write2_b64 v213, v[12:13], v[14:15] offset0:88 offset1:89
	ds_write2_b64 v213, v[8:9], v[10:11] offset0:90 offset1:91
	ds_write2_b64 v213, v[4:5], v[6:7] offset0:92 offset1:93
	ds_write2_b64 v213, v[0:1], v[2:3] offset0:94 offset1:95
	scratch_load_dwordx4 v[196:199], off, off ; 16-byte Folded Reload
	s_waitcnt vmcnt(0)
	ds_write2_b64 v213, v[196:197], v[198:199] offset0:96 offset1:97
	ds_read2_b64 v[196:199], v215 offset1:1
	s_waitcnt lgkmcnt(0)
	v_cmp_neq_f64_e32 vcc, 0, v[196:197]
	v_cmp_neq_f64_e64 s[2:3], 0, v[198:199]
	s_or_b64 s[2:3], vcc, s[2:3]
	s_and_b64 exec, exec, s[2:3]
	s_cbranch_execz .LBB97_188
; %bb.183:
	v_cmp_ngt_f64_e64 s[2:3], |v[196:197]|, |v[198:199]|
                                        ; implicit-def: $vgpr200_vgpr201
	s_and_saveexec_b64 s[10:11], s[2:3]
	s_xor_b64 s[2:3], exec, s[10:11]
                                        ; implicit-def: $vgpr202_vgpr203
	s_cbranch_execz .LBB97_185
; %bb.184:
	v_div_scale_f64 v[200:201], s[10:11], v[198:199], v[198:199], v[196:197]
	v_rcp_f64_e32 v[202:203], v[200:201]
	v_div_scale_f64 v[204:205], vcc, v[196:197], v[198:199], v[196:197]
	v_fma_f64 v[206:207], -v[200:201], v[202:203], 1.0
	v_fmac_f64_e32 v[202:203], v[202:203], v[206:207]
	v_fma_f64 v[206:207], -v[200:201], v[202:203], 1.0
	v_fmac_f64_e32 v[202:203], v[202:203], v[206:207]
	v_mul_f64 v[206:207], v[204:205], v[202:203]
	v_fma_f64 v[200:201], -v[200:201], v[206:207], v[204:205]
	v_div_fmas_f64 v[200:201], v[200:201], v[202:203], v[206:207]
	v_div_fixup_f64 v[200:201], v[200:201], v[198:199], v[196:197]
	v_fmac_f64_e32 v[198:199], v[196:197], v[200:201]
	v_div_scale_f64 v[196:197], s[10:11], v[198:199], v[198:199], 1.0
	v_rcp_f64_e32 v[202:203], v[196:197]
	s_nop 0
	v_fma_f64 v[204:205], -v[196:197], v[202:203], 1.0
	v_fmac_f64_e32 v[202:203], v[202:203], v[204:205]
	v_fma_f64 v[204:205], -v[196:197], v[202:203], 1.0
	v_fmac_f64_e32 v[202:203], v[202:203], v[204:205]
	v_div_scale_f64 v[204:205], vcc, 1.0, v[198:199], 1.0
	v_mul_f64 v[206:207], v[204:205], v[202:203]
	v_fma_f64 v[196:197], -v[196:197], v[206:207], v[204:205]
	s_nop 1
	v_div_fmas_f64 v[196:197], v[196:197], v[202:203], v[206:207]
	v_div_fixup_f64 v[202:203], v[196:197], v[198:199], 1.0
	v_mul_f64 v[200:201], v[200:201], v[202:203]
	v_xor_b32_e32 v203, 0x80000000, v203
                                        ; implicit-def: $vgpr196_vgpr197
.LBB97_185:
	s_andn2_saveexec_b64 s[2:3], s[2:3]
	s_cbranch_execz .LBB97_187
; %bb.186:
	v_div_scale_f64 v[200:201], s[10:11], v[196:197], v[196:197], v[198:199]
	v_rcp_f64_e32 v[202:203], v[200:201]
	v_div_scale_f64 v[204:205], vcc, v[198:199], v[196:197], v[198:199]
	v_fma_f64 v[206:207], -v[200:201], v[202:203], 1.0
	v_fmac_f64_e32 v[202:203], v[202:203], v[206:207]
	v_fma_f64 v[206:207], -v[200:201], v[202:203], 1.0
	v_fmac_f64_e32 v[202:203], v[202:203], v[206:207]
	v_mul_f64 v[206:207], v[204:205], v[202:203]
	v_fma_f64 v[200:201], -v[200:201], v[206:207], v[204:205]
	v_div_fmas_f64 v[200:201], v[200:201], v[202:203], v[206:207]
	v_div_fixup_f64 v[202:203], v[200:201], v[196:197], v[198:199]
	v_fmac_f64_e32 v[196:197], v[198:199], v[202:203]
	v_div_scale_f64 v[198:199], s[10:11], v[196:197], v[196:197], 1.0
	v_rcp_f64_e32 v[200:201], v[198:199]
	s_nop 0
	v_fma_f64 v[204:205], -v[198:199], v[200:201], 1.0
	v_fmac_f64_e32 v[200:201], v[200:201], v[204:205]
	v_fma_f64 v[204:205], -v[198:199], v[200:201], 1.0
	v_fmac_f64_e32 v[200:201], v[200:201], v[204:205]
	v_div_scale_f64 v[204:205], vcc, 1.0, v[196:197], 1.0
	v_mul_f64 v[206:207], v[204:205], v[200:201]
	v_fma_f64 v[198:199], -v[198:199], v[206:207], v[204:205]
	s_nop 1
	v_div_fmas_f64 v[198:199], v[198:199], v[200:201], v[206:207]
	v_div_fixup_f64 v[200:201], v[198:199], v[196:197], 1.0
	v_mul_f64 v[202:203], v[202:203], -v[200:201]
.LBB97_187:
	s_or_b64 exec, exec, s[2:3]
	ds_write2_b64 v215, v[200:201], v[202:203] offset1:1
.LBB97_188:
	s_or_b64 exec, exec, s[4:5]
	s_waitcnt lgkmcnt(0)
	s_barrier
	ds_read2_b64 v[196:199], v215 offset1:1
	v_cmp_lt_u32_e32 vcc, 20, v214
	s_waitcnt lgkmcnt(0)
	scratch_store_dwordx4 off, v[196:199], off offset:616 ; 16-byte Folded Spill
	s_and_saveexec_b64 s[2:3], vcc
	s_cbranch_execz .LBB97_190
; %bb.189:
	scratch_load_dwordx4 v[198:201], off, off offset:616 ; 16-byte Folded Reload
	s_waitcnt vmcnt(0)
	v_mul_f64 v[196:197], v[200:201], v[110:111]
	v_mul_f64 v[110:111], v[198:199], v[110:111]
	v_fma_f64 v[196:197], v[198:199], v[108:109], -v[196:197]
	v_fmac_f64_e32 v[110:111], v[200:201], v[108:109]
	ds_read2_b64 v[198:201], v213 offset0:42 offset1:43
	s_waitcnt lgkmcnt(0)
	v_mul_f64 v[108:109], v[200:201], v[110:111]
	v_fma_f64 v[108:109], v[198:199], v[196:197], -v[108:109]
	v_mul_f64 v[198:199], v[198:199], v[110:111]
	v_fmac_f64_e32 v[198:199], v[200:201], v[196:197]
	v_add_f64 v[106:107], v[106:107], -v[198:199]
	ds_read2_b64 v[198:201], v213 offset0:44 offset1:45
	v_add_f64 v[104:105], v[104:105], -v[108:109]
	s_waitcnt lgkmcnt(0)
	v_mul_f64 v[108:109], v[200:201], v[110:111]
	v_fma_f64 v[108:109], v[198:199], v[196:197], -v[108:109]
	v_mul_f64 v[198:199], v[198:199], v[110:111]
	v_fmac_f64_e32 v[198:199], v[200:201], v[196:197]
	v_add_f64 v[102:103], v[102:103], -v[198:199]
	ds_read2_b64 v[198:201], v213 offset0:46 offset1:47
	v_add_f64 v[100:101], v[100:101], -v[108:109]
	;; [unrolled: 8-line block ×27, first 2 shown]
	s_waitcnt lgkmcnt(0)
	v_mul_f64 v[108:109], v[200:201], v[110:111]
	v_fma_f64 v[108:109], v[198:199], v[196:197], -v[108:109]
	v_mul_f64 v[198:199], v[198:199], v[110:111]
	v_fmac_f64_e32 v[198:199], v[200:201], v[196:197]
	scratch_load_dwordx4 v[200:203], off, off ; 16-byte Folded Reload
	s_waitcnt vmcnt(0)
	v_add_f64 v[200:201], v[200:201], -v[108:109]
	v_add_f64 v[202:203], v[202:203], -v[198:199]
	v_mov_b64_e32 v[108:109], v[196:197]
	scratch_store_dwordx4 off, v[200:203], off ; 16-byte Folded Spill
.LBB97_190:
	s_or_b64 exec, exec, s[2:3]
	v_cmp_eq_u32_e32 vcc, 21, v214
	s_barrier
	s_and_saveexec_b64 s[4:5], vcc
	s_cbranch_execz .LBB97_197
; %bb.191:
	ds_write2_b64 v215, v[104:105], v[106:107] offset1:1
	ds_write2_b64 v213, v[100:101], v[102:103] offset0:44 offset1:45
	ds_write2_b64 v213, v[96:97], v[98:99] offset0:46 offset1:47
	;; [unrolled: 1-line block ×26, first 2 shown]
	scratch_load_dwordx4 v[196:199], off, off ; 16-byte Folded Reload
	s_waitcnt vmcnt(0)
	ds_write2_b64 v213, v[196:197], v[198:199] offset0:96 offset1:97
	ds_read2_b64 v[196:199], v215 offset1:1
	s_waitcnt lgkmcnt(0)
	v_cmp_neq_f64_e32 vcc, 0, v[196:197]
	v_cmp_neq_f64_e64 s[2:3], 0, v[198:199]
	s_or_b64 s[2:3], vcc, s[2:3]
	s_and_b64 exec, exec, s[2:3]
	s_cbranch_execz .LBB97_197
; %bb.192:
	v_cmp_ngt_f64_e64 s[2:3], |v[196:197]|, |v[198:199]|
                                        ; implicit-def: $vgpr200_vgpr201
	s_and_saveexec_b64 s[10:11], s[2:3]
	s_xor_b64 s[2:3], exec, s[10:11]
                                        ; implicit-def: $vgpr202_vgpr203
	s_cbranch_execz .LBB97_194
; %bb.193:
	v_div_scale_f64 v[200:201], s[10:11], v[198:199], v[198:199], v[196:197]
	v_rcp_f64_e32 v[202:203], v[200:201]
	v_div_scale_f64 v[204:205], vcc, v[196:197], v[198:199], v[196:197]
	v_fma_f64 v[206:207], -v[200:201], v[202:203], 1.0
	v_fmac_f64_e32 v[202:203], v[202:203], v[206:207]
	v_fma_f64 v[206:207], -v[200:201], v[202:203], 1.0
	v_fmac_f64_e32 v[202:203], v[202:203], v[206:207]
	v_mul_f64 v[206:207], v[204:205], v[202:203]
	v_fma_f64 v[200:201], -v[200:201], v[206:207], v[204:205]
	v_div_fmas_f64 v[200:201], v[200:201], v[202:203], v[206:207]
	v_div_fixup_f64 v[200:201], v[200:201], v[198:199], v[196:197]
	v_fmac_f64_e32 v[198:199], v[196:197], v[200:201]
	v_div_scale_f64 v[196:197], s[10:11], v[198:199], v[198:199], 1.0
	v_rcp_f64_e32 v[202:203], v[196:197]
	s_nop 0
	v_fma_f64 v[204:205], -v[196:197], v[202:203], 1.0
	v_fmac_f64_e32 v[202:203], v[202:203], v[204:205]
	v_fma_f64 v[204:205], -v[196:197], v[202:203], 1.0
	v_fmac_f64_e32 v[202:203], v[202:203], v[204:205]
	v_div_scale_f64 v[204:205], vcc, 1.0, v[198:199], 1.0
	v_mul_f64 v[206:207], v[204:205], v[202:203]
	v_fma_f64 v[196:197], -v[196:197], v[206:207], v[204:205]
	s_nop 1
	v_div_fmas_f64 v[196:197], v[196:197], v[202:203], v[206:207]
	v_div_fixup_f64 v[202:203], v[196:197], v[198:199], 1.0
	v_mul_f64 v[200:201], v[200:201], v[202:203]
	v_xor_b32_e32 v203, 0x80000000, v203
                                        ; implicit-def: $vgpr196_vgpr197
.LBB97_194:
	s_andn2_saveexec_b64 s[2:3], s[2:3]
	s_cbranch_execz .LBB97_196
; %bb.195:
	v_div_scale_f64 v[200:201], s[10:11], v[196:197], v[196:197], v[198:199]
	v_rcp_f64_e32 v[202:203], v[200:201]
	v_div_scale_f64 v[204:205], vcc, v[198:199], v[196:197], v[198:199]
	v_fma_f64 v[206:207], -v[200:201], v[202:203], 1.0
	v_fmac_f64_e32 v[202:203], v[202:203], v[206:207]
	v_fma_f64 v[206:207], -v[200:201], v[202:203], 1.0
	v_fmac_f64_e32 v[202:203], v[202:203], v[206:207]
	v_mul_f64 v[206:207], v[204:205], v[202:203]
	v_fma_f64 v[200:201], -v[200:201], v[206:207], v[204:205]
	v_div_fmas_f64 v[200:201], v[200:201], v[202:203], v[206:207]
	v_div_fixup_f64 v[202:203], v[200:201], v[196:197], v[198:199]
	v_fmac_f64_e32 v[196:197], v[198:199], v[202:203]
	v_div_scale_f64 v[198:199], s[10:11], v[196:197], v[196:197], 1.0
	v_rcp_f64_e32 v[200:201], v[198:199]
	s_nop 0
	v_fma_f64 v[204:205], -v[198:199], v[200:201], 1.0
	v_fmac_f64_e32 v[200:201], v[200:201], v[204:205]
	v_fma_f64 v[204:205], -v[198:199], v[200:201], 1.0
	v_fmac_f64_e32 v[200:201], v[200:201], v[204:205]
	v_div_scale_f64 v[204:205], vcc, 1.0, v[196:197], 1.0
	v_mul_f64 v[206:207], v[204:205], v[200:201]
	v_fma_f64 v[198:199], -v[198:199], v[206:207], v[204:205]
	s_nop 1
	v_div_fmas_f64 v[198:199], v[198:199], v[200:201], v[206:207]
	v_div_fixup_f64 v[200:201], v[198:199], v[196:197], 1.0
	v_mul_f64 v[202:203], v[202:203], -v[200:201]
.LBB97_196:
	s_or_b64 exec, exec, s[2:3]
	ds_write2_b64 v215, v[200:201], v[202:203] offset1:1
.LBB97_197:
	s_or_b64 exec, exec, s[4:5]
	s_waitcnt lgkmcnt(0)
	s_barrier
	ds_read2_b64 v[196:199], v215 offset1:1
	v_cmp_lt_u32_e32 vcc, 21, v214
	s_waitcnt lgkmcnt(0)
	scratch_store_dwordx4 off, v[196:199], off offset:632 ; 16-byte Folded Spill
	s_and_saveexec_b64 s[2:3], vcc
	s_cbranch_execz .LBB97_199
; %bb.198:
	scratch_load_dwordx4 v[198:201], off, off offset:632 ; 16-byte Folded Reload
	s_waitcnt vmcnt(0)
	v_mul_f64 v[196:197], v[200:201], v[106:107]
	v_mul_f64 v[106:107], v[198:199], v[106:107]
	v_fma_f64 v[196:197], v[198:199], v[104:105], -v[196:197]
	v_fmac_f64_e32 v[106:107], v[200:201], v[104:105]
	ds_read2_b64 v[198:201], v213 offset0:44 offset1:45
	s_waitcnt lgkmcnt(0)
	v_mul_f64 v[104:105], v[200:201], v[106:107]
	v_fma_f64 v[104:105], v[198:199], v[196:197], -v[104:105]
	v_mul_f64 v[198:199], v[198:199], v[106:107]
	v_fmac_f64_e32 v[198:199], v[200:201], v[196:197]
	v_add_f64 v[102:103], v[102:103], -v[198:199]
	ds_read2_b64 v[198:201], v213 offset0:46 offset1:47
	v_add_f64 v[100:101], v[100:101], -v[104:105]
	s_waitcnt lgkmcnt(0)
	v_mul_f64 v[104:105], v[200:201], v[106:107]
	v_fma_f64 v[104:105], v[198:199], v[196:197], -v[104:105]
	v_mul_f64 v[198:199], v[198:199], v[106:107]
	v_fmac_f64_e32 v[198:199], v[200:201], v[196:197]
	v_add_f64 v[98:99], v[98:99], -v[198:199]
	ds_read2_b64 v[198:201], v213 offset0:48 offset1:49
	v_add_f64 v[96:97], v[96:97], -v[104:105]
	;; [unrolled: 8-line block ×26, first 2 shown]
	s_waitcnt lgkmcnt(0)
	v_mul_f64 v[104:105], v[200:201], v[106:107]
	v_fma_f64 v[104:105], v[198:199], v[196:197], -v[104:105]
	v_mul_f64 v[198:199], v[198:199], v[106:107]
	v_fmac_f64_e32 v[198:199], v[200:201], v[196:197]
	scratch_load_dwordx4 v[200:203], off, off ; 16-byte Folded Reload
	s_waitcnt vmcnt(0)
	v_add_f64 v[200:201], v[200:201], -v[104:105]
	v_add_f64 v[202:203], v[202:203], -v[198:199]
	v_mov_b64_e32 v[104:105], v[196:197]
	scratch_store_dwordx4 off, v[200:203], off ; 16-byte Folded Spill
.LBB97_199:
	s_or_b64 exec, exec, s[2:3]
	v_cmp_eq_u32_e32 vcc, 22, v214
	s_barrier
	s_and_saveexec_b64 s[4:5], vcc
	s_cbranch_execz .LBB97_206
; %bb.200:
	ds_write2_b64 v215, v[100:101], v[102:103] offset1:1
	ds_write2_b64 v213, v[96:97], v[98:99] offset0:46 offset1:47
	ds_write2_b64 v213, v[92:93], v[94:95] offset0:48 offset1:49
	;; [unrolled: 1-line block ×25, first 2 shown]
	scratch_load_dwordx4 v[196:199], off, off ; 16-byte Folded Reload
	s_waitcnt vmcnt(0)
	ds_write2_b64 v213, v[196:197], v[198:199] offset0:96 offset1:97
	ds_read2_b64 v[196:199], v215 offset1:1
	s_waitcnt lgkmcnt(0)
	v_cmp_neq_f64_e32 vcc, 0, v[196:197]
	v_cmp_neq_f64_e64 s[2:3], 0, v[198:199]
	s_or_b64 s[2:3], vcc, s[2:3]
	s_and_b64 exec, exec, s[2:3]
	s_cbranch_execz .LBB97_206
; %bb.201:
	v_cmp_ngt_f64_e64 s[2:3], |v[196:197]|, |v[198:199]|
                                        ; implicit-def: $vgpr200_vgpr201
	s_and_saveexec_b64 s[10:11], s[2:3]
	s_xor_b64 s[2:3], exec, s[10:11]
                                        ; implicit-def: $vgpr202_vgpr203
	s_cbranch_execz .LBB97_203
; %bb.202:
	v_div_scale_f64 v[200:201], s[10:11], v[198:199], v[198:199], v[196:197]
	v_rcp_f64_e32 v[202:203], v[200:201]
	v_div_scale_f64 v[204:205], vcc, v[196:197], v[198:199], v[196:197]
	v_fma_f64 v[206:207], -v[200:201], v[202:203], 1.0
	v_fmac_f64_e32 v[202:203], v[202:203], v[206:207]
	v_fma_f64 v[206:207], -v[200:201], v[202:203], 1.0
	v_fmac_f64_e32 v[202:203], v[202:203], v[206:207]
	v_mul_f64 v[206:207], v[204:205], v[202:203]
	v_fma_f64 v[200:201], -v[200:201], v[206:207], v[204:205]
	v_div_fmas_f64 v[200:201], v[200:201], v[202:203], v[206:207]
	v_div_fixup_f64 v[200:201], v[200:201], v[198:199], v[196:197]
	v_fmac_f64_e32 v[198:199], v[196:197], v[200:201]
	v_div_scale_f64 v[196:197], s[10:11], v[198:199], v[198:199], 1.0
	v_rcp_f64_e32 v[202:203], v[196:197]
	s_nop 0
	v_fma_f64 v[204:205], -v[196:197], v[202:203], 1.0
	v_fmac_f64_e32 v[202:203], v[202:203], v[204:205]
	v_fma_f64 v[204:205], -v[196:197], v[202:203], 1.0
	v_fmac_f64_e32 v[202:203], v[202:203], v[204:205]
	v_div_scale_f64 v[204:205], vcc, 1.0, v[198:199], 1.0
	v_mul_f64 v[206:207], v[204:205], v[202:203]
	v_fma_f64 v[196:197], -v[196:197], v[206:207], v[204:205]
	s_nop 1
	v_div_fmas_f64 v[196:197], v[196:197], v[202:203], v[206:207]
	v_div_fixup_f64 v[202:203], v[196:197], v[198:199], 1.0
	v_mul_f64 v[200:201], v[200:201], v[202:203]
	v_xor_b32_e32 v203, 0x80000000, v203
                                        ; implicit-def: $vgpr196_vgpr197
.LBB97_203:
	s_andn2_saveexec_b64 s[2:3], s[2:3]
	s_cbranch_execz .LBB97_205
; %bb.204:
	v_div_scale_f64 v[200:201], s[10:11], v[196:197], v[196:197], v[198:199]
	v_rcp_f64_e32 v[202:203], v[200:201]
	v_div_scale_f64 v[204:205], vcc, v[198:199], v[196:197], v[198:199]
	v_fma_f64 v[206:207], -v[200:201], v[202:203], 1.0
	v_fmac_f64_e32 v[202:203], v[202:203], v[206:207]
	v_fma_f64 v[206:207], -v[200:201], v[202:203], 1.0
	v_fmac_f64_e32 v[202:203], v[202:203], v[206:207]
	v_mul_f64 v[206:207], v[204:205], v[202:203]
	v_fma_f64 v[200:201], -v[200:201], v[206:207], v[204:205]
	v_div_fmas_f64 v[200:201], v[200:201], v[202:203], v[206:207]
	v_div_fixup_f64 v[202:203], v[200:201], v[196:197], v[198:199]
	v_fmac_f64_e32 v[196:197], v[198:199], v[202:203]
	v_div_scale_f64 v[198:199], s[10:11], v[196:197], v[196:197], 1.0
	v_rcp_f64_e32 v[200:201], v[198:199]
	s_nop 0
	v_fma_f64 v[204:205], -v[198:199], v[200:201], 1.0
	v_fmac_f64_e32 v[200:201], v[200:201], v[204:205]
	v_fma_f64 v[204:205], -v[198:199], v[200:201], 1.0
	v_fmac_f64_e32 v[200:201], v[200:201], v[204:205]
	v_div_scale_f64 v[204:205], vcc, 1.0, v[196:197], 1.0
	v_mul_f64 v[206:207], v[204:205], v[200:201]
	v_fma_f64 v[198:199], -v[198:199], v[206:207], v[204:205]
	s_nop 1
	v_div_fmas_f64 v[198:199], v[198:199], v[200:201], v[206:207]
	v_div_fixup_f64 v[200:201], v[198:199], v[196:197], 1.0
	v_mul_f64 v[202:203], v[202:203], -v[200:201]
.LBB97_205:
	s_or_b64 exec, exec, s[2:3]
	ds_write2_b64 v215, v[200:201], v[202:203] offset1:1
.LBB97_206:
	s_or_b64 exec, exec, s[4:5]
	s_waitcnt lgkmcnt(0)
	s_barrier
	ds_read2_b64 v[196:199], v215 offset1:1
	v_cmp_lt_u32_e32 vcc, 22, v214
	s_waitcnt lgkmcnt(0)
	scratch_store_dwordx4 off, v[196:199], off offset:648 ; 16-byte Folded Spill
	s_and_saveexec_b64 s[2:3], vcc
	s_cbranch_execz .LBB97_208
; %bb.207:
	scratch_load_dwordx4 v[198:201], off, off offset:648 ; 16-byte Folded Reload
	s_waitcnt vmcnt(0)
	v_mul_f64 v[196:197], v[200:201], v[102:103]
	v_mul_f64 v[102:103], v[198:199], v[102:103]
	v_fma_f64 v[196:197], v[198:199], v[100:101], -v[196:197]
	v_fmac_f64_e32 v[102:103], v[200:201], v[100:101]
	ds_read2_b64 v[198:201], v213 offset0:46 offset1:47
	s_waitcnt lgkmcnt(0)
	v_mul_f64 v[100:101], v[200:201], v[102:103]
	v_fma_f64 v[100:101], v[198:199], v[196:197], -v[100:101]
	v_mul_f64 v[198:199], v[198:199], v[102:103]
	v_fmac_f64_e32 v[198:199], v[200:201], v[196:197]
	v_add_f64 v[98:99], v[98:99], -v[198:199]
	ds_read2_b64 v[198:201], v213 offset0:48 offset1:49
	v_add_f64 v[96:97], v[96:97], -v[100:101]
	s_waitcnt lgkmcnt(0)
	v_mul_f64 v[100:101], v[200:201], v[102:103]
	v_fma_f64 v[100:101], v[198:199], v[196:197], -v[100:101]
	v_mul_f64 v[198:199], v[198:199], v[102:103]
	v_fmac_f64_e32 v[198:199], v[200:201], v[196:197]
	v_add_f64 v[94:95], v[94:95], -v[198:199]
	ds_read2_b64 v[198:201], v213 offset0:50 offset1:51
	v_add_f64 v[92:93], v[92:93], -v[100:101]
	;; [unrolled: 8-line block ×25, first 2 shown]
	s_waitcnt lgkmcnt(0)
	v_mul_f64 v[100:101], v[200:201], v[102:103]
	v_fma_f64 v[100:101], v[198:199], v[196:197], -v[100:101]
	v_mul_f64 v[198:199], v[198:199], v[102:103]
	v_fmac_f64_e32 v[198:199], v[200:201], v[196:197]
	scratch_load_dwordx4 v[200:203], off, off ; 16-byte Folded Reload
	s_waitcnt vmcnt(0)
	v_add_f64 v[200:201], v[200:201], -v[100:101]
	v_add_f64 v[202:203], v[202:203], -v[198:199]
	v_mov_b64_e32 v[100:101], v[196:197]
	scratch_store_dwordx4 off, v[200:203], off ; 16-byte Folded Spill
.LBB97_208:
	s_or_b64 exec, exec, s[2:3]
	v_cmp_eq_u32_e32 vcc, 23, v214
	s_barrier
	s_and_saveexec_b64 s[4:5], vcc
	s_cbranch_execz .LBB97_215
; %bb.209:
	ds_write2_b64 v215, v[96:97], v[98:99] offset1:1
	ds_write2_b64 v213, v[92:93], v[94:95] offset0:48 offset1:49
	ds_write2_b64 v213, v[88:89], v[90:91] offset0:50 offset1:51
	;; [unrolled: 1-line block ×24, first 2 shown]
	scratch_load_dwordx4 v[196:199], off, off ; 16-byte Folded Reload
	s_waitcnt vmcnt(0)
	ds_write2_b64 v213, v[196:197], v[198:199] offset0:96 offset1:97
	ds_read2_b64 v[196:199], v215 offset1:1
	s_waitcnt lgkmcnt(0)
	v_cmp_neq_f64_e32 vcc, 0, v[196:197]
	v_cmp_neq_f64_e64 s[2:3], 0, v[198:199]
	s_or_b64 s[2:3], vcc, s[2:3]
	s_and_b64 exec, exec, s[2:3]
	s_cbranch_execz .LBB97_215
; %bb.210:
	v_cmp_ngt_f64_e64 s[2:3], |v[196:197]|, |v[198:199]|
                                        ; implicit-def: $vgpr200_vgpr201
	s_and_saveexec_b64 s[10:11], s[2:3]
	s_xor_b64 s[2:3], exec, s[10:11]
                                        ; implicit-def: $vgpr202_vgpr203
	s_cbranch_execz .LBB97_212
; %bb.211:
	v_div_scale_f64 v[200:201], s[10:11], v[198:199], v[198:199], v[196:197]
	v_rcp_f64_e32 v[202:203], v[200:201]
	v_div_scale_f64 v[204:205], vcc, v[196:197], v[198:199], v[196:197]
	v_fma_f64 v[206:207], -v[200:201], v[202:203], 1.0
	v_fmac_f64_e32 v[202:203], v[202:203], v[206:207]
	v_fma_f64 v[206:207], -v[200:201], v[202:203], 1.0
	v_fmac_f64_e32 v[202:203], v[202:203], v[206:207]
	v_mul_f64 v[206:207], v[204:205], v[202:203]
	v_fma_f64 v[200:201], -v[200:201], v[206:207], v[204:205]
	v_div_fmas_f64 v[200:201], v[200:201], v[202:203], v[206:207]
	v_div_fixup_f64 v[200:201], v[200:201], v[198:199], v[196:197]
	v_fmac_f64_e32 v[198:199], v[196:197], v[200:201]
	v_div_scale_f64 v[196:197], s[10:11], v[198:199], v[198:199], 1.0
	v_rcp_f64_e32 v[202:203], v[196:197]
	s_nop 0
	v_fma_f64 v[204:205], -v[196:197], v[202:203], 1.0
	v_fmac_f64_e32 v[202:203], v[202:203], v[204:205]
	v_fma_f64 v[204:205], -v[196:197], v[202:203], 1.0
	v_fmac_f64_e32 v[202:203], v[202:203], v[204:205]
	v_div_scale_f64 v[204:205], vcc, 1.0, v[198:199], 1.0
	v_mul_f64 v[206:207], v[204:205], v[202:203]
	v_fma_f64 v[196:197], -v[196:197], v[206:207], v[204:205]
	s_nop 1
	v_div_fmas_f64 v[196:197], v[196:197], v[202:203], v[206:207]
	v_div_fixup_f64 v[202:203], v[196:197], v[198:199], 1.0
	v_mul_f64 v[200:201], v[200:201], v[202:203]
	v_xor_b32_e32 v203, 0x80000000, v203
                                        ; implicit-def: $vgpr196_vgpr197
.LBB97_212:
	s_andn2_saveexec_b64 s[2:3], s[2:3]
	s_cbranch_execz .LBB97_214
; %bb.213:
	v_div_scale_f64 v[200:201], s[10:11], v[196:197], v[196:197], v[198:199]
	v_rcp_f64_e32 v[202:203], v[200:201]
	v_div_scale_f64 v[204:205], vcc, v[198:199], v[196:197], v[198:199]
	v_fma_f64 v[206:207], -v[200:201], v[202:203], 1.0
	v_fmac_f64_e32 v[202:203], v[202:203], v[206:207]
	v_fma_f64 v[206:207], -v[200:201], v[202:203], 1.0
	v_fmac_f64_e32 v[202:203], v[202:203], v[206:207]
	v_mul_f64 v[206:207], v[204:205], v[202:203]
	v_fma_f64 v[200:201], -v[200:201], v[206:207], v[204:205]
	v_div_fmas_f64 v[200:201], v[200:201], v[202:203], v[206:207]
	v_div_fixup_f64 v[202:203], v[200:201], v[196:197], v[198:199]
	v_fmac_f64_e32 v[196:197], v[198:199], v[202:203]
	v_div_scale_f64 v[198:199], s[10:11], v[196:197], v[196:197], 1.0
	v_rcp_f64_e32 v[200:201], v[198:199]
	s_nop 0
	v_fma_f64 v[204:205], -v[198:199], v[200:201], 1.0
	v_fmac_f64_e32 v[200:201], v[200:201], v[204:205]
	v_fma_f64 v[204:205], -v[198:199], v[200:201], 1.0
	v_fmac_f64_e32 v[200:201], v[200:201], v[204:205]
	v_div_scale_f64 v[204:205], vcc, 1.0, v[196:197], 1.0
	v_mul_f64 v[206:207], v[204:205], v[200:201]
	v_fma_f64 v[198:199], -v[198:199], v[206:207], v[204:205]
	s_nop 1
	v_div_fmas_f64 v[198:199], v[198:199], v[200:201], v[206:207]
	v_div_fixup_f64 v[200:201], v[198:199], v[196:197], 1.0
	v_mul_f64 v[202:203], v[202:203], -v[200:201]
.LBB97_214:
	s_or_b64 exec, exec, s[2:3]
	ds_write2_b64 v215, v[200:201], v[202:203] offset1:1
.LBB97_215:
	s_or_b64 exec, exec, s[4:5]
	s_waitcnt lgkmcnt(0)
	s_barrier
	ds_read2_b64 v[196:199], v215 offset1:1
	v_cmp_lt_u32_e32 vcc, 23, v214
	s_waitcnt lgkmcnt(0)
	scratch_store_dwordx4 off, v[196:199], off offset:664 ; 16-byte Folded Spill
	s_and_saveexec_b64 s[2:3], vcc
	s_cbranch_execz .LBB97_217
; %bb.216:
	scratch_load_dwordx4 v[198:201], off, off offset:664 ; 16-byte Folded Reload
	s_waitcnt vmcnt(0)
	v_mul_f64 v[196:197], v[200:201], v[98:99]
	v_mul_f64 v[98:99], v[198:199], v[98:99]
	v_fma_f64 v[196:197], v[198:199], v[96:97], -v[196:197]
	v_fmac_f64_e32 v[98:99], v[200:201], v[96:97]
	ds_read2_b64 v[198:201], v213 offset0:48 offset1:49
	s_waitcnt lgkmcnt(0)
	v_mul_f64 v[96:97], v[200:201], v[98:99]
	v_fma_f64 v[96:97], v[198:199], v[196:197], -v[96:97]
	v_mul_f64 v[198:199], v[198:199], v[98:99]
	v_fmac_f64_e32 v[198:199], v[200:201], v[196:197]
	v_add_f64 v[94:95], v[94:95], -v[198:199]
	ds_read2_b64 v[198:201], v213 offset0:50 offset1:51
	v_add_f64 v[92:93], v[92:93], -v[96:97]
	s_waitcnt lgkmcnt(0)
	v_mul_f64 v[96:97], v[200:201], v[98:99]
	v_fma_f64 v[96:97], v[198:199], v[196:197], -v[96:97]
	v_mul_f64 v[198:199], v[198:199], v[98:99]
	v_fmac_f64_e32 v[198:199], v[200:201], v[196:197]
	v_add_f64 v[90:91], v[90:91], -v[198:199]
	ds_read2_b64 v[198:201], v213 offset0:52 offset1:53
	v_add_f64 v[88:89], v[88:89], -v[96:97]
	;; [unrolled: 8-line block ×24, first 2 shown]
	s_waitcnt lgkmcnt(0)
	v_mul_f64 v[96:97], v[200:201], v[98:99]
	v_fma_f64 v[96:97], v[198:199], v[196:197], -v[96:97]
	v_mul_f64 v[198:199], v[198:199], v[98:99]
	v_fmac_f64_e32 v[198:199], v[200:201], v[196:197]
	scratch_load_dwordx4 v[200:203], off, off ; 16-byte Folded Reload
	s_waitcnt vmcnt(0)
	v_add_f64 v[200:201], v[200:201], -v[96:97]
	v_add_f64 v[202:203], v[202:203], -v[198:199]
	v_mov_b64_e32 v[96:97], v[196:197]
	scratch_store_dwordx4 off, v[200:203], off ; 16-byte Folded Spill
.LBB97_217:
	s_or_b64 exec, exec, s[2:3]
	v_cmp_eq_u32_e32 vcc, 24, v214
	s_barrier
	s_and_saveexec_b64 s[4:5], vcc
	s_cbranch_execz .LBB97_224
; %bb.218:
	ds_write2_b64 v215, v[92:93], v[94:95] offset1:1
	ds_write2_b64 v213, v[88:89], v[90:91] offset0:50 offset1:51
	ds_write2_b64 v213, v[84:85], v[86:87] offset0:52 offset1:53
	;; [unrolled: 1-line block ×23, first 2 shown]
	scratch_load_dwordx4 v[196:199], off, off ; 16-byte Folded Reload
	s_waitcnt vmcnt(0)
	ds_write2_b64 v213, v[196:197], v[198:199] offset0:96 offset1:97
	ds_read2_b64 v[196:199], v215 offset1:1
	s_waitcnt lgkmcnt(0)
	v_cmp_neq_f64_e32 vcc, 0, v[196:197]
	v_cmp_neq_f64_e64 s[2:3], 0, v[198:199]
	s_or_b64 s[2:3], vcc, s[2:3]
	s_and_b64 exec, exec, s[2:3]
	s_cbranch_execz .LBB97_224
; %bb.219:
	v_cmp_ngt_f64_e64 s[2:3], |v[196:197]|, |v[198:199]|
                                        ; implicit-def: $vgpr200_vgpr201
	s_and_saveexec_b64 s[10:11], s[2:3]
	s_xor_b64 s[2:3], exec, s[10:11]
                                        ; implicit-def: $vgpr202_vgpr203
	s_cbranch_execz .LBB97_221
; %bb.220:
	v_div_scale_f64 v[200:201], s[10:11], v[198:199], v[198:199], v[196:197]
	v_rcp_f64_e32 v[202:203], v[200:201]
	v_div_scale_f64 v[204:205], vcc, v[196:197], v[198:199], v[196:197]
	v_fma_f64 v[206:207], -v[200:201], v[202:203], 1.0
	v_fmac_f64_e32 v[202:203], v[202:203], v[206:207]
	v_fma_f64 v[206:207], -v[200:201], v[202:203], 1.0
	v_fmac_f64_e32 v[202:203], v[202:203], v[206:207]
	v_mul_f64 v[206:207], v[204:205], v[202:203]
	v_fma_f64 v[200:201], -v[200:201], v[206:207], v[204:205]
	v_div_fmas_f64 v[200:201], v[200:201], v[202:203], v[206:207]
	v_div_fixup_f64 v[200:201], v[200:201], v[198:199], v[196:197]
	v_fmac_f64_e32 v[198:199], v[196:197], v[200:201]
	v_div_scale_f64 v[196:197], s[10:11], v[198:199], v[198:199], 1.0
	v_rcp_f64_e32 v[202:203], v[196:197]
	s_nop 0
	v_fma_f64 v[204:205], -v[196:197], v[202:203], 1.0
	v_fmac_f64_e32 v[202:203], v[202:203], v[204:205]
	v_fma_f64 v[204:205], -v[196:197], v[202:203], 1.0
	v_fmac_f64_e32 v[202:203], v[202:203], v[204:205]
	v_div_scale_f64 v[204:205], vcc, 1.0, v[198:199], 1.0
	v_mul_f64 v[206:207], v[204:205], v[202:203]
	v_fma_f64 v[196:197], -v[196:197], v[206:207], v[204:205]
	s_nop 1
	v_div_fmas_f64 v[196:197], v[196:197], v[202:203], v[206:207]
	v_div_fixup_f64 v[202:203], v[196:197], v[198:199], 1.0
	v_mul_f64 v[200:201], v[200:201], v[202:203]
	v_xor_b32_e32 v203, 0x80000000, v203
                                        ; implicit-def: $vgpr196_vgpr197
.LBB97_221:
	s_andn2_saveexec_b64 s[2:3], s[2:3]
	s_cbranch_execz .LBB97_223
; %bb.222:
	v_div_scale_f64 v[200:201], s[10:11], v[196:197], v[196:197], v[198:199]
	v_rcp_f64_e32 v[202:203], v[200:201]
	v_div_scale_f64 v[204:205], vcc, v[198:199], v[196:197], v[198:199]
	v_fma_f64 v[206:207], -v[200:201], v[202:203], 1.0
	v_fmac_f64_e32 v[202:203], v[202:203], v[206:207]
	v_fma_f64 v[206:207], -v[200:201], v[202:203], 1.0
	v_fmac_f64_e32 v[202:203], v[202:203], v[206:207]
	v_mul_f64 v[206:207], v[204:205], v[202:203]
	v_fma_f64 v[200:201], -v[200:201], v[206:207], v[204:205]
	v_div_fmas_f64 v[200:201], v[200:201], v[202:203], v[206:207]
	v_div_fixup_f64 v[202:203], v[200:201], v[196:197], v[198:199]
	v_fmac_f64_e32 v[196:197], v[198:199], v[202:203]
	v_div_scale_f64 v[198:199], s[10:11], v[196:197], v[196:197], 1.0
	v_rcp_f64_e32 v[200:201], v[198:199]
	s_nop 0
	v_fma_f64 v[204:205], -v[198:199], v[200:201], 1.0
	v_fmac_f64_e32 v[200:201], v[200:201], v[204:205]
	v_fma_f64 v[204:205], -v[198:199], v[200:201], 1.0
	v_fmac_f64_e32 v[200:201], v[200:201], v[204:205]
	v_div_scale_f64 v[204:205], vcc, 1.0, v[196:197], 1.0
	v_mul_f64 v[206:207], v[204:205], v[200:201]
	v_fma_f64 v[198:199], -v[198:199], v[206:207], v[204:205]
	s_nop 1
	v_div_fmas_f64 v[198:199], v[198:199], v[200:201], v[206:207]
	v_div_fixup_f64 v[200:201], v[198:199], v[196:197], 1.0
	v_mul_f64 v[202:203], v[202:203], -v[200:201]
.LBB97_223:
	s_or_b64 exec, exec, s[2:3]
	ds_write2_b64 v215, v[200:201], v[202:203] offset1:1
.LBB97_224:
	s_or_b64 exec, exec, s[4:5]
	s_waitcnt lgkmcnt(0)
	s_barrier
	ds_read2_b64 v[196:199], v215 offset1:1
	v_cmp_lt_u32_e32 vcc, 24, v214
	s_waitcnt lgkmcnt(0)
	scratch_store_dwordx4 off, v[196:199], off offset:680 ; 16-byte Folded Spill
	s_and_saveexec_b64 s[2:3], vcc
	s_cbranch_execz .LBB97_226
; %bb.225:
	scratch_load_dwordx4 v[198:201], off, off offset:680 ; 16-byte Folded Reload
	s_waitcnt vmcnt(0)
	v_mul_f64 v[196:197], v[200:201], v[94:95]
	v_mul_f64 v[94:95], v[198:199], v[94:95]
	v_fma_f64 v[196:197], v[198:199], v[92:93], -v[196:197]
	v_fmac_f64_e32 v[94:95], v[200:201], v[92:93]
	ds_read2_b64 v[198:201], v213 offset0:50 offset1:51
	s_waitcnt lgkmcnt(0)
	v_mul_f64 v[92:93], v[200:201], v[94:95]
	v_fma_f64 v[92:93], v[198:199], v[196:197], -v[92:93]
	v_mul_f64 v[198:199], v[198:199], v[94:95]
	v_fmac_f64_e32 v[198:199], v[200:201], v[196:197]
	v_add_f64 v[90:91], v[90:91], -v[198:199]
	ds_read2_b64 v[198:201], v213 offset0:52 offset1:53
	v_add_f64 v[88:89], v[88:89], -v[92:93]
	s_waitcnt lgkmcnt(0)
	v_mul_f64 v[92:93], v[200:201], v[94:95]
	v_fma_f64 v[92:93], v[198:199], v[196:197], -v[92:93]
	v_mul_f64 v[198:199], v[198:199], v[94:95]
	v_fmac_f64_e32 v[198:199], v[200:201], v[196:197]
	v_add_f64 v[86:87], v[86:87], -v[198:199]
	ds_read2_b64 v[198:201], v213 offset0:54 offset1:55
	v_add_f64 v[84:85], v[84:85], -v[92:93]
	;; [unrolled: 8-line block ×23, first 2 shown]
	s_waitcnt lgkmcnt(0)
	v_mul_f64 v[92:93], v[200:201], v[94:95]
	v_fma_f64 v[92:93], v[198:199], v[196:197], -v[92:93]
	v_mul_f64 v[198:199], v[198:199], v[94:95]
	v_fmac_f64_e32 v[198:199], v[200:201], v[196:197]
	scratch_load_dwordx4 v[200:203], off, off ; 16-byte Folded Reload
	s_waitcnt vmcnt(0)
	v_add_f64 v[200:201], v[200:201], -v[92:93]
	v_add_f64 v[202:203], v[202:203], -v[198:199]
	v_mov_b64_e32 v[92:93], v[196:197]
	scratch_store_dwordx4 off, v[200:203], off ; 16-byte Folded Spill
.LBB97_226:
	s_or_b64 exec, exec, s[2:3]
	v_cmp_eq_u32_e32 vcc, 25, v214
	s_barrier
	s_and_saveexec_b64 s[4:5], vcc
	s_cbranch_execz .LBB97_233
; %bb.227:
	ds_write2_b64 v215, v[88:89], v[90:91] offset1:1
	ds_write2_b64 v213, v[84:85], v[86:87] offset0:52 offset1:53
	ds_write2_b64 v213, v[80:81], v[82:83] offset0:54 offset1:55
	ds_write2_b64 v213, v[76:77], v[78:79] offset0:56 offset1:57
	ds_write2_b64 v213, v[72:73], v[74:75] offset0:58 offset1:59
	ds_write2_b64 v213, v[68:69], v[70:71] offset0:60 offset1:61
	ds_write2_b64 v213, v[64:65], v[66:67] offset0:62 offset1:63
	ds_write2_b64 v213, v[60:61], v[62:63] offset0:64 offset1:65
	ds_write2_b64 v213, v[56:57], v[58:59] offset0:66 offset1:67
	ds_write2_b64 v213, v[52:53], v[54:55] offset0:68 offset1:69
	ds_write2_b64 v213, v[48:49], v[50:51] offset0:70 offset1:71
	ds_write2_b64 v213, v[44:45], v[46:47] offset0:72 offset1:73
	ds_write2_b64 v213, v[40:41], v[42:43] offset0:74 offset1:75
	ds_write2_b64 v213, v[36:37], v[38:39] offset0:76 offset1:77
	ds_write2_b64 v213, v[32:33], v[34:35] offset0:78 offset1:79
	ds_write2_b64 v213, v[28:29], v[30:31] offset0:80 offset1:81
	ds_write2_b64 v213, v[24:25], v[26:27] offset0:82 offset1:83
	ds_write2_b64 v213, v[20:21], v[22:23] offset0:84 offset1:85
	ds_write2_b64 v213, v[16:17], v[18:19] offset0:86 offset1:87
	ds_write2_b64 v213, v[12:13], v[14:15] offset0:88 offset1:89
	ds_write2_b64 v213, v[8:9], v[10:11] offset0:90 offset1:91
	ds_write2_b64 v213, v[4:5], v[6:7] offset0:92 offset1:93
	ds_write2_b64 v213, v[0:1], v[2:3] offset0:94 offset1:95
	scratch_load_dwordx4 v[196:199], off, off ; 16-byte Folded Reload
	s_waitcnt vmcnt(0)
	ds_write2_b64 v213, v[196:197], v[198:199] offset0:96 offset1:97
	ds_read2_b64 v[196:199], v215 offset1:1
	s_waitcnt lgkmcnt(0)
	v_cmp_neq_f64_e32 vcc, 0, v[196:197]
	v_cmp_neq_f64_e64 s[2:3], 0, v[198:199]
	s_or_b64 s[2:3], vcc, s[2:3]
	s_and_b64 exec, exec, s[2:3]
	s_cbranch_execz .LBB97_233
; %bb.228:
	v_cmp_ngt_f64_e64 s[2:3], |v[196:197]|, |v[198:199]|
                                        ; implicit-def: $vgpr200_vgpr201
	s_and_saveexec_b64 s[10:11], s[2:3]
	s_xor_b64 s[2:3], exec, s[10:11]
                                        ; implicit-def: $vgpr202_vgpr203
	s_cbranch_execz .LBB97_230
; %bb.229:
	v_div_scale_f64 v[200:201], s[10:11], v[198:199], v[198:199], v[196:197]
	v_rcp_f64_e32 v[202:203], v[200:201]
	v_div_scale_f64 v[204:205], vcc, v[196:197], v[198:199], v[196:197]
	v_fma_f64 v[206:207], -v[200:201], v[202:203], 1.0
	v_fmac_f64_e32 v[202:203], v[202:203], v[206:207]
	v_fma_f64 v[206:207], -v[200:201], v[202:203], 1.0
	v_fmac_f64_e32 v[202:203], v[202:203], v[206:207]
	v_mul_f64 v[206:207], v[204:205], v[202:203]
	v_fma_f64 v[200:201], -v[200:201], v[206:207], v[204:205]
	v_div_fmas_f64 v[200:201], v[200:201], v[202:203], v[206:207]
	v_div_fixup_f64 v[200:201], v[200:201], v[198:199], v[196:197]
	v_fmac_f64_e32 v[198:199], v[196:197], v[200:201]
	v_div_scale_f64 v[196:197], s[10:11], v[198:199], v[198:199], 1.0
	v_rcp_f64_e32 v[202:203], v[196:197]
	s_nop 0
	v_fma_f64 v[204:205], -v[196:197], v[202:203], 1.0
	v_fmac_f64_e32 v[202:203], v[202:203], v[204:205]
	v_fma_f64 v[204:205], -v[196:197], v[202:203], 1.0
	v_fmac_f64_e32 v[202:203], v[202:203], v[204:205]
	v_div_scale_f64 v[204:205], vcc, 1.0, v[198:199], 1.0
	v_mul_f64 v[206:207], v[204:205], v[202:203]
	v_fma_f64 v[196:197], -v[196:197], v[206:207], v[204:205]
	s_nop 1
	v_div_fmas_f64 v[196:197], v[196:197], v[202:203], v[206:207]
	v_div_fixup_f64 v[202:203], v[196:197], v[198:199], 1.0
	v_mul_f64 v[200:201], v[200:201], v[202:203]
	v_xor_b32_e32 v203, 0x80000000, v203
                                        ; implicit-def: $vgpr196_vgpr197
.LBB97_230:
	s_andn2_saveexec_b64 s[2:3], s[2:3]
	s_cbranch_execz .LBB97_232
; %bb.231:
	v_div_scale_f64 v[200:201], s[10:11], v[196:197], v[196:197], v[198:199]
	v_rcp_f64_e32 v[202:203], v[200:201]
	v_div_scale_f64 v[204:205], vcc, v[198:199], v[196:197], v[198:199]
	v_fma_f64 v[206:207], -v[200:201], v[202:203], 1.0
	v_fmac_f64_e32 v[202:203], v[202:203], v[206:207]
	v_fma_f64 v[206:207], -v[200:201], v[202:203], 1.0
	v_fmac_f64_e32 v[202:203], v[202:203], v[206:207]
	v_mul_f64 v[206:207], v[204:205], v[202:203]
	v_fma_f64 v[200:201], -v[200:201], v[206:207], v[204:205]
	v_div_fmas_f64 v[200:201], v[200:201], v[202:203], v[206:207]
	v_div_fixup_f64 v[202:203], v[200:201], v[196:197], v[198:199]
	v_fmac_f64_e32 v[196:197], v[198:199], v[202:203]
	v_div_scale_f64 v[198:199], s[10:11], v[196:197], v[196:197], 1.0
	v_rcp_f64_e32 v[200:201], v[198:199]
	s_nop 0
	v_fma_f64 v[204:205], -v[198:199], v[200:201], 1.0
	v_fmac_f64_e32 v[200:201], v[200:201], v[204:205]
	v_fma_f64 v[204:205], -v[198:199], v[200:201], 1.0
	v_fmac_f64_e32 v[200:201], v[200:201], v[204:205]
	v_div_scale_f64 v[204:205], vcc, 1.0, v[196:197], 1.0
	v_mul_f64 v[206:207], v[204:205], v[200:201]
	v_fma_f64 v[198:199], -v[198:199], v[206:207], v[204:205]
	s_nop 1
	v_div_fmas_f64 v[198:199], v[198:199], v[200:201], v[206:207]
	v_div_fixup_f64 v[200:201], v[198:199], v[196:197], 1.0
	v_mul_f64 v[202:203], v[202:203], -v[200:201]
.LBB97_232:
	s_or_b64 exec, exec, s[2:3]
	ds_write2_b64 v215, v[200:201], v[202:203] offset1:1
.LBB97_233:
	s_or_b64 exec, exec, s[4:5]
	s_waitcnt lgkmcnt(0)
	s_barrier
	ds_read2_b64 v[196:199], v215 offset1:1
	v_cmp_lt_u32_e32 vcc, 25, v214
	s_waitcnt lgkmcnt(0)
	scratch_store_dwordx4 off, v[196:199], off offset:696 ; 16-byte Folded Spill
	s_and_saveexec_b64 s[2:3], vcc
	s_cbranch_execz .LBB97_235
; %bb.234:
	scratch_load_dwordx4 v[198:201], off, off offset:696 ; 16-byte Folded Reload
	s_waitcnt vmcnt(0)
	v_mul_f64 v[196:197], v[200:201], v[90:91]
	v_mul_f64 v[90:91], v[198:199], v[90:91]
	v_fma_f64 v[196:197], v[198:199], v[88:89], -v[196:197]
	v_fmac_f64_e32 v[90:91], v[200:201], v[88:89]
	ds_read2_b64 v[198:201], v213 offset0:52 offset1:53
	s_waitcnt lgkmcnt(0)
	v_mul_f64 v[88:89], v[200:201], v[90:91]
	v_fma_f64 v[88:89], v[198:199], v[196:197], -v[88:89]
	v_mul_f64 v[198:199], v[198:199], v[90:91]
	v_fmac_f64_e32 v[198:199], v[200:201], v[196:197]
	v_add_f64 v[86:87], v[86:87], -v[198:199]
	ds_read2_b64 v[198:201], v213 offset0:54 offset1:55
	v_add_f64 v[84:85], v[84:85], -v[88:89]
	s_waitcnt lgkmcnt(0)
	v_mul_f64 v[88:89], v[200:201], v[90:91]
	v_fma_f64 v[88:89], v[198:199], v[196:197], -v[88:89]
	v_mul_f64 v[198:199], v[198:199], v[90:91]
	v_fmac_f64_e32 v[198:199], v[200:201], v[196:197]
	v_add_f64 v[82:83], v[82:83], -v[198:199]
	ds_read2_b64 v[198:201], v213 offset0:56 offset1:57
	v_add_f64 v[80:81], v[80:81], -v[88:89]
	s_waitcnt lgkmcnt(0)
	v_mul_f64 v[88:89], v[200:201], v[90:91]
	v_fma_f64 v[88:89], v[198:199], v[196:197], -v[88:89]
	v_mul_f64 v[198:199], v[198:199], v[90:91]
	v_fmac_f64_e32 v[198:199], v[200:201], v[196:197]
	v_add_f64 v[78:79], v[78:79], -v[198:199]
	ds_read2_b64 v[198:201], v213 offset0:58 offset1:59
	v_add_f64 v[76:77], v[76:77], -v[88:89]
	s_waitcnt lgkmcnt(0)
	v_mul_f64 v[88:89], v[200:201], v[90:91]
	v_fma_f64 v[88:89], v[198:199], v[196:197], -v[88:89]
	v_mul_f64 v[198:199], v[198:199], v[90:91]
	v_fmac_f64_e32 v[198:199], v[200:201], v[196:197]
	v_add_f64 v[74:75], v[74:75], -v[198:199]
	ds_read2_b64 v[198:201], v213 offset0:60 offset1:61
	v_add_f64 v[72:73], v[72:73], -v[88:89]
	s_waitcnt lgkmcnt(0)
	v_mul_f64 v[88:89], v[200:201], v[90:91]
	v_fma_f64 v[88:89], v[198:199], v[196:197], -v[88:89]
	v_mul_f64 v[198:199], v[198:199], v[90:91]
	v_fmac_f64_e32 v[198:199], v[200:201], v[196:197]
	v_add_f64 v[70:71], v[70:71], -v[198:199]
	ds_read2_b64 v[198:201], v213 offset0:62 offset1:63
	v_add_f64 v[68:69], v[68:69], -v[88:89]
	s_waitcnt lgkmcnt(0)
	v_mul_f64 v[88:89], v[200:201], v[90:91]
	v_fma_f64 v[88:89], v[198:199], v[196:197], -v[88:89]
	v_mul_f64 v[198:199], v[198:199], v[90:91]
	v_fmac_f64_e32 v[198:199], v[200:201], v[196:197]
	v_add_f64 v[66:67], v[66:67], -v[198:199]
	ds_read2_b64 v[198:201], v213 offset0:64 offset1:65
	v_add_f64 v[64:65], v[64:65], -v[88:89]
	s_waitcnt lgkmcnt(0)
	v_mul_f64 v[88:89], v[200:201], v[90:91]
	v_fma_f64 v[88:89], v[198:199], v[196:197], -v[88:89]
	v_mul_f64 v[198:199], v[198:199], v[90:91]
	v_fmac_f64_e32 v[198:199], v[200:201], v[196:197]
	v_add_f64 v[62:63], v[62:63], -v[198:199]
	ds_read2_b64 v[198:201], v213 offset0:66 offset1:67
	v_add_f64 v[60:61], v[60:61], -v[88:89]
	s_waitcnt lgkmcnt(0)
	v_mul_f64 v[88:89], v[200:201], v[90:91]
	v_fma_f64 v[88:89], v[198:199], v[196:197], -v[88:89]
	v_mul_f64 v[198:199], v[198:199], v[90:91]
	v_fmac_f64_e32 v[198:199], v[200:201], v[196:197]
	v_add_f64 v[58:59], v[58:59], -v[198:199]
	ds_read2_b64 v[198:201], v213 offset0:68 offset1:69
	v_add_f64 v[56:57], v[56:57], -v[88:89]
	s_waitcnt lgkmcnt(0)
	v_mul_f64 v[88:89], v[200:201], v[90:91]
	v_fma_f64 v[88:89], v[198:199], v[196:197], -v[88:89]
	v_mul_f64 v[198:199], v[198:199], v[90:91]
	v_fmac_f64_e32 v[198:199], v[200:201], v[196:197]
	v_add_f64 v[54:55], v[54:55], -v[198:199]
	ds_read2_b64 v[198:201], v213 offset0:70 offset1:71
	v_add_f64 v[52:53], v[52:53], -v[88:89]
	s_waitcnt lgkmcnt(0)
	v_mul_f64 v[88:89], v[200:201], v[90:91]
	v_fma_f64 v[88:89], v[198:199], v[196:197], -v[88:89]
	v_mul_f64 v[198:199], v[198:199], v[90:91]
	v_fmac_f64_e32 v[198:199], v[200:201], v[196:197]
	v_add_f64 v[50:51], v[50:51], -v[198:199]
	ds_read2_b64 v[198:201], v213 offset0:72 offset1:73
	v_add_f64 v[48:49], v[48:49], -v[88:89]
	s_waitcnt lgkmcnt(0)
	v_mul_f64 v[88:89], v[200:201], v[90:91]
	v_fma_f64 v[88:89], v[198:199], v[196:197], -v[88:89]
	v_mul_f64 v[198:199], v[198:199], v[90:91]
	v_fmac_f64_e32 v[198:199], v[200:201], v[196:197]
	v_add_f64 v[46:47], v[46:47], -v[198:199]
	ds_read2_b64 v[198:201], v213 offset0:74 offset1:75
	v_add_f64 v[44:45], v[44:45], -v[88:89]
	s_waitcnt lgkmcnt(0)
	v_mul_f64 v[88:89], v[200:201], v[90:91]
	v_fma_f64 v[88:89], v[198:199], v[196:197], -v[88:89]
	v_mul_f64 v[198:199], v[198:199], v[90:91]
	v_fmac_f64_e32 v[198:199], v[200:201], v[196:197]
	v_add_f64 v[42:43], v[42:43], -v[198:199]
	ds_read2_b64 v[198:201], v213 offset0:76 offset1:77
	v_add_f64 v[40:41], v[40:41], -v[88:89]
	s_waitcnt lgkmcnt(0)
	v_mul_f64 v[88:89], v[200:201], v[90:91]
	v_fma_f64 v[88:89], v[198:199], v[196:197], -v[88:89]
	v_mul_f64 v[198:199], v[198:199], v[90:91]
	v_fmac_f64_e32 v[198:199], v[200:201], v[196:197]
	v_add_f64 v[38:39], v[38:39], -v[198:199]
	ds_read2_b64 v[198:201], v213 offset0:78 offset1:79
	v_add_f64 v[36:37], v[36:37], -v[88:89]
	s_waitcnt lgkmcnt(0)
	v_mul_f64 v[88:89], v[200:201], v[90:91]
	v_fma_f64 v[88:89], v[198:199], v[196:197], -v[88:89]
	v_mul_f64 v[198:199], v[198:199], v[90:91]
	v_fmac_f64_e32 v[198:199], v[200:201], v[196:197]
	v_add_f64 v[34:35], v[34:35], -v[198:199]
	ds_read2_b64 v[198:201], v213 offset0:80 offset1:81
	v_add_f64 v[32:33], v[32:33], -v[88:89]
	s_waitcnt lgkmcnt(0)
	v_mul_f64 v[88:89], v[200:201], v[90:91]
	v_fma_f64 v[88:89], v[198:199], v[196:197], -v[88:89]
	v_mul_f64 v[198:199], v[198:199], v[90:91]
	v_fmac_f64_e32 v[198:199], v[200:201], v[196:197]
	v_add_f64 v[30:31], v[30:31], -v[198:199]
	ds_read2_b64 v[198:201], v213 offset0:82 offset1:83
	v_add_f64 v[28:29], v[28:29], -v[88:89]
	s_waitcnt lgkmcnt(0)
	v_mul_f64 v[88:89], v[200:201], v[90:91]
	v_fma_f64 v[88:89], v[198:199], v[196:197], -v[88:89]
	v_mul_f64 v[198:199], v[198:199], v[90:91]
	v_fmac_f64_e32 v[198:199], v[200:201], v[196:197]
	v_add_f64 v[26:27], v[26:27], -v[198:199]
	ds_read2_b64 v[198:201], v213 offset0:84 offset1:85
	v_add_f64 v[24:25], v[24:25], -v[88:89]
	s_waitcnt lgkmcnt(0)
	v_mul_f64 v[88:89], v[200:201], v[90:91]
	v_fma_f64 v[88:89], v[198:199], v[196:197], -v[88:89]
	v_mul_f64 v[198:199], v[198:199], v[90:91]
	v_fmac_f64_e32 v[198:199], v[200:201], v[196:197]
	v_add_f64 v[22:23], v[22:23], -v[198:199]
	ds_read2_b64 v[198:201], v213 offset0:86 offset1:87
	v_add_f64 v[20:21], v[20:21], -v[88:89]
	s_waitcnt lgkmcnt(0)
	v_mul_f64 v[88:89], v[200:201], v[90:91]
	v_fma_f64 v[88:89], v[198:199], v[196:197], -v[88:89]
	v_mul_f64 v[198:199], v[198:199], v[90:91]
	v_fmac_f64_e32 v[198:199], v[200:201], v[196:197]
	v_add_f64 v[18:19], v[18:19], -v[198:199]
	ds_read2_b64 v[198:201], v213 offset0:88 offset1:89
	v_add_f64 v[16:17], v[16:17], -v[88:89]
	s_waitcnt lgkmcnt(0)
	v_mul_f64 v[88:89], v[200:201], v[90:91]
	v_fma_f64 v[88:89], v[198:199], v[196:197], -v[88:89]
	v_mul_f64 v[198:199], v[198:199], v[90:91]
	v_fmac_f64_e32 v[198:199], v[200:201], v[196:197]
	v_add_f64 v[14:15], v[14:15], -v[198:199]
	ds_read2_b64 v[198:201], v213 offset0:90 offset1:91
	v_add_f64 v[12:13], v[12:13], -v[88:89]
	s_waitcnt lgkmcnt(0)
	v_mul_f64 v[88:89], v[200:201], v[90:91]
	v_fma_f64 v[88:89], v[198:199], v[196:197], -v[88:89]
	v_mul_f64 v[198:199], v[198:199], v[90:91]
	v_fmac_f64_e32 v[198:199], v[200:201], v[196:197]
	v_add_f64 v[10:11], v[10:11], -v[198:199]
	ds_read2_b64 v[198:201], v213 offset0:92 offset1:93
	v_add_f64 v[8:9], v[8:9], -v[88:89]
	s_waitcnt lgkmcnt(0)
	v_mul_f64 v[88:89], v[200:201], v[90:91]
	v_fma_f64 v[88:89], v[198:199], v[196:197], -v[88:89]
	v_mul_f64 v[198:199], v[198:199], v[90:91]
	v_fmac_f64_e32 v[198:199], v[200:201], v[196:197]
	v_add_f64 v[6:7], v[6:7], -v[198:199]
	ds_read2_b64 v[198:201], v213 offset0:94 offset1:95
	v_add_f64 v[4:5], v[4:5], -v[88:89]
	s_waitcnt lgkmcnt(0)
	v_mul_f64 v[88:89], v[200:201], v[90:91]
	v_fma_f64 v[88:89], v[198:199], v[196:197], -v[88:89]
	v_mul_f64 v[198:199], v[198:199], v[90:91]
	v_fmac_f64_e32 v[198:199], v[200:201], v[196:197]
	v_add_f64 v[2:3], v[2:3], -v[198:199]
	ds_read2_b64 v[198:201], v213 offset0:96 offset1:97
	v_add_f64 v[0:1], v[0:1], -v[88:89]
	s_waitcnt lgkmcnt(0)
	v_mul_f64 v[88:89], v[200:201], v[90:91]
	v_fma_f64 v[88:89], v[198:199], v[196:197], -v[88:89]
	v_mul_f64 v[198:199], v[198:199], v[90:91]
	v_fmac_f64_e32 v[198:199], v[200:201], v[196:197]
	scratch_load_dwordx4 v[200:203], off, off ; 16-byte Folded Reload
	s_waitcnt vmcnt(0)
	v_add_f64 v[200:201], v[200:201], -v[88:89]
	v_add_f64 v[202:203], v[202:203], -v[198:199]
	v_mov_b64_e32 v[88:89], v[196:197]
	scratch_store_dwordx4 off, v[200:203], off ; 16-byte Folded Spill
.LBB97_235:
	s_or_b64 exec, exec, s[2:3]
	v_cmp_eq_u32_e32 vcc, 26, v214
	s_barrier
	s_and_saveexec_b64 s[4:5], vcc
	s_cbranch_execz .LBB97_242
; %bb.236:
	ds_write2_b64 v215, v[84:85], v[86:87] offset1:1
	ds_write2_b64 v213, v[80:81], v[82:83] offset0:54 offset1:55
	ds_write2_b64 v213, v[76:77], v[78:79] offset0:56 offset1:57
	;; [unrolled: 1-line block ×21, first 2 shown]
	scratch_load_dwordx4 v[196:199], off, off ; 16-byte Folded Reload
	s_waitcnt vmcnt(0)
	ds_write2_b64 v213, v[196:197], v[198:199] offset0:96 offset1:97
	ds_read2_b64 v[196:199], v215 offset1:1
	s_waitcnt lgkmcnt(0)
	v_cmp_neq_f64_e32 vcc, 0, v[196:197]
	v_cmp_neq_f64_e64 s[2:3], 0, v[198:199]
	s_or_b64 s[2:3], vcc, s[2:3]
	s_and_b64 exec, exec, s[2:3]
	s_cbranch_execz .LBB97_242
; %bb.237:
	v_cmp_ngt_f64_e64 s[2:3], |v[196:197]|, |v[198:199]|
                                        ; implicit-def: $vgpr200_vgpr201
	s_and_saveexec_b64 s[10:11], s[2:3]
	s_xor_b64 s[2:3], exec, s[10:11]
                                        ; implicit-def: $vgpr202_vgpr203
	s_cbranch_execz .LBB97_239
; %bb.238:
	v_div_scale_f64 v[200:201], s[10:11], v[198:199], v[198:199], v[196:197]
	v_rcp_f64_e32 v[202:203], v[200:201]
	v_div_scale_f64 v[204:205], vcc, v[196:197], v[198:199], v[196:197]
	v_fma_f64 v[206:207], -v[200:201], v[202:203], 1.0
	v_fmac_f64_e32 v[202:203], v[202:203], v[206:207]
	v_fma_f64 v[206:207], -v[200:201], v[202:203], 1.0
	v_fmac_f64_e32 v[202:203], v[202:203], v[206:207]
	v_mul_f64 v[206:207], v[204:205], v[202:203]
	v_fma_f64 v[200:201], -v[200:201], v[206:207], v[204:205]
	v_div_fmas_f64 v[200:201], v[200:201], v[202:203], v[206:207]
	v_div_fixup_f64 v[200:201], v[200:201], v[198:199], v[196:197]
	v_fmac_f64_e32 v[198:199], v[196:197], v[200:201]
	v_div_scale_f64 v[196:197], s[10:11], v[198:199], v[198:199], 1.0
	v_rcp_f64_e32 v[202:203], v[196:197]
	s_nop 0
	v_fma_f64 v[204:205], -v[196:197], v[202:203], 1.0
	v_fmac_f64_e32 v[202:203], v[202:203], v[204:205]
	v_fma_f64 v[204:205], -v[196:197], v[202:203], 1.0
	v_fmac_f64_e32 v[202:203], v[202:203], v[204:205]
	v_div_scale_f64 v[204:205], vcc, 1.0, v[198:199], 1.0
	v_mul_f64 v[206:207], v[204:205], v[202:203]
	v_fma_f64 v[196:197], -v[196:197], v[206:207], v[204:205]
	s_nop 1
	v_div_fmas_f64 v[196:197], v[196:197], v[202:203], v[206:207]
	v_div_fixup_f64 v[202:203], v[196:197], v[198:199], 1.0
	v_mul_f64 v[200:201], v[200:201], v[202:203]
	v_xor_b32_e32 v203, 0x80000000, v203
                                        ; implicit-def: $vgpr196_vgpr197
.LBB97_239:
	s_andn2_saveexec_b64 s[2:3], s[2:3]
	s_cbranch_execz .LBB97_241
; %bb.240:
	v_div_scale_f64 v[200:201], s[10:11], v[196:197], v[196:197], v[198:199]
	v_rcp_f64_e32 v[202:203], v[200:201]
	v_div_scale_f64 v[204:205], vcc, v[198:199], v[196:197], v[198:199]
	v_fma_f64 v[206:207], -v[200:201], v[202:203], 1.0
	v_fmac_f64_e32 v[202:203], v[202:203], v[206:207]
	v_fma_f64 v[206:207], -v[200:201], v[202:203], 1.0
	v_fmac_f64_e32 v[202:203], v[202:203], v[206:207]
	v_mul_f64 v[206:207], v[204:205], v[202:203]
	v_fma_f64 v[200:201], -v[200:201], v[206:207], v[204:205]
	v_div_fmas_f64 v[200:201], v[200:201], v[202:203], v[206:207]
	v_div_fixup_f64 v[202:203], v[200:201], v[196:197], v[198:199]
	v_fmac_f64_e32 v[196:197], v[198:199], v[202:203]
	v_div_scale_f64 v[198:199], s[10:11], v[196:197], v[196:197], 1.0
	v_rcp_f64_e32 v[200:201], v[198:199]
	s_nop 0
	v_fma_f64 v[204:205], -v[198:199], v[200:201], 1.0
	v_fmac_f64_e32 v[200:201], v[200:201], v[204:205]
	v_fma_f64 v[204:205], -v[198:199], v[200:201], 1.0
	v_fmac_f64_e32 v[200:201], v[200:201], v[204:205]
	v_div_scale_f64 v[204:205], vcc, 1.0, v[196:197], 1.0
	v_mul_f64 v[206:207], v[204:205], v[200:201]
	v_fma_f64 v[198:199], -v[198:199], v[206:207], v[204:205]
	s_nop 1
	v_div_fmas_f64 v[198:199], v[198:199], v[200:201], v[206:207]
	v_div_fixup_f64 v[200:201], v[198:199], v[196:197], 1.0
	v_mul_f64 v[202:203], v[202:203], -v[200:201]
.LBB97_241:
	s_or_b64 exec, exec, s[2:3]
	ds_write2_b64 v215, v[200:201], v[202:203] offset1:1
.LBB97_242:
	s_or_b64 exec, exec, s[4:5]
	s_waitcnt lgkmcnt(0)
	s_barrier
	ds_read2_b64 v[196:199], v215 offset1:1
	v_cmp_lt_u32_e32 vcc, 26, v214
	s_waitcnt lgkmcnt(0)
	scratch_store_dwordx4 off, v[196:199], off offset:712 ; 16-byte Folded Spill
	s_and_saveexec_b64 s[2:3], vcc
	s_cbranch_execz .LBB97_244
; %bb.243:
	scratch_load_dwordx4 v[198:201], off, off offset:712 ; 16-byte Folded Reload
	s_waitcnt vmcnt(0)
	v_mul_f64 v[196:197], v[200:201], v[86:87]
	v_mul_f64 v[86:87], v[198:199], v[86:87]
	v_fma_f64 v[196:197], v[198:199], v[84:85], -v[196:197]
	v_fmac_f64_e32 v[86:87], v[200:201], v[84:85]
	ds_read2_b64 v[198:201], v213 offset0:54 offset1:55
	s_waitcnt lgkmcnt(0)
	v_mul_f64 v[84:85], v[200:201], v[86:87]
	v_fma_f64 v[84:85], v[198:199], v[196:197], -v[84:85]
	v_mul_f64 v[198:199], v[198:199], v[86:87]
	v_fmac_f64_e32 v[198:199], v[200:201], v[196:197]
	v_add_f64 v[82:83], v[82:83], -v[198:199]
	ds_read2_b64 v[198:201], v213 offset0:56 offset1:57
	v_add_f64 v[80:81], v[80:81], -v[84:85]
	s_waitcnt lgkmcnt(0)
	v_mul_f64 v[84:85], v[200:201], v[86:87]
	v_fma_f64 v[84:85], v[198:199], v[196:197], -v[84:85]
	v_mul_f64 v[198:199], v[198:199], v[86:87]
	v_fmac_f64_e32 v[198:199], v[200:201], v[196:197]
	v_add_f64 v[78:79], v[78:79], -v[198:199]
	ds_read2_b64 v[198:201], v213 offset0:58 offset1:59
	v_add_f64 v[76:77], v[76:77], -v[84:85]
	;; [unrolled: 8-line block ×21, first 2 shown]
	s_waitcnt lgkmcnt(0)
	v_mul_f64 v[84:85], v[200:201], v[86:87]
	v_fma_f64 v[84:85], v[198:199], v[196:197], -v[84:85]
	v_mul_f64 v[198:199], v[198:199], v[86:87]
	v_fmac_f64_e32 v[198:199], v[200:201], v[196:197]
	scratch_load_dwordx4 v[200:203], off, off ; 16-byte Folded Reload
	s_waitcnt vmcnt(0)
	v_add_f64 v[200:201], v[200:201], -v[84:85]
	v_add_f64 v[202:203], v[202:203], -v[198:199]
	v_mov_b64_e32 v[84:85], v[196:197]
	scratch_store_dwordx4 off, v[200:203], off ; 16-byte Folded Spill
.LBB97_244:
	s_or_b64 exec, exec, s[2:3]
	v_cmp_eq_u32_e32 vcc, 27, v214
	s_barrier
	s_and_saveexec_b64 s[4:5], vcc
	s_cbranch_execz .LBB97_251
; %bb.245:
	ds_write2_b64 v215, v[80:81], v[82:83] offset1:1
	ds_write2_b64 v213, v[76:77], v[78:79] offset0:56 offset1:57
	ds_write2_b64 v213, v[72:73], v[74:75] offset0:58 offset1:59
	;; [unrolled: 1-line block ×20, first 2 shown]
	scratch_load_dwordx4 v[196:199], off, off ; 16-byte Folded Reload
	s_waitcnt vmcnt(0)
	ds_write2_b64 v213, v[196:197], v[198:199] offset0:96 offset1:97
	ds_read2_b64 v[196:199], v215 offset1:1
	s_waitcnt lgkmcnt(0)
	v_cmp_neq_f64_e32 vcc, 0, v[196:197]
	v_cmp_neq_f64_e64 s[2:3], 0, v[198:199]
	s_or_b64 s[2:3], vcc, s[2:3]
	s_and_b64 exec, exec, s[2:3]
	s_cbranch_execz .LBB97_251
; %bb.246:
	v_cmp_ngt_f64_e64 s[2:3], |v[196:197]|, |v[198:199]|
                                        ; implicit-def: $vgpr200_vgpr201
	s_and_saveexec_b64 s[10:11], s[2:3]
	s_xor_b64 s[2:3], exec, s[10:11]
                                        ; implicit-def: $vgpr202_vgpr203
	s_cbranch_execz .LBB97_248
; %bb.247:
	v_div_scale_f64 v[200:201], s[10:11], v[198:199], v[198:199], v[196:197]
	v_rcp_f64_e32 v[202:203], v[200:201]
	v_div_scale_f64 v[204:205], vcc, v[196:197], v[198:199], v[196:197]
	v_fma_f64 v[206:207], -v[200:201], v[202:203], 1.0
	v_fmac_f64_e32 v[202:203], v[202:203], v[206:207]
	v_fma_f64 v[206:207], -v[200:201], v[202:203], 1.0
	v_fmac_f64_e32 v[202:203], v[202:203], v[206:207]
	v_mul_f64 v[206:207], v[204:205], v[202:203]
	v_fma_f64 v[200:201], -v[200:201], v[206:207], v[204:205]
	v_div_fmas_f64 v[200:201], v[200:201], v[202:203], v[206:207]
	v_div_fixup_f64 v[200:201], v[200:201], v[198:199], v[196:197]
	v_fmac_f64_e32 v[198:199], v[196:197], v[200:201]
	v_div_scale_f64 v[196:197], s[10:11], v[198:199], v[198:199], 1.0
	v_rcp_f64_e32 v[202:203], v[196:197]
	s_nop 0
	v_fma_f64 v[204:205], -v[196:197], v[202:203], 1.0
	v_fmac_f64_e32 v[202:203], v[202:203], v[204:205]
	v_fma_f64 v[204:205], -v[196:197], v[202:203], 1.0
	v_fmac_f64_e32 v[202:203], v[202:203], v[204:205]
	v_div_scale_f64 v[204:205], vcc, 1.0, v[198:199], 1.0
	v_mul_f64 v[206:207], v[204:205], v[202:203]
	v_fma_f64 v[196:197], -v[196:197], v[206:207], v[204:205]
	s_nop 1
	v_div_fmas_f64 v[196:197], v[196:197], v[202:203], v[206:207]
	v_div_fixup_f64 v[202:203], v[196:197], v[198:199], 1.0
	v_mul_f64 v[200:201], v[200:201], v[202:203]
	v_xor_b32_e32 v203, 0x80000000, v203
                                        ; implicit-def: $vgpr196_vgpr197
.LBB97_248:
	s_andn2_saveexec_b64 s[2:3], s[2:3]
	s_cbranch_execz .LBB97_250
; %bb.249:
	v_div_scale_f64 v[200:201], s[10:11], v[196:197], v[196:197], v[198:199]
	v_rcp_f64_e32 v[202:203], v[200:201]
	v_div_scale_f64 v[204:205], vcc, v[198:199], v[196:197], v[198:199]
	v_fma_f64 v[206:207], -v[200:201], v[202:203], 1.0
	v_fmac_f64_e32 v[202:203], v[202:203], v[206:207]
	v_fma_f64 v[206:207], -v[200:201], v[202:203], 1.0
	v_fmac_f64_e32 v[202:203], v[202:203], v[206:207]
	v_mul_f64 v[206:207], v[204:205], v[202:203]
	v_fma_f64 v[200:201], -v[200:201], v[206:207], v[204:205]
	v_div_fmas_f64 v[200:201], v[200:201], v[202:203], v[206:207]
	v_div_fixup_f64 v[202:203], v[200:201], v[196:197], v[198:199]
	v_fmac_f64_e32 v[196:197], v[198:199], v[202:203]
	v_div_scale_f64 v[198:199], s[10:11], v[196:197], v[196:197], 1.0
	v_rcp_f64_e32 v[200:201], v[198:199]
	s_nop 0
	v_fma_f64 v[204:205], -v[198:199], v[200:201], 1.0
	v_fmac_f64_e32 v[200:201], v[200:201], v[204:205]
	v_fma_f64 v[204:205], -v[198:199], v[200:201], 1.0
	v_fmac_f64_e32 v[200:201], v[200:201], v[204:205]
	v_div_scale_f64 v[204:205], vcc, 1.0, v[196:197], 1.0
	v_mul_f64 v[206:207], v[204:205], v[200:201]
	v_fma_f64 v[198:199], -v[198:199], v[206:207], v[204:205]
	s_nop 1
	v_div_fmas_f64 v[198:199], v[198:199], v[200:201], v[206:207]
	v_div_fixup_f64 v[200:201], v[198:199], v[196:197], 1.0
	v_mul_f64 v[202:203], v[202:203], -v[200:201]
.LBB97_250:
	s_or_b64 exec, exec, s[2:3]
	ds_write2_b64 v215, v[200:201], v[202:203] offset1:1
.LBB97_251:
	s_or_b64 exec, exec, s[4:5]
	s_waitcnt lgkmcnt(0)
	s_barrier
	ds_read2_b64 v[196:199], v215 offset1:1
	v_cmp_lt_u32_e32 vcc, 27, v214
	s_waitcnt lgkmcnt(0)
	scratch_store_dwordx4 off, v[196:199], off offset:728 ; 16-byte Folded Spill
	s_and_saveexec_b64 s[2:3], vcc
	s_cbranch_execz .LBB97_253
; %bb.252:
	scratch_load_dwordx4 v[198:201], off, off offset:728 ; 16-byte Folded Reload
	s_waitcnt vmcnt(0)
	v_mul_f64 v[196:197], v[200:201], v[82:83]
	v_mul_f64 v[82:83], v[198:199], v[82:83]
	v_fma_f64 v[196:197], v[198:199], v[80:81], -v[196:197]
	v_fmac_f64_e32 v[82:83], v[200:201], v[80:81]
	ds_read2_b64 v[198:201], v213 offset0:56 offset1:57
	s_waitcnt lgkmcnt(0)
	v_mul_f64 v[80:81], v[200:201], v[82:83]
	v_fma_f64 v[80:81], v[198:199], v[196:197], -v[80:81]
	v_mul_f64 v[198:199], v[198:199], v[82:83]
	v_fmac_f64_e32 v[198:199], v[200:201], v[196:197]
	v_add_f64 v[78:79], v[78:79], -v[198:199]
	ds_read2_b64 v[198:201], v213 offset0:58 offset1:59
	v_add_f64 v[76:77], v[76:77], -v[80:81]
	s_waitcnt lgkmcnt(0)
	v_mul_f64 v[80:81], v[200:201], v[82:83]
	v_fma_f64 v[80:81], v[198:199], v[196:197], -v[80:81]
	v_mul_f64 v[198:199], v[198:199], v[82:83]
	v_fmac_f64_e32 v[198:199], v[200:201], v[196:197]
	v_add_f64 v[74:75], v[74:75], -v[198:199]
	ds_read2_b64 v[198:201], v213 offset0:60 offset1:61
	v_add_f64 v[72:73], v[72:73], -v[80:81]
	;; [unrolled: 8-line block ×20, first 2 shown]
	s_waitcnt lgkmcnt(0)
	v_mul_f64 v[80:81], v[200:201], v[82:83]
	v_fma_f64 v[80:81], v[198:199], v[196:197], -v[80:81]
	v_mul_f64 v[198:199], v[198:199], v[82:83]
	v_fmac_f64_e32 v[198:199], v[200:201], v[196:197]
	scratch_load_dwordx4 v[200:203], off, off ; 16-byte Folded Reload
	s_waitcnt vmcnt(0)
	v_add_f64 v[200:201], v[200:201], -v[80:81]
	v_add_f64 v[202:203], v[202:203], -v[198:199]
	v_mov_b64_e32 v[80:81], v[196:197]
	scratch_store_dwordx4 off, v[200:203], off ; 16-byte Folded Spill
.LBB97_253:
	s_or_b64 exec, exec, s[2:3]
	v_cmp_eq_u32_e32 vcc, 28, v214
	s_barrier
	s_and_saveexec_b64 s[4:5], vcc
	s_cbranch_execz .LBB97_260
; %bb.254:
	ds_write2_b64 v215, v[76:77], v[78:79] offset1:1
	ds_write2_b64 v213, v[72:73], v[74:75] offset0:58 offset1:59
	ds_write2_b64 v213, v[68:69], v[70:71] offset0:60 offset1:61
	;; [unrolled: 1-line block ×19, first 2 shown]
	scratch_load_dwordx4 v[196:199], off, off ; 16-byte Folded Reload
	s_waitcnt vmcnt(0)
	ds_write2_b64 v213, v[196:197], v[198:199] offset0:96 offset1:97
	ds_read2_b64 v[196:199], v215 offset1:1
	s_waitcnt lgkmcnt(0)
	v_cmp_neq_f64_e32 vcc, 0, v[196:197]
	v_cmp_neq_f64_e64 s[2:3], 0, v[198:199]
	s_or_b64 s[2:3], vcc, s[2:3]
	s_and_b64 exec, exec, s[2:3]
	s_cbranch_execz .LBB97_260
; %bb.255:
	v_cmp_ngt_f64_e64 s[2:3], |v[196:197]|, |v[198:199]|
                                        ; implicit-def: $vgpr200_vgpr201
	s_and_saveexec_b64 s[10:11], s[2:3]
	s_xor_b64 s[2:3], exec, s[10:11]
                                        ; implicit-def: $vgpr202_vgpr203
	s_cbranch_execz .LBB97_257
; %bb.256:
	v_div_scale_f64 v[200:201], s[10:11], v[198:199], v[198:199], v[196:197]
	v_rcp_f64_e32 v[202:203], v[200:201]
	v_div_scale_f64 v[204:205], vcc, v[196:197], v[198:199], v[196:197]
	v_fma_f64 v[206:207], -v[200:201], v[202:203], 1.0
	v_fmac_f64_e32 v[202:203], v[202:203], v[206:207]
	v_fma_f64 v[206:207], -v[200:201], v[202:203], 1.0
	v_fmac_f64_e32 v[202:203], v[202:203], v[206:207]
	v_mul_f64 v[206:207], v[204:205], v[202:203]
	v_fma_f64 v[200:201], -v[200:201], v[206:207], v[204:205]
	v_div_fmas_f64 v[200:201], v[200:201], v[202:203], v[206:207]
	v_div_fixup_f64 v[200:201], v[200:201], v[198:199], v[196:197]
	v_fmac_f64_e32 v[198:199], v[196:197], v[200:201]
	v_div_scale_f64 v[196:197], s[10:11], v[198:199], v[198:199], 1.0
	v_rcp_f64_e32 v[202:203], v[196:197]
	s_nop 0
	v_fma_f64 v[204:205], -v[196:197], v[202:203], 1.0
	v_fmac_f64_e32 v[202:203], v[202:203], v[204:205]
	v_fma_f64 v[204:205], -v[196:197], v[202:203], 1.0
	v_fmac_f64_e32 v[202:203], v[202:203], v[204:205]
	v_div_scale_f64 v[204:205], vcc, 1.0, v[198:199], 1.0
	v_mul_f64 v[206:207], v[204:205], v[202:203]
	v_fma_f64 v[196:197], -v[196:197], v[206:207], v[204:205]
	s_nop 1
	v_div_fmas_f64 v[196:197], v[196:197], v[202:203], v[206:207]
	v_div_fixup_f64 v[202:203], v[196:197], v[198:199], 1.0
	v_mul_f64 v[200:201], v[200:201], v[202:203]
	v_xor_b32_e32 v203, 0x80000000, v203
                                        ; implicit-def: $vgpr196_vgpr197
.LBB97_257:
	s_andn2_saveexec_b64 s[2:3], s[2:3]
	s_cbranch_execz .LBB97_259
; %bb.258:
	v_div_scale_f64 v[200:201], s[10:11], v[196:197], v[196:197], v[198:199]
	v_rcp_f64_e32 v[202:203], v[200:201]
	v_div_scale_f64 v[204:205], vcc, v[198:199], v[196:197], v[198:199]
	v_fma_f64 v[206:207], -v[200:201], v[202:203], 1.0
	v_fmac_f64_e32 v[202:203], v[202:203], v[206:207]
	v_fma_f64 v[206:207], -v[200:201], v[202:203], 1.0
	v_fmac_f64_e32 v[202:203], v[202:203], v[206:207]
	v_mul_f64 v[206:207], v[204:205], v[202:203]
	v_fma_f64 v[200:201], -v[200:201], v[206:207], v[204:205]
	v_div_fmas_f64 v[200:201], v[200:201], v[202:203], v[206:207]
	v_div_fixup_f64 v[202:203], v[200:201], v[196:197], v[198:199]
	v_fmac_f64_e32 v[196:197], v[198:199], v[202:203]
	v_div_scale_f64 v[198:199], s[10:11], v[196:197], v[196:197], 1.0
	v_rcp_f64_e32 v[200:201], v[198:199]
	s_nop 0
	v_fma_f64 v[204:205], -v[198:199], v[200:201], 1.0
	v_fmac_f64_e32 v[200:201], v[200:201], v[204:205]
	v_fma_f64 v[204:205], -v[198:199], v[200:201], 1.0
	v_fmac_f64_e32 v[200:201], v[200:201], v[204:205]
	v_div_scale_f64 v[204:205], vcc, 1.0, v[196:197], 1.0
	v_mul_f64 v[206:207], v[204:205], v[200:201]
	v_fma_f64 v[198:199], -v[198:199], v[206:207], v[204:205]
	s_nop 1
	v_div_fmas_f64 v[198:199], v[198:199], v[200:201], v[206:207]
	v_div_fixup_f64 v[200:201], v[198:199], v[196:197], 1.0
	v_mul_f64 v[202:203], v[202:203], -v[200:201]
.LBB97_259:
	s_or_b64 exec, exec, s[2:3]
	ds_write2_b64 v215, v[200:201], v[202:203] offset1:1
.LBB97_260:
	s_or_b64 exec, exec, s[4:5]
	s_waitcnt lgkmcnt(0)
	s_barrier
	ds_read2_b64 v[196:199], v215 offset1:1
	v_cmp_lt_u32_e32 vcc, 28, v214
	s_waitcnt lgkmcnt(0)
	scratch_store_dwordx4 off, v[196:199], off offset:744 ; 16-byte Folded Spill
	s_and_saveexec_b64 s[2:3], vcc
	s_cbranch_execz .LBB97_262
; %bb.261:
	scratch_load_dwordx4 v[198:201], off, off offset:744 ; 16-byte Folded Reload
	s_waitcnt vmcnt(0)
	v_mul_f64 v[196:197], v[200:201], v[78:79]
	v_mul_f64 v[78:79], v[198:199], v[78:79]
	v_fma_f64 v[196:197], v[198:199], v[76:77], -v[196:197]
	v_fmac_f64_e32 v[78:79], v[200:201], v[76:77]
	ds_read2_b64 v[198:201], v213 offset0:58 offset1:59
	s_waitcnt lgkmcnt(0)
	v_mul_f64 v[76:77], v[200:201], v[78:79]
	v_fma_f64 v[76:77], v[198:199], v[196:197], -v[76:77]
	v_mul_f64 v[198:199], v[198:199], v[78:79]
	v_fmac_f64_e32 v[198:199], v[200:201], v[196:197]
	v_add_f64 v[74:75], v[74:75], -v[198:199]
	ds_read2_b64 v[198:201], v213 offset0:60 offset1:61
	v_add_f64 v[72:73], v[72:73], -v[76:77]
	s_waitcnt lgkmcnt(0)
	v_mul_f64 v[76:77], v[200:201], v[78:79]
	v_fma_f64 v[76:77], v[198:199], v[196:197], -v[76:77]
	v_mul_f64 v[198:199], v[198:199], v[78:79]
	v_fmac_f64_e32 v[198:199], v[200:201], v[196:197]
	v_add_f64 v[70:71], v[70:71], -v[198:199]
	ds_read2_b64 v[198:201], v213 offset0:62 offset1:63
	v_add_f64 v[68:69], v[68:69], -v[76:77]
	;; [unrolled: 8-line block ×19, first 2 shown]
	s_waitcnt lgkmcnt(0)
	v_mul_f64 v[76:77], v[200:201], v[78:79]
	v_fma_f64 v[76:77], v[198:199], v[196:197], -v[76:77]
	v_mul_f64 v[198:199], v[198:199], v[78:79]
	v_fmac_f64_e32 v[198:199], v[200:201], v[196:197]
	scratch_load_dwordx4 v[200:203], off, off ; 16-byte Folded Reload
	s_waitcnt vmcnt(0)
	v_add_f64 v[200:201], v[200:201], -v[76:77]
	v_add_f64 v[202:203], v[202:203], -v[198:199]
	v_mov_b64_e32 v[76:77], v[196:197]
	scratch_store_dwordx4 off, v[200:203], off ; 16-byte Folded Spill
.LBB97_262:
	s_or_b64 exec, exec, s[2:3]
	v_cmp_eq_u32_e32 vcc, 29, v214
	s_barrier
	s_and_saveexec_b64 s[4:5], vcc
	s_cbranch_execz .LBB97_269
; %bb.263:
	ds_write2_b64 v215, v[72:73], v[74:75] offset1:1
	ds_write2_b64 v213, v[68:69], v[70:71] offset0:60 offset1:61
	ds_write2_b64 v213, v[64:65], v[66:67] offset0:62 offset1:63
	;; [unrolled: 1-line block ×18, first 2 shown]
	scratch_load_dwordx4 v[196:199], off, off ; 16-byte Folded Reload
	s_waitcnt vmcnt(0)
	ds_write2_b64 v213, v[196:197], v[198:199] offset0:96 offset1:97
	ds_read2_b64 v[196:199], v215 offset1:1
	s_waitcnt lgkmcnt(0)
	v_cmp_neq_f64_e32 vcc, 0, v[196:197]
	v_cmp_neq_f64_e64 s[2:3], 0, v[198:199]
	s_or_b64 s[2:3], vcc, s[2:3]
	s_and_b64 exec, exec, s[2:3]
	s_cbranch_execz .LBB97_269
; %bb.264:
	v_cmp_ngt_f64_e64 s[2:3], |v[196:197]|, |v[198:199]|
                                        ; implicit-def: $vgpr200_vgpr201
	s_and_saveexec_b64 s[10:11], s[2:3]
	s_xor_b64 s[2:3], exec, s[10:11]
                                        ; implicit-def: $vgpr202_vgpr203
	s_cbranch_execz .LBB97_266
; %bb.265:
	v_div_scale_f64 v[200:201], s[10:11], v[198:199], v[198:199], v[196:197]
	v_rcp_f64_e32 v[202:203], v[200:201]
	v_div_scale_f64 v[204:205], vcc, v[196:197], v[198:199], v[196:197]
	v_fma_f64 v[206:207], -v[200:201], v[202:203], 1.0
	v_fmac_f64_e32 v[202:203], v[202:203], v[206:207]
	v_fma_f64 v[206:207], -v[200:201], v[202:203], 1.0
	v_fmac_f64_e32 v[202:203], v[202:203], v[206:207]
	v_mul_f64 v[206:207], v[204:205], v[202:203]
	v_fma_f64 v[200:201], -v[200:201], v[206:207], v[204:205]
	v_div_fmas_f64 v[200:201], v[200:201], v[202:203], v[206:207]
	v_div_fixup_f64 v[200:201], v[200:201], v[198:199], v[196:197]
	v_fmac_f64_e32 v[198:199], v[196:197], v[200:201]
	v_div_scale_f64 v[196:197], s[10:11], v[198:199], v[198:199], 1.0
	v_rcp_f64_e32 v[202:203], v[196:197]
	s_nop 0
	v_fma_f64 v[204:205], -v[196:197], v[202:203], 1.0
	v_fmac_f64_e32 v[202:203], v[202:203], v[204:205]
	v_fma_f64 v[204:205], -v[196:197], v[202:203], 1.0
	v_fmac_f64_e32 v[202:203], v[202:203], v[204:205]
	v_div_scale_f64 v[204:205], vcc, 1.0, v[198:199], 1.0
	v_mul_f64 v[206:207], v[204:205], v[202:203]
	v_fma_f64 v[196:197], -v[196:197], v[206:207], v[204:205]
	s_nop 1
	v_div_fmas_f64 v[196:197], v[196:197], v[202:203], v[206:207]
	v_div_fixup_f64 v[202:203], v[196:197], v[198:199], 1.0
	v_mul_f64 v[200:201], v[200:201], v[202:203]
	v_xor_b32_e32 v203, 0x80000000, v203
                                        ; implicit-def: $vgpr196_vgpr197
.LBB97_266:
	s_andn2_saveexec_b64 s[2:3], s[2:3]
	s_cbranch_execz .LBB97_268
; %bb.267:
	v_div_scale_f64 v[200:201], s[10:11], v[196:197], v[196:197], v[198:199]
	v_rcp_f64_e32 v[202:203], v[200:201]
	v_div_scale_f64 v[204:205], vcc, v[198:199], v[196:197], v[198:199]
	v_fma_f64 v[206:207], -v[200:201], v[202:203], 1.0
	v_fmac_f64_e32 v[202:203], v[202:203], v[206:207]
	v_fma_f64 v[206:207], -v[200:201], v[202:203], 1.0
	v_fmac_f64_e32 v[202:203], v[202:203], v[206:207]
	v_mul_f64 v[206:207], v[204:205], v[202:203]
	v_fma_f64 v[200:201], -v[200:201], v[206:207], v[204:205]
	v_div_fmas_f64 v[200:201], v[200:201], v[202:203], v[206:207]
	v_div_fixup_f64 v[202:203], v[200:201], v[196:197], v[198:199]
	v_fmac_f64_e32 v[196:197], v[198:199], v[202:203]
	v_div_scale_f64 v[198:199], s[10:11], v[196:197], v[196:197], 1.0
	v_rcp_f64_e32 v[200:201], v[198:199]
	s_nop 0
	v_fma_f64 v[204:205], -v[198:199], v[200:201], 1.0
	v_fmac_f64_e32 v[200:201], v[200:201], v[204:205]
	v_fma_f64 v[204:205], -v[198:199], v[200:201], 1.0
	v_fmac_f64_e32 v[200:201], v[200:201], v[204:205]
	v_div_scale_f64 v[204:205], vcc, 1.0, v[196:197], 1.0
	v_mul_f64 v[206:207], v[204:205], v[200:201]
	v_fma_f64 v[198:199], -v[198:199], v[206:207], v[204:205]
	s_nop 1
	v_div_fmas_f64 v[198:199], v[198:199], v[200:201], v[206:207]
	v_div_fixup_f64 v[200:201], v[198:199], v[196:197], 1.0
	v_mul_f64 v[202:203], v[202:203], -v[200:201]
.LBB97_268:
	s_or_b64 exec, exec, s[2:3]
	ds_write2_b64 v215, v[200:201], v[202:203] offset1:1
.LBB97_269:
	s_or_b64 exec, exec, s[4:5]
	s_waitcnt lgkmcnt(0)
	s_barrier
	ds_read2_b64 v[196:199], v215 offset1:1
	v_cmp_lt_u32_e32 vcc, 29, v214
	s_waitcnt lgkmcnt(0)
	scratch_store_dwordx4 off, v[196:199], off offset:760 ; 16-byte Folded Spill
	s_and_saveexec_b64 s[2:3], vcc
	s_cbranch_execz .LBB97_271
; %bb.270:
	scratch_load_dwordx4 v[198:201], off, off offset:760 ; 16-byte Folded Reload
	s_waitcnt vmcnt(0)
	v_mul_f64 v[196:197], v[200:201], v[74:75]
	v_mul_f64 v[74:75], v[198:199], v[74:75]
	v_fma_f64 v[196:197], v[198:199], v[72:73], -v[196:197]
	v_fmac_f64_e32 v[74:75], v[200:201], v[72:73]
	ds_read2_b64 v[198:201], v213 offset0:60 offset1:61
	s_waitcnt lgkmcnt(0)
	v_mul_f64 v[72:73], v[200:201], v[74:75]
	v_fma_f64 v[72:73], v[198:199], v[196:197], -v[72:73]
	v_mul_f64 v[198:199], v[198:199], v[74:75]
	v_fmac_f64_e32 v[198:199], v[200:201], v[196:197]
	v_add_f64 v[70:71], v[70:71], -v[198:199]
	ds_read2_b64 v[198:201], v213 offset0:62 offset1:63
	v_add_f64 v[68:69], v[68:69], -v[72:73]
	s_waitcnt lgkmcnt(0)
	v_mul_f64 v[72:73], v[200:201], v[74:75]
	v_fma_f64 v[72:73], v[198:199], v[196:197], -v[72:73]
	v_mul_f64 v[198:199], v[198:199], v[74:75]
	v_fmac_f64_e32 v[198:199], v[200:201], v[196:197]
	v_add_f64 v[66:67], v[66:67], -v[198:199]
	ds_read2_b64 v[198:201], v213 offset0:64 offset1:65
	v_add_f64 v[64:65], v[64:65], -v[72:73]
	;; [unrolled: 8-line block ×18, first 2 shown]
	s_waitcnt lgkmcnt(0)
	v_mul_f64 v[72:73], v[200:201], v[74:75]
	v_fma_f64 v[72:73], v[198:199], v[196:197], -v[72:73]
	v_mul_f64 v[198:199], v[198:199], v[74:75]
	v_fmac_f64_e32 v[198:199], v[200:201], v[196:197]
	scratch_load_dwordx4 v[200:203], off, off ; 16-byte Folded Reload
	s_waitcnt vmcnt(0)
	v_add_f64 v[200:201], v[200:201], -v[72:73]
	v_add_f64 v[202:203], v[202:203], -v[198:199]
	v_mov_b64_e32 v[72:73], v[196:197]
	scratch_store_dwordx4 off, v[200:203], off ; 16-byte Folded Spill
.LBB97_271:
	s_or_b64 exec, exec, s[2:3]
	v_cmp_eq_u32_e32 vcc, 30, v214
	s_barrier
	s_and_saveexec_b64 s[4:5], vcc
	s_cbranch_execz .LBB97_278
; %bb.272:
	ds_write2_b64 v215, v[68:69], v[70:71] offset1:1
	ds_write2_b64 v213, v[64:65], v[66:67] offset0:62 offset1:63
	ds_write2_b64 v213, v[60:61], v[62:63] offset0:64 offset1:65
	;; [unrolled: 1-line block ×17, first 2 shown]
	scratch_load_dwordx4 v[196:199], off, off ; 16-byte Folded Reload
	s_waitcnt vmcnt(0)
	ds_write2_b64 v213, v[196:197], v[198:199] offset0:96 offset1:97
	ds_read2_b64 v[196:199], v215 offset1:1
	s_waitcnt lgkmcnt(0)
	v_cmp_neq_f64_e32 vcc, 0, v[196:197]
	v_cmp_neq_f64_e64 s[2:3], 0, v[198:199]
	s_or_b64 s[2:3], vcc, s[2:3]
	s_and_b64 exec, exec, s[2:3]
	s_cbranch_execz .LBB97_278
; %bb.273:
	v_cmp_ngt_f64_e64 s[2:3], |v[196:197]|, |v[198:199]|
                                        ; implicit-def: $vgpr200_vgpr201
	s_and_saveexec_b64 s[10:11], s[2:3]
	s_xor_b64 s[2:3], exec, s[10:11]
                                        ; implicit-def: $vgpr202_vgpr203
	s_cbranch_execz .LBB97_275
; %bb.274:
	v_div_scale_f64 v[200:201], s[10:11], v[198:199], v[198:199], v[196:197]
	v_rcp_f64_e32 v[202:203], v[200:201]
	v_div_scale_f64 v[204:205], vcc, v[196:197], v[198:199], v[196:197]
	v_fma_f64 v[206:207], -v[200:201], v[202:203], 1.0
	v_fmac_f64_e32 v[202:203], v[202:203], v[206:207]
	v_fma_f64 v[206:207], -v[200:201], v[202:203], 1.0
	v_fmac_f64_e32 v[202:203], v[202:203], v[206:207]
	v_mul_f64 v[206:207], v[204:205], v[202:203]
	v_fma_f64 v[200:201], -v[200:201], v[206:207], v[204:205]
	v_div_fmas_f64 v[200:201], v[200:201], v[202:203], v[206:207]
	v_div_fixup_f64 v[200:201], v[200:201], v[198:199], v[196:197]
	v_fmac_f64_e32 v[198:199], v[196:197], v[200:201]
	v_div_scale_f64 v[196:197], s[10:11], v[198:199], v[198:199], 1.0
	v_rcp_f64_e32 v[202:203], v[196:197]
	s_nop 0
	v_fma_f64 v[204:205], -v[196:197], v[202:203], 1.0
	v_fmac_f64_e32 v[202:203], v[202:203], v[204:205]
	v_fma_f64 v[204:205], -v[196:197], v[202:203], 1.0
	v_fmac_f64_e32 v[202:203], v[202:203], v[204:205]
	v_div_scale_f64 v[204:205], vcc, 1.0, v[198:199], 1.0
	v_mul_f64 v[206:207], v[204:205], v[202:203]
	v_fma_f64 v[196:197], -v[196:197], v[206:207], v[204:205]
	s_nop 1
	v_div_fmas_f64 v[196:197], v[196:197], v[202:203], v[206:207]
	v_div_fixup_f64 v[202:203], v[196:197], v[198:199], 1.0
	v_mul_f64 v[200:201], v[200:201], v[202:203]
	v_xor_b32_e32 v203, 0x80000000, v203
                                        ; implicit-def: $vgpr196_vgpr197
.LBB97_275:
	s_andn2_saveexec_b64 s[2:3], s[2:3]
	s_cbranch_execz .LBB97_277
; %bb.276:
	v_div_scale_f64 v[200:201], s[10:11], v[196:197], v[196:197], v[198:199]
	v_rcp_f64_e32 v[202:203], v[200:201]
	v_div_scale_f64 v[204:205], vcc, v[198:199], v[196:197], v[198:199]
	v_fma_f64 v[206:207], -v[200:201], v[202:203], 1.0
	v_fmac_f64_e32 v[202:203], v[202:203], v[206:207]
	v_fma_f64 v[206:207], -v[200:201], v[202:203], 1.0
	v_fmac_f64_e32 v[202:203], v[202:203], v[206:207]
	v_mul_f64 v[206:207], v[204:205], v[202:203]
	v_fma_f64 v[200:201], -v[200:201], v[206:207], v[204:205]
	v_div_fmas_f64 v[200:201], v[200:201], v[202:203], v[206:207]
	v_div_fixup_f64 v[202:203], v[200:201], v[196:197], v[198:199]
	v_fmac_f64_e32 v[196:197], v[198:199], v[202:203]
	v_div_scale_f64 v[198:199], s[10:11], v[196:197], v[196:197], 1.0
	v_rcp_f64_e32 v[200:201], v[198:199]
	s_nop 0
	v_fma_f64 v[204:205], -v[198:199], v[200:201], 1.0
	v_fmac_f64_e32 v[200:201], v[200:201], v[204:205]
	v_fma_f64 v[204:205], -v[198:199], v[200:201], 1.0
	v_fmac_f64_e32 v[200:201], v[200:201], v[204:205]
	v_div_scale_f64 v[204:205], vcc, 1.0, v[196:197], 1.0
	v_mul_f64 v[206:207], v[204:205], v[200:201]
	v_fma_f64 v[198:199], -v[198:199], v[206:207], v[204:205]
	s_nop 1
	v_div_fmas_f64 v[198:199], v[198:199], v[200:201], v[206:207]
	v_div_fixup_f64 v[200:201], v[198:199], v[196:197], 1.0
	v_mul_f64 v[202:203], v[202:203], -v[200:201]
.LBB97_277:
	s_or_b64 exec, exec, s[2:3]
	ds_write2_b64 v215, v[200:201], v[202:203] offset1:1
.LBB97_278:
	s_or_b64 exec, exec, s[4:5]
	s_waitcnt lgkmcnt(0)
	s_barrier
	ds_read2_b64 v[196:199], v215 offset1:1
	v_cmp_lt_u32_e32 vcc, 30, v214
	s_waitcnt lgkmcnt(0)
	scratch_store_dwordx4 off, v[196:199], off offset:776 ; 16-byte Folded Spill
	s_and_saveexec_b64 s[2:3], vcc
	s_cbranch_execz .LBB97_280
; %bb.279:
	scratch_load_dwordx4 v[198:201], off, off offset:776 ; 16-byte Folded Reload
	s_waitcnt vmcnt(0)
	v_mul_f64 v[196:197], v[200:201], v[70:71]
	v_mul_f64 v[70:71], v[198:199], v[70:71]
	v_fma_f64 v[196:197], v[198:199], v[68:69], -v[196:197]
	v_fmac_f64_e32 v[70:71], v[200:201], v[68:69]
	ds_read2_b64 v[198:201], v213 offset0:62 offset1:63
	s_waitcnt lgkmcnt(0)
	v_mul_f64 v[68:69], v[200:201], v[70:71]
	v_fma_f64 v[68:69], v[198:199], v[196:197], -v[68:69]
	v_mul_f64 v[198:199], v[198:199], v[70:71]
	v_fmac_f64_e32 v[198:199], v[200:201], v[196:197]
	v_add_f64 v[66:67], v[66:67], -v[198:199]
	ds_read2_b64 v[198:201], v213 offset0:64 offset1:65
	v_add_f64 v[64:65], v[64:65], -v[68:69]
	s_waitcnt lgkmcnt(0)
	v_mul_f64 v[68:69], v[200:201], v[70:71]
	v_fma_f64 v[68:69], v[198:199], v[196:197], -v[68:69]
	v_mul_f64 v[198:199], v[198:199], v[70:71]
	v_fmac_f64_e32 v[198:199], v[200:201], v[196:197]
	v_add_f64 v[62:63], v[62:63], -v[198:199]
	ds_read2_b64 v[198:201], v213 offset0:66 offset1:67
	v_add_f64 v[60:61], v[60:61], -v[68:69]
	;; [unrolled: 8-line block ×17, first 2 shown]
	s_waitcnt lgkmcnt(0)
	v_mul_f64 v[68:69], v[200:201], v[70:71]
	v_fma_f64 v[68:69], v[198:199], v[196:197], -v[68:69]
	v_mul_f64 v[198:199], v[198:199], v[70:71]
	v_fmac_f64_e32 v[198:199], v[200:201], v[196:197]
	scratch_load_dwordx4 v[200:203], off, off ; 16-byte Folded Reload
	s_waitcnt vmcnt(0)
	v_add_f64 v[200:201], v[200:201], -v[68:69]
	v_add_f64 v[202:203], v[202:203], -v[198:199]
	v_mov_b64_e32 v[68:69], v[196:197]
	scratch_store_dwordx4 off, v[200:203], off ; 16-byte Folded Spill
.LBB97_280:
	s_or_b64 exec, exec, s[2:3]
	v_cmp_eq_u32_e32 vcc, 31, v214
	s_barrier
	s_and_saveexec_b64 s[4:5], vcc
	s_cbranch_execz .LBB97_287
; %bb.281:
	ds_write2_b64 v215, v[64:65], v[66:67] offset1:1
	ds_write2_b64 v213, v[60:61], v[62:63] offset0:64 offset1:65
	ds_write2_b64 v213, v[56:57], v[58:59] offset0:66 offset1:67
	;; [unrolled: 1-line block ×16, first 2 shown]
	scratch_load_dwordx4 v[196:199], off, off ; 16-byte Folded Reload
	s_waitcnt vmcnt(0)
	ds_write2_b64 v213, v[196:197], v[198:199] offset0:96 offset1:97
	ds_read2_b64 v[196:199], v215 offset1:1
	s_waitcnt lgkmcnt(0)
	v_cmp_neq_f64_e32 vcc, 0, v[196:197]
	v_cmp_neq_f64_e64 s[2:3], 0, v[198:199]
	s_or_b64 s[2:3], vcc, s[2:3]
	s_and_b64 exec, exec, s[2:3]
	s_cbranch_execz .LBB97_287
; %bb.282:
	v_cmp_ngt_f64_e64 s[2:3], |v[196:197]|, |v[198:199]|
                                        ; implicit-def: $vgpr200_vgpr201
	s_and_saveexec_b64 s[10:11], s[2:3]
	s_xor_b64 s[2:3], exec, s[10:11]
                                        ; implicit-def: $vgpr202_vgpr203
	s_cbranch_execz .LBB97_284
; %bb.283:
	v_div_scale_f64 v[200:201], s[10:11], v[198:199], v[198:199], v[196:197]
	v_rcp_f64_e32 v[202:203], v[200:201]
	v_div_scale_f64 v[204:205], vcc, v[196:197], v[198:199], v[196:197]
	v_fma_f64 v[206:207], -v[200:201], v[202:203], 1.0
	v_fmac_f64_e32 v[202:203], v[202:203], v[206:207]
	v_fma_f64 v[206:207], -v[200:201], v[202:203], 1.0
	v_fmac_f64_e32 v[202:203], v[202:203], v[206:207]
	v_mul_f64 v[206:207], v[204:205], v[202:203]
	v_fma_f64 v[200:201], -v[200:201], v[206:207], v[204:205]
	v_div_fmas_f64 v[200:201], v[200:201], v[202:203], v[206:207]
	v_div_fixup_f64 v[200:201], v[200:201], v[198:199], v[196:197]
	v_fmac_f64_e32 v[198:199], v[196:197], v[200:201]
	v_div_scale_f64 v[196:197], s[10:11], v[198:199], v[198:199], 1.0
	v_rcp_f64_e32 v[202:203], v[196:197]
	s_nop 0
	v_fma_f64 v[204:205], -v[196:197], v[202:203], 1.0
	v_fmac_f64_e32 v[202:203], v[202:203], v[204:205]
	v_fma_f64 v[204:205], -v[196:197], v[202:203], 1.0
	v_fmac_f64_e32 v[202:203], v[202:203], v[204:205]
	v_div_scale_f64 v[204:205], vcc, 1.0, v[198:199], 1.0
	v_mul_f64 v[206:207], v[204:205], v[202:203]
	v_fma_f64 v[196:197], -v[196:197], v[206:207], v[204:205]
	s_nop 1
	v_div_fmas_f64 v[196:197], v[196:197], v[202:203], v[206:207]
	v_div_fixup_f64 v[202:203], v[196:197], v[198:199], 1.0
	v_mul_f64 v[200:201], v[200:201], v[202:203]
	v_xor_b32_e32 v203, 0x80000000, v203
                                        ; implicit-def: $vgpr196_vgpr197
.LBB97_284:
	s_andn2_saveexec_b64 s[2:3], s[2:3]
	s_cbranch_execz .LBB97_286
; %bb.285:
	v_div_scale_f64 v[200:201], s[10:11], v[196:197], v[196:197], v[198:199]
	v_rcp_f64_e32 v[202:203], v[200:201]
	v_div_scale_f64 v[204:205], vcc, v[198:199], v[196:197], v[198:199]
	v_fma_f64 v[206:207], -v[200:201], v[202:203], 1.0
	v_fmac_f64_e32 v[202:203], v[202:203], v[206:207]
	v_fma_f64 v[206:207], -v[200:201], v[202:203], 1.0
	v_fmac_f64_e32 v[202:203], v[202:203], v[206:207]
	v_mul_f64 v[206:207], v[204:205], v[202:203]
	v_fma_f64 v[200:201], -v[200:201], v[206:207], v[204:205]
	v_div_fmas_f64 v[200:201], v[200:201], v[202:203], v[206:207]
	v_div_fixup_f64 v[202:203], v[200:201], v[196:197], v[198:199]
	v_fmac_f64_e32 v[196:197], v[198:199], v[202:203]
	v_div_scale_f64 v[198:199], s[10:11], v[196:197], v[196:197], 1.0
	v_rcp_f64_e32 v[200:201], v[198:199]
	s_nop 0
	v_fma_f64 v[204:205], -v[198:199], v[200:201], 1.0
	v_fmac_f64_e32 v[200:201], v[200:201], v[204:205]
	v_fma_f64 v[204:205], -v[198:199], v[200:201], 1.0
	v_fmac_f64_e32 v[200:201], v[200:201], v[204:205]
	v_div_scale_f64 v[204:205], vcc, 1.0, v[196:197], 1.0
	v_mul_f64 v[206:207], v[204:205], v[200:201]
	v_fma_f64 v[198:199], -v[198:199], v[206:207], v[204:205]
	s_nop 1
	v_div_fmas_f64 v[198:199], v[198:199], v[200:201], v[206:207]
	v_div_fixup_f64 v[200:201], v[198:199], v[196:197], 1.0
	v_mul_f64 v[202:203], v[202:203], -v[200:201]
.LBB97_286:
	s_or_b64 exec, exec, s[2:3]
	ds_write2_b64 v215, v[200:201], v[202:203] offset1:1
.LBB97_287:
	s_or_b64 exec, exec, s[4:5]
	s_waitcnt lgkmcnt(0)
	s_barrier
	ds_read2_b64 v[196:199], v215 offset1:1
	v_cmp_lt_u32_e32 vcc, 31, v214
	s_waitcnt lgkmcnt(0)
	scratch_store_dwordx4 off, v[196:199], off offset:792 ; 16-byte Folded Spill
	s_and_saveexec_b64 s[2:3], vcc
	s_cbranch_execz .LBB97_289
; %bb.288:
	scratch_load_dwordx4 v[198:201], off, off offset:792 ; 16-byte Folded Reload
	s_waitcnt vmcnt(0)
	v_mul_f64 v[196:197], v[200:201], v[66:67]
	v_mul_f64 v[66:67], v[198:199], v[66:67]
	v_fma_f64 v[196:197], v[198:199], v[64:65], -v[196:197]
	v_fmac_f64_e32 v[66:67], v[200:201], v[64:65]
	ds_read2_b64 v[198:201], v213 offset0:64 offset1:65
	s_waitcnt lgkmcnt(0)
	v_mul_f64 v[64:65], v[200:201], v[66:67]
	v_fma_f64 v[64:65], v[198:199], v[196:197], -v[64:65]
	v_mul_f64 v[198:199], v[198:199], v[66:67]
	v_fmac_f64_e32 v[198:199], v[200:201], v[196:197]
	v_add_f64 v[62:63], v[62:63], -v[198:199]
	ds_read2_b64 v[198:201], v213 offset0:66 offset1:67
	v_add_f64 v[60:61], v[60:61], -v[64:65]
	s_waitcnt lgkmcnt(0)
	v_mul_f64 v[64:65], v[200:201], v[66:67]
	v_fma_f64 v[64:65], v[198:199], v[196:197], -v[64:65]
	v_mul_f64 v[198:199], v[198:199], v[66:67]
	v_fmac_f64_e32 v[198:199], v[200:201], v[196:197]
	v_add_f64 v[58:59], v[58:59], -v[198:199]
	ds_read2_b64 v[198:201], v213 offset0:68 offset1:69
	v_add_f64 v[56:57], v[56:57], -v[64:65]
	;; [unrolled: 8-line block ×16, first 2 shown]
	s_waitcnt lgkmcnt(0)
	v_mul_f64 v[64:65], v[200:201], v[66:67]
	v_fma_f64 v[64:65], v[198:199], v[196:197], -v[64:65]
	v_mul_f64 v[198:199], v[198:199], v[66:67]
	v_fmac_f64_e32 v[198:199], v[200:201], v[196:197]
	scratch_load_dwordx4 v[200:203], off, off ; 16-byte Folded Reload
	s_waitcnt vmcnt(0)
	v_add_f64 v[200:201], v[200:201], -v[64:65]
	v_add_f64 v[202:203], v[202:203], -v[198:199]
	v_mov_b64_e32 v[64:65], v[196:197]
	scratch_store_dwordx4 off, v[200:203], off ; 16-byte Folded Spill
.LBB97_289:
	s_or_b64 exec, exec, s[2:3]
	v_cmp_eq_u32_e32 vcc, 32, v214
	s_barrier
	s_and_saveexec_b64 s[4:5], vcc
	s_cbranch_execz .LBB97_296
; %bb.290:
	ds_write2_b64 v215, v[60:61], v[62:63] offset1:1
	ds_write2_b64 v213, v[56:57], v[58:59] offset0:66 offset1:67
	ds_write2_b64 v213, v[52:53], v[54:55] offset0:68 offset1:69
	;; [unrolled: 1-line block ×15, first 2 shown]
	scratch_load_dwordx4 v[196:199], off, off ; 16-byte Folded Reload
	s_waitcnt vmcnt(0)
	ds_write2_b64 v213, v[196:197], v[198:199] offset0:96 offset1:97
	ds_read2_b64 v[196:199], v215 offset1:1
	s_waitcnt lgkmcnt(0)
	v_cmp_neq_f64_e32 vcc, 0, v[196:197]
	v_cmp_neq_f64_e64 s[2:3], 0, v[198:199]
	s_or_b64 s[2:3], vcc, s[2:3]
	s_and_b64 exec, exec, s[2:3]
	s_cbranch_execz .LBB97_296
; %bb.291:
	v_cmp_ngt_f64_e64 s[2:3], |v[196:197]|, |v[198:199]|
                                        ; implicit-def: $vgpr200_vgpr201
	s_and_saveexec_b64 s[10:11], s[2:3]
	s_xor_b64 s[2:3], exec, s[10:11]
                                        ; implicit-def: $vgpr202_vgpr203
	s_cbranch_execz .LBB97_293
; %bb.292:
	v_div_scale_f64 v[200:201], s[10:11], v[198:199], v[198:199], v[196:197]
	v_rcp_f64_e32 v[202:203], v[200:201]
	v_div_scale_f64 v[204:205], vcc, v[196:197], v[198:199], v[196:197]
	v_fma_f64 v[206:207], -v[200:201], v[202:203], 1.0
	v_fmac_f64_e32 v[202:203], v[202:203], v[206:207]
	v_fma_f64 v[206:207], -v[200:201], v[202:203], 1.0
	v_fmac_f64_e32 v[202:203], v[202:203], v[206:207]
	v_mul_f64 v[206:207], v[204:205], v[202:203]
	v_fma_f64 v[200:201], -v[200:201], v[206:207], v[204:205]
	v_div_fmas_f64 v[200:201], v[200:201], v[202:203], v[206:207]
	v_div_fixup_f64 v[200:201], v[200:201], v[198:199], v[196:197]
	v_fmac_f64_e32 v[198:199], v[196:197], v[200:201]
	v_div_scale_f64 v[196:197], s[10:11], v[198:199], v[198:199], 1.0
	v_rcp_f64_e32 v[202:203], v[196:197]
	s_nop 0
	v_fma_f64 v[204:205], -v[196:197], v[202:203], 1.0
	v_fmac_f64_e32 v[202:203], v[202:203], v[204:205]
	v_fma_f64 v[204:205], -v[196:197], v[202:203], 1.0
	v_fmac_f64_e32 v[202:203], v[202:203], v[204:205]
	v_div_scale_f64 v[204:205], vcc, 1.0, v[198:199], 1.0
	v_mul_f64 v[206:207], v[204:205], v[202:203]
	v_fma_f64 v[196:197], -v[196:197], v[206:207], v[204:205]
	s_nop 1
	v_div_fmas_f64 v[196:197], v[196:197], v[202:203], v[206:207]
	v_div_fixup_f64 v[202:203], v[196:197], v[198:199], 1.0
	v_mul_f64 v[200:201], v[200:201], v[202:203]
	v_xor_b32_e32 v203, 0x80000000, v203
                                        ; implicit-def: $vgpr196_vgpr197
.LBB97_293:
	s_andn2_saveexec_b64 s[2:3], s[2:3]
	s_cbranch_execz .LBB97_295
; %bb.294:
	v_div_scale_f64 v[200:201], s[10:11], v[196:197], v[196:197], v[198:199]
	v_rcp_f64_e32 v[202:203], v[200:201]
	v_div_scale_f64 v[204:205], vcc, v[198:199], v[196:197], v[198:199]
	v_fma_f64 v[206:207], -v[200:201], v[202:203], 1.0
	v_fmac_f64_e32 v[202:203], v[202:203], v[206:207]
	v_fma_f64 v[206:207], -v[200:201], v[202:203], 1.0
	v_fmac_f64_e32 v[202:203], v[202:203], v[206:207]
	v_mul_f64 v[206:207], v[204:205], v[202:203]
	v_fma_f64 v[200:201], -v[200:201], v[206:207], v[204:205]
	v_div_fmas_f64 v[200:201], v[200:201], v[202:203], v[206:207]
	v_div_fixup_f64 v[202:203], v[200:201], v[196:197], v[198:199]
	v_fmac_f64_e32 v[196:197], v[198:199], v[202:203]
	v_div_scale_f64 v[198:199], s[10:11], v[196:197], v[196:197], 1.0
	v_rcp_f64_e32 v[200:201], v[198:199]
	s_nop 0
	v_fma_f64 v[204:205], -v[198:199], v[200:201], 1.0
	v_fmac_f64_e32 v[200:201], v[200:201], v[204:205]
	v_fma_f64 v[204:205], -v[198:199], v[200:201], 1.0
	v_fmac_f64_e32 v[200:201], v[200:201], v[204:205]
	v_div_scale_f64 v[204:205], vcc, 1.0, v[196:197], 1.0
	v_mul_f64 v[206:207], v[204:205], v[200:201]
	v_fma_f64 v[198:199], -v[198:199], v[206:207], v[204:205]
	s_nop 1
	v_div_fmas_f64 v[198:199], v[198:199], v[200:201], v[206:207]
	v_div_fixup_f64 v[200:201], v[198:199], v[196:197], 1.0
	v_mul_f64 v[202:203], v[202:203], -v[200:201]
.LBB97_295:
	s_or_b64 exec, exec, s[2:3]
	ds_write2_b64 v215, v[200:201], v[202:203] offset1:1
.LBB97_296:
	s_or_b64 exec, exec, s[4:5]
	s_waitcnt lgkmcnt(0)
	s_barrier
	ds_read2_b64 v[196:199], v215 offset1:1
	v_cmp_lt_u32_e32 vcc, 32, v214
	s_waitcnt lgkmcnt(0)
	scratch_store_dwordx4 off, v[196:199], off offset:808 ; 16-byte Folded Spill
	s_and_saveexec_b64 s[2:3], vcc
	s_cbranch_execz .LBB97_298
; %bb.297:
	scratch_load_dwordx4 v[198:201], off, off offset:808 ; 16-byte Folded Reload
	s_waitcnt vmcnt(0)
	v_mul_f64 v[196:197], v[198:199], v[62:63]
	v_mul_f64 v[62:63], v[200:201], v[62:63]
	v_fmac_f64_e32 v[196:197], v[200:201], v[60:61]
	v_fma_f64 v[60:61], v[198:199], v[60:61], -v[62:63]
	ds_read2_b64 v[198:201], v213 offset0:66 offset1:67
	s_waitcnt lgkmcnt(0)
	v_mul_f64 v[62:63], v[200:201], v[196:197]
	v_fma_f64 v[62:63], v[198:199], v[60:61], -v[62:63]
	v_mul_f64 v[198:199], v[198:199], v[196:197]
	v_fmac_f64_e32 v[198:199], v[200:201], v[60:61]
	v_add_f64 v[58:59], v[58:59], -v[198:199]
	ds_read2_b64 v[198:201], v213 offset0:68 offset1:69
	v_add_f64 v[56:57], v[56:57], -v[62:63]
	s_waitcnt lgkmcnt(0)
	v_mul_f64 v[62:63], v[200:201], v[196:197]
	v_fma_f64 v[62:63], v[198:199], v[60:61], -v[62:63]
	v_mul_f64 v[198:199], v[198:199], v[196:197]
	v_fmac_f64_e32 v[198:199], v[200:201], v[60:61]
	v_add_f64 v[54:55], v[54:55], -v[198:199]
	ds_read2_b64 v[198:201], v213 offset0:70 offset1:71
	v_add_f64 v[52:53], v[52:53], -v[62:63]
	;; [unrolled: 8-line block ×15, first 2 shown]
	s_waitcnt lgkmcnt(0)
	v_mul_f64 v[62:63], v[200:201], v[196:197]
	v_fma_f64 v[62:63], v[198:199], v[60:61], -v[62:63]
	v_mul_f64 v[198:199], v[198:199], v[196:197]
	v_fmac_f64_e32 v[198:199], v[200:201], v[60:61]
	scratch_load_dwordx4 v[200:203], off, off ; 16-byte Folded Reload
	s_waitcnt vmcnt(0)
	v_add_f64 v[200:201], v[200:201], -v[62:63]
	v_add_f64 v[202:203], v[202:203], -v[198:199]
	v_mov_b64_e32 v[62:63], v[196:197]
	scratch_store_dwordx4 off, v[200:203], off ; 16-byte Folded Spill
.LBB97_298:
	s_or_b64 exec, exec, s[2:3]
	v_cmp_eq_u32_e32 vcc, 33, v214
	s_barrier
	s_and_saveexec_b64 s[4:5], vcc
	s_cbranch_execz .LBB97_305
; %bb.299:
	ds_write2_b64 v215, v[56:57], v[58:59] offset1:1
	ds_write2_b64 v213, v[52:53], v[54:55] offset0:68 offset1:69
	ds_write2_b64 v213, v[48:49], v[50:51] offset0:70 offset1:71
	;; [unrolled: 1-line block ×14, first 2 shown]
	scratch_load_dwordx4 v[196:199], off, off ; 16-byte Folded Reload
	s_waitcnt vmcnt(0)
	ds_write2_b64 v213, v[196:197], v[198:199] offset0:96 offset1:97
	ds_read2_b64 v[196:199], v215 offset1:1
	s_waitcnt lgkmcnt(0)
	v_cmp_neq_f64_e32 vcc, 0, v[196:197]
	v_cmp_neq_f64_e64 s[2:3], 0, v[198:199]
	s_or_b64 s[2:3], vcc, s[2:3]
	s_and_b64 exec, exec, s[2:3]
	s_cbranch_execz .LBB97_305
; %bb.300:
	v_cmp_ngt_f64_e64 s[2:3], |v[196:197]|, |v[198:199]|
                                        ; implicit-def: $vgpr200_vgpr201
	s_and_saveexec_b64 s[10:11], s[2:3]
	s_xor_b64 s[2:3], exec, s[10:11]
                                        ; implicit-def: $vgpr202_vgpr203
	s_cbranch_execz .LBB97_302
; %bb.301:
	v_div_scale_f64 v[200:201], s[10:11], v[198:199], v[198:199], v[196:197]
	v_rcp_f64_e32 v[202:203], v[200:201]
	v_div_scale_f64 v[204:205], vcc, v[196:197], v[198:199], v[196:197]
	v_fma_f64 v[206:207], -v[200:201], v[202:203], 1.0
	v_fmac_f64_e32 v[202:203], v[202:203], v[206:207]
	v_fma_f64 v[206:207], -v[200:201], v[202:203], 1.0
	v_fmac_f64_e32 v[202:203], v[202:203], v[206:207]
	v_mul_f64 v[206:207], v[204:205], v[202:203]
	v_fma_f64 v[200:201], -v[200:201], v[206:207], v[204:205]
	v_div_fmas_f64 v[200:201], v[200:201], v[202:203], v[206:207]
	v_div_fixup_f64 v[200:201], v[200:201], v[198:199], v[196:197]
	v_fmac_f64_e32 v[198:199], v[196:197], v[200:201]
	v_div_scale_f64 v[196:197], s[10:11], v[198:199], v[198:199], 1.0
	v_rcp_f64_e32 v[202:203], v[196:197]
	s_nop 0
	v_fma_f64 v[204:205], -v[196:197], v[202:203], 1.0
	v_fmac_f64_e32 v[202:203], v[202:203], v[204:205]
	v_fma_f64 v[204:205], -v[196:197], v[202:203], 1.0
	v_fmac_f64_e32 v[202:203], v[202:203], v[204:205]
	v_div_scale_f64 v[204:205], vcc, 1.0, v[198:199], 1.0
	v_mul_f64 v[206:207], v[204:205], v[202:203]
	v_fma_f64 v[196:197], -v[196:197], v[206:207], v[204:205]
	s_nop 1
	v_div_fmas_f64 v[196:197], v[196:197], v[202:203], v[206:207]
	v_div_fixup_f64 v[202:203], v[196:197], v[198:199], 1.0
	v_mul_f64 v[200:201], v[200:201], v[202:203]
	v_xor_b32_e32 v203, 0x80000000, v203
                                        ; implicit-def: $vgpr196_vgpr197
.LBB97_302:
	s_andn2_saveexec_b64 s[2:3], s[2:3]
	s_cbranch_execz .LBB97_304
; %bb.303:
	v_div_scale_f64 v[200:201], s[10:11], v[196:197], v[196:197], v[198:199]
	v_rcp_f64_e32 v[202:203], v[200:201]
	v_div_scale_f64 v[204:205], vcc, v[198:199], v[196:197], v[198:199]
	v_fma_f64 v[206:207], -v[200:201], v[202:203], 1.0
	v_fmac_f64_e32 v[202:203], v[202:203], v[206:207]
	v_fma_f64 v[206:207], -v[200:201], v[202:203], 1.0
	v_fmac_f64_e32 v[202:203], v[202:203], v[206:207]
	v_mul_f64 v[206:207], v[204:205], v[202:203]
	v_fma_f64 v[200:201], -v[200:201], v[206:207], v[204:205]
	v_div_fmas_f64 v[200:201], v[200:201], v[202:203], v[206:207]
	v_div_fixup_f64 v[202:203], v[200:201], v[196:197], v[198:199]
	v_fmac_f64_e32 v[196:197], v[198:199], v[202:203]
	v_div_scale_f64 v[198:199], s[10:11], v[196:197], v[196:197], 1.0
	v_rcp_f64_e32 v[200:201], v[198:199]
	s_nop 0
	v_fma_f64 v[204:205], -v[198:199], v[200:201], 1.0
	v_fmac_f64_e32 v[200:201], v[200:201], v[204:205]
	v_fma_f64 v[204:205], -v[198:199], v[200:201], 1.0
	v_fmac_f64_e32 v[200:201], v[200:201], v[204:205]
	v_div_scale_f64 v[204:205], vcc, 1.0, v[196:197], 1.0
	v_mul_f64 v[206:207], v[204:205], v[200:201]
	v_fma_f64 v[198:199], -v[198:199], v[206:207], v[204:205]
	s_nop 1
	v_div_fmas_f64 v[198:199], v[198:199], v[200:201], v[206:207]
	v_div_fixup_f64 v[200:201], v[198:199], v[196:197], 1.0
	v_mul_f64 v[202:203], v[202:203], -v[200:201]
.LBB97_304:
	s_or_b64 exec, exec, s[2:3]
	ds_write2_b64 v215, v[200:201], v[202:203] offset1:1
.LBB97_305:
	s_or_b64 exec, exec, s[4:5]
	s_waitcnt lgkmcnt(0)
	s_barrier
	ds_read2_b64 v[196:199], v215 offset1:1
	v_cmp_lt_u32_e32 vcc, 33, v214
	s_waitcnt lgkmcnt(0)
	scratch_store_dwordx4 off, v[196:199], off offset:824 ; 16-byte Folded Spill
	s_and_saveexec_b64 s[2:3], vcc
	s_cbranch_execz .LBB97_307
; %bb.306:
	scratch_load_dwordx4 v[198:201], off, off offset:824 ; 16-byte Folded Reload
	s_waitcnt vmcnt(0)
	v_mul_f64 v[196:197], v[198:199], v[58:59]
	v_mul_f64 v[58:59], v[200:201], v[58:59]
	v_fmac_f64_e32 v[196:197], v[200:201], v[56:57]
	v_fma_f64 v[56:57], v[198:199], v[56:57], -v[58:59]
	ds_read2_b64 v[198:201], v213 offset0:68 offset1:69
	s_waitcnt lgkmcnt(0)
	v_mul_f64 v[58:59], v[200:201], v[196:197]
	v_fma_f64 v[58:59], v[198:199], v[56:57], -v[58:59]
	v_mul_f64 v[198:199], v[198:199], v[196:197]
	v_fmac_f64_e32 v[198:199], v[200:201], v[56:57]
	v_add_f64 v[54:55], v[54:55], -v[198:199]
	ds_read2_b64 v[198:201], v213 offset0:70 offset1:71
	v_add_f64 v[52:53], v[52:53], -v[58:59]
	s_waitcnt lgkmcnt(0)
	v_mul_f64 v[58:59], v[200:201], v[196:197]
	v_fma_f64 v[58:59], v[198:199], v[56:57], -v[58:59]
	v_mul_f64 v[198:199], v[198:199], v[196:197]
	v_fmac_f64_e32 v[198:199], v[200:201], v[56:57]
	v_add_f64 v[50:51], v[50:51], -v[198:199]
	ds_read2_b64 v[198:201], v213 offset0:72 offset1:73
	v_add_f64 v[48:49], v[48:49], -v[58:59]
	;; [unrolled: 8-line block ×14, first 2 shown]
	s_waitcnt lgkmcnt(0)
	v_mul_f64 v[58:59], v[200:201], v[196:197]
	v_fma_f64 v[58:59], v[198:199], v[56:57], -v[58:59]
	v_mul_f64 v[198:199], v[198:199], v[196:197]
	v_fmac_f64_e32 v[198:199], v[200:201], v[56:57]
	scratch_load_dwordx4 v[200:203], off, off ; 16-byte Folded Reload
	s_waitcnt vmcnt(0)
	v_add_f64 v[200:201], v[200:201], -v[58:59]
	v_add_f64 v[202:203], v[202:203], -v[198:199]
	v_mov_b64_e32 v[58:59], v[196:197]
	scratch_store_dwordx4 off, v[200:203], off ; 16-byte Folded Spill
.LBB97_307:
	s_or_b64 exec, exec, s[2:3]
	v_cmp_eq_u32_e32 vcc, 34, v214
	s_barrier
	s_and_saveexec_b64 s[4:5], vcc
	s_cbranch_execz .LBB97_314
; %bb.308:
	ds_write2_b64 v215, v[52:53], v[54:55] offset1:1
	ds_write2_b64 v213, v[48:49], v[50:51] offset0:70 offset1:71
	ds_write2_b64 v213, v[44:45], v[46:47] offset0:72 offset1:73
	ds_write2_b64 v213, v[40:41], v[42:43] offset0:74 offset1:75
	ds_write2_b64 v213, v[36:37], v[38:39] offset0:76 offset1:77
	ds_write2_b64 v213, v[32:33], v[34:35] offset0:78 offset1:79
	ds_write2_b64 v213, v[28:29], v[30:31] offset0:80 offset1:81
	ds_write2_b64 v213, v[24:25], v[26:27] offset0:82 offset1:83
	ds_write2_b64 v213, v[20:21], v[22:23] offset0:84 offset1:85
	ds_write2_b64 v213, v[16:17], v[18:19] offset0:86 offset1:87
	ds_write2_b64 v213, v[12:13], v[14:15] offset0:88 offset1:89
	ds_write2_b64 v213, v[8:9], v[10:11] offset0:90 offset1:91
	ds_write2_b64 v213, v[4:5], v[6:7] offset0:92 offset1:93
	ds_write2_b64 v213, v[0:1], v[2:3] offset0:94 offset1:95
	scratch_load_dwordx4 v[196:199], off, off ; 16-byte Folded Reload
	s_waitcnt vmcnt(0)
	ds_write2_b64 v213, v[196:197], v[198:199] offset0:96 offset1:97
	ds_read2_b64 v[196:199], v215 offset1:1
	s_waitcnt lgkmcnt(0)
	v_cmp_neq_f64_e32 vcc, 0, v[196:197]
	v_cmp_neq_f64_e64 s[2:3], 0, v[198:199]
	s_or_b64 s[2:3], vcc, s[2:3]
	s_and_b64 exec, exec, s[2:3]
	s_cbranch_execz .LBB97_314
; %bb.309:
	v_cmp_ngt_f64_e64 s[2:3], |v[196:197]|, |v[198:199]|
                                        ; implicit-def: $vgpr200_vgpr201
	s_and_saveexec_b64 s[10:11], s[2:3]
	s_xor_b64 s[2:3], exec, s[10:11]
                                        ; implicit-def: $vgpr202_vgpr203
	s_cbranch_execz .LBB97_311
; %bb.310:
	v_div_scale_f64 v[200:201], s[10:11], v[198:199], v[198:199], v[196:197]
	v_rcp_f64_e32 v[202:203], v[200:201]
	v_div_scale_f64 v[204:205], vcc, v[196:197], v[198:199], v[196:197]
	v_fma_f64 v[206:207], -v[200:201], v[202:203], 1.0
	v_fmac_f64_e32 v[202:203], v[202:203], v[206:207]
	v_fma_f64 v[206:207], -v[200:201], v[202:203], 1.0
	v_fmac_f64_e32 v[202:203], v[202:203], v[206:207]
	v_mul_f64 v[206:207], v[204:205], v[202:203]
	v_fma_f64 v[200:201], -v[200:201], v[206:207], v[204:205]
	v_div_fmas_f64 v[200:201], v[200:201], v[202:203], v[206:207]
	v_div_fixup_f64 v[200:201], v[200:201], v[198:199], v[196:197]
	v_fmac_f64_e32 v[198:199], v[196:197], v[200:201]
	v_div_scale_f64 v[196:197], s[10:11], v[198:199], v[198:199], 1.0
	v_rcp_f64_e32 v[202:203], v[196:197]
	s_nop 0
	v_fma_f64 v[204:205], -v[196:197], v[202:203], 1.0
	v_fmac_f64_e32 v[202:203], v[202:203], v[204:205]
	v_fma_f64 v[204:205], -v[196:197], v[202:203], 1.0
	v_fmac_f64_e32 v[202:203], v[202:203], v[204:205]
	v_div_scale_f64 v[204:205], vcc, 1.0, v[198:199], 1.0
	v_mul_f64 v[206:207], v[204:205], v[202:203]
	v_fma_f64 v[196:197], -v[196:197], v[206:207], v[204:205]
	s_nop 1
	v_div_fmas_f64 v[196:197], v[196:197], v[202:203], v[206:207]
	v_div_fixup_f64 v[202:203], v[196:197], v[198:199], 1.0
	v_mul_f64 v[200:201], v[200:201], v[202:203]
	v_xor_b32_e32 v203, 0x80000000, v203
                                        ; implicit-def: $vgpr196_vgpr197
.LBB97_311:
	s_andn2_saveexec_b64 s[2:3], s[2:3]
	s_cbranch_execz .LBB97_313
; %bb.312:
	v_div_scale_f64 v[200:201], s[10:11], v[196:197], v[196:197], v[198:199]
	v_rcp_f64_e32 v[202:203], v[200:201]
	v_div_scale_f64 v[204:205], vcc, v[198:199], v[196:197], v[198:199]
	v_fma_f64 v[206:207], -v[200:201], v[202:203], 1.0
	v_fmac_f64_e32 v[202:203], v[202:203], v[206:207]
	v_fma_f64 v[206:207], -v[200:201], v[202:203], 1.0
	v_fmac_f64_e32 v[202:203], v[202:203], v[206:207]
	v_mul_f64 v[206:207], v[204:205], v[202:203]
	v_fma_f64 v[200:201], -v[200:201], v[206:207], v[204:205]
	v_div_fmas_f64 v[200:201], v[200:201], v[202:203], v[206:207]
	v_div_fixup_f64 v[202:203], v[200:201], v[196:197], v[198:199]
	v_fmac_f64_e32 v[196:197], v[198:199], v[202:203]
	v_div_scale_f64 v[198:199], s[10:11], v[196:197], v[196:197], 1.0
	v_rcp_f64_e32 v[200:201], v[198:199]
	s_nop 0
	v_fma_f64 v[204:205], -v[198:199], v[200:201], 1.0
	v_fmac_f64_e32 v[200:201], v[200:201], v[204:205]
	v_fma_f64 v[204:205], -v[198:199], v[200:201], 1.0
	v_fmac_f64_e32 v[200:201], v[200:201], v[204:205]
	v_div_scale_f64 v[204:205], vcc, 1.0, v[196:197], 1.0
	v_mul_f64 v[206:207], v[204:205], v[200:201]
	v_fma_f64 v[198:199], -v[198:199], v[206:207], v[204:205]
	s_nop 1
	v_div_fmas_f64 v[198:199], v[198:199], v[200:201], v[206:207]
	v_div_fixup_f64 v[200:201], v[198:199], v[196:197], 1.0
	v_mul_f64 v[202:203], v[202:203], -v[200:201]
.LBB97_313:
	s_or_b64 exec, exec, s[2:3]
	ds_write2_b64 v215, v[200:201], v[202:203] offset1:1
.LBB97_314:
	s_or_b64 exec, exec, s[4:5]
	s_waitcnt lgkmcnt(0)
	s_barrier
	ds_read2_b64 v[196:199], v215 offset1:1
	v_cmp_lt_u32_e32 vcc, 34, v214
	s_waitcnt lgkmcnt(0)
	scratch_store_dwordx4 off, v[196:199], off offset:840 ; 16-byte Folded Spill
	s_and_saveexec_b64 s[2:3], vcc
	s_cbranch_execz .LBB97_316
; %bb.315:
	scratch_load_dwordx4 v[198:201], off, off offset:840 ; 16-byte Folded Reload
	s_waitcnt vmcnt(0)
	v_mul_f64 v[196:197], v[198:199], v[54:55]
	v_mul_f64 v[54:55], v[200:201], v[54:55]
	v_fmac_f64_e32 v[196:197], v[200:201], v[52:53]
	v_fma_f64 v[52:53], v[198:199], v[52:53], -v[54:55]
	ds_read2_b64 v[198:201], v213 offset0:70 offset1:71
	s_waitcnt lgkmcnt(0)
	v_mul_f64 v[54:55], v[200:201], v[196:197]
	v_fma_f64 v[54:55], v[198:199], v[52:53], -v[54:55]
	v_mul_f64 v[198:199], v[198:199], v[196:197]
	v_fmac_f64_e32 v[198:199], v[200:201], v[52:53]
	v_add_f64 v[50:51], v[50:51], -v[198:199]
	ds_read2_b64 v[198:201], v213 offset0:72 offset1:73
	v_add_f64 v[48:49], v[48:49], -v[54:55]
	s_waitcnt lgkmcnt(0)
	v_mul_f64 v[54:55], v[200:201], v[196:197]
	v_fma_f64 v[54:55], v[198:199], v[52:53], -v[54:55]
	v_mul_f64 v[198:199], v[198:199], v[196:197]
	v_fmac_f64_e32 v[198:199], v[200:201], v[52:53]
	v_add_f64 v[46:47], v[46:47], -v[198:199]
	ds_read2_b64 v[198:201], v213 offset0:74 offset1:75
	v_add_f64 v[44:45], v[44:45], -v[54:55]
	;; [unrolled: 8-line block ×13, first 2 shown]
	s_waitcnt lgkmcnt(0)
	v_mul_f64 v[54:55], v[200:201], v[196:197]
	v_fma_f64 v[54:55], v[198:199], v[52:53], -v[54:55]
	v_mul_f64 v[198:199], v[198:199], v[196:197]
	v_fmac_f64_e32 v[198:199], v[200:201], v[52:53]
	scratch_load_dwordx4 v[200:203], off, off ; 16-byte Folded Reload
	s_waitcnt vmcnt(0)
	v_add_f64 v[200:201], v[200:201], -v[54:55]
	v_add_f64 v[202:203], v[202:203], -v[198:199]
	v_mov_b64_e32 v[54:55], v[196:197]
	scratch_store_dwordx4 off, v[200:203], off ; 16-byte Folded Spill
.LBB97_316:
	s_or_b64 exec, exec, s[2:3]
	v_cmp_eq_u32_e32 vcc, 35, v214
	s_barrier
	s_and_saveexec_b64 s[4:5], vcc
	s_cbranch_execz .LBB97_323
; %bb.317:
	ds_write2_b64 v215, v[48:49], v[50:51] offset1:1
	ds_write2_b64 v213, v[44:45], v[46:47] offset0:72 offset1:73
	ds_write2_b64 v213, v[40:41], v[42:43] offset0:74 offset1:75
	;; [unrolled: 1-line block ×12, first 2 shown]
	scratch_load_dwordx4 v[196:199], off, off ; 16-byte Folded Reload
	s_waitcnt vmcnt(0)
	ds_write2_b64 v213, v[196:197], v[198:199] offset0:96 offset1:97
	ds_read2_b64 v[196:199], v215 offset1:1
	s_waitcnt lgkmcnt(0)
	v_cmp_neq_f64_e32 vcc, 0, v[196:197]
	v_cmp_neq_f64_e64 s[2:3], 0, v[198:199]
	s_or_b64 s[2:3], vcc, s[2:3]
	s_and_b64 exec, exec, s[2:3]
	s_cbranch_execz .LBB97_323
; %bb.318:
	v_cmp_ngt_f64_e64 s[2:3], |v[196:197]|, |v[198:199]|
                                        ; implicit-def: $vgpr200_vgpr201
	s_and_saveexec_b64 s[10:11], s[2:3]
	s_xor_b64 s[2:3], exec, s[10:11]
                                        ; implicit-def: $vgpr202_vgpr203
	s_cbranch_execz .LBB97_320
; %bb.319:
	v_div_scale_f64 v[200:201], s[10:11], v[198:199], v[198:199], v[196:197]
	v_rcp_f64_e32 v[202:203], v[200:201]
	v_div_scale_f64 v[204:205], vcc, v[196:197], v[198:199], v[196:197]
	v_fma_f64 v[206:207], -v[200:201], v[202:203], 1.0
	v_fmac_f64_e32 v[202:203], v[202:203], v[206:207]
	v_fma_f64 v[206:207], -v[200:201], v[202:203], 1.0
	v_fmac_f64_e32 v[202:203], v[202:203], v[206:207]
	v_mul_f64 v[206:207], v[204:205], v[202:203]
	v_fma_f64 v[200:201], -v[200:201], v[206:207], v[204:205]
	v_div_fmas_f64 v[200:201], v[200:201], v[202:203], v[206:207]
	v_div_fixup_f64 v[200:201], v[200:201], v[198:199], v[196:197]
	v_fmac_f64_e32 v[198:199], v[196:197], v[200:201]
	v_div_scale_f64 v[196:197], s[10:11], v[198:199], v[198:199], 1.0
	v_rcp_f64_e32 v[202:203], v[196:197]
	s_nop 0
	v_fma_f64 v[204:205], -v[196:197], v[202:203], 1.0
	v_fmac_f64_e32 v[202:203], v[202:203], v[204:205]
	v_fma_f64 v[204:205], -v[196:197], v[202:203], 1.0
	v_fmac_f64_e32 v[202:203], v[202:203], v[204:205]
	v_div_scale_f64 v[204:205], vcc, 1.0, v[198:199], 1.0
	v_mul_f64 v[206:207], v[204:205], v[202:203]
	v_fma_f64 v[196:197], -v[196:197], v[206:207], v[204:205]
	s_nop 1
	v_div_fmas_f64 v[196:197], v[196:197], v[202:203], v[206:207]
	v_div_fixup_f64 v[202:203], v[196:197], v[198:199], 1.0
	v_mul_f64 v[200:201], v[200:201], v[202:203]
	v_xor_b32_e32 v203, 0x80000000, v203
                                        ; implicit-def: $vgpr196_vgpr197
.LBB97_320:
	s_andn2_saveexec_b64 s[2:3], s[2:3]
	s_cbranch_execz .LBB97_322
; %bb.321:
	v_div_scale_f64 v[200:201], s[10:11], v[196:197], v[196:197], v[198:199]
	v_rcp_f64_e32 v[202:203], v[200:201]
	v_div_scale_f64 v[204:205], vcc, v[198:199], v[196:197], v[198:199]
	v_fma_f64 v[206:207], -v[200:201], v[202:203], 1.0
	v_fmac_f64_e32 v[202:203], v[202:203], v[206:207]
	v_fma_f64 v[206:207], -v[200:201], v[202:203], 1.0
	v_fmac_f64_e32 v[202:203], v[202:203], v[206:207]
	v_mul_f64 v[206:207], v[204:205], v[202:203]
	v_fma_f64 v[200:201], -v[200:201], v[206:207], v[204:205]
	v_div_fmas_f64 v[200:201], v[200:201], v[202:203], v[206:207]
	v_div_fixup_f64 v[202:203], v[200:201], v[196:197], v[198:199]
	v_fmac_f64_e32 v[196:197], v[198:199], v[202:203]
	v_div_scale_f64 v[198:199], s[10:11], v[196:197], v[196:197], 1.0
	v_rcp_f64_e32 v[200:201], v[198:199]
	s_nop 0
	v_fma_f64 v[204:205], -v[198:199], v[200:201], 1.0
	v_fmac_f64_e32 v[200:201], v[200:201], v[204:205]
	v_fma_f64 v[204:205], -v[198:199], v[200:201], 1.0
	v_fmac_f64_e32 v[200:201], v[200:201], v[204:205]
	v_div_scale_f64 v[204:205], vcc, 1.0, v[196:197], 1.0
	v_mul_f64 v[206:207], v[204:205], v[200:201]
	v_fma_f64 v[198:199], -v[198:199], v[206:207], v[204:205]
	s_nop 1
	v_div_fmas_f64 v[198:199], v[198:199], v[200:201], v[206:207]
	v_div_fixup_f64 v[200:201], v[198:199], v[196:197], 1.0
	v_mul_f64 v[202:203], v[202:203], -v[200:201]
.LBB97_322:
	s_or_b64 exec, exec, s[2:3]
	ds_write2_b64 v215, v[200:201], v[202:203] offset1:1
.LBB97_323:
	s_or_b64 exec, exec, s[4:5]
	s_waitcnt lgkmcnt(0)
	s_barrier
	ds_read2_b64 v[196:199], v215 offset1:1
	v_cmp_lt_u32_e32 vcc, 35, v214
	s_waitcnt lgkmcnt(0)
	scratch_store_dwordx4 off, v[196:199], off offset:856 ; 16-byte Folded Spill
	s_and_saveexec_b64 s[2:3], vcc
	s_cbranch_execz .LBB97_325
; %bb.324:
	scratch_load_dwordx4 v[198:201], off, off offset:856 ; 16-byte Folded Reload
	s_waitcnt vmcnt(0)
	v_mul_f64 v[196:197], v[198:199], v[50:51]
	v_mul_f64 v[50:51], v[200:201], v[50:51]
	v_fmac_f64_e32 v[196:197], v[200:201], v[48:49]
	v_fma_f64 v[48:49], v[198:199], v[48:49], -v[50:51]
	ds_read2_b64 v[198:201], v213 offset0:72 offset1:73
	s_waitcnt lgkmcnt(0)
	v_mul_f64 v[50:51], v[200:201], v[196:197]
	v_fma_f64 v[50:51], v[198:199], v[48:49], -v[50:51]
	v_mul_f64 v[198:199], v[198:199], v[196:197]
	v_fmac_f64_e32 v[198:199], v[200:201], v[48:49]
	v_add_f64 v[46:47], v[46:47], -v[198:199]
	ds_read2_b64 v[198:201], v213 offset0:74 offset1:75
	v_add_f64 v[44:45], v[44:45], -v[50:51]
	s_waitcnt lgkmcnt(0)
	v_mul_f64 v[50:51], v[200:201], v[196:197]
	v_fma_f64 v[50:51], v[198:199], v[48:49], -v[50:51]
	v_mul_f64 v[198:199], v[198:199], v[196:197]
	v_fmac_f64_e32 v[198:199], v[200:201], v[48:49]
	v_add_f64 v[42:43], v[42:43], -v[198:199]
	ds_read2_b64 v[198:201], v213 offset0:76 offset1:77
	v_add_f64 v[40:41], v[40:41], -v[50:51]
	;; [unrolled: 8-line block ×12, first 2 shown]
	s_waitcnt lgkmcnt(0)
	v_mul_f64 v[50:51], v[200:201], v[196:197]
	v_fma_f64 v[50:51], v[198:199], v[48:49], -v[50:51]
	v_mul_f64 v[198:199], v[198:199], v[196:197]
	v_fmac_f64_e32 v[198:199], v[200:201], v[48:49]
	scratch_load_dwordx4 v[200:203], off, off ; 16-byte Folded Reload
	s_waitcnt vmcnt(0)
	v_add_f64 v[200:201], v[200:201], -v[50:51]
	v_add_f64 v[202:203], v[202:203], -v[198:199]
	v_mov_b64_e32 v[50:51], v[196:197]
	scratch_store_dwordx4 off, v[200:203], off ; 16-byte Folded Spill
.LBB97_325:
	s_or_b64 exec, exec, s[2:3]
	v_cmp_eq_u32_e32 vcc, 36, v214
	s_barrier
	s_and_saveexec_b64 s[4:5], vcc
	s_cbranch_execz .LBB97_332
; %bb.326:
	ds_write2_b64 v215, v[44:45], v[46:47] offset1:1
	ds_write2_b64 v213, v[40:41], v[42:43] offset0:74 offset1:75
	ds_write2_b64 v213, v[36:37], v[38:39] offset0:76 offset1:77
	;; [unrolled: 1-line block ×11, first 2 shown]
	scratch_load_dwordx4 v[196:199], off, off ; 16-byte Folded Reload
	s_waitcnt vmcnt(0)
	ds_write2_b64 v213, v[196:197], v[198:199] offset0:96 offset1:97
	ds_read2_b64 v[196:199], v215 offset1:1
	s_waitcnt lgkmcnt(0)
	v_cmp_neq_f64_e32 vcc, 0, v[196:197]
	v_cmp_neq_f64_e64 s[2:3], 0, v[198:199]
	s_or_b64 s[2:3], vcc, s[2:3]
	s_and_b64 exec, exec, s[2:3]
	s_cbranch_execz .LBB97_332
; %bb.327:
	v_cmp_ngt_f64_e64 s[2:3], |v[196:197]|, |v[198:199]|
                                        ; implicit-def: $vgpr200_vgpr201
	s_and_saveexec_b64 s[10:11], s[2:3]
	s_xor_b64 s[2:3], exec, s[10:11]
                                        ; implicit-def: $vgpr202_vgpr203
	s_cbranch_execz .LBB97_329
; %bb.328:
	v_div_scale_f64 v[200:201], s[10:11], v[198:199], v[198:199], v[196:197]
	v_rcp_f64_e32 v[202:203], v[200:201]
	v_div_scale_f64 v[204:205], vcc, v[196:197], v[198:199], v[196:197]
	v_fma_f64 v[206:207], -v[200:201], v[202:203], 1.0
	v_fmac_f64_e32 v[202:203], v[202:203], v[206:207]
	v_fma_f64 v[206:207], -v[200:201], v[202:203], 1.0
	v_fmac_f64_e32 v[202:203], v[202:203], v[206:207]
	v_mul_f64 v[206:207], v[204:205], v[202:203]
	v_fma_f64 v[200:201], -v[200:201], v[206:207], v[204:205]
	v_div_fmas_f64 v[200:201], v[200:201], v[202:203], v[206:207]
	v_div_fixup_f64 v[200:201], v[200:201], v[198:199], v[196:197]
	v_fmac_f64_e32 v[198:199], v[196:197], v[200:201]
	v_div_scale_f64 v[196:197], s[10:11], v[198:199], v[198:199], 1.0
	v_rcp_f64_e32 v[202:203], v[196:197]
	s_nop 0
	v_fma_f64 v[204:205], -v[196:197], v[202:203], 1.0
	v_fmac_f64_e32 v[202:203], v[202:203], v[204:205]
	v_fma_f64 v[204:205], -v[196:197], v[202:203], 1.0
	v_fmac_f64_e32 v[202:203], v[202:203], v[204:205]
	v_div_scale_f64 v[204:205], vcc, 1.0, v[198:199], 1.0
	v_mul_f64 v[206:207], v[204:205], v[202:203]
	v_fma_f64 v[196:197], -v[196:197], v[206:207], v[204:205]
	s_nop 1
	v_div_fmas_f64 v[196:197], v[196:197], v[202:203], v[206:207]
	v_div_fixup_f64 v[202:203], v[196:197], v[198:199], 1.0
	v_mul_f64 v[200:201], v[200:201], v[202:203]
	v_xor_b32_e32 v203, 0x80000000, v203
                                        ; implicit-def: $vgpr196_vgpr197
.LBB97_329:
	s_andn2_saveexec_b64 s[2:3], s[2:3]
	s_cbranch_execz .LBB97_331
; %bb.330:
	v_div_scale_f64 v[200:201], s[10:11], v[196:197], v[196:197], v[198:199]
	v_rcp_f64_e32 v[202:203], v[200:201]
	v_div_scale_f64 v[204:205], vcc, v[198:199], v[196:197], v[198:199]
	v_fma_f64 v[206:207], -v[200:201], v[202:203], 1.0
	v_fmac_f64_e32 v[202:203], v[202:203], v[206:207]
	v_fma_f64 v[206:207], -v[200:201], v[202:203], 1.0
	v_fmac_f64_e32 v[202:203], v[202:203], v[206:207]
	v_mul_f64 v[206:207], v[204:205], v[202:203]
	v_fma_f64 v[200:201], -v[200:201], v[206:207], v[204:205]
	v_div_fmas_f64 v[200:201], v[200:201], v[202:203], v[206:207]
	v_div_fixup_f64 v[202:203], v[200:201], v[196:197], v[198:199]
	v_fmac_f64_e32 v[196:197], v[198:199], v[202:203]
	v_div_scale_f64 v[198:199], s[10:11], v[196:197], v[196:197], 1.0
	v_rcp_f64_e32 v[200:201], v[198:199]
	s_nop 0
	v_fma_f64 v[204:205], -v[198:199], v[200:201], 1.0
	v_fmac_f64_e32 v[200:201], v[200:201], v[204:205]
	v_fma_f64 v[204:205], -v[198:199], v[200:201], 1.0
	v_fmac_f64_e32 v[200:201], v[200:201], v[204:205]
	v_div_scale_f64 v[204:205], vcc, 1.0, v[196:197], 1.0
	v_mul_f64 v[206:207], v[204:205], v[200:201]
	v_fma_f64 v[198:199], -v[198:199], v[206:207], v[204:205]
	s_nop 1
	v_div_fmas_f64 v[198:199], v[198:199], v[200:201], v[206:207]
	v_div_fixup_f64 v[200:201], v[198:199], v[196:197], 1.0
	v_mul_f64 v[202:203], v[202:203], -v[200:201]
.LBB97_331:
	s_or_b64 exec, exec, s[2:3]
	ds_write2_b64 v215, v[200:201], v[202:203] offset1:1
.LBB97_332:
	s_or_b64 exec, exec, s[4:5]
	s_waitcnt lgkmcnt(0)
	s_barrier
	ds_read2_b64 v[196:199], v215 offset1:1
	v_cmp_lt_u32_e32 vcc, 36, v214
	s_waitcnt lgkmcnt(0)
	scratch_store_dwordx4 off, v[196:199], off offset:872 ; 16-byte Folded Spill
	s_and_saveexec_b64 s[2:3], vcc
	s_cbranch_execz .LBB97_334
; %bb.333:
	scratch_load_dwordx4 v[198:201], off, off offset:872 ; 16-byte Folded Reload
	s_waitcnt vmcnt(0)
	v_mul_f64 v[196:197], v[198:199], v[46:47]
	v_mul_f64 v[46:47], v[200:201], v[46:47]
	v_fmac_f64_e32 v[196:197], v[200:201], v[44:45]
	v_fma_f64 v[44:45], v[198:199], v[44:45], -v[46:47]
	ds_read2_b64 v[198:201], v213 offset0:74 offset1:75
	s_waitcnt lgkmcnt(0)
	v_mul_f64 v[46:47], v[200:201], v[196:197]
	v_fma_f64 v[46:47], v[198:199], v[44:45], -v[46:47]
	v_mul_f64 v[198:199], v[198:199], v[196:197]
	v_fmac_f64_e32 v[198:199], v[200:201], v[44:45]
	v_add_f64 v[42:43], v[42:43], -v[198:199]
	ds_read2_b64 v[198:201], v213 offset0:76 offset1:77
	v_add_f64 v[40:41], v[40:41], -v[46:47]
	s_waitcnt lgkmcnt(0)
	v_mul_f64 v[46:47], v[200:201], v[196:197]
	v_fma_f64 v[46:47], v[198:199], v[44:45], -v[46:47]
	v_mul_f64 v[198:199], v[198:199], v[196:197]
	v_fmac_f64_e32 v[198:199], v[200:201], v[44:45]
	v_add_f64 v[38:39], v[38:39], -v[198:199]
	ds_read2_b64 v[198:201], v213 offset0:78 offset1:79
	v_add_f64 v[36:37], v[36:37], -v[46:47]
	;; [unrolled: 8-line block ×11, first 2 shown]
	s_waitcnt lgkmcnt(0)
	v_mul_f64 v[46:47], v[200:201], v[196:197]
	v_fma_f64 v[46:47], v[198:199], v[44:45], -v[46:47]
	v_mul_f64 v[198:199], v[198:199], v[196:197]
	v_fmac_f64_e32 v[198:199], v[200:201], v[44:45]
	scratch_load_dwordx4 v[200:203], off, off ; 16-byte Folded Reload
	s_waitcnt vmcnt(0)
	v_add_f64 v[200:201], v[200:201], -v[46:47]
	v_add_f64 v[202:203], v[202:203], -v[198:199]
	v_mov_b64_e32 v[46:47], v[196:197]
	scratch_store_dwordx4 off, v[200:203], off ; 16-byte Folded Spill
.LBB97_334:
	s_or_b64 exec, exec, s[2:3]
	v_cmp_eq_u32_e32 vcc, 37, v214
	s_barrier
	s_and_saveexec_b64 s[4:5], vcc
	s_cbranch_execz .LBB97_341
; %bb.335:
	ds_write2_b64 v215, v[40:41], v[42:43] offset1:1
	ds_write2_b64 v213, v[36:37], v[38:39] offset0:76 offset1:77
	ds_write2_b64 v213, v[32:33], v[34:35] offset0:78 offset1:79
	;; [unrolled: 1-line block ×10, first 2 shown]
	scratch_load_dwordx4 v[196:199], off, off ; 16-byte Folded Reload
	s_waitcnt vmcnt(0)
	ds_write2_b64 v213, v[196:197], v[198:199] offset0:96 offset1:97
	ds_read2_b64 v[196:199], v215 offset1:1
	s_waitcnt lgkmcnt(0)
	v_cmp_neq_f64_e32 vcc, 0, v[196:197]
	v_cmp_neq_f64_e64 s[2:3], 0, v[198:199]
	s_or_b64 s[2:3], vcc, s[2:3]
	s_and_b64 exec, exec, s[2:3]
	s_cbranch_execz .LBB97_341
; %bb.336:
	v_cmp_ngt_f64_e64 s[2:3], |v[196:197]|, |v[198:199]|
                                        ; implicit-def: $vgpr200_vgpr201
	s_and_saveexec_b64 s[10:11], s[2:3]
	s_xor_b64 s[2:3], exec, s[10:11]
                                        ; implicit-def: $vgpr202_vgpr203
	s_cbranch_execz .LBB97_338
; %bb.337:
	v_div_scale_f64 v[200:201], s[10:11], v[198:199], v[198:199], v[196:197]
	v_rcp_f64_e32 v[202:203], v[200:201]
	v_div_scale_f64 v[204:205], vcc, v[196:197], v[198:199], v[196:197]
	v_fma_f64 v[206:207], -v[200:201], v[202:203], 1.0
	v_fmac_f64_e32 v[202:203], v[202:203], v[206:207]
	v_fma_f64 v[206:207], -v[200:201], v[202:203], 1.0
	v_fmac_f64_e32 v[202:203], v[202:203], v[206:207]
	v_mul_f64 v[206:207], v[204:205], v[202:203]
	v_fma_f64 v[200:201], -v[200:201], v[206:207], v[204:205]
	v_div_fmas_f64 v[200:201], v[200:201], v[202:203], v[206:207]
	v_div_fixup_f64 v[200:201], v[200:201], v[198:199], v[196:197]
	v_fmac_f64_e32 v[198:199], v[196:197], v[200:201]
	v_div_scale_f64 v[196:197], s[10:11], v[198:199], v[198:199], 1.0
	v_rcp_f64_e32 v[202:203], v[196:197]
	s_nop 0
	v_fma_f64 v[204:205], -v[196:197], v[202:203], 1.0
	v_fmac_f64_e32 v[202:203], v[202:203], v[204:205]
	v_fma_f64 v[204:205], -v[196:197], v[202:203], 1.0
	v_fmac_f64_e32 v[202:203], v[202:203], v[204:205]
	v_div_scale_f64 v[204:205], vcc, 1.0, v[198:199], 1.0
	v_mul_f64 v[206:207], v[204:205], v[202:203]
	v_fma_f64 v[196:197], -v[196:197], v[206:207], v[204:205]
	s_nop 1
	v_div_fmas_f64 v[196:197], v[196:197], v[202:203], v[206:207]
	v_div_fixup_f64 v[202:203], v[196:197], v[198:199], 1.0
	v_mul_f64 v[200:201], v[200:201], v[202:203]
	v_xor_b32_e32 v203, 0x80000000, v203
                                        ; implicit-def: $vgpr196_vgpr197
.LBB97_338:
	s_andn2_saveexec_b64 s[2:3], s[2:3]
	s_cbranch_execz .LBB97_340
; %bb.339:
	v_div_scale_f64 v[200:201], s[10:11], v[196:197], v[196:197], v[198:199]
	v_rcp_f64_e32 v[202:203], v[200:201]
	v_div_scale_f64 v[204:205], vcc, v[198:199], v[196:197], v[198:199]
	v_fma_f64 v[206:207], -v[200:201], v[202:203], 1.0
	v_fmac_f64_e32 v[202:203], v[202:203], v[206:207]
	v_fma_f64 v[206:207], -v[200:201], v[202:203], 1.0
	v_fmac_f64_e32 v[202:203], v[202:203], v[206:207]
	v_mul_f64 v[206:207], v[204:205], v[202:203]
	v_fma_f64 v[200:201], -v[200:201], v[206:207], v[204:205]
	v_div_fmas_f64 v[200:201], v[200:201], v[202:203], v[206:207]
	v_div_fixup_f64 v[202:203], v[200:201], v[196:197], v[198:199]
	v_fmac_f64_e32 v[196:197], v[198:199], v[202:203]
	v_div_scale_f64 v[198:199], s[10:11], v[196:197], v[196:197], 1.0
	v_rcp_f64_e32 v[200:201], v[198:199]
	s_nop 0
	v_fma_f64 v[204:205], -v[198:199], v[200:201], 1.0
	v_fmac_f64_e32 v[200:201], v[200:201], v[204:205]
	v_fma_f64 v[204:205], -v[198:199], v[200:201], 1.0
	v_fmac_f64_e32 v[200:201], v[200:201], v[204:205]
	v_div_scale_f64 v[204:205], vcc, 1.0, v[196:197], 1.0
	v_mul_f64 v[206:207], v[204:205], v[200:201]
	v_fma_f64 v[198:199], -v[198:199], v[206:207], v[204:205]
	s_nop 1
	v_div_fmas_f64 v[198:199], v[198:199], v[200:201], v[206:207]
	v_div_fixup_f64 v[200:201], v[198:199], v[196:197], 1.0
	v_mul_f64 v[202:203], v[202:203], -v[200:201]
.LBB97_340:
	s_or_b64 exec, exec, s[2:3]
	ds_write2_b64 v215, v[200:201], v[202:203] offset1:1
.LBB97_341:
	s_or_b64 exec, exec, s[4:5]
	s_waitcnt lgkmcnt(0)
	s_barrier
	ds_read2_b64 v[196:199], v215 offset1:1
	v_cmp_lt_u32_e32 vcc, 37, v214
	s_waitcnt lgkmcnt(0)
	scratch_store_dwordx4 off, v[196:199], off offset:888 ; 16-byte Folded Spill
	s_and_saveexec_b64 s[2:3], vcc
	s_cbranch_execz .LBB97_343
; %bb.342:
	scratch_load_dwordx4 v[198:201], off, off offset:888 ; 16-byte Folded Reload
	s_waitcnt vmcnt(0)
	v_mul_f64 v[196:197], v[198:199], v[42:43]
	v_mul_f64 v[42:43], v[200:201], v[42:43]
	v_fmac_f64_e32 v[196:197], v[200:201], v[40:41]
	v_fma_f64 v[40:41], v[198:199], v[40:41], -v[42:43]
	ds_read2_b64 v[198:201], v213 offset0:76 offset1:77
	s_waitcnt lgkmcnt(0)
	v_mul_f64 v[42:43], v[200:201], v[196:197]
	v_fma_f64 v[42:43], v[198:199], v[40:41], -v[42:43]
	v_mul_f64 v[198:199], v[198:199], v[196:197]
	v_fmac_f64_e32 v[198:199], v[200:201], v[40:41]
	v_add_f64 v[38:39], v[38:39], -v[198:199]
	ds_read2_b64 v[198:201], v213 offset0:78 offset1:79
	v_add_f64 v[36:37], v[36:37], -v[42:43]
	s_waitcnt lgkmcnt(0)
	v_mul_f64 v[42:43], v[200:201], v[196:197]
	v_fma_f64 v[42:43], v[198:199], v[40:41], -v[42:43]
	v_mul_f64 v[198:199], v[198:199], v[196:197]
	v_fmac_f64_e32 v[198:199], v[200:201], v[40:41]
	v_add_f64 v[34:35], v[34:35], -v[198:199]
	ds_read2_b64 v[198:201], v213 offset0:80 offset1:81
	v_add_f64 v[32:33], v[32:33], -v[42:43]
	;; [unrolled: 8-line block ×10, first 2 shown]
	s_waitcnt lgkmcnt(0)
	v_mul_f64 v[42:43], v[200:201], v[196:197]
	v_fma_f64 v[42:43], v[198:199], v[40:41], -v[42:43]
	v_mul_f64 v[198:199], v[198:199], v[196:197]
	v_fmac_f64_e32 v[198:199], v[200:201], v[40:41]
	scratch_load_dwordx4 v[200:203], off, off ; 16-byte Folded Reload
	s_waitcnt vmcnt(0)
	v_add_f64 v[200:201], v[200:201], -v[42:43]
	v_add_f64 v[202:203], v[202:203], -v[198:199]
	v_mov_b64_e32 v[42:43], v[196:197]
	scratch_store_dwordx4 off, v[200:203], off ; 16-byte Folded Spill
.LBB97_343:
	s_or_b64 exec, exec, s[2:3]
	v_cmp_eq_u32_e32 vcc, 38, v214
	s_barrier
	s_and_saveexec_b64 s[4:5], vcc
	s_cbranch_execz .LBB97_350
; %bb.344:
	ds_write2_b64 v215, v[36:37], v[38:39] offset1:1
	ds_write2_b64 v213, v[32:33], v[34:35] offset0:78 offset1:79
	ds_write2_b64 v213, v[28:29], v[30:31] offset0:80 offset1:81
	;; [unrolled: 1-line block ×9, first 2 shown]
	scratch_load_dwordx4 v[196:199], off, off ; 16-byte Folded Reload
	s_waitcnt vmcnt(0)
	ds_write2_b64 v213, v[196:197], v[198:199] offset0:96 offset1:97
	ds_read2_b64 v[196:199], v215 offset1:1
	s_waitcnt lgkmcnt(0)
	v_cmp_neq_f64_e32 vcc, 0, v[196:197]
	v_cmp_neq_f64_e64 s[2:3], 0, v[198:199]
	s_or_b64 s[2:3], vcc, s[2:3]
	s_and_b64 exec, exec, s[2:3]
	s_cbranch_execz .LBB97_350
; %bb.345:
	v_cmp_ngt_f64_e64 s[2:3], |v[196:197]|, |v[198:199]|
                                        ; implicit-def: $vgpr200_vgpr201
	s_and_saveexec_b64 s[10:11], s[2:3]
	s_xor_b64 s[2:3], exec, s[10:11]
                                        ; implicit-def: $vgpr202_vgpr203
	s_cbranch_execz .LBB97_347
; %bb.346:
	v_div_scale_f64 v[200:201], s[10:11], v[198:199], v[198:199], v[196:197]
	v_rcp_f64_e32 v[202:203], v[200:201]
	v_div_scale_f64 v[204:205], vcc, v[196:197], v[198:199], v[196:197]
	v_fma_f64 v[206:207], -v[200:201], v[202:203], 1.0
	v_fmac_f64_e32 v[202:203], v[202:203], v[206:207]
	v_fma_f64 v[206:207], -v[200:201], v[202:203], 1.0
	v_fmac_f64_e32 v[202:203], v[202:203], v[206:207]
	v_mul_f64 v[206:207], v[204:205], v[202:203]
	v_fma_f64 v[200:201], -v[200:201], v[206:207], v[204:205]
	v_div_fmas_f64 v[200:201], v[200:201], v[202:203], v[206:207]
	v_div_fixup_f64 v[200:201], v[200:201], v[198:199], v[196:197]
	v_fmac_f64_e32 v[198:199], v[196:197], v[200:201]
	v_div_scale_f64 v[196:197], s[10:11], v[198:199], v[198:199], 1.0
	v_rcp_f64_e32 v[202:203], v[196:197]
	s_nop 0
	v_fma_f64 v[204:205], -v[196:197], v[202:203], 1.0
	v_fmac_f64_e32 v[202:203], v[202:203], v[204:205]
	v_fma_f64 v[204:205], -v[196:197], v[202:203], 1.0
	v_fmac_f64_e32 v[202:203], v[202:203], v[204:205]
	v_div_scale_f64 v[204:205], vcc, 1.0, v[198:199], 1.0
	v_mul_f64 v[206:207], v[204:205], v[202:203]
	v_fma_f64 v[196:197], -v[196:197], v[206:207], v[204:205]
	s_nop 1
	v_div_fmas_f64 v[196:197], v[196:197], v[202:203], v[206:207]
	v_div_fixup_f64 v[202:203], v[196:197], v[198:199], 1.0
	v_mul_f64 v[200:201], v[200:201], v[202:203]
	v_xor_b32_e32 v203, 0x80000000, v203
                                        ; implicit-def: $vgpr196_vgpr197
.LBB97_347:
	s_andn2_saveexec_b64 s[2:3], s[2:3]
	s_cbranch_execz .LBB97_349
; %bb.348:
	v_div_scale_f64 v[200:201], s[10:11], v[196:197], v[196:197], v[198:199]
	v_rcp_f64_e32 v[202:203], v[200:201]
	v_div_scale_f64 v[204:205], vcc, v[198:199], v[196:197], v[198:199]
	v_fma_f64 v[206:207], -v[200:201], v[202:203], 1.0
	v_fmac_f64_e32 v[202:203], v[202:203], v[206:207]
	v_fma_f64 v[206:207], -v[200:201], v[202:203], 1.0
	v_fmac_f64_e32 v[202:203], v[202:203], v[206:207]
	v_mul_f64 v[206:207], v[204:205], v[202:203]
	v_fma_f64 v[200:201], -v[200:201], v[206:207], v[204:205]
	v_div_fmas_f64 v[200:201], v[200:201], v[202:203], v[206:207]
	v_div_fixup_f64 v[202:203], v[200:201], v[196:197], v[198:199]
	v_fmac_f64_e32 v[196:197], v[198:199], v[202:203]
	v_div_scale_f64 v[198:199], s[10:11], v[196:197], v[196:197], 1.0
	v_rcp_f64_e32 v[200:201], v[198:199]
	s_nop 0
	v_fma_f64 v[204:205], -v[198:199], v[200:201], 1.0
	v_fmac_f64_e32 v[200:201], v[200:201], v[204:205]
	v_fma_f64 v[204:205], -v[198:199], v[200:201], 1.0
	v_fmac_f64_e32 v[200:201], v[200:201], v[204:205]
	v_div_scale_f64 v[204:205], vcc, 1.0, v[196:197], 1.0
	v_mul_f64 v[206:207], v[204:205], v[200:201]
	v_fma_f64 v[198:199], -v[198:199], v[206:207], v[204:205]
	s_nop 1
	v_div_fmas_f64 v[198:199], v[198:199], v[200:201], v[206:207]
	v_div_fixup_f64 v[200:201], v[198:199], v[196:197], 1.0
	v_mul_f64 v[202:203], v[202:203], -v[200:201]
.LBB97_349:
	s_or_b64 exec, exec, s[2:3]
	ds_write2_b64 v215, v[200:201], v[202:203] offset1:1
.LBB97_350:
	s_or_b64 exec, exec, s[4:5]
	s_waitcnt lgkmcnt(0)
	s_barrier
	ds_read2_b64 v[196:199], v215 offset1:1
	v_cmp_lt_u32_e32 vcc, 38, v214
	s_waitcnt lgkmcnt(0)
	scratch_store_dwordx4 off, v[196:199], off offset:904 ; 16-byte Folded Spill
	s_and_saveexec_b64 s[2:3], vcc
	s_cbranch_execz .LBB97_352
; %bb.351:
	scratch_load_dwordx4 v[198:201], off, off offset:904 ; 16-byte Folded Reload
	s_waitcnt vmcnt(0)
	v_mul_f64 v[196:197], v[198:199], v[38:39]
	v_mul_f64 v[38:39], v[200:201], v[38:39]
	v_fmac_f64_e32 v[196:197], v[200:201], v[36:37]
	v_fma_f64 v[36:37], v[198:199], v[36:37], -v[38:39]
	ds_read2_b64 v[198:201], v213 offset0:78 offset1:79
	s_waitcnt lgkmcnt(0)
	v_mul_f64 v[38:39], v[200:201], v[196:197]
	v_fma_f64 v[38:39], v[198:199], v[36:37], -v[38:39]
	v_mul_f64 v[198:199], v[198:199], v[196:197]
	v_fmac_f64_e32 v[198:199], v[200:201], v[36:37]
	v_add_f64 v[34:35], v[34:35], -v[198:199]
	ds_read2_b64 v[198:201], v213 offset0:80 offset1:81
	v_add_f64 v[32:33], v[32:33], -v[38:39]
	s_waitcnt lgkmcnt(0)
	v_mul_f64 v[38:39], v[200:201], v[196:197]
	v_fma_f64 v[38:39], v[198:199], v[36:37], -v[38:39]
	v_mul_f64 v[198:199], v[198:199], v[196:197]
	v_fmac_f64_e32 v[198:199], v[200:201], v[36:37]
	v_add_f64 v[30:31], v[30:31], -v[198:199]
	ds_read2_b64 v[198:201], v213 offset0:82 offset1:83
	v_add_f64 v[28:29], v[28:29], -v[38:39]
	;; [unrolled: 8-line block ×9, first 2 shown]
	s_waitcnt lgkmcnt(0)
	v_mul_f64 v[38:39], v[200:201], v[196:197]
	v_fma_f64 v[38:39], v[198:199], v[36:37], -v[38:39]
	v_mul_f64 v[198:199], v[198:199], v[196:197]
	v_fmac_f64_e32 v[198:199], v[200:201], v[36:37]
	scratch_load_dwordx4 v[200:203], off, off ; 16-byte Folded Reload
	s_waitcnt vmcnt(0)
	v_add_f64 v[200:201], v[200:201], -v[38:39]
	v_add_f64 v[202:203], v[202:203], -v[198:199]
	v_mov_b64_e32 v[38:39], v[196:197]
	scratch_store_dwordx4 off, v[200:203], off ; 16-byte Folded Spill
.LBB97_352:
	s_or_b64 exec, exec, s[2:3]
	v_cmp_eq_u32_e32 vcc, 39, v214
	s_barrier
	s_and_saveexec_b64 s[4:5], vcc
	s_cbranch_execz .LBB97_359
; %bb.353:
	ds_write2_b64 v215, v[32:33], v[34:35] offset1:1
	ds_write2_b64 v213, v[28:29], v[30:31] offset0:80 offset1:81
	ds_write2_b64 v213, v[24:25], v[26:27] offset0:82 offset1:83
	;; [unrolled: 1-line block ×8, first 2 shown]
	scratch_load_dwordx4 v[196:199], off, off ; 16-byte Folded Reload
	s_waitcnt vmcnt(0)
	ds_write2_b64 v213, v[196:197], v[198:199] offset0:96 offset1:97
	ds_read2_b64 v[196:199], v215 offset1:1
	s_waitcnt lgkmcnt(0)
	v_cmp_neq_f64_e32 vcc, 0, v[196:197]
	v_cmp_neq_f64_e64 s[2:3], 0, v[198:199]
	s_or_b64 s[2:3], vcc, s[2:3]
	s_and_b64 exec, exec, s[2:3]
	s_cbranch_execz .LBB97_359
; %bb.354:
	v_cmp_ngt_f64_e64 s[2:3], |v[196:197]|, |v[198:199]|
                                        ; implicit-def: $vgpr200_vgpr201
	s_and_saveexec_b64 s[10:11], s[2:3]
	s_xor_b64 s[2:3], exec, s[10:11]
                                        ; implicit-def: $vgpr202_vgpr203
	s_cbranch_execz .LBB97_356
; %bb.355:
	v_div_scale_f64 v[200:201], s[10:11], v[198:199], v[198:199], v[196:197]
	v_rcp_f64_e32 v[202:203], v[200:201]
	v_div_scale_f64 v[204:205], vcc, v[196:197], v[198:199], v[196:197]
	v_fma_f64 v[206:207], -v[200:201], v[202:203], 1.0
	v_fmac_f64_e32 v[202:203], v[202:203], v[206:207]
	v_fma_f64 v[206:207], -v[200:201], v[202:203], 1.0
	v_fmac_f64_e32 v[202:203], v[202:203], v[206:207]
	v_mul_f64 v[206:207], v[204:205], v[202:203]
	v_fma_f64 v[200:201], -v[200:201], v[206:207], v[204:205]
	v_div_fmas_f64 v[200:201], v[200:201], v[202:203], v[206:207]
	v_div_fixup_f64 v[200:201], v[200:201], v[198:199], v[196:197]
	v_fmac_f64_e32 v[198:199], v[196:197], v[200:201]
	v_div_scale_f64 v[196:197], s[10:11], v[198:199], v[198:199], 1.0
	v_rcp_f64_e32 v[202:203], v[196:197]
	s_nop 0
	v_fma_f64 v[204:205], -v[196:197], v[202:203], 1.0
	v_fmac_f64_e32 v[202:203], v[202:203], v[204:205]
	v_fma_f64 v[204:205], -v[196:197], v[202:203], 1.0
	v_fmac_f64_e32 v[202:203], v[202:203], v[204:205]
	v_div_scale_f64 v[204:205], vcc, 1.0, v[198:199], 1.0
	v_mul_f64 v[206:207], v[204:205], v[202:203]
	v_fma_f64 v[196:197], -v[196:197], v[206:207], v[204:205]
	s_nop 1
	v_div_fmas_f64 v[196:197], v[196:197], v[202:203], v[206:207]
	v_div_fixup_f64 v[202:203], v[196:197], v[198:199], 1.0
	v_mul_f64 v[200:201], v[200:201], v[202:203]
	v_xor_b32_e32 v203, 0x80000000, v203
                                        ; implicit-def: $vgpr196_vgpr197
.LBB97_356:
	s_andn2_saveexec_b64 s[2:3], s[2:3]
	s_cbranch_execz .LBB97_358
; %bb.357:
	v_div_scale_f64 v[200:201], s[10:11], v[196:197], v[196:197], v[198:199]
	v_rcp_f64_e32 v[202:203], v[200:201]
	v_div_scale_f64 v[204:205], vcc, v[198:199], v[196:197], v[198:199]
	v_fma_f64 v[206:207], -v[200:201], v[202:203], 1.0
	v_fmac_f64_e32 v[202:203], v[202:203], v[206:207]
	v_fma_f64 v[206:207], -v[200:201], v[202:203], 1.0
	v_fmac_f64_e32 v[202:203], v[202:203], v[206:207]
	v_mul_f64 v[206:207], v[204:205], v[202:203]
	v_fma_f64 v[200:201], -v[200:201], v[206:207], v[204:205]
	v_div_fmas_f64 v[200:201], v[200:201], v[202:203], v[206:207]
	v_div_fixup_f64 v[202:203], v[200:201], v[196:197], v[198:199]
	v_fmac_f64_e32 v[196:197], v[198:199], v[202:203]
	v_div_scale_f64 v[198:199], s[10:11], v[196:197], v[196:197], 1.0
	v_rcp_f64_e32 v[200:201], v[198:199]
	s_nop 0
	v_fma_f64 v[204:205], -v[198:199], v[200:201], 1.0
	v_fmac_f64_e32 v[200:201], v[200:201], v[204:205]
	v_fma_f64 v[204:205], -v[198:199], v[200:201], 1.0
	v_fmac_f64_e32 v[200:201], v[200:201], v[204:205]
	v_div_scale_f64 v[204:205], vcc, 1.0, v[196:197], 1.0
	v_mul_f64 v[206:207], v[204:205], v[200:201]
	v_fma_f64 v[198:199], -v[198:199], v[206:207], v[204:205]
	s_nop 1
	v_div_fmas_f64 v[198:199], v[198:199], v[200:201], v[206:207]
	v_div_fixup_f64 v[200:201], v[198:199], v[196:197], 1.0
	v_mul_f64 v[202:203], v[202:203], -v[200:201]
.LBB97_358:
	s_or_b64 exec, exec, s[2:3]
	ds_write2_b64 v215, v[200:201], v[202:203] offset1:1
.LBB97_359:
	s_or_b64 exec, exec, s[4:5]
	s_waitcnt lgkmcnt(0)
	s_barrier
	ds_read2_b64 v[196:199], v215 offset1:1
	v_cmp_lt_u32_e32 vcc, 39, v214
	s_waitcnt lgkmcnt(0)
	scratch_store_dwordx4 off, v[196:199], off offset:920 ; 16-byte Folded Spill
	s_and_saveexec_b64 s[2:3], vcc
	s_cbranch_execz .LBB97_361
; %bb.360:
	scratch_load_dwordx4 v[198:201], off, off offset:920 ; 16-byte Folded Reload
	s_waitcnt vmcnt(0)
	v_mul_f64 v[196:197], v[198:199], v[34:35]
	v_mul_f64 v[34:35], v[200:201], v[34:35]
	v_fmac_f64_e32 v[196:197], v[200:201], v[32:33]
	v_fma_f64 v[32:33], v[198:199], v[32:33], -v[34:35]
	ds_read2_b64 v[198:201], v213 offset0:80 offset1:81
	s_waitcnt lgkmcnt(0)
	v_mul_f64 v[34:35], v[200:201], v[196:197]
	v_fma_f64 v[34:35], v[198:199], v[32:33], -v[34:35]
	v_mul_f64 v[198:199], v[198:199], v[196:197]
	v_fmac_f64_e32 v[198:199], v[200:201], v[32:33]
	v_add_f64 v[30:31], v[30:31], -v[198:199]
	ds_read2_b64 v[198:201], v213 offset0:82 offset1:83
	v_add_f64 v[28:29], v[28:29], -v[34:35]
	s_waitcnt lgkmcnt(0)
	v_mul_f64 v[34:35], v[200:201], v[196:197]
	v_fma_f64 v[34:35], v[198:199], v[32:33], -v[34:35]
	v_mul_f64 v[198:199], v[198:199], v[196:197]
	v_fmac_f64_e32 v[198:199], v[200:201], v[32:33]
	v_add_f64 v[26:27], v[26:27], -v[198:199]
	ds_read2_b64 v[198:201], v213 offset0:84 offset1:85
	v_add_f64 v[24:25], v[24:25], -v[34:35]
	;; [unrolled: 8-line block ×8, first 2 shown]
	s_waitcnt lgkmcnt(0)
	v_mul_f64 v[34:35], v[200:201], v[196:197]
	v_fma_f64 v[34:35], v[198:199], v[32:33], -v[34:35]
	v_mul_f64 v[198:199], v[198:199], v[196:197]
	v_fmac_f64_e32 v[198:199], v[200:201], v[32:33]
	scratch_load_dwordx4 v[200:203], off, off ; 16-byte Folded Reload
	s_waitcnt vmcnt(0)
	v_add_f64 v[200:201], v[200:201], -v[34:35]
	v_add_f64 v[202:203], v[202:203], -v[198:199]
	v_mov_b64_e32 v[34:35], v[196:197]
	scratch_store_dwordx4 off, v[200:203], off ; 16-byte Folded Spill
.LBB97_361:
	s_or_b64 exec, exec, s[2:3]
	v_cmp_eq_u32_e32 vcc, 40, v214
	s_barrier
	s_and_saveexec_b64 s[4:5], vcc
	s_cbranch_execz .LBB97_368
; %bb.362:
	ds_write2_b64 v215, v[28:29], v[30:31] offset1:1
	ds_write2_b64 v213, v[24:25], v[26:27] offset0:82 offset1:83
	ds_write2_b64 v213, v[20:21], v[22:23] offset0:84 offset1:85
	;; [unrolled: 1-line block ×7, first 2 shown]
	scratch_load_dwordx4 v[196:199], off, off ; 16-byte Folded Reload
	s_waitcnt vmcnt(0)
	ds_write2_b64 v213, v[196:197], v[198:199] offset0:96 offset1:97
	ds_read2_b64 v[196:199], v215 offset1:1
	s_waitcnt lgkmcnt(0)
	v_cmp_neq_f64_e32 vcc, 0, v[196:197]
	v_cmp_neq_f64_e64 s[2:3], 0, v[198:199]
	s_or_b64 s[2:3], vcc, s[2:3]
	s_and_b64 exec, exec, s[2:3]
	s_cbranch_execz .LBB97_368
; %bb.363:
	v_cmp_ngt_f64_e64 s[2:3], |v[196:197]|, |v[198:199]|
                                        ; implicit-def: $vgpr200_vgpr201
	s_and_saveexec_b64 s[10:11], s[2:3]
	s_xor_b64 s[2:3], exec, s[10:11]
                                        ; implicit-def: $vgpr202_vgpr203
	s_cbranch_execz .LBB97_365
; %bb.364:
	v_div_scale_f64 v[200:201], s[10:11], v[198:199], v[198:199], v[196:197]
	v_rcp_f64_e32 v[202:203], v[200:201]
	v_div_scale_f64 v[204:205], vcc, v[196:197], v[198:199], v[196:197]
	v_fma_f64 v[206:207], -v[200:201], v[202:203], 1.0
	v_fmac_f64_e32 v[202:203], v[202:203], v[206:207]
	v_fma_f64 v[206:207], -v[200:201], v[202:203], 1.0
	v_fmac_f64_e32 v[202:203], v[202:203], v[206:207]
	v_mul_f64 v[206:207], v[204:205], v[202:203]
	v_fma_f64 v[200:201], -v[200:201], v[206:207], v[204:205]
	v_div_fmas_f64 v[200:201], v[200:201], v[202:203], v[206:207]
	v_div_fixup_f64 v[200:201], v[200:201], v[198:199], v[196:197]
	v_fmac_f64_e32 v[198:199], v[196:197], v[200:201]
	v_div_scale_f64 v[196:197], s[10:11], v[198:199], v[198:199], 1.0
	v_rcp_f64_e32 v[202:203], v[196:197]
	s_nop 0
	v_fma_f64 v[204:205], -v[196:197], v[202:203], 1.0
	v_fmac_f64_e32 v[202:203], v[202:203], v[204:205]
	v_fma_f64 v[204:205], -v[196:197], v[202:203], 1.0
	v_fmac_f64_e32 v[202:203], v[202:203], v[204:205]
	v_div_scale_f64 v[204:205], vcc, 1.0, v[198:199], 1.0
	v_mul_f64 v[206:207], v[204:205], v[202:203]
	v_fma_f64 v[196:197], -v[196:197], v[206:207], v[204:205]
	s_nop 1
	v_div_fmas_f64 v[196:197], v[196:197], v[202:203], v[206:207]
	v_div_fixup_f64 v[202:203], v[196:197], v[198:199], 1.0
	v_mul_f64 v[200:201], v[200:201], v[202:203]
	v_xor_b32_e32 v203, 0x80000000, v203
                                        ; implicit-def: $vgpr196_vgpr197
.LBB97_365:
	s_andn2_saveexec_b64 s[2:3], s[2:3]
	s_cbranch_execz .LBB97_367
; %bb.366:
	v_div_scale_f64 v[200:201], s[10:11], v[196:197], v[196:197], v[198:199]
	v_rcp_f64_e32 v[202:203], v[200:201]
	v_div_scale_f64 v[204:205], vcc, v[198:199], v[196:197], v[198:199]
	v_fma_f64 v[206:207], -v[200:201], v[202:203], 1.0
	v_fmac_f64_e32 v[202:203], v[202:203], v[206:207]
	v_fma_f64 v[206:207], -v[200:201], v[202:203], 1.0
	v_fmac_f64_e32 v[202:203], v[202:203], v[206:207]
	v_mul_f64 v[206:207], v[204:205], v[202:203]
	v_fma_f64 v[200:201], -v[200:201], v[206:207], v[204:205]
	v_div_fmas_f64 v[200:201], v[200:201], v[202:203], v[206:207]
	v_div_fixup_f64 v[202:203], v[200:201], v[196:197], v[198:199]
	v_fmac_f64_e32 v[196:197], v[198:199], v[202:203]
	v_div_scale_f64 v[198:199], s[10:11], v[196:197], v[196:197], 1.0
	v_rcp_f64_e32 v[200:201], v[198:199]
	s_nop 0
	v_fma_f64 v[204:205], -v[198:199], v[200:201], 1.0
	v_fmac_f64_e32 v[200:201], v[200:201], v[204:205]
	v_fma_f64 v[204:205], -v[198:199], v[200:201], 1.0
	v_fmac_f64_e32 v[200:201], v[200:201], v[204:205]
	v_div_scale_f64 v[204:205], vcc, 1.0, v[196:197], 1.0
	v_mul_f64 v[206:207], v[204:205], v[200:201]
	v_fma_f64 v[198:199], -v[198:199], v[206:207], v[204:205]
	s_nop 1
	v_div_fmas_f64 v[198:199], v[198:199], v[200:201], v[206:207]
	v_div_fixup_f64 v[200:201], v[198:199], v[196:197], 1.0
	v_mul_f64 v[202:203], v[202:203], -v[200:201]
.LBB97_367:
	s_or_b64 exec, exec, s[2:3]
	ds_write2_b64 v215, v[200:201], v[202:203] offset1:1
.LBB97_368:
	s_or_b64 exec, exec, s[4:5]
	s_waitcnt lgkmcnt(0)
	s_barrier
	ds_read2_b64 v[196:199], v215 offset1:1
	v_cmp_lt_u32_e32 vcc, 40, v214
	s_waitcnt lgkmcnt(0)
	scratch_store_dwordx4 off, v[196:199], off offset:936 ; 16-byte Folded Spill
	s_and_saveexec_b64 s[2:3], vcc
	s_cbranch_execz .LBB97_370
; %bb.369:
	scratch_load_dwordx4 v[198:201], off, off offset:936 ; 16-byte Folded Reload
	s_waitcnt vmcnt(0)
	v_mul_f64 v[196:197], v[198:199], v[30:31]
	v_mul_f64 v[30:31], v[200:201], v[30:31]
	v_fmac_f64_e32 v[196:197], v[200:201], v[28:29]
	v_fma_f64 v[28:29], v[198:199], v[28:29], -v[30:31]
	ds_read2_b64 v[198:201], v213 offset0:82 offset1:83
	s_waitcnt lgkmcnt(0)
	v_mul_f64 v[30:31], v[200:201], v[196:197]
	v_fma_f64 v[30:31], v[198:199], v[28:29], -v[30:31]
	v_mul_f64 v[198:199], v[198:199], v[196:197]
	v_fmac_f64_e32 v[198:199], v[200:201], v[28:29]
	v_add_f64 v[26:27], v[26:27], -v[198:199]
	ds_read2_b64 v[198:201], v213 offset0:84 offset1:85
	v_add_f64 v[24:25], v[24:25], -v[30:31]
	s_waitcnt lgkmcnt(0)
	v_mul_f64 v[30:31], v[200:201], v[196:197]
	v_fma_f64 v[30:31], v[198:199], v[28:29], -v[30:31]
	v_mul_f64 v[198:199], v[198:199], v[196:197]
	v_fmac_f64_e32 v[198:199], v[200:201], v[28:29]
	v_add_f64 v[22:23], v[22:23], -v[198:199]
	ds_read2_b64 v[198:201], v213 offset0:86 offset1:87
	v_add_f64 v[20:21], v[20:21], -v[30:31]
	;; [unrolled: 8-line block ×7, first 2 shown]
	s_waitcnt lgkmcnt(0)
	v_mul_f64 v[30:31], v[200:201], v[196:197]
	v_fma_f64 v[30:31], v[198:199], v[28:29], -v[30:31]
	v_mul_f64 v[198:199], v[198:199], v[196:197]
	v_fmac_f64_e32 v[198:199], v[200:201], v[28:29]
	scratch_load_dwordx4 v[200:203], off, off ; 16-byte Folded Reload
	s_waitcnt vmcnt(0)
	v_add_f64 v[200:201], v[200:201], -v[30:31]
	v_add_f64 v[202:203], v[202:203], -v[198:199]
	v_mov_b64_e32 v[30:31], v[196:197]
	scratch_store_dwordx4 off, v[200:203], off ; 16-byte Folded Spill
.LBB97_370:
	s_or_b64 exec, exec, s[2:3]
	v_cmp_eq_u32_e32 vcc, 41, v214
	s_barrier
	s_and_saveexec_b64 s[4:5], vcc
	s_cbranch_execz .LBB97_377
; %bb.371:
	ds_write2_b64 v215, v[24:25], v[26:27] offset1:1
	ds_write2_b64 v213, v[20:21], v[22:23] offset0:84 offset1:85
	ds_write2_b64 v213, v[16:17], v[18:19] offset0:86 offset1:87
	;; [unrolled: 1-line block ×6, first 2 shown]
	scratch_load_dwordx4 v[196:199], off, off ; 16-byte Folded Reload
	s_waitcnt vmcnt(0)
	ds_write2_b64 v213, v[196:197], v[198:199] offset0:96 offset1:97
	ds_read2_b64 v[196:199], v215 offset1:1
	s_waitcnt lgkmcnt(0)
	v_cmp_neq_f64_e32 vcc, 0, v[196:197]
	v_cmp_neq_f64_e64 s[2:3], 0, v[198:199]
	s_or_b64 s[2:3], vcc, s[2:3]
	s_and_b64 exec, exec, s[2:3]
	s_cbranch_execz .LBB97_377
; %bb.372:
	v_cmp_ngt_f64_e64 s[2:3], |v[196:197]|, |v[198:199]|
                                        ; implicit-def: $vgpr200_vgpr201
	s_and_saveexec_b64 s[10:11], s[2:3]
	s_xor_b64 s[2:3], exec, s[10:11]
                                        ; implicit-def: $vgpr202_vgpr203
	s_cbranch_execz .LBB97_374
; %bb.373:
	v_div_scale_f64 v[200:201], s[10:11], v[198:199], v[198:199], v[196:197]
	v_rcp_f64_e32 v[202:203], v[200:201]
	v_div_scale_f64 v[204:205], vcc, v[196:197], v[198:199], v[196:197]
	v_fma_f64 v[206:207], -v[200:201], v[202:203], 1.0
	v_fmac_f64_e32 v[202:203], v[202:203], v[206:207]
	v_fma_f64 v[206:207], -v[200:201], v[202:203], 1.0
	v_fmac_f64_e32 v[202:203], v[202:203], v[206:207]
	v_mul_f64 v[206:207], v[204:205], v[202:203]
	v_fma_f64 v[200:201], -v[200:201], v[206:207], v[204:205]
	v_div_fmas_f64 v[200:201], v[200:201], v[202:203], v[206:207]
	v_div_fixup_f64 v[200:201], v[200:201], v[198:199], v[196:197]
	v_fmac_f64_e32 v[198:199], v[196:197], v[200:201]
	v_div_scale_f64 v[196:197], s[10:11], v[198:199], v[198:199], 1.0
	v_rcp_f64_e32 v[202:203], v[196:197]
	s_nop 0
	v_fma_f64 v[204:205], -v[196:197], v[202:203], 1.0
	v_fmac_f64_e32 v[202:203], v[202:203], v[204:205]
	v_fma_f64 v[204:205], -v[196:197], v[202:203], 1.0
	v_fmac_f64_e32 v[202:203], v[202:203], v[204:205]
	v_div_scale_f64 v[204:205], vcc, 1.0, v[198:199], 1.0
	v_mul_f64 v[206:207], v[204:205], v[202:203]
	v_fma_f64 v[196:197], -v[196:197], v[206:207], v[204:205]
	s_nop 1
	v_div_fmas_f64 v[196:197], v[196:197], v[202:203], v[206:207]
	v_div_fixup_f64 v[202:203], v[196:197], v[198:199], 1.0
	v_mul_f64 v[200:201], v[200:201], v[202:203]
	v_xor_b32_e32 v203, 0x80000000, v203
                                        ; implicit-def: $vgpr196_vgpr197
.LBB97_374:
	s_andn2_saveexec_b64 s[2:3], s[2:3]
	s_cbranch_execz .LBB97_376
; %bb.375:
	v_div_scale_f64 v[200:201], s[10:11], v[196:197], v[196:197], v[198:199]
	v_rcp_f64_e32 v[202:203], v[200:201]
	v_div_scale_f64 v[204:205], vcc, v[198:199], v[196:197], v[198:199]
	v_fma_f64 v[206:207], -v[200:201], v[202:203], 1.0
	v_fmac_f64_e32 v[202:203], v[202:203], v[206:207]
	v_fma_f64 v[206:207], -v[200:201], v[202:203], 1.0
	v_fmac_f64_e32 v[202:203], v[202:203], v[206:207]
	v_mul_f64 v[206:207], v[204:205], v[202:203]
	v_fma_f64 v[200:201], -v[200:201], v[206:207], v[204:205]
	v_div_fmas_f64 v[200:201], v[200:201], v[202:203], v[206:207]
	v_div_fixup_f64 v[202:203], v[200:201], v[196:197], v[198:199]
	v_fmac_f64_e32 v[196:197], v[198:199], v[202:203]
	v_div_scale_f64 v[198:199], s[10:11], v[196:197], v[196:197], 1.0
	v_rcp_f64_e32 v[200:201], v[198:199]
	s_nop 0
	v_fma_f64 v[204:205], -v[198:199], v[200:201], 1.0
	v_fmac_f64_e32 v[200:201], v[200:201], v[204:205]
	v_fma_f64 v[204:205], -v[198:199], v[200:201], 1.0
	v_fmac_f64_e32 v[200:201], v[200:201], v[204:205]
	v_div_scale_f64 v[204:205], vcc, 1.0, v[196:197], 1.0
	v_mul_f64 v[206:207], v[204:205], v[200:201]
	v_fma_f64 v[198:199], -v[198:199], v[206:207], v[204:205]
	s_nop 1
	v_div_fmas_f64 v[198:199], v[198:199], v[200:201], v[206:207]
	v_div_fixup_f64 v[200:201], v[198:199], v[196:197], 1.0
	v_mul_f64 v[202:203], v[202:203], -v[200:201]
.LBB97_376:
	s_or_b64 exec, exec, s[2:3]
	ds_write2_b64 v215, v[200:201], v[202:203] offset1:1
.LBB97_377:
	s_or_b64 exec, exec, s[4:5]
	s_waitcnt lgkmcnt(0)
	s_barrier
	ds_read2_b64 v[196:199], v215 offset1:1
	v_cmp_lt_u32_e32 vcc, 41, v214
	s_waitcnt lgkmcnt(0)
	scratch_store_dwordx4 off, v[196:199], off offset:952 ; 16-byte Folded Spill
	s_and_saveexec_b64 s[2:3], vcc
	s_cbranch_execz .LBB97_379
; %bb.378:
	scratch_load_dwordx4 v[198:201], off, off offset:952 ; 16-byte Folded Reload
	s_waitcnt vmcnt(0)
	v_mul_f64 v[196:197], v[198:199], v[26:27]
	v_mul_f64 v[26:27], v[200:201], v[26:27]
	v_fmac_f64_e32 v[196:197], v[200:201], v[24:25]
	v_fma_f64 v[24:25], v[198:199], v[24:25], -v[26:27]
	ds_read2_b64 v[198:201], v213 offset0:84 offset1:85
	s_waitcnt lgkmcnt(0)
	v_mul_f64 v[26:27], v[200:201], v[196:197]
	v_fma_f64 v[26:27], v[198:199], v[24:25], -v[26:27]
	v_mul_f64 v[198:199], v[198:199], v[196:197]
	v_fmac_f64_e32 v[198:199], v[200:201], v[24:25]
	v_add_f64 v[22:23], v[22:23], -v[198:199]
	ds_read2_b64 v[198:201], v213 offset0:86 offset1:87
	v_add_f64 v[20:21], v[20:21], -v[26:27]
	s_waitcnt lgkmcnt(0)
	v_mul_f64 v[26:27], v[200:201], v[196:197]
	v_fma_f64 v[26:27], v[198:199], v[24:25], -v[26:27]
	v_mul_f64 v[198:199], v[198:199], v[196:197]
	v_fmac_f64_e32 v[198:199], v[200:201], v[24:25]
	v_add_f64 v[18:19], v[18:19], -v[198:199]
	ds_read2_b64 v[198:201], v213 offset0:88 offset1:89
	v_add_f64 v[16:17], v[16:17], -v[26:27]
	;; [unrolled: 8-line block ×6, first 2 shown]
	s_waitcnt lgkmcnt(0)
	v_mul_f64 v[26:27], v[200:201], v[196:197]
	v_fma_f64 v[26:27], v[198:199], v[24:25], -v[26:27]
	v_mul_f64 v[198:199], v[198:199], v[196:197]
	v_fmac_f64_e32 v[198:199], v[200:201], v[24:25]
	scratch_load_dwordx4 v[200:203], off, off ; 16-byte Folded Reload
	s_waitcnt vmcnt(0)
	v_add_f64 v[200:201], v[200:201], -v[26:27]
	v_add_f64 v[202:203], v[202:203], -v[198:199]
	v_mov_b64_e32 v[26:27], v[196:197]
	scratch_store_dwordx4 off, v[200:203], off ; 16-byte Folded Spill
.LBB97_379:
	s_or_b64 exec, exec, s[2:3]
	v_cmp_eq_u32_e32 vcc, 42, v214
	s_barrier
	s_and_saveexec_b64 s[4:5], vcc
	s_cbranch_execz .LBB97_386
; %bb.380:
	ds_write2_b64 v215, v[20:21], v[22:23] offset1:1
	ds_write2_b64 v213, v[16:17], v[18:19] offset0:86 offset1:87
	ds_write2_b64 v213, v[12:13], v[14:15] offset0:88 offset1:89
	;; [unrolled: 1-line block ×5, first 2 shown]
	scratch_load_dwordx4 v[196:199], off, off ; 16-byte Folded Reload
	s_waitcnt vmcnt(0)
	ds_write2_b64 v213, v[196:197], v[198:199] offset0:96 offset1:97
	ds_read2_b64 v[196:199], v215 offset1:1
	s_waitcnt lgkmcnt(0)
	v_cmp_neq_f64_e32 vcc, 0, v[196:197]
	v_cmp_neq_f64_e64 s[2:3], 0, v[198:199]
	s_or_b64 s[2:3], vcc, s[2:3]
	s_and_b64 exec, exec, s[2:3]
	s_cbranch_execz .LBB97_386
; %bb.381:
	v_cmp_ngt_f64_e64 s[2:3], |v[196:197]|, |v[198:199]|
                                        ; implicit-def: $vgpr200_vgpr201
	s_and_saveexec_b64 s[10:11], s[2:3]
	s_xor_b64 s[2:3], exec, s[10:11]
                                        ; implicit-def: $vgpr202_vgpr203
	s_cbranch_execz .LBB97_383
; %bb.382:
	v_div_scale_f64 v[200:201], s[10:11], v[198:199], v[198:199], v[196:197]
	v_rcp_f64_e32 v[202:203], v[200:201]
	v_div_scale_f64 v[204:205], vcc, v[196:197], v[198:199], v[196:197]
	v_fma_f64 v[206:207], -v[200:201], v[202:203], 1.0
	v_fmac_f64_e32 v[202:203], v[202:203], v[206:207]
	v_fma_f64 v[206:207], -v[200:201], v[202:203], 1.0
	v_fmac_f64_e32 v[202:203], v[202:203], v[206:207]
	v_mul_f64 v[206:207], v[204:205], v[202:203]
	v_fma_f64 v[200:201], -v[200:201], v[206:207], v[204:205]
	v_div_fmas_f64 v[200:201], v[200:201], v[202:203], v[206:207]
	v_div_fixup_f64 v[200:201], v[200:201], v[198:199], v[196:197]
	v_fmac_f64_e32 v[198:199], v[196:197], v[200:201]
	v_div_scale_f64 v[196:197], s[10:11], v[198:199], v[198:199], 1.0
	v_rcp_f64_e32 v[202:203], v[196:197]
	s_nop 0
	v_fma_f64 v[204:205], -v[196:197], v[202:203], 1.0
	v_fmac_f64_e32 v[202:203], v[202:203], v[204:205]
	v_fma_f64 v[204:205], -v[196:197], v[202:203], 1.0
	v_fmac_f64_e32 v[202:203], v[202:203], v[204:205]
	v_div_scale_f64 v[204:205], vcc, 1.0, v[198:199], 1.0
	v_mul_f64 v[206:207], v[204:205], v[202:203]
	v_fma_f64 v[196:197], -v[196:197], v[206:207], v[204:205]
	s_nop 1
	v_div_fmas_f64 v[196:197], v[196:197], v[202:203], v[206:207]
	v_div_fixup_f64 v[202:203], v[196:197], v[198:199], 1.0
	v_mul_f64 v[200:201], v[200:201], v[202:203]
	v_xor_b32_e32 v203, 0x80000000, v203
                                        ; implicit-def: $vgpr196_vgpr197
.LBB97_383:
	s_andn2_saveexec_b64 s[2:3], s[2:3]
	s_cbranch_execz .LBB97_385
; %bb.384:
	v_div_scale_f64 v[200:201], s[10:11], v[196:197], v[196:197], v[198:199]
	v_rcp_f64_e32 v[202:203], v[200:201]
	v_div_scale_f64 v[204:205], vcc, v[198:199], v[196:197], v[198:199]
	v_fma_f64 v[206:207], -v[200:201], v[202:203], 1.0
	v_fmac_f64_e32 v[202:203], v[202:203], v[206:207]
	v_fma_f64 v[206:207], -v[200:201], v[202:203], 1.0
	v_fmac_f64_e32 v[202:203], v[202:203], v[206:207]
	v_mul_f64 v[206:207], v[204:205], v[202:203]
	v_fma_f64 v[200:201], -v[200:201], v[206:207], v[204:205]
	v_div_fmas_f64 v[200:201], v[200:201], v[202:203], v[206:207]
	v_div_fixup_f64 v[202:203], v[200:201], v[196:197], v[198:199]
	v_fmac_f64_e32 v[196:197], v[198:199], v[202:203]
	v_div_scale_f64 v[198:199], s[10:11], v[196:197], v[196:197], 1.0
	v_rcp_f64_e32 v[200:201], v[198:199]
	s_nop 0
	v_fma_f64 v[204:205], -v[198:199], v[200:201], 1.0
	v_fmac_f64_e32 v[200:201], v[200:201], v[204:205]
	v_fma_f64 v[204:205], -v[198:199], v[200:201], 1.0
	v_fmac_f64_e32 v[200:201], v[200:201], v[204:205]
	v_div_scale_f64 v[204:205], vcc, 1.0, v[196:197], 1.0
	v_mul_f64 v[206:207], v[204:205], v[200:201]
	v_fma_f64 v[198:199], -v[198:199], v[206:207], v[204:205]
	s_nop 1
	v_div_fmas_f64 v[198:199], v[198:199], v[200:201], v[206:207]
	v_div_fixup_f64 v[200:201], v[198:199], v[196:197], 1.0
	v_mul_f64 v[202:203], v[202:203], -v[200:201]
.LBB97_385:
	s_or_b64 exec, exec, s[2:3]
	ds_write2_b64 v215, v[200:201], v[202:203] offset1:1
.LBB97_386:
	s_or_b64 exec, exec, s[4:5]
	s_waitcnt lgkmcnt(0)
	s_barrier
	ds_read2_b64 v[196:199], v215 offset1:1
	v_cmp_lt_u32_e32 vcc, 42, v214
	s_waitcnt lgkmcnt(0)
	scratch_store_dwordx4 off, v[196:199], off offset:968 ; 16-byte Folded Spill
	s_and_saveexec_b64 s[2:3], vcc
	s_cbranch_execz .LBB97_388
; %bb.387:
	scratch_load_dwordx4 v[196:199], off, off offset:968 ; 16-byte Folded Reload
	scratch_load_dwordx4 v[202:205], off, off ; 16-byte Folded Reload
	s_waitcnt vmcnt(1)
	v_mul_f64 v[200:201], v[196:197], v[22:23]
	v_mul_f64 v[22:23], v[198:199], v[22:23]
	v_fmac_f64_e32 v[200:201], v[198:199], v[20:21]
	v_fma_f64 v[20:21], v[196:197], v[20:21], -v[22:23]
	ds_read2_b64 v[196:199], v213 offset0:86 offset1:87
	s_waitcnt lgkmcnt(0)
	v_mul_f64 v[22:23], v[198:199], v[200:201]
	v_fma_f64 v[22:23], v[196:197], v[20:21], -v[22:23]
	v_mul_f64 v[196:197], v[196:197], v[200:201]
	v_fmac_f64_e32 v[196:197], v[198:199], v[20:21]
	v_add_f64 v[18:19], v[18:19], -v[196:197]
	ds_read2_b64 v[196:199], v213 offset0:88 offset1:89
	v_add_f64 v[16:17], v[16:17], -v[22:23]
	s_waitcnt lgkmcnt(0)
	v_mul_f64 v[22:23], v[198:199], v[200:201]
	v_fma_f64 v[22:23], v[196:197], v[20:21], -v[22:23]
	v_mul_f64 v[196:197], v[196:197], v[200:201]
	v_fmac_f64_e32 v[196:197], v[198:199], v[20:21]
	v_add_f64 v[14:15], v[14:15], -v[196:197]
	ds_read2_b64 v[196:199], v213 offset0:90 offset1:91
	v_add_f64 v[12:13], v[12:13], -v[22:23]
	;; [unrolled: 8-line block ×5, first 2 shown]
	s_waitcnt lgkmcnt(0)
	v_mul_f64 v[22:23], v[198:199], v[200:201]
	v_fma_f64 v[22:23], v[196:197], v[20:21], -v[22:23]
	v_mul_f64 v[196:197], v[196:197], v[200:201]
	v_fmac_f64_e32 v[196:197], v[198:199], v[20:21]
	s_waitcnt vmcnt(0)
	v_add_f64 v[202:203], v[202:203], -v[22:23]
	v_add_f64 v[204:205], v[204:205], -v[196:197]
	v_mov_b64_e32 v[22:23], v[200:201]
	scratch_store_dwordx4 off, v[202:205], off ; 16-byte Folded Spill
.LBB97_388:
	s_or_b64 exec, exec, s[2:3]
	v_cmp_eq_u32_e32 vcc, 43, v214
	s_barrier
	s_and_saveexec_b64 s[4:5], vcc
	s_cbranch_execz .LBB97_395
; %bb.389:
	ds_write2_b64 v215, v[16:17], v[18:19] offset1:1
	ds_write2_b64 v213, v[12:13], v[14:15] offset0:88 offset1:89
	ds_write2_b64 v213, v[8:9], v[10:11] offset0:90 offset1:91
	;; [unrolled: 1-line block ×4, first 2 shown]
	scratch_load_dwordx4 v[196:199], off, off ; 16-byte Folded Reload
	s_waitcnt vmcnt(0)
	ds_write2_b64 v213, v[196:197], v[198:199] offset0:96 offset1:97
	ds_read2_b64 v[196:199], v215 offset1:1
	s_waitcnt lgkmcnt(0)
	v_cmp_neq_f64_e32 vcc, 0, v[196:197]
	v_cmp_neq_f64_e64 s[2:3], 0, v[198:199]
	s_or_b64 s[2:3], vcc, s[2:3]
	s_and_b64 exec, exec, s[2:3]
	s_cbranch_execz .LBB97_395
; %bb.390:
	v_cmp_ngt_f64_e64 s[2:3], |v[196:197]|, |v[198:199]|
                                        ; implicit-def: $vgpr200_vgpr201
	s_and_saveexec_b64 s[10:11], s[2:3]
	s_xor_b64 s[2:3], exec, s[10:11]
                                        ; implicit-def: $vgpr202_vgpr203
	s_cbranch_execz .LBB97_392
; %bb.391:
	v_div_scale_f64 v[200:201], s[10:11], v[198:199], v[198:199], v[196:197]
	v_rcp_f64_e32 v[202:203], v[200:201]
	v_div_scale_f64 v[204:205], vcc, v[196:197], v[198:199], v[196:197]
	v_fma_f64 v[206:207], -v[200:201], v[202:203], 1.0
	v_fmac_f64_e32 v[202:203], v[202:203], v[206:207]
	v_fma_f64 v[206:207], -v[200:201], v[202:203], 1.0
	v_fmac_f64_e32 v[202:203], v[202:203], v[206:207]
	v_mul_f64 v[206:207], v[204:205], v[202:203]
	v_fma_f64 v[200:201], -v[200:201], v[206:207], v[204:205]
	v_div_fmas_f64 v[200:201], v[200:201], v[202:203], v[206:207]
	v_div_fixup_f64 v[200:201], v[200:201], v[198:199], v[196:197]
	v_fmac_f64_e32 v[198:199], v[196:197], v[200:201]
	v_div_scale_f64 v[196:197], s[10:11], v[198:199], v[198:199], 1.0
	v_rcp_f64_e32 v[202:203], v[196:197]
	s_nop 0
	v_fma_f64 v[204:205], -v[196:197], v[202:203], 1.0
	v_fmac_f64_e32 v[202:203], v[202:203], v[204:205]
	v_fma_f64 v[204:205], -v[196:197], v[202:203], 1.0
	v_fmac_f64_e32 v[202:203], v[202:203], v[204:205]
	v_div_scale_f64 v[204:205], vcc, 1.0, v[198:199], 1.0
	v_mul_f64 v[206:207], v[204:205], v[202:203]
	v_fma_f64 v[196:197], -v[196:197], v[206:207], v[204:205]
	s_nop 1
	v_div_fmas_f64 v[196:197], v[196:197], v[202:203], v[206:207]
	v_div_fixup_f64 v[202:203], v[196:197], v[198:199], 1.0
	v_mul_f64 v[200:201], v[200:201], v[202:203]
	v_xor_b32_e32 v203, 0x80000000, v203
                                        ; implicit-def: $vgpr196_vgpr197
.LBB97_392:
	s_andn2_saveexec_b64 s[2:3], s[2:3]
	s_cbranch_execz .LBB97_394
; %bb.393:
	v_div_scale_f64 v[200:201], s[10:11], v[196:197], v[196:197], v[198:199]
	v_rcp_f64_e32 v[202:203], v[200:201]
	v_div_scale_f64 v[204:205], vcc, v[198:199], v[196:197], v[198:199]
	v_fma_f64 v[206:207], -v[200:201], v[202:203], 1.0
	v_fmac_f64_e32 v[202:203], v[202:203], v[206:207]
	v_fma_f64 v[206:207], -v[200:201], v[202:203], 1.0
	v_fmac_f64_e32 v[202:203], v[202:203], v[206:207]
	v_mul_f64 v[206:207], v[204:205], v[202:203]
	v_fma_f64 v[200:201], -v[200:201], v[206:207], v[204:205]
	v_div_fmas_f64 v[200:201], v[200:201], v[202:203], v[206:207]
	v_div_fixup_f64 v[202:203], v[200:201], v[196:197], v[198:199]
	v_fmac_f64_e32 v[196:197], v[198:199], v[202:203]
	v_div_scale_f64 v[198:199], s[10:11], v[196:197], v[196:197], 1.0
	v_rcp_f64_e32 v[200:201], v[198:199]
	s_nop 0
	v_fma_f64 v[204:205], -v[198:199], v[200:201], 1.0
	v_fmac_f64_e32 v[200:201], v[200:201], v[204:205]
	v_fma_f64 v[204:205], -v[198:199], v[200:201], 1.0
	v_fmac_f64_e32 v[200:201], v[200:201], v[204:205]
	v_div_scale_f64 v[204:205], vcc, 1.0, v[196:197], 1.0
	v_mul_f64 v[206:207], v[204:205], v[200:201]
	v_fma_f64 v[198:199], -v[198:199], v[206:207], v[204:205]
	s_nop 1
	v_div_fmas_f64 v[198:199], v[198:199], v[200:201], v[206:207]
	v_div_fixup_f64 v[200:201], v[198:199], v[196:197], 1.0
	v_mul_f64 v[202:203], v[202:203], -v[200:201]
.LBB97_394:
	s_or_b64 exec, exec, s[2:3]
	ds_write2_b64 v215, v[200:201], v[202:203] offset1:1
.LBB97_395:
	s_or_b64 exec, exec, s[4:5]
	s_waitcnt lgkmcnt(0)
	s_barrier
	ds_read2_b64 v[196:199], v215 offset1:1
	v_cmp_lt_u32_e32 vcc, 43, v214
	s_waitcnt lgkmcnt(0)
	scratch_store_dwordx4 off, v[196:199], off offset:984 ; 16-byte Folded Spill
	s_and_saveexec_b64 s[2:3], vcc
	s_cbranch_execz .LBB97_397
; %bb.396:
	scratch_load_dwordx4 v[196:199], off, off offset:984 ; 16-byte Folded Reload
	scratch_load_dwordx4 v[202:205], off, off ; 16-byte Folded Reload
	s_waitcnt vmcnt(1)
	v_mul_f64 v[200:201], v[196:197], v[18:19]
	v_mul_f64 v[18:19], v[198:199], v[18:19]
	v_fmac_f64_e32 v[200:201], v[198:199], v[16:17]
	v_fma_f64 v[16:17], v[196:197], v[16:17], -v[18:19]
	ds_read2_b64 v[196:199], v213 offset0:88 offset1:89
	s_waitcnt lgkmcnt(0)
	v_mul_f64 v[18:19], v[198:199], v[200:201]
	v_fma_f64 v[18:19], v[196:197], v[16:17], -v[18:19]
	v_mul_f64 v[196:197], v[196:197], v[200:201]
	v_fmac_f64_e32 v[196:197], v[198:199], v[16:17]
	v_add_f64 v[14:15], v[14:15], -v[196:197]
	ds_read2_b64 v[196:199], v213 offset0:90 offset1:91
	v_add_f64 v[12:13], v[12:13], -v[18:19]
	s_waitcnt lgkmcnt(0)
	v_mul_f64 v[18:19], v[198:199], v[200:201]
	v_fma_f64 v[18:19], v[196:197], v[16:17], -v[18:19]
	v_mul_f64 v[196:197], v[196:197], v[200:201]
	v_fmac_f64_e32 v[196:197], v[198:199], v[16:17]
	v_add_f64 v[10:11], v[10:11], -v[196:197]
	ds_read2_b64 v[196:199], v213 offset0:92 offset1:93
	v_add_f64 v[8:9], v[8:9], -v[18:19]
	;; [unrolled: 8-line block ×4, first 2 shown]
	s_waitcnt lgkmcnt(0)
	v_mul_f64 v[18:19], v[198:199], v[200:201]
	v_fma_f64 v[18:19], v[196:197], v[16:17], -v[18:19]
	v_mul_f64 v[196:197], v[196:197], v[200:201]
	v_fmac_f64_e32 v[196:197], v[198:199], v[16:17]
	s_waitcnt vmcnt(0)
	v_add_f64 v[202:203], v[202:203], -v[18:19]
	v_add_f64 v[204:205], v[204:205], -v[196:197]
	v_mov_b64_e32 v[18:19], v[200:201]
	scratch_store_dwordx4 off, v[202:205], off ; 16-byte Folded Spill
.LBB97_397:
	s_or_b64 exec, exec, s[2:3]
	v_cmp_eq_u32_e32 vcc, 44, v214
	s_barrier
	s_and_saveexec_b64 s[4:5], vcc
	s_cbranch_execz .LBB97_404
; %bb.398:
	ds_write2_b64 v215, v[12:13], v[14:15] offset1:1
	ds_write2_b64 v213, v[8:9], v[10:11] offset0:90 offset1:91
	ds_write2_b64 v213, v[4:5], v[6:7] offset0:92 offset1:93
	;; [unrolled: 1-line block ×3, first 2 shown]
	scratch_load_dwordx4 v[196:199], off, off ; 16-byte Folded Reload
	s_waitcnt vmcnt(0)
	ds_write2_b64 v213, v[196:197], v[198:199] offset0:96 offset1:97
	ds_read2_b64 v[196:199], v215 offset1:1
	s_waitcnt lgkmcnt(0)
	v_cmp_neq_f64_e32 vcc, 0, v[196:197]
	v_cmp_neq_f64_e64 s[2:3], 0, v[198:199]
	s_or_b64 s[2:3], vcc, s[2:3]
	s_and_b64 exec, exec, s[2:3]
	s_cbranch_execz .LBB97_404
; %bb.399:
	v_cmp_ngt_f64_e64 s[2:3], |v[196:197]|, |v[198:199]|
                                        ; implicit-def: $vgpr200_vgpr201
	s_and_saveexec_b64 s[10:11], s[2:3]
	s_xor_b64 s[2:3], exec, s[10:11]
                                        ; implicit-def: $vgpr202_vgpr203
	s_cbranch_execz .LBB97_401
; %bb.400:
	v_div_scale_f64 v[200:201], s[10:11], v[198:199], v[198:199], v[196:197]
	v_rcp_f64_e32 v[202:203], v[200:201]
	v_div_scale_f64 v[204:205], vcc, v[196:197], v[198:199], v[196:197]
	v_fma_f64 v[206:207], -v[200:201], v[202:203], 1.0
	v_fmac_f64_e32 v[202:203], v[202:203], v[206:207]
	v_fma_f64 v[206:207], -v[200:201], v[202:203], 1.0
	v_fmac_f64_e32 v[202:203], v[202:203], v[206:207]
	v_mul_f64 v[206:207], v[204:205], v[202:203]
	v_fma_f64 v[200:201], -v[200:201], v[206:207], v[204:205]
	v_div_fmas_f64 v[200:201], v[200:201], v[202:203], v[206:207]
	v_div_fixup_f64 v[200:201], v[200:201], v[198:199], v[196:197]
	v_fmac_f64_e32 v[198:199], v[196:197], v[200:201]
	v_div_scale_f64 v[196:197], s[10:11], v[198:199], v[198:199], 1.0
	v_rcp_f64_e32 v[202:203], v[196:197]
	s_nop 0
	v_fma_f64 v[204:205], -v[196:197], v[202:203], 1.0
	v_fmac_f64_e32 v[202:203], v[202:203], v[204:205]
	v_fma_f64 v[204:205], -v[196:197], v[202:203], 1.0
	v_fmac_f64_e32 v[202:203], v[202:203], v[204:205]
	v_div_scale_f64 v[204:205], vcc, 1.0, v[198:199], 1.0
	v_mul_f64 v[206:207], v[204:205], v[202:203]
	v_fma_f64 v[196:197], -v[196:197], v[206:207], v[204:205]
	s_nop 1
	v_div_fmas_f64 v[196:197], v[196:197], v[202:203], v[206:207]
	v_div_fixup_f64 v[202:203], v[196:197], v[198:199], 1.0
	v_mul_f64 v[200:201], v[200:201], v[202:203]
	v_xor_b32_e32 v203, 0x80000000, v203
                                        ; implicit-def: $vgpr196_vgpr197
.LBB97_401:
	s_andn2_saveexec_b64 s[2:3], s[2:3]
	s_cbranch_execz .LBB97_403
; %bb.402:
	v_div_scale_f64 v[200:201], s[10:11], v[196:197], v[196:197], v[198:199]
	v_rcp_f64_e32 v[202:203], v[200:201]
	v_div_scale_f64 v[204:205], vcc, v[198:199], v[196:197], v[198:199]
	v_fma_f64 v[206:207], -v[200:201], v[202:203], 1.0
	v_fmac_f64_e32 v[202:203], v[202:203], v[206:207]
	v_fma_f64 v[206:207], -v[200:201], v[202:203], 1.0
	v_fmac_f64_e32 v[202:203], v[202:203], v[206:207]
	v_mul_f64 v[206:207], v[204:205], v[202:203]
	v_fma_f64 v[200:201], -v[200:201], v[206:207], v[204:205]
	v_div_fmas_f64 v[200:201], v[200:201], v[202:203], v[206:207]
	v_div_fixup_f64 v[202:203], v[200:201], v[196:197], v[198:199]
	v_fmac_f64_e32 v[196:197], v[198:199], v[202:203]
	v_div_scale_f64 v[198:199], s[10:11], v[196:197], v[196:197], 1.0
	v_rcp_f64_e32 v[200:201], v[198:199]
	s_nop 0
	v_fma_f64 v[204:205], -v[198:199], v[200:201], 1.0
	v_fmac_f64_e32 v[200:201], v[200:201], v[204:205]
	v_fma_f64 v[204:205], -v[198:199], v[200:201], 1.0
	v_fmac_f64_e32 v[200:201], v[200:201], v[204:205]
	v_div_scale_f64 v[204:205], vcc, 1.0, v[196:197], 1.0
	v_mul_f64 v[206:207], v[204:205], v[200:201]
	v_fma_f64 v[198:199], -v[198:199], v[206:207], v[204:205]
	s_nop 1
	v_div_fmas_f64 v[198:199], v[198:199], v[200:201], v[206:207]
	v_div_fixup_f64 v[200:201], v[198:199], v[196:197], 1.0
	v_mul_f64 v[202:203], v[202:203], -v[200:201]
.LBB97_403:
	s_or_b64 exec, exec, s[2:3]
	ds_write2_b64 v215, v[200:201], v[202:203] offset1:1
.LBB97_404:
	s_or_b64 exec, exec, s[4:5]
	s_waitcnt lgkmcnt(0)
	s_barrier
	ds_read2_b64 v[252:255], v215 offset1:1
	v_cmp_lt_u32_e32 vcc, 44, v214
	s_and_saveexec_b64 s[2:3], vcc
	s_cbranch_execz .LBB97_406
; %bb.405:
	scratch_load_dwordx4 v[202:205], off, off ; 16-byte Folded Reload
	ds_read2_b64 v[196:199], v213 offset0:90 offset1:91
	s_waitcnt lgkmcnt(1)
	v_mul_f64 v[200:201], v[252:253], v[14:15]
	v_fmac_f64_e32 v[200:201], v[254:255], v[12:13]
	v_mul_f64 v[14:15], v[254:255], v[14:15]
	v_fma_f64 v[12:13], v[252:253], v[12:13], -v[14:15]
	s_waitcnt lgkmcnt(0)
	v_mul_f64 v[14:15], v[198:199], v[200:201]
	v_fma_f64 v[14:15], v[196:197], v[12:13], -v[14:15]
	v_mul_f64 v[196:197], v[196:197], v[200:201]
	v_fmac_f64_e32 v[196:197], v[198:199], v[12:13]
	v_add_f64 v[10:11], v[10:11], -v[196:197]
	ds_read2_b64 v[196:199], v213 offset0:92 offset1:93
	v_add_f64 v[8:9], v[8:9], -v[14:15]
	s_waitcnt lgkmcnt(0)
	v_mul_f64 v[14:15], v[198:199], v[200:201]
	v_fma_f64 v[14:15], v[196:197], v[12:13], -v[14:15]
	v_mul_f64 v[196:197], v[196:197], v[200:201]
	v_fmac_f64_e32 v[196:197], v[198:199], v[12:13]
	v_add_f64 v[6:7], v[6:7], -v[196:197]
	ds_read2_b64 v[196:199], v213 offset0:94 offset1:95
	v_add_f64 v[4:5], v[4:5], -v[14:15]
	;; [unrolled: 8-line block ×3, first 2 shown]
	s_waitcnt lgkmcnt(0)
	v_mul_f64 v[14:15], v[198:199], v[200:201]
	v_fma_f64 v[14:15], v[196:197], v[12:13], -v[14:15]
	v_mul_f64 v[196:197], v[196:197], v[200:201]
	v_fmac_f64_e32 v[196:197], v[198:199], v[12:13]
	s_waitcnt vmcnt(0)
	v_add_f64 v[202:203], v[202:203], -v[14:15]
	v_add_f64 v[204:205], v[204:205], -v[196:197]
	v_mov_b64_e32 v[14:15], v[200:201]
	scratch_store_dwordx4 off, v[202:205], off ; 16-byte Folded Spill
.LBB97_406:
	s_or_b64 exec, exec, s[2:3]
	v_cmp_eq_u32_e32 vcc, 45, v214
	s_waitcnt lgkmcnt(0)
	s_barrier
	s_and_saveexec_b64 s[4:5], vcc
	s_cbranch_execz .LBB97_413
; %bb.407:
	ds_write2_b64 v215, v[8:9], v[10:11] offset1:1
	ds_write2_b64 v213, v[4:5], v[6:7] offset0:92 offset1:93
	ds_write2_b64 v213, v[0:1], v[2:3] offset0:94 offset1:95
	scratch_load_dwordx4 v[196:199], off, off ; 16-byte Folded Reload
	s_waitcnt vmcnt(0)
	ds_write2_b64 v213, v[196:197], v[198:199] offset0:96 offset1:97
	ds_read2_b64 v[196:199], v215 offset1:1
	s_waitcnt lgkmcnt(0)
	v_cmp_neq_f64_e32 vcc, 0, v[196:197]
	v_cmp_neq_f64_e64 s[2:3], 0, v[198:199]
	s_or_b64 s[2:3], vcc, s[2:3]
	s_and_b64 exec, exec, s[2:3]
	s_cbranch_execz .LBB97_413
; %bb.408:
	v_cmp_ngt_f64_e64 s[2:3], |v[196:197]|, |v[198:199]|
                                        ; implicit-def: $vgpr200_vgpr201
	s_and_saveexec_b64 s[10:11], s[2:3]
	s_xor_b64 s[2:3], exec, s[10:11]
                                        ; implicit-def: $vgpr202_vgpr203
	s_cbranch_execz .LBB97_410
; %bb.409:
	v_div_scale_f64 v[200:201], s[10:11], v[198:199], v[198:199], v[196:197]
	v_rcp_f64_e32 v[202:203], v[200:201]
	v_div_scale_f64 v[204:205], vcc, v[196:197], v[198:199], v[196:197]
	v_fma_f64 v[206:207], -v[200:201], v[202:203], 1.0
	v_fmac_f64_e32 v[202:203], v[202:203], v[206:207]
	v_fma_f64 v[206:207], -v[200:201], v[202:203], 1.0
	v_fmac_f64_e32 v[202:203], v[202:203], v[206:207]
	v_mul_f64 v[206:207], v[204:205], v[202:203]
	v_fma_f64 v[200:201], -v[200:201], v[206:207], v[204:205]
	v_div_fmas_f64 v[200:201], v[200:201], v[202:203], v[206:207]
	v_div_fixup_f64 v[200:201], v[200:201], v[198:199], v[196:197]
	v_fmac_f64_e32 v[198:199], v[196:197], v[200:201]
	v_div_scale_f64 v[196:197], s[10:11], v[198:199], v[198:199], 1.0
	v_rcp_f64_e32 v[202:203], v[196:197]
	s_nop 0
	v_fma_f64 v[204:205], -v[196:197], v[202:203], 1.0
	v_fmac_f64_e32 v[202:203], v[202:203], v[204:205]
	v_fma_f64 v[204:205], -v[196:197], v[202:203], 1.0
	v_fmac_f64_e32 v[202:203], v[202:203], v[204:205]
	v_div_scale_f64 v[204:205], vcc, 1.0, v[198:199], 1.0
	v_mul_f64 v[206:207], v[204:205], v[202:203]
	v_fma_f64 v[196:197], -v[196:197], v[206:207], v[204:205]
	s_nop 1
	v_div_fmas_f64 v[196:197], v[196:197], v[202:203], v[206:207]
	v_div_fixup_f64 v[202:203], v[196:197], v[198:199], 1.0
	v_mul_f64 v[200:201], v[200:201], v[202:203]
	v_xor_b32_e32 v203, 0x80000000, v203
                                        ; implicit-def: $vgpr196_vgpr197
.LBB97_410:
	s_andn2_saveexec_b64 s[2:3], s[2:3]
	s_cbranch_execz .LBB97_412
; %bb.411:
	v_div_scale_f64 v[200:201], s[10:11], v[196:197], v[196:197], v[198:199]
	v_rcp_f64_e32 v[202:203], v[200:201]
	v_div_scale_f64 v[204:205], vcc, v[198:199], v[196:197], v[198:199]
	v_fma_f64 v[206:207], -v[200:201], v[202:203], 1.0
	v_fmac_f64_e32 v[202:203], v[202:203], v[206:207]
	v_fma_f64 v[206:207], -v[200:201], v[202:203], 1.0
	v_fmac_f64_e32 v[202:203], v[202:203], v[206:207]
	v_mul_f64 v[206:207], v[204:205], v[202:203]
	v_fma_f64 v[200:201], -v[200:201], v[206:207], v[204:205]
	v_div_fmas_f64 v[200:201], v[200:201], v[202:203], v[206:207]
	v_div_fixup_f64 v[202:203], v[200:201], v[196:197], v[198:199]
	v_fmac_f64_e32 v[196:197], v[198:199], v[202:203]
	v_div_scale_f64 v[198:199], s[10:11], v[196:197], v[196:197], 1.0
	v_rcp_f64_e32 v[200:201], v[198:199]
	s_nop 0
	v_fma_f64 v[204:205], -v[198:199], v[200:201], 1.0
	v_fmac_f64_e32 v[200:201], v[200:201], v[204:205]
	v_fma_f64 v[204:205], -v[198:199], v[200:201], 1.0
	v_fmac_f64_e32 v[200:201], v[200:201], v[204:205]
	v_div_scale_f64 v[204:205], vcc, 1.0, v[196:197], 1.0
	v_mul_f64 v[206:207], v[204:205], v[200:201]
	v_fma_f64 v[198:199], -v[198:199], v[206:207], v[204:205]
	s_nop 1
	v_div_fmas_f64 v[198:199], v[198:199], v[200:201], v[206:207]
	v_div_fixup_f64 v[200:201], v[198:199], v[196:197], 1.0
	v_mul_f64 v[202:203], v[202:203], -v[200:201]
.LBB97_412:
	s_or_b64 exec, exec, s[2:3]
	ds_write2_b64 v215, v[200:201], v[202:203] offset1:1
.LBB97_413:
	s_or_b64 exec, exec, s[4:5]
	s_waitcnt lgkmcnt(0)
	s_barrier
	ds_read2_b64 v[196:199], v215 offset1:1
	v_cmp_lt_u32_e32 vcc, 45, v214
	s_and_saveexec_b64 s[2:3], vcc
	s_cbranch_execz .LBB97_415
; %bb.414:
	scratch_load_dwordx4 v[206:209], off, off ; 16-byte Folded Reload
	ds_read2_b64 v[200:203], v213 offset0:92 offset1:93
	s_waitcnt lgkmcnt(1)
	v_mul_f64 v[204:205], v[196:197], v[10:11]
	v_fmac_f64_e32 v[204:205], v[198:199], v[8:9]
	v_mul_f64 v[10:11], v[198:199], v[10:11]
	v_fma_f64 v[8:9], v[196:197], v[8:9], -v[10:11]
	s_waitcnt lgkmcnt(0)
	v_mul_f64 v[10:11], v[202:203], v[204:205]
	v_fma_f64 v[10:11], v[200:201], v[8:9], -v[10:11]
	v_mul_f64 v[200:201], v[200:201], v[204:205]
	v_fmac_f64_e32 v[200:201], v[202:203], v[8:9]
	v_add_f64 v[6:7], v[6:7], -v[200:201]
	ds_read2_b64 v[200:203], v213 offset0:94 offset1:95
	v_add_f64 v[4:5], v[4:5], -v[10:11]
	s_waitcnt lgkmcnt(0)
	v_mul_f64 v[10:11], v[202:203], v[204:205]
	v_fma_f64 v[10:11], v[200:201], v[8:9], -v[10:11]
	v_mul_f64 v[200:201], v[200:201], v[204:205]
	v_fmac_f64_e32 v[200:201], v[202:203], v[8:9]
	v_add_f64 v[2:3], v[2:3], -v[200:201]
	ds_read2_b64 v[200:203], v213 offset0:96 offset1:97
	v_add_f64 v[0:1], v[0:1], -v[10:11]
	s_waitcnt lgkmcnt(0)
	v_mul_f64 v[10:11], v[202:203], v[204:205]
	v_fma_f64 v[10:11], v[200:201], v[8:9], -v[10:11]
	v_mul_f64 v[200:201], v[200:201], v[204:205]
	v_fmac_f64_e32 v[200:201], v[202:203], v[8:9]
	s_waitcnt vmcnt(0)
	v_add_f64 v[206:207], v[206:207], -v[10:11]
	v_add_f64 v[208:209], v[208:209], -v[200:201]
	v_mov_b64_e32 v[10:11], v[204:205]
	scratch_store_dwordx4 off, v[206:209], off ; 16-byte Folded Spill
.LBB97_415:
	s_or_b64 exec, exec, s[2:3]
	v_cmp_eq_u32_e32 vcc, 46, v214
	s_waitcnt lgkmcnt(0)
	s_barrier
	s_and_saveexec_b64 s[4:5], vcc
	s_cbranch_execz .LBB97_422
; %bb.416:
	ds_write2_b64 v215, v[4:5], v[6:7] offset1:1
	ds_write2_b64 v213, v[0:1], v[2:3] offset0:94 offset1:95
	scratch_load_dwordx4 v[200:203], off, off ; 16-byte Folded Reload
	s_waitcnt vmcnt(0)
	ds_write2_b64 v213, v[200:201], v[202:203] offset0:96 offset1:97
	ds_read2_b64 v[200:203], v215 offset1:1
	s_waitcnt lgkmcnt(0)
	v_cmp_neq_f64_e32 vcc, 0, v[200:201]
	v_cmp_neq_f64_e64 s[2:3], 0, v[202:203]
	s_or_b64 s[2:3], vcc, s[2:3]
	s_and_b64 exec, exec, s[2:3]
	s_cbranch_execz .LBB97_422
; %bb.417:
	v_cmp_ngt_f64_e64 s[2:3], |v[200:201]|, |v[202:203]|
                                        ; implicit-def: $vgpr204_vgpr205
	s_and_saveexec_b64 s[10:11], s[2:3]
	s_xor_b64 s[2:3], exec, s[10:11]
                                        ; implicit-def: $vgpr206_vgpr207
	s_cbranch_execz .LBB97_419
; %bb.418:
	v_div_scale_f64 v[204:205], s[10:11], v[202:203], v[202:203], v[200:201]
	v_rcp_f64_e32 v[206:207], v[204:205]
	v_div_scale_f64 v[208:209], vcc, v[200:201], v[202:203], v[200:201]
	v_fma_f64 v[210:211], -v[204:205], v[206:207], 1.0
	v_fmac_f64_e32 v[206:207], v[206:207], v[210:211]
	v_fma_f64 v[210:211], -v[204:205], v[206:207], 1.0
	v_fmac_f64_e32 v[206:207], v[206:207], v[210:211]
	v_mul_f64 v[210:211], v[208:209], v[206:207]
	v_fma_f64 v[204:205], -v[204:205], v[210:211], v[208:209]
	v_div_fmas_f64 v[204:205], v[204:205], v[206:207], v[210:211]
	v_div_fixup_f64 v[204:205], v[204:205], v[202:203], v[200:201]
	v_fmac_f64_e32 v[202:203], v[200:201], v[204:205]
	v_div_scale_f64 v[200:201], s[10:11], v[202:203], v[202:203], 1.0
	v_rcp_f64_e32 v[206:207], v[200:201]
	s_nop 0
	v_fma_f64 v[208:209], -v[200:201], v[206:207], 1.0
	v_fmac_f64_e32 v[206:207], v[206:207], v[208:209]
	v_fma_f64 v[208:209], -v[200:201], v[206:207], 1.0
	v_fmac_f64_e32 v[206:207], v[206:207], v[208:209]
	v_div_scale_f64 v[208:209], vcc, 1.0, v[202:203], 1.0
	v_mul_f64 v[210:211], v[208:209], v[206:207]
	v_fma_f64 v[200:201], -v[200:201], v[210:211], v[208:209]
	s_nop 1
	v_div_fmas_f64 v[200:201], v[200:201], v[206:207], v[210:211]
	v_div_fixup_f64 v[206:207], v[200:201], v[202:203], 1.0
	v_mul_f64 v[204:205], v[204:205], v[206:207]
	v_xor_b32_e32 v207, 0x80000000, v207
                                        ; implicit-def: $vgpr200_vgpr201
.LBB97_419:
	s_andn2_saveexec_b64 s[2:3], s[2:3]
	s_cbranch_execz .LBB97_421
; %bb.420:
	v_div_scale_f64 v[204:205], s[10:11], v[200:201], v[200:201], v[202:203]
	v_rcp_f64_e32 v[206:207], v[204:205]
	v_div_scale_f64 v[208:209], vcc, v[202:203], v[200:201], v[202:203]
	v_fma_f64 v[210:211], -v[204:205], v[206:207], 1.0
	v_fmac_f64_e32 v[206:207], v[206:207], v[210:211]
	v_fma_f64 v[210:211], -v[204:205], v[206:207], 1.0
	v_fmac_f64_e32 v[206:207], v[206:207], v[210:211]
	v_mul_f64 v[210:211], v[208:209], v[206:207]
	v_fma_f64 v[204:205], -v[204:205], v[210:211], v[208:209]
	v_div_fmas_f64 v[204:205], v[204:205], v[206:207], v[210:211]
	v_div_fixup_f64 v[206:207], v[204:205], v[200:201], v[202:203]
	v_fmac_f64_e32 v[200:201], v[202:203], v[206:207]
	v_div_scale_f64 v[202:203], s[10:11], v[200:201], v[200:201], 1.0
	v_rcp_f64_e32 v[204:205], v[202:203]
	s_nop 0
	v_fma_f64 v[208:209], -v[202:203], v[204:205], 1.0
	v_fmac_f64_e32 v[204:205], v[204:205], v[208:209]
	v_fma_f64 v[208:209], -v[202:203], v[204:205], 1.0
	v_fmac_f64_e32 v[204:205], v[204:205], v[208:209]
	v_div_scale_f64 v[208:209], vcc, 1.0, v[200:201], 1.0
	v_mul_f64 v[210:211], v[208:209], v[204:205]
	v_fma_f64 v[202:203], -v[202:203], v[210:211], v[208:209]
	s_nop 1
	v_div_fmas_f64 v[202:203], v[202:203], v[204:205], v[210:211]
	v_div_fixup_f64 v[204:205], v[202:203], v[200:201], 1.0
	v_mul_f64 v[206:207], v[206:207], -v[204:205]
.LBB97_421:
	s_or_b64 exec, exec, s[2:3]
	ds_write2_b64 v215, v[204:205], v[206:207] offset1:1
.LBB97_422:
	s_or_b64 exec, exec, s[4:5]
	s_waitcnt lgkmcnt(0)
	s_barrier
	ds_read2_b64 v[200:203], v215 offset1:1
	v_cmp_lt_u32_e32 vcc, 46, v214
	s_and_saveexec_b64 s[2:3], vcc
	s_cbranch_execz .LBB97_424
; %bb.423:
	scratch_load_dwordx4 v[222:225], off, off ; 16-byte Folded Reload
	ds_read2_b64 v[204:207], v213 offset0:94 offset1:95
	s_waitcnt lgkmcnt(1)
	v_mul_f64 v[208:209], v[200:201], v[6:7]
	v_fmac_f64_e32 v[208:209], v[202:203], v[4:5]
	v_mul_f64 v[6:7], v[202:203], v[6:7]
	v_fma_f64 v[4:5], v[200:201], v[4:5], -v[6:7]
	s_waitcnt lgkmcnt(0)
	v_mul_f64 v[6:7], v[206:207], v[208:209]
	v_fma_f64 v[6:7], v[204:205], v[4:5], -v[6:7]
	v_mul_f64 v[204:205], v[204:205], v[208:209]
	v_fmac_f64_e32 v[204:205], v[206:207], v[4:5]
	v_add_f64 v[2:3], v[2:3], -v[204:205]
	ds_read2_b64 v[204:207], v213 offset0:96 offset1:97
	v_add_f64 v[0:1], v[0:1], -v[6:7]
	s_waitcnt lgkmcnt(0)
	v_mul_f64 v[6:7], v[206:207], v[208:209]
	v_fma_f64 v[6:7], v[204:205], v[4:5], -v[6:7]
	v_mul_f64 v[204:205], v[204:205], v[208:209]
	v_fmac_f64_e32 v[204:205], v[206:207], v[4:5]
	s_waitcnt vmcnt(0)
	v_add_f64 v[222:223], v[222:223], -v[6:7]
	v_add_f64 v[224:225], v[224:225], -v[204:205]
	v_mov_b64_e32 v[6:7], v[208:209]
	scratch_store_dwordx4 off, v[222:225], off ; 16-byte Folded Spill
.LBB97_424:
	s_or_b64 exec, exec, s[2:3]
	v_cmp_eq_u32_e32 vcc, 47, v214
	s_waitcnt lgkmcnt(0)
	s_barrier
	s_and_saveexec_b64 s[4:5], vcc
	s_cbranch_execz .LBB97_431
; %bb.425:
	scratch_load_dwordx4 v[204:207], off, off ; 16-byte Folded Reload
	ds_write2_b64 v215, v[0:1], v[2:3] offset1:1
	s_waitcnt vmcnt(0)
	ds_write2_b64 v213, v[204:205], v[206:207] offset0:96 offset1:97
	ds_read2_b64 v[204:207], v215 offset1:1
	s_waitcnt lgkmcnt(0)
	v_cmp_neq_f64_e32 vcc, 0, v[204:205]
	v_cmp_neq_f64_e64 s[2:3], 0, v[206:207]
	s_or_b64 s[2:3], vcc, s[2:3]
	s_and_b64 exec, exec, s[2:3]
	s_cbranch_execz .LBB97_431
; %bb.426:
	v_cmp_ngt_f64_e64 s[2:3], |v[204:205]|, |v[206:207]|
                                        ; implicit-def: $vgpr208_vgpr209
	s_and_saveexec_b64 s[10:11], s[2:3]
	s_xor_b64 s[2:3], exec, s[10:11]
                                        ; implicit-def: $vgpr210_vgpr211
	s_cbranch_execz .LBB97_428
; %bb.427:
	v_div_scale_f64 v[208:209], s[10:11], v[206:207], v[206:207], v[204:205]
	v_rcp_f64_e32 v[210:211], v[208:209]
	v_mov_b64_e32 v[184:185], v[218:219]
	v_div_scale_f64 v[216:217], vcc, v[204:205], v[206:207], v[204:205]
	v_fma_f64 v[218:219], -v[208:209], v[210:211], 1.0
	v_fmac_f64_e32 v[210:211], v[210:211], v[218:219]
	v_fma_f64 v[218:219], -v[208:209], v[210:211], 1.0
	v_fmac_f64_e32 v[210:211], v[210:211], v[218:219]
	v_mul_f64 v[218:219], v[216:217], v[210:211]
	v_fma_f64 v[208:209], -v[208:209], v[218:219], v[216:217]
	v_div_fmas_f64 v[208:209], v[208:209], v[210:211], v[218:219]
	v_div_fixup_f64 v[208:209], v[208:209], v[206:207], v[204:205]
	v_fmac_f64_e32 v[206:207], v[204:205], v[208:209]
	v_div_scale_f64 v[204:205], s[10:11], v[206:207], v[206:207], 1.0
	v_rcp_f64_e32 v[210:211], v[204:205]
	s_nop 0
	v_fma_f64 v[216:217], -v[204:205], v[210:211], 1.0
	v_fmac_f64_e32 v[210:211], v[210:211], v[216:217]
	v_fma_f64 v[216:217], -v[204:205], v[210:211], 1.0
	v_fmac_f64_e32 v[210:211], v[210:211], v[216:217]
	v_div_scale_f64 v[216:217], vcc, 1.0, v[206:207], 1.0
	v_mul_f64 v[218:219], v[216:217], v[210:211]
	v_fma_f64 v[204:205], -v[204:205], v[218:219], v[216:217]
	s_nop 1
	v_div_fmas_f64 v[204:205], v[204:205], v[210:211], v[218:219]
	v_div_fixup_f64 v[210:211], v[204:205], v[206:207], 1.0
	v_mov_b64_e32 v[218:219], v[184:185]
	v_mul_f64 v[208:209], v[208:209], v[210:211]
	v_xor_b32_e32 v211, 0x80000000, v211
                                        ; implicit-def: $vgpr204_vgpr205
.LBB97_428:
	s_andn2_saveexec_b64 s[2:3], s[2:3]
	s_cbranch_execz .LBB97_430
; %bb.429:
	v_div_scale_f64 v[208:209], s[10:11], v[204:205], v[204:205], v[206:207]
	v_rcp_f64_e32 v[210:211], v[208:209]
	v_mov_b64_e32 v[184:185], v[218:219]
	v_div_scale_f64 v[216:217], vcc, v[206:207], v[204:205], v[206:207]
	v_fma_f64 v[218:219], -v[208:209], v[210:211], 1.0
	v_fmac_f64_e32 v[210:211], v[210:211], v[218:219]
	v_fma_f64 v[218:219], -v[208:209], v[210:211], 1.0
	v_fmac_f64_e32 v[210:211], v[210:211], v[218:219]
	v_mul_f64 v[218:219], v[216:217], v[210:211]
	v_fma_f64 v[208:209], -v[208:209], v[218:219], v[216:217]
	v_div_fmas_f64 v[208:209], v[208:209], v[210:211], v[218:219]
	v_div_fixup_f64 v[210:211], v[208:209], v[204:205], v[206:207]
	v_fmac_f64_e32 v[204:205], v[206:207], v[210:211]
	v_div_scale_f64 v[206:207], s[10:11], v[204:205], v[204:205], 1.0
	v_rcp_f64_e32 v[208:209], v[206:207]
	s_nop 0
	v_fma_f64 v[216:217], -v[206:207], v[208:209], 1.0
	v_fmac_f64_e32 v[208:209], v[208:209], v[216:217]
	v_fma_f64 v[216:217], -v[206:207], v[208:209], 1.0
	v_fmac_f64_e32 v[208:209], v[208:209], v[216:217]
	v_div_scale_f64 v[216:217], vcc, 1.0, v[204:205], 1.0
	v_mul_f64 v[218:219], v[216:217], v[208:209]
	v_fma_f64 v[206:207], -v[206:207], v[218:219], v[216:217]
	s_nop 1
	v_div_fmas_f64 v[206:207], v[206:207], v[208:209], v[218:219]
	v_div_fixup_f64 v[208:209], v[206:207], v[204:205], 1.0
	v_mov_b64_e32 v[218:219], v[184:185]
	v_mul_f64 v[210:211], v[210:211], -v[208:209]
.LBB97_430:
	s_or_b64 exec, exec, s[2:3]
	ds_write2_b64 v215, v[208:209], v[210:211] offset1:1
.LBB97_431:
	s_or_b64 exec, exec, s[4:5]
	s_waitcnt lgkmcnt(0)
	s_barrier
	ds_read2_b64 v[204:207], v215 offset1:1
	v_cmp_lt_u32_e32 vcc, 47, v214
	s_and_saveexec_b64 s[2:3], vcc
	s_cbranch_execz .LBB97_433
; %bb.432:
	ds_read2_b64 v[208:211], v213 offset0:96 offset1:97
	s_waitcnt lgkmcnt(1)
	v_mul_f64 v[216:217], v[204:205], v[2:3]
	v_mul_f64 v[2:3], v[206:207], v[2:3]
	v_fmac_f64_e32 v[216:217], v[206:207], v[0:1]
	v_fma_f64 v[0:1], v[204:205], v[0:1], -v[2:3]
	s_waitcnt lgkmcnt(0)
	v_mul_f64 v[2:3], v[210:211], v[216:217]
	v_fma_f64 v[2:3], v[208:209], v[0:1], -v[2:3]
	v_mul_f64 v[208:209], v[208:209], v[216:217]
	v_fmac_f64_e32 v[208:209], v[210:211], v[0:1]
	scratch_load_dwordx4 v[210:213], off, off ; 16-byte Folded Reload
	s_waitcnt vmcnt(0)
	v_add_f64 v[210:211], v[210:211], -v[2:3]
	v_add_f64 v[212:213], v[212:213], -v[208:209]
	v_mov_b64_e32 v[2:3], v[216:217]
	scratch_store_dwordx4 off, v[210:213], off ; 16-byte Folded Spill
.LBB97_433:
	s_or_b64 exec, exec, s[2:3]
	v_cmp_eq_u32_e32 vcc, 48, v214
	s_waitcnt lgkmcnt(0)
	s_barrier
	s_and_saveexec_b64 s[4:5], vcc
	s_cbranch_execz .LBB97_440
; %bb.434:
	scratch_load_dwordx4 v[208:211], off, off ; 16-byte Folded Reload
	s_waitcnt vmcnt(0)
	v_cmp_neq_f64_e32 vcc, 0, v[208:209]
	v_cmp_neq_f64_e64 s[2:3], 0, v[210:211]
	s_or_b64 s[2:3], vcc, s[2:3]
	ds_write2_b64 v215, v[208:209], v[210:211] offset1:1
	s_and_b64 exec, exec, s[2:3]
	s_cbranch_execz .LBB97_440
; %bb.435:
	scratch_load_dwordx4 v[208:211], off, off ; 16-byte Folded Reload
	s_waitcnt vmcnt(0)
	v_cmp_ngt_f64_e64 s[2:3], |v[208:209]|, |v[210:211]|
                                        ; implicit-def: $vgpr208_vgpr209
	s_mov_b64 s[10:11], exec
	s_and_b64 s[12:13], s[10:11], s[2:3]
	s_xor_b64 s[2:3], s[12:13], s[10:11]
                                        ; implicit-def: $vgpr210_vgpr211
	scratch_store_dwordx4 off, v[244:247], off offset:1000 ; 16-byte Folded Spill
	s_mov_b64 exec, s[12:13]
	s_cbranch_execz .LBB97_437
; %bb.436:
	scratch_load_dwordx4 v[222:225], off, off ; 16-byte Folded Reload
	v_mov_b64_e32 v[184:185], v[248:249]
	v_mov_b64_e32 v[248:249], v[194:195]
	;; [unrolled: 1-line block ×4, first 2 shown]
	v_mov_b32_e32 v244, v214
	v_mov_b32_e32 v188, v215
	v_mov_b64_e32 v[214:215], v[38:39]
	v_mov_b64_e32 v[192:193], v[0:1]
	;; [unrolled: 1-line block ×73, first 2 shown]
	s_waitcnt vmcnt(0)
	v_div_scale_f64 v[208:209], s[10:11], v[224:225], v[224:225], v[222:223]
	v_rcp_f64_e32 v[210:211], v[208:209]
	v_div_scale_f64 v[216:217], vcc, v[222:223], v[224:225], v[222:223]
	v_mov_b64_e32 v[128:129], v[134:135]
	v_fma_f64 v[218:219], -v[208:209], v[210:211], 1.0
	v_fmac_f64_e32 v[210:211], v[210:211], v[218:219]
	v_fma_f64 v[218:219], -v[208:209], v[210:211], 1.0
	v_fmac_f64_e32 v[210:211], v[210:211], v[218:219]
	v_mul_f64 v[218:219], v[216:217], v[210:211]
	v_fma_f64 v[208:209], -v[208:209], v[218:219], v[216:217]
	v_div_fmas_f64 v[208:209], v[208:209], v[210:211], v[218:219]
	v_div_fixup_f64 v[208:209], v[208:209], v[224:225], v[222:223]
	v_fma_f64 v[210:211], v[222:223], v[208:209], v[224:225]
	v_div_scale_f64 v[216:217], s[10:11], v[210:211], v[210:211], 1.0
	v_mov_b64_e32 v[134:135], v[132:133]
	v_mov_b64_e32 v[132:133], v[138:139]
	v_mov_b64_e32 v[138:139], v[136:137]
	v_mov_b64_e32 v[136:137], v[142:143]
	v_mov_b64_e32 v[142:143], v[140:141]
	v_mov_b64_e32 v[140:141], v[146:147]
	v_mov_b64_e32 v[146:147], v[144:145]
	v_mov_b64_e32 v[144:145], v[150:151]
	v_mov_b64_e32 v[150:151], v[148:149]
	v_mov_b64_e32 v[148:149], v[154:155]
	v_mov_b64_e32 v[154:155], v[152:153]
	v_mov_b64_e32 v[152:153], v[158:159]
	v_mov_b64_e32 v[158:159], v[156:157]
	v_mov_b64_e32 v[156:157], v[234:235]
	v_mov_b64_e32 v[234:235], v[232:233]
	v_mov_b64_e32 v[232:233], v[162:163]
	v_mov_b64_e32 v[162:163], v[160:161]
	v_mov_b64_e32 v[160:161], v[166:167]
	v_mov_b64_e32 v[166:167], v[164:165]
	v_mov_b64_e32 v[164:165], v[170:171]
	v_mov_b64_e32 v[170:171], v[168:169]
	v_mov_b64_e32 v[168:169], v[174:175]
	v_mov_b64_e32 v[174:175], v[172:173]
	v_mov_b64_e32 v[172:173], v[178:179]
	v_mov_b64_e32 v[178:179], v[176:177]
	v_mov_b64_e32 v[176:177], v[182:183]
	v_mov_b64_e32 v[182:183], v[180:181]
	v_rcp_f64_e32 v[218:219], v[216:217]
	v_mov_b64_e32 v[180:181], v[182:183]
	v_mov_b64_e32 v[182:183], v[176:177]
	;; [unrolled: 1-line block ×46, first 2 shown]
	v_fma_f64 v[220:221], -v[216:217], v[218:219], 1.0
	v_mov_b64_e32 v[100:101], v[96:97]
	v_mov_b64_e32 v[98:99], v[94:95]
	v_fmac_f64_e32 v[218:219], v[218:219], v[220:221]
	v_mov_b64_e32 v[96:97], v[92:93]
	v_mov_b64_e32 v[94:95], v[90:91]
	v_fma_f64 v[220:221], -v[216:217], v[218:219], 1.0
	v_mov_b64_e32 v[92:93], v[88:89]
	v_mov_b64_e32 v[88:89], v[240:241]
	v_fmac_f64_e32 v[218:219], v[218:219], v[220:221]
	v_div_scale_f64 v[220:221], vcc, 1.0, v[210:211], 1.0
	v_mov_b64_e32 v[90:91], v[242:243]
	v_mov_b64_e32 v[242:243], v[86:87]
	v_mul_f64 v[222:223], v[220:221], v[218:219]
	v_mov_b64_e32 v[240:241], v[84:85]
	v_mov_b64_e32 v[86:87], v[82:83]
	v_fma_f64 v[216:217], -v[216:217], v[222:223], v[220:221]
	v_mov_b64_e32 v[84:85], v[80:81]
	v_mov_b64_e32 v[82:83], v[78:79]
	v_div_fmas_f64 v[216:217], v[216:217], v[218:219], v[222:223]
	v_mov_b64_e32 v[218:219], v[186:187]
	v_mov_b64_e32 v[186:187], v[228:229]
	;; [unrolled: 1-line block ×46, first 2 shown]
	v_mov_b32_e32 v214, v244
	v_mov_b64_e32 v[194:195], v[248:249]
	scratch_load_dwordx4 v[244:247], off, off offset:1000 ; 16-byte Folded Reload
	v_div_fixup_f64 v[210:211], v[216:217], v[210:211], 1.0
	v_mov_b64_e32 v[220:221], v[224:225]
	v_mov_b32_e32 v215, v188
	v_mov_b64_e32 v[248:249], v[184:185]
	v_mul_f64 v[208:209], v[208:209], v[210:211]
	v_xor_b32_e32 v211, 0x80000000, v211
.LBB97_437:
	s_andn2_saveexec_b64 s[2:3], s[2:3]
	s_cbranch_execz .LBB97_439
; %bb.438:
	scratch_load_dwordx4 v[222:225], off, off ; 16-byte Folded Reload
	v_mov_b64_e32 v[184:185], v[248:249]
	s_waitcnt vmcnt(1)
	v_mov_b64_e32 v[248:249], v[194:195]
	v_mov_b64_e32 v[246:247], v[192:193]
	;; [unrolled: 1-line block ×3, first 2 shown]
	v_mov_b32_e32 v244, v214
	v_mov_b32_e32 v188, v215
	v_mov_b64_e32 v[214:215], v[38:39]
	v_mov_b64_e32 v[192:193], v[0:1]
	;; [unrolled: 1-line block ×73, first 2 shown]
	s_waitcnt vmcnt(0)
	v_div_scale_f64 v[208:209], s[10:11], v[222:223], v[222:223], v[224:225]
	v_rcp_f64_e32 v[210:211], v[208:209]
	v_div_scale_f64 v[216:217], vcc, v[224:225], v[222:223], v[224:225]
	v_mov_b64_e32 v[128:129], v[134:135]
	v_fma_f64 v[218:219], -v[208:209], v[210:211], 1.0
	v_fmac_f64_e32 v[210:211], v[210:211], v[218:219]
	v_fma_f64 v[218:219], -v[208:209], v[210:211], 1.0
	v_fmac_f64_e32 v[210:211], v[210:211], v[218:219]
	v_mul_f64 v[218:219], v[216:217], v[210:211]
	v_fma_f64 v[208:209], -v[208:209], v[218:219], v[216:217]
	v_div_fmas_f64 v[208:209], v[208:209], v[210:211], v[218:219]
	v_div_fixup_f64 v[210:211], v[208:209], v[222:223], v[224:225]
	v_fma_f64 v[208:209], v[224:225], v[210:211], v[222:223]
	v_div_scale_f64 v[216:217], s[10:11], v[208:209], v[208:209], 1.0
	v_mov_b64_e32 v[134:135], v[132:133]
	v_mov_b64_e32 v[132:133], v[138:139]
	;; [unrolled: 1-line block ×27, first 2 shown]
	v_rcp_f64_e32 v[218:219], v[216:217]
	v_mov_b64_e32 v[180:181], v[182:183]
	v_mov_b64_e32 v[182:183], v[176:177]
	;; [unrolled: 1-line block ×46, first 2 shown]
	v_fma_f64 v[220:221], -v[216:217], v[218:219], 1.0
	v_mov_b64_e32 v[100:101], v[96:97]
	v_mov_b64_e32 v[98:99], v[94:95]
	v_fmac_f64_e32 v[218:219], v[218:219], v[220:221]
	v_mov_b64_e32 v[96:97], v[92:93]
	v_mov_b64_e32 v[94:95], v[90:91]
	v_fma_f64 v[220:221], -v[216:217], v[218:219], 1.0
	v_mov_b64_e32 v[92:93], v[88:89]
	v_mov_b64_e32 v[88:89], v[240:241]
	v_fmac_f64_e32 v[218:219], v[218:219], v[220:221]
	v_div_scale_f64 v[220:221], vcc, 1.0, v[208:209], 1.0
	v_mov_b64_e32 v[90:91], v[242:243]
	v_mov_b64_e32 v[242:243], v[86:87]
	v_mul_f64 v[222:223], v[220:221], v[218:219]
	v_mov_b64_e32 v[240:241], v[84:85]
	v_mov_b64_e32 v[86:87], v[82:83]
	v_fma_f64 v[216:217], -v[216:217], v[222:223], v[220:221]
	v_mov_b64_e32 v[84:85], v[80:81]
	v_mov_b64_e32 v[82:83], v[78:79]
	v_div_fmas_f64 v[216:217], v[216:217], v[218:219], v[222:223]
	v_mov_b64_e32 v[218:219], v[186:187]
	v_mov_b64_e32 v[186:187], v[228:229]
	;; [unrolled: 1-line block ×46, first 2 shown]
	v_mov_b32_e32 v214, v244
	v_mov_b64_e32 v[194:195], v[248:249]
	scratch_load_dwordx4 v[244:247], off, off offset:1000 ; 16-byte Folded Reload
	v_div_fixup_f64 v[208:209], v[216:217], v[208:209], 1.0
	v_mov_b64_e32 v[220:221], v[224:225]
	v_mov_b32_e32 v215, v188
	v_mov_b64_e32 v[248:249], v[184:185]
	v_mul_f64 v[210:211], v[210:211], -v[208:209]
.LBB97_439:
	s_or_b64 exec, exec, s[2:3]
	ds_write2_b64 v215, v[208:209], v[210:211] offset1:1
.LBB97_440:
	s_or_b64 exec, exec, s[4:5]
	s_waitcnt lgkmcnt(0)
	s_barrier
	ds_read2_b64 v[208:211], v215 offset1:1
	v_mov_b64_e32 v[224:225], v[194:195]
	v_mov_b64_e32 v[222:223], v[192:193]
	s_waitcnt lgkmcnt(0)
	s_barrier
	s_and_saveexec_b64 s[2:3], s[0:1]
	s_cbranch_execz .LBB97_443
; %bb.441:
	scratch_load_dwordx4 v[192:195], off, off offset:296 ; 16-byte Folded Reload
	v_mov_b32_e32 v213, s7
	s_waitcnt vmcnt(0)
	v_cmp_eq_f64_e32 vcc, 0, v[192:193]
	v_cmp_eq_f64_e64 s[0:1], 0, v[194:195]
	scratch_load_dwordx4 v[192:195], off, off offset:312 ; 16-byte Folded Reload
	s_and_b64 s[4:5], vcc, s[0:1]
	v_cndmask_b32_e64 v212, 0, 1, s[4:5]
	s_waitcnt vmcnt(0)
	v_cmp_neq_f64_e32 vcc, 0, v[192:193]
	v_cmp_neq_f64_e64 s[0:1], 0, v[194:195]
	scratch_load_dwordx4 v[192:195], off, off offset:328 ; 16-byte Folded Reload
	s_or_b64 s[0:1], vcc, s[0:1]
	s_or_b64 vcc, s[0:1], s[4:5]
	v_cndmask_b32_e32 v212, 2, v212, vcc
	s_waitcnt vmcnt(0)
	v_cmp_eq_f64_e32 vcc, 0, v[192:193]
	v_cmp_eq_f64_e64 s[0:1], 0, v[194:195]
	scratch_load_dwordx4 v[192:195], off, off offset:344 ; 16-byte Folded Reload
	s_and_b64 s[0:1], vcc, s[0:1]
	v_cmp_eq_u32_e32 vcc, 0, v212
	s_and_b64 s[0:1], s[0:1], vcc
	v_cndmask_b32_e64 v212, v212, 3, s[0:1]
	s_waitcnt vmcnt(0)
	v_cmp_eq_f64_e32 vcc, 0, v[192:193]
	v_cmp_eq_f64_e64 s[0:1], 0, v[194:195]
	scratch_load_dwordx4 v[192:195], off, off offset:360 ; 16-byte Folded Reload
	s_and_b64 s[0:1], vcc, s[0:1]
	v_cmp_eq_u32_e32 vcc, 0, v212
	s_and_b64 s[0:1], s[0:1], vcc
	v_cndmask_b32_e64 v212, v212, 4, s[0:1]
	;; [unrolled: 8-line block ×33, first 2 shown]
	v_mov_b32_e32 v212, s6
	v_lshl_add_u64 v[212:213], v[178:179], 2, v[212:213]
	global_load_dword v216, v[212:213], off
	s_waitcnt vmcnt(1)
	v_cmp_eq_f64_e32 vcc, 0, v[192:193]
	v_cmp_eq_f64_e64 s[0:1], 0, v[194:195]
	scratch_load_dwordx4 v[192:195], off, off offset:872 ; 16-byte Folded Reload
	s_and_b64 s[0:1], vcc, s[0:1]
	v_cmp_eq_u32_e32 vcc, 0, v215
	s_and_b64 s[0:1], s[0:1], vcc
	v_cndmask_b32_e64 v215, v215, 36, s[0:1]
	s_waitcnt vmcnt(0)
	v_cmp_eq_f64_e32 vcc, 0, v[192:193]
	v_cmp_eq_f64_e64 s[0:1], 0, v[194:195]
	scratch_load_dwordx4 v[192:195], off, off offset:888 ; 16-byte Folded Reload
	s_and_b64 s[0:1], vcc, s[0:1]
	v_cmp_eq_u32_e32 vcc, 0, v215
	s_and_b64 s[0:1], s[0:1], vcc
	v_cndmask_b32_e64 v215, v215, 37, s[0:1]
	s_waitcnt vmcnt(0)
	v_cmp_eq_f64_e32 vcc, 0, v[192:193]
	v_cmp_eq_f64_e64 s[0:1], 0, v[194:195]
	scratch_load_dwordx4 v[192:195], off, off offset:904 ; 16-byte Folded Reload
	s_and_b64 s[0:1], vcc, s[0:1]
	v_cmp_eq_u32_e32 vcc, 0, v215
	s_and_b64 s[0:1], s[0:1], vcc
	v_cndmask_b32_e64 v215, v215, 38, s[0:1]
	s_waitcnt vmcnt(0)
	v_cmp_eq_f64_e32 vcc, 0, v[192:193]
	v_cmp_eq_f64_e64 s[0:1], 0, v[194:195]
	scratch_load_dwordx4 v[192:195], off, off offset:920 ; 16-byte Folded Reload
	s_and_b64 s[0:1], vcc, s[0:1]
	v_cmp_eq_u32_e32 vcc, 0, v215
	s_and_b64 s[0:1], s[0:1], vcc
	v_cndmask_b32_e64 v215, v215, 39, s[0:1]
	s_waitcnt vmcnt(0)
	v_cmp_eq_f64_e32 vcc, 0, v[192:193]
	v_cmp_eq_f64_e64 s[0:1], 0, v[194:195]
	scratch_load_dwordx4 v[192:195], off, off offset:936 ; 16-byte Folded Reload
	s_and_b64 s[0:1], vcc, s[0:1]
	v_cmp_eq_u32_e32 vcc, 0, v215
	s_and_b64 s[0:1], s[0:1], vcc
	v_cndmask_b32_e64 v215, v215, 40, s[0:1]
	s_waitcnt vmcnt(0)
	v_cmp_eq_f64_e32 vcc, 0, v[192:193]
	v_cmp_eq_f64_e64 s[0:1], 0, v[194:195]
	scratch_load_dwordx4 v[192:195], off, off offset:952 ; 16-byte Folded Reload
	s_and_b64 s[0:1], vcc, s[0:1]
	v_cmp_eq_u32_e32 vcc, 0, v215
	s_and_b64 s[0:1], s[0:1], vcc
	v_cndmask_b32_e64 v215, v215, 41, s[0:1]
	s_waitcnt vmcnt(0)
	v_cmp_eq_f64_e32 vcc, 0, v[192:193]
	v_cmp_eq_f64_e64 s[0:1], 0, v[194:195]
	scratch_load_dwordx4 v[192:195], off, off offset:968 ; 16-byte Folded Reload
	s_and_b64 s[0:1], vcc, s[0:1]
	v_cmp_eq_u32_e32 vcc, 0, v215
	s_and_b64 s[0:1], s[0:1], vcc
	v_cndmask_b32_e64 v215, v215, 42, s[0:1]
	s_waitcnt vmcnt(0)
	v_cmp_eq_f64_e32 vcc, 0, v[192:193]
	v_cmp_eq_f64_e64 s[0:1], 0, v[194:195]
	scratch_load_dwordx4 v[192:195], off, off offset:984 ; 16-byte Folded Reload
	s_and_b64 s[0:1], vcc, s[0:1]
	v_cmp_eq_u32_e32 vcc, 0, v215
	s_and_b64 s[0:1], s[0:1], vcc
	v_cndmask_b32_e64 v215, v215, 43, s[0:1]
	s_waitcnt vmcnt(0)
	v_cmp_eq_f64_e32 vcc, 0, v[192:193]
	v_cmp_eq_f64_e64 s[0:1], 0, v[194:195]
	s_and_b64 s[0:1], vcc, s[0:1]
	v_cmp_eq_u32_e32 vcc, 0, v215
	s_and_b64 s[0:1], s[0:1], vcc
	v_cndmask_b32_e64 v215, v215, 44, s[0:1]
	v_cmp_eq_f64_e32 vcc, 0, v[252:253]
	v_cmp_eq_f64_e64 s[0:1], 0, v[254:255]
	s_and_b64 s[0:1], vcc, s[0:1]
	v_cmp_eq_u32_e32 vcc, 0, v215
	s_and_b64 s[0:1], s[0:1], vcc
	v_cndmask_b32_e64 v215, v215, 45, s[0:1]
	;; [unrolled: 6-line block ×6, first 2 shown]
	v_cmp_eq_u32_e32 vcc, 0, v216
	v_cmp_ne_u32_e64 s[0:1], 0, v196
	s_and_b64 s[0:1], vcc, s[0:1]
	s_and_b64 exec, exec, s[0:1]
	s_cbranch_execz .LBB97_443
; %bb.442:
	v_add_u32_e32 v196, s9, v196
	global_store_dword v[212:213], v196, off
.LBB97_443:
	s_or_b64 exec, exec, s[2:3]
	scratch_load_dwordx4 v[192:195], off, off ; 16-byte Folded Reload
	v_cmp_lt_u32_e32 vcc, 48, v214
	s_waitcnt vmcnt(0)
	v_mul_f64 v[196:197], v[210:211], v[194:195]
	v_mul_f64 v[198:199], v[208:209], v[194:195]
	v_fma_f64 v[196:197], v[208:209], v[192:193], -v[196:197]
	v_fmac_f64_e32 v[198:199], v[210:211], v[192:193]
	v_cndmask_b32_e32 v195, v195, v199, vcc
	v_cndmask_b32_e32 v194, v194, v198, vcc
	;; [unrolled: 1-line block ×4, first 2 shown]
	scratch_load_dwordx4 v[196:199], off, off offset:256 ; 16-byte Folded Reload
	s_waitcnt vmcnt(0)
	global_store_dwordx4 v[220:221], v[196:199], off
	scratch_load_dwordx4 v[196:199], off, off offset:240 ; 16-byte Folded Reload
	s_waitcnt vmcnt(0)
	global_store_dwordx4 v[248:249], v[196:199], off
	scratch_load_dwordx2 v[178:179], off, off offset:272 ; 8-byte Folded Reload
	s_nop 0
	scratch_load_dwordx4 v[196:199], off, off offset:224 ; 16-byte Folded Reload
	s_waitcnt vmcnt(0)
	global_store_dwordx4 v[178:179], v[196:199], off
	scratch_load_dwordx2 v[178:179], off, off offset:280 ; 8-byte Folded Reload
	s_nop 0
	;; [unrolled: 5-line block ×3, first 2 shown]
	scratch_load_dwordx4 v[196:199], off, off offset:192 ; 16-byte Folded Reload
	s_waitcnt vmcnt(0)
	global_store_dwordx4 v[178:179], v[196:199], off
	scratch_load_dwordx4 v[196:199], off, off offset:176 ; 16-byte Folded Reload
	s_waitcnt vmcnt(0)
	global_store_dwordx4 v[190:191], v[196:199], off
	;; [unrolled: 3-line block ×12, first 2 shown]
	global_store_dwordx4 v[168:169], v[244:247], off
	global_store_dwordx4 v[166:167], v[222:225], off
	;; [unrolled: 1-line block ×33, first 2 shown]
.LBB97_444:
	s_endpgm
	.section	.rodata,"a",@progbits
	.p2align	6, 0x0
	.amdhsa_kernel _ZN9rocsolver6v33100L23getf2_npvt_small_kernelILi49E19rocblas_complex_numIdEiiPS3_EEvT1_T3_lS5_lPT2_S5_S5_
		.amdhsa_group_segment_fixed_size 0
		.amdhsa_private_segment_fixed_size 1020
		.amdhsa_kernarg_size 312
		.amdhsa_user_sgpr_count 2
		.amdhsa_user_sgpr_dispatch_ptr 0
		.amdhsa_user_sgpr_queue_ptr 0
		.amdhsa_user_sgpr_kernarg_segment_ptr 1
		.amdhsa_user_sgpr_dispatch_id 0
		.amdhsa_user_sgpr_kernarg_preload_length 0
		.amdhsa_user_sgpr_kernarg_preload_offset 0
		.amdhsa_user_sgpr_private_segment_size 0
		.amdhsa_uses_dynamic_stack 0
		.amdhsa_enable_private_segment 1
		.amdhsa_system_sgpr_workgroup_id_x 1
		.amdhsa_system_sgpr_workgroup_id_y 1
		.amdhsa_system_sgpr_workgroup_id_z 0
		.amdhsa_system_sgpr_workgroup_info 0
		.amdhsa_system_vgpr_workitem_id 1
		.amdhsa_next_free_vgpr 256
		.amdhsa_next_free_sgpr 16
		.amdhsa_accum_offset 256
		.amdhsa_reserve_vcc 1
		.amdhsa_float_round_mode_32 0
		.amdhsa_float_round_mode_16_64 0
		.amdhsa_float_denorm_mode_32 3
		.amdhsa_float_denorm_mode_16_64 3
		.amdhsa_dx10_clamp 1
		.amdhsa_ieee_mode 1
		.amdhsa_fp16_overflow 0
		.amdhsa_tg_split 0
		.amdhsa_exception_fp_ieee_invalid_op 0
		.amdhsa_exception_fp_denorm_src 0
		.amdhsa_exception_fp_ieee_div_zero 0
		.amdhsa_exception_fp_ieee_overflow 0
		.amdhsa_exception_fp_ieee_underflow 0
		.amdhsa_exception_fp_ieee_inexact 0
		.amdhsa_exception_int_div_zero 0
	.end_amdhsa_kernel
	.section	.text._ZN9rocsolver6v33100L23getf2_npvt_small_kernelILi49E19rocblas_complex_numIdEiiPS3_EEvT1_T3_lS5_lPT2_S5_S5_,"axG",@progbits,_ZN9rocsolver6v33100L23getf2_npvt_small_kernelILi49E19rocblas_complex_numIdEiiPS3_EEvT1_T3_lS5_lPT2_S5_S5_,comdat
.Lfunc_end97:
	.size	_ZN9rocsolver6v33100L23getf2_npvt_small_kernelILi49E19rocblas_complex_numIdEiiPS3_EEvT1_T3_lS5_lPT2_S5_S5_, .Lfunc_end97-_ZN9rocsolver6v33100L23getf2_npvt_small_kernelILi49E19rocblas_complex_numIdEiiPS3_EEvT1_T3_lS5_lPT2_S5_S5_
                                        ; -- End function
	.set _ZN9rocsolver6v33100L23getf2_npvt_small_kernelILi49E19rocblas_complex_numIdEiiPS3_EEvT1_T3_lS5_lPT2_S5_S5_.num_vgpr, 256
	.set _ZN9rocsolver6v33100L23getf2_npvt_small_kernelILi49E19rocblas_complex_numIdEiiPS3_EEvT1_T3_lS5_lPT2_S5_S5_.num_agpr, 0
	.set _ZN9rocsolver6v33100L23getf2_npvt_small_kernelILi49E19rocblas_complex_numIdEiiPS3_EEvT1_T3_lS5_lPT2_S5_S5_.numbered_sgpr, 16
	.set _ZN9rocsolver6v33100L23getf2_npvt_small_kernelILi49E19rocblas_complex_numIdEiiPS3_EEvT1_T3_lS5_lPT2_S5_S5_.num_named_barrier, 0
	.set _ZN9rocsolver6v33100L23getf2_npvt_small_kernelILi49E19rocblas_complex_numIdEiiPS3_EEvT1_T3_lS5_lPT2_S5_S5_.private_seg_size, 1020
	.set _ZN9rocsolver6v33100L23getf2_npvt_small_kernelILi49E19rocblas_complex_numIdEiiPS3_EEvT1_T3_lS5_lPT2_S5_S5_.uses_vcc, 1
	.set _ZN9rocsolver6v33100L23getf2_npvt_small_kernelILi49E19rocblas_complex_numIdEiiPS3_EEvT1_T3_lS5_lPT2_S5_S5_.uses_flat_scratch, 0
	.set _ZN9rocsolver6v33100L23getf2_npvt_small_kernelILi49E19rocblas_complex_numIdEiiPS3_EEvT1_T3_lS5_lPT2_S5_S5_.has_dyn_sized_stack, 0
	.set _ZN9rocsolver6v33100L23getf2_npvt_small_kernelILi49E19rocblas_complex_numIdEiiPS3_EEvT1_T3_lS5_lPT2_S5_S5_.has_recursion, 0
	.set _ZN9rocsolver6v33100L23getf2_npvt_small_kernelILi49E19rocblas_complex_numIdEiiPS3_EEvT1_T3_lS5_lPT2_S5_S5_.has_indirect_call, 0
	.section	.AMDGPU.csdata,"",@progbits
; Kernel info:
; codeLenInByte = 114056
; TotalNumSgprs: 22
; NumVgprs: 256
; NumAgprs: 0
; TotalNumVgprs: 256
; ScratchSize: 1020
; MemoryBound: 1
; FloatMode: 240
; IeeeMode: 1
; LDSByteSize: 0 bytes/workgroup (compile time only)
; SGPRBlocks: 2
; VGPRBlocks: 31
; NumSGPRsForWavesPerEU: 22
; NumVGPRsForWavesPerEU: 256
; AccumOffset: 256
; Occupancy: 2
; WaveLimiterHint : 0
; COMPUTE_PGM_RSRC2:SCRATCH_EN: 1
; COMPUTE_PGM_RSRC2:USER_SGPR: 2
; COMPUTE_PGM_RSRC2:TRAP_HANDLER: 0
; COMPUTE_PGM_RSRC2:TGID_X_EN: 1
; COMPUTE_PGM_RSRC2:TGID_Y_EN: 1
; COMPUTE_PGM_RSRC2:TGID_Z_EN: 0
; COMPUTE_PGM_RSRC2:TIDIG_COMP_CNT: 1
; COMPUTE_PGM_RSRC3_GFX90A:ACCUM_OFFSET: 63
; COMPUTE_PGM_RSRC3_GFX90A:TG_SPLIT: 0
	.section	.text._ZN9rocsolver6v33100L18getf2_small_kernelILi50E19rocblas_complex_numIdEiiPS3_EEvT1_T3_lS5_lPS5_llPT2_S5_S5_S7_l,"axG",@progbits,_ZN9rocsolver6v33100L18getf2_small_kernelILi50E19rocblas_complex_numIdEiiPS3_EEvT1_T3_lS5_lPS5_llPT2_S5_S5_S7_l,comdat
	.globl	_ZN9rocsolver6v33100L18getf2_small_kernelILi50E19rocblas_complex_numIdEiiPS3_EEvT1_T3_lS5_lPS5_llPT2_S5_S5_S7_l ; -- Begin function _ZN9rocsolver6v33100L18getf2_small_kernelILi50E19rocblas_complex_numIdEiiPS3_EEvT1_T3_lS5_lPS5_llPT2_S5_S5_S7_l
	.p2align	8
	.type	_ZN9rocsolver6v33100L18getf2_small_kernelILi50E19rocblas_complex_numIdEiiPS3_EEvT1_T3_lS5_lPS5_llPT2_S5_S5_S7_l,@function
_ZN9rocsolver6v33100L18getf2_small_kernelILi50E19rocblas_complex_numIdEiiPS3_EEvT1_T3_lS5_lPS5_llPT2_S5_S5_S7_l: ; @_ZN9rocsolver6v33100L18getf2_small_kernelILi50E19rocblas_complex_numIdEiiPS3_EEvT1_T3_lS5_lPS5_llPT2_S5_S5_S7_l
; %bb.0:
	s_load_dword s2, s[0:1], 0x6c
	s_load_dwordx2 s[12:13], s[0:1], 0x48
	v_bfe_u32 v200, v0, 10, 10
	s_waitcnt lgkmcnt(0)
	s_lshr_b32 s2, s2, 16
	s_mul_i32 s3, s3, s2
	v_add_u32_e32 v206, s3, v200
	v_cmp_gt_i32_e32 vcc, s12, v206
	s_and_saveexec_b64 s[2:3], vcc
	s_cbranch_execnz .LBB98_1
; %bb.1052:
	s_getpc_b64 s[24:25]
.Lpost_getpc0:
	s_add_u32 s24, s24, (.LBB98_1051-.Lpost_getpc0)&4294967295
	s_addc_u32 s25, s25, (.LBB98_1051-.Lpost_getpc0)>>32
	s_setpc_b64 s[24:25]
.LBB98_1:
	s_load_dwordx4 s[4:7], s[0:1], 0x50
	v_ashrrev_i32_e32 v207, 31, v206
	v_mov_b64_e32 v[208:209], 0
	s_waitcnt lgkmcnt(0)
	s_cmp_eq_u64 s[4:5], 0
	s_cselect_b64 s[14:15], -1, 0
	s_and_b64 vcc, exec, s[14:15]
	s_cbranch_vccnz .LBB98_3
; %bb.2:
	v_mul_lo_u32 v1, s7, v206
	v_mul_lo_u32 v4, s6, v207
	v_mad_u64_u32 v[2:3], s[2:3], s6, v206, 0
	v_add3_u32 v3, v3, v4, v1
	v_lshl_add_u64 v[208:209], v[2:3], 2, s[4:5]
.LBB98_3:
	s_load_dwordx4 s[16:19], s[0:1], 0x8
	s_load_dwordx8 s[4:11], s[0:1], 0x20
	s_load_dword s2, s[0:1], 0x18
	s_load_dword s20, s[0:1], 0x0
	v_and_b32_e32 v215, 0x3ff, v0
	s_waitcnt lgkmcnt(0)
	v_mov_b32_e32 v2, s16
	v_mul_lo_u32 v1, s5, v206
	v_mul_lo_u32 v6, s4, v207
	v_mad_u64_u32 v[4:5], s[4:5], s4, v206, 0
	v_mov_b32_e32 v3, s17
	v_add3_u32 v5, v5, v6, v1
	v_lshl_add_u64 v[2:3], v[4:5], 4, v[2:3]
	s_add_i32 s12, s2, s2
	v_lshl_add_u64 v[204:205], s[18:19], 4, v[2:3]
	v_add_u32_e32 v2, s12, v215
	v_add_u32_e32 v4, s2, v2
	;; [unrolled: 1-line block ×3, first 2 shown]
	v_lshlrev_b32_e32 v210, 4, v215
	v_mov_b32_e32 v211, 0
	v_add_u32_e32 v8, s2, v6
	v_lshl_add_u64 v[0:1], v[204:205], 0, v[210:211]
	s_ashr_i32 s3, s2, 31
	v_ashrrev_i32_e32 v9, 31, v8
	v_add_u32_e32 v12, s2, v8
	v_lshl_add_u64 v[10:11], s[2:3], 4, v[0:1]
	global_load_dwordx4 v[132:135], v[0:1], off
	global_load_dwordx4 v[128:131], v[10:11], off
	v_lshl_add_u64 v[0:1], v[8:9], 4, v[204:205]
	v_ashrrev_i32_e32 v13, 31, v12
	v_add_u32_e32 v8, s2, v12
	v_lshl_add_u64 v[10:11], v[12:13], 4, v[204:205]
	v_add_u32_e32 v12, s2, v8
	v_add_u32_e32 v14, s2, v12
	;; [unrolled: 1-line block ×15, first 2 shown]
	v_ashrrev_i32_e32 v41, 31, v40
	v_lshl_add_u64 v[42:43], v[40:41], 4, v[204:205]
	v_add_u32_e32 v40, s2, v40
	v_ashrrev_i32_e32 v41, 31, v40
	v_lshl_add_u64 v[44:45], v[40:41], 4, v[204:205]
	v_add_u32_e32 v40, s2, v40
	v_ashrrev_i32_e32 v41, 31, v40
	v_lshl_add_u64 v[46:47], v[40:41], 4, v[204:205]
	v_add_u32_e32 v40, s2, v40
	v_ashrrev_i32_e32 v41, 31, v40
	v_lshl_add_u64 v[48:49], v[40:41], 4, v[204:205]
	v_add_u32_e32 v40, s2, v40
	v_ashrrev_i32_e32 v41, 31, v40
	v_lshl_add_u64 v[50:51], v[40:41], 4, v[204:205]
	v_add_u32_e32 v40, s2, v40
	v_ashrrev_i32_e32 v41, 31, v40
	v_lshl_add_u64 v[52:53], v[40:41], 4, v[204:205]
	v_add_u32_e32 v40, s2, v40
	v_ashrrev_i32_e32 v41, 31, v40
	v_lshl_add_u64 v[54:55], v[40:41], 4, v[204:205]
	v_add_u32_e32 v40, s2, v40
	v_ashrrev_i32_e32 v41, 31, v40
	v_lshl_add_u64 v[56:57], v[40:41], 4, v[204:205]
	v_add_u32_e32 v40, s2, v40
	v_ashrrev_i32_e32 v41, 31, v40
	v_lshl_add_u64 v[58:59], v[40:41], 4, v[204:205]
	v_add_u32_e32 v40, s2, v40
	v_ashrrev_i32_e32 v41, 31, v40
	v_lshl_add_u64 v[60:61], v[40:41], 4, v[204:205]
	v_add_u32_e32 v40, s2, v40
	v_ashrrev_i32_e32 v41, 31, v40
	v_lshl_add_u64 v[62:63], v[40:41], 4, v[204:205]
	v_add_u32_e32 v40, s2, v40
	v_ashrrev_i32_e32 v41, 31, v40
	v_lshl_add_u64 v[196:197], v[40:41], 4, v[204:205]
	v_add_u32_e32 v40, s2, v40
	v_ashrrev_i32_e32 v41, 31, v40
	v_lshl_add_u64 v[198:199], v[40:41], 4, v[204:205]
	v_add_u32_e32 v40, s2, v40
	v_ashrrev_i32_e32 v41, 31, v40
	v_lshl_add_u64 v[202:203], v[40:41], 4, v[204:205]
	v_add_u32_e32 v40, s2, v40
	v_ashrrev_i32_e32 v41, 31, v40
	v_lshl_add_u64 v[212:213], v[40:41], 4, v[204:205]
	v_add_u32_e32 v40, s2, v40
	v_ashrrev_i32_e32 v41, 31, v40
	v_lshl_add_u64 v[216:217], v[40:41], 4, v[204:205]
	v_add_u32_e32 v40, s2, v40
	v_ashrrev_i32_e32 v41, 31, v40
	v_lshl_add_u64 v[218:219], v[40:41], 4, v[204:205]
	v_add_u32_e32 v40, s2, v40
	v_ashrrev_i32_e32 v41, 31, v40
	v_lshl_add_u64 v[220:221], v[40:41], 4, v[204:205]
	v_add_u32_e32 v40, s2, v40
	v_ashrrev_i32_e32 v41, 31, v40
	v_lshl_add_u64 v[222:223], v[40:41], 4, v[204:205]
	v_add_u32_e32 v40, s2, v40
	v_ashrrev_i32_e32 v41, 31, v40
	v_lshl_add_u64 v[224:225], v[40:41], 4, v[204:205]
	v_add_u32_e32 v40, s2, v40
	v_ashrrev_i32_e32 v41, 31, v40
	v_lshl_add_u64 v[226:227], v[40:41], 4, v[204:205]
	v_add_u32_e32 v40, s2, v40
	v_ashrrev_i32_e32 v41, 31, v40
	v_lshl_add_u64 v[228:229], v[40:41], 4, v[204:205]
	v_add_u32_e32 v40, s2, v40
	v_ashrrev_i32_e32 v41, 31, v40
	v_lshl_add_u64 v[230:231], v[40:41], 4, v[204:205]
	v_add_u32_e32 v40, s2, v40
	v_ashrrev_i32_e32 v41, 31, v40
	v_lshl_add_u64 v[232:233], v[40:41], 4, v[204:205]
	v_add_u32_e32 v40, s2, v40
	v_ashrrev_i32_e32 v41, 31, v40
	v_lshl_add_u64 v[234:235], v[40:41], 4, v[204:205]
	v_add_u32_e32 v40, s2, v40
	v_ashrrev_i32_e32 v41, 31, v40
	v_lshl_add_u64 v[236:237], v[40:41], 4, v[204:205]
	v_add_u32_e32 v40, s2, v40
	v_ashrrev_i32_e32 v41, 31, v40
	v_ashrrev_i32_e32 v3, 31, v2
	;; [unrolled: 1-line block ×19, first 2 shown]
	v_lshl_add_u64 v[238:239], v[40:41], 4, v[204:205]
	v_add_u32_e32 v40, s2, v40
	v_lshl_add_u64 v[2:3], v[2:3], 4, v[204:205]
	v_lshl_add_u64 v[4:5], v[4:5], 4, v[204:205]
	;; [unrolled: 1-line block ×18, first 2 shown]
	v_ashrrev_i32_e32 v41, 31, v40
	v_lshl_add_u64 v[240:241], v[40:41], 4, v[204:205]
	global_load_dwordx4 v[192:195], v[2:3], off
	global_load_dwordx4 v[188:191], v[4:5], off
	;; [unrolled: 1-line block ×3, first 2 shown]
                                        ; kill: killed $vgpr6_vgpr7
                                        ; kill: killed $vgpr2_vgpr3
                                        ; kill: killed $vgpr4_vgpr5
	global_load_dwordx4 v[180:183], v[0:1], off
	global_load_dwordx4 v[176:179], v[10:11], off
                                        ; kill: killed $vgpr0_vgpr1
                                        ; kill: killed $vgpr10_vgpr11
	global_load_dwordx4 v[172:175], v[8:9], off
	global_load_dwordx4 v[168:171], v[12:13], off
	;; [unrolled: 1-line block ×26, first 2 shown]
	s_nop 0
	global_load_dwordx4 v[60:63], v[196:197], off
	global_load_dwordx4 v[56:59], v[198:199], off
	;; [unrolled: 1-line block ×17, first 2 shown]
	s_load_dwordx2 s[4:5], s[0:1], 0x40
	s_max_i32 s0, s20, 50
	v_mul_lo_u32 v213, s0, v200
	v_lshl_add_u32 v212, v213, 4, 0
	v_add_u32_e32 v200, v212, v210
	s_waitcnt vmcnt(49)
	ds_write2_b64 v200, v[132:133], v[134:135] offset1:1
	s_waitcnt lgkmcnt(0)
	s_barrier
	ds_read2_b64 v[200:203], v212 offset1:1
	s_cmp_lt_i32 s20, 2
	v_lshlrev_b32_e32 v216, 4, v213
	s_cbranch_scc1 .LBB98_6
; %bb.4:
	v_add3_u32 v210, v216, 0, 16
	s_mov_b32 s16, 1
	v_mov_b32_e32 v211, 0
.LBB98_5:                               ; =>This Inner Loop Header: Depth=1
	ds_read2_b64 v[218:221], v210 offset1:1
	s_waitcnt lgkmcnt(1)
	v_xor_b32_e32 v213, 0x80000000, v201
	v_xor_b32_e32 v214, 0x80000000, v203
	v_cmp_gt_f64_e32 vcc, 0, v[202:203]
	v_cmp_gt_f64_e64 s[0:1], 0, v[200:201]
	v_mov_b32_e32 v222, v200
	v_mov_b32_e32 v224, v202
	v_cndmask_b32_e64 v223, v201, v213, s[0:1]
	v_cndmask_b32_e32 v225, v203, v214, vcc
	s_waitcnt lgkmcnt(0)
	v_xor_b32_e32 v213, 0x80000000, v219
	v_xor_b32_e32 v214, 0x80000000, v221
	v_cmp_gt_f64_e32 vcc, 0, v[220:221]
	v_cmp_gt_f64_e64 s[0:1], 0, v[218:219]
	v_add_f64 v[222:223], v[222:223], v[224:225]
	v_mov_b32_e32 v224, v218
	v_mov_b32_e32 v226, v220
	v_cndmask_b32_e64 v225, v219, v213, s[0:1]
	v_cndmask_b32_e32 v227, v221, v214, vcc
	v_add_f64 v[224:225], v[224:225], v[226:227]
	v_mov_b32_e32 v217, s16
	s_add_i32 s16, s16, 1
	v_cmp_lt_f64_e32 vcc, v[222:223], v[224:225]
	v_add_u32_e32 v210, 16, v210
	s_cmp_eq_u32 s20, s16
	v_cndmask_b32_e32 v201, v201, v219, vcc
	v_cndmask_b32_e32 v200, v200, v218, vcc
	;; [unrolled: 1-line block ×5, first 2 shown]
	s_cbranch_scc0 .LBB98_5
.LBB98_6:
	s_waitcnt lgkmcnt(0)
	v_cmp_neq_f64_e32 vcc, 0, v[200:201]
	v_cmp_neq_f64_e64 s[0:1], 0, v[202:203]
	s_or_b64 s[16:17], vcc, s[0:1]
	v_mov_b32_e32 v214, 1
	v_mov_b32_e32 v217, 1
	s_and_saveexec_b64 s[0:1], s[16:17]
	s_cbranch_execz .LBB98_12
; %bb.7:
	v_cmp_ngt_f64_e64 s[16:17], |v[200:201]|, |v[202:203]|
	s_and_saveexec_b64 s[18:19], s[16:17]
	s_xor_b64 s[16:17], exec, s[18:19]
	s_cbranch_execz .LBB98_9
; %bb.8:
	v_div_scale_f64 v[218:219], s[18:19], v[202:203], v[202:203], v[200:201]
	v_rcp_f64_e32 v[220:221], v[218:219]
	v_div_scale_f64 v[222:223], vcc, v[200:201], v[202:203], v[200:201]
	v_fma_f64 v[224:225], -v[218:219], v[220:221], 1.0
	v_fmac_f64_e32 v[220:221], v[220:221], v[224:225]
	v_fma_f64 v[224:225], -v[218:219], v[220:221], 1.0
	v_fmac_f64_e32 v[220:221], v[220:221], v[224:225]
	v_mul_f64 v[224:225], v[222:223], v[220:221]
	v_fma_f64 v[218:219], -v[218:219], v[224:225], v[222:223]
	v_div_fmas_f64 v[218:219], v[218:219], v[220:221], v[224:225]
	v_div_fixup_f64 v[218:219], v[218:219], v[202:203], v[200:201]
	v_fmac_f64_e32 v[202:203], v[200:201], v[218:219]
	v_div_scale_f64 v[200:201], s[18:19], v[202:203], v[202:203], 1.0
	v_rcp_f64_e32 v[220:221], v[200:201]
	s_nop 0
	v_fma_f64 v[222:223], -v[200:201], v[220:221], 1.0
	v_fmac_f64_e32 v[220:221], v[220:221], v[222:223]
	v_fma_f64 v[222:223], -v[200:201], v[220:221], 1.0
	v_fmac_f64_e32 v[220:221], v[220:221], v[222:223]
	v_div_scale_f64 v[222:223], vcc, 1.0, v[202:203], 1.0
	v_mul_f64 v[224:225], v[222:223], v[220:221]
	v_fma_f64 v[200:201], -v[200:201], v[224:225], v[222:223]
	s_nop 1
	v_div_fmas_f64 v[200:201], v[200:201], v[220:221], v[224:225]
	v_div_fixup_f64 v[202:203], v[200:201], v[202:203], 1.0
	v_mul_f64 v[200:201], v[218:219], v[202:203]
	v_xor_b32_e32 v203, 0x80000000, v203
.LBB98_9:
	s_andn2_saveexec_b64 s[16:17], s[16:17]
	s_cbranch_execz .LBB98_11
; %bb.10:
	v_div_scale_f64 v[218:219], s[18:19], v[200:201], v[200:201], v[202:203]
	v_rcp_f64_e32 v[220:221], v[218:219]
	v_div_scale_f64 v[222:223], vcc, v[202:203], v[200:201], v[202:203]
	v_fma_f64 v[224:225], -v[218:219], v[220:221], 1.0
	v_fmac_f64_e32 v[220:221], v[220:221], v[224:225]
	v_fma_f64 v[224:225], -v[218:219], v[220:221], 1.0
	v_fmac_f64_e32 v[220:221], v[220:221], v[224:225]
	v_mul_f64 v[224:225], v[222:223], v[220:221]
	v_fma_f64 v[218:219], -v[218:219], v[224:225], v[222:223]
	v_div_fmas_f64 v[218:219], v[218:219], v[220:221], v[224:225]
	v_div_fixup_f64 v[218:219], v[218:219], v[200:201], v[202:203]
	v_fmac_f64_e32 v[200:201], v[202:203], v[218:219]
	v_div_scale_f64 v[202:203], s[18:19], v[200:201], v[200:201], 1.0
	v_rcp_f64_e32 v[220:221], v[202:203]
	s_nop 0
	v_fma_f64 v[222:223], -v[202:203], v[220:221], 1.0
	v_fmac_f64_e32 v[220:221], v[220:221], v[222:223]
	v_fma_f64 v[222:223], -v[202:203], v[220:221], 1.0
	v_fmac_f64_e32 v[220:221], v[220:221], v[222:223]
	v_div_scale_f64 v[222:223], vcc, 1.0, v[200:201], 1.0
	v_mul_f64 v[224:225], v[222:223], v[220:221]
	v_fma_f64 v[202:203], -v[202:203], v[224:225], v[222:223]
	s_nop 1
	v_div_fmas_f64 v[202:203], v[202:203], v[220:221], v[224:225]
	v_div_fixup_f64 v[200:201], v[202:203], v[200:201], 1.0
	v_mul_f64 v[202:203], v[218:219], -v[200:201]
.LBB98_11:
	s_or_b64 exec, exec, s[16:17]
	v_mov_b32_e32 v217, 0
	v_mov_b32_e32 v214, 2
.LBB98_12:
	s_or_b64 exec, exec, s[0:1]
	v_cmp_ne_u32_e32 vcc, v215, v211
	s_and_saveexec_b64 s[0:1], vcc
	s_xor_b64 s[0:1], exec, s[0:1]
	s_cbranch_execz .LBB98_18
; %bb.13:
	v_cmp_eq_u32_e32 vcc, 0, v215
	s_and_saveexec_b64 s[16:17], vcc
	s_cbranch_execz .LBB98_17
; %bb.14:
	v_cmp_ne_u32_e32 vcc, 0, v211
	s_xor_b64 s[18:19], s[14:15], -1
	s_and_b64 s[22:23], s[18:19], vcc
	s_and_saveexec_b64 s[18:19], s[22:23]
	s_cbranch_execz .LBB98_16
; %bb.15:
	v_ashrrev_i32_e32 v219, 31, v211
	v_mov_b32_e32 v218, v211
	v_lshl_add_u64 v[218:219], v[218:219], 2, v[208:209]
	global_load_dword v210, v[218:219], off
	global_load_dword v213, v[208:209], off
	s_waitcnt vmcnt(1)
	global_store_dword v[208:209], v210, off
	s_waitcnt vmcnt(1)
	global_store_dword v[218:219], v213, off
.LBB98_16:
	s_or_b64 exec, exec, s[18:19]
	v_mov_b32_e32 v215, v211
.LBB98_17:
	s_or_b64 exec, exec, s[16:17]
.LBB98_18:
	s_or_saveexec_b64 s[0:1], s[0:1]
	v_mov_b32_e32 v213, v215
	s_xor_b64 exec, exec, s[0:1]
	s_cbranch_execz .LBB98_20
; %bb.19:
	v_mov_b32_e32 v213, 0
	s_waitcnt vmcnt(48)
	ds_write2_b64 v212, v[128:129], v[130:131] offset0:2 offset1:3
	s_waitcnt vmcnt(47)
	ds_write2_b64 v212, v[192:193], v[194:195] offset0:4 offset1:5
	;; [unrolled: 2-line block ×49, first 2 shown]
.LBB98_20:
	s_or_b64 exec, exec, s[0:1]
	v_cmp_lt_i32_e32 vcc, 0, v213
	s_waitcnt lgkmcnt(0)
	s_barrier
	s_and_saveexec_b64 s[0:1], vcc
	s_cbranch_execz .LBB98_22
; %bb.21:
	ds_read2_b64 v[218:221], v212 offset0:2 offset1:3
	v_mul_f64 v[210:211], v[202:203], v[134:135]
	v_mul_f64 v[134:135], v[200:201], v[134:135]
	v_fmac_f64_e32 v[134:135], v[202:203], v[132:133]
	v_fma_f64 v[210:211], v[200:201], v[132:133], -v[210:211]
	ds_read2_b64 v[200:203], v212 offset0:4 offset1:5
	s_waitcnt lgkmcnt(1)
	v_mul_f64 v[132:133], v[220:221], v[134:135]
	v_fma_f64 v[132:133], v[218:219], v[210:211], -v[132:133]
	v_mul_f64 v[218:219], v[218:219], v[134:135]
	v_fmac_f64_e32 v[218:219], v[220:221], v[210:211]
	s_waitcnt vmcnt(48)
	v_add_f64 v[130:131], v[130:131], -v[218:219]
	ds_read2_b64 v[218:221], v212 offset0:6 offset1:7
	v_add_f64 v[128:129], v[128:129], -v[132:133]
	s_waitcnt lgkmcnt(1)
	v_mul_f64 v[132:133], v[202:203], v[134:135]
	v_fma_f64 v[132:133], v[200:201], v[210:211], -v[132:133]
	v_mul_f64 v[200:201], v[200:201], v[134:135]
	v_fmac_f64_e32 v[200:201], v[202:203], v[210:211]
	s_waitcnt vmcnt(47)
	v_add_f64 v[192:193], v[192:193], -v[132:133]
	v_add_f64 v[194:195], v[194:195], -v[200:201]
	ds_read2_b64 v[200:203], v212 offset0:8 offset1:9
	s_waitcnt lgkmcnt(1)
	v_mul_f64 v[132:133], v[220:221], v[134:135]
	v_fma_f64 v[132:133], v[218:219], v[210:211], -v[132:133]
	v_mul_f64 v[218:219], v[218:219], v[134:135]
	v_fmac_f64_e32 v[218:219], v[220:221], v[210:211]
	s_waitcnt vmcnt(46)
	v_add_f64 v[190:191], v[190:191], -v[218:219]
	ds_read2_b64 v[218:221], v212 offset0:10 offset1:11
	v_add_f64 v[188:189], v[188:189], -v[132:133]
	s_waitcnt lgkmcnt(1)
	v_mul_f64 v[132:133], v[202:203], v[134:135]
	v_fma_f64 v[132:133], v[200:201], v[210:211], -v[132:133]
	v_mul_f64 v[200:201], v[200:201], v[134:135]
	v_fmac_f64_e32 v[200:201], v[202:203], v[210:211]
	s_waitcnt vmcnt(45)
	v_add_f64 v[184:185], v[184:185], -v[132:133]
	v_add_f64 v[186:187], v[186:187], -v[200:201]
	;; [unrolled: 18-line block ×24, first 2 shown]
	s_waitcnt lgkmcnt(0)
	v_mul_f64 v[132:133], v[220:221], v[134:135]
	v_mul_f64 v[200:201], v[218:219], v[134:135]
	v_fma_f64 v[132:133], v[218:219], v[210:211], -v[132:133]
	v_fmac_f64_e32 v[200:201], v[220:221], v[210:211]
	s_waitcnt vmcnt(0)
	v_add_f64 v[196:197], v[196:197], -v[132:133]
	v_add_f64 v[198:199], v[198:199], -v[200:201]
	v_mov_b64_e32 v[132:133], v[210:211]
.LBB98_22:
	s_or_b64 exec, exec, s[0:1]
	v_lshl_add_u32 v200, v213, 4, v212
	s_barrier
	s_waitcnt vmcnt(48)
	ds_write2_b64 v200, v[128:129], v[130:131] offset1:1
	s_waitcnt lgkmcnt(0)
	s_barrier
	ds_read2_b64 v[200:203], v212 offset0:2 offset1:3
	s_cmp_lt_i32 s20, 3
	v_mov_b32_e32 v210, 1
	s_cbranch_scc1 .LBB98_25
; %bb.23:
	v_add3_u32 v211, v216, 0, 32
	s_mov_b32 s16, 2
	v_mov_b32_e32 v210, 1
.LBB98_24:                              ; =>This Inner Loop Header: Depth=1
	ds_read2_b64 v[218:221], v211 offset1:1
	s_waitcnt lgkmcnt(1)
	v_xor_b32_e32 v223, 0x80000000, v201
	v_xor_b32_e32 v225, 0x80000000, v203
	v_cmp_gt_f64_e32 vcc, 0, v[202:203]
	v_cmp_gt_f64_e64 s[0:1], 0, v[200:201]
	v_mov_b32_e32 v222, v200
	v_mov_b32_e32 v224, v202
	v_cndmask_b32_e64 v223, v201, v223, s[0:1]
	v_cndmask_b32_e32 v225, v203, v225, vcc
	v_add_f64 v[222:223], v[222:223], v[224:225]
	s_waitcnt lgkmcnt(0)
	v_xor_b32_e32 v225, 0x80000000, v219
	v_xor_b32_e32 v227, 0x80000000, v221
	v_cmp_gt_f64_e32 vcc, 0, v[220:221]
	v_cmp_gt_f64_e64 s[0:1], 0, v[218:219]
	v_mov_b32_e32 v224, v218
	v_mov_b32_e32 v226, v220
	v_cndmask_b32_e64 v225, v219, v225, s[0:1]
	v_cndmask_b32_e32 v227, v221, v227, vcc
	v_add_f64 v[224:225], v[224:225], v[226:227]
	v_mov_b32_e32 v228, s16
	s_add_i32 s16, s16, 1
	v_cmp_lt_f64_e32 vcc, v[222:223], v[224:225]
	v_add_u32_e32 v211, 16, v211
	s_cmp_lg_u32 s20, s16
	v_cndmask_b32_e32 v201, v201, v219, vcc
	v_cndmask_b32_e32 v200, v200, v218, vcc
	v_cndmask_b32_e32 v203, v203, v221, vcc
	v_cndmask_b32_e32 v202, v202, v220, vcc
	v_cndmask_b32_e32 v210, v210, v228, vcc
	s_cbranch_scc1 .LBB98_24
.LBB98_25:
	s_waitcnt lgkmcnt(0)
	v_cmp_neq_f64_e32 vcc, 0, v[200:201]
	v_cmp_neq_f64_e64 s[0:1], 0, v[202:203]
	s_or_b64 s[16:17], vcc, s[0:1]
	s_and_saveexec_b64 s[0:1], s[16:17]
	s_cbranch_execz .LBB98_31
; %bb.26:
	v_cmp_ngt_f64_e64 s[16:17], |v[200:201]|, |v[202:203]|
	s_and_saveexec_b64 s[18:19], s[16:17]
	s_xor_b64 s[16:17], exec, s[18:19]
	s_cbranch_execz .LBB98_28
; %bb.27:
	v_div_scale_f64 v[218:219], s[18:19], v[202:203], v[202:203], v[200:201]
	v_rcp_f64_e32 v[220:221], v[218:219]
	v_div_scale_f64 v[222:223], vcc, v[200:201], v[202:203], v[200:201]
	v_fma_f64 v[224:225], -v[218:219], v[220:221], 1.0
	v_fmac_f64_e32 v[220:221], v[220:221], v[224:225]
	v_fma_f64 v[224:225], -v[218:219], v[220:221], 1.0
	v_fmac_f64_e32 v[220:221], v[220:221], v[224:225]
	v_mul_f64 v[224:225], v[222:223], v[220:221]
	v_fma_f64 v[218:219], -v[218:219], v[224:225], v[222:223]
	v_div_fmas_f64 v[218:219], v[218:219], v[220:221], v[224:225]
	v_div_fixup_f64 v[218:219], v[218:219], v[202:203], v[200:201]
	v_fmac_f64_e32 v[202:203], v[200:201], v[218:219]
	v_div_scale_f64 v[200:201], s[18:19], v[202:203], v[202:203], 1.0
	v_rcp_f64_e32 v[220:221], v[200:201]
	s_nop 0
	v_fma_f64 v[222:223], -v[200:201], v[220:221], 1.0
	v_fmac_f64_e32 v[220:221], v[220:221], v[222:223]
	v_fma_f64 v[222:223], -v[200:201], v[220:221], 1.0
	v_fmac_f64_e32 v[220:221], v[220:221], v[222:223]
	v_div_scale_f64 v[222:223], vcc, 1.0, v[202:203], 1.0
	v_mul_f64 v[224:225], v[222:223], v[220:221]
	v_fma_f64 v[200:201], -v[200:201], v[224:225], v[222:223]
	s_nop 1
	v_div_fmas_f64 v[200:201], v[200:201], v[220:221], v[224:225]
	v_div_fixup_f64 v[202:203], v[200:201], v[202:203], 1.0
	v_mul_f64 v[200:201], v[218:219], v[202:203]
	v_xor_b32_e32 v203, 0x80000000, v203
.LBB98_28:
	s_andn2_saveexec_b64 s[16:17], s[16:17]
	s_cbranch_execz .LBB98_30
; %bb.29:
	v_div_scale_f64 v[218:219], s[18:19], v[200:201], v[200:201], v[202:203]
	v_rcp_f64_e32 v[220:221], v[218:219]
	v_div_scale_f64 v[222:223], vcc, v[202:203], v[200:201], v[202:203]
	v_fma_f64 v[224:225], -v[218:219], v[220:221], 1.0
	v_fmac_f64_e32 v[220:221], v[220:221], v[224:225]
	v_fma_f64 v[224:225], -v[218:219], v[220:221], 1.0
	v_fmac_f64_e32 v[220:221], v[220:221], v[224:225]
	v_mul_f64 v[224:225], v[222:223], v[220:221]
	v_fma_f64 v[218:219], -v[218:219], v[224:225], v[222:223]
	v_div_fmas_f64 v[218:219], v[218:219], v[220:221], v[224:225]
	v_div_fixup_f64 v[218:219], v[218:219], v[200:201], v[202:203]
	v_fmac_f64_e32 v[200:201], v[202:203], v[218:219]
	v_div_scale_f64 v[202:203], s[18:19], v[200:201], v[200:201], 1.0
	v_rcp_f64_e32 v[220:221], v[202:203]
	s_nop 0
	v_fma_f64 v[222:223], -v[202:203], v[220:221], 1.0
	v_fmac_f64_e32 v[220:221], v[220:221], v[222:223]
	v_fma_f64 v[222:223], -v[202:203], v[220:221], 1.0
	v_fmac_f64_e32 v[220:221], v[220:221], v[222:223]
	v_div_scale_f64 v[222:223], vcc, 1.0, v[200:201], 1.0
	v_mul_f64 v[224:225], v[222:223], v[220:221]
	v_fma_f64 v[202:203], -v[202:203], v[224:225], v[222:223]
	s_nop 1
	v_div_fmas_f64 v[202:203], v[202:203], v[220:221], v[224:225]
	v_div_fixup_f64 v[200:201], v[202:203], v[200:201], 1.0
	v_mul_f64 v[202:203], v[218:219], -v[200:201]
.LBB98_30:
	s_or_b64 exec, exec, s[16:17]
	v_mov_b32_e32 v214, v217
.LBB98_31:
	s_or_b64 exec, exec, s[0:1]
	v_cmp_ne_u32_e32 vcc, v213, v210
	s_and_saveexec_b64 s[0:1], vcc
	s_xor_b64 s[0:1], exec, s[0:1]
	s_cbranch_execz .LBB98_37
; %bb.32:
	v_cmp_eq_u32_e32 vcc, 1, v213
	s_and_saveexec_b64 s[16:17], vcc
	s_cbranch_execz .LBB98_36
; %bb.33:
	v_cmp_ne_u32_e32 vcc, 1, v210
	s_xor_b64 s[18:19], s[14:15], -1
	s_and_b64 s[22:23], s[18:19], vcc
	s_and_saveexec_b64 s[18:19], s[22:23]
	s_cbranch_execz .LBB98_35
; %bb.34:
	v_ashrrev_i32_e32 v211, 31, v210
	v_lshl_add_u64 v[218:219], v[210:211], 2, v[208:209]
	global_load_dword v211, v[218:219], off
	global_load_dword v213, v[208:209], off offset:4
	s_waitcnt vmcnt(1)
	global_store_dword v[208:209], v211, off offset:4
	s_waitcnt vmcnt(1)
	global_store_dword v[218:219], v213, off
.LBB98_35:
	s_or_b64 exec, exec, s[18:19]
	v_mov_b32_e32 v213, v210
	v_mov_b32_e32 v215, v210
.LBB98_36:
	s_or_b64 exec, exec, s[16:17]
.LBB98_37:
	s_andn2_saveexec_b64 s[0:1], s[0:1]
	s_cbranch_execz .LBB98_39
; %bb.38:
	v_mov_b32_e32 v213, 1
	s_waitcnt vmcnt(47)
	ds_write2_b64 v212, v[192:193], v[194:195] offset0:4 offset1:5
	s_waitcnt vmcnt(46)
	ds_write2_b64 v212, v[188:189], v[190:191] offset0:6 offset1:7
	;; [unrolled: 2-line block ×48, first 2 shown]
.LBB98_39:
	s_or_b64 exec, exec, s[0:1]
	v_cmp_lt_i32_e32 vcc, 1, v213
	s_waitcnt lgkmcnt(0)
	s_barrier
	s_and_saveexec_b64 s[0:1], vcc
	s_cbranch_execz .LBB98_41
; %bb.40:
	ds_read2_b64 v[218:221], v212 offset0:4 offset1:5
	v_mul_f64 v[210:211], v[202:203], v[130:131]
	v_mul_f64 v[130:131], v[200:201], v[130:131]
	v_fma_f64 v[210:211], v[200:201], v[128:129], -v[210:211]
	v_fmac_f64_e32 v[130:131], v[202:203], v[128:129]
	ds_read2_b64 v[200:203], v212 offset0:6 offset1:7
	s_waitcnt lgkmcnt(1)
	v_mul_f64 v[128:129], v[220:221], v[130:131]
	v_fma_f64 v[128:129], v[218:219], v[210:211], -v[128:129]
	v_mul_f64 v[218:219], v[218:219], v[130:131]
	v_fmac_f64_e32 v[218:219], v[220:221], v[210:211]
	s_waitcnt vmcnt(47)
	v_add_f64 v[192:193], v[192:193], -v[128:129]
	s_waitcnt lgkmcnt(0)
	v_mul_f64 v[128:129], v[202:203], v[130:131]
	v_add_f64 v[194:195], v[194:195], -v[218:219]
	v_fma_f64 v[128:129], v[200:201], v[210:211], -v[128:129]
	v_mul_f64 v[200:201], v[200:201], v[130:131]
	ds_read2_b64 v[218:221], v212 offset0:8 offset1:9
	v_fmac_f64_e32 v[200:201], v[202:203], v[210:211]
	s_waitcnt vmcnt(46)
	v_add_f64 v[190:191], v[190:191], -v[200:201]
	ds_read2_b64 v[200:203], v212 offset0:10 offset1:11
	v_add_f64 v[188:189], v[188:189], -v[128:129]
	s_waitcnt lgkmcnt(1)
	v_mul_f64 v[128:129], v[220:221], v[130:131]
	v_fma_f64 v[128:129], v[218:219], v[210:211], -v[128:129]
	v_mul_f64 v[218:219], v[218:219], v[130:131]
	v_fmac_f64_e32 v[218:219], v[220:221], v[210:211]
	s_waitcnt vmcnt(45)
	v_add_f64 v[184:185], v[184:185], -v[128:129]
	s_waitcnt lgkmcnt(0)
	v_mul_f64 v[128:129], v[202:203], v[130:131]
	v_add_f64 v[186:187], v[186:187], -v[218:219]
	v_fma_f64 v[128:129], v[200:201], v[210:211], -v[128:129]
	v_mul_f64 v[200:201], v[200:201], v[130:131]
	ds_read2_b64 v[218:221], v212 offset0:12 offset1:13
	v_fmac_f64_e32 v[200:201], v[202:203], v[210:211]
	s_waitcnt vmcnt(44)
	v_add_f64 v[182:183], v[182:183], -v[200:201]
	ds_read2_b64 v[200:203], v212 offset0:14 offset1:15
	v_add_f64 v[180:181], v[180:181], -v[128:129]
	;; [unrolled: 18-line block ×23, first 2 shown]
	s_waitcnt lgkmcnt(1)
	v_mul_f64 v[128:129], v[220:221], v[130:131]
	v_fma_f64 v[128:129], v[218:219], v[210:211], -v[128:129]
	s_waitcnt vmcnt(1)
	v_add_f64 v[0:1], v[0:1], -v[128:129]
	s_waitcnt lgkmcnt(0)
	v_mul_f64 v[128:129], v[202:203], v[130:131]
	v_mul_f64 v[218:219], v[218:219], v[130:131]
	v_fma_f64 v[128:129], v[200:201], v[210:211], -v[128:129]
	v_mul_f64 v[200:201], v[200:201], v[130:131]
	v_fmac_f64_e32 v[218:219], v[220:221], v[210:211]
	v_fmac_f64_e32 v[200:201], v[202:203], v[210:211]
	v_add_f64 v[2:3], v[2:3], -v[218:219]
	s_waitcnt vmcnt(0)
	v_add_f64 v[196:197], v[196:197], -v[128:129]
	v_add_f64 v[198:199], v[198:199], -v[200:201]
	v_mov_b64_e32 v[128:129], v[210:211]
.LBB98_41:
	s_or_b64 exec, exec, s[0:1]
	v_lshl_add_u32 v200, v213, 4, v212
	s_barrier
	s_waitcnt vmcnt(47)
	ds_write2_b64 v200, v[192:193], v[194:195] offset1:1
	s_waitcnt lgkmcnt(0)
	s_barrier
	ds_read2_b64 v[200:203], v212 offset0:4 offset1:5
	s_cmp_lt_i32 s20, 4
	v_mov_b32_e32 v210, 2
	s_cbranch_scc1 .LBB98_44
; %bb.42:
	v_add3_u32 v211, v216, 0, 48
	s_mov_b32 s16, 3
	v_mov_b32_e32 v210, 2
.LBB98_43:                              ; =>This Inner Loop Header: Depth=1
	ds_read2_b64 v[218:221], v211 offset1:1
	s_waitcnt lgkmcnt(1)
	v_xor_b32_e32 v217, 0x80000000, v201
	v_xor_b32_e32 v225, 0x80000000, v203
	v_cmp_gt_f64_e32 vcc, 0, v[202:203]
	v_cmp_gt_f64_e64 s[0:1], 0, v[200:201]
	v_mov_b32_e32 v222, v200
	v_mov_b32_e32 v224, v202
	v_cndmask_b32_e64 v223, v201, v217, s[0:1]
	v_cndmask_b32_e32 v225, v203, v225, vcc
	s_waitcnt lgkmcnt(0)
	v_xor_b32_e32 v217, 0x80000000, v219
	v_xor_b32_e32 v227, 0x80000000, v221
	v_cmp_gt_f64_e32 vcc, 0, v[220:221]
	v_cmp_gt_f64_e64 s[0:1], 0, v[218:219]
	v_add_f64 v[222:223], v[222:223], v[224:225]
	v_mov_b32_e32 v224, v218
	v_mov_b32_e32 v226, v220
	v_cndmask_b32_e64 v225, v219, v217, s[0:1]
	v_cndmask_b32_e32 v227, v221, v227, vcc
	v_add_f64 v[224:225], v[224:225], v[226:227]
	v_mov_b32_e32 v228, s16
	s_add_i32 s16, s16, 1
	v_cmp_lt_f64_e32 vcc, v[222:223], v[224:225]
	v_add_u32_e32 v211, 16, v211
	s_cmp_lg_u32 s20, s16
	v_cndmask_b32_e32 v201, v201, v219, vcc
	v_cndmask_b32_e32 v200, v200, v218, vcc
	v_cndmask_b32_e32 v203, v203, v221, vcc
	v_cndmask_b32_e32 v202, v202, v220, vcc
	v_cndmask_b32_e32 v210, v210, v228, vcc
	s_cbranch_scc1 .LBB98_43
.LBB98_44:
	s_waitcnt lgkmcnt(0)
	v_cmp_eq_f64_e32 vcc, 0, v[200:201]
	v_cmp_eq_f64_e64 s[0:1], 0, v[202:203]
	s_and_b64 s[0:1], vcc, s[0:1]
	s_and_saveexec_b64 s[16:17], s[0:1]
	s_xor_b64 s[0:1], exec, s[16:17]
; %bb.45:
	v_cmp_ne_u32_e32 vcc, 0, v214
	s_nop 1
	v_cndmask_b32_e32 v214, 3, v214, vcc
; %bb.46:
	s_andn2_saveexec_b64 s[0:1], s[0:1]
	s_cbranch_execz .LBB98_52
; %bb.47:
	v_cmp_ngt_f64_e64 s[16:17], |v[200:201]|, |v[202:203]|
	s_and_saveexec_b64 s[18:19], s[16:17]
	s_xor_b64 s[16:17], exec, s[18:19]
	s_cbranch_execz .LBB98_49
; %bb.48:
	v_div_scale_f64 v[218:219], s[18:19], v[202:203], v[202:203], v[200:201]
	v_rcp_f64_e32 v[220:221], v[218:219]
	v_div_scale_f64 v[222:223], vcc, v[200:201], v[202:203], v[200:201]
	v_fma_f64 v[224:225], -v[218:219], v[220:221], 1.0
	v_fmac_f64_e32 v[220:221], v[220:221], v[224:225]
	v_fma_f64 v[224:225], -v[218:219], v[220:221], 1.0
	v_fmac_f64_e32 v[220:221], v[220:221], v[224:225]
	v_mul_f64 v[224:225], v[222:223], v[220:221]
	v_fma_f64 v[218:219], -v[218:219], v[224:225], v[222:223]
	v_div_fmas_f64 v[218:219], v[218:219], v[220:221], v[224:225]
	v_div_fixup_f64 v[218:219], v[218:219], v[202:203], v[200:201]
	v_fmac_f64_e32 v[202:203], v[200:201], v[218:219]
	v_div_scale_f64 v[200:201], s[18:19], v[202:203], v[202:203], 1.0
	v_rcp_f64_e32 v[220:221], v[200:201]
	s_nop 0
	v_fma_f64 v[222:223], -v[200:201], v[220:221], 1.0
	v_fmac_f64_e32 v[220:221], v[220:221], v[222:223]
	v_fma_f64 v[222:223], -v[200:201], v[220:221], 1.0
	v_fmac_f64_e32 v[220:221], v[220:221], v[222:223]
	v_div_scale_f64 v[222:223], vcc, 1.0, v[202:203], 1.0
	v_mul_f64 v[224:225], v[222:223], v[220:221]
	v_fma_f64 v[200:201], -v[200:201], v[224:225], v[222:223]
	s_nop 1
	v_div_fmas_f64 v[200:201], v[200:201], v[220:221], v[224:225]
	v_div_fixup_f64 v[202:203], v[200:201], v[202:203], 1.0
	v_mul_f64 v[200:201], v[218:219], v[202:203]
	v_xor_b32_e32 v203, 0x80000000, v203
.LBB98_49:
	s_andn2_saveexec_b64 s[16:17], s[16:17]
	s_cbranch_execz .LBB98_51
; %bb.50:
	v_div_scale_f64 v[218:219], s[18:19], v[200:201], v[200:201], v[202:203]
	v_rcp_f64_e32 v[220:221], v[218:219]
	v_div_scale_f64 v[222:223], vcc, v[202:203], v[200:201], v[202:203]
	v_fma_f64 v[224:225], -v[218:219], v[220:221], 1.0
	v_fmac_f64_e32 v[220:221], v[220:221], v[224:225]
	v_fma_f64 v[224:225], -v[218:219], v[220:221], 1.0
	v_fmac_f64_e32 v[220:221], v[220:221], v[224:225]
	v_mul_f64 v[224:225], v[222:223], v[220:221]
	v_fma_f64 v[218:219], -v[218:219], v[224:225], v[222:223]
	v_div_fmas_f64 v[218:219], v[218:219], v[220:221], v[224:225]
	v_div_fixup_f64 v[218:219], v[218:219], v[200:201], v[202:203]
	v_fmac_f64_e32 v[200:201], v[202:203], v[218:219]
	v_div_scale_f64 v[202:203], s[18:19], v[200:201], v[200:201], 1.0
	v_rcp_f64_e32 v[220:221], v[202:203]
	s_nop 0
	v_fma_f64 v[222:223], -v[202:203], v[220:221], 1.0
	v_fmac_f64_e32 v[220:221], v[220:221], v[222:223]
	v_fma_f64 v[222:223], -v[202:203], v[220:221], 1.0
	v_fmac_f64_e32 v[220:221], v[220:221], v[222:223]
	v_div_scale_f64 v[222:223], vcc, 1.0, v[200:201], 1.0
	v_mul_f64 v[224:225], v[222:223], v[220:221]
	v_fma_f64 v[202:203], -v[202:203], v[224:225], v[222:223]
	s_nop 1
	v_div_fmas_f64 v[202:203], v[202:203], v[220:221], v[224:225]
	v_div_fixup_f64 v[200:201], v[202:203], v[200:201], 1.0
	v_mul_f64 v[202:203], v[218:219], -v[200:201]
.LBB98_51:
	s_or_b64 exec, exec, s[16:17]
.LBB98_52:
	s_or_b64 exec, exec, s[0:1]
	v_cmp_ne_u32_e32 vcc, v213, v210
	s_and_saveexec_b64 s[0:1], vcc
	s_xor_b64 s[0:1], exec, s[0:1]
	s_cbranch_execz .LBB98_58
; %bb.53:
	v_cmp_eq_u32_e32 vcc, 2, v213
	s_and_saveexec_b64 s[16:17], vcc
	s_cbranch_execz .LBB98_57
; %bb.54:
	v_cmp_ne_u32_e32 vcc, 2, v210
	s_xor_b64 s[18:19], s[14:15], -1
	s_and_b64 s[22:23], s[18:19], vcc
	s_and_saveexec_b64 s[18:19], s[22:23]
	s_cbranch_execz .LBB98_56
; %bb.55:
	v_ashrrev_i32_e32 v211, 31, v210
	v_lshl_add_u64 v[218:219], v[210:211], 2, v[208:209]
	global_load_dword v211, v[218:219], off
	global_load_dword v213, v[208:209], off offset:8
	s_waitcnt vmcnt(1)
	global_store_dword v[208:209], v211, off offset:8
	s_waitcnt vmcnt(1)
	global_store_dword v[218:219], v213, off
.LBB98_56:
	s_or_b64 exec, exec, s[18:19]
	v_mov_b32_e32 v213, v210
	v_mov_b32_e32 v215, v210
.LBB98_57:
	s_or_b64 exec, exec, s[16:17]
.LBB98_58:
	s_andn2_saveexec_b64 s[0:1], s[0:1]
	s_cbranch_execz .LBB98_60
; %bb.59:
	v_mov_b32_e32 v213, 2
	s_waitcnt vmcnt(46)
	ds_write2_b64 v212, v[188:189], v[190:191] offset0:6 offset1:7
	s_waitcnt vmcnt(45)
	ds_write2_b64 v212, v[184:185], v[186:187] offset0:8 offset1:9
	;; [unrolled: 2-line block ×47, first 2 shown]
.LBB98_60:
	s_or_b64 exec, exec, s[0:1]
	v_cmp_lt_i32_e32 vcc, 2, v213
	s_waitcnt lgkmcnt(0)
	s_barrier
	s_and_saveexec_b64 s[0:1], vcc
	s_cbranch_execz .LBB98_62
; %bb.61:
	ds_read2_b64 v[218:221], v212 offset0:6 offset1:7
	v_mul_f64 v[210:211], v[202:203], v[194:195]
	v_mul_f64 v[194:195], v[200:201], v[194:195]
	v_fmac_f64_e32 v[194:195], v[202:203], v[192:193]
	v_fma_f64 v[210:211], v[200:201], v[192:193], -v[210:211]
	ds_read2_b64 v[200:203], v212 offset0:8 offset1:9
	s_waitcnt lgkmcnt(1)
	v_mul_f64 v[192:193], v[220:221], v[194:195]
	v_fma_f64 v[192:193], v[218:219], v[210:211], -v[192:193]
	v_mul_f64 v[218:219], v[218:219], v[194:195]
	v_fmac_f64_e32 v[218:219], v[220:221], v[210:211]
	s_waitcnt vmcnt(46)
	v_add_f64 v[190:191], v[190:191], -v[218:219]
	ds_read2_b64 v[218:221], v212 offset0:10 offset1:11
	v_add_f64 v[188:189], v[188:189], -v[192:193]
	s_waitcnt lgkmcnt(1)
	v_mul_f64 v[192:193], v[202:203], v[194:195]
	v_fma_f64 v[192:193], v[200:201], v[210:211], -v[192:193]
	v_mul_f64 v[200:201], v[200:201], v[194:195]
	v_fmac_f64_e32 v[200:201], v[202:203], v[210:211]
	s_waitcnt vmcnt(45)
	v_add_f64 v[184:185], v[184:185], -v[192:193]
	v_add_f64 v[186:187], v[186:187], -v[200:201]
	ds_read2_b64 v[200:203], v212 offset0:12 offset1:13
	s_waitcnt lgkmcnt(1)
	v_mul_f64 v[192:193], v[220:221], v[194:195]
	v_fma_f64 v[192:193], v[218:219], v[210:211], -v[192:193]
	v_mul_f64 v[218:219], v[218:219], v[194:195]
	v_fmac_f64_e32 v[218:219], v[220:221], v[210:211]
	s_waitcnt vmcnt(44)
	v_add_f64 v[182:183], v[182:183], -v[218:219]
	ds_read2_b64 v[218:221], v212 offset0:14 offset1:15
	v_add_f64 v[180:181], v[180:181], -v[192:193]
	s_waitcnt lgkmcnt(1)
	v_mul_f64 v[192:193], v[202:203], v[194:195]
	v_fma_f64 v[192:193], v[200:201], v[210:211], -v[192:193]
	v_mul_f64 v[200:201], v[200:201], v[194:195]
	v_fmac_f64_e32 v[200:201], v[202:203], v[210:211]
	s_waitcnt vmcnt(43)
	v_add_f64 v[176:177], v[176:177], -v[192:193]
	v_add_f64 v[178:179], v[178:179], -v[200:201]
	;; [unrolled: 18-line block ×23, first 2 shown]
	s_waitcnt lgkmcnt(0)
	v_mul_f64 v[192:193], v[220:221], v[194:195]
	v_mul_f64 v[200:201], v[218:219], v[194:195]
	v_fma_f64 v[192:193], v[218:219], v[210:211], -v[192:193]
	v_fmac_f64_e32 v[200:201], v[220:221], v[210:211]
	s_waitcnt vmcnt(0)
	v_add_f64 v[196:197], v[196:197], -v[192:193]
	v_add_f64 v[198:199], v[198:199], -v[200:201]
	v_mov_b64_e32 v[192:193], v[210:211]
.LBB98_62:
	s_or_b64 exec, exec, s[0:1]
	v_lshl_add_u32 v200, v213, 4, v212
	s_barrier
	s_waitcnt vmcnt(46)
	ds_write2_b64 v200, v[188:189], v[190:191] offset1:1
	s_waitcnt lgkmcnt(0)
	s_barrier
	ds_read2_b64 v[200:203], v212 offset0:6 offset1:7
	s_mov_b32 s16, 4
	s_cmp_lt_i32 s20, 5
	v_mov_b32_e32 v210, 3
	s_cbranch_scc1 .LBB98_65
; %bb.63:
	v_add3_u32 v211, v216, 0, 64
	v_mov_b32_e32 v210, 3
.LBB98_64:                              ; =>This Inner Loop Header: Depth=1
	ds_read2_b64 v[216:219], v211 offset1:1
	s_waitcnt lgkmcnt(1)
	v_xor_b32_e32 v221, 0x80000000, v201
	v_xor_b32_e32 v223, 0x80000000, v203
	v_cmp_gt_f64_e32 vcc, 0, v[202:203]
	v_cmp_gt_f64_e64 s[0:1], 0, v[200:201]
	v_mov_b32_e32 v220, v200
	v_mov_b32_e32 v222, v202
	v_cndmask_b32_e64 v221, v201, v221, s[0:1]
	v_cndmask_b32_e32 v223, v203, v223, vcc
	v_add_f64 v[220:221], v[220:221], v[222:223]
	s_waitcnt lgkmcnt(0)
	v_xor_b32_e32 v223, 0x80000000, v217
	v_xor_b32_e32 v225, 0x80000000, v219
	v_cmp_gt_f64_e32 vcc, 0, v[218:219]
	v_cmp_gt_f64_e64 s[0:1], 0, v[216:217]
	v_mov_b32_e32 v222, v216
	v_mov_b32_e32 v224, v218
	v_cndmask_b32_e64 v223, v217, v223, s[0:1]
	v_cndmask_b32_e32 v225, v219, v225, vcc
	v_add_f64 v[222:223], v[222:223], v[224:225]
	v_mov_b32_e32 v226, s16
	s_add_i32 s16, s16, 1
	v_cmp_lt_f64_e32 vcc, v[220:221], v[222:223]
	v_add_u32_e32 v211, 16, v211
	s_cmp_lg_u32 s20, s16
	v_cndmask_b32_e32 v201, v201, v217, vcc
	v_cndmask_b32_e32 v200, v200, v216, vcc
	;; [unrolled: 1-line block ×5, first 2 shown]
	s_cbranch_scc1 .LBB98_64
.LBB98_65:
	s_waitcnt lgkmcnt(0)
	v_cmp_eq_f64_e32 vcc, 0, v[200:201]
	v_cmp_eq_f64_e64 s[0:1], 0, v[202:203]
	s_and_b64 s[0:1], vcc, s[0:1]
	s_and_saveexec_b64 s[16:17], s[0:1]
	s_xor_b64 s[0:1], exec, s[16:17]
; %bb.66:
	v_cmp_ne_u32_e32 vcc, 0, v214
	s_nop 1
	v_cndmask_b32_e32 v214, 4, v214, vcc
; %bb.67:
	s_andn2_saveexec_b64 s[0:1], s[0:1]
	s_cbranch_execz .LBB98_73
; %bb.68:
	v_cmp_ngt_f64_e64 s[16:17], |v[200:201]|, |v[202:203]|
	s_and_saveexec_b64 s[18:19], s[16:17]
	s_xor_b64 s[16:17], exec, s[18:19]
	s_cbranch_execz .LBB98_70
; %bb.69:
	v_div_scale_f64 v[216:217], s[18:19], v[202:203], v[202:203], v[200:201]
	v_rcp_f64_e32 v[218:219], v[216:217]
	v_div_scale_f64 v[220:221], vcc, v[200:201], v[202:203], v[200:201]
	v_fma_f64 v[222:223], -v[216:217], v[218:219], 1.0
	v_fmac_f64_e32 v[218:219], v[218:219], v[222:223]
	v_fma_f64 v[222:223], -v[216:217], v[218:219], 1.0
	v_fmac_f64_e32 v[218:219], v[218:219], v[222:223]
	v_mul_f64 v[222:223], v[220:221], v[218:219]
	v_fma_f64 v[216:217], -v[216:217], v[222:223], v[220:221]
	v_div_fmas_f64 v[216:217], v[216:217], v[218:219], v[222:223]
	v_div_fixup_f64 v[216:217], v[216:217], v[202:203], v[200:201]
	v_fmac_f64_e32 v[202:203], v[200:201], v[216:217]
	v_div_scale_f64 v[200:201], s[18:19], v[202:203], v[202:203], 1.0
	v_rcp_f64_e32 v[218:219], v[200:201]
	s_nop 0
	v_fma_f64 v[220:221], -v[200:201], v[218:219], 1.0
	v_fmac_f64_e32 v[218:219], v[218:219], v[220:221]
	v_fma_f64 v[220:221], -v[200:201], v[218:219], 1.0
	v_fmac_f64_e32 v[218:219], v[218:219], v[220:221]
	v_div_scale_f64 v[220:221], vcc, 1.0, v[202:203], 1.0
	v_mul_f64 v[222:223], v[220:221], v[218:219]
	v_fma_f64 v[200:201], -v[200:201], v[222:223], v[220:221]
	s_nop 1
	v_div_fmas_f64 v[200:201], v[200:201], v[218:219], v[222:223]
	v_div_fixup_f64 v[202:203], v[200:201], v[202:203], 1.0
	v_mul_f64 v[200:201], v[216:217], v[202:203]
	v_xor_b32_e32 v203, 0x80000000, v203
.LBB98_70:
	s_andn2_saveexec_b64 s[16:17], s[16:17]
	s_cbranch_execz .LBB98_72
; %bb.71:
	v_div_scale_f64 v[216:217], s[18:19], v[200:201], v[200:201], v[202:203]
	v_rcp_f64_e32 v[218:219], v[216:217]
	v_div_scale_f64 v[220:221], vcc, v[202:203], v[200:201], v[202:203]
	v_fma_f64 v[222:223], -v[216:217], v[218:219], 1.0
	v_fmac_f64_e32 v[218:219], v[218:219], v[222:223]
	v_fma_f64 v[222:223], -v[216:217], v[218:219], 1.0
	v_fmac_f64_e32 v[218:219], v[218:219], v[222:223]
	v_mul_f64 v[222:223], v[220:221], v[218:219]
	v_fma_f64 v[216:217], -v[216:217], v[222:223], v[220:221]
	v_div_fmas_f64 v[216:217], v[216:217], v[218:219], v[222:223]
	v_div_fixup_f64 v[216:217], v[216:217], v[200:201], v[202:203]
	v_fmac_f64_e32 v[200:201], v[202:203], v[216:217]
	v_div_scale_f64 v[202:203], s[18:19], v[200:201], v[200:201], 1.0
	v_rcp_f64_e32 v[218:219], v[202:203]
	s_nop 0
	v_fma_f64 v[220:221], -v[202:203], v[218:219], 1.0
	v_fmac_f64_e32 v[218:219], v[218:219], v[220:221]
	v_fma_f64 v[220:221], -v[202:203], v[218:219], 1.0
	v_fmac_f64_e32 v[218:219], v[218:219], v[220:221]
	v_div_scale_f64 v[220:221], vcc, 1.0, v[200:201], 1.0
	v_mul_f64 v[222:223], v[220:221], v[218:219]
	v_fma_f64 v[202:203], -v[202:203], v[222:223], v[220:221]
	s_nop 1
	v_div_fmas_f64 v[202:203], v[202:203], v[218:219], v[222:223]
	v_div_fixup_f64 v[200:201], v[202:203], v[200:201], 1.0
	v_mul_f64 v[202:203], v[216:217], -v[200:201]
.LBB98_72:
	s_or_b64 exec, exec, s[16:17]
.LBB98_73:
	s_or_b64 exec, exec, s[0:1]
	v_cmp_ne_u32_e32 vcc, v213, v210
	s_and_saveexec_b64 s[0:1], vcc
	s_xor_b64 s[0:1], exec, s[0:1]
	s_cbranch_execz .LBB98_79
; %bb.74:
	v_cmp_eq_u32_e32 vcc, 3, v213
	s_and_saveexec_b64 s[16:17], vcc
	s_cbranch_execz .LBB98_78
; %bb.75:
	v_cmp_ne_u32_e32 vcc, 3, v210
	s_xor_b64 s[18:19], s[14:15], -1
	s_and_b64 s[22:23], s[18:19], vcc
	s_and_saveexec_b64 s[18:19], s[22:23]
	s_cbranch_execz .LBB98_77
; %bb.76:
	v_ashrrev_i32_e32 v211, 31, v210
	v_lshl_add_u64 v[216:217], v[210:211], 2, v[208:209]
	global_load_dword v211, v[216:217], off
	global_load_dword v213, v[208:209], off offset:12
	s_waitcnt vmcnt(1)
	global_store_dword v[208:209], v211, off offset:12
	s_waitcnt vmcnt(1)
	global_store_dword v[216:217], v213, off
.LBB98_77:
	s_or_b64 exec, exec, s[18:19]
	v_mov_b32_e32 v213, v210
	v_mov_b32_e32 v215, v210
.LBB98_78:
	s_or_b64 exec, exec, s[16:17]
.LBB98_79:
	s_andn2_saveexec_b64 s[0:1], s[0:1]
	s_cbranch_execz .LBB98_81
; %bb.80:
	v_mov_b32_e32 v213, 3
	s_waitcnt vmcnt(45)
	ds_write2_b64 v212, v[184:185], v[186:187] offset0:8 offset1:9
	s_waitcnt vmcnt(44)
	ds_write2_b64 v212, v[180:181], v[182:183] offset0:10 offset1:11
	;; [unrolled: 2-line block ×46, first 2 shown]
.LBB98_81:
	s_or_b64 exec, exec, s[0:1]
	v_cmp_lt_i32_e32 vcc, 3, v213
	s_waitcnt lgkmcnt(0)
	s_barrier
	s_and_saveexec_b64 s[0:1], vcc
	s_cbranch_execz .LBB98_83
; %bb.82:
	ds_read2_b64 v[216:219], v212 offset0:8 offset1:9
	v_mul_f64 v[210:211], v[202:203], v[190:191]
	v_mul_f64 v[190:191], v[200:201], v[190:191]
	v_fma_f64 v[210:211], v[200:201], v[188:189], -v[210:211]
	v_fmac_f64_e32 v[190:191], v[202:203], v[188:189]
	ds_read2_b64 v[200:203], v212 offset0:10 offset1:11
	s_waitcnt lgkmcnt(1)
	v_mul_f64 v[188:189], v[218:219], v[190:191]
	v_fma_f64 v[188:189], v[216:217], v[210:211], -v[188:189]
	v_mul_f64 v[216:217], v[216:217], v[190:191]
	v_fmac_f64_e32 v[216:217], v[218:219], v[210:211]
	s_waitcnt vmcnt(45)
	v_add_f64 v[184:185], v[184:185], -v[188:189]
	s_waitcnt lgkmcnt(0)
	v_mul_f64 v[188:189], v[202:203], v[190:191]
	v_add_f64 v[186:187], v[186:187], -v[216:217]
	v_fma_f64 v[188:189], v[200:201], v[210:211], -v[188:189]
	v_mul_f64 v[200:201], v[200:201], v[190:191]
	ds_read2_b64 v[216:219], v212 offset0:12 offset1:13
	v_fmac_f64_e32 v[200:201], v[202:203], v[210:211]
	s_waitcnt vmcnt(44)
	v_add_f64 v[182:183], v[182:183], -v[200:201]
	ds_read2_b64 v[200:203], v212 offset0:14 offset1:15
	v_add_f64 v[180:181], v[180:181], -v[188:189]
	s_waitcnt lgkmcnt(1)
	v_mul_f64 v[188:189], v[218:219], v[190:191]
	v_fma_f64 v[188:189], v[216:217], v[210:211], -v[188:189]
	v_mul_f64 v[216:217], v[216:217], v[190:191]
	v_fmac_f64_e32 v[216:217], v[218:219], v[210:211]
	s_waitcnt vmcnt(43)
	v_add_f64 v[176:177], v[176:177], -v[188:189]
	s_waitcnt lgkmcnt(0)
	v_mul_f64 v[188:189], v[202:203], v[190:191]
	v_add_f64 v[178:179], v[178:179], -v[216:217]
	v_fma_f64 v[188:189], v[200:201], v[210:211], -v[188:189]
	v_mul_f64 v[200:201], v[200:201], v[190:191]
	ds_read2_b64 v[216:219], v212 offset0:16 offset1:17
	v_fmac_f64_e32 v[200:201], v[202:203], v[210:211]
	s_waitcnt vmcnt(42)
	v_add_f64 v[174:175], v[174:175], -v[200:201]
	ds_read2_b64 v[200:203], v212 offset0:18 offset1:19
	v_add_f64 v[172:173], v[172:173], -v[188:189]
	;; [unrolled: 18-line block ×22, first 2 shown]
	s_waitcnt lgkmcnt(1)
	v_mul_f64 v[188:189], v[218:219], v[190:191]
	v_fma_f64 v[188:189], v[216:217], v[210:211], -v[188:189]
	s_waitcnt vmcnt(1)
	v_add_f64 v[0:1], v[0:1], -v[188:189]
	s_waitcnt lgkmcnt(0)
	v_mul_f64 v[188:189], v[202:203], v[190:191]
	v_mul_f64 v[216:217], v[216:217], v[190:191]
	v_fma_f64 v[188:189], v[200:201], v[210:211], -v[188:189]
	v_mul_f64 v[200:201], v[200:201], v[190:191]
	v_fmac_f64_e32 v[216:217], v[218:219], v[210:211]
	v_fmac_f64_e32 v[200:201], v[202:203], v[210:211]
	v_add_f64 v[2:3], v[2:3], -v[216:217]
	s_waitcnt vmcnt(0)
	v_add_f64 v[196:197], v[196:197], -v[188:189]
	v_add_f64 v[198:199], v[198:199], -v[200:201]
	v_mov_b64_e32 v[188:189], v[210:211]
.LBB98_83:
	s_or_b64 exec, exec, s[0:1]
	v_lshl_add_u32 v200, v213, 4, v212
	s_barrier
	s_waitcnt vmcnt(45)
	ds_write2_b64 v200, v[184:185], v[186:187] offset1:1
	s_waitcnt lgkmcnt(0)
	s_barrier
	ds_read2_b64 v[200:203], v212 offset0:8 offset1:9
	s_cmp_lt_i32 s20, 6
	v_mov_b32_e32 v210, 4
	s_cbranch_scc1 .LBB98_86
; %bb.84:
	v_mov_b32_e32 v210, 4
	v_add_u32_e32 v211, 0x50, v212
	s_mov_b32 s16, 5
.LBB98_85:                              ; =>This Inner Loop Header: Depth=1
	ds_read2_b64 v[216:219], v211 offset1:1
	s_waitcnt lgkmcnt(1)
	v_xor_b32_e32 v221, 0x80000000, v201
	v_xor_b32_e32 v223, 0x80000000, v203
	v_cmp_gt_f64_e32 vcc, 0, v[202:203]
	v_cmp_gt_f64_e64 s[0:1], 0, v[200:201]
	v_mov_b32_e32 v220, v200
	v_mov_b32_e32 v222, v202
	v_cndmask_b32_e64 v221, v201, v221, s[0:1]
	v_cndmask_b32_e32 v223, v203, v223, vcc
	v_add_f64 v[220:221], v[220:221], v[222:223]
	s_waitcnt lgkmcnt(0)
	v_xor_b32_e32 v223, 0x80000000, v217
	v_xor_b32_e32 v225, 0x80000000, v219
	v_cmp_gt_f64_e32 vcc, 0, v[218:219]
	v_cmp_gt_f64_e64 s[0:1], 0, v[216:217]
	v_mov_b32_e32 v222, v216
	v_mov_b32_e32 v224, v218
	v_cndmask_b32_e64 v223, v217, v223, s[0:1]
	v_cndmask_b32_e32 v225, v219, v225, vcc
	v_add_f64 v[222:223], v[222:223], v[224:225]
	v_mov_b32_e32 v226, s16
	s_add_i32 s16, s16, 1
	v_cmp_lt_f64_e32 vcc, v[220:221], v[222:223]
	v_add_u32_e32 v211, 16, v211
	s_cmp_lg_u32 s20, s16
	v_cndmask_b32_e32 v201, v201, v217, vcc
	v_cndmask_b32_e32 v200, v200, v216, vcc
	;; [unrolled: 1-line block ×5, first 2 shown]
	s_cbranch_scc1 .LBB98_85
.LBB98_86:
	s_waitcnt lgkmcnt(0)
	v_cmp_eq_f64_e32 vcc, 0, v[200:201]
	v_cmp_eq_f64_e64 s[0:1], 0, v[202:203]
	s_and_b64 s[0:1], vcc, s[0:1]
	s_and_saveexec_b64 s[16:17], s[0:1]
	s_xor_b64 s[0:1], exec, s[16:17]
; %bb.87:
	v_cmp_ne_u32_e32 vcc, 0, v214
	s_nop 1
	v_cndmask_b32_e32 v214, 5, v214, vcc
; %bb.88:
	s_andn2_saveexec_b64 s[0:1], s[0:1]
	s_cbranch_execz .LBB98_94
; %bb.89:
	v_cmp_ngt_f64_e64 s[16:17], |v[200:201]|, |v[202:203]|
	s_and_saveexec_b64 s[18:19], s[16:17]
	s_xor_b64 s[16:17], exec, s[18:19]
	s_cbranch_execz .LBB98_91
; %bb.90:
	v_div_scale_f64 v[216:217], s[18:19], v[202:203], v[202:203], v[200:201]
	v_rcp_f64_e32 v[218:219], v[216:217]
	v_div_scale_f64 v[220:221], vcc, v[200:201], v[202:203], v[200:201]
	v_fma_f64 v[222:223], -v[216:217], v[218:219], 1.0
	v_fmac_f64_e32 v[218:219], v[218:219], v[222:223]
	v_fma_f64 v[222:223], -v[216:217], v[218:219], 1.0
	v_fmac_f64_e32 v[218:219], v[218:219], v[222:223]
	v_mul_f64 v[222:223], v[220:221], v[218:219]
	v_fma_f64 v[216:217], -v[216:217], v[222:223], v[220:221]
	v_div_fmas_f64 v[216:217], v[216:217], v[218:219], v[222:223]
	v_div_fixup_f64 v[216:217], v[216:217], v[202:203], v[200:201]
	v_fmac_f64_e32 v[202:203], v[200:201], v[216:217]
	v_div_scale_f64 v[200:201], s[18:19], v[202:203], v[202:203], 1.0
	v_rcp_f64_e32 v[218:219], v[200:201]
	s_nop 0
	v_fma_f64 v[220:221], -v[200:201], v[218:219], 1.0
	v_fmac_f64_e32 v[218:219], v[218:219], v[220:221]
	v_fma_f64 v[220:221], -v[200:201], v[218:219], 1.0
	v_fmac_f64_e32 v[218:219], v[218:219], v[220:221]
	v_div_scale_f64 v[220:221], vcc, 1.0, v[202:203], 1.0
	v_mul_f64 v[222:223], v[220:221], v[218:219]
	v_fma_f64 v[200:201], -v[200:201], v[222:223], v[220:221]
	s_nop 1
	v_div_fmas_f64 v[200:201], v[200:201], v[218:219], v[222:223]
	v_div_fixup_f64 v[202:203], v[200:201], v[202:203], 1.0
	v_mul_f64 v[200:201], v[216:217], v[202:203]
	v_xor_b32_e32 v203, 0x80000000, v203
.LBB98_91:
	s_andn2_saveexec_b64 s[16:17], s[16:17]
	s_cbranch_execz .LBB98_93
; %bb.92:
	v_div_scale_f64 v[216:217], s[18:19], v[200:201], v[200:201], v[202:203]
	v_rcp_f64_e32 v[218:219], v[216:217]
	v_div_scale_f64 v[220:221], vcc, v[202:203], v[200:201], v[202:203]
	v_fma_f64 v[222:223], -v[216:217], v[218:219], 1.0
	v_fmac_f64_e32 v[218:219], v[218:219], v[222:223]
	v_fma_f64 v[222:223], -v[216:217], v[218:219], 1.0
	v_fmac_f64_e32 v[218:219], v[218:219], v[222:223]
	v_mul_f64 v[222:223], v[220:221], v[218:219]
	v_fma_f64 v[216:217], -v[216:217], v[222:223], v[220:221]
	v_div_fmas_f64 v[216:217], v[216:217], v[218:219], v[222:223]
	v_div_fixup_f64 v[216:217], v[216:217], v[200:201], v[202:203]
	v_fmac_f64_e32 v[200:201], v[202:203], v[216:217]
	v_div_scale_f64 v[202:203], s[18:19], v[200:201], v[200:201], 1.0
	v_rcp_f64_e32 v[218:219], v[202:203]
	s_nop 0
	v_fma_f64 v[220:221], -v[202:203], v[218:219], 1.0
	v_fmac_f64_e32 v[218:219], v[218:219], v[220:221]
	v_fma_f64 v[220:221], -v[202:203], v[218:219], 1.0
	v_fmac_f64_e32 v[218:219], v[218:219], v[220:221]
	v_div_scale_f64 v[220:221], vcc, 1.0, v[200:201], 1.0
	v_mul_f64 v[222:223], v[220:221], v[218:219]
	v_fma_f64 v[202:203], -v[202:203], v[222:223], v[220:221]
	s_nop 1
	v_div_fmas_f64 v[202:203], v[202:203], v[218:219], v[222:223]
	v_div_fixup_f64 v[200:201], v[202:203], v[200:201], 1.0
	v_mul_f64 v[202:203], v[216:217], -v[200:201]
.LBB98_93:
	s_or_b64 exec, exec, s[16:17]
.LBB98_94:
	s_or_b64 exec, exec, s[0:1]
	v_cmp_ne_u32_e32 vcc, v213, v210
	s_and_saveexec_b64 s[0:1], vcc
	s_xor_b64 s[0:1], exec, s[0:1]
	s_cbranch_execz .LBB98_100
; %bb.95:
	v_cmp_eq_u32_e32 vcc, 4, v213
	s_and_saveexec_b64 s[16:17], vcc
	s_cbranch_execz .LBB98_99
; %bb.96:
	v_cmp_ne_u32_e32 vcc, 4, v210
	s_xor_b64 s[18:19], s[14:15], -1
	s_and_b64 s[22:23], s[18:19], vcc
	s_and_saveexec_b64 s[18:19], s[22:23]
	s_cbranch_execz .LBB98_98
; %bb.97:
	v_ashrrev_i32_e32 v211, 31, v210
	v_lshl_add_u64 v[216:217], v[210:211], 2, v[208:209]
	global_load_dword v211, v[216:217], off
	global_load_dword v213, v[208:209], off offset:16
	s_waitcnt vmcnt(1)
	global_store_dword v[208:209], v211, off offset:16
	s_waitcnt vmcnt(1)
	global_store_dword v[216:217], v213, off
.LBB98_98:
	s_or_b64 exec, exec, s[18:19]
	v_mov_b32_e32 v213, v210
	v_mov_b32_e32 v215, v210
.LBB98_99:
	s_or_b64 exec, exec, s[16:17]
.LBB98_100:
	s_andn2_saveexec_b64 s[0:1], s[0:1]
	s_cbranch_execz .LBB98_102
; %bb.101:
	v_mov_b32_e32 v213, 4
	s_waitcnt vmcnt(44)
	ds_write2_b64 v212, v[180:181], v[182:183] offset0:10 offset1:11
	s_waitcnt vmcnt(43)
	ds_write2_b64 v212, v[176:177], v[178:179] offset0:12 offset1:13
	;; [unrolled: 2-line block ×45, first 2 shown]
.LBB98_102:
	s_or_b64 exec, exec, s[0:1]
	v_cmp_lt_i32_e32 vcc, 4, v213
	s_waitcnt lgkmcnt(0)
	s_barrier
	s_and_saveexec_b64 s[0:1], vcc
	s_cbranch_execz .LBB98_104
; %bb.103:
	ds_read2_b64 v[216:219], v212 offset0:10 offset1:11
	v_mul_f64 v[210:211], v[202:203], v[186:187]
	v_mul_f64 v[186:187], v[200:201], v[186:187]
	v_fmac_f64_e32 v[186:187], v[202:203], v[184:185]
	v_fma_f64 v[210:211], v[200:201], v[184:185], -v[210:211]
	ds_read2_b64 v[200:203], v212 offset0:12 offset1:13
	s_waitcnt lgkmcnt(1)
	v_mul_f64 v[184:185], v[218:219], v[186:187]
	v_fma_f64 v[184:185], v[216:217], v[210:211], -v[184:185]
	v_mul_f64 v[216:217], v[216:217], v[186:187]
	v_fmac_f64_e32 v[216:217], v[218:219], v[210:211]
	s_waitcnt vmcnt(44)
	v_add_f64 v[182:183], v[182:183], -v[216:217]
	ds_read2_b64 v[216:219], v212 offset0:14 offset1:15
	v_add_f64 v[180:181], v[180:181], -v[184:185]
	s_waitcnt lgkmcnt(1)
	v_mul_f64 v[184:185], v[202:203], v[186:187]
	v_fma_f64 v[184:185], v[200:201], v[210:211], -v[184:185]
	v_mul_f64 v[200:201], v[200:201], v[186:187]
	v_fmac_f64_e32 v[200:201], v[202:203], v[210:211]
	s_waitcnt vmcnt(43)
	v_add_f64 v[176:177], v[176:177], -v[184:185]
	v_add_f64 v[178:179], v[178:179], -v[200:201]
	ds_read2_b64 v[200:203], v212 offset0:16 offset1:17
	s_waitcnt lgkmcnt(1)
	v_mul_f64 v[184:185], v[218:219], v[186:187]
	v_fma_f64 v[184:185], v[216:217], v[210:211], -v[184:185]
	v_mul_f64 v[216:217], v[216:217], v[186:187]
	v_fmac_f64_e32 v[216:217], v[218:219], v[210:211]
	s_waitcnt vmcnt(42)
	v_add_f64 v[174:175], v[174:175], -v[216:217]
	ds_read2_b64 v[216:219], v212 offset0:18 offset1:19
	v_add_f64 v[172:173], v[172:173], -v[184:185]
	s_waitcnt lgkmcnt(1)
	v_mul_f64 v[184:185], v[202:203], v[186:187]
	v_fma_f64 v[184:185], v[200:201], v[210:211], -v[184:185]
	v_mul_f64 v[200:201], v[200:201], v[186:187]
	v_fmac_f64_e32 v[200:201], v[202:203], v[210:211]
	s_waitcnt vmcnt(41)
	v_add_f64 v[168:169], v[168:169], -v[184:185]
	v_add_f64 v[170:171], v[170:171], -v[200:201]
	;; [unrolled: 18-line block ×22, first 2 shown]
	s_waitcnt lgkmcnt(0)
	v_mul_f64 v[184:185], v[218:219], v[186:187]
	v_mul_f64 v[200:201], v[216:217], v[186:187]
	v_fma_f64 v[184:185], v[216:217], v[210:211], -v[184:185]
	v_fmac_f64_e32 v[200:201], v[218:219], v[210:211]
	s_waitcnt vmcnt(0)
	v_add_f64 v[196:197], v[196:197], -v[184:185]
	v_add_f64 v[198:199], v[198:199], -v[200:201]
	v_mov_b64_e32 v[184:185], v[210:211]
.LBB98_104:
	s_or_b64 exec, exec, s[0:1]
	v_lshl_add_u32 v200, v213, 4, v212
	s_barrier
	s_waitcnt vmcnt(44)
	ds_write2_b64 v200, v[180:181], v[182:183] offset1:1
	s_waitcnt lgkmcnt(0)
	s_barrier
	ds_read2_b64 v[200:203], v212 offset0:10 offset1:11
	s_cmp_lt_i32 s20, 7
	v_mov_b32_e32 v210, 5
	s_cbranch_scc1 .LBB98_107
; %bb.105:
	v_add_u32_e32 v211, 0x60, v212
	s_mov_b32 s16, 6
	v_mov_b32_e32 v210, 5
.LBB98_106:                             ; =>This Inner Loop Header: Depth=1
	ds_read2_b64 v[216:219], v211 offset1:1
	s_waitcnt lgkmcnt(1)
	v_xor_b32_e32 v221, 0x80000000, v201
	v_xor_b32_e32 v223, 0x80000000, v203
	v_cmp_gt_f64_e32 vcc, 0, v[202:203]
	v_cmp_gt_f64_e64 s[0:1], 0, v[200:201]
	v_mov_b32_e32 v220, v200
	v_mov_b32_e32 v222, v202
	v_cndmask_b32_e64 v221, v201, v221, s[0:1]
	v_cndmask_b32_e32 v223, v203, v223, vcc
	v_add_f64 v[220:221], v[220:221], v[222:223]
	s_waitcnt lgkmcnt(0)
	v_xor_b32_e32 v223, 0x80000000, v217
	v_xor_b32_e32 v225, 0x80000000, v219
	v_cmp_gt_f64_e32 vcc, 0, v[218:219]
	v_cmp_gt_f64_e64 s[0:1], 0, v[216:217]
	v_mov_b32_e32 v222, v216
	v_mov_b32_e32 v224, v218
	v_cndmask_b32_e64 v223, v217, v223, s[0:1]
	v_cndmask_b32_e32 v225, v219, v225, vcc
	v_add_f64 v[222:223], v[222:223], v[224:225]
	v_mov_b32_e32 v226, s16
	s_add_i32 s16, s16, 1
	v_cmp_lt_f64_e32 vcc, v[220:221], v[222:223]
	v_add_u32_e32 v211, 16, v211
	s_cmp_lg_u32 s20, s16
	v_cndmask_b32_e32 v201, v201, v217, vcc
	v_cndmask_b32_e32 v200, v200, v216, vcc
	;; [unrolled: 1-line block ×5, first 2 shown]
	s_cbranch_scc1 .LBB98_106
.LBB98_107:
	s_waitcnt lgkmcnt(0)
	v_cmp_eq_f64_e32 vcc, 0, v[200:201]
	v_cmp_eq_f64_e64 s[0:1], 0, v[202:203]
	s_and_b64 s[0:1], vcc, s[0:1]
	s_and_saveexec_b64 s[16:17], s[0:1]
	s_xor_b64 s[0:1], exec, s[16:17]
; %bb.108:
	v_cmp_ne_u32_e32 vcc, 0, v214
	s_nop 1
	v_cndmask_b32_e32 v214, 6, v214, vcc
; %bb.109:
	s_andn2_saveexec_b64 s[0:1], s[0:1]
	s_cbranch_execz .LBB98_115
; %bb.110:
	v_cmp_ngt_f64_e64 s[16:17], |v[200:201]|, |v[202:203]|
	s_and_saveexec_b64 s[18:19], s[16:17]
	s_xor_b64 s[16:17], exec, s[18:19]
	s_cbranch_execz .LBB98_112
; %bb.111:
	v_div_scale_f64 v[216:217], s[18:19], v[202:203], v[202:203], v[200:201]
	v_rcp_f64_e32 v[218:219], v[216:217]
	v_div_scale_f64 v[220:221], vcc, v[200:201], v[202:203], v[200:201]
	v_fma_f64 v[222:223], -v[216:217], v[218:219], 1.0
	v_fmac_f64_e32 v[218:219], v[218:219], v[222:223]
	v_fma_f64 v[222:223], -v[216:217], v[218:219], 1.0
	v_fmac_f64_e32 v[218:219], v[218:219], v[222:223]
	v_mul_f64 v[222:223], v[220:221], v[218:219]
	v_fma_f64 v[216:217], -v[216:217], v[222:223], v[220:221]
	v_div_fmas_f64 v[216:217], v[216:217], v[218:219], v[222:223]
	v_div_fixup_f64 v[216:217], v[216:217], v[202:203], v[200:201]
	v_fmac_f64_e32 v[202:203], v[200:201], v[216:217]
	v_div_scale_f64 v[200:201], s[18:19], v[202:203], v[202:203], 1.0
	v_rcp_f64_e32 v[218:219], v[200:201]
	s_nop 0
	v_fma_f64 v[220:221], -v[200:201], v[218:219], 1.0
	v_fmac_f64_e32 v[218:219], v[218:219], v[220:221]
	v_fma_f64 v[220:221], -v[200:201], v[218:219], 1.0
	v_fmac_f64_e32 v[218:219], v[218:219], v[220:221]
	v_div_scale_f64 v[220:221], vcc, 1.0, v[202:203], 1.0
	v_mul_f64 v[222:223], v[220:221], v[218:219]
	v_fma_f64 v[200:201], -v[200:201], v[222:223], v[220:221]
	s_nop 1
	v_div_fmas_f64 v[200:201], v[200:201], v[218:219], v[222:223]
	v_div_fixup_f64 v[202:203], v[200:201], v[202:203], 1.0
	v_mul_f64 v[200:201], v[216:217], v[202:203]
	v_xor_b32_e32 v203, 0x80000000, v203
.LBB98_112:
	s_andn2_saveexec_b64 s[16:17], s[16:17]
	s_cbranch_execz .LBB98_114
; %bb.113:
	v_div_scale_f64 v[216:217], s[18:19], v[200:201], v[200:201], v[202:203]
	v_rcp_f64_e32 v[218:219], v[216:217]
	v_div_scale_f64 v[220:221], vcc, v[202:203], v[200:201], v[202:203]
	v_fma_f64 v[222:223], -v[216:217], v[218:219], 1.0
	v_fmac_f64_e32 v[218:219], v[218:219], v[222:223]
	v_fma_f64 v[222:223], -v[216:217], v[218:219], 1.0
	v_fmac_f64_e32 v[218:219], v[218:219], v[222:223]
	v_mul_f64 v[222:223], v[220:221], v[218:219]
	v_fma_f64 v[216:217], -v[216:217], v[222:223], v[220:221]
	v_div_fmas_f64 v[216:217], v[216:217], v[218:219], v[222:223]
	v_div_fixup_f64 v[216:217], v[216:217], v[200:201], v[202:203]
	v_fmac_f64_e32 v[200:201], v[202:203], v[216:217]
	v_div_scale_f64 v[202:203], s[18:19], v[200:201], v[200:201], 1.0
	v_rcp_f64_e32 v[218:219], v[202:203]
	s_nop 0
	v_fma_f64 v[220:221], -v[202:203], v[218:219], 1.0
	v_fmac_f64_e32 v[218:219], v[218:219], v[220:221]
	v_fma_f64 v[220:221], -v[202:203], v[218:219], 1.0
	v_fmac_f64_e32 v[218:219], v[218:219], v[220:221]
	v_div_scale_f64 v[220:221], vcc, 1.0, v[200:201], 1.0
	v_mul_f64 v[222:223], v[220:221], v[218:219]
	v_fma_f64 v[202:203], -v[202:203], v[222:223], v[220:221]
	s_nop 1
	v_div_fmas_f64 v[202:203], v[202:203], v[218:219], v[222:223]
	v_div_fixup_f64 v[200:201], v[202:203], v[200:201], 1.0
	v_mul_f64 v[202:203], v[216:217], -v[200:201]
.LBB98_114:
	s_or_b64 exec, exec, s[16:17]
.LBB98_115:
	s_or_b64 exec, exec, s[0:1]
	v_cmp_ne_u32_e32 vcc, v213, v210
	s_and_saveexec_b64 s[0:1], vcc
	s_xor_b64 s[0:1], exec, s[0:1]
	s_cbranch_execz .LBB98_121
; %bb.116:
	v_cmp_eq_u32_e32 vcc, 5, v213
	s_and_saveexec_b64 s[16:17], vcc
	s_cbranch_execz .LBB98_120
; %bb.117:
	v_cmp_ne_u32_e32 vcc, 5, v210
	s_xor_b64 s[18:19], s[14:15], -1
	s_and_b64 s[22:23], s[18:19], vcc
	s_and_saveexec_b64 s[18:19], s[22:23]
	s_cbranch_execz .LBB98_119
; %bb.118:
	v_ashrrev_i32_e32 v211, 31, v210
	v_lshl_add_u64 v[216:217], v[210:211], 2, v[208:209]
	global_load_dword v211, v[216:217], off
	global_load_dword v213, v[208:209], off offset:20
	s_waitcnt vmcnt(1)
	global_store_dword v[208:209], v211, off offset:20
	s_waitcnt vmcnt(1)
	global_store_dword v[216:217], v213, off
.LBB98_119:
	s_or_b64 exec, exec, s[18:19]
	v_mov_b32_e32 v213, v210
	v_mov_b32_e32 v215, v210
.LBB98_120:
	s_or_b64 exec, exec, s[16:17]
.LBB98_121:
	s_andn2_saveexec_b64 s[0:1], s[0:1]
	s_cbranch_execz .LBB98_123
; %bb.122:
	v_mov_b32_e32 v213, 5
	s_waitcnt vmcnt(43)
	ds_write2_b64 v212, v[176:177], v[178:179] offset0:12 offset1:13
	s_waitcnt vmcnt(42)
	ds_write2_b64 v212, v[172:173], v[174:175] offset0:14 offset1:15
	;; [unrolled: 2-line block ×44, first 2 shown]
.LBB98_123:
	s_or_b64 exec, exec, s[0:1]
	v_cmp_lt_i32_e32 vcc, 5, v213
	s_waitcnt lgkmcnt(0)
	s_barrier
	s_and_saveexec_b64 s[0:1], vcc
	s_cbranch_execz .LBB98_125
; %bb.124:
	ds_read2_b64 v[216:219], v212 offset0:12 offset1:13
	v_mul_f64 v[210:211], v[202:203], v[182:183]
	v_mul_f64 v[182:183], v[200:201], v[182:183]
	v_fma_f64 v[210:211], v[200:201], v[180:181], -v[210:211]
	v_fmac_f64_e32 v[182:183], v[202:203], v[180:181]
	ds_read2_b64 v[200:203], v212 offset0:14 offset1:15
	s_waitcnt lgkmcnt(1)
	v_mul_f64 v[180:181], v[218:219], v[182:183]
	v_fma_f64 v[180:181], v[216:217], v[210:211], -v[180:181]
	v_mul_f64 v[216:217], v[216:217], v[182:183]
	v_fmac_f64_e32 v[216:217], v[218:219], v[210:211]
	s_waitcnt vmcnt(43)
	v_add_f64 v[176:177], v[176:177], -v[180:181]
	s_waitcnt lgkmcnt(0)
	v_mul_f64 v[180:181], v[202:203], v[182:183]
	v_add_f64 v[178:179], v[178:179], -v[216:217]
	v_fma_f64 v[180:181], v[200:201], v[210:211], -v[180:181]
	v_mul_f64 v[200:201], v[200:201], v[182:183]
	ds_read2_b64 v[216:219], v212 offset0:16 offset1:17
	v_fmac_f64_e32 v[200:201], v[202:203], v[210:211]
	s_waitcnt vmcnt(42)
	v_add_f64 v[174:175], v[174:175], -v[200:201]
	ds_read2_b64 v[200:203], v212 offset0:18 offset1:19
	v_add_f64 v[172:173], v[172:173], -v[180:181]
	s_waitcnt lgkmcnt(1)
	v_mul_f64 v[180:181], v[218:219], v[182:183]
	v_fma_f64 v[180:181], v[216:217], v[210:211], -v[180:181]
	v_mul_f64 v[216:217], v[216:217], v[182:183]
	v_fmac_f64_e32 v[216:217], v[218:219], v[210:211]
	s_waitcnt vmcnt(41)
	v_add_f64 v[168:169], v[168:169], -v[180:181]
	s_waitcnt lgkmcnt(0)
	v_mul_f64 v[180:181], v[202:203], v[182:183]
	v_add_f64 v[170:171], v[170:171], -v[216:217]
	v_fma_f64 v[180:181], v[200:201], v[210:211], -v[180:181]
	v_mul_f64 v[200:201], v[200:201], v[182:183]
	ds_read2_b64 v[216:219], v212 offset0:20 offset1:21
	v_fmac_f64_e32 v[200:201], v[202:203], v[210:211]
	s_waitcnt vmcnt(40)
	v_add_f64 v[166:167], v[166:167], -v[200:201]
	ds_read2_b64 v[200:203], v212 offset0:22 offset1:23
	v_add_f64 v[164:165], v[164:165], -v[180:181]
	;; [unrolled: 18-line block ×21, first 2 shown]
	s_waitcnt lgkmcnt(1)
	v_mul_f64 v[180:181], v[218:219], v[182:183]
	v_fma_f64 v[180:181], v[216:217], v[210:211], -v[180:181]
	s_waitcnt vmcnt(1)
	v_add_f64 v[0:1], v[0:1], -v[180:181]
	s_waitcnt lgkmcnt(0)
	v_mul_f64 v[180:181], v[202:203], v[182:183]
	v_mul_f64 v[216:217], v[216:217], v[182:183]
	v_fma_f64 v[180:181], v[200:201], v[210:211], -v[180:181]
	v_mul_f64 v[200:201], v[200:201], v[182:183]
	v_fmac_f64_e32 v[216:217], v[218:219], v[210:211]
	v_fmac_f64_e32 v[200:201], v[202:203], v[210:211]
	v_add_f64 v[2:3], v[2:3], -v[216:217]
	s_waitcnt vmcnt(0)
	v_add_f64 v[196:197], v[196:197], -v[180:181]
	v_add_f64 v[198:199], v[198:199], -v[200:201]
	v_mov_b64_e32 v[180:181], v[210:211]
.LBB98_125:
	s_or_b64 exec, exec, s[0:1]
	v_lshl_add_u32 v200, v213, 4, v212
	s_barrier
	s_waitcnt vmcnt(43)
	ds_write2_b64 v200, v[176:177], v[178:179] offset1:1
	s_waitcnt lgkmcnt(0)
	s_barrier
	ds_read2_b64 v[200:203], v212 offset0:12 offset1:13
	s_cmp_lt_i32 s20, 8
	v_mov_b32_e32 v210, 6
	s_cbranch_scc1 .LBB98_128
; %bb.126:
	v_add_u32_e32 v211, 0x70, v212
	s_mov_b32 s16, 7
	v_mov_b32_e32 v210, 6
.LBB98_127:                             ; =>This Inner Loop Header: Depth=1
	ds_read2_b64 v[216:219], v211 offset1:1
	s_waitcnt lgkmcnt(1)
	v_xor_b32_e32 v221, 0x80000000, v201
	v_xor_b32_e32 v223, 0x80000000, v203
	v_cmp_gt_f64_e32 vcc, 0, v[202:203]
	v_cmp_gt_f64_e64 s[0:1], 0, v[200:201]
	v_mov_b32_e32 v220, v200
	v_mov_b32_e32 v222, v202
	v_cndmask_b32_e64 v221, v201, v221, s[0:1]
	v_cndmask_b32_e32 v223, v203, v223, vcc
	v_add_f64 v[220:221], v[220:221], v[222:223]
	s_waitcnt lgkmcnt(0)
	v_xor_b32_e32 v223, 0x80000000, v217
	v_xor_b32_e32 v225, 0x80000000, v219
	v_cmp_gt_f64_e32 vcc, 0, v[218:219]
	v_cmp_gt_f64_e64 s[0:1], 0, v[216:217]
	v_mov_b32_e32 v222, v216
	v_mov_b32_e32 v224, v218
	v_cndmask_b32_e64 v223, v217, v223, s[0:1]
	v_cndmask_b32_e32 v225, v219, v225, vcc
	v_add_f64 v[222:223], v[222:223], v[224:225]
	v_mov_b32_e32 v226, s16
	s_add_i32 s16, s16, 1
	v_cmp_lt_f64_e32 vcc, v[220:221], v[222:223]
	v_add_u32_e32 v211, 16, v211
	s_cmp_lg_u32 s20, s16
	v_cndmask_b32_e32 v201, v201, v217, vcc
	v_cndmask_b32_e32 v200, v200, v216, vcc
	;; [unrolled: 1-line block ×5, first 2 shown]
	s_cbranch_scc1 .LBB98_127
.LBB98_128:
	s_waitcnt lgkmcnt(0)
	v_cmp_eq_f64_e32 vcc, 0, v[200:201]
	v_cmp_eq_f64_e64 s[0:1], 0, v[202:203]
	s_and_b64 s[0:1], vcc, s[0:1]
	s_and_saveexec_b64 s[16:17], s[0:1]
	s_xor_b64 s[0:1], exec, s[16:17]
; %bb.129:
	v_cmp_ne_u32_e32 vcc, 0, v214
	s_nop 1
	v_cndmask_b32_e32 v214, 7, v214, vcc
; %bb.130:
	s_andn2_saveexec_b64 s[0:1], s[0:1]
	s_cbranch_execz .LBB98_136
; %bb.131:
	v_cmp_ngt_f64_e64 s[16:17], |v[200:201]|, |v[202:203]|
	s_and_saveexec_b64 s[18:19], s[16:17]
	s_xor_b64 s[16:17], exec, s[18:19]
	s_cbranch_execz .LBB98_133
; %bb.132:
	v_div_scale_f64 v[216:217], s[18:19], v[202:203], v[202:203], v[200:201]
	v_rcp_f64_e32 v[218:219], v[216:217]
	v_div_scale_f64 v[220:221], vcc, v[200:201], v[202:203], v[200:201]
	v_fma_f64 v[222:223], -v[216:217], v[218:219], 1.0
	v_fmac_f64_e32 v[218:219], v[218:219], v[222:223]
	v_fma_f64 v[222:223], -v[216:217], v[218:219], 1.0
	v_fmac_f64_e32 v[218:219], v[218:219], v[222:223]
	v_mul_f64 v[222:223], v[220:221], v[218:219]
	v_fma_f64 v[216:217], -v[216:217], v[222:223], v[220:221]
	v_div_fmas_f64 v[216:217], v[216:217], v[218:219], v[222:223]
	v_div_fixup_f64 v[216:217], v[216:217], v[202:203], v[200:201]
	v_fmac_f64_e32 v[202:203], v[200:201], v[216:217]
	v_div_scale_f64 v[200:201], s[18:19], v[202:203], v[202:203], 1.0
	v_rcp_f64_e32 v[218:219], v[200:201]
	s_nop 0
	v_fma_f64 v[220:221], -v[200:201], v[218:219], 1.0
	v_fmac_f64_e32 v[218:219], v[218:219], v[220:221]
	v_fma_f64 v[220:221], -v[200:201], v[218:219], 1.0
	v_fmac_f64_e32 v[218:219], v[218:219], v[220:221]
	v_div_scale_f64 v[220:221], vcc, 1.0, v[202:203], 1.0
	v_mul_f64 v[222:223], v[220:221], v[218:219]
	v_fma_f64 v[200:201], -v[200:201], v[222:223], v[220:221]
	s_nop 1
	v_div_fmas_f64 v[200:201], v[200:201], v[218:219], v[222:223]
	v_div_fixup_f64 v[202:203], v[200:201], v[202:203], 1.0
	v_mul_f64 v[200:201], v[216:217], v[202:203]
	v_xor_b32_e32 v203, 0x80000000, v203
.LBB98_133:
	s_andn2_saveexec_b64 s[16:17], s[16:17]
	s_cbranch_execz .LBB98_135
; %bb.134:
	v_div_scale_f64 v[216:217], s[18:19], v[200:201], v[200:201], v[202:203]
	v_rcp_f64_e32 v[218:219], v[216:217]
	v_div_scale_f64 v[220:221], vcc, v[202:203], v[200:201], v[202:203]
	v_fma_f64 v[222:223], -v[216:217], v[218:219], 1.0
	v_fmac_f64_e32 v[218:219], v[218:219], v[222:223]
	v_fma_f64 v[222:223], -v[216:217], v[218:219], 1.0
	v_fmac_f64_e32 v[218:219], v[218:219], v[222:223]
	v_mul_f64 v[222:223], v[220:221], v[218:219]
	v_fma_f64 v[216:217], -v[216:217], v[222:223], v[220:221]
	v_div_fmas_f64 v[216:217], v[216:217], v[218:219], v[222:223]
	v_div_fixup_f64 v[216:217], v[216:217], v[200:201], v[202:203]
	v_fmac_f64_e32 v[200:201], v[202:203], v[216:217]
	v_div_scale_f64 v[202:203], s[18:19], v[200:201], v[200:201], 1.0
	v_rcp_f64_e32 v[218:219], v[202:203]
	s_nop 0
	v_fma_f64 v[220:221], -v[202:203], v[218:219], 1.0
	v_fmac_f64_e32 v[218:219], v[218:219], v[220:221]
	v_fma_f64 v[220:221], -v[202:203], v[218:219], 1.0
	v_fmac_f64_e32 v[218:219], v[218:219], v[220:221]
	v_div_scale_f64 v[220:221], vcc, 1.0, v[200:201], 1.0
	v_mul_f64 v[222:223], v[220:221], v[218:219]
	v_fma_f64 v[202:203], -v[202:203], v[222:223], v[220:221]
	s_nop 1
	v_div_fmas_f64 v[202:203], v[202:203], v[218:219], v[222:223]
	v_div_fixup_f64 v[200:201], v[202:203], v[200:201], 1.0
	v_mul_f64 v[202:203], v[216:217], -v[200:201]
.LBB98_135:
	s_or_b64 exec, exec, s[16:17]
.LBB98_136:
	s_or_b64 exec, exec, s[0:1]
	v_cmp_ne_u32_e32 vcc, v213, v210
	s_and_saveexec_b64 s[0:1], vcc
	s_xor_b64 s[0:1], exec, s[0:1]
	s_cbranch_execz .LBB98_142
; %bb.137:
	v_cmp_eq_u32_e32 vcc, 6, v213
	s_and_saveexec_b64 s[16:17], vcc
	s_cbranch_execz .LBB98_141
; %bb.138:
	v_cmp_ne_u32_e32 vcc, 6, v210
	s_xor_b64 s[18:19], s[14:15], -1
	s_and_b64 s[22:23], s[18:19], vcc
	s_and_saveexec_b64 s[18:19], s[22:23]
	s_cbranch_execz .LBB98_140
; %bb.139:
	v_ashrrev_i32_e32 v211, 31, v210
	v_lshl_add_u64 v[216:217], v[210:211], 2, v[208:209]
	global_load_dword v211, v[216:217], off
	global_load_dword v213, v[208:209], off offset:24
	s_waitcnt vmcnt(1)
	global_store_dword v[208:209], v211, off offset:24
	s_waitcnt vmcnt(1)
	global_store_dword v[216:217], v213, off
.LBB98_140:
	s_or_b64 exec, exec, s[18:19]
	v_mov_b32_e32 v213, v210
	v_mov_b32_e32 v215, v210
.LBB98_141:
	s_or_b64 exec, exec, s[16:17]
.LBB98_142:
	s_andn2_saveexec_b64 s[0:1], s[0:1]
	s_cbranch_execz .LBB98_144
; %bb.143:
	v_mov_b32_e32 v213, 6
	s_waitcnt vmcnt(42)
	ds_write2_b64 v212, v[172:173], v[174:175] offset0:14 offset1:15
	s_waitcnt vmcnt(41)
	ds_write2_b64 v212, v[168:169], v[170:171] offset0:16 offset1:17
	;; [unrolled: 2-line block ×43, first 2 shown]
.LBB98_144:
	s_or_b64 exec, exec, s[0:1]
	v_cmp_lt_i32_e32 vcc, 6, v213
	s_waitcnt lgkmcnt(0)
	s_barrier
	s_and_saveexec_b64 s[0:1], vcc
	s_cbranch_execz .LBB98_146
; %bb.145:
	ds_read2_b64 v[216:219], v212 offset0:14 offset1:15
	v_mul_f64 v[210:211], v[202:203], v[178:179]
	v_mul_f64 v[178:179], v[200:201], v[178:179]
	v_fmac_f64_e32 v[178:179], v[202:203], v[176:177]
	v_fma_f64 v[210:211], v[200:201], v[176:177], -v[210:211]
	ds_read2_b64 v[200:203], v212 offset0:16 offset1:17
	s_waitcnt lgkmcnt(1)
	v_mul_f64 v[176:177], v[218:219], v[178:179]
	v_fma_f64 v[176:177], v[216:217], v[210:211], -v[176:177]
	v_mul_f64 v[216:217], v[216:217], v[178:179]
	v_fmac_f64_e32 v[216:217], v[218:219], v[210:211]
	s_waitcnt vmcnt(42)
	v_add_f64 v[174:175], v[174:175], -v[216:217]
	ds_read2_b64 v[216:219], v212 offset0:18 offset1:19
	v_add_f64 v[172:173], v[172:173], -v[176:177]
	s_waitcnt lgkmcnt(1)
	v_mul_f64 v[176:177], v[202:203], v[178:179]
	v_fma_f64 v[176:177], v[200:201], v[210:211], -v[176:177]
	v_mul_f64 v[200:201], v[200:201], v[178:179]
	v_fmac_f64_e32 v[200:201], v[202:203], v[210:211]
	s_waitcnt vmcnt(41)
	v_add_f64 v[168:169], v[168:169], -v[176:177]
	v_add_f64 v[170:171], v[170:171], -v[200:201]
	ds_read2_b64 v[200:203], v212 offset0:20 offset1:21
	s_waitcnt lgkmcnt(1)
	v_mul_f64 v[176:177], v[218:219], v[178:179]
	v_fma_f64 v[176:177], v[216:217], v[210:211], -v[176:177]
	v_mul_f64 v[216:217], v[216:217], v[178:179]
	v_fmac_f64_e32 v[216:217], v[218:219], v[210:211]
	s_waitcnt vmcnt(40)
	v_add_f64 v[166:167], v[166:167], -v[216:217]
	ds_read2_b64 v[216:219], v212 offset0:22 offset1:23
	v_add_f64 v[164:165], v[164:165], -v[176:177]
	s_waitcnt lgkmcnt(1)
	v_mul_f64 v[176:177], v[202:203], v[178:179]
	v_fma_f64 v[176:177], v[200:201], v[210:211], -v[176:177]
	v_mul_f64 v[200:201], v[200:201], v[178:179]
	v_fmac_f64_e32 v[200:201], v[202:203], v[210:211]
	s_waitcnt vmcnt(39)
	v_add_f64 v[160:161], v[160:161], -v[176:177]
	v_add_f64 v[162:163], v[162:163], -v[200:201]
	;; [unrolled: 18-line block ×21, first 2 shown]
	s_waitcnt lgkmcnt(0)
	v_mul_f64 v[176:177], v[218:219], v[178:179]
	v_mul_f64 v[200:201], v[216:217], v[178:179]
	v_fma_f64 v[176:177], v[216:217], v[210:211], -v[176:177]
	v_fmac_f64_e32 v[200:201], v[218:219], v[210:211]
	s_waitcnt vmcnt(0)
	v_add_f64 v[196:197], v[196:197], -v[176:177]
	v_add_f64 v[198:199], v[198:199], -v[200:201]
	v_mov_b64_e32 v[176:177], v[210:211]
.LBB98_146:
	s_or_b64 exec, exec, s[0:1]
	v_lshl_add_u32 v200, v213, 4, v212
	s_barrier
	s_waitcnt vmcnt(42)
	ds_write2_b64 v200, v[172:173], v[174:175] offset1:1
	s_waitcnt lgkmcnt(0)
	s_barrier
	ds_read2_b64 v[200:203], v212 offset0:14 offset1:15
	s_cmp_lt_i32 s20, 9
	v_mov_b32_e32 v210, 7
	s_cbranch_scc1 .LBB98_149
; %bb.147:
	v_add_u32_e32 v211, 0x80, v212
	s_mov_b32 s16, 8
	v_mov_b32_e32 v210, 7
.LBB98_148:                             ; =>This Inner Loop Header: Depth=1
	ds_read2_b64 v[216:219], v211 offset1:1
	s_waitcnt lgkmcnt(1)
	v_xor_b32_e32 v221, 0x80000000, v201
	v_xor_b32_e32 v223, 0x80000000, v203
	v_cmp_gt_f64_e32 vcc, 0, v[202:203]
	v_cmp_gt_f64_e64 s[0:1], 0, v[200:201]
	v_mov_b32_e32 v220, v200
	v_mov_b32_e32 v222, v202
	v_cndmask_b32_e64 v221, v201, v221, s[0:1]
	v_cndmask_b32_e32 v223, v203, v223, vcc
	v_add_f64 v[220:221], v[220:221], v[222:223]
	s_waitcnt lgkmcnt(0)
	v_xor_b32_e32 v223, 0x80000000, v217
	v_xor_b32_e32 v225, 0x80000000, v219
	v_cmp_gt_f64_e32 vcc, 0, v[218:219]
	v_cmp_gt_f64_e64 s[0:1], 0, v[216:217]
	v_mov_b32_e32 v222, v216
	v_mov_b32_e32 v224, v218
	v_cndmask_b32_e64 v223, v217, v223, s[0:1]
	v_cndmask_b32_e32 v225, v219, v225, vcc
	v_add_f64 v[222:223], v[222:223], v[224:225]
	v_mov_b32_e32 v226, s16
	s_add_i32 s16, s16, 1
	v_cmp_lt_f64_e32 vcc, v[220:221], v[222:223]
	v_add_u32_e32 v211, 16, v211
	s_cmp_lg_u32 s20, s16
	v_cndmask_b32_e32 v201, v201, v217, vcc
	v_cndmask_b32_e32 v200, v200, v216, vcc
	;; [unrolled: 1-line block ×5, first 2 shown]
	s_cbranch_scc1 .LBB98_148
.LBB98_149:
	s_waitcnt lgkmcnt(0)
	v_cmp_eq_f64_e32 vcc, 0, v[200:201]
	v_cmp_eq_f64_e64 s[0:1], 0, v[202:203]
	s_and_b64 s[0:1], vcc, s[0:1]
	s_and_saveexec_b64 s[16:17], s[0:1]
	s_xor_b64 s[0:1], exec, s[16:17]
; %bb.150:
	v_cmp_ne_u32_e32 vcc, 0, v214
	s_nop 1
	v_cndmask_b32_e32 v214, 8, v214, vcc
; %bb.151:
	s_andn2_saveexec_b64 s[0:1], s[0:1]
	s_cbranch_execz .LBB98_157
; %bb.152:
	v_cmp_ngt_f64_e64 s[16:17], |v[200:201]|, |v[202:203]|
	s_and_saveexec_b64 s[18:19], s[16:17]
	s_xor_b64 s[16:17], exec, s[18:19]
	s_cbranch_execz .LBB98_154
; %bb.153:
	v_div_scale_f64 v[216:217], s[18:19], v[202:203], v[202:203], v[200:201]
	v_rcp_f64_e32 v[218:219], v[216:217]
	v_div_scale_f64 v[220:221], vcc, v[200:201], v[202:203], v[200:201]
	v_fma_f64 v[222:223], -v[216:217], v[218:219], 1.0
	v_fmac_f64_e32 v[218:219], v[218:219], v[222:223]
	v_fma_f64 v[222:223], -v[216:217], v[218:219], 1.0
	v_fmac_f64_e32 v[218:219], v[218:219], v[222:223]
	v_mul_f64 v[222:223], v[220:221], v[218:219]
	v_fma_f64 v[216:217], -v[216:217], v[222:223], v[220:221]
	v_div_fmas_f64 v[216:217], v[216:217], v[218:219], v[222:223]
	v_div_fixup_f64 v[216:217], v[216:217], v[202:203], v[200:201]
	v_fmac_f64_e32 v[202:203], v[200:201], v[216:217]
	v_div_scale_f64 v[200:201], s[18:19], v[202:203], v[202:203], 1.0
	v_rcp_f64_e32 v[218:219], v[200:201]
	s_nop 0
	v_fma_f64 v[220:221], -v[200:201], v[218:219], 1.0
	v_fmac_f64_e32 v[218:219], v[218:219], v[220:221]
	v_fma_f64 v[220:221], -v[200:201], v[218:219], 1.0
	v_fmac_f64_e32 v[218:219], v[218:219], v[220:221]
	v_div_scale_f64 v[220:221], vcc, 1.0, v[202:203], 1.0
	v_mul_f64 v[222:223], v[220:221], v[218:219]
	v_fma_f64 v[200:201], -v[200:201], v[222:223], v[220:221]
	s_nop 1
	v_div_fmas_f64 v[200:201], v[200:201], v[218:219], v[222:223]
	v_div_fixup_f64 v[202:203], v[200:201], v[202:203], 1.0
	v_mul_f64 v[200:201], v[216:217], v[202:203]
	v_xor_b32_e32 v203, 0x80000000, v203
.LBB98_154:
	s_andn2_saveexec_b64 s[16:17], s[16:17]
	s_cbranch_execz .LBB98_156
; %bb.155:
	v_div_scale_f64 v[216:217], s[18:19], v[200:201], v[200:201], v[202:203]
	v_rcp_f64_e32 v[218:219], v[216:217]
	v_div_scale_f64 v[220:221], vcc, v[202:203], v[200:201], v[202:203]
	v_fma_f64 v[222:223], -v[216:217], v[218:219], 1.0
	v_fmac_f64_e32 v[218:219], v[218:219], v[222:223]
	v_fma_f64 v[222:223], -v[216:217], v[218:219], 1.0
	v_fmac_f64_e32 v[218:219], v[218:219], v[222:223]
	v_mul_f64 v[222:223], v[220:221], v[218:219]
	v_fma_f64 v[216:217], -v[216:217], v[222:223], v[220:221]
	v_div_fmas_f64 v[216:217], v[216:217], v[218:219], v[222:223]
	v_div_fixup_f64 v[216:217], v[216:217], v[200:201], v[202:203]
	v_fmac_f64_e32 v[200:201], v[202:203], v[216:217]
	v_div_scale_f64 v[202:203], s[18:19], v[200:201], v[200:201], 1.0
	v_rcp_f64_e32 v[218:219], v[202:203]
	s_nop 0
	v_fma_f64 v[220:221], -v[202:203], v[218:219], 1.0
	v_fmac_f64_e32 v[218:219], v[218:219], v[220:221]
	v_fma_f64 v[220:221], -v[202:203], v[218:219], 1.0
	v_fmac_f64_e32 v[218:219], v[218:219], v[220:221]
	v_div_scale_f64 v[220:221], vcc, 1.0, v[200:201], 1.0
	v_mul_f64 v[222:223], v[220:221], v[218:219]
	v_fma_f64 v[202:203], -v[202:203], v[222:223], v[220:221]
	s_nop 1
	v_div_fmas_f64 v[202:203], v[202:203], v[218:219], v[222:223]
	v_div_fixup_f64 v[200:201], v[202:203], v[200:201], 1.0
	v_mul_f64 v[202:203], v[216:217], -v[200:201]
.LBB98_156:
	s_or_b64 exec, exec, s[16:17]
.LBB98_157:
	s_or_b64 exec, exec, s[0:1]
	v_cmp_ne_u32_e32 vcc, v213, v210
	s_and_saveexec_b64 s[0:1], vcc
	s_xor_b64 s[0:1], exec, s[0:1]
	s_cbranch_execz .LBB98_163
; %bb.158:
	v_cmp_eq_u32_e32 vcc, 7, v213
	s_and_saveexec_b64 s[16:17], vcc
	s_cbranch_execz .LBB98_162
; %bb.159:
	v_cmp_ne_u32_e32 vcc, 7, v210
	s_xor_b64 s[18:19], s[14:15], -1
	s_and_b64 s[22:23], s[18:19], vcc
	s_and_saveexec_b64 s[18:19], s[22:23]
	s_cbranch_execz .LBB98_161
; %bb.160:
	v_ashrrev_i32_e32 v211, 31, v210
	v_lshl_add_u64 v[216:217], v[210:211], 2, v[208:209]
	global_load_dword v211, v[216:217], off
	global_load_dword v213, v[208:209], off offset:28
	s_waitcnt vmcnt(1)
	global_store_dword v[208:209], v211, off offset:28
	s_waitcnt vmcnt(1)
	global_store_dword v[216:217], v213, off
.LBB98_161:
	s_or_b64 exec, exec, s[18:19]
	v_mov_b32_e32 v213, v210
	v_mov_b32_e32 v215, v210
.LBB98_162:
	s_or_b64 exec, exec, s[16:17]
.LBB98_163:
	s_andn2_saveexec_b64 s[0:1], s[0:1]
	s_cbranch_execz .LBB98_165
; %bb.164:
	v_mov_b32_e32 v213, 7
	s_waitcnt vmcnt(41)
	ds_write2_b64 v212, v[168:169], v[170:171] offset0:16 offset1:17
	s_waitcnt vmcnt(40)
	ds_write2_b64 v212, v[164:165], v[166:167] offset0:18 offset1:19
	;; [unrolled: 2-line block ×42, first 2 shown]
.LBB98_165:
	s_or_b64 exec, exec, s[0:1]
	v_cmp_lt_i32_e32 vcc, 7, v213
	s_waitcnt lgkmcnt(0)
	s_barrier
	s_and_saveexec_b64 s[0:1], vcc
	s_cbranch_execz .LBB98_167
; %bb.166:
	ds_read2_b64 v[216:219], v212 offset0:16 offset1:17
	v_mul_f64 v[210:211], v[202:203], v[174:175]
	v_mul_f64 v[174:175], v[200:201], v[174:175]
	v_fma_f64 v[210:211], v[200:201], v[172:173], -v[210:211]
	v_fmac_f64_e32 v[174:175], v[202:203], v[172:173]
	ds_read2_b64 v[200:203], v212 offset0:18 offset1:19
	s_waitcnt lgkmcnt(1)
	v_mul_f64 v[172:173], v[218:219], v[174:175]
	v_fma_f64 v[172:173], v[216:217], v[210:211], -v[172:173]
	v_mul_f64 v[216:217], v[216:217], v[174:175]
	v_fmac_f64_e32 v[216:217], v[218:219], v[210:211]
	s_waitcnt vmcnt(41)
	v_add_f64 v[168:169], v[168:169], -v[172:173]
	s_waitcnt lgkmcnt(0)
	v_mul_f64 v[172:173], v[202:203], v[174:175]
	v_add_f64 v[170:171], v[170:171], -v[216:217]
	v_fma_f64 v[172:173], v[200:201], v[210:211], -v[172:173]
	v_mul_f64 v[200:201], v[200:201], v[174:175]
	ds_read2_b64 v[216:219], v212 offset0:20 offset1:21
	v_fmac_f64_e32 v[200:201], v[202:203], v[210:211]
	s_waitcnt vmcnt(40)
	v_add_f64 v[166:167], v[166:167], -v[200:201]
	ds_read2_b64 v[200:203], v212 offset0:22 offset1:23
	v_add_f64 v[164:165], v[164:165], -v[172:173]
	s_waitcnt lgkmcnt(1)
	v_mul_f64 v[172:173], v[218:219], v[174:175]
	v_fma_f64 v[172:173], v[216:217], v[210:211], -v[172:173]
	v_mul_f64 v[216:217], v[216:217], v[174:175]
	v_fmac_f64_e32 v[216:217], v[218:219], v[210:211]
	s_waitcnt vmcnt(39)
	v_add_f64 v[160:161], v[160:161], -v[172:173]
	s_waitcnt lgkmcnt(0)
	v_mul_f64 v[172:173], v[202:203], v[174:175]
	v_add_f64 v[162:163], v[162:163], -v[216:217]
	v_fma_f64 v[172:173], v[200:201], v[210:211], -v[172:173]
	v_mul_f64 v[200:201], v[200:201], v[174:175]
	ds_read2_b64 v[216:219], v212 offset0:24 offset1:25
	v_fmac_f64_e32 v[200:201], v[202:203], v[210:211]
	s_waitcnt vmcnt(38)
	v_add_f64 v[158:159], v[158:159], -v[200:201]
	ds_read2_b64 v[200:203], v212 offset0:26 offset1:27
	v_add_f64 v[156:157], v[156:157], -v[172:173]
	;; [unrolled: 18-line block ×20, first 2 shown]
	s_waitcnt lgkmcnt(1)
	v_mul_f64 v[172:173], v[218:219], v[174:175]
	v_fma_f64 v[172:173], v[216:217], v[210:211], -v[172:173]
	s_waitcnt vmcnt(1)
	v_add_f64 v[0:1], v[0:1], -v[172:173]
	s_waitcnt lgkmcnt(0)
	v_mul_f64 v[172:173], v[202:203], v[174:175]
	v_mul_f64 v[216:217], v[216:217], v[174:175]
	v_fma_f64 v[172:173], v[200:201], v[210:211], -v[172:173]
	v_mul_f64 v[200:201], v[200:201], v[174:175]
	v_fmac_f64_e32 v[216:217], v[218:219], v[210:211]
	v_fmac_f64_e32 v[200:201], v[202:203], v[210:211]
	v_add_f64 v[2:3], v[2:3], -v[216:217]
	s_waitcnt vmcnt(0)
	v_add_f64 v[196:197], v[196:197], -v[172:173]
	v_add_f64 v[198:199], v[198:199], -v[200:201]
	v_mov_b64_e32 v[172:173], v[210:211]
.LBB98_167:
	s_or_b64 exec, exec, s[0:1]
	v_lshl_add_u32 v200, v213, 4, v212
	s_barrier
	s_waitcnt vmcnt(41)
	ds_write2_b64 v200, v[168:169], v[170:171] offset1:1
	s_waitcnt lgkmcnt(0)
	s_barrier
	ds_read2_b64 v[200:203], v212 offset0:16 offset1:17
	s_cmp_lt_i32 s20, 10
	v_mov_b32_e32 v210, 8
	s_cbranch_scc1 .LBB98_170
; %bb.168:
	v_add_u32_e32 v211, 0x90, v212
	s_mov_b32 s16, 9
	v_mov_b32_e32 v210, 8
.LBB98_169:                             ; =>This Inner Loop Header: Depth=1
	ds_read2_b64 v[216:219], v211 offset1:1
	s_waitcnt lgkmcnt(1)
	v_xor_b32_e32 v221, 0x80000000, v201
	v_xor_b32_e32 v223, 0x80000000, v203
	v_cmp_gt_f64_e32 vcc, 0, v[202:203]
	v_cmp_gt_f64_e64 s[0:1], 0, v[200:201]
	v_mov_b32_e32 v220, v200
	v_mov_b32_e32 v222, v202
	v_cndmask_b32_e64 v221, v201, v221, s[0:1]
	v_cndmask_b32_e32 v223, v203, v223, vcc
	v_add_f64 v[220:221], v[220:221], v[222:223]
	s_waitcnt lgkmcnt(0)
	v_xor_b32_e32 v223, 0x80000000, v217
	v_xor_b32_e32 v225, 0x80000000, v219
	v_cmp_gt_f64_e32 vcc, 0, v[218:219]
	v_cmp_gt_f64_e64 s[0:1], 0, v[216:217]
	v_mov_b32_e32 v222, v216
	v_mov_b32_e32 v224, v218
	v_cndmask_b32_e64 v223, v217, v223, s[0:1]
	v_cndmask_b32_e32 v225, v219, v225, vcc
	v_add_f64 v[222:223], v[222:223], v[224:225]
	v_mov_b32_e32 v226, s16
	s_add_i32 s16, s16, 1
	v_cmp_lt_f64_e32 vcc, v[220:221], v[222:223]
	v_add_u32_e32 v211, 16, v211
	s_cmp_lg_u32 s20, s16
	v_cndmask_b32_e32 v201, v201, v217, vcc
	v_cndmask_b32_e32 v200, v200, v216, vcc
	;; [unrolled: 1-line block ×5, first 2 shown]
	s_cbranch_scc1 .LBB98_169
.LBB98_170:
	s_waitcnt lgkmcnt(0)
	v_cmp_eq_f64_e32 vcc, 0, v[200:201]
	v_cmp_eq_f64_e64 s[0:1], 0, v[202:203]
	s_and_b64 s[0:1], vcc, s[0:1]
	s_and_saveexec_b64 s[16:17], s[0:1]
	s_xor_b64 s[0:1], exec, s[16:17]
; %bb.171:
	v_cmp_ne_u32_e32 vcc, 0, v214
	s_nop 1
	v_cndmask_b32_e32 v214, 9, v214, vcc
; %bb.172:
	s_andn2_saveexec_b64 s[0:1], s[0:1]
	s_cbranch_execz .LBB98_178
; %bb.173:
	v_cmp_ngt_f64_e64 s[16:17], |v[200:201]|, |v[202:203]|
	s_and_saveexec_b64 s[18:19], s[16:17]
	s_xor_b64 s[16:17], exec, s[18:19]
	s_cbranch_execz .LBB98_175
; %bb.174:
	v_div_scale_f64 v[216:217], s[18:19], v[202:203], v[202:203], v[200:201]
	v_rcp_f64_e32 v[218:219], v[216:217]
	v_div_scale_f64 v[220:221], vcc, v[200:201], v[202:203], v[200:201]
	v_fma_f64 v[222:223], -v[216:217], v[218:219], 1.0
	v_fmac_f64_e32 v[218:219], v[218:219], v[222:223]
	v_fma_f64 v[222:223], -v[216:217], v[218:219], 1.0
	v_fmac_f64_e32 v[218:219], v[218:219], v[222:223]
	v_mul_f64 v[222:223], v[220:221], v[218:219]
	v_fma_f64 v[216:217], -v[216:217], v[222:223], v[220:221]
	v_div_fmas_f64 v[216:217], v[216:217], v[218:219], v[222:223]
	v_div_fixup_f64 v[216:217], v[216:217], v[202:203], v[200:201]
	v_fmac_f64_e32 v[202:203], v[200:201], v[216:217]
	v_div_scale_f64 v[200:201], s[18:19], v[202:203], v[202:203], 1.0
	v_rcp_f64_e32 v[218:219], v[200:201]
	s_nop 0
	v_fma_f64 v[220:221], -v[200:201], v[218:219], 1.0
	v_fmac_f64_e32 v[218:219], v[218:219], v[220:221]
	v_fma_f64 v[220:221], -v[200:201], v[218:219], 1.0
	v_fmac_f64_e32 v[218:219], v[218:219], v[220:221]
	v_div_scale_f64 v[220:221], vcc, 1.0, v[202:203], 1.0
	v_mul_f64 v[222:223], v[220:221], v[218:219]
	v_fma_f64 v[200:201], -v[200:201], v[222:223], v[220:221]
	s_nop 1
	v_div_fmas_f64 v[200:201], v[200:201], v[218:219], v[222:223]
	v_div_fixup_f64 v[202:203], v[200:201], v[202:203], 1.0
	v_mul_f64 v[200:201], v[216:217], v[202:203]
	v_xor_b32_e32 v203, 0x80000000, v203
.LBB98_175:
	s_andn2_saveexec_b64 s[16:17], s[16:17]
	s_cbranch_execz .LBB98_177
; %bb.176:
	v_div_scale_f64 v[216:217], s[18:19], v[200:201], v[200:201], v[202:203]
	v_rcp_f64_e32 v[218:219], v[216:217]
	v_div_scale_f64 v[220:221], vcc, v[202:203], v[200:201], v[202:203]
	v_fma_f64 v[222:223], -v[216:217], v[218:219], 1.0
	v_fmac_f64_e32 v[218:219], v[218:219], v[222:223]
	v_fma_f64 v[222:223], -v[216:217], v[218:219], 1.0
	v_fmac_f64_e32 v[218:219], v[218:219], v[222:223]
	v_mul_f64 v[222:223], v[220:221], v[218:219]
	v_fma_f64 v[216:217], -v[216:217], v[222:223], v[220:221]
	v_div_fmas_f64 v[216:217], v[216:217], v[218:219], v[222:223]
	v_div_fixup_f64 v[216:217], v[216:217], v[200:201], v[202:203]
	v_fmac_f64_e32 v[200:201], v[202:203], v[216:217]
	v_div_scale_f64 v[202:203], s[18:19], v[200:201], v[200:201], 1.0
	v_rcp_f64_e32 v[218:219], v[202:203]
	s_nop 0
	v_fma_f64 v[220:221], -v[202:203], v[218:219], 1.0
	v_fmac_f64_e32 v[218:219], v[218:219], v[220:221]
	v_fma_f64 v[220:221], -v[202:203], v[218:219], 1.0
	v_fmac_f64_e32 v[218:219], v[218:219], v[220:221]
	v_div_scale_f64 v[220:221], vcc, 1.0, v[200:201], 1.0
	v_mul_f64 v[222:223], v[220:221], v[218:219]
	v_fma_f64 v[202:203], -v[202:203], v[222:223], v[220:221]
	s_nop 1
	v_div_fmas_f64 v[202:203], v[202:203], v[218:219], v[222:223]
	v_div_fixup_f64 v[200:201], v[202:203], v[200:201], 1.0
	v_mul_f64 v[202:203], v[216:217], -v[200:201]
.LBB98_177:
	s_or_b64 exec, exec, s[16:17]
.LBB98_178:
	s_or_b64 exec, exec, s[0:1]
	v_cmp_ne_u32_e32 vcc, v213, v210
	s_and_saveexec_b64 s[0:1], vcc
	s_xor_b64 s[0:1], exec, s[0:1]
	s_cbranch_execz .LBB98_184
; %bb.179:
	v_cmp_eq_u32_e32 vcc, 8, v213
	s_and_saveexec_b64 s[16:17], vcc
	s_cbranch_execz .LBB98_183
; %bb.180:
	v_cmp_ne_u32_e32 vcc, 8, v210
	s_xor_b64 s[18:19], s[14:15], -1
	s_and_b64 s[22:23], s[18:19], vcc
	s_and_saveexec_b64 s[18:19], s[22:23]
	s_cbranch_execz .LBB98_182
; %bb.181:
	v_ashrrev_i32_e32 v211, 31, v210
	v_lshl_add_u64 v[216:217], v[210:211], 2, v[208:209]
	global_load_dword v211, v[216:217], off
	global_load_dword v213, v[208:209], off offset:32
	s_waitcnt vmcnt(1)
	global_store_dword v[208:209], v211, off offset:32
	s_waitcnt vmcnt(1)
	global_store_dword v[216:217], v213, off
.LBB98_182:
	s_or_b64 exec, exec, s[18:19]
	v_mov_b32_e32 v213, v210
	v_mov_b32_e32 v215, v210
.LBB98_183:
	s_or_b64 exec, exec, s[16:17]
.LBB98_184:
	s_andn2_saveexec_b64 s[0:1], s[0:1]
	s_cbranch_execz .LBB98_186
; %bb.185:
	v_mov_b32_e32 v213, 8
	s_waitcnt vmcnt(40)
	ds_write2_b64 v212, v[164:165], v[166:167] offset0:18 offset1:19
	s_waitcnt vmcnt(39)
	ds_write2_b64 v212, v[160:161], v[162:163] offset0:20 offset1:21
	;; [unrolled: 2-line block ×41, first 2 shown]
.LBB98_186:
	s_or_b64 exec, exec, s[0:1]
	v_cmp_lt_i32_e32 vcc, 8, v213
	s_waitcnt lgkmcnt(0)
	s_barrier
	s_and_saveexec_b64 s[0:1], vcc
	s_cbranch_execz .LBB98_188
; %bb.187:
	ds_read2_b64 v[216:219], v212 offset0:18 offset1:19
	v_mul_f64 v[210:211], v[202:203], v[170:171]
	v_mul_f64 v[170:171], v[200:201], v[170:171]
	v_fmac_f64_e32 v[170:171], v[202:203], v[168:169]
	v_fma_f64 v[210:211], v[200:201], v[168:169], -v[210:211]
	ds_read2_b64 v[200:203], v212 offset0:20 offset1:21
	s_waitcnt lgkmcnt(1)
	v_mul_f64 v[168:169], v[218:219], v[170:171]
	v_fma_f64 v[168:169], v[216:217], v[210:211], -v[168:169]
	v_mul_f64 v[216:217], v[216:217], v[170:171]
	v_fmac_f64_e32 v[216:217], v[218:219], v[210:211]
	s_waitcnt vmcnt(40)
	v_add_f64 v[166:167], v[166:167], -v[216:217]
	ds_read2_b64 v[216:219], v212 offset0:22 offset1:23
	v_add_f64 v[164:165], v[164:165], -v[168:169]
	s_waitcnt lgkmcnt(1)
	v_mul_f64 v[168:169], v[202:203], v[170:171]
	v_fma_f64 v[168:169], v[200:201], v[210:211], -v[168:169]
	v_mul_f64 v[200:201], v[200:201], v[170:171]
	v_fmac_f64_e32 v[200:201], v[202:203], v[210:211]
	s_waitcnt vmcnt(39)
	v_add_f64 v[160:161], v[160:161], -v[168:169]
	v_add_f64 v[162:163], v[162:163], -v[200:201]
	ds_read2_b64 v[200:203], v212 offset0:24 offset1:25
	s_waitcnt lgkmcnt(1)
	v_mul_f64 v[168:169], v[218:219], v[170:171]
	v_fma_f64 v[168:169], v[216:217], v[210:211], -v[168:169]
	v_mul_f64 v[216:217], v[216:217], v[170:171]
	v_fmac_f64_e32 v[216:217], v[218:219], v[210:211]
	s_waitcnt vmcnt(38)
	v_add_f64 v[158:159], v[158:159], -v[216:217]
	ds_read2_b64 v[216:219], v212 offset0:26 offset1:27
	v_add_f64 v[156:157], v[156:157], -v[168:169]
	s_waitcnt lgkmcnt(1)
	v_mul_f64 v[168:169], v[202:203], v[170:171]
	v_fma_f64 v[168:169], v[200:201], v[210:211], -v[168:169]
	v_mul_f64 v[200:201], v[200:201], v[170:171]
	v_fmac_f64_e32 v[200:201], v[202:203], v[210:211]
	s_waitcnt vmcnt(37)
	v_add_f64 v[152:153], v[152:153], -v[168:169]
	v_add_f64 v[154:155], v[154:155], -v[200:201]
	;; [unrolled: 18-line block ×20, first 2 shown]
	s_waitcnt lgkmcnt(0)
	v_mul_f64 v[168:169], v[218:219], v[170:171]
	v_mul_f64 v[200:201], v[216:217], v[170:171]
	v_fma_f64 v[168:169], v[216:217], v[210:211], -v[168:169]
	v_fmac_f64_e32 v[200:201], v[218:219], v[210:211]
	s_waitcnt vmcnt(0)
	v_add_f64 v[196:197], v[196:197], -v[168:169]
	v_add_f64 v[198:199], v[198:199], -v[200:201]
	v_mov_b64_e32 v[168:169], v[210:211]
.LBB98_188:
	s_or_b64 exec, exec, s[0:1]
	v_lshl_add_u32 v200, v213, 4, v212
	s_barrier
	s_waitcnt vmcnt(40)
	ds_write2_b64 v200, v[164:165], v[166:167] offset1:1
	s_waitcnt lgkmcnt(0)
	s_barrier
	ds_read2_b64 v[200:203], v212 offset0:18 offset1:19
	s_cmp_lt_i32 s20, 11
	v_mov_b32_e32 v210, 9
	s_cbranch_scc1 .LBB98_191
; %bb.189:
	v_add_u32_e32 v211, 0xa0, v212
	s_mov_b32 s16, 10
	v_mov_b32_e32 v210, 9
.LBB98_190:                             ; =>This Inner Loop Header: Depth=1
	ds_read2_b64 v[216:219], v211 offset1:1
	s_waitcnt lgkmcnt(1)
	v_xor_b32_e32 v221, 0x80000000, v201
	v_xor_b32_e32 v223, 0x80000000, v203
	v_cmp_gt_f64_e32 vcc, 0, v[202:203]
	v_cmp_gt_f64_e64 s[0:1], 0, v[200:201]
	v_mov_b32_e32 v220, v200
	v_mov_b32_e32 v222, v202
	v_cndmask_b32_e64 v221, v201, v221, s[0:1]
	v_cndmask_b32_e32 v223, v203, v223, vcc
	v_add_f64 v[220:221], v[220:221], v[222:223]
	s_waitcnt lgkmcnt(0)
	v_xor_b32_e32 v223, 0x80000000, v217
	v_xor_b32_e32 v225, 0x80000000, v219
	v_cmp_gt_f64_e32 vcc, 0, v[218:219]
	v_cmp_gt_f64_e64 s[0:1], 0, v[216:217]
	v_mov_b32_e32 v222, v216
	v_mov_b32_e32 v224, v218
	v_cndmask_b32_e64 v223, v217, v223, s[0:1]
	v_cndmask_b32_e32 v225, v219, v225, vcc
	v_add_f64 v[222:223], v[222:223], v[224:225]
	v_mov_b32_e32 v226, s16
	s_add_i32 s16, s16, 1
	v_cmp_lt_f64_e32 vcc, v[220:221], v[222:223]
	v_add_u32_e32 v211, 16, v211
	s_cmp_lg_u32 s20, s16
	v_cndmask_b32_e32 v201, v201, v217, vcc
	v_cndmask_b32_e32 v200, v200, v216, vcc
	;; [unrolled: 1-line block ×5, first 2 shown]
	s_cbranch_scc1 .LBB98_190
.LBB98_191:
	s_waitcnt lgkmcnt(0)
	v_cmp_eq_f64_e32 vcc, 0, v[200:201]
	v_cmp_eq_f64_e64 s[0:1], 0, v[202:203]
	s_and_b64 s[0:1], vcc, s[0:1]
	s_and_saveexec_b64 s[16:17], s[0:1]
	s_xor_b64 s[0:1], exec, s[16:17]
; %bb.192:
	v_cmp_ne_u32_e32 vcc, 0, v214
	s_nop 1
	v_cndmask_b32_e32 v214, 10, v214, vcc
; %bb.193:
	s_andn2_saveexec_b64 s[0:1], s[0:1]
	s_cbranch_execz .LBB98_199
; %bb.194:
	v_cmp_ngt_f64_e64 s[16:17], |v[200:201]|, |v[202:203]|
	s_and_saveexec_b64 s[18:19], s[16:17]
	s_xor_b64 s[16:17], exec, s[18:19]
	s_cbranch_execz .LBB98_196
; %bb.195:
	v_div_scale_f64 v[216:217], s[18:19], v[202:203], v[202:203], v[200:201]
	v_rcp_f64_e32 v[218:219], v[216:217]
	v_div_scale_f64 v[220:221], vcc, v[200:201], v[202:203], v[200:201]
	v_fma_f64 v[222:223], -v[216:217], v[218:219], 1.0
	v_fmac_f64_e32 v[218:219], v[218:219], v[222:223]
	v_fma_f64 v[222:223], -v[216:217], v[218:219], 1.0
	v_fmac_f64_e32 v[218:219], v[218:219], v[222:223]
	v_mul_f64 v[222:223], v[220:221], v[218:219]
	v_fma_f64 v[216:217], -v[216:217], v[222:223], v[220:221]
	v_div_fmas_f64 v[216:217], v[216:217], v[218:219], v[222:223]
	v_div_fixup_f64 v[216:217], v[216:217], v[202:203], v[200:201]
	v_fmac_f64_e32 v[202:203], v[200:201], v[216:217]
	v_div_scale_f64 v[200:201], s[18:19], v[202:203], v[202:203], 1.0
	v_rcp_f64_e32 v[218:219], v[200:201]
	s_nop 0
	v_fma_f64 v[220:221], -v[200:201], v[218:219], 1.0
	v_fmac_f64_e32 v[218:219], v[218:219], v[220:221]
	v_fma_f64 v[220:221], -v[200:201], v[218:219], 1.0
	v_fmac_f64_e32 v[218:219], v[218:219], v[220:221]
	v_div_scale_f64 v[220:221], vcc, 1.0, v[202:203], 1.0
	v_mul_f64 v[222:223], v[220:221], v[218:219]
	v_fma_f64 v[200:201], -v[200:201], v[222:223], v[220:221]
	s_nop 1
	v_div_fmas_f64 v[200:201], v[200:201], v[218:219], v[222:223]
	v_div_fixup_f64 v[202:203], v[200:201], v[202:203], 1.0
	v_mul_f64 v[200:201], v[216:217], v[202:203]
	v_xor_b32_e32 v203, 0x80000000, v203
.LBB98_196:
	s_andn2_saveexec_b64 s[16:17], s[16:17]
	s_cbranch_execz .LBB98_198
; %bb.197:
	v_div_scale_f64 v[216:217], s[18:19], v[200:201], v[200:201], v[202:203]
	v_rcp_f64_e32 v[218:219], v[216:217]
	v_div_scale_f64 v[220:221], vcc, v[202:203], v[200:201], v[202:203]
	v_fma_f64 v[222:223], -v[216:217], v[218:219], 1.0
	v_fmac_f64_e32 v[218:219], v[218:219], v[222:223]
	v_fma_f64 v[222:223], -v[216:217], v[218:219], 1.0
	v_fmac_f64_e32 v[218:219], v[218:219], v[222:223]
	v_mul_f64 v[222:223], v[220:221], v[218:219]
	v_fma_f64 v[216:217], -v[216:217], v[222:223], v[220:221]
	v_div_fmas_f64 v[216:217], v[216:217], v[218:219], v[222:223]
	v_div_fixup_f64 v[216:217], v[216:217], v[200:201], v[202:203]
	v_fmac_f64_e32 v[200:201], v[202:203], v[216:217]
	v_div_scale_f64 v[202:203], s[18:19], v[200:201], v[200:201], 1.0
	v_rcp_f64_e32 v[218:219], v[202:203]
	s_nop 0
	v_fma_f64 v[220:221], -v[202:203], v[218:219], 1.0
	v_fmac_f64_e32 v[218:219], v[218:219], v[220:221]
	v_fma_f64 v[220:221], -v[202:203], v[218:219], 1.0
	v_fmac_f64_e32 v[218:219], v[218:219], v[220:221]
	v_div_scale_f64 v[220:221], vcc, 1.0, v[200:201], 1.0
	v_mul_f64 v[222:223], v[220:221], v[218:219]
	v_fma_f64 v[202:203], -v[202:203], v[222:223], v[220:221]
	s_nop 1
	v_div_fmas_f64 v[202:203], v[202:203], v[218:219], v[222:223]
	v_div_fixup_f64 v[200:201], v[202:203], v[200:201], 1.0
	v_mul_f64 v[202:203], v[216:217], -v[200:201]
.LBB98_198:
	s_or_b64 exec, exec, s[16:17]
.LBB98_199:
	s_or_b64 exec, exec, s[0:1]
	v_cmp_ne_u32_e32 vcc, v213, v210
	s_and_saveexec_b64 s[0:1], vcc
	s_xor_b64 s[0:1], exec, s[0:1]
	s_cbranch_execz .LBB98_205
; %bb.200:
	v_cmp_eq_u32_e32 vcc, 9, v213
	s_and_saveexec_b64 s[16:17], vcc
	s_cbranch_execz .LBB98_204
; %bb.201:
	v_cmp_ne_u32_e32 vcc, 9, v210
	s_xor_b64 s[18:19], s[14:15], -1
	s_and_b64 s[22:23], s[18:19], vcc
	s_and_saveexec_b64 s[18:19], s[22:23]
	s_cbranch_execz .LBB98_203
; %bb.202:
	v_ashrrev_i32_e32 v211, 31, v210
	v_lshl_add_u64 v[216:217], v[210:211], 2, v[208:209]
	global_load_dword v211, v[216:217], off
	global_load_dword v213, v[208:209], off offset:36
	s_waitcnt vmcnt(1)
	global_store_dword v[208:209], v211, off offset:36
	s_waitcnt vmcnt(1)
	global_store_dword v[216:217], v213, off
.LBB98_203:
	s_or_b64 exec, exec, s[18:19]
	v_mov_b32_e32 v213, v210
	v_mov_b32_e32 v215, v210
.LBB98_204:
	s_or_b64 exec, exec, s[16:17]
.LBB98_205:
	s_andn2_saveexec_b64 s[0:1], s[0:1]
	s_cbranch_execz .LBB98_207
; %bb.206:
	v_mov_b32_e32 v213, 9
	s_waitcnt vmcnt(39)
	ds_write2_b64 v212, v[160:161], v[162:163] offset0:20 offset1:21
	s_waitcnt vmcnt(38)
	ds_write2_b64 v212, v[156:157], v[158:159] offset0:22 offset1:23
	;; [unrolled: 2-line block ×40, first 2 shown]
.LBB98_207:
	s_or_b64 exec, exec, s[0:1]
	v_cmp_lt_i32_e32 vcc, 9, v213
	s_waitcnt lgkmcnt(0)
	s_barrier
	s_and_saveexec_b64 s[0:1], vcc
	s_cbranch_execz .LBB98_209
; %bb.208:
	ds_read2_b64 v[216:219], v212 offset0:20 offset1:21
	v_mul_f64 v[210:211], v[202:203], v[166:167]
	v_mul_f64 v[166:167], v[200:201], v[166:167]
	v_fma_f64 v[210:211], v[200:201], v[164:165], -v[210:211]
	v_fmac_f64_e32 v[166:167], v[202:203], v[164:165]
	ds_read2_b64 v[200:203], v212 offset0:22 offset1:23
	s_waitcnt lgkmcnt(1)
	v_mul_f64 v[164:165], v[218:219], v[166:167]
	v_fma_f64 v[164:165], v[216:217], v[210:211], -v[164:165]
	v_mul_f64 v[216:217], v[216:217], v[166:167]
	v_fmac_f64_e32 v[216:217], v[218:219], v[210:211]
	s_waitcnt vmcnt(39)
	v_add_f64 v[160:161], v[160:161], -v[164:165]
	s_waitcnt lgkmcnt(0)
	v_mul_f64 v[164:165], v[202:203], v[166:167]
	v_add_f64 v[162:163], v[162:163], -v[216:217]
	v_fma_f64 v[164:165], v[200:201], v[210:211], -v[164:165]
	v_mul_f64 v[200:201], v[200:201], v[166:167]
	ds_read2_b64 v[216:219], v212 offset0:24 offset1:25
	v_fmac_f64_e32 v[200:201], v[202:203], v[210:211]
	s_waitcnt vmcnt(38)
	v_add_f64 v[158:159], v[158:159], -v[200:201]
	ds_read2_b64 v[200:203], v212 offset0:26 offset1:27
	v_add_f64 v[156:157], v[156:157], -v[164:165]
	s_waitcnt lgkmcnt(1)
	v_mul_f64 v[164:165], v[218:219], v[166:167]
	v_fma_f64 v[164:165], v[216:217], v[210:211], -v[164:165]
	v_mul_f64 v[216:217], v[216:217], v[166:167]
	v_fmac_f64_e32 v[216:217], v[218:219], v[210:211]
	s_waitcnt vmcnt(37)
	v_add_f64 v[152:153], v[152:153], -v[164:165]
	s_waitcnt lgkmcnt(0)
	v_mul_f64 v[164:165], v[202:203], v[166:167]
	v_add_f64 v[154:155], v[154:155], -v[216:217]
	v_fma_f64 v[164:165], v[200:201], v[210:211], -v[164:165]
	v_mul_f64 v[200:201], v[200:201], v[166:167]
	ds_read2_b64 v[216:219], v212 offset0:28 offset1:29
	v_fmac_f64_e32 v[200:201], v[202:203], v[210:211]
	s_waitcnt vmcnt(36)
	v_add_f64 v[150:151], v[150:151], -v[200:201]
	ds_read2_b64 v[200:203], v212 offset0:30 offset1:31
	v_add_f64 v[148:149], v[148:149], -v[164:165]
	;; [unrolled: 18-line block ×19, first 2 shown]
	s_waitcnt lgkmcnt(1)
	v_mul_f64 v[164:165], v[218:219], v[166:167]
	v_fma_f64 v[164:165], v[216:217], v[210:211], -v[164:165]
	s_waitcnt vmcnt(1)
	v_add_f64 v[0:1], v[0:1], -v[164:165]
	s_waitcnt lgkmcnt(0)
	v_mul_f64 v[164:165], v[202:203], v[166:167]
	v_mul_f64 v[216:217], v[216:217], v[166:167]
	v_fma_f64 v[164:165], v[200:201], v[210:211], -v[164:165]
	v_mul_f64 v[200:201], v[200:201], v[166:167]
	v_fmac_f64_e32 v[216:217], v[218:219], v[210:211]
	v_fmac_f64_e32 v[200:201], v[202:203], v[210:211]
	v_add_f64 v[2:3], v[2:3], -v[216:217]
	s_waitcnt vmcnt(0)
	v_add_f64 v[196:197], v[196:197], -v[164:165]
	v_add_f64 v[198:199], v[198:199], -v[200:201]
	v_mov_b64_e32 v[164:165], v[210:211]
.LBB98_209:
	s_or_b64 exec, exec, s[0:1]
	v_lshl_add_u32 v200, v213, 4, v212
	s_barrier
	s_waitcnt vmcnt(39)
	ds_write2_b64 v200, v[160:161], v[162:163] offset1:1
	s_waitcnt lgkmcnt(0)
	s_barrier
	ds_read2_b64 v[200:203], v212 offset0:20 offset1:21
	s_cmp_lt_i32 s20, 12
	v_mov_b32_e32 v210, 10
	s_cbranch_scc1 .LBB98_212
; %bb.210:
	v_add_u32_e32 v211, 0xb0, v212
	s_mov_b32 s16, 11
	v_mov_b32_e32 v210, 10
.LBB98_211:                             ; =>This Inner Loop Header: Depth=1
	ds_read2_b64 v[216:219], v211 offset1:1
	s_waitcnt lgkmcnt(1)
	v_xor_b32_e32 v221, 0x80000000, v201
	v_xor_b32_e32 v223, 0x80000000, v203
	v_cmp_gt_f64_e32 vcc, 0, v[202:203]
	v_cmp_gt_f64_e64 s[0:1], 0, v[200:201]
	v_mov_b32_e32 v220, v200
	v_mov_b32_e32 v222, v202
	v_cndmask_b32_e64 v221, v201, v221, s[0:1]
	v_cndmask_b32_e32 v223, v203, v223, vcc
	v_add_f64 v[220:221], v[220:221], v[222:223]
	s_waitcnt lgkmcnt(0)
	v_xor_b32_e32 v223, 0x80000000, v217
	v_xor_b32_e32 v225, 0x80000000, v219
	v_cmp_gt_f64_e32 vcc, 0, v[218:219]
	v_cmp_gt_f64_e64 s[0:1], 0, v[216:217]
	v_mov_b32_e32 v222, v216
	v_mov_b32_e32 v224, v218
	v_cndmask_b32_e64 v223, v217, v223, s[0:1]
	v_cndmask_b32_e32 v225, v219, v225, vcc
	v_add_f64 v[222:223], v[222:223], v[224:225]
	v_mov_b32_e32 v226, s16
	s_add_i32 s16, s16, 1
	v_cmp_lt_f64_e32 vcc, v[220:221], v[222:223]
	v_add_u32_e32 v211, 16, v211
	s_cmp_lg_u32 s20, s16
	v_cndmask_b32_e32 v201, v201, v217, vcc
	v_cndmask_b32_e32 v200, v200, v216, vcc
	;; [unrolled: 1-line block ×5, first 2 shown]
	s_cbranch_scc1 .LBB98_211
.LBB98_212:
	s_waitcnt lgkmcnt(0)
	v_cmp_eq_f64_e32 vcc, 0, v[200:201]
	v_cmp_eq_f64_e64 s[0:1], 0, v[202:203]
	s_and_b64 s[0:1], vcc, s[0:1]
	s_and_saveexec_b64 s[16:17], s[0:1]
	s_xor_b64 s[0:1], exec, s[16:17]
; %bb.213:
	v_cmp_ne_u32_e32 vcc, 0, v214
	s_nop 1
	v_cndmask_b32_e32 v214, 11, v214, vcc
; %bb.214:
	s_andn2_saveexec_b64 s[0:1], s[0:1]
	s_cbranch_execz .LBB98_220
; %bb.215:
	v_cmp_ngt_f64_e64 s[16:17], |v[200:201]|, |v[202:203]|
	s_and_saveexec_b64 s[18:19], s[16:17]
	s_xor_b64 s[16:17], exec, s[18:19]
	s_cbranch_execz .LBB98_217
; %bb.216:
	v_div_scale_f64 v[216:217], s[18:19], v[202:203], v[202:203], v[200:201]
	v_rcp_f64_e32 v[218:219], v[216:217]
	v_div_scale_f64 v[220:221], vcc, v[200:201], v[202:203], v[200:201]
	v_fma_f64 v[222:223], -v[216:217], v[218:219], 1.0
	v_fmac_f64_e32 v[218:219], v[218:219], v[222:223]
	v_fma_f64 v[222:223], -v[216:217], v[218:219], 1.0
	v_fmac_f64_e32 v[218:219], v[218:219], v[222:223]
	v_mul_f64 v[222:223], v[220:221], v[218:219]
	v_fma_f64 v[216:217], -v[216:217], v[222:223], v[220:221]
	v_div_fmas_f64 v[216:217], v[216:217], v[218:219], v[222:223]
	v_div_fixup_f64 v[216:217], v[216:217], v[202:203], v[200:201]
	v_fmac_f64_e32 v[202:203], v[200:201], v[216:217]
	v_div_scale_f64 v[200:201], s[18:19], v[202:203], v[202:203], 1.0
	v_rcp_f64_e32 v[218:219], v[200:201]
	s_nop 0
	v_fma_f64 v[220:221], -v[200:201], v[218:219], 1.0
	v_fmac_f64_e32 v[218:219], v[218:219], v[220:221]
	v_fma_f64 v[220:221], -v[200:201], v[218:219], 1.0
	v_fmac_f64_e32 v[218:219], v[218:219], v[220:221]
	v_div_scale_f64 v[220:221], vcc, 1.0, v[202:203], 1.0
	v_mul_f64 v[222:223], v[220:221], v[218:219]
	v_fma_f64 v[200:201], -v[200:201], v[222:223], v[220:221]
	s_nop 1
	v_div_fmas_f64 v[200:201], v[200:201], v[218:219], v[222:223]
	v_div_fixup_f64 v[202:203], v[200:201], v[202:203], 1.0
	v_mul_f64 v[200:201], v[216:217], v[202:203]
	v_xor_b32_e32 v203, 0x80000000, v203
.LBB98_217:
	s_andn2_saveexec_b64 s[16:17], s[16:17]
	s_cbranch_execz .LBB98_219
; %bb.218:
	v_div_scale_f64 v[216:217], s[18:19], v[200:201], v[200:201], v[202:203]
	v_rcp_f64_e32 v[218:219], v[216:217]
	v_div_scale_f64 v[220:221], vcc, v[202:203], v[200:201], v[202:203]
	v_fma_f64 v[222:223], -v[216:217], v[218:219], 1.0
	v_fmac_f64_e32 v[218:219], v[218:219], v[222:223]
	v_fma_f64 v[222:223], -v[216:217], v[218:219], 1.0
	v_fmac_f64_e32 v[218:219], v[218:219], v[222:223]
	v_mul_f64 v[222:223], v[220:221], v[218:219]
	v_fma_f64 v[216:217], -v[216:217], v[222:223], v[220:221]
	v_div_fmas_f64 v[216:217], v[216:217], v[218:219], v[222:223]
	v_div_fixup_f64 v[216:217], v[216:217], v[200:201], v[202:203]
	v_fmac_f64_e32 v[200:201], v[202:203], v[216:217]
	v_div_scale_f64 v[202:203], s[18:19], v[200:201], v[200:201], 1.0
	v_rcp_f64_e32 v[218:219], v[202:203]
	s_nop 0
	v_fma_f64 v[220:221], -v[202:203], v[218:219], 1.0
	v_fmac_f64_e32 v[218:219], v[218:219], v[220:221]
	v_fma_f64 v[220:221], -v[202:203], v[218:219], 1.0
	v_fmac_f64_e32 v[218:219], v[218:219], v[220:221]
	v_div_scale_f64 v[220:221], vcc, 1.0, v[200:201], 1.0
	v_mul_f64 v[222:223], v[220:221], v[218:219]
	v_fma_f64 v[202:203], -v[202:203], v[222:223], v[220:221]
	s_nop 1
	v_div_fmas_f64 v[202:203], v[202:203], v[218:219], v[222:223]
	v_div_fixup_f64 v[200:201], v[202:203], v[200:201], 1.0
	v_mul_f64 v[202:203], v[216:217], -v[200:201]
.LBB98_219:
	s_or_b64 exec, exec, s[16:17]
.LBB98_220:
	s_or_b64 exec, exec, s[0:1]
	v_cmp_ne_u32_e32 vcc, v213, v210
	s_and_saveexec_b64 s[0:1], vcc
	s_xor_b64 s[0:1], exec, s[0:1]
	s_cbranch_execz .LBB98_226
; %bb.221:
	v_cmp_eq_u32_e32 vcc, 10, v213
	s_and_saveexec_b64 s[16:17], vcc
	s_cbranch_execz .LBB98_225
; %bb.222:
	v_cmp_ne_u32_e32 vcc, 10, v210
	s_xor_b64 s[18:19], s[14:15], -1
	s_and_b64 s[22:23], s[18:19], vcc
	s_and_saveexec_b64 s[18:19], s[22:23]
	s_cbranch_execz .LBB98_224
; %bb.223:
	v_ashrrev_i32_e32 v211, 31, v210
	v_lshl_add_u64 v[216:217], v[210:211], 2, v[208:209]
	global_load_dword v211, v[216:217], off
	global_load_dword v213, v[208:209], off offset:40
	s_waitcnt vmcnt(1)
	global_store_dword v[208:209], v211, off offset:40
	s_waitcnt vmcnt(1)
	global_store_dword v[216:217], v213, off
.LBB98_224:
	s_or_b64 exec, exec, s[18:19]
	v_mov_b32_e32 v213, v210
	v_mov_b32_e32 v215, v210
.LBB98_225:
	s_or_b64 exec, exec, s[16:17]
.LBB98_226:
	s_andn2_saveexec_b64 s[0:1], s[0:1]
	s_cbranch_execz .LBB98_228
; %bb.227:
	v_mov_b32_e32 v213, 10
	s_waitcnt vmcnt(38)
	ds_write2_b64 v212, v[156:157], v[158:159] offset0:22 offset1:23
	s_waitcnt vmcnt(37)
	ds_write2_b64 v212, v[152:153], v[154:155] offset0:24 offset1:25
	;; [unrolled: 2-line block ×39, first 2 shown]
.LBB98_228:
	s_or_b64 exec, exec, s[0:1]
	v_cmp_lt_i32_e32 vcc, 10, v213
	s_waitcnt lgkmcnt(0)
	s_barrier
	s_and_saveexec_b64 s[0:1], vcc
	s_cbranch_execz .LBB98_230
; %bb.229:
	ds_read2_b64 v[216:219], v212 offset0:22 offset1:23
	v_mul_f64 v[210:211], v[202:203], v[162:163]
	v_mul_f64 v[162:163], v[200:201], v[162:163]
	v_fmac_f64_e32 v[162:163], v[202:203], v[160:161]
	v_fma_f64 v[210:211], v[200:201], v[160:161], -v[210:211]
	ds_read2_b64 v[200:203], v212 offset0:24 offset1:25
	s_waitcnt lgkmcnt(1)
	v_mul_f64 v[160:161], v[218:219], v[162:163]
	v_fma_f64 v[160:161], v[216:217], v[210:211], -v[160:161]
	v_mul_f64 v[216:217], v[216:217], v[162:163]
	v_fmac_f64_e32 v[216:217], v[218:219], v[210:211]
	s_waitcnt vmcnt(38)
	v_add_f64 v[158:159], v[158:159], -v[216:217]
	ds_read2_b64 v[216:219], v212 offset0:26 offset1:27
	v_add_f64 v[156:157], v[156:157], -v[160:161]
	s_waitcnt lgkmcnt(1)
	v_mul_f64 v[160:161], v[202:203], v[162:163]
	v_fma_f64 v[160:161], v[200:201], v[210:211], -v[160:161]
	v_mul_f64 v[200:201], v[200:201], v[162:163]
	v_fmac_f64_e32 v[200:201], v[202:203], v[210:211]
	s_waitcnt vmcnt(37)
	v_add_f64 v[152:153], v[152:153], -v[160:161]
	v_add_f64 v[154:155], v[154:155], -v[200:201]
	ds_read2_b64 v[200:203], v212 offset0:28 offset1:29
	s_waitcnt lgkmcnt(1)
	v_mul_f64 v[160:161], v[218:219], v[162:163]
	v_fma_f64 v[160:161], v[216:217], v[210:211], -v[160:161]
	v_mul_f64 v[216:217], v[216:217], v[162:163]
	v_fmac_f64_e32 v[216:217], v[218:219], v[210:211]
	s_waitcnt vmcnt(36)
	v_add_f64 v[150:151], v[150:151], -v[216:217]
	ds_read2_b64 v[216:219], v212 offset0:30 offset1:31
	v_add_f64 v[148:149], v[148:149], -v[160:161]
	s_waitcnt lgkmcnt(1)
	v_mul_f64 v[160:161], v[202:203], v[162:163]
	v_fma_f64 v[160:161], v[200:201], v[210:211], -v[160:161]
	v_mul_f64 v[200:201], v[200:201], v[162:163]
	v_fmac_f64_e32 v[200:201], v[202:203], v[210:211]
	s_waitcnt vmcnt(35)
	v_add_f64 v[144:145], v[144:145], -v[160:161]
	v_add_f64 v[146:147], v[146:147], -v[200:201]
	ds_read2_b64 v[200:203], v212 offset0:32 offset1:33
	s_waitcnt lgkmcnt(1)
	v_mul_f64 v[160:161], v[218:219], v[162:163]
	v_fma_f64 v[160:161], v[216:217], v[210:211], -v[160:161]
	v_mul_f64 v[216:217], v[216:217], v[162:163]
	v_fmac_f64_e32 v[216:217], v[218:219], v[210:211]
	s_waitcnt vmcnt(34)
	v_add_f64 v[142:143], v[142:143], -v[216:217]
	ds_read2_b64 v[216:219], v212 offset0:34 offset1:35
	v_add_f64 v[140:141], v[140:141], -v[160:161]
	s_waitcnt lgkmcnt(1)
	v_mul_f64 v[160:161], v[202:203], v[162:163]
	v_fma_f64 v[160:161], v[200:201], v[210:211], -v[160:161]
	v_mul_f64 v[200:201], v[200:201], v[162:163]
	v_fmac_f64_e32 v[200:201], v[202:203], v[210:211]
	s_waitcnt vmcnt(33)
	v_add_f64 v[136:137], v[136:137], -v[160:161]
	v_add_f64 v[138:139], v[138:139], -v[200:201]
	ds_read2_b64 v[200:203], v212 offset0:36 offset1:37
	s_waitcnt lgkmcnt(1)
	v_mul_f64 v[160:161], v[218:219], v[162:163]
	v_fma_f64 v[160:161], v[216:217], v[210:211], -v[160:161]
	v_mul_f64 v[216:217], v[216:217], v[162:163]
	v_fmac_f64_e32 v[216:217], v[218:219], v[210:211]
	s_waitcnt vmcnt(32)
	v_add_f64 v[126:127], v[126:127], -v[216:217]
	ds_read2_b64 v[216:219], v212 offset0:38 offset1:39
	v_add_f64 v[124:125], v[124:125], -v[160:161]
	s_waitcnt lgkmcnt(1)
	v_mul_f64 v[160:161], v[202:203], v[162:163]
	v_fma_f64 v[160:161], v[200:201], v[210:211], -v[160:161]
	v_mul_f64 v[200:201], v[200:201], v[162:163]
	v_fmac_f64_e32 v[200:201], v[202:203], v[210:211]
	s_waitcnt vmcnt(31)
	v_add_f64 v[120:121], v[120:121], -v[160:161]
	v_add_f64 v[122:123], v[122:123], -v[200:201]
	ds_read2_b64 v[200:203], v212 offset0:40 offset1:41
	s_waitcnt lgkmcnt(1)
	v_mul_f64 v[160:161], v[218:219], v[162:163]
	v_fma_f64 v[160:161], v[216:217], v[210:211], -v[160:161]
	v_mul_f64 v[216:217], v[216:217], v[162:163]
	v_fmac_f64_e32 v[216:217], v[218:219], v[210:211]
	s_waitcnt vmcnt(30)
	v_add_f64 v[118:119], v[118:119], -v[216:217]
	ds_read2_b64 v[216:219], v212 offset0:42 offset1:43
	v_add_f64 v[116:117], v[116:117], -v[160:161]
	s_waitcnt lgkmcnt(1)
	v_mul_f64 v[160:161], v[202:203], v[162:163]
	v_fma_f64 v[160:161], v[200:201], v[210:211], -v[160:161]
	v_mul_f64 v[200:201], v[200:201], v[162:163]
	v_fmac_f64_e32 v[200:201], v[202:203], v[210:211]
	s_waitcnt vmcnt(29)
	v_add_f64 v[112:113], v[112:113], -v[160:161]
	v_add_f64 v[114:115], v[114:115], -v[200:201]
	ds_read2_b64 v[200:203], v212 offset0:44 offset1:45
	s_waitcnt lgkmcnt(1)
	v_mul_f64 v[160:161], v[218:219], v[162:163]
	v_fma_f64 v[160:161], v[216:217], v[210:211], -v[160:161]
	v_mul_f64 v[216:217], v[216:217], v[162:163]
	v_fmac_f64_e32 v[216:217], v[218:219], v[210:211]
	s_waitcnt vmcnt(28)
	v_add_f64 v[110:111], v[110:111], -v[216:217]
	ds_read2_b64 v[216:219], v212 offset0:46 offset1:47
	v_add_f64 v[108:109], v[108:109], -v[160:161]
	s_waitcnt lgkmcnt(1)
	v_mul_f64 v[160:161], v[202:203], v[162:163]
	v_fma_f64 v[160:161], v[200:201], v[210:211], -v[160:161]
	v_mul_f64 v[200:201], v[200:201], v[162:163]
	v_fmac_f64_e32 v[200:201], v[202:203], v[210:211]
	s_waitcnt vmcnt(27)
	v_add_f64 v[104:105], v[104:105], -v[160:161]
	v_add_f64 v[106:107], v[106:107], -v[200:201]
	ds_read2_b64 v[200:203], v212 offset0:48 offset1:49
	s_waitcnt lgkmcnt(1)
	v_mul_f64 v[160:161], v[218:219], v[162:163]
	v_fma_f64 v[160:161], v[216:217], v[210:211], -v[160:161]
	v_mul_f64 v[216:217], v[216:217], v[162:163]
	v_fmac_f64_e32 v[216:217], v[218:219], v[210:211]
	s_waitcnt vmcnt(26)
	v_add_f64 v[102:103], v[102:103], -v[216:217]
	ds_read2_b64 v[216:219], v212 offset0:50 offset1:51
	v_add_f64 v[100:101], v[100:101], -v[160:161]
	s_waitcnt lgkmcnt(1)
	v_mul_f64 v[160:161], v[202:203], v[162:163]
	v_fma_f64 v[160:161], v[200:201], v[210:211], -v[160:161]
	v_mul_f64 v[200:201], v[200:201], v[162:163]
	v_fmac_f64_e32 v[200:201], v[202:203], v[210:211]
	s_waitcnt vmcnt(25)
	v_add_f64 v[96:97], v[96:97], -v[160:161]
	v_add_f64 v[98:99], v[98:99], -v[200:201]
	ds_read2_b64 v[200:203], v212 offset0:52 offset1:53
	s_waitcnt lgkmcnt(1)
	v_mul_f64 v[160:161], v[218:219], v[162:163]
	v_fma_f64 v[160:161], v[216:217], v[210:211], -v[160:161]
	v_mul_f64 v[216:217], v[216:217], v[162:163]
	v_fmac_f64_e32 v[216:217], v[218:219], v[210:211]
	s_waitcnt vmcnt(24)
	v_add_f64 v[94:95], v[94:95], -v[216:217]
	ds_read2_b64 v[216:219], v212 offset0:54 offset1:55
	v_add_f64 v[92:93], v[92:93], -v[160:161]
	s_waitcnt lgkmcnt(1)
	v_mul_f64 v[160:161], v[202:203], v[162:163]
	v_fma_f64 v[160:161], v[200:201], v[210:211], -v[160:161]
	v_mul_f64 v[200:201], v[200:201], v[162:163]
	v_fmac_f64_e32 v[200:201], v[202:203], v[210:211]
	s_waitcnt vmcnt(23)
	v_add_f64 v[88:89], v[88:89], -v[160:161]
	v_add_f64 v[90:91], v[90:91], -v[200:201]
	ds_read2_b64 v[200:203], v212 offset0:56 offset1:57
	s_waitcnt lgkmcnt(1)
	v_mul_f64 v[160:161], v[218:219], v[162:163]
	v_fma_f64 v[160:161], v[216:217], v[210:211], -v[160:161]
	v_mul_f64 v[216:217], v[216:217], v[162:163]
	v_fmac_f64_e32 v[216:217], v[218:219], v[210:211]
	s_waitcnt vmcnt(22)
	v_add_f64 v[86:87], v[86:87], -v[216:217]
	ds_read2_b64 v[216:219], v212 offset0:58 offset1:59
	v_add_f64 v[84:85], v[84:85], -v[160:161]
	s_waitcnt lgkmcnt(1)
	v_mul_f64 v[160:161], v[202:203], v[162:163]
	v_fma_f64 v[160:161], v[200:201], v[210:211], -v[160:161]
	v_mul_f64 v[200:201], v[200:201], v[162:163]
	v_fmac_f64_e32 v[200:201], v[202:203], v[210:211]
	s_waitcnt vmcnt(21)
	v_add_f64 v[80:81], v[80:81], -v[160:161]
	v_add_f64 v[82:83], v[82:83], -v[200:201]
	ds_read2_b64 v[200:203], v212 offset0:60 offset1:61
	s_waitcnt lgkmcnt(1)
	v_mul_f64 v[160:161], v[218:219], v[162:163]
	v_fma_f64 v[160:161], v[216:217], v[210:211], -v[160:161]
	v_mul_f64 v[216:217], v[216:217], v[162:163]
	v_fmac_f64_e32 v[216:217], v[218:219], v[210:211]
	s_waitcnt vmcnt(20)
	v_add_f64 v[78:79], v[78:79], -v[216:217]
	ds_read2_b64 v[216:219], v212 offset0:62 offset1:63
	v_add_f64 v[76:77], v[76:77], -v[160:161]
	s_waitcnt lgkmcnt(1)
	v_mul_f64 v[160:161], v[202:203], v[162:163]
	v_fma_f64 v[160:161], v[200:201], v[210:211], -v[160:161]
	v_mul_f64 v[200:201], v[200:201], v[162:163]
	v_fmac_f64_e32 v[200:201], v[202:203], v[210:211]
	s_waitcnt vmcnt(19)
	v_add_f64 v[72:73], v[72:73], -v[160:161]
	v_add_f64 v[74:75], v[74:75], -v[200:201]
	ds_read2_b64 v[200:203], v212 offset0:64 offset1:65
	s_waitcnt lgkmcnt(1)
	v_mul_f64 v[160:161], v[218:219], v[162:163]
	v_fma_f64 v[160:161], v[216:217], v[210:211], -v[160:161]
	v_mul_f64 v[216:217], v[216:217], v[162:163]
	v_fmac_f64_e32 v[216:217], v[218:219], v[210:211]
	s_waitcnt vmcnt(18)
	v_add_f64 v[70:71], v[70:71], -v[216:217]
	ds_read2_b64 v[216:219], v212 offset0:66 offset1:67
	v_add_f64 v[68:69], v[68:69], -v[160:161]
	s_waitcnt lgkmcnt(1)
	v_mul_f64 v[160:161], v[202:203], v[162:163]
	v_fma_f64 v[160:161], v[200:201], v[210:211], -v[160:161]
	v_mul_f64 v[200:201], v[200:201], v[162:163]
	v_fmac_f64_e32 v[200:201], v[202:203], v[210:211]
	s_waitcnt vmcnt(17)
	v_add_f64 v[64:65], v[64:65], -v[160:161]
	v_add_f64 v[66:67], v[66:67], -v[200:201]
	ds_read2_b64 v[200:203], v212 offset0:68 offset1:69
	s_waitcnt lgkmcnt(1)
	v_mul_f64 v[160:161], v[218:219], v[162:163]
	v_fma_f64 v[160:161], v[216:217], v[210:211], -v[160:161]
	v_mul_f64 v[216:217], v[216:217], v[162:163]
	v_fmac_f64_e32 v[216:217], v[218:219], v[210:211]
	s_waitcnt vmcnt(16)
	v_add_f64 v[62:63], v[62:63], -v[216:217]
	ds_read2_b64 v[216:219], v212 offset0:70 offset1:71
	v_add_f64 v[60:61], v[60:61], -v[160:161]
	s_waitcnt lgkmcnt(1)
	v_mul_f64 v[160:161], v[202:203], v[162:163]
	v_fma_f64 v[160:161], v[200:201], v[210:211], -v[160:161]
	v_mul_f64 v[200:201], v[200:201], v[162:163]
	v_fmac_f64_e32 v[200:201], v[202:203], v[210:211]
	s_waitcnt vmcnt(15)
	v_add_f64 v[56:57], v[56:57], -v[160:161]
	v_add_f64 v[58:59], v[58:59], -v[200:201]
	ds_read2_b64 v[200:203], v212 offset0:72 offset1:73
	s_waitcnt lgkmcnt(1)
	v_mul_f64 v[160:161], v[218:219], v[162:163]
	v_fma_f64 v[160:161], v[216:217], v[210:211], -v[160:161]
	v_mul_f64 v[216:217], v[216:217], v[162:163]
	v_fmac_f64_e32 v[216:217], v[218:219], v[210:211]
	s_waitcnt vmcnt(14)
	v_add_f64 v[54:55], v[54:55], -v[216:217]
	ds_read2_b64 v[216:219], v212 offset0:74 offset1:75
	v_add_f64 v[52:53], v[52:53], -v[160:161]
	s_waitcnt lgkmcnt(1)
	v_mul_f64 v[160:161], v[202:203], v[162:163]
	v_fma_f64 v[160:161], v[200:201], v[210:211], -v[160:161]
	v_mul_f64 v[200:201], v[200:201], v[162:163]
	v_fmac_f64_e32 v[200:201], v[202:203], v[210:211]
	s_waitcnt vmcnt(13)
	v_add_f64 v[48:49], v[48:49], -v[160:161]
	v_add_f64 v[50:51], v[50:51], -v[200:201]
	ds_read2_b64 v[200:203], v212 offset0:76 offset1:77
	s_waitcnt lgkmcnt(1)
	v_mul_f64 v[160:161], v[218:219], v[162:163]
	v_fma_f64 v[160:161], v[216:217], v[210:211], -v[160:161]
	v_mul_f64 v[216:217], v[216:217], v[162:163]
	v_fmac_f64_e32 v[216:217], v[218:219], v[210:211]
	s_waitcnt vmcnt(12)
	v_add_f64 v[46:47], v[46:47], -v[216:217]
	ds_read2_b64 v[216:219], v212 offset0:78 offset1:79
	v_add_f64 v[44:45], v[44:45], -v[160:161]
	s_waitcnt lgkmcnt(1)
	v_mul_f64 v[160:161], v[202:203], v[162:163]
	v_fma_f64 v[160:161], v[200:201], v[210:211], -v[160:161]
	v_mul_f64 v[200:201], v[200:201], v[162:163]
	v_fmac_f64_e32 v[200:201], v[202:203], v[210:211]
	s_waitcnt vmcnt(11)
	v_add_f64 v[40:41], v[40:41], -v[160:161]
	v_add_f64 v[42:43], v[42:43], -v[200:201]
	ds_read2_b64 v[200:203], v212 offset0:80 offset1:81
	s_waitcnt lgkmcnt(1)
	v_mul_f64 v[160:161], v[218:219], v[162:163]
	v_fma_f64 v[160:161], v[216:217], v[210:211], -v[160:161]
	v_mul_f64 v[216:217], v[216:217], v[162:163]
	v_fmac_f64_e32 v[216:217], v[218:219], v[210:211]
	s_waitcnt vmcnt(10)
	v_add_f64 v[38:39], v[38:39], -v[216:217]
	ds_read2_b64 v[216:219], v212 offset0:82 offset1:83
	v_add_f64 v[36:37], v[36:37], -v[160:161]
	s_waitcnt lgkmcnt(1)
	v_mul_f64 v[160:161], v[202:203], v[162:163]
	v_fma_f64 v[160:161], v[200:201], v[210:211], -v[160:161]
	v_mul_f64 v[200:201], v[200:201], v[162:163]
	v_fmac_f64_e32 v[200:201], v[202:203], v[210:211]
	s_waitcnt vmcnt(9)
	v_add_f64 v[32:33], v[32:33], -v[160:161]
	v_add_f64 v[34:35], v[34:35], -v[200:201]
	ds_read2_b64 v[200:203], v212 offset0:84 offset1:85
	s_waitcnt lgkmcnt(1)
	v_mul_f64 v[160:161], v[218:219], v[162:163]
	v_fma_f64 v[160:161], v[216:217], v[210:211], -v[160:161]
	v_mul_f64 v[216:217], v[216:217], v[162:163]
	v_fmac_f64_e32 v[216:217], v[218:219], v[210:211]
	s_waitcnt vmcnt(8)
	v_add_f64 v[30:31], v[30:31], -v[216:217]
	ds_read2_b64 v[216:219], v212 offset0:86 offset1:87
	v_add_f64 v[28:29], v[28:29], -v[160:161]
	s_waitcnt lgkmcnt(1)
	v_mul_f64 v[160:161], v[202:203], v[162:163]
	v_fma_f64 v[160:161], v[200:201], v[210:211], -v[160:161]
	v_mul_f64 v[200:201], v[200:201], v[162:163]
	v_fmac_f64_e32 v[200:201], v[202:203], v[210:211]
	s_waitcnt vmcnt(7)
	v_add_f64 v[24:25], v[24:25], -v[160:161]
	v_add_f64 v[26:27], v[26:27], -v[200:201]
	ds_read2_b64 v[200:203], v212 offset0:88 offset1:89
	s_waitcnt lgkmcnt(1)
	v_mul_f64 v[160:161], v[218:219], v[162:163]
	v_fma_f64 v[160:161], v[216:217], v[210:211], -v[160:161]
	v_mul_f64 v[216:217], v[216:217], v[162:163]
	v_fmac_f64_e32 v[216:217], v[218:219], v[210:211]
	s_waitcnt vmcnt(6)
	v_add_f64 v[22:23], v[22:23], -v[216:217]
	ds_read2_b64 v[216:219], v212 offset0:90 offset1:91
	v_add_f64 v[20:21], v[20:21], -v[160:161]
	s_waitcnt lgkmcnt(1)
	v_mul_f64 v[160:161], v[202:203], v[162:163]
	v_fma_f64 v[160:161], v[200:201], v[210:211], -v[160:161]
	v_mul_f64 v[200:201], v[200:201], v[162:163]
	v_fmac_f64_e32 v[200:201], v[202:203], v[210:211]
	s_waitcnt vmcnt(5)
	v_add_f64 v[16:17], v[16:17], -v[160:161]
	v_add_f64 v[18:19], v[18:19], -v[200:201]
	ds_read2_b64 v[200:203], v212 offset0:92 offset1:93
	s_waitcnt lgkmcnt(1)
	v_mul_f64 v[160:161], v[218:219], v[162:163]
	v_fma_f64 v[160:161], v[216:217], v[210:211], -v[160:161]
	v_mul_f64 v[216:217], v[216:217], v[162:163]
	v_fmac_f64_e32 v[216:217], v[218:219], v[210:211]
	s_waitcnt vmcnt(4)
	v_add_f64 v[14:15], v[14:15], -v[216:217]
	ds_read2_b64 v[216:219], v212 offset0:94 offset1:95
	v_add_f64 v[12:13], v[12:13], -v[160:161]
	s_waitcnt lgkmcnt(1)
	v_mul_f64 v[160:161], v[202:203], v[162:163]
	v_fma_f64 v[160:161], v[200:201], v[210:211], -v[160:161]
	v_mul_f64 v[200:201], v[200:201], v[162:163]
	v_fmac_f64_e32 v[200:201], v[202:203], v[210:211]
	s_waitcnt vmcnt(3)
	v_add_f64 v[8:9], v[8:9], -v[160:161]
	v_add_f64 v[10:11], v[10:11], -v[200:201]
	ds_read2_b64 v[200:203], v212 offset0:96 offset1:97
	s_waitcnt lgkmcnt(1)
	v_mul_f64 v[160:161], v[218:219], v[162:163]
	v_fma_f64 v[160:161], v[216:217], v[210:211], -v[160:161]
	v_mul_f64 v[216:217], v[216:217], v[162:163]
	v_fmac_f64_e32 v[216:217], v[218:219], v[210:211]
	s_waitcnt vmcnt(2)
	v_add_f64 v[6:7], v[6:7], -v[216:217]
	ds_read2_b64 v[216:219], v212 offset0:98 offset1:99
	v_add_f64 v[4:5], v[4:5], -v[160:161]
	s_waitcnt lgkmcnt(1)
	v_mul_f64 v[160:161], v[202:203], v[162:163]
	v_fma_f64 v[160:161], v[200:201], v[210:211], -v[160:161]
	v_mul_f64 v[200:201], v[200:201], v[162:163]
	v_fmac_f64_e32 v[200:201], v[202:203], v[210:211]
	s_waitcnt vmcnt(1)
	v_add_f64 v[0:1], v[0:1], -v[160:161]
	v_add_f64 v[2:3], v[2:3], -v[200:201]
	s_waitcnt lgkmcnt(0)
	v_mul_f64 v[160:161], v[218:219], v[162:163]
	v_mul_f64 v[200:201], v[216:217], v[162:163]
	v_fma_f64 v[160:161], v[216:217], v[210:211], -v[160:161]
	v_fmac_f64_e32 v[200:201], v[218:219], v[210:211]
	s_waitcnt vmcnt(0)
	v_add_f64 v[196:197], v[196:197], -v[160:161]
	v_add_f64 v[198:199], v[198:199], -v[200:201]
	v_mov_b64_e32 v[160:161], v[210:211]
.LBB98_230:
	s_or_b64 exec, exec, s[0:1]
	v_lshl_add_u32 v200, v213, 4, v212
	s_barrier
	s_waitcnt vmcnt(38)
	ds_write2_b64 v200, v[156:157], v[158:159] offset1:1
	s_waitcnt lgkmcnt(0)
	s_barrier
	ds_read2_b64 v[200:203], v212 offset0:22 offset1:23
	s_cmp_lt_i32 s20, 13
	v_mov_b32_e32 v210, 11
	s_cbranch_scc1 .LBB98_233
; %bb.231:
	v_add_u32_e32 v211, 0xc0, v212
	s_mov_b32 s16, 12
	v_mov_b32_e32 v210, 11
.LBB98_232:                             ; =>This Inner Loop Header: Depth=1
	ds_read2_b64 v[216:219], v211 offset1:1
	s_waitcnt lgkmcnt(1)
	v_xor_b32_e32 v221, 0x80000000, v201
	v_xor_b32_e32 v223, 0x80000000, v203
	v_cmp_gt_f64_e32 vcc, 0, v[202:203]
	v_cmp_gt_f64_e64 s[0:1], 0, v[200:201]
	v_mov_b32_e32 v220, v200
	v_mov_b32_e32 v222, v202
	v_cndmask_b32_e64 v221, v201, v221, s[0:1]
	v_cndmask_b32_e32 v223, v203, v223, vcc
	v_add_f64 v[220:221], v[220:221], v[222:223]
	s_waitcnt lgkmcnt(0)
	v_xor_b32_e32 v223, 0x80000000, v217
	v_xor_b32_e32 v225, 0x80000000, v219
	v_cmp_gt_f64_e32 vcc, 0, v[218:219]
	v_cmp_gt_f64_e64 s[0:1], 0, v[216:217]
	v_mov_b32_e32 v222, v216
	v_mov_b32_e32 v224, v218
	v_cndmask_b32_e64 v223, v217, v223, s[0:1]
	v_cndmask_b32_e32 v225, v219, v225, vcc
	v_add_f64 v[222:223], v[222:223], v[224:225]
	v_mov_b32_e32 v226, s16
	s_add_i32 s16, s16, 1
	v_cmp_lt_f64_e32 vcc, v[220:221], v[222:223]
	v_add_u32_e32 v211, 16, v211
	s_cmp_lg_u32 s20, s16
	v_cndmask_b32_e32 v201, v201, v217, vcc
	v_cndmask_b32_e32 v200, v200, v216, vcc
	;; [unrolled: 1-line block ×5, first 2 shown]
	s_cbranch_scc1 .LBB98_232
.LBB98_233:
	s_waitcnt lgkmcnt(0)
	v_cmp_eq_f64_e32 vcc, 0, v[200:201]
	v_cmp_eq_f64_e64 s[0:1], 0, v[202:203]
	s_and_b64 s[0:1], vcc, s[0:1]
	s_and_saveexec_b64 s[16:17], s[0:1]
	s_xor_b64 s[0:1], exec, s[16:17]
; %bb.234:
	v_cmp_ne_u32_e32 vcc, 0, v214
	s_nop 1
	v_cndmask_b32_e32 v214, 12, v214, vcc
; %bb.235:
	s_andn2_saveexec_b64 s[0:1], s[0:1]
	s_cbranch_execz .LBB98_241
; %bb.236:
	v_cmp_ngt_f64_e64 s[16:17], |v[200:201]|, |v[202:203]|
	s_and_saveexec_b64 s[18:19], s[16:17]
	s_xor_b64 s[16:17], exec, s[18:19]
	s_cbranch_execz .LBB98_238
; %bb.237:
	v_div_scale_f64 v[216:217], s[18:19], v[202:203], v[202:203], v[200:201]
	v_rcp_f64_e32 v[218:219], v[216:217]
	v_div_scale_f64 v[220:221], vcc, v[200:201], v[202:203], v[200:201]
	v_fma_f64 v[222:223], -v[216:217], v[218:219], 1.0
	v_fmac_f64_e32 v[218:219], v[218:219], v[222:223]
	v_fma_f64 v[222:223], -v[216:217], v[218:219], 1.0
	v_fmac_f64_e32 v[218:219], v[218:219], v[222:223]
	v_mul_f64 v[222:223], v[220:221], v[218:219]
	v_fma_f64 v[216:217], -v[216:217], v[222:223], v[220:221]
	v_div_fmas_f64 v[216:217], v[216:217], v[218:219], v[222:223]
	v_div_fixup_f64 v[216:217], v[216:217], v[202:203], v[200:201]
	v_fmac_f64_e32 v[202:203], v[200:201], v[216:217]
	v_div_scale_f64 v[200:201], s[18:19], v[202:203], v[202:203], 1.0
	v_rcp_f64_e32 v[218:219], v[200:201]
	s_nop 0
	v_fma_f64 v[220:221], -v[200:201], v[218:219], 1.0
	v_fmac_f64_e32 v[218:219], v[218:219], v[220:221]
	v_fma_f64 v[220:221], -v[200:201], v[218:219], 1.0
	v_fmac_f64_e32 v[218:219], v[218:219], v[220:221]
	v_div_scale_f64 v[220:221], vcc, 1.0, v[202:203], 1.0
	v_mul_f64 v[222:223], v[220:221], v[218:219]
	v_fma_f64 v[200:201], -v[200:201], v[222:223], v[220:221]
	s_nop 1
	v_div_fmas_f64 v[200:201], v[200:201], v[218:219], v[222:223]
	v_div_fixup_f64 v[202:203], v[200:201], v[202:203], 1.0
	v_mul_f64 v[200:201], v[216:217], v[202:203]
	v_xor_b32_e32 v203, 0x80000000, v203
.LBB98_238:
	s_andn2_saveexec_b64 s[16:17], s[16:17]
	s_cbranch_execz .LBB98_240
; %bb.239:
	v_div_scale_f64 v[216:217], s[18:19], v[200:201], v[200:201], v[202:203]
	v_rcp_f64_e32 v[218:219], v[216:217]
	v_div_scale_f64 v[220:221], vcc, v[202:203], v[200:201], v[202:203]
	v_fma_f64 v[222:223], -v[216:217], v[218:219], 1.0
	v_fmac_f64_e32 v[218:219], v[218:219], v[222:223]
	v_fma_f64 v[222:223], -v[216:217], v[218:219], 1.0
	v_fmac_f64_e32 v[218:219], v[218:219], v[222:223]
	v_mul_f64 v[222:223], v[220:221], v[218:219]
	v_fma_f64 v[216:217], -v[216:217], v[222:223], v[220:221]
	v_div_fmas_f64 v[216:217], v[216:217], v[218:219], v[222:223]
	v_div_fixup_f64 v[216:217], v[216:217], v[200:201], v[202:203]
	v_fmac_f64_e32 v[200:201], v[202:203], v[216:217]
	v_div_scale_f64 v[202:203], s[18:19], v[200:201], v[200:201], 1.0
	v_rcp_f64_e32 v[218:219], v[202:203]
	s_nop 0
	v_fma_f64 v[220:221], -v[202:203], v[218:219], 1.0
	v_fmac_f64_e32 v[218:219], v[218:219], v[220:221]
	v_fma_f64 v[220:221], -v[202:203], v[218:219], 1.0
	v_fmac_f64_e32 v[218:219], v[218:219], v[220:221]
	v_div_scale_f64 v[220:221], vcc, 1.0, v[200:201], 1.0
	v_mul_f64 v[222:223], v[220:221], v[218:219]
	v_fma_f64 v[202:203], -v[202:203], v[222:223], v[220:221]
	s_nop 1
	v_div_fmas_f64 v[202:203], v[202:203], v[218:219], v[222:223]
	v_div_fixup_f64 v[200:201], v[202:203], v[200:201], 1.0
	v_mul_f64 v[202:203], v[216:217], -v[200:201]
.LBB98_240:
	s_or_b64 exec, exec, s[16:17]
.LBB98_241:
	s_or_b64 exec, exec, s[0:1]
	v_cmp_ne_u32_e32 vcc, v213, v210
	s_and_saveexec_b64 s[0:1], vcc
	s_xor_b64 s[0:1], exec, s[0:1]
	s_cbranch_execz .LBB98_247
; %bb.242:
	v_cmp_eq_u32_e32 vcc, 11, v213
	s_and_saveexec_b64 s[16:17], vcc
	s_cbranch_execz .LBB98_246
; %bb.243:
	v_cmp_ne_u32_e32 vcc, 11, v210
	s_xor_b64 s[18:19], s[14:15], -1
	s_and_b64 s[22:23], s[18:19], vcc
	s_and_saveexec_b64 s[18:19], s[22:23]
	s_cbranch_execz .LBB98_245
; %bb.244:
	v_ashrrev_i32_e32 v211, 31, v210
	v_lshl_add_u64 v[216:217], v[210:211], 2, v[208:209]
	global_load_dword v211, v[216:217], off
	global_load_dword v213, v[208:209], off offset:44
	s_waitcnt vmcnt(1)
	global_store_dword v[208:209], v211, off offset:44
	s_waitcnt vmcnt(1)
	global_store_dword v[216:217], v213, off
.LBB98_245:
	s_or_b64 exec, exec, s[18:19]
	v_mov_b32_e32 v213, v210
	v_mov_b32_e32 v215, v210
.LBB98_246:
	s_or_b64 exec, exec, s[16:17]
.LBB98_247:
	s_andn2_saveexec_b64 s[0:1], s[0:1]
	s_cbranch_execz .LBB98_249
; %bb.248:
	v_mov_b32_e32 v213, 11
	s_waitcnt vmcnt(37)
	ds_write2_b64 v212, v[152:153], v[154:155] offset0:24 offset1:25
	s_waitcnt vmcnt(36)
	ds_write2_b64 v212, v[148:149], v[150:151] offset0:26 offset1:27
	;; [unrolled: 2-line block ×38, first 2 shown]
.LBB98_249:
	s_or_b64 exec, exec, s[0:1]
	v_cmp_lt_i32_e32 vcc, 11, v213
	s_waitcnt lgkmcnt(0)
	s_barrier
	s_and_saveexec_b64 s[0:1], vcc
	s_cbranch_execz .LBB98_251
; %bb.250:
	ds_read2_b64 v[216:219], v212 offset0:24 offset1:25
	v_mul_f64 v[210:211], v[202:203], v[158:159]
	v_mul_f64 v[158:159], v[200:201], v[158:159]
	v_fma_f64 v[210:211], v[200:201], v[156:157], -v[210:211]
	v_fmac_f64_e32 v[158:159], v[202:203], v[156:157]
	ds_read2_b64 v[200:203], v212 offset0:26 offset1:27
	s_waitcnt lgkmcnt(1)
	v_mul_f64 v[156:157], v[218:219], v[158:159]
	v_fma_f64 v[156:157], v[216:217], v[210:211], -v[156:157]
	v_mul_f64 v[216:217], v[216:217], v[158:159]
	v_fmac_f64_e32 v[216:217], v[218:219], v[210:211]
	s_waitcnt vmcnt(37)
	v_add_f64 v[152:153], v[152:153], -v[156:157]
	s_waitcnt lgkmcnt(0)
	v_mul_f64 v[156:157], v[202:203], v[158:159]
	v_add_f64 v[154:155], v[154:155], -v[216:217]
	v_fma_f64 v[156:157], v[200:201], v[210:211], -v[156:157]
	v_mul_f64 v[200:201], v[200:201], v[158:159]
	ds_read2_b64 v[216:219], v212 offset0:28 offset1:29
	v_fmac_f64_e32 v[200:201], v[202:203], v[210:211]
	s_waitcnt vmcnt(36)
	v_add_f64 v[150:151], v[150:151], -v[200:201]
	ds_read2_b64 v[200:203], v212 offset0:30 offset1:31
	v_add_f64 v[148:149], v[148:149], -v[156:157]
	s_waitcnt lgkmcnt(1)
	v_mul_f64 v[156:157], v[218:219], v[158:159]
	v_fma_f64 v[156:157], v[216:217], v[210:211], -v[156:157]
	v_mul_f64 v[216:217], v[216:217], v[158:159]
	v_fmac_f64_e32 v[216:217], v[218:219], v[210:211]
	s_waitcnt vmcnt(35)
	v_add_f64 v[144:145], v[144:145], -v[156:157]
	s_waitcnt lgkmcnt(0)
	v_mul_f64 v[156:157], v[202:203], v[158:159]
	v_add_f64 v[146:147], v[146:147], -v[216:217]
	v_fma_f64 v[156:157], v[200:201], v[210:211], -v[156:157]
	v_mul_f64 v[200:201], v[200:201], v[158:159]
	ds_read2_b64 v[216:219], v212 offset0:32 offset1:33
	v_fmac_f64_e32 v[200:201], v[202:203], v[210:211]
	s_waitcnt vmcnt(34)
	v_add_f64 v[142:143], v[142:143], -v[200:201]
	ds_read2_b64 v[200:203], v212 offset0:34 offset1:35
	v_add_f64 v[140:141], v[140:141], -v[156:157]
	s_waitcnt lgkmcnt(1)
	v_mul_f64 v[156:157], v[218:219], v[158:159]
	v_fma_f64 v[156:157], v[216:217], v[210:211], -v[156:157]
	v_mul_f64 v[216:217], v[216:217], v[158:159]
	v_fmac_f64_e32 v[216:217], v[218:219], v[210:211]
	s_waitcnt vmcnt(33)
	v_add_f64 v[136:137], v[136:137], -v[156:157]
	s_waitcnt lgkmcnt(0)
	v_mul_f64 v[156:157], v[202:203], v[158:159]
	v_add_f64 v[138:139], v[138:139], -v[216:217]
	v_fma_f64 v[156:157], v[200:201], v[210:211], -v[156:157]
	v_mul_f64 v[200:201], v[200:201], v[158:159]
	ds_read2_b64 v[216:219], v212 offset0:36 offset1:37
	v_fmac_f64_e32 v[200:201], v[202:203], v[210:211]
	s_waitcnt vmcnt(32)
	v_add_f64 v[126:127], v[126:127], -v[200:201]
	ds_read2_b64 v[200:203], v212 offset0:38 offset1:39
	v_add_f64 v[124:125], v[124:125], -v[156:157]
	s_waitcnt lgkmcnt(1)
	v_mul_f64 v[156:157], v[218:219], v[158:159]
	v_fma_f64 v[156:157], v[216:217], v[210:211], -v[156:157]
	v_mul_f64 v[216:217], v[216:217], v[158:159]
	v_fmac_f64_e32 v[216:217], v[218:219], v[210:211]
	s_waitcnt vmcnt(31)
	v_add_f64 v[120:121], v[120:121], -v[156:157]
	s_waitcnt lgkmcnt(0)
	v_mul_f64 v[156:157], v[202:203], v[158:159]
	v_add_f64 v[122:123], v[122:123], -v[216:217]
	v_fma_f64 v[156:157], v[200:201], v[210:211], -v[156:157]
	v_mul_f64 v[200:201], v[200:201], v[158:159]
	ds_read2_b64 v[216:219], v212 offset0:40 offset1:41
	v_fmac_f64_e32 v[200:201], v[202:203], v[210:211]
	s_waitcnt vmcnt(30)
	v_add_f64 v[118:119], v[118:119], -v[200:201]
	ds_read2_b64 v[200:203], v212 offset0:42 offset1:43
	v_add_f64 v[116:117], v[116:117], -v[156:157]
	s_waitcnt lgkmcnt(1)
	v_mul_f64 v[156:157], v[218:219], v[158:159]
	v_fma_f64 v[156:157], v[216:217], v[210:211], -v[156:157]
	v_mul_f64 v[216:217], v[216:217], v[158:159]
	v_fmac_f64_e32 v[216:217], v[218:219], v[210:211]
	s_waitcnt vmcnt(29)
	v_add_f64 v[112:113], v[112:113], -v[156:157]
	s_waitcnt lgkmcnt(0)
	v_mul_f64 v[156:157], v[202:203], v[158:159]
	v_add_f64 v[114:115], v[114:115], -v[216:217]
	v_fma_f64 v[156:157], v[200:201], v[210:211], -v[156:157]
	v_mul_f64 v[200:201], v[200:201], v[158:159]
	ds_read2_b64 v[216:219], v212 offset0:44 offset1:45
	v_fmac_f64_e32 v[200:201], v[202:203], v[210:211]
	s_waitcnt vmcnt(28)
	v_add_f64 v[110:111], v[110:111], -v[200:201]
	ds_read2_b64 v[200:203], v212 offset0:46 offset1:47
	v_add_f64 v[108:109], v[108:109], -v[156:157]
	s_waitcnt lgkmcnt(1)
	v_mul_f64 v[156:157], v[218:219], v[158:159]
	v_fma_f64 v[156:157], v[216:217], v[210:211], -v[156:157]
	v_mul_f64 v[216:217], v[216:217], v[158:159]
	v_fmac_f64_e32 v[216:217], v[218:219], v[210:211]
	s_waitcnt vmcnt(27)
	v_add_f64 v[104:105], v[104:105], -v[156:157]
	s_waitcnt lgkmcnt(0)
	v_mul_f64 v[156:157], v[202:203], v[158:159]
	v_add_f64 v[106:107], v[106:107], -v[216:217]
	v_fma_f64 v[156:157], v[200:201], v[210:211], -v[156:157]
	v_mul_f64 v[200:201], v[200:201], v[158:159]
	ds_read2_b64 v[216:219], v212 offset0:48 offset1:49
	v_fmac_f64_e32 v[200:201], v[202:203], v[210:211]
	s_waitcnt vmcnt(26)
	v_add_f64 v[102:103], v[102:103], -v[200:201]
	ds_read2_b64 v[200:203], v212 offset0:50 offset1:51
	v_add_f64 v[100:101], v[100:101], -v[156:157]
	s_waitcnt lgkmcnt(1)
	v_mul_f64 v[156:157], v[218:219], v[158:159]
	v_fma_f64 v[156:157], v[216:217], v[210:211], -v[156:157]
	v_mul_f64 v[216:217], v[216:217], v[158:159]
	v_fmac_f64_e32 v[216:217], v[218:219], v[210:211]
	s_waitcnt vmcnt(25)
	v_add_f64 v[96:97], v[96:97], -v[156:157]
	s_waitcnt lgkmcnt(0)
	v_mul_f64 v[156:157], v[202:203], v[158:159]
	v_add_f64 v[98:99], v[98:99], -v[216:217]
	v_fma_f64 v[156:157], v[200:201], v[210:211], -v[156:157]
	v_mul_f64 v[200:201], v[200:201], v[158:159]
	ds_read2_b64 v[216:219], v212 offset0:52 offset1:53
	v_fmac_f64_e32 v[200:201], v[202:203], v[210:211]
	s_waitcnt vmcnt(24)
	v_add_f64 v[94:95], v[94:95], -v[200:201]
	ds_read2_b64 v[200:203], v212 offset0:54 offset1:55
	v_add_f64 v[92:93], v[92:93], -v[156:157]
	s_waitcnt lgkmcnt(1)
	v_mul_f64 v[156:157], v[218:219], v[158:159]
	v_fma_f64 v[156:157], v[216:217], v[210:211], -v[156:157]
	v_mul_f64 v[216:217], v[216:217], v[158:159]
	v_fmac_f64_e32 v[216:217], v[218:219], v[210:211]
	s_waitcnt vmcnt(23)
	v_add_f64 v[88:89], v[88:89], -v[156:157]
	s_waitcnt lgkmcnt(0)
	v_mul_f64 v[156:157], v[202:203], v[158:159]
	v_add_f64 v[90:91], v[90:91], -v[216:217]
	v_fma_f64 v[156:157], v[200:201], v[210:211], -v[156:157]
	v_mul_f64 v[200:201], v[200:201], v[158:159]
	ds_read2_b64 v[216:219], v212 offset0:56 offset1:57
	v_fmac_f64_e32 v[200:201], v[202:203], v[210:211]
	s_waitcnt vmcnt(22)
	v_add_f64 v[86:87], v[86:87], -v[200:201]
	ds_read2_b64 v[200:203], v212 offset0:58 offset1:59
	v_add_f64 v[84:85], v[84:85], -v[156:157]
	s_waitcnt lgkmcnt(1)
	v_mul_f64 v[156:157], v[218:219], v[158:159]
	v_fma_f64 v[156:157], v[216:217], v[210:211], -v[156:157]
	v_mul_f64 v[216:217], v[216:217], v[158:159]
	v_fmac_f64_e32 v[216:217], v[218:219], v[210:211]
	s_waitcnt vmcnt(21)
	v_add_f64 v[80:81], v[80:81], -v[156:157]
	s_waitcnt lgkmcnt(0)
	v_mul_f64 v[156:157], v[202:203], v[158:159]
	v_add_f64 v[82:83], v[82:83], -v[216:217]
	v_fma_f64 v[156:157], v[200:201], v[210:211], -v[156:157]
	v_mul_f64 v[200:201], v[200:201], v[158:159]
	ds_read2_b64 v[216:219], v212 offset0:60 offset1:61
	v_fmac_f64_e32 v[200:201], v[202:203], v[210:211]
	s_waitcnt vmcnt(20)
	v_add_f64 v[78:79], v[78:79], -v[200:201]
	ds_read2_b64 v[200:203], v212 offset0:62 offset1:63
	v_add_f64 v[76:77], v[76:77], -v[156:157]
	s_waitcnt lgkmcnt(1)
	v_mul_f64 v[156:157], v[218:219], v[158:159]
	v_fma_f64 v[156:157], v[216:217], v[210:211], -v[156:157]
	v_mul_f64 v[216:217], v[216:217], v[158:159]
	v_fmac_f64_e32 v[216:217], v[218:219], v[210:211]
	s_waitcnt vmcnt(19)
	v_add_f64 v[72:73], v[72:73], -v[156:157]
	s_waitcnt lgkmcnt(0)
	v_mul_f64 v[156:157], v[202:203], v[158:159]
	v_add_f64 v[74:75], v[74:75], -v[216:217]
	v_fma_f64 v[156:157], v[200:201], v[210:211], -v[156:157]
	v_mul_f64 v[200:201], v[200:201], v[158:159]
	ds_read2_b64 v[216:219], v212 offset0:64 offset1:65
	v_fmac_f64_e32 v[200:201], v[202:203], v[210:211]
	s_waitcnt vmcnt(18)
	v_add_f64 v[70:71], v[70:71], -v[200:201]
	ds_read2_b64 v[200:203], v212 offset0:66 offset1:67
	v_add_f64 v[68:69], v[68:69], -v[156:157]
	s_waitcnt lgkmcnt(1)
	v_mul_f64 v[156:157], v[218:219], v[158:159]
	v_fma_f64 v[156:157], v[216:217], v[210:211], -v[156:157]
	v_mul_f64 v[216:217], v[216:217], v[158:159]
	v_fmac_f64_e32 v[216:217], v[218:219], v[210:211]
	s_waitcnt vmcnt(17)
	v_add_f64 v[64:65], v[64:65], -v[156:157]
	s_waitcnt lgkmcnt(0)
	v_mul_f64 v[156:157], v[202:203], v[158:159]
	v_add_f64 v[66:67], v[66:67], -v[216:217]
	v_fma_f64 v[156:157], v[200:201], v[210:211], -v[156:157]
	v_mul_f64 v[200:201], v[200:201], v[158:159]
	ds_read2_b64 v[216:219], v212 offset0:68 offset1:69
	v_fmac_f64_e32 v[200:201], v[202:203], v[210:211]
	s_waitcnt vmcnt(16)
	v_add_f64 v[62:63], v[62:63], -v[200:201]
	ds_read2_b64 v[200:203], v212 offset0:70 offset1:71
	v_add_f64 v[60:61], v[60:61], -v[156:157]
	s_waitcnt lgkmcnt(1)
	v_mul_f64 v[156:157], v[218:219], v[158:159]
	v_fma_f64 v[156:157], v[216:217], v[210:211], -v[156:157]
	v_mul_f64 v[216:217], v[216:217], v[158:159]
	v_fmac_f64_e32 v[216:217], v[218:219], v[210:211]
	s_waitcnt vmcnt(15)
	v_add_f64 v[56:57], v[56:57], -v[156:157]
	s_waitcnt lgkmcnt(0)
	v_mul_f64 v[156:157], v[202:203], v[158:159]
	v_add_f64 v[58:59], v[58:59], -v[216:217]
	v_fma_f64 v[156:157], v[200:201], v[210:211], -v[156:157]
	v_mul_f64 v[200:201], v[200:201], v[158:159]
	ds_read2_b64 v[216:219], v212 offset0:72 offset1:73
	v_fmac_f64_e32 v[200:201], v[202:203], v[210:211]
	s_waitcnt vmcnt(14)
	v_add_f64 v[54:55], v[54:55], -v[200:201]
	ds_read2_b64 v[200:203], v212 offset0:74 offset1:75
	v_add_f64 v[52:53], v[52:53], -v[156:157]
	s_waitcnt lgkmcnt(1)
	v_mul_f64 v[156:157], v[218:219], v[158:159]
	v_fma_f64 v[156:157], v[216:217], v[210:211], -v[156:157]
	v_mul_f64 v[216:217], v[216:217], v[158:159]
	v_fmac_f64_e32 v[216:217], v[218:219], v[210:211]
	s_waitcnt vmcnt(13)
	v_add_f64 v[48:49], v[48:49], -v[156:157]
	s_waitcnt lgkmcnt(0)
	v_mul_f64 v[156:157], v[202:203], v[158:159]
	v_add_f64 v[50:51], v[50:51], -v[216:217]
	v_fma_f64 v[156:157], v[200:201], v[210:211], -v[156:157]
	v_mul_f64 v[200:201], v[200:201], v[158:159]
	ds_read2_b64 v[216:219], v212 offset0:76 offset1:77
	v_fmac_f64_e32 v[200:201], v[202:203], v[210:211]
	s_waitcnt vmcnt(12)
	v_add_f64 v[46:47], v[46:47], -v[200:201]
	ds_read2_b64 v[200:203], v212 offset0:78 offset1:79
	v_add_f64 v[44:45], v[44:45], -v[156:157]
	s_waitcnt lgkmcnt(1)
	v_mul_f64 v[156:157], v[218:219], v[158:159]
	v_fma_f64 v[156:157], v[216:217], v[210:211], -v[156:157]
	v_mul_f64 v[216:217], v[216:217], v[158:159]
	v_fmac_f64_e32 v[216:217], v[218:219], v[210:211]
	s_waitcnt vmcnt(11)
	v_add_f64 v[40:41], v[40:41], -v[156:157]
	s_waitcnt lgkmcnt(0)
	v_mul_f64 v[156:157], v[202:203], v[158:159]
	v_add_f64 v[42:43], v[42:43], -v[216:217]
	v_fma_f64 v[156:157], v[200:201], v[210:211], -v[156:157]
	v_mul_f64 v[200:201], v[200:201], v[158:159]
	ds_read2_b64 v[216:219], v212 offset0:80 offset1:81
	v_fmac_f64_e32 v[200:201], v[202:203], v[210:211]
	s_waitcnt vmcnt(10)
	v_add_f64 v[38:39], v[38:39], -v[200:201]
	ds_read2_b64 v[200:203], v212 offset0:82 offset1:83
	v_add_f64 v[36:37], v[36:37], -v[156:157]
	s_waitcnt lgkmcnt(1)
	v_mul_f64 v[156:157], v[218:219], v[158:159]
	v_fma_f64 v[156:157], v[216:217], v[210:211], -v[156:157]
	v_mul_f64 v[216:217], v[216:217], v[158:159]
	v_fmac_f64_e32 v[216:217], v[218:219], v[210:211]
	s_waitcnt vmcnt(9)
	v_add_f64 v[32:33], v[32:33], -v[156:157]
	s_waitcnt lgkmcnt(0)
	v_mul_f64 v[156:157], v[202:203], v[158:159]
	v_add_f64 v[34:35], v[34:35], -v[216:217]
	v_fma_f64 v[156:157], v[200:201], v[210:211], -v[156:157]
	v_mul_f64 v[200:201], v[200:201], v[158:159]
	ds_read2_b64 v[216:219], v212 offset0:84 offset1:85
	v_fmac_f64_e32 v[200:201], v[202:203], v[210:211]
	s_waitcnt vmcnt(8)
	v_add_f64 v[30:31], v[30:31], -v[200:201]
	ds_read2_b64 v[200:203], v212 offset0:86 offset1:87
	v_add_f64 v[28:29], v[28:29], -v[156:157]
	s_waitcnt lgkmcnt(1)
	v_mul_f64 v[156:157], v[218:219], v[158:159]
	v_fma_f64 v[156:157], v[216:217], v[210:211], -v[156:157]
	v_mul_f64 v[216:217], v[216:217], v[158:159]
	v_fmac_f64_e32 v[216:217], v[218:219], v[210:211]
	s_waitcnt vmcnt(7)
	v_add_f64 v[24:25], v[24:25], -v[156:157]
	s_waitcnt lgkmcnt(0)
	v_mul_f64 v[156:157], v[202:203], v[158:159]
	v_add_f64 v[26:27], v[26:27], -v[216:217]
	v_fma_f64 v[156:157], v[200:201], v[210:211], -v[156:157]
	v_mul_f64 v[200:201], v[200:201], v[158:159]
	ds_read2_b64 v[216:219], v212 offset0:88 offset1:89
	v_fmac_f64_e32 v[200:201], v[202:203], v[210:211]
	s_waitcnt vmcnt(6)
	v_add_f64 v[22:23], v[22:23], -v[200:201]
	ds_read2_b64 v[200:203], v212 offset0:90 offset1:91
	v_add_f64 v[20:21], v[20:21], -v[156:157]
	s_waitcnt lgkmcnt(1)
	v_mul_f64 v[156:157], v[218:219], v[158:159]
	v_fma_f64 v[156:157], v[216:217], v[210:211], -v[156:157]
	v_mul_f64 v[216:217], v[216:217], v[158:159]
	v_fmac_f64_e32 v[216:217], v[218:219], v[210:211]
	s_waitcnt vmcnt(5)
	v_add_f64 v[16:17], v[16:17], -v[156:157]
	s_waitcnt lgkmcnt(0)
	v_mul_f64 v[156:157], v[202:203], v[158:159]
	v_add_f64 v[18:19], v[18:19], -v[216:217]
	v_fma_f64 v[156:157], v[200:201], v[210:211], -v[156:157]
	v_mul_f64 v[200:201], v[200:201], v[158:159]
	ds_read2_b64 v[216:219], v212 offset0:92 offset1:93
	v_fmac_f64_e32 v[200:201], v[202:203], v[210:211]
	s_waitcnt vmcnt(4)
	v_add_f64 v[14:15], v[14:15], -v[200:201]
	ds_read2_b64 v[200:203], v212 offset0:94 offset1:95
	v_add_f64 v[12:13], v[12:13], -v[156:157]
	s_waitcnt lgkmcnt(1)
	v_mul_f64 v[156:157], v[218:219], v[158:159]
	v_fma_f64 v[156:157], v[216:217], v[210:211], -v[156:157]
	v_mul_f64 v[216:217], v[216:217], v[158:159]
	v_fmac_f64_e32 v[216:217], v[218:219], v[210:211]
	s_waitcnt vmcnt(3)
	v_add_f64 v[8:9], v[8:9], -v[156:157]
	s_waitcnt lgkmcnt(0)
	v_mul_f64 v[156:157], v[202:203], v[158:159]
	v_add_f64 v[10:11], v[10:11], -v[216:217]
	v_fma_f64 v[156:157], v[200:201], v[210:211], -v[156:157]
	v_mul_f64 v[200:201], v[200:201], v[158:159]
	ds_read2_b64 v[216:219], v212 offset0:96 offset1:97
	v_fmac_f64_e32 v[200:201], v[202:203], v[210:211]
	s_waitcnt vmcnt(2)
	v_add_f64 v[6:7], v[6:7], -v[200:201]
	ds_read2_b64 v[200:203], v212 offset0:98 offset1:99
	v_add_f64 v[4:5], v[4:5], -v[156:157]
	s_waitcnt lgkmcnt(1)
	v_mul_f64 v[156:157], v[218:219], v[158:159]
	v_fma_f64 v[156:157], v[216:217], v[210:211], -v[156:157]
	s_waitcnt vmcnt(1)
	v_add_f64 v[0:1], v[0:1], -v[156:157]
	s_waitcnt lgkmcnt(0)
	v_mul_f64 v[156:157], v[202:203], v[158:159]
	v_mul_f64 v[216:217], v[216:217], v[158:159]
	v_fma_f64 v[156:157], v[200:201], v[210:211], -v[156:157]
	v_mul_f64 v[200:201], v[200:201], v[158:159]
	v_fmac_f64_e32 v[216:217], v[218:219], v[210:211]
	v_fmac_f64_e32 v[200:201], v[202:203], v[210:211]
	v_add_f64 v[2:3], v[2:3], -v[216:217]
	s_waitcnt vmcnt(0)
	v_add_f64 v[196:197], v[196:197], -v[156:157]
	v_add_f64 v[198:199], v[198:199], -v[200:201]
	v_mov_b64_e32 v[156:157], v[210:211]
.LBB98_251:
	s_or_b64 exec, exec, s[0:1]
	v_lshl_add_u32 v200, v213, 4, v212
	s_barrier
	s_waitcnt vmcnt(37)
	ds_write2_b64 v200, v[152:153], v[154:155] offset1:1
	s_waitcnt lgkmcnt(0)
	s_barrier
	ds_read2_b64 v[200:203], v212 offset0:24 offset1:25
	s_cmp_lt_i32 s20, 14
	v_mov_b32_e32 v210, 12
	s_cbranch_scc1 .LBB98_254
; %bb.252:
	v_add_u32_e32 v211, 0xd0, v212
	s_mov_b32 s16, 13
	v_mov_b32_e32 v210, 12
.LBB98_253:                             ; =>This Inner Loop Header: Depth=1
	ds_read2_b64 v[216:219], v211 offset1:1
	s_waitcnt lgkmcnt(1)
	v_xor_b32_e32 v221, 0x80000000, v201
	v_xor_b32_e32 v223, 0x80000000, v203
	v_cmp_gt_f64_e32 vcc, 0, v[202:203]
	v_cmp_gt_f64_e64 s[0:1], 0, v[200:201]
	v_mov_b32_e32 v220, v200
	v_mov_b32_e32 v222, v202
	v_cndmask_b32_e64 v221, v201, v221, s[0:1]
	v_cndmask_b32_e32 v223, v203, v223, vcc
	v_add_f64 v[220:221], v[220:221], v[222:223]
	s_waitcnt lgkmcnt(0)
	v_xor_b32_e32 v223, 0x80000000, v217
	v_xor_b32_e32 v225, 0x80000000, v219
	v_cmp_gt_f64_e32 vcc, 0, v[218:219]
	v_cmp_gt_f64_e64 s[0:1], 0, v[216:217]
	v_mov_b32_e32 v222, v216
	v_mov_b32_e32 v224, v218
	v_cndmask_b32_e64 v223, v217, v223, s[0:1]
	v_cndmask_b32_e32 v225, v219, v225, vcc
	v_add_f64 v[222:223], v[222:223], v[224:225]
	v_mov_b32_e32 v226, s16
	s_add_i32 s16, s16, 1
	v_cmp_lt_f64_e32 vcc, v[220:221], v[222:223]
	v_add_u32_e32 v211, 16, v211
	s_cmp_lg_u32 s20, s16
	v_cndmask_b32_e32 v201, v201, v217, vcc
	v_cndmask_b32_e32 v200, v200, v216, vcc
	;; [unrolled: 1-line block ×5, first 2 shown]
	s_cbranch_scc1 .LBB98_253
.LBB98_254:
	s_waitcnt lgkmcnt(0)
	v_cmp_eq_f64_e32 vcc, 0, v[200:201]
	v_cmp_eq_f64_e64 s[0:1], 0, v[202:203]
	s_and_b64 s[0:1], vcc, s[0:1]
	s_and_saveexec_b64 s[16:17], s[0:1]
	s_xor_b64 s[0:1], exec, s[16:17]
; %bb.255:
	v_cmp_ne_u32_e32 vcc, 0, v214
	s_nop 1
	v_cndmask_b32_e32 v214, 13, v214, vcc
; %bb.256:
	s_andn2_saveexec_b64 s[0:1], s[0:1]
	s_cbranch_execz .LBB98_262
; %bb.257:
	v_cmp_ngt_f64_e64 s[16:17], |v[200:201]|, |v[202:203]|
	s_and_saveexec_b64 s[18:19], s[16:17]
	s_xor_b64 s[16:17], exec, s[18:19]
	s_cbranch_execz .LBB98_259
; %bb.258:
	v_div_scale_f64 v[216:217], s[18:19], v[202:203], v[202:203], v[200:201]
	v_rcp_f64_e32 v[218:219], v[216:217]
	v_div_scale_f64 v[220:221], vcc, v[200:201], v[202:203], v[200:201]
	v_fma_f64 v[222:223], -v[216:217], v[218:219], 1.0
	v_fmac_f64_e32 v[218:219], v[218:219], v[222:223]
	v_fma_f64 v[222:223], -v[216:217], v[218:219], 1.0
	v_fmac_f64_e32 v[218:219], v[218:219], v[222:223]
	v_mul_f64 v[222:223], v[220:221], v[218:219]
	v_fma_f64 v[216:217], -v[216:217], v[222:223], v[220:221]
	v_div_fmas_f64 v[216:217], v[216:217], v[218:219], v[222:223]
	v_div_fixup_f64 v[216:217], v[216:217], v[202:203], v[200:201]
	v_fmac_f64_e32 v[202:203], v[200:201], v[216:217]
	v_div_scale_f64 v[200:201], s[18:19], v[202:203], v[202:203], 1.0
	v_rcp_f64_e32 v[218:219], v[200:201]
	s_nop 0
	v_fma_f64 v[220:221], -v[200:201], v[218:219], 1.0
	v_fmac_f64_e32 v[218:219], v[218:219], v[220:221]
	v_fma_f64 v[220:221], -v[200:201], v[218:219], 1.0
	v_fmac_f64_e32 v[218:219], v[218:219], v[220:221]
	v_div_scale_f64 v[220:221], vcc, 1.0, v[202:203], 1.0
	v_mul_f64 v[222:223], v[220:221], v[218:219]
	v_fma_f64 v[200:201], -v[200:201], v[222:223], v[220:221]
	s_nop 1
	v_div_fmas_f64 v[200:201], v[200:201], v[218:219], v[222:223]
	v_div_fixup_f64 v[202:203], v[200:201], v[202:203], 1.0
	v_mul_f64 v[200:201], v[216:217], v[202:203]
	v_xor_b32_e32 v203, 0x80000000, v203
.LBB98_259:
	s_andn2_saveexec_b64 s[16:17], s[16:17]
	s_cbranch_execz .LBB98_261
; %bb.260:
	v_div_scale_f64 v[216:217], s[18:19], v[200:201], v[200:201], v[202:203]
	v_rcp_f64_e32 v[218:219], v[216:217]
	v_div_scale_f64 v[220:221], vcc, v[202:203], v[200:201], v[202:203]
	v_fma_f64 v[222:223], -v[216:217], v[218:219], 1.0
	v_fmac_f64_e32 v[218:219], v[218:219], v[222:223]
	v_fma_f64 v[222:223], -v[216:217], v[218:219], 1.0
	v_fmac_f64_e32 v[218:219], v[218:219], v[222:223]
	v_mul_f64 v[222:223], v[220:221], v[218:219]
	v_fma_f64 v[216:217], -v[216:217], v[222:223], v[220:221]
	v_div_fmas_f64 v[216:217], v[216:217], v[218:219], v[222:223]
	v_div_fixup_f64 v[216:217], v[216:217], v[200:201], v[202:203]
	v_fmac_f64_e32 v[200:201], v[202:203], v[216:217]
	v_div_scale_f64 v[202:203], s[18:19], v[200:201], v[200:201], 1.0
	v_rcp_f64_e32 v[218:219], v[202:203]
	s_nop 0
	v_fma_f64 v[220:221], -v[202:203], v[218:219], 1.0
	v_fmac_f64_e32 v[218:219], v[218:219], v[220:221]
	v_fma_f64 v[220:221], -v[202:203], v[218:219], 1.0
	v_fmac_f64_e32 v[218:219], v[218:219], v[220:221]
	v_div_scale_f64 v[220:221], vcc, 1.0, v[200:201], 1.0
	v_mul_f64 v[222:223], v[220:221], v[218:219]
	v_fma_f64 v[202:203], -v[202:203], v[222:223], v[220:221]
	s_nop 1
	v_div_fmas_f64 v[202:203], v[202:203], v[218:219], v[222:223]
	v_div_fixup_f64 v[200:201], v[202:203], v[200:201], 1.0
	v_mul_f64 v[202:203], v[216:217], -v[200:201]
.LBB98_261:
	s_or_b64 exec, exec, s[16:17]
.LBB98_262:
	s_or_b64 exec, exec, s[0:1]
	v_cmp_ne_u32_e32 vcc, v213, v210
	s_and_saveexec_b64 s[0:1], vcc
	s_xor_b64 s[0:1], exec, s[0:1]
	s_cbranch_execz .LBB98_268
; %bb.263:
	v_cmp_eq_u32_e32 vcc, 12, v213
	s_and_saveexec_b64 s[16:17], vcc
	s_cbranch_execz .LBB98_267
; %bb.264:
	v_cmp_ne_u32_e32 vcc, 12, v210
	s_xor_b64 s[18:19], s[14:15], -1
	s_and_b64 s[22:23], s[18:19], vcc
	s_and_saveexec_b64 s[18:19], s[22:23]
	s_cbranch_execz .LBB98_266
; %bb.265:
	v_ashrrev_i32_e32 v211, 31, v210
	v_lshl_add_u64 v[216:217], v[210:211], 2, v[208:209]
	global_load_dword v211, v[216:217], off
	global_load_dword v213, v[208:209], off offset:48
	s_waitcnt vmcnt(1)
	global_store_dword v[208:209], v211, off offset:48
	s_waitcnt vmcnt(1)
	global_store_dword v[216:217], v213, off
.LBB98_266:
	s_or_b64 exec, exec, s[18:19]
	v_mov_b32_e32 v213, v210
	v_mov_b32_e32 v215, v210
.LBB98_267:
	s_or_b64 exec, exec, s[16:17]
.LBB98_268:
	s_andn2_saveexec_b64 s[0:1], s[0:1]
	s_cbranch_execz .LBB98_270
; %bb.269:
	v_mov_b32_e32 v213, 12
	s_waitcnt vmcnt(36)
	ds_write2_b64 v212, v[148:149], v[150:151] offset0:26 offset1:27
	s_waitcnt vmcnt(35)
	ds_write2_b64 v212, v[144:145], v[146:147] offset0:28 offset1:29
	;; [unrolled: 2-line block ×37, first 2 shown]
.LBB98_270:
	s_or_b64 exec, exec, s[0:1]
	v_cmp_lt_i32_e32 vcc, 12, v213
	s_waitcnt lgkmcnt(0)
	s_barrier
	s_and_saveexec_b64 s[0:1], vcc
	s_cbranch_execz .LBB98_272
; %bb.271:
	ds_read2_b64 v[216:219], v212 offset0:26 offset1:27
	v_mul_f64 v[210:211], v[202:203], v[154:155]
	v_mul_f64 v[154:155], v[200:201], v[154:155]
	v_fmac_f64_e32 v[154:155], v[202:203], v[152:153]
	v_fma_f64 v[210:211], v[200:201], v[152:153], -v[210:211]
	ds_read2_b64 v[200:203], v212 offset0:28 offset1:29
	s_waitcnt lgkmcnt(1)
	v_mul_f64 v[152:153], v[218:219], v[154:155]
	v_fma_f64 v[152:153], v[216:217], v[210:211], -v[152:153]
	v_mul_f64 v[216:217], v[216:217], v[154:155]
	v_fmac_f64_e32 v[216:217], v[218:219], v[210:211]
	s_waitcnt vmcnt(36)
	v_add_f64 v[150:151], v[150:151], -v[216:217]
	ds_read2_b64 v[216:219], v212 offset0:30 offset1:31
	v_add_f64 v[148:149], v[148:149], -v[152:153]
	s_waitcnt lgkmcnt(1)
	v_mul_f64 v[152:153], v[202:203], v[154:155]
	v_fma_f64 v[152:153], v[200:201], v[210:211], -v[152:153]
	v_mul_f64 v[200:201], v[200:201], v[154:155]
	v_fmac_f64_e32 v[200:201], v[202:203], v[210:211]
	s_waitcnt vmcnt(35)
	v_add_f64 v[144:145], v[144:145], -v[152:153]
	v_add_f64 v[146:147], v[146:147], -v[200:201]
	ds_read2_b64 v[200:203], v212 offset0:32 offset1:33
	s_waitcnt lgkmcnt(1)
	v_mul_f64 v[152:153], v[218:219], v[154:155]
	v_fma_f64 v[152:153], v[216:217], v[210:211], -v[152:153]
	v_mul_f64 v[216:217], v[216:217], v[154:155]
	v_fmac_f64_e32 v[216:217], v[218:219], v[210:211]
	s_waitcnt vmcnt(34)
	v_add_f64 v[142:143], v[142:143], -v[216:217]
	ds_read2_b64 v[216:219], v212 offset0:34 offset1:35
	v_add_f64 v[140:141], v[140:141], -v[152:153]
	s_waitcnt lgkmcnt(1)
	v_mul_f64 v[152:153], v[202:203], v[154:155]
	v_fma_f64 v[152:153], v[200:201], v[210:211], -v[152:153]
	v_mul_f64 v[200:201], v[200:201], v[154:155]
	v_fmac_f64_e32 v[200:201], v[202:203], v[210:211]
	s_waitcnt vmcnt(33)
	v_add_f64 v[136:137], v[136:137], -v[152:153]
	v_add_f64 v[138:139], v[138:139], -v[200:201]
	ds_read2_b64 v[200:203], v212 offset0:36 offset1:37
	s_waitcnt lgkmcnt(1)
	v_mul_f64 v[152:153], v[218:219], v[154:155]
	v_fma_f64 v[152:153], v[216:217], v[210:211], -v[152:153]
	v_mul_f64 v[216:217], v[216:217], v[154:155]
	v_fmac_f64_e32 v[216:217], v[218:219], v[210:211]
	s_waitcnt vmcnt(32)
	v_add_f64 v[126:127], v[126:127], -v[216:217]
	ds_read2_b64 v[216:219], v212 offset0:38 offset1:39
	v_add_f64 v[124:125], v[124:125], -v[152:153]
	s_waitcnt lgkmcnt(1)
	v_mul_f64 v[152:153], v[202:203], v[154:155]
	v_fma_f64 v[152:153], v[200:201], v[210:211], -v[152:153]
	v_mul_f64 v[200:201], v[200:201], v[154:155]
	v_fmac_f64_e32 v[200:201], v[202:203], v[210:211]
	s_waitcnt vmcnt(31)
	v_add_f64 v[120:121], v[120:121], -v[152:153]
	v_add_f64 v[122:123], v[122:123], -v[200:201]
	ds_read2_b64 v[200:203], v212 offset0:40 offset1:41
	s_waitcnt lgkmcnt(1)
	v_mul_f64 v[152:153], v[218:219], v[154:155]
	v_fma_f64 v[152:153], v[216:217], v[210:211], -v[152:153]
	v_mul_f64 v[216:217], v[216:217], v[154:155]
	v_fmac_f64_e32 v[216:217], v[218:219], v[210:211]
	s_waitcnt vmcnt(30)
	v_add_f64 v[118:119], v[118:119], -v[216:217]
	ds_read2_b64 v[216:219], v212 offset0:42 offset1:43
	v_add_f64 v[116:117], v[116:117], -v[152:153]
	s_waitcnt lgkmcnt(1)
	v_mul_f64 v[152:153], v[202:203], v[154:155]
	v_fma_f64 v[152:153], v[200:201], v[210:211], -v[152:153]
	v_mul_f64 v[200:201], v[200:201], v[154:155]
	v_fmac_f64_e32 v[200:201], v[202:203], v[210:211]
	s_waitcnt vmcnt(29)
	v_add_f64 v[112:113], v[112:113], -v[152:153]
	v_add_f64 v[114:115], v[114:115], -v[200:201]
	ds_read2_b64 v[200:203], v212 offset0:44 offset1:45
	s_waitcnt lgkmcnt(1)
	v_mul_f64 v[152:153], v[218:219], v[154:155]
	v_fma_f64 v[152:153], v[216:217], v[210:211], -v[152:153]
	v_mul_f64 v[216:217], v[216:217], v[154:155]
	v_fmac_f64_e32 v[216:217], v[218:219], v[210:211]
	s_waitcnt vmcnt(28)
	v_add_f64 v[110:111], v[110:111], -v[216:217]
	ds_read2_b64 v[216:219], v212 offset0:46 offset1:47
	v_add_f64 v[108:109], v[108:109], -v[152:153]
	s_waitcnt lgkmcnt(1)
	v_mul_f64 v[152:153], v[202:203], v[154:155]
	v_fma_f64 v[152:153], v[200:201], v[210:211], -v[152:153]
	v_mul_f64 v[200:201], v[200:201], v[154:155]
	v_fmac_f64_e32 v[200:201], v[202:203], v[210:211]
	s_waitcnt vmcnt(27)
	v_add_f64 v[104:105], v[104:105], -v[152:153]
	v_add_f64 v[106:107], v[106:107], -v[200:201]
	ds_read2_b64 v[200:203], v212 offset0:48 offset1:49
	s_waitcnt lgkmcnt(1)
	v_mul_f64 v[152:153], v[218:219], v[154:155]
	v_fma_f64 v[152:153], v[216:217], v[210:211], -v[152:153]
	v_mul_f64 v[216:217], v[216:217], v[154:155]
	v_fmac_f64_e32 v[216:217], v[218:219], v[210:211]
	s_waitcnt vmcnt(26)
	v_add_f64 v[102:103], v[102:103], -v[216:217]
	ds_read2_b64 v[216:219], v212 offset0:50 offset1:51
	v_add_f64 v[100:101], v[100:101], -v[152:153]
	s_waitcnt lgkmcnt(1)
	v_mul_f64 v[152:153], v[202:203], v[154:155]
	v_fma_f64 v[152:153], v[200:201], v[210:211], -v[152:153]
	v_mul_f64 v[200:201], v[200:201], v[154:155]
	v_fmac_f64_e32 v[200:201], v[202:203], v[210:211]
	s_waitcnt vmcnt(25)
	v_add_f64 v[96:97], v[96:97], -v[152:153]
	v_add_f64 v[98:99], v[98:99], -v[200:201]
	ds_read2_b64 v[200:203], v212 offset0:52 offset1:53
	s_waitcnt lgkmcnt(1)
	v_mul_f64 v[152:153], v[218:219], v[154:155]
	v_fma_f64 v[152:153], v[216:217], v[210:211], -v[152:153]
	v_mul_f64 v[216:217], v[216:217], v[154:155]
	v_fmac_f64_e32 v[216:217], v[218:219], v[210:211]
	s_waitcnt vmcnt(24)
	v_add_f64 v[94:95], v[94:95], -v[216:217]
	ds_read2_b64 v[216:219], v212 offset0:54 offset1:55
	v_add_f64 v[92:93], v[92:93], -v[152:153]
	s_waitcnt lgkmcnt(1)
	v_mul_f64 v[152:153], v[202:203], v[154:155]
	v_fma_f64 v[152:153], v[200:201], v[210:211], -v[152:153]
	v_mul_f64 v[200:201], v[200:201], v[154:155]
	v_fmac_f64_e32 v[200:201], v[202:203], v[210:211]
	s_waitcnt vmcnt(23)
	v_add_f64 v[88:89], v[88:89], -v[152:153]
	v_add_f64 v[90:91], v[90:91], -v[200:201]
	ds_read2_b64 v[200:203], v212 offset0:56 offset1:57
	s_waitcnt lgkmcnt(1)
	v_mul_f64 v[152:153], v[218:219], v[154:155]
	v_fma_f64 v[152:153], v[216:217], v[210:211], -v[152:153]
	v_mul_f64 v[216:217], v[216:217], v[154:155]
	v_fmac_f64_e32 v[216:217], v[218:219], v[210:211]
	s_waitcnt vmcnt(22)
	v_add_f64 v[86:87], v[86:87], -v[216:217]
	ds_read2_b64 v[216:219], v212 offset0:58 offset1:59
	v_add_f64 v[84:85], v[84:85], -v[152:153]
	s_waitcnt lgkmcnt(1)
	v_mul_f64 v[152:153], v[202:203], v[154:155]
	v_fma_f64 v[152:153], v[200:201], v[210:211], -v[152:153]
	v_mul_f64 v[200:201], v[200:201], v[154:155]
	v_fmac_f64_e32 v[200:201], v[202:203], v[210:211]
	s_waitcnt vmcnt(21)
	v_add_f64 v[80:81], v[80:81], -v[152:153]
	v_add_f64 v[82:83], v[82:83], -v[200:201]
	ds_read2_b64 v[200:203], v212 offset0:60 offset1:61
	s_waitcnt lgkmcnt(1)
	v_mul_f64 v[152:153], v[218:219], v[154:155]
	v_fma_f64 v[152:153], v[216:217], v[210:211], -v[152:153]
	v_mul_f64 v[216:217], v[216:217], v[154:155]
	v_fmac_f64_e32 v[216:217], v[218:219], v[210:211]
	s_waitcnt vmcnt(20)
	v_add_f64 v[78:79], v[78:79], -v[216:217]
	ds_read2_b64 v[216:219], v212 offset0:62 offset1:63
	v_add_f64 v[76:77], v[76:77], -v[152:153]
	s_waitcnt lgkmcnt(1)
	v_mul_f64 v[152:153], v[202:203], v[154:155]
	v_fma_f64 v[152:153], v[200:201], v[210:211], -v[152:153]
	v_mul_f64 v[200:201], v[200:201], v[154:155]
	v_fmac_f64_e32 v[200:201], v[202:203], v[210:211]
	s_waitcnt vmcnt(19)
	v_add_f64 v[72:73], v[72:73], -v[152:153]
	v_add_f64 v[74:75], v[74:75], -v[200:201]
	ds_read2_b64 v[200:203], v212 offset0:64 offset1:65
	s_waitcnt lgkmcnt(1)
	v_mul_f64 v[152:153], v[218:219], v[154:155]
	v_fma_f64 v[152:153], v[216:217], v[210:211], -v[152:153]
	v_mul_f64 v[216:217], v[216:217], v[154:155]
	v_fmac_f64_e32 v[216:217], v[218:219], v[210:211]
	s_waitcnt vmcnt(18)
	v_add_f64 v[70:71], v[70:71], -v[216:217]
	ds_read2_b64 v[216:219], v212 offset0:66 offset1:67
	v_add_f64 v[68:69], v[68:69], -v[152:153]
	s_waitcnt lgkmcnt(1)
	v_mul_f64 v[152:153], v[202:203], v[154:155]
	v_fma_f64 v[152:153], v[200:201], v[210:211], -v[152:153]
	v_mul_f64 v[200:201], v[200:201], v[154:155]
	v_fmac_f64_e32 v[200:201], v[202:203], v[210:211]
	s_waitcnt vmcnt(17)
	v_add_f64 v[64:65], v[64:65], -v[152:153]
	v_add_f64 v[66:67], v[66:67], -v[200:201]
	ds_read2_b64 v[200:203], v212 offset0:68 offset1:69
	s_waitcnt lgkmcnt(1)
	v_mul_f64 v[152:153], v[218:219], v[154:155]
	v_fma_f64 v[152:153], v[216:217], v[210:211], -v[152:153]
	v_mul_f64 v[216:217], v[216:217], v[154:155]
	v_fmac_f64_e32 v[216:217], v[218:219], v[210:211]
	s_waitcnt vmcnt(16)
	v_add_f64 v[62:63], v[62:63], -v[216:217]
	ds_read2_b64 v[216:219], v212 offset0:70 offset1:71
	v_add_f64 v[60:61], v[60:61], -v[152:153]
	s_waitcnt lgkmcnt(1)
	v_mul_f64 v[152:153], v[202:203], v[154:155]
	v_fma_f64 v[152:153], v[200:201], v[210:211], -v[152:153]
	v_mul_f64 v[200:201], v[200:201], v[154:155]
	v_fmac_f64_e32 v[200:201], v[202:203], v[210:211]
	s_waitcnt vmcnt(15)
	v_add_f64 v[56:57], v[56:57], -v[152:153]
	v_add_f64 v[58:59], v[58:59], -v[200:201]
	ds_read2_b64 v[200:203], v212 offset0:72 offset1:73
	s_waitcnt lgkmcnt(1)
	v_mul_f64 v[152:153], v[218:219], v[154:155]
	v_fma_f64 v[152:153], v[216:217], v[210:211], -v[152:153]
	v_mul_f64 v[216:217], v[216:217], v[154:155]
	v_fmac_f64_e32 v[216:217], v[218:219], v[210:211]
	s_waitcnt vmcnt(14)
	v_add_f64 v[54:55], v[54:55], -v[216:217]
	ds_read2_b64 v[216:219], v212 offset0:74 offset1:75
	v_add_f64 v[52:53], v[52:53], -v[152:153]
	s_waitcnt lgkmcnt(1)
	v_mul_f64 v[152:153], v[202:203], v[154:155]
	v_fma_f64 v[152:153], v[200:201], v[210:211], -v[152:153]
	v_mul_f64 v[200:201], v[200:201], v[154:155]
	v_fmac_f64_e32 v[200:201], v[202:203], v[210:211]
	s_waitcnt vmcnt(13)
	v_add_f64 v[48:49], v[48:49], -v[152:153]
	v_add_f64 v[50:51], v[50:51], -v[200:201]
	ds_read2_b64 v[200:203], v212 offset0:76 offset1:77
	s_waitcnt lgkmcnt(1)
	v_mul_f64 v[152:153], v[218:219], v[154:155]
	v_fma_f64 v[152:153], v[216:217], v[210:211], -v[152:153]
	v_mul_f64 v[216:217], v[216:217], v[154:155]
	v_fmac_f64_e32 v[216:217], v[218:219], v[210:211]
	s_waitcnt vmcnt(12)
	v_add_f64 v[46:47], v[46:47], -v[216:217]
	ds_read2_b64 v[216:219], v212 offset0:78 offset1:79
	v_add_f64 v[44:45], v[44:45], -v[152:153]
	s_waitcnt lgkmcnt(1)
	v_mul_f64 v[152:153], v[202:203], v[154:155]
	v_fma_f64 v[152:153], v[200:201], v[210:211], -v[152:153]
	v_mul_f64 v[200:201], v[200:201], v[154:155]
	v_fmac_f64_e32 v[200:201], v[202:203], v[210:211]
	s_waitcnt vmcnt(11)
	v_add_f64 v[40:41], v[40:41], -v[152:153]
	v_add_f64 v[42:43], v[42:43], -v[200:201]
	ds_read2_b64 v[200:203], v212 offset0:80 offset1:81
	s_waitcnt lgkmcnt(1)
	v_mul_f64 v[152:153], v[218:219], v[154:155]
	v_fma_f64 v[152:153], v[216:217], v[210:211], -v[152:153]
	v_mul_f64 v[216:217], v[216:217], v[154:155]
	v_fmac_f64_e32 v[216:217], v[218:219], v[210:211]
	s_waitcnt vmcnt(10)
	v_add_f64 v[38:39], v[38:39], -v[216:217]
	ds_read2_b64 v[216:219], v212 offset0:82 offset1:83
	v_add_f64 v[36:37], v[36:37], -v[152:153]
	s_waitcnt lgkmcnt(1)
	v_mul_f64 v[152:153], v[202:203], v[154:155]
	v_fma_f64 v[152:153], v[200:201], v[210:211], -v[152:153]
	v_mul_f64 v[200:201], v[200:201], v[154:155]
	v_fmac_f64_e32 v[200:201], v[202:203], v[210:211]
	s_waitcnt vmcnt(9)
	v_add_f64 v[32:33], v[32:33], -v[152:153]
	v_add_f64 v[34:35], v[34:35], -v[200:201]
	ds_read2_b64 v[200:203], v212 offset0:84 offset1:85
	s_waitcnt lgkmcnt(1)
	v_mul_f64 v[152:153], v[218:219], v[154:155]
	v_fma_f64 v[152:153], v[216:217], v[210:211], -v[152:153]
	v_mul_f64 v[216:217], v[216:217], v[154:155]
	v_fmac_f64_e32 v[216:217], v[218:219], v[210:211]
	s_waitcnt vmcnt(8)
	v_add_f64 v[30:31], v[30:31], -v[216:217]
	ds_read2_b64 v[216:219], v212 offset0:86 offset1:87
	v_add_f64 v[28:29], v[28:29], -v[152:153]
	s_waitcnt lgkmcnt(1)
	v_mul_f64 v[152:153], v[202:203], v[154:155]
	v_fma_f64 v[152:153], v[200:201], v[210:211], -v[152:153]
	v_mul_f64 v[200:201], v[200:201], v[154:155]
	v_fmac_f64_e32 v[200:201], v[202:203], v[210:211]
	s_waitcnt vmcnt(7)
	v_add_f64 v[24:25], v[24:25], -v[152:153]
	v_add_f64 v[26:27], v[26:27], -v[200:201]
	ds_read2_b64 v[200:203], v212 offset0:88 offset1:89
	s_waitcnt lgkmcnt(1)
	v_mul_f64 v[152:153], v[218:219], v[154:155]
	v_fma_f64 v[152:153], v[216:217], v[210:211], -v[152:153]
	v_mul_f64 v[216:217], v[216:217], v[154:155]
	v_fmac_f64_e32 v[216:217], v[218:219], v[210:211]
	s_waitcnt vmcnt(6)
	v_add_f64 v[22:23], v[22:23], -v[216:217]
	ds_read2_b64 v[216:219], v212 offset0:90 offset1:91
	v_add_f64 v[20:21], v[20:21], -v[152:153]
	s_waitcnt lgkmcnt(1)
	v_mul_f64 v[152:153], v[202:203], v[154:155]
	v_fma_f64 v[152:153], v[200:201], v[210:211], -v[152:153]
	v_mul_f64 v[200:201], v[200:201], v[154:155]
	v_fmac_f64_e32 v[200:201], v[202:203], v[210:211]
	s_waitcnt vmcnt(5)
	v_add_f64 v[16:17], v[16:17], -v[152:153]
	v_add_f64 v[18:19], v[18:19], -v[200:201]
	ds_read2_b64 v[200:203], v212 offset0:92 offset1:93
	s_waitcnt lgkmcnt(1)
	v_mul_f64 v[152:153], v[218:219], v[154:155]
	v_fma_f64 v[152:153], v[216:217], v[210:211], -v[152:153]
	v_mul_f64 v[216:217], v[216:217], v[154:155]
	v_fmac_f64_e32 v[216:217], v[218:219], v[210:211]
	s_waitcnt vmcnt(4)
	v_add_f64 v[14:15], v[14:15], -v[216:217]
	ds_read2_b64 v[216:219], v212 offset0:94 offset1:95
	v_add_f64 v[12:13], v[12:13], -v[152:153]
	s_waitcnt lgkmcnt(1)
	v_mul_f64 v[152:153], v[202:203], v[154:155]
	v_fma_f64 v[152:153], v[200:201], v[210:211], -v[152:153]
	v_mul_f64 v[200:201], v[200:201], v[154:155]
	v_fmac_f64_e32 v[200:201], v[202:203], v[210:211]
	s_waitcnt vmcnt(3)
	v_add_f64 v[8:9], v[8:9], -v[152:153]
	v_add_f64 v[10:11], v[10:11], -v[200:201]
	ds_read2_b64 v[200:203], v212 offset0:96 offset1:97
	s_waitcnt lgkmcnt(1)
	v_mul_f64 v[152:153], v[218:219], v[154:155]
	v_fma_f64 v[152:153], v[216:217], v[210:211], -v[152:153]
	v_mul_f64 v[216:217], v[216:217], v[154:155]
	v_fmac_f64_e32 v[216:217], v[218:219], v[210:211]
	s_waitcnt vmcnt(2)
	v_add_f64 v[6:7], v[6:7], -v[216:217]
	ds_read2_b64 v[216:219], v212 offset0:98 offset1:99
	v_add_f64 v[4:5], v[4:5], -v[152:153]
	s_waitcnt lgkmcnt(1)
	v_mul_f64 v[152:153], v[202:203], v[154:155]
	v_fma_f64 v[152:153], v[200:201], v[210:211], -v[152:153]
	v_mul_f64 v[200:201], v[200:201], v[154:155]
	v_fmac_f64_e32 v[200:201], v[202:203], v[210:211]
	s_waitcnt vmcnt(1)
	v_add_f64 v[0:1], v[0:1], -v[152:153]
	v_add_f64 v[2:3], v[2:3], -v[200:201]
	s_waitcnt lgkmcnt(0)
	v_mul_f64 v[152:153], v[218:219], v[154:155]
	v_mul_f64 v[200:201], v[216:217], v[154:155]
	v_fma_f64 v[152:153], v[216:217], v[210:211], -v[152:153]
	v_fmac_f64_e32 v[200:201], v[218:219], v[210:211]
	s_waitcnt vmcnt(0)
	v_add_f64 v[196:197], v[196:197], -v[152:153]
	v_add_f64 v[198:199], v[198:199], -v[200:201]
	v_mov_b64_e32 v[152:153], v[210:211]
.LBB98_272:
	s_or_b64 exec, exec, s[0:1]
	v_lshl_add_u32 v200, v213, 4, v212
	s_barrier
	s_waitcnt vmcnt(36)
	ds_write2_b64 v200, v[148:149], v[150:151] offset1:1
	s_waitcnt lgkmcnt(0)
	s_barrier
	ds_read2_b64 v[200:203], v212 offset0:26 offset1:27
	s_cmp_lt_i32 s20, 15
	v_mov_b32_e32 v210, 13
	s_cbranch_scc1 .LBB98_275
; %bb.273:
	v_add_u32_e32 v211, 0xe0, v212
	s_mov_b32 s16, 14
	v_mov_b32_e32 v210, 13
.LBB98_274:                             ; =>This Inner Loop Header: Depth=1
	ds_read2_b64 v[216:219], v211 offset1:1
	s_waitcnt lgkmcnt(1)
	v_xor_b32_e32 v221, 0x80000000, v201
	v_xor_b32_e32 v223, 0x80000000, v203
	v_cmp_gt_f64_e32 vcc, 0, v[202:203]
	v_cmp_gt_f64_e64 s[0:1], 0, v[200:201]
	v_mov_b32_e32 v220, v200
	v_mov_b32_e32 v222, v202
	v_cndmask_b32_e64 v221, v201, v221, s[0:1]
	v_cndmask_b32_e32 v223, v203, v223, vcc
	v_add_f64 v[220:221], v[220:221], v[222:223]
	s_waitcnt lgkmcnt(0)
	v_xor_b32_e32 v223, 0x80000000, v217
	v_xor_b32_e32 v225, 0x80000000, v219
	v_cmp_gt_f64_e32 vcc, 0, v[218:219]
	v_cmp_gt_f64_e64 s[0:1], 0, v[216:217]
	v_mov_b32_e32 v222, v216
	v_mov_b32_e32 v224, v218
	v_cndmask_b32_e64 v223, v217, v223, s[0:1]
	v_cndmask_b32_e32 v225, v219, v225, vcc
	v_add_f64 v[222:223], v[222:223], v[224:225]
	v_mov_b32_e32 v226, s16
	s_add_i32 s16, s16, 1
	v_cmp_lt_f64_e32 vcc, v[220:221], v[222:223]
	v_add_u32_e32 v211, 16, v211
	s_cmp_lg_u32 s20, s16
	v_cndmask_b32_e32 v201, v201, v217, vcc
	v_cndmask_b32_e32 v200, v200, v216, vcc
	v_cndmask_b32_e32 v203, v203, v219, vcc
	v_cndmask_b32_e32 v202, v202, v218, vcc
	v_cndmask_b32_e32 v210, v210, v226, vcc
	s_cbranch_scc1 .LBB98_274
.LBB98_275:
	s_waitcnt lgkmcnt(0)
	v_cmp_eq_f64_e32 vcc, 0, v[200:201]
	v_cmp_eq_f64_e64 s[0:1], 0, v[202:203]
	s_and_b64 s[0:1], vcc, s[0:1]
	s_and_saveexec_b64 s[16:17], s[0:1]
	s_xor_b64 s[0:1], exec, s[16:17]
; %bb.276:
	v_cmp_ne_u32_e32 vcc, 0, v214
	s_nop 1
	v_cndmask_b32_e32 v214, 14, v214, vcc
; %bb.277:
	s_andn2_saveexec_b64 s[0:1], s[0:1]
	s_cbranch_execz .LBB98_283
; %bb.278:
	v_cmp_ngt_f64_e64 s[16:17], |v[200:201]|, |v[202:203]|
	s_and_saveexec_b64 s[18:19], s[16:17]
	s_xor_b64 s[16:17], exec, s[18:19]
	s_cbranch_execz .LBB98_280
; %bb.279:
	v_div_scale_f64 v[216:217], s[18:19], v[202:203], v[202:203], v[200:201]
	v_rcp_f64_e32 v[218:219], v[216:217]
	v_div_scale_f64 v[220:221], vcc, v[200:201], v[202:203], v[200:201]
	v_fma_f64 v[222:223], -v[216:217], v[218:219], 1.0
	v_fmac_f64_e32 v[218:219], v[218:219], v[222:223]
	v_fma_f64 v[222:223], -v[216:217], v[218:219], 1.0
	v_fmac_f64_e32 v[218:219], v[218:219], v[222:223]
	v_mul_f64 v[222:223], v[220:221], v[218:219]
	v_fma_f64 v[216:217], -v[216:217], v[222:223], v[220:221]
	v_div_fmas_f64 v[216:217], v[216:217], v[218:219], v[222:223]
	v_div_fixup_f64 v[216:217], v[216:217], v[202:203], v[200:201]
	v_fmac_f64_e32 v[202:203], v[200:201], v[216:217]
	v_div_scale_f64 v[200:201], s[18:19], v[202:203], v[202:203], 1.0
	v_rcp_f64_e32 v[218:219], v[200:201]
	s_nop 0
	v_fma_f64 v[220:221], -v[200:201], v[218:219], 1.0
	v_fmac_f64_e32 v[218:219], v[218:219], v[220:221]
	v_fma_f64 v[220:221], -v[200:201], v[218:219], 1.0
	v_fmac_f64_e32 v[218:219], v[218:219], v[220:221]
	v_div_scale_f64 v[220:221], vcc, 1.0, v[202:203], 1.0
	v_mul_f64 v[222:223], v[220:221], v[218:219]
	v_fma_f64 v[200:201], -v[200:201], v[222:223], v[220:221]
	s_nop 1
	v_div_fmas_f64 v[200:201], v[200:201], v[218:219], v[222:223]
	v_div_fixup_f64 v[202:203], v[200:201], v[202:203], 1.0
	v_mul_f64 v[200:201], v[216:217], v[202:203]
	v_xor_b32_e32 v203, 0x80000000, v203
.LBB98_280:
	s_andn2_saveexec_b64 s[16:17], s[16:17]
	s_cbranch_execz .LBB98_282
; %bb.281:
	v_div_scale_f64 v[216:217], s[18:19], v[200:201], v[200:201], v[202:203]
	v_rcp_f64_e32 v[218:219], v[216:217]
	v_div_scale_f64 v[220:221], vcc, v[202:203], v[200:201], v[202:203]
	v_fma_f64 v[222:223], -v[216:217], v[218:219], 1.0
	v_fmac_f64_e32 v[218:219], v[218:219], v[222:223]
	v_fma_f64 v[222:223], -v[216:217], v[218:219], 1.0
	v_fmac_f64_e32 v[218:219], v[218:219], v[222:223]
	v_mul_f64 v[222:223], v[220:221], v[218:219]
	v_fma_f64 v[216:217], -v[216:217], v[222:223], v[220:221]
	v_div_fmas_f64 v[216:217], v[216:217], v[218:219], v[222:223]
	v_div_fixup_f64 v[216:217], v[216:217], v[200:201], v[202:203]
	v_fmac_f64_e32 v[200:201], v[202:203], v[216:217]
	v_div_scale_f64 v[202:203], s[18:19], v[200:201], v[200:201], 1.0
	v_rcp_f64_e32 v[218:219], v[202:203]
	s_nop 0
	v_fma_f64 v[220:221], -v[202:203], v[218:219], 1.0
	v_fmac_f64_e32 v[218:219], v[218:219], v[220:221]
	v_fma_f64 v[220:221], -v[202:203], v[218:219], 1.0
	v_fmac_f64_e32 v[218:219], v[218:219], v[220:221]
	v_div_scale_f64 v[220:221], vcc, 1.0, v[200:201], 1.0
	v_mul_f64 v[222:223], v[220:221], v[218:219]
	v_fma_f64 v[202:203], -v[202:203], v[222:223], v[220:221]
	s_nop 1
	v_div_fmas_f64 v[202:203], v[202:203], v[218:219], v[222:223]
	v_div_fixup_f64 v[200:201], v[202:203], v[200:201], 1.0
	v_mul_f64 v[202:203], v[216:217], -v[200:201]
.LBB98_282:
	s_or_b64 exec, exec, s[16:17]
.LBB98_283:
	s_or_b64 exec, exec, s[0:1]
	v_cmp_ne_u32_e32 vcc, v213, v210
	s_and_saveexec_b64 s[0:1], vcc
	s_xor_b64 s[0:1], exec, s[0:1]
	s_cbranch_execz .LBB98_289
; %bb.284:
	v_cmp_eq_u32_e32 vcc, 13, v213
	s_and_saveexec_b64 s[16:17], vcc
	s_cbranch_execz .LBB98_288
; %bb.285:
	v_cmp_ne_u32_e32 vcc, 13, v210
	s_xor_b64 s[18:19], s[14:15], -1
	s_and_b64 s[22:23], s[18:19], vcc
	s_and_saveexec_b64 s[18:19], s[22:23]
	s_cbranch_execz .LBB98_287
; %bb.286:
	v_ashrrev_i32_e32 v211, 31, v210
	v_lshl_add_u64 v[216:217], v[210:211], 2, v[208:209]
	global_load_dword v211, v[216:217], off
	global_load_dword v213, v[208:209], off offset:52
	s_waitcnt vmcnt(1)
	global_store_dword v[208:209], v211, off offset:52
	s_waitcnt vmcnt(1)
	global_store_dword v[216:217], v213, off
.LBB98_287:
	s_or_b64 exec, exec, s[18:19]
	v_mov_b32_e32 v213, v210
	v_mov_b32_e32 v215, v210
.LBB98_288:
	s_or_b64 exec, exec, s[16:17]
.LBB98_289:
	s_andn2_saveexec_b64 s[0:1], s[0:1]
	s_cbranch_execz .LBB98_291
; %bb.290:
	v_mov_b32_e32 v213, 13
	s_waitcnt vmcnt(35)
	ds_write2_b64 v212, v[144:145], v[146:147] offset0:28 offset1:29
	s_waitcnt vmcnt(34)
	ds_write2_b64 v212, v[140:141], v[142:143] offset0:30 offset1:31
	;; [unrolled: 2-line block ×36, first 2 shown]
.LBB98_291:
	s_or_b64 exec, exec, s[0:1]
	v_cmp_lt_i32_e32 vcc, 13, v213
	s_waitcnt lgkmcnt(0)
	s_barrier
	s_and_saveexec_b64 s[0:1], vcc
	s_cbranch_execz .LBB98_293
; %bb.292:
	ds_read2_b64 v[216:219], v212 offset0:28 offset1:29
	v_mul_f64 v[210:211], v[202:203], v[150:151]
	v_mul_f64 v[150:151], v[200:201], v[150:151]
	v_fma_f64 v[210:211], v[200:201], v[148:149], -v[210:211]
	v_fmac_f64_e32 v[150:151], v[202:203], v[148:149]
	ds_read2_b64 v[200:203], v212 offset0:30 offset1:31
	s_waitcnt lgkmcnt(1)
	v_mul_f64 v[148:149], v[218:219], v[150:151]
	v_fma_f64 v[148:149], v[216:217], v[210:211], -v[148:149]
	v_mul_f64 v[216:217], v[216:217], v[150:151]
	v_fmac_f64_e32 v[216:217], v[218:219], v[210:211]
	s_waitcnt vmcnt(35)
	v_add_f64 v[144:145], v[144:145], -v[148:149]
	s_waitcnt lgkmcnt(0)
	v_mul_f64 v[148:149], v[202:203], v[150:151]
	v_add_f64 v[146:147], v[146:147], -v[216:217]
	v_fma_f64 v[148:149], v[200:201], v[210:211], -v[148:149]
	v_mul_f64 v[200:201], v[200:201], v[150:151]
	ds_read2_b64 v[216:219], v212 offset0:32 offset1:33
	v_fmac_f64_e32 v[200:201], v[202:203], v[210:211]
	s_waitcnt vmcnt(34)
	v_add_f64 v[142:143], v[142:143], -v[200:201]
	ds_read2_b64 v[200:203], v212 offset0:34 offset1:35
	v_add_f64 v[140:141], v[140:141], -v[148:149]
	s_waitcnt lgkmcnt(1)
	v_mul_f64 v[148:149], v[218:219], v[150:151]
	v_fma_f64 v[148:149], v[216:217], v[210:211], -v[148:149]
	v_mul_f64 v[216:217], v[216:217], v[150:151]
	v_fmac_f64_e32 v[216:217], v[218:219], v[210:211]
	s_waitcnt vmcnt(33)
	v_add_f64 v[136:137], v[136:137], -v[148:149]
	s_waitcnt lgkmcnt(0)
	v_mul_f64 v[148:149], v[202:203], v[150:151]
	v_add_f64 v[138:139], v[138:139], -v[216:217]
	v_fma_f64 v[148:149], v[200:201], v[210:211], -v[148:149]
	v_mul_f64 v[200:201], v[200:201], v[150:151]
	ds_read2_b64 v[216:219], v212 offset0:36 offset1:37
	v_fmac_f64_e32 v[200:201], v[202:203], v[210:211]
	s_waitcnt vmcnt(32)
	v_add_f64 v[126:127], v[126:127], -v[200:201]
	ds_read2_b64 v[200:203], v212 offset0:38 offset1:39
	v_add_f64 v[124:125], v[124:125], -v[148:149]
	;; [unrolled: 18-line block ×17, first 2 shown]
	s_waitcnt lgkmcnt(1)
	v_mul_f64 v[148:149], v[218:219], v[150:151]
	v_fma_f64 v[148:149], v[216:217], v[210:211], -v[148:149]
	s_waitcnt vmcnt(1)
	v_add_f64 v[0:1], v[0:1], -v[148:149]
	s_waitcnt lgkmcnt(0)
	v_mul_f64 v[148:149], v[202:203], v[150:151]
	v_mul_f64 v[216:217], v[216:217], v[150:151]
	v_fma_f64 v[148:149], v[200:201], v[210:211], -v[148:149]
	v_mul_f64 v[200:201], v[200:201], v[150:151]
	v_fmac_f64_e32 v[216:217], v[218:219], v[210:211]
	v_fmac_f64_e32 v[200:201], v[202:203], v[210:211]
	v_add_f64 v[2:3], v[2:3], -v[216:217]
	s_waitcnt vmcnt(0)
	v_add_f64 v[196:197], v[196:197], -v[148:149]
	v_add_f64 v[198:199], v[198:199], -v[200:201]
	v_mov_b64_e32 v[148:149], v[210:211]
.LBB98_293:
	s_or_b64 exec, exec, s[0:1]
	v_lshl_add_u32 v200, v213, 4, v212
	s_barrier
	s_waitcnt vmcnt(35)
	ds_write2_b64 v200, v[144:145], v[146:147] offset1:1
	s_waitcnt lgkmcnt(0)
	s_barrier
	ds_read2_b64 v[200:203], v212 offset0:28 offset1:29
	s_cmp_lt_i32 s20, 16
	v_mov_b32_e32 v210, 14
	s_cbranch_scc1 .LBB98_296
; %bb.294:
	v_add_u32_e32 v211, 0xf0, v212
	s_mov_b32 s16, 15
	v_mov_b32_e32 v210, 14
.LBB98_295:                             ; =>This Inner Loop Header: Depth=1
	ds_read2_b64 v[216:219], v211 offset1:1
	s_waitcnt lgkmcnt(1)
	v_xor_b32_e32 v221, 0x80000000, v201
	v_xor_b32_e32 v223, 0x80000000, v203
	v_cmp_gt_f64_e32 vcc, 0, v[202:203]
	v_cmp_gt_f64_e64 s[0:1], 0, v[200:201]
	v_mov_b32_e32 v220, v200
	v_mov_b32_e32 v222, v202
	v_cndmask_b32_e64 v221, v201, v221, s[0:1]
	v_cndmask_b32_e32 v223, v203, v223, vcc
	v_add_f64 v[220:221], v[220:221], v[222:223]
	s_waitcnt lgkmcnt(0)
	v_xor_b32_e32 v223, 0x80000000, v217
	v_xor_b32_e32 v225, 0x80000000, v219
	v_cmp_gt_f64_e32 vcc, 0, v[218:219]
	v_cmp_gt_f64_e64 s[0:1], 0, v[216:217]
	v_mov_b32_e32 v222, v216
	v_mov_b32_e32 v224, v218
	v_cndmask_b32_e64 v223, v217, v223, s[0:1]
	v_cndmask_b32_e32 v225, v219, v225, vcc
	v_add_f64 v[222:223], v[222:223], v[224:225]
	v_mov_b32_e32 v226, s16
	s_add_i32 s16, s16, 1
	v_cmp_lt_f64_e32 vcc, v[220:221], v[222:223]
	v_add_u32_e32 v211, 16, v211
	s_cmp_lg_u32 s20, s16
	v_cndmask_b32_e32 v201, v201, v217, vcc
	v_cndmask_b32_e32 v200, v200, v216, vcc
	;; [unrolled: 1-line block ×5, first 2 shown]
	s_cbranch_scc1 .LBB98_295
.LBB98_296:
	s_waitcnt lgkmcnt(0)
	v_cmp_eq_f64_e32 vcc, 0, v[200:201]
	v_cmp_eq_f64_e64 s[0:1], 0, v[202:203]
	s_and_b64 s[0:1], vcc, s[0:1]
	s_and_saveexec_b64 s[16:17], s[0:1]
	s_xor_b64 s[0:1], exec, s[16:17]
; %bb.297:
	v_cmp_ne_u32_e32 vcc, 0, v214
	s_nop 1
	v_cndmask_b32_e32 v214, 15, v214, vcc
; %bb.298:
	s_andn2_saveexec_b64 s[0:1], s[0:1]
	s_cbranch_execz .LBB98_304
; %bb.299:
	v_cmp_ngt_f64_e64 s[16:17], |v[200:201]|, |v[202:203]|
	s_and_saveexec_b64 s[18:19], s[16:17]
	s_xor_b64 s[16:17], exec, s[18:19]
	s_cbranch_execz .LBB98_301
; %bb.300:
	v_div_scale_f64 v[216:217], s[18:19], v[202:203], v[202:203], v[200:201]
	v_rcp_f64_e32 v[218:219], v[216:217]
	v_div_scale_f64 v[220:221], vcc, v[200:201], v[202:203], v[200:201]
	v_fma_f64 v[222:223], -v[216:217], v[218:219], 1.0
	v_fmac_f64_e32 v[218:219], v[218:219], v[222:223]
	v_fma_f64 v[222:223], -v[216:217], v[218:219], 1.0
	v_fmac_f64_e32 v[218:219], v[218:219], v[222:223]
	v_mul_f64 v[222:223], v[220:221], v[218:219]
	v_fma_f64 v[216:217], -v[216:217], v[222:223], v[220:221]
	v_div_fmas_f64 v[216:217], v[216:217], v[218:219], v[222:223]
	v_div_fixup_f64 v[216:217], v[216:217], v[202:203], v[200:201]
	v_fmac_f64_e32 v[202:203], v[200:201], v[216:217]
	v_div_scale_f64 v[200:201], s[18:19], v[202:203], v[202:203], 1.0
	v_rcp_f64_e32 v[218:219], v[200:201]
	s_nop 0
	v_fma_f64 v[220:221], -v[200:201], v[218:219], 1.0
	v_fmac_f64_e32 v[218:219], v[218:219], v[220:221]
	v_fma_f64 v[220:221], -v[200:201], v[218:219], 1.0
	v_fmac_f64_e32 v[218:219], v[218:219], v[220:221]
	v_div_scale_f64 v[220:221], vcc, 1.0, v[202:203], 1.0
	v_mul_f64 v[222:223], v[220:221], v[218:219]
	v_fma_f64 v[200:201], -v[200:201], v[222:223], v[220:221]
	s_nop 1
	v_div_fmas_f64 v[200:201], v[200:201], v[218:219], v[222:223]
	v_div_fixup_f64 v[202:203], v[200:201], v[202:203], 1.0
	v_mul_f64 v[200:201], v[216:217], v[202:203]
	v_xor_b32_e32 v203, 0x80000000, v203
.LBB98_301:
	s_andn2_saveexec_b64 s[16:17], s[16:17]
	s_cbranch_execz .LBB98_303
; %bb.302:
	v_div_scale_f64 v[216:217], s[18:19], v[200:201], v[200:201], v[202:203]
	v_rcp_f64_e32 v[218:219], v[216:217]
	v_div_scale_f64 v[220:221], vcc, v[202:203], v[200:201], v[202:203]
	v_fma_f64 v[222:223], -v[216:217], v[218:219], 1.0
	v_fmac_f64_e32 v[218:219], v[218:219], v[222:223]
	v_fma_f64 v[222:223], -v[216:217], v[218:219], 1.0
	v_fmac_f64_e32 v[218:219], v[218:219], v[222:223]
	v_mul_f64 v[222:223], v[220:221], v[218:219]
	v_fma_f64 v[216:217], -v[216:217], v[222:223], v[220:221]
	v_div_fmas_f64 v[216:217], v[216:217], v[218:219], v[222:223]
	v_div_fixup_f64 v[216:217], v[216:217], v[200:201], v[202:203]
	v_fmac_f64_e32 v[200:201], v[202:203], v[216:217]
	v_div_scale_f64 v[202:203], s[18:19], v[200:201], v[200:201], 1.0
	v_rcp_f64_e32 v[218:219], v[202:203]
	s_nop 0
	v_fma_f64 v[220:221], -v[202:203], v[218:219], 1.0
	v_fmac_f64_e32 v[218:219], v[218:219], v[220:221]
	v_fma_f64 v[220:221], -v[202:203], v[218:219], 1.0
	v_fmac_f64_e32 v[218:219], v[218:219], v[220:221]
	v_div_scale_f64 v[220:221], vcc, 1.0, v[200:201], 1.0
	v_mul_f64 v[222:223], v[220:221], v[218:219]
	v_fma_f64 v[202:203], -v[202:203], v[222:223], v[220:221]
	s_nop 1
	v_div_fmas_f64 v[202:203], v[202:203], v[218:219], v[222:223]
	v_div_fixup_f64 v[200:201], v[202:203], v[200:201], 1.0
	v_mul_f64 v[202:203], v[216:217], -v[200:201]
.LBB98_303:
	s_or_b64 exec, exec, s[16:17]
.LBB98_304:
	s_or_b64 exec, exec, s[0:1]
	v_cmp_ne_u32_e32 vcc, v213, v210
	s_and_saveexec_b64 s[0:1], vcc
	s_xor_b64 s[0:1], exec, s[0:1]
	s_cbranch_execz .LBB98_310
; %bb.305:
	v_cmp_eq_u32_e32 vcc, 14, v213
	s_and_saveexec_b64 s[16:17], vcc
	s_cbranch_execz .LBB98_309
; %bb.306:
	v_cmp_ne_u32_e32 vcc, 14, v210
	s_xor_b64 s[18:19], s[14:15], -1
	s_and_b64 s[22:23], s[18:19], vcc
	s_and_saveexec_b64 s[18:19], s[22:23]
	s_cbranch_execz .LBB98_308
; %bb.307:
	v_ashrrev_i32_e32 v211, 31, v210
	v_lshl_add_u64 v[216:217], v[210:211], 2, v[208:209]
	global_load_dword v211, v[216:217], off
	global_load_dword v213, v[208:209], off offset:56
	s_waitcnt vmcnt(1)
	global_store_dword v[208:209], v211, off offset:56
	s_waitcnt vmcnt(1)
	global_store_dword v[216:217], v213, off
.LBB98_308:
	s_or_b64 exec, exec, s[18:19]
	v_mov_b32_e32 v213, v210
	v_mov_b32_e32 v215, v210
.LBB98_309:
	s_or_b64 exec, exec, s[16:17]
.LBB98_310:
	s_andn2_saveexec_b64 s[0:1], s[0:1]
	s_cbranch_execz .LBB98_312
; %bb.311:
	v_mov_b32_e32 v213, 14
	s_waitcnt vmcnt(34)
	ds_write2_b64 v212, v[140:141], v[142:143] offset0:30 offset1:31
	s_waitcnt vmcnt(33)
	ds_write2_b64 v212, v[136:137], v[138:139] offset0:32 offset1:33
	;; [unrolled: 2-line block ×35, first 2 shown]
.LBB98_312:
	s_or_b64 exec, exec, s[0:1]
	v_cmp_lt_i32_e32 vcc, 14, v213
	s_waitcnt lgkmcnt(0)
	s_barrier
	s_and_saveexec_b64 s[0:1], vcc
	s_cbranch_execz .LBB98_314
; %bb.313:
	ds_read2_b64 v[216:219], v212 offset0:30 offset1:31
	v_mul_f64 v[210:211], v[202:203], v[146:147]
	v_mul_f64 v[146:147], v[200:201], v[146:147]
	v_fmac_f64_e32 v[146:147], v[202:203], v[144:145]
	v_fma_f64 v[210:211], v[200:201], v[144:145], -v[210:211]
	ds_read2_b64 v[200:203], v212 offset0:32 offset1:33
	s_waitcnt lgkmcnt(1)
	v_mul_f64 v[144:145], v[218:219], v[146:147]
	v_fma_f64 v[144:145], v[216:217], v[210:211], -v[144:145]
	v_mul_f64 v[216:217], v[216:217], v[146:147]
	v_fmac_f64_e32 v[216:217], v[218:219], v[210:211]
	s_waitcnt vmcnt(34)
	v_add_f64 v[142:143], v[142:143], -v[216:217]
	ds_read2_b64 v[216:219], v212 offset0:34 offset1:35
	v_add_f64 v[140:141], v[140:141], -v[144:145]
	s_waitcnt lgkmcnt(1)
	v_mul_f64 v[144:145], v[202:203], v[146:147]
	v_fma_f64 v[144:145], v[200:201], v[210:211], -v[144:145]
	v_mul_f64 v[200:201], v[200:201], v[146:147]
	v_fmac_f64_e32 v[200:201], v[202:203], v[210:211]
	s_waitcnt vmcnt(33)
	v_add_f64 v[136:137], v[136:137], -v[144:145]
	v_add_f64 v[138:139], v[138:139], -v[200:201]
	ds_read2_b64 v[200:203], v212 offset0:36 offset1:37
	s_waitcnt lgkmcnt(1)
	v_mul_f64 v[144:145], v[218:219], v[146:147]
	v_fma_f64 v[144:145], v[216:217], v[210:211], -v[144:145]
	v_mul_f64 v[216:217], v[216:217], v[146:147]
	v_fmac_f64_e32 v[216:217], v[218:219], v[210:211]
	s_waitcnt vmcnt(32)
	v_add_f64 v[126:127], v[126:127], -v[216:217]
	ds_read2_b64 v[216:219], v212 offset0:38 offset1:39
	v_add_f64 v[124:125], v[124:125], -v[144:145]
	s_waitcnt lgkmcnt(1)
	v_mul_f64 v[144:145], v[202:203], v[146:147]
	v_fma_f64 v[144:145], v[200:201], v[210:211], -v[144:145]
	v_mul_f64 v[200:201], v[200:201], v[146:147]
	v_fmac_f64_e32 v[200:201], v[202:203], v[210:211]
	s_waitcnt vmcnt(31)
	v_add_f64 v[120:121], v[120:121], -v[144:145]
	v_add_f64 v[122:123], v[122:123], -v[200:201]
	;; [unrolled: 18-line block ×17, first 2 shown]
	s_waitcnt lgkmcnt(0)
	v_mul_f64 v[144:145], v[218:219], v[146:147]
	v_mul_f64 v[200:201], v[216:217], v[146:147]
	v_fma_f64 v[144:145], v[216:217], v[210:211], -v[144:145]
	v_fmac_f64_e32 v[200:201], v[218:219], v[210:211]
	s_waitcnt vmcnt(0)
	v_add_f64 v[196:197], v[196:197], -v[144:145]
	v_add_f64 v[198:199], v[198:199], -v[200:201]
	v_mov_b64_e32 v[144:145], v[210:211]
.LBB98_314:
	s_or_b64 exec, exec, s[0:1]
	v_lshl_add_u32 v200, v213, 4, v212
	s_barrier
	s_waitcnt vmcnt(34)
	ds_write2_b64 v200, v[140:141], v[142:143] offset1:1
	s_waitcnt lgkmcnt(0)
	s_barrier
	ds_read2_b64 v[200:203], v212 offset0:30 offset1:31
	s_cmp_lt_i32 s20, 17
	v_mov_b32_e32 v210, 15
	s_cbranch_scc1 .LBB98_317
; %bb.315:
	v_add_u32_e32 v211, 0x100, v212
	s_mov_b32 s16, 16
	v_mov_b32_e32 v210, 15
.LBB98_316:                             ; =>This Inner Loop Header: Depth=1
	ds_read2_b64 v[216:219], v211 offset1:1
	s_waitcnt lgkmcnt(1)
	v_xor_b32_e32 v221, 0x80000000, v201
	v_xor_b32_e32 v223, 0x80000000, v203
	v_cmp_gt_f64_e32 vcc, 0, v[202:203]
	v_cmp_gt_f64_e64 s[0:1], 0, v[200:201]
	v_mov_b32_e32 v220, v200
	v_mov_b32_e32 v222, v202
	v_cndmask_b32_e64 v221, v201, v221, s[0:1]
	v_cndmask_b32_e32 v223, v203, v223, vcc
	v_add_f64 v[220:221], v[220:221], v[222:223]
	s_waitcnt lgkmcnt(0)
	v_xor_b32_e32 v223, 0x80000000, v217
	v_xor_b32_e32 v225, 0x80000000, v219
	v_cmp_gt_f64_e32 vcc, 0, v[218:219]
	v_cmp_gt_f64_e64 s[0:1], 0, v[216:217]
	v_mov_b32_e32 v222, v216
	v_mov_b32_e32 v224, v218
	v_cndmask_b32_e64 v223, v217, v223, s[0:1]
	v_cndmask_b32_e32 v225, v219, v225, vcc
	v_add_f64 v[222:223], v[222:223], v[224:225]
	v_mov_b32_e32 v226, s16
	s_add_i32 s16, s16, 1
	v_cmp_lt_f64_e32 vcc, v[220:221], v[222:223]
	v_add_u32_e32 v211, 16, v211
	s_cmp_lg_u32 s20, s16
	v_cndmask_b32_e32 v201, v201, v217, vcc
	v_cndmask_b32_e32 v200, v200, v216, vcc
	;; [unrolled: 1-line block ×5, first 2 shown]
	s_cbranch_scc1 .LBB98_316
.LBB98_317:
	s_waitcnt lgkmcnt(0)
	v_cmp_eq_f64_e32 vcc, 0, v[200:201]
	v_cmp_eq_f64_e64 s[0:1], 0, v[202:203]
	s_and_b64 s[0:1], vcc, s[0:1]
	s_and_saveexec_b64 s[16:17], s[0:1]
	s_xor_b64 s[0:1], exec, s[16:17]
; %bb.318:
	v_cmp_ne_u32_e32 vcc, 0, v214
	s_nop 1
	v_cndmask_b32_e32 v214, 16, v214, vcc
; %bb.319:
	s_andn2_saveexec_b64 s[0:1], s[0:1]
	s_cbranch_execz .LBB98_325
; %bb.320:
	v_cmp_ngt_f64_e64 s[16:17], |v[200:201]|, |v[202:203]|
	s_and_saveexec_b64 s[18:19], s[16:17]
	s_xor_b64 s[16:17], exec, s[18:19]
	s_cbranch_execz .LBB98_322
; %bb.321:
	v_div_scale_f64 v[216:217], s[18:19], v[202:203], v[202:203], v[200:201]
	v_rcp_f64_e32 v[218:219], v[216:217]
	v_div_scale_f64 v[220:221], vcc, v[200:201], v[202:203], v[200:201]
	v_fma_f64 v[222:223], -v[216:217], v[218:219], 1.0
	v_fmac_f64_e32 v[218:219], v[218:219], v[222:223]
	v_fma_f64 v[222:223], -v[216:217], v[218:219], 1.0
	v_fmac_f64_e32 v[218:219], v[218:219], v[222:223]
	v_mul_f64 v[222:223], v[220:221], v[218:219]
	v_fma_f64 v[216:217], -v[216:217], v[222:223], v[220:221]
	v_div_fmas_f64 v[216:217], v[216:217], v[218:219], v[222:223]
	v_div_fixup_f64 v[216:217], v[216:217], v[202:203], v[200:201]
	v_fmac_f64_e32 v[202:203], v[200:201], v[216:217]
	v_div_scale_f64 v[200:201], s[18:19], v[202:203], v[202:203], 1.0
	v_rcp_f64_e32 v[218:219], v[200:201]
	s_nop 0
	v_fma_f64 v[220:221], -v[200:201], v[218:219], 1.0
	v_fmac_f64_e32 v[218:219], v[218:219], v[220:221]
	v_fma_f64 v[220:221], -v[200:201], v[218:219], 1.0
	v_fmac_f64_e32 v[218:219], v[218:219], v[220:221]
	v_div_scale_f64 v[220:221], vcc, 1.0, v[202:203], 1.0
	v_mul_f64 v[222:223], v[220:221], v[218:219]
	v_fma_f64 v[200:201], -v[200:201], v[222:223], v[220:221]
	s_nop 1
	v_div_fmas_f64 v[200:201], v[200:201], v[218:219], v[222:223]
	v_div_fixup_f64 v[202:203], v[200:201], v[202:203], 1.0
	v_mul_f64 v[200:201], v[216:217], v[202:203]
	v_xor_b32_e32 v203, 0x80000000, v203
.LBB98_322:
	s_andn2_saveexec_b64 s[16:17], s[16:17]
	s_cbranch_execz .LBB98_324
; %bb.323:
	v_div_scale_f64 v[216:217], s[18:19], v[200:201], v[200:201], v[202:203]
	v_rcp_f64_e32 v[218:219], v[216:217]
	v_div_scale_f64 v[220:221], vcc, v[202:203], v[200:201], v[202:203]
	v_fma_f64 v[222:223], -v[216:217], v[218:219], 1.0
	v_fmac_f64_e32 v[218:219], v[218:219], v[222:223]
	v_fma_f64 v[222:223], -v[216:217], v[218:219], 1.0
	v_fmac_f64_e32 v[218:219], v[218:219], v[222:223]
	v_mul_f64 v[222:223], v[220:221], v[218:219]
	v_fma_f64 v[216:217], -v[216:217], v[222:223], v[220:221]
	v_div_fmas_f64 v[216:217], v[216:217], v[218:219], v[222:223]
	v_div_fixup_f64 v[216:217], v[216:217], v[200:201], v[202:203]
	v_fmac_f64_e32 v[200:201], v[202:203], v[216:217]
	v_div_scale_f64 v[202:203], s[18:19], v[200:201], v[200:201], 1.0
	v_rcp_f64_e32 v[218:219], v[202:203]
	s_nop 0
	v_fma_f64 v[220:221], -v[202:203], v[218:219], 1.0
	v_fmac_f64_e32 v[218:219], v[218:219], v[220:221]
	v_fma_f64 v[220:221], -v[202:203], v[218:219], 1.0
	v_fmac_f64_e32 v[218:219], v[218:219], v[220:221]
	v_div_scale_f64 v[220:221], vcc, 1.0, v[200:201], 1.0
	v_mul_f64 v[222:223], v[220:221], v[218:219]
	v_fma_f64 v[202:203], -v[202:203], v[222:223], v[220:221]
	s_nop 1
	v_div_fmas_f64 v[202:203], v[202:203], v[218:219], v[222:223]
	v_div_fixup_f64 v[200:201], v[202:203], v[200:201], 1.0
	v_mul_f64 v[202:203], v[216:217], -v[200:201]
.LBB98_324:
	s_or_b64 exec, exec, s[16:17]
.LBB98_325:
	s_or_b64 exec, exec, s[0:1]
	v_cmp_ne_u32_e32 vcc, v213, v210
	s_and_saveexec_b64 s[0:1], vcc
	s_xor_b64 s[0:1], exec, s[0:1]
	s_cbranch_execz .LBB98_331
; %bb.326:
	v_cmp_eq_u32_e32 vcc, 15, v213
	s_and_saveexec_b64 s[16:17], vcc
	s_cbranch_execz .LBB98_330
; %bb.327:
	v_cmp_ne_u32_e32 vcc, 15, v210
	s_xor_b64 s[18:19], s[14:15], -1
	s_and_b64 s[22:23], s[18:19], vcc
	s_and_saveexec_b64 s[18:19], s[22:23]
	s_cbranch_execz .LBB98_329
; %bb.328:
	v_ashrrev_i32_e32 v211, 31, v210
	v_lshl_add_u64 v[216:217], v[210:211], 2, v[208:209]
	global_load_dword v211, v[216:217], off
	global_load_dword v213, v[208:209], off offset:60
	s_waitcnt vmcnt(1)
	global_store_dword v[208:209], v211, off offset:60
	s_waitcnt vmcnt(1)
	global_store_dword v[216:217], v213, off
.LBB98_329:
	s_or_b64 exec, exec, s[18:19]
	v_mov_b32_e32 v213, v210
	v_mov_b32_e32 v215, v210
.LBB98_330:
	s_or_b64 exec, exec, s[16:17]
.LBB98_331:
	s_andn2_saveexec_b64 s[0:1], s[0:1]
	s_cbranch_execz .LBB98_333
; %bb.332:
	v_mov_b32_e32 v213, 15
	s_waitcnt vmcnt(33)
	ds_write2_b64 v212, v[136:137], v[138:139] offset0:32 offset1:33
	s_waitcnt vmcnt(32)
	ds_write2_b64 v212, v[124:125], v[126:127] offset0:34 offset1:35
	;; [unrolled: 2-line block ×34, first 2 shown]
.LBB98_333:
	s_or_b64 exec, exec, s[0:1]
	v_cmp_lt_i32_e32 vcc, 15, v213
	s_waitcnt lgkmcnt(0)
	s_barrier
	s_and_saveexec_b64 s[0:1], vcc
	s_cbranch_execz .LBB98_335
; %bb.334:
	ds_read2_b64 v[216:219], v212 offset0:32 offset1:33
	v_mul_f64 v[210:211], v[202:203], v[142:143]
	v_mul_f64 v[142:143], v[200:201], v[142:143]
	v_fma_f64 v[210:211], v[200:201], v[140:141], -v[210:211]
	v_fmac_f64_e32 v[142:143], v[202:203], v[140:141]
	ds_read2_b64 v[200:203], v212 offset0:34 offset1:35
	s_waitcnt lgkmcnt(1)
	v_mul_f64 v[140:141], v[218:219], v[142:143]
	v_fma_f64 v[140:141], v[216:217], v[210:211], -v[140:141]
	v_mul_f64 v[216:217], v[216:217], v[142:143]
	v_fmac_f64_e32 v[216:217], v[218:219], v[210:211]
	s_waitcnt vmcnt(33)
	v_add_f64 v[136:137], v[136:137], -v[140:141]
	s_waitcnt lgkmcnt(0)
	v_mul_f64 v[140:141], v[202:203], v[142:143]
	v_add_f64 v[138:139], v[138:139], -v[216:217]
	v_fma_f64 v[140:141], v[200:201], v[210:211], -v[140:141]
	v_mul_f64 v[200:201], v[200:201], v[142:143]
	ds_read2_b64 v[216:219], v212 offset0:36 offset1:37
	v_fmac_f64_e32 v[200:201], v[202:203], v[210:211]
	s_waitcnt vmcnt(32)
	v_add_f64 v[126:127], v[126:127], -v[200:201]
	ds_read2_b64 v[200:203], v212 offset0:38 offset1:39
	v_add_f64 v[124:125], v[124:125], -v[140:141]
	s_waitcnt lgkmcnt(1)
	v_mul_f64 v[140:141], v[218:219], v[142:143]
	v_fma_f64 v[140:141], v[216:217], v[210:211], -v[140:141]
	v_mul_f64 v[216:217], v[216:217], v[142:143]
	v_fmac_f64_e32 v[216:217], v[218:219], v[210:211]
	s_waitcnt vmcnt(31)
	v_add_f64 v[120:121], v[120:121], -v[140:141]
	s_waitcnt lgkmcnt(0)
	v_mul_f64 v[140:141], v[202:203], v[142:143]
	v_add_f64 v[122:123], v[122:123], -v[216:217]
	v_fma_f64 v[140:141], v[200:201], v[210:211], -v[140:141]
	v_mul_f64 v[200:201], v[200:201], v[142:143]
	ds_read2_b64 v[216:219], v212 offset0:40 offset1:41
	v_fmac_f64_e32 v[200:201], v[202:203], v[210:211]
	s_waitcnt vmcnt(30)
	v_add_f64 v[118:119], v[118:119], -v[200:201]
	ds_read2_b64 v[200:203], v212 offset0:42 offset1:43
	v_add_f64 v[116:117], v[116:117], -v[140:141]
	;; [unrolled: 18-line block ×16, first 2 shown]
	s_waitcnt lgkmcnt(1)
	v_mul_f64 v[140:141], v[218:219], v[142:143]
	v_fma_f64 v[140:141], v[216:217], v[210:211], -v[140:141]
	s_waitcnt vmcnt(1)
	v_add_f64 v[0:1], v[0:1], -v[140:141]
	s_waitcnt lgkmcnt(0)
	v_mul_f64 v[140:141], v[202:203], v[142:143]
	v_mul_f64 v[216:217], v[216:217], v[142:143]
	v_fma_f64 v[140:141], v[200:201], v[210:211], -v[140:141]
	v_mul_f64 v[200:201], v[200:201], v[142:143]
	v_fmac_f64_e32 v[216:217], v[218:219], v[210:211]
	v_fmac_f64_e32 v[200:201], v[202:203], v[210:211]
	v_add_f64 v[2:3], v[2:3], -v[216:217]
	s_waitcnt vmcnt(0)
	v_add_f64 v[196:197], v[196:197], -v[140:141]
	v_add_f64 v[198:199], v[198:199], -v[200:201]
	v_mov_b64_e32 v[140:141], v[210:211]
.LBB98_335:
	s_or_b64 exec, exec, s[0:1]
	v_lshl_add_u32 v200, v213, 4, v212
	s_barrier
	s_waitcnt vmcnt(33)
	ds_write2_b64 v200, v[136:137], v[138:139] offset1:1
	s_waitcnt lgkmcnt(0)
	s_barrier
	ds_read2_b64 v[200:203], v212 offset0:32 offset1:33
	s_cmp_lt_i32 s20, 18
	v_mov_b32_e32 v210, 16
	s_cbranch_scc1 .LBB98_338
; %bb.336:
	v_add_u32_e32 v211, 0x110, v212
	s_mov_b32 s16, 17
	v_mov_b32_e32 v210, 16
.LBB98_337:                             ; =>This Inner Loop Header: Depth=1
	ds_read2_b64 v[216:219], v211 offset1:1
	s_waitcnt lgkmcnt(1)
	v_xor_b32_e32 v221, 0x80000000, v201
	v_xor_b32_e32 v223, 0x80000000, v203
	v_cmp_gt_f64_e32 vcc, 0, v[202:203]
	v_cmp_gt_f64_e64 s[0:1], 0, v[200:201]
	v_mov_b32_e32 v220, v200
	v_mov_b32_e32 v222, v202
	v_cndmask_b32_e64 v221, v201, v221, s[0:1]
	v_cndmask_b32_e32 v223, v203, v223, vcc
	v_add_f64 v[220:221], v[220:221], v[222:223]
	s_waitcnt lgkmcnt(0)
	v_xor_b32_e32 v223, 0x80000000, v217
	v_xor_b32_e32 v225, 0x80000000, v219
	v_cmp_gt_f64_e32 vcc, 0, v[218:219]
	v_cmp_gt_f64_e64 s[0:1], 0, v[216:217]
	v_mov_b32_e32 v222, v216
	v_mov_b32_e32 v224, v218
	v_cndmask_b32_e64 v223, v217, v223, s[0:1]
	v_cndmask_b32_e32 v225, v219, v225, vcc
	v_add_f64 v[222:223], v[222:223], v[224:225]
	v_mov_b32_e32 v226, s16
	s_add_i32 s16, s16, 1
	v_cmp_lt_f64_e32 vcc, v[220:221], v[222:223]
	v_add_u32_e32 v211, 16, v211
	s_cmp_lg_u32 s20, s16
	v_cndmask_b32_e32 v201, v201, v217, vcc
	v_cndmask_b32_e32 v200, v200, v216, vcc
	;; [unrolled: 1-line block ×5, first 2 shown]
	s_cbranch_scc1 .LBB98_337
.LBB98_338:
	s_waitcnt lgkmcnt(0)
	v_cmp_eq_f64_e32 vcc, 0, v[200:201]
	v_cmp_eq_f64_e64 s[0:1], 0, v[202:203]
	s_and_b64 s[0:1], vcc, s[0:1]
	s_and_saveexec_b64 s[16:17], s[0:1]
	s_xor_b64 s[0:1], exec, s[16:17]
; %bb.339:
	v_cmp_ne_u32_e32 vcc, 0, v214
	s_nop 1
	v_cndmask_b32_e32 v214, 17, v214, vcc
; %bb.340:
	s_andn2_saveexec_b64 s[0:1], s[0:1]
	s_cbranch_execz .LBB98_346
; %bb.341:
	v_cmp_ngt_f64_e64 s[16:17], |v[200:201]|, |v[202:203]|
	s_and_saveexec_b64 s[18:19], s[16:17]
	s_xor_b64 s[16:17], exec, s[18:19]
	s_cbranch_execz .LBB98_343
; %bb.342:
	v_div_scale_f64 v[216:217], s[18:19], v[202:203], v[202:203], v[200:201]
	v_rcp_f64_e32 v[218:219], v[216:217]
	v_div_scale_f64 v[220:221], vcc, v[200:201], v[202:203], v[200:201]
	v_fma_f64 v[222:223], -v[216:217], v[218:219], 1.0
	v_fmac_f64_e32 v[218:219], v[218:219], v[222:223]
	v_fma_f64 v[222:223], -v[216:217], v[218:219], 1.0
	v_fmac_f64_e32 v[218:219], v[218:219], v[222:223]
	v_mul_f64 v[222:223], v[220:221], v[218:219]
	v_fma_f64 v[216:217], -v[216:217], v[222:223], v[220:221]
	v_div_fmas_f64 v[216:217], v[216:217], v[218:219], v[222:223]
	v_div_fixup_f64 v[216:217], v[216:217], v[202:203], v[200:201]
	v_fmac_f64_e32 v[202:203], v[200:201], v[216:217]
	v_div_scale_f64 v[200:201], s[18:19], v[202:203], v[202:203], 1.0
	v_rcp_f64_e32 v[218:219], v[200:201]
	s_nop 0
	v_fma_f64 v[220:221], -v[200:201], v[218:219], 1.0
	v_fmac_f64_e32 v[218:219], v[218:219], v[220:221]
	v_fma_f64 v[220:221], -v[200:201], v[218:219], 1.0
	v_fmac_f64_e32 v[218:219], v[218:219], v[220:221]
	v_div_scale_f64 v[220:221], vcc, 1.0, v[202:203], 1.0
	v_mul_f64 v[222:223], v[220:221], v[218:219]
	v_fma_f64 v[200:201], -v[200:201], v[222:223], v[220:221]
	s_nop 1
	v_div_fmas_f64 v[200:201], v[200:201], v[218:219], v[222:223]
	v_div_fixup_f64 v[202:203], v[200:201], v[202:203], 1.0
	v_mul_f64 v[200:201], v[216:217], v[202:203]
	v_xor_b32_e32 v203, 0x80000000, v203
.LBB98_343:
	s_andn2_saveexec_b64 s[16:17], s[16:17]
	s_cbranch_execz .LBB98_345
; %bb.344:
	v_div_scale_f64 v[216:217], s[18:19], v[200:201], v[200:201], v[202:203]
	v_rcp_f64_e32 v[218:219], v[216:217]
	v_div_scale_f64 v[220:221], vcc, v[202:203], v[200:201], v[202:203]
	v_fma_f64 v[222:223], -v[216:217], v[218:219], 1.0
	v_fmac_f64_e32 v[218:219], v[218:219], v[222:223]
	v_fma_f64 v[222:223], -v[216:217], v[218:219], 1.0
	v_fmac_f64_e32 v[218:219], v[218:219], v[222:223]
	v_mul_f64 v[222:223], v[220:221], v[218:219]
	v_fma_f64 v[216:217], -v[216:217], v[222:223], v[220:221]
	v_div_fmas_f64 v[216:217], v[216:217], v[218:219], v[222:223]
	v_div_fixup_f64 v[216:217], v[216:217], v[200:201], v[202:203]
	v_fmac_f64_e32 v[200:201], v[202:203], v[216:217]
	v_div_scale_f64 v[202:203], s[18:19], v[200:201], v[200:201], 1.0
	v_rcp_f64_e32 v[218:219], v[202:203]
	s_nop 0
	v_fma_f64 v[220:221], -v[202:203], v[218:219], 1.0
	v_fmac_f64_e32 v[218:219], v[218:219], v[220:221]
	v_fma_f64 v[220:221], -v[202:203], v[218:219], 1.0
	v_fmac_f64_e32 v[218:219], v[218:219], v[220:221]
	v_div_scale_f64 v[220:221], vcc, 1.0, v[200:201], 1.0
	v_mul_f64 v[222:223], v[220:221], v[218:219]
	v_fma_f64 v[202:203], -v[202:203], v[222:223], v[220:221]
	s_nop 1
	v_div_fmas_f64 v[202:203], v[202:203], v[218:219], v[222:223]
	v_div_fixup_f64 v[200:201], v[202:203], v[200:201], 1.0
	v_mul_f64 v[202:203], v[216:217], -v[200:201]
.LBB98_345:
	s_or_b64 exec, exec, s[16:17]
.LBB98_346:
	s_or_b64 exec, exec, s[0:1]
	v_cmp_ne_u32_e32 vcc, v213, v210
	s_and_saveexec_b64 s[0:1], vcc
	s_xor_b64 s[0:1], exec, s[0:1]
	s_cbranch_execz .LBB98_352
; %bb.347:
	v_cmp_eq_u32_e32 vcc, 16, v213
	s_and_saveexec_b64 s[16:17], vcc
	s_cbranch_execz .LBB98_351
; %bb.348:
	v_cmp_ne_u32_e32 vcc, 16, v210
	s_xor_b64 s[18:19], s[14:15], -1
	s_and_b64 s[22:23], s[18:19], vcc
	s_and_saveexec_b64 s[18:19], s[22:23]
	s_cbranch_execz .LBB98_350
; %bb.349:
	v_ashrrev_i32_e32 v211, 31, v210
	v_lshl_add_u64 v[216:217], v[210:211], 2, v[208:209]
	global_load_dword v211, v[216:217], off
	global_load_dword v213, v[208:209], off offset:64
	s_waitcnt vmcnt(1)
	global_store_dword v[208:209], v211, off offset:64
	s_waitcnt vmcnt(1)
	global_store_dword v[216:217], v213, off
.LBB98_350:
	s_or_b64 exec, exec, s[18:19]
	v_mov_b32_e32 v213, v210
	v_mov_b32_e32 v215, v210
.LBB98_351:
	s_or_b64 exec, exec, s[16:17]
.LBB98_352:
	s_andn2_saveexec_b64 s[0:1], s[0:1]
	s_cbranch_execz .LBB98_354
; %bb.353:
	v_mov_b32_e32 v213, 16
	s_waitcnt vmcnt(32)
	ds_write2_b64 v212, v[124:125], v[126:127] offset0:34 offset1:35
	s_waitcnt vmcnt(31)
	ds_write2_b64 v212, v[120:121], v[122:123] offset0:36 offset1:37
	;; [unrolled: 2-line block ×33, first 2 shown]
.LBB98_354:
	s_or_b64 exec, exec, s[0:1]
	v_cmp_lt_i32_e32 vcc, 16, v213
	s_waitcnt lgkmcnt(0)
	s_barrier
	s_and_saveexec_b64 s[0:1], vcc
	s_cbranch_execz .LBB98_356
; %bb.355:
	ds_read2_b64 v[216:219], v212 offset0:34 offset1:35
	v_mul_f64 v[210:211], v[202:203], v[138:139]
	v_mul_f64 v[138:139], v[200:201], v[138:139]
	v_fmac_f64_e32 v[138:139], v[202:203], v[136:137]
	v_fma_f64 v[210:211], v[200:201], v[136:137], -v[210:211]
	ds_read2_b64 v[200:203], v212 offset0:36 offset1:37
	s_waitcnt lgkmcnt(1)
	v_mul_f64 v[136:137], v[218:219], v[138:139]
	v_fma_f64 v[136:137], v[216:217], v[210:211], -v[136:137]
	v_mul_f64 v[216:217], v[216:217], v[138:139]
	v_fmac_f64_e32 v[216:217], v[218:219], v[210:211]
	s_waitcnt vmcnt(32)
	v_add_f64 v[126:127], v[126:127], -v[216:217]
	ds_read2_b64 v[216:219], v212 offset0:38 offset1:39
	v_add_f64 v[124:125], v[124:125], -v[136:137]
	s_waitcnt lgkmcnt(1)
	v_mul_f64 v[136:137], v[202:203], v[138:139]
	v_fma_f64 v[136:137], v[200:201], v[210:211], -v[136:137]
	v_mul_f64 v[200:201], v[200:201], v[138:139]
	v_fmac_f64_e32 v[200:201], v[202:203], v[210:211]
	s_waitcnt vmcnt(31)
	v_add_f64 v[120:121], v[120:121], -v[136:137]
	v_add_f64 v[122:123], v[122:123], -v[200:201]
	ds_read2_b64 v[200:203], v212 offset0:40 offset1:41
	s_waitcnt lgkmcnt(1)
	v_mul_f64 v[136:137], v[218:219], v[138:139]
	v_fma_f64 v[136:137], v[216:217], v[210:211], -v[136:137]
	v_mul_f64 v[216:217], v[216:217], v[138:139]
	v_fmac_f64_e32 v[216:217], v[218:219], v[210:211]
	s_waitcnt vmcnt(30)
	v_add_f64 v[118:119], v[118:119], -v[216:217]
	ds_read2_b64 v[216:219], v212 offset0:42 offset1:43
	v_add_f64 v[116:117], v[116:117], -v[136:137]
	s_waitcnt lgkmcnt(1)
	v_mul_f64 v[136:137], v[202:203], v[138:139]
	v_fma_f64 v[136:137], v[200:201], v[210:211], -v[136:137]
	v_mul_f64 v[200:201], v[200:201], v[138:139]
	v_fmac_f64_e32 v[200:201], v[202:203], v[210:211]
	s_waitcnt vmcnt(29)
	v_add_f64 v[112:113], v[112:113], -v[136:137]
	v_add_f64 v[114:115], v[114:115], -v[200:201]
	ds_read2_b64 v[200:203], v212 offset0:44 offset1:45
	s_waitcnt lgkmcnt(1)
	v_mul_f64 v[136:137], v[218:219], v[138:139]
	v_fma_f64 v[136:137], v[216:217], v[210:211], -v[136:137]
	v_mul_f64 v[216:217], v[216:217], v[138:139]
	v_fmac_f64_e32 v[216:217], v[218:219], v[210:211]
	s_waitcnt vmcnt(28)
	v_add_f64 v[110:111], v[110:111], -v[216:217]
	ds_read2_b64 v[216:219], v212 offset0:46 offset1:47
	v_add_f64 v[108:109], v[108:109], -v[136:137]
	s_waitcnt lgkmcnt(1)
	v_mul_f64 v[136:137], v[202:203], v[138:139]
	v_fma_f64 v[136:137], v[200:201], v[210:211], -v[136:137]
	v_mul_f64 v[200:201], v[200:201], v[138:139]
	v_fmac_f64_e32 v[200:201], v[202:203], v[210:211]
	s_waitcnt vmcnt(27)
	v_add_f64 v[104:105], v[104:105], -v[136:137]
	v_add_f64 v[106:107], v[106:107], -v[200:201]
	ds_read2_b64 v[200:203], v212 offset0:48 offset1:49
	s_waitcnt lgkmcnt(1)
	v_mul_f64 v[136:137], v[218:219], v[138:139]
	v_fma_f64 v[136:137], v[216:217], v[210:211], -v[136:137]
	v_mul_f64 v[216:217], v[216:217], v[138:139]
	v_fmac_f64_e32 v[216:217], v[218:219], v[210:211]
	s_waitcnt vmcnt(26)
	v_add_f64 v[102:103], v[102:103], -v[216:217]
	ds_read2_b64 v[216:219], v212 offset0:50 offset1:51
	v_add_f64 v[100:101], v[100:101], -v[136:137]
	s_waitcnt lgkmcnt(1)
	v_mul_f64 v[136:137], v[202:203], v[138:139]
	v_fma_f64 v[136:137], v[200:201], v[210:211], -v[136:137]
	v_mul_f64 v[200:201], v[200:201], v[138:139]
	v_fmac_f64_e32 v[200:201], v[202:203], v[210:211]
	s_waitcnt vmcnt(25)
	v_add_f64 v[96:97], v[96:97], -v[136:137]
	v_add_f64 v[98:99], v[98:99], -v[200:201]
	ds_read2_b64 v[200:203], v212 offset0:52 offset1:53
	s_waitcnt lgkmcnt(1)
	v_mul_f64 v[136:137], v[218:219], v[138:139]
	v_fma_f64 v[136:137], v[216:217], v[210:211], -v[136:137]
	v_mul_f64 v[216:217], v[216:217], v[138:139]
	v_fmac_f64_e32 v[216:217], v[218:219], v[210:211]
	s_waitcnt vmcnt(24)
	v_add_f64 v[94:95], v[94:95], -v[216:217]
	ds_read2_b64 v[216:219], v212 offset0:54 offset1:55
	v_add_f64 v[92:93], v[92:93], -v[136:137]
	s_waitcnt lgkmcnt(1)
	v_mul_f64 v[136:137], v[202:203], v[138:139]
	v_fma_f64 v[136:137], v[200:201], v[210:211], -v[136:137]
	v_mul_f64 v[200:201], v[200:201], v[138:139]
	v_fmac_f64_e32 v[200:201], v[202:203], v[210:211]
	s_waitcnt vmcnt(23)
	v_add_f64 v[88:89], v[88:89], -v[136:137]
	v_add_f64 v[90:91], v[90:91], -v[200:201]
	ds_read2_b64 v[200:203], v212 offset0:56 offset1:57
	s_waitcnt lgkmcnt(1)
	v_mul_f64 v[136:137], v[218:219], v[138:139]
	v_fma_f64 v[136:137], v[216:217], v[210:211], -v[136:137]
	v_mul_f64 v[216:217], v[216:217], v[138:139]
	v_fmac_f64_e32 v[216:217], v[218:219], v[210:211]
	s_waitcnt vmcnt(22)
	v_add_f64 v[86:87], v[86:87], -v[216:217]
	ds_read2_b64 v[216:219], v212 offset0:58 offset1:59
	v_add_f64 v[84:85], v[84:85], -v[136:137]
	s_waitcnt lgkmcnt(1)
	v_mul_f64 v[136:137], v[202:203], v[138:139]
	v_fma_f64 v[136:137], v[200:201], v[210:211], -v[136:137]
	v_mul_f64 v[200:201], v[200:201], v[138:139]
	v_fmac_f64_e32 v[200:201], v[202:203], v[210:211]
	s_waitcnt vmcnt(21)
	v_add_f64 v[80:81], v[80:81], -v[136:137]
	v_add_f64 v[82:83], v[82:83], -v[200:201]
	ds_read2_b64 v[200:203], v212 offset0:60 offset1:61
	s_waitcnt lgkmcnt(1)
	v_mul_f64 v[136:137], v[218:219], v[138:139]
	v_fma_f64 v[136:137], v[216:217], v[210:211], -v[136:137]
	v_mul_f64 v[216:217], v[216:217], v[138:139]
	v_fmac_f64_e32 v[216:217], v[218:219], v[210:211]
	s_waitcnt vmcnt(20)
	v_add_f64 v[78:79], v[78:79], -v[216:217]
	ds_read2_b64 v[216:219], v212 offset0:62 offset1:63
	v_add_f64 v[76:77], v[76:77], -v[136:137]
	s_waitcnt lgkmcnt(1)
	v_mul_f64 v[136:137], v[202:203], v[138:139]
	v_fma_f64 v[136:137], v[200:201], v[210:211], -v[136:137]
	v_mul_f64 v[200:201], v[200:201], v[138:139]
	v_fmac_f64_e32 v[200:201], v[202:203], v[210:211]
	s_waitcnt vmcnt(19)
	v_add_f64 v[72:73], v[72:73], -v[136:137]
	v_add_f64 v[74:75], v[74:75], -v[200:201]
	ds_read2_b64 v[200:203], v212 offset0:64 offset1:65
	s_waitcnt lgkmcnt(1)
	v_mul_f64 v[136:137], v[218:219], v[138:139]
	v_fma_f64 v[136:137], v[216:217], v[210:211], -v[136:137]
	v_mul_f64 v[216:217], v[216:217], v[138:139]
	v_fmac_f64_e32 v[216:217], v[218:219], v[210:211]
	s_waitcnt vmcnt(18)
	v_add_f64 v[70:71], v[70:71], -v[216:217]
	ds_read2_b64 v[216:219], v212 offset0:66 offset1:67
	v_add_f64 v[68:69], v[68:69], -v[136:137]
	s_waitcnt lgkmcnt(1)
	v_mul_f64 v[136:137], v[202:203], v[138:139]
	v_fma_f64 v[136:137], v[200:201], v[210:211], -v[136:137]
	v_mul_f64 v[200:201], v[200:201], v[138:139]
	v_fmac_f64_e32 v[200:201], v[202:203], v[210:211]
	s_waitcnt vmcnt(17)
	v_add_f64 v[64:65], v[64:65], -v[136:137]
	v_add_f64 v[66:67], v[66:67], -v[200:201]
	ds_read2_b64 v[200:203], v212 offset0:68 offset1:69
	s_waitcnt lgkmcnt(1)
	v_mul_f64 v[136:137], v[218:219], v[138:139]
	v_fma_f64 v[136:137], v[216:217], v[210:211], -v[136:137]
	v_mul_f64 v[216:217], v[216:217], v[138:139]
	v_fmac_f64_e32 v[216:217], v[218:219], v[210:211]
	s_waitcnt vmcnt(16)
	v_add_f64 v[62:63], v[62:63], -v[216:217]
	ds_read2_b64 v[216:219], v212 offset0:70 offset1:71
	v_add_f64 v[60:61], v[60:61], -v[136:137]
	s_waitcnt lgkmcnt(1)
	v_mul_f64 v[136:137], v[202:203], v[138:139]
	v_fma_f64 v[136:137], v[200:201], v[210:211], -v[136:137]
	v_mul_f64 v[200:201], v[200:201], v[138:139]
	v_fmac_f64_e32 v[200:201], v[202:203], v[210:211]
	s_waitcnt vmcnt(15)
	v_add_f64 v[56:57], v[56:57], -v[136:137]
	v_add_f64 v[58:59], v[58:59], -v[200:201]
	ds_read2_b64 v[200:203], v212 offset0:72 offset1:73
	s_waitcnt lgkmcnt(1)
	v_mul_f64 v[136:137], v[218:219], v[138:139]
	v_fma_f64 v[136:137], v[216:217], v[210:211], -v[136:137]
	v_mul_f64 v[216:217], v[216:217], v[138:139]
	v_fmac_f64_e32 v[216:217], v[218:219], v[210:211]
	s_waitcnt vmcnt(14)
	v_add_f64 v[54:55], v[54:55], -v[216:217]
	ds_read2_b64 v[216:219], v212 offset0:74 offset1:75
	v_add_f64 v[52:53], v[52:53], -v[136:137]
	s_waitcnt lgkmcnt(1)
	v_mul_f64 v[136:137], v[202:203], v[138:139]
	v_fma_f64 v[136:137], v[200:201], v[210:211], -v[136:137]
	v_mul_f64 v[200:201], v[200:201], v[138:139]
	v_fmac_f64_e32 v[200:201], v[202:203], v[210:211]
	s_waitcnt vmcnt(13)
	v_add_f64 v[48:49], v[48:49], -v[136:137]
	v_add_f64 v[50:51], v[50:51], -v[200:201]
	ds_read2_b64 v[200:203], v212 offset0:76 offset1:77
	s_waitcnt lgkmcnt(1)
	v_mul_f64 v[136:137], v[218:219], v[138:139]
	v_fma_f64 v[136:137], v[216:217], v[210:211], -v[136:137]
	v_mul_f64 v[216:217], v[216:217], v[138:139]
	v_fmac_f64_e32 v[216:217], v[218:219], v[210:211]
	s_waitcnt vmcnt(12)
	v_add_f64 v[46:47], v[46:47], -v[216:217]
	ds_read2_b64 v[216:219], v212 offset0:78 offset1:79
	v_add_f64 v[44:45], v[44:45], -v[136:137]
	s_waitcnt lgkmcnt(1)
	v_mul_f64 v[136:137], v[202:203], v[138:139]
	v_fma_f64 v[136:137], v[200:201], v[210:211], -v[136:137]
	v_mul_f64 v[200:201], v[200:201], v[138:139]
	v_fmac_f64_e32 v[200:201], v[202:203], v[210:211]
	s_waitcnt vmcnt(11)
	v_add_f64 v[40:41], v[40:41], -v[136:137]
	v_add_f64 v[42:43], v[42:43], -v[200:201]
	ds_read2_b64 v[200:203], v212 offset0:80 offset1:81
	s_waitcnt lgkmcnt(1)
	v_mul_f64 v[136:137], v[218:219], v[138:139]
	v_fma_f64 v[136:137], v[216:217], v[210:211], -v[136:137]
	v_mul_f64 v[216:217], v[216:217], v[138:139]
	v_fmac_f64_e32 v[216:217], v[218:219], v[210:211]
	s_waitcnt vmcnt(10)
	v_add_f64 v[38:39], v[38:39], -v[216:217]
	ds_read2_b64 v[216:219], v212 offset0:82 offset1:83
	v_add_f64 v[36:37], v[36:37], -v[136:137]
	s_waitcnt lgkmcnt(1)
	v_mul_f64 v[136:137], v[202:203], v[138:139]
	v_fma_f64 v[136:137], v[200:201], v[210:211], -v[136:137]
	v_mul_f64 v[200:201], v[200:201], v[138:139]
	v_fmac_f64_e32 v[200:201], v[202:203], v[210:211]
	s_waitcnt vmcnt(9)
	v_add_f64 v[32:33], v[32:33], -v[136:137]
	v_add_f64 v[34:35], v[34:35], -v[200:201]
	ds_read2_b64 v[200:203], v212 offset0:84 offset1:85
	s_waitcnt lgkmcnt(1)
	v_mul_f64 v[136:137], v[218:219], v[138:139]
	v_fma_f64 v[136:137], v[216:217], v[210:211], -v[136:137]
	v_mul_f64 v[216:217], v[216:217], v[138:139]
	v_fmac_f64_e32 v[216:217], v[218:219], v[210:211]
	s_waitcnt vmcnt(8)
	v_add_f64 v[30:31], v[30:31], -v[216:217]
	ds_read2_b64 v[216:219], v212 offset0:86 offset1:87
	v_add_f64 v[28:29], v[28:29], -v[136:137]
	s_waitcnt lgkmcnt(1)
	v_mul_f64 v[136:137], v[202:203], v[138:139]
	v_fma_f64 v[136:137], v[200:201], v[210:211], -v[136:137]
	v_mul_f64 v[200:201], v[200:201], v[138:139]
	v_fmac_f64_e32 v[200:201], v[202:203], v[210:211]
	s_waitcnt vmcnt(7)
	v_add_f64 v[24:25], v[24:25], -v[136:137]
	v_add_f64 v[26:27], v[26:27], -v[200:201]
	ds_read2_b64 v[200:203], v212 offset0:88 offset1:89
	s_waitcnt lgkmcnt(1)
	v_mul_f64 v[136:137], v[218:219], v[138:139]
	v_fma_f64 v[136:137], v[216:217], v[210:211], -v[136:137]
	v_mul_f64 v[216:217], v[216:217], v[138:139]
	v_fmac_f64_e32 v[216:217], v[218:219], v[210:211]
	s_waitcnt vmcnt(6)
	v_add_f64 v[22:23], v[22:23], -v[216:217]
	ds_read2_b64 v[216:219], v212 offset0:90 offset1:91
	v_add_f64 v[20:21], v[20:21], -v[136:137]
	s_waitcnt lgkmcnt(1)
	v_mul_f64 v[136:137], v[202:203], v[138:139]
	v_fma_f64 v[136:137], v[200:201], v[210:211], -v[136:137]
	v_mul_f64 v[200:201], v[200:201], v[138:139]
	v_fmac_f64_e32 v[200:201], v[202:203], v[210:211]
	s_waitcnt vmcnt(5)
	v_add_f64 v[16:17], v[16:17], -v[136:137]
	v_add_f64 v[18:19], v[18:19], -v[200:201]
	ds_read2_b64 v[200:203], v212 offset0:92 offset1:93
	s_waitcnt lgkmcnt(1)
	v_mul_f64 v[136:137], v[218:219], v[138:139]
	v_fma_f64 v[136:137], v[216:217], v[210:211], -v[136:137]
	v_mul_f64 v[216:217], v[216:217], v[138:139]
	v_fmac_f64_e32 v[216:217], v[218:219], v[210:211]
	s_waitcnt vmcnt(4)
	v_add_f64 v[14:15], v[14:15], -v[216:217]
	ds_read2_b64 v[216:219], v212 offset0:94 offset1:95
	v_add_f64 v[12:13], v[12:13], -v[136:137]
	s_waitcnt lgkmcnt(1)
	v_mul_f64 v[136:137], v[202:203], v[138:139]
	v_fma_f64 v[136:137], v[200:201], v[210:211], -v[136:137]
	v_mul_f64 v[200:201], v[200:201], v[138:139]
	v_fmac_f64_e32 v[200:201], v[202:203], v[210:211]
	s_waitcnt vmcnt(3)
	v_add_f64 v[8:9], v[8:9], -v[136:137]
	v_add_f64 v[10:11], v[10:11], -v[200:201]
	ds_read2_b64 v[200:203], v212 offset0:96 offset1:97
	s_waitcnt lgkmcnt(1)
	v_mul_f64 v[136:137], v[218:219], v[138:139]
	v_fma_f64 v[136:137], v[216:217], v[210:211], -v[136:137]
	v_mul_f64 v[216:217], v[216:217], v[138:139]
	v_fmac_f64_e32 v[216:217], v[218:219], v[210:211]
	s_waitcnt vmcnt(2)
	v_add_f64 v[6:7], v[6:7], -v[216:217]
	ds_read2_b64 v[216:219], v212 offset0:98 offset1:99
	v_add_f64 v[4:5], v[4:5], -v[136:137]
	s_waitcnt lgkmcnt(1)
	v_mul_f64 v[136:137], v[202:203], v[138:139]
	v_fma_f64 v[136:137], v[200:201], v[210:211], -v[136:137]
	v_mul_f64 v[200:201], v[200:201], v[138:139]
	v_fmac_f64_e32 v[200:201], v[202:203], v[210:211]
	s_waitcnt vmcnt(1)
	v_add_f64 v[0:1], v[0:1], -v[136:137]
	v_add_f64 v[2:3], v[2:3], -v[200:201]
	s_waitcnt lgkmcnt(0)
	v_mul_f64 v[136:137], v[218:219], v[138:139]
	v_mul_f64 v[200:201], v[216:217], v[138:139]
	v_fma_f64 v[136:137], v[216:217], v[210:211], -v[136:137]
	v_fmac_f64_e32 v[200:201], v[218:219], v[210:211]
	s_waitcnt vmcnt(0)
	v_add_f64 v[196:197], v[196:197], -v[136:137]
	v_add_f64 v[198:199], v[198:199], -v[200:201]
	v_mov_b64_e32 v[136:137], v[210:211]
.LBB98_356:
	s_or_b64 exec, exec, s[0:1]
	v_lshl_add_u32 v200, v213, 4, v212
	s_barrier
	s_waitcnt vmcnt(32)
	ds_write2_b64 v200, v[124:125], v[126:127] offset1:1
	s_waitcnt lgkmcnt(0)
	s_barrier
	ds_read2_b64 v[200:203], v212 offset0:34 offset1:35
	s_cmp_lt_i32 s20, 19
	v_mov_b32_e32 v210, 17
	s_cbranch_scc1 .LBB98_359
; %bb.357:
	v_add_u32_e32 v211, 0x120, v212
	s_mov_b32 s16, 18
	v_mov_b32_e32 v210, 17
.LBB98_358:                             ; =>This Inner Loop Header: Depth=1
	ds_read2_b64 v[216:219], v211 offset1:1
	s_waitcnt lgkmcnt(1)
	v_xor_b32_e32 v221, 0x80000000, v201
	v_xor_b32_e32 v223, 0x80000000, v203
	v_cmp_gt_f64_e32 vcc, 0, v[202:203]
	v_cmp_gt_f64_e64 s[0:1], 0, v[200:201]
	v_mov_b32_e32 v220, v200
	v_mov_b32_e32 v222, v202
	v_cndmask_b32_e64 v221, v201, v221, s[0:1]
	v_cndmask_b32_e32 v223, v203, v223, vcc
	v_add_f64 v[220:221], v[220:221], v[222:223]
	s_waitcnt lgkmcnt(0)
	v_xor_b32_e32 v223, 0x80000000, v217
	v_xor_b32_e32 v225, 0x80000000, v219
	v_cmp_gt_f64_e32 vcc, 0, v[218:219]
	v_cmp_gt_f64_e64 s[0:1], 0, v[216:217]
	v_mov_b32_e32 v222, v216
	v_mov_b32_e32 v224, v218
	v_cndmask_b32_e64 v223, v217, v223, s[0:1]
	v_cndmask_b32_e32 v225, v219, v225, vcc
	v_add_f64 v[222:223], v[222:223], v[224:225]
	v_mov_b32_e32 v226, s16
	s_add_i32 s16, s16, 1
	v_cmp_lt_f64_e32 vcc, v[220:221], v[222:223]
	v_add_u32_e32 v211, 16, v211
	s_cmp_lg_u32 s20, s16
	v_cndmask_b32_e32 v201, v201, v217, vcc
	v_cndmask_b32_e32 v200, v200, v216, vcc
	;; [unrolled: 1-line block ×5, first 2 shown]
	s_cbranch_scc1 .LBB98_358
.LBB98_359:
	s_waitcnt lgkmcnt(0)
	v_cmp_eq_f64_e32 vcc, 0, v[200:201]
	v_cmp_eq_f64_e64 s[0:1], 0, v[202:203]
	s_and_b64 s[0:1], vcc, s[0:1]
	s_and_saveexec_b64 s[16:17], s[0:1]
	s_xor_b64 s[0:1], exec, s[16:17]
; %bb.360:
	v_cmp_ne_u32_e32 vcc, 0, v214
	s_nop 1
	v_cndmask_b32_e32 v214, 18, v214, vcc
; %bb.361:
	s_andn2_saveexec_b64 s[0:1], s[0:1]
	s_cbranch_execz .LBB98_367
; %bb.362:
	v_cmp_ngt_f64_e64 s[16:17], |v[200:201]|, |v[202:203]|
	s_and_saveexec_b64 s[18:19], s[16:17]
	s_xor_b64 s[16:17], exec, s[18:19]
	s_cbranch_execz .LBB98_364
; %bb.363:
	v_div_scale_f64 v[216:217], s[18:19], v[202:203], v[202:203], v[200:201]
	v_rcp_f64_e32 v[218:219], v[216:217]
	v_div_scale_f64 v[220:221], vcc, v[200:201], v[202:203], v[200:201]
	v_fma_f64 v[222:223], -v[216:217], v[218:219], 1.0
	v_fmac_f64_e32 v[218:219], v[218:219], v[222:223]
	v_fma_f64 v[222:223], -v[216:217], v[218:219], 1.0
	v_fmac_f64_e32 v[218:219], v[218:219], v[222:223]
	v_mul_f64 v[222:223], v[220:221], v[218:219]
	v_fma_f64 v[216:217], -v[216:217], v[222:223], v[220:221]
	v_div_fmas_f64 v[216:217], v[216:217], v[218:219], v[222:223]
	v_div_fixup_f64 v[216:217], v[216:217], v[202:203], v[200:201]
	v_fmac_f64_e32 v[202:203], v[200:201], v[216:217]
	v_div_scale_f64 v[200:201], s[18:19], v[202:203], v[202:203], 1.0
	v_rcp_f64_e32 v[218:219], v[200:201]
	s_nop 0
	v_fma_f64 v[220:221], -v[200:201], v[218:219], 1.0
	v_fmac_f64_e32 v[218:219], v[218:219], v[220:221]
	v_fma_f64 v[220:221], -v[200:201], v[218:219], 1.0
	v_fmac_f64_e32 v[218:219], v[218:219], v[220:221]
	v_div_scale_f64 v[220:221], vcc, 1.0, v[202:203], 1.0
	v_mul_f64 v[222:223], v[220:221], v[218:219]
	v_fma_f64 v[200:201], -v[200:201], v[222:223], v[220:221]
	s_nop 1
	v_div_fmas_f64 v[200:201], v[200:201], v[218:219], v[222:223]
	v_div_fixup_f64 v[202:203], v[200:201], v[202:203], 1.0
	v_mul_f64 v[200:201], v[216:217], v[202:203]
	v_xor_b32_e32 v203, 0x80000000, v203
.LBB98_364:
	s_andn2_saveexec_b64 s[16:17], s[16:17]
	s_cbranch_execz .LBB98_366
; %bb.365:
	v_div_scale_f64 v[216:217], s[18:19], v[200:201], v[200:201], v[202:203]
	v_rcp_f64_e32 v[218:219], v[216:217]
	v_div_scale_f64 v[220:221], vcc, v[202:203], v[200:201], v[202:203]
	v_fma_f64 v[222:223], -v[216:217], v[218:219], 1.0
	v_fmac_f64_e32 v[218:219], v[218:219], v[222:223]
	v_fma_f64 v[222:223], -v[216:217], v[218:219], 1.0
	v_fmac_f64_e32 v[218:219], v[218:219], v[222:223]
	v_mul_f64 v[222:223], v[220:221], v[218:219]
	v_fma_f64 v[216:217], -v[216:217], v[222:223], v[220:221]
	v_div_fmas_f64 v[216:217], v[216:217], v[218:219], v[222:223]
	v_div_fixup_f64 v[216:217], v[216:217], v[200:201], v[202:203]
	v_fmac_f64_e32 v[200:201], v[202:203], v[216:217]
	v_div_scale_f64 v[202:203], s[18:19], v[200:201], v[200:201], 1.0
	v_rcp_f64_e32 v[218:219], v[202:203]
	s_nop 0
	v_fma_f64 v[220:221], -v[202:203], v[218:219], 1.0
	v_fmac_f64_e32 v[218:219], v[218:219], v[220:221]
	v_fma_f64 v[220:221], -v[202:203], v[218:219], 1.0
	v_fmac_f64_e32 v[218:219], v[218:219], v[220:221]
	v_div_scale_f64 v[220:221], vcc, 1.0, v[200:201], 1.0
	v_mul_f64 v[222:223], v[220:221], v[218:219]
	v_fma_f64 v[202:203], -v[202:203], v[222:223], v[220:221]
	s_nop 1
	v_div_fmas_f64 v[202:203], v[202:203], v[218:219], v[222:223]
	v_div_fixup_f64 v[200:201], v[202:203], v[200:201], 1.0
	v_mul_f64 v[202:203], v[216:217], -v[200:201]
.LBB98_366:
	s_or_b64 exec, exec, s[16:17]
.LBB98_367:
	s_or_b64 exec, exec, s[0:1]
	v_cmp_ne_u32_e32 vcc, v213, v210
	s_and_saveexec_b64 s[0:1], vcc
	s_xor_b64 s[0:1], exec, s[0:1]
	s_cbranch_execz .LBB98_373
; %bb.368:
	v_cmp_eq_u32_e32 vcc, 17, v213
	s_and_saveexec_b64 s[16:17], vcc
	s_cbranch_execz .LBB98_372
; %bb.369:
	v_cmp_ne_u32_e32 vcc, 17, v210
	s_xor_b64 s[18:19], s[14:15], -1
	s_and_b64 s[22:23], s[18:19], vcc
	s_and_saveexec_b64 s[18:19], s[22:23]
	s_cbranch_execz .LBB98_371
; %bb.370:
	v_ashrrev_i32_e32 v211, 31, v210
	v_lshl_add_u64 v[216:217], v[210:211], 2, v[208:209]
	global_load_dword v211, v[216:217], off
	global_load_dword v213, v[208:209], off offset:68
	s_waitcnt vmcnt(1)
	global_store_dword v[208:209], v211, off offset:68
	s_waitcnt vmcnt(1)
	global_store_dword v[216:217], v213, off
.LBB98_371:
	s_or_b64 exec, exec, s[18:19]
	v_mov_b32_e32 v213, v210
	v_mov_b32_e32 v215, v210
.LBB98_372:
	s_or_b64 exec, exec, s[16:17]
.LBB98_373:
	s_andn2_saveexec_b64 s[0:1], s[0:1]
	s_cbranch_execz .LBB98_375
; %bb.374:
	v_mov_b32_e32 v213, 17
	s_waitcnt vmcnt(31)
	ds_write2_b64 v212, v[120:121], v[122:123] offset0:36 offset1:37
	s_waitcnt vmcnt(30)
	ds_write2_b64 v212, v[116:117], v[118:119] offset0:38 offset1:39
	;; [unrolled: 2-line block ×32, first 2 shown]
.LBB98_375:
	s_or_b64 exec, exec, s[0:1]
	v_cmp_lt_i32_e32 vcc, 17, v213
	s_waitcnt lgkmcnt(0)
	s_barrier
	s_and_saveexec_b64 s[0:1], vcc
	s_cbranch_execz .LBB98_377
; %bb.376:
	ds_read2_b64 v[216:219], v212 offset0:36 offset1:37
	v_mul_f64 v[210:211], v[202:203], v[126:127]
	v_mul_f64 v[126:127], v[200:201], v[126:127]
	v_fma_f64 v[210:211], v[200:201], v[124:125], -v[210:211]
	v_fmac_f64_e32 v[126:127], v[202:203], v[124:125]
	ds_read2_b64 v[200:203], v212 offset0:38 offset1:39
	s_waitcnt lgkmcnt(1)
	v_mul_f64 v[124:125], v[218:219], v[126:127]
	v_fma_f64 v[124:125], v[216:217], v[210:211], -v[124:125]
	v_mul_f64 v[216:217], v[216:217], v[126:127]
	v_fmac_f64_e32 v[216:217], v[218:219], v[210:211]
	s_waitcnt vmcnt(31)
	v_add_f64 v[120:121], v[120:121], -v[124:125]
	s_waitcnt lgkmcnt(0)
	v_mul_f64 v[124:125], v[202:203], v[126:127]
	v_add_f64 v[122:123], v[122:123], -v[216:217]
	v_fma_f64 v[124:125], v[200:201], v[210:211], -v[124:125]
	v_mul_f64 v[200:201], v[200:201], v[126:127]
	ds_read2_b64 v[216:219], v212 offset0:40 offset1:41
	v_fmac_f64_e32 v[200:201], v[202:203], v[210:211]
	s_waitcnt vmcnt(30)
	v_add_f64 v[118:119], v[118:119], -v[200:201]
	ds_read2_b64 v[200:203], v212 offset0:42 offset1:43
	v_add_f64 v[116:117], v[116:117], -v[124:125]
	s_waitcnt lgkmcnt(1)
	v_mul_f64 v[124:125], v[218:219], v[126:127]
	v_fma_f64 v[124:125], v[216:217], v[210:211], -v[124:125]
	v_mul_f64 v[216:217], v[216:217], v[126:127]
	v_fmac_f64_e32 v[216:217], v[218:219], v[210:211]
	s_waitcnt vmcnt(29)
	v_add_f64 v[112:113], v[112:113], -v[124:125]
	s_waitcnt lgkmcnt(0)
	v_mul_f64 v[124:125], v[202:203], v[126:127]
	v_add_f64 v[114:115], v[114:115], -v[216:217]
	v_fma_f64 v[124:125], v[200:201], v[210:211], -v[124:125]
	v_mul_f64 v[200:201], v[200:201], v[126:127]
	ds_read2_b64 v[216:219], v212 offset0:44 offset1:45
	v_fmac_f64_e32 v[200:201], v[202:203], v[210:211]
	s_waitcnt vmcnt(28)
	v_add_f64 v[110:111], v[110:111], -v[200:201]
	ds_read2_b64 v[200:203], v212 offset0:46 offset1:47
	v_add_f64 v[108:109], v[108:109], -v[124:125]
	;; [unrolled: 18-line block ×15, first 2 shown]
	s_waitcnt lgkmcnt(1)
	v_mul_f64 v[124:125], v[218:219], v[126:127]
	v_fma_f64 v[124:125], v[216:217], v[210:211], -v[124:125]
	s_waitcnt vmcnt(1)
	v_add_f64 v[0:1], v[0:1], -v[124:125]
	s_waitcnt lgkmcnt(0)
	v_mul_f64 v[124:125], v[202:203], v[126:127]
	v_mul_f64 v[216:217], v[216:217], v[126:127]
	v_fma_f64 v[124:125], v[200:201], v[210:211], -v[124:125]
	v_mul_f64 v[200:201], v[200:201], v[126:127]
	v_fmac_f64_e32 v[216:217], v[218:219], v[210:211]
	v_fmac_f64_e32 v[200:201], v[202:203], v[210:211]
	v_add_f64 v[2:3], v[2:3], -v[216:217]
	s_waitcnt vmcnt(0)
	v_add_f64 v[196:197], v[196:197], -v[124:125]
	v_add_f64 v[198:199], v[198:199], -v[200:201]
	v_mov_b64_e32 v[124:125], v[210:211]
.LBB98_377:
	s_or_b64 exec, exec, s[0:1]
	v_lshl_add_u32 v200, v213, 4, v212
	s_barrier
	s_waitcnt vmcnt(31)
	ds_write2_b64 v200, v[120:121], v[122:123] offset1:1
	s_waitcnt lgkmcnt(0)
	s_barrier
	ds_read2_b64 v[200:203], v212 offset0:36 offset1:37
	s_cmp_lt_i32 s20, 20
	v_mov_b32_e32 v210, 18
	s_cbranch_scc1 .LBB98_380
; %bb.378:
	v_add_u32_e32 v211, 0x130, v212
	s_mov_b32 s16, 19
	v_mov_b32_e32 v210, 18
.LBB98_379:                             ; =>This Inner Loop Header: Depth=1
	ds_read2_b64 v[216:219], v211 offset1:1
	s_waitcnt lgkmcnt(1)
	v_xor_b32_e32 v221, 0x80000000, v201
	v_xor_b32_e32 v223, 0x80000000, v203
	v_cmp_gt_f64_e32 vcc, 0, v[202:203]
	v_cmp_gt_f64_e64 s[0:1], 0, v[200:201]
	v_mov_b32_e32 v220, v200
	v_mov_b32_e32 v222, v202
	v_cndmask_b32_e64 v221, v201, v221, s[0:1]
	v_cndmask_b32_e32 v223, v203, v223, vcc
	v_add_f64 v[220:221], v[220:221], v[222:223]
	s_waitcnt lgkmcnt(0)
	v_xor_b32_e32 v223, 0x80000000, v217
	v_xor_b32_e32 v225, 0x80000000, v219
	v_cmp_gt_f64_e32 vcc, 0, v[218:219]
	v_cmp_gt_f64_e64 s[0:1], 0, v[216:217]
	v_mov_b32_e32 v222, v216
	v_mov_b32_e32 v224, v218
	v_cndmask_b32_e64 v223, v217, v223, s[0:1]
	v_cndmask_b32_e32 v225, v219, v225, vcc
	v_add_f64 v[222:223], v[222:223], v[224:225]
	v_mov_b32_e32 v226, s16
	s_add_i32 s16, s16, 1
	v_cmp_lt_f64_e32 vcc, v[220:221], v[222:223]
	v_add_u32_e32 v211, 16, v211
	s_cmp_lg_u32 s20, s16
	v_cndmask_b32_e32 v201, v201, v217, vcc
	v_cndmask_b32_e32 v200, v200, v216, vcc
	;; [unrolled: 1-line block ×5, first 2 shown]
	s_cbranch_scc1 .LBB98_379
.LBB98_380:
	s_waitcnt lgkmcnt(0)
	v_cmp_eq_f64_e32 vcc, 0, v[200:201]
	v_cmp_eq_f64_e64 s[0:1], 0, v[202:203]
	s_and_b64 s[0:1], vcc, s[0:1]
	s_and_saveexec_b64 s[16:17], s[0:1]
	s_xor_b64 s[0:1], exec, s[16:17]
; %bb.381:
	v_cmp_ne_u32_e32 vcc, 0, v214
	s_nop 1
	v_cndmask_b32_e32 v214, 19, v214, vcc
; %bb.382:
	s_andn2_saveexec_b64 s[0:1], s[0:1]
	s_cbranch_execz .LBB98_388
; %bb.383:
	v_cmp_ngt_f64_e64 s[16:17], |v[200:201]|, |v[202:203]|
	s_and_saveexec_b64 s[18:19], s[16:17]
	s_xor_b64 s[16:17], exec, s[18:19]
	s_cbranch_execz .LBB98_385
; %bb.384:
	v_div_scale_f64 v[216:217], s[18:19], v[202:203], v[202:203], v[200:201]
	v_rcp_f64_e32 v[218:219], v[216:217]
	v_div_scale_f64 v[220:221], vcc, v[200:201], v[202:203], v[200:201]
	v_fma_f64 v[222:223], -v[216:217], v[218:219], 1.0
	v_fmac_f64_e32 v[218:219], v[218:219], v[222:223]
	v_fma_f64 v[222:223], -v[216:217], v[218:219], 1.0
	v_fmac_f64_e32 v[218:219], v[218:219], v[222:223]
	v_mul_f64 v[222:223], v[220:221], v[218:219]
	v_fma_f64 v[216:217], -v[216:217], v[222:223], v[220:221]
	v_div_fmas_f64 v[216:217], v[216:217], v[218:219], v[222:223]
	v_div_fixup_f64 v[216:217], v[216:217], v[202:203], v[200:201]
	v_fmac_f64_e32 v[202:203], v[200:201], v[216:217]
	v_div_scale_f64 v[200:201], s[18:19], v[202:203], v[202:203], 1.0
	v_rcp_f64_e32 v[218:219], v[200:201]
	s_nop 0
	v_fma_f64 v[220:221], -v[200:201], v[218:219], 1.0
	v_fmac_f64_e32 v[218:219], v[218:219], v[220:221]
	v_fma_f64 v[220:221], -v[200:201], v[218:219], 1.0
	v_fmac_f64_e32 v[218:219], v[218:219], v[220:221]
	v_div_scale_f64 v[220:221], vcc, 1.0, v[202:203], 1.0
	v_mul_f64 v[222:223], v[220:221], v[218:219]
	v_fma_f64 v[200:201], -v[200:201], v[222:223], v[220:221]
	s_nop 1
	v_div_fmas_f64 v[200:201], v[200:201], v[218:219], v[222:223]
	v_div_fixup_f64 v[202:203], v[200:201], v[202:203], 1.0
	v_mul_f64 v[200:201], v[216:217], v[202:203]
	v_xor_b32_e32 v203, 0x80000000, v203
.LBB98_385:
	s_andn2_saveexec_b64 s[16:17], s[16:17]
	s_cbranch_execz .LBB98_387
; %bb.386:
	v_div_scale_f64 v[216:217], s[18:19], v[200:201], v[200:201], v[202:203]
	v_rcp_f64_e32 v[218:219], v[216:217]
	v_div_scale_f64 v[220:221], vcc, v[202:203], v[200:201], v[202:203]
	v_fma_f64 v[222:223], -v[216:217], v[218:219], 1.0
	v_fmac_f64_e32 v[218:219], v[218:219], v[222:223]
	v_fma_f64 v[222:223], -v[216:217], v[218:219], 1.0
	v_fmac_f64_e32 v[218:219], v[218:219], v[222:223]
	v_mul_f64 v[222:223], v[220:221], v[218:219]
	v_fma_f64 v[216:217], -v[216:217], v[222:223], v[220:221]
	v_div_fmas_f64 v[216:217], v[216:217], v[218:219], v[222:223]
	v_div_fixup_f64 v[216:217], v[216:217], v[200:201], v[202:203]
	v_fmac_f64_e32 v[200:201], v[202:203], v[216:217]
	v_div_scale_f64 v[202:203], s[18:19], v[200:201], v[200:201], 1.0
	v_rcp_f64_e32 v[218:219], v[202:203]
	s_nop 0
	v_fma_f64 v[220:221], -v[202:203], v[218:219], 1.0
	v_fmac_f64_e32 v[218:219], v[218:219], v[220:221]
	v_fma_f64 v[220:221], -v[202:203], v[218:219], 1.0
	v_fmac_f64_e32 v[218:219], v[218:219], v[220:221]
	v_div_scale_f64 v[220:221], vcc, 1.0, v[200:201], 1.0
	v_mul_f64 v[222:223], v[220:221], v[218:219]
	v_fma_f64 v[202:203], -v[202:203], v[222:223], v[220:221]
	s_nop 1
	v_div_fmas_f64 v[202:203], v[202:203], v[218:219], v[222:223]
	v_div_fixup_f64 v[200:201], v[202:203], v[200:201], 1.0
	v_mul_f64 v[202:203], v[216:217], -v[200:201]
.LBB98_387:
	s_or_b64 exec, exec, s[16:17]
.LBB98_388:
	s_or_b64 exec, exec, s[0:1]
	v_cmp_ne_u32_e32 vcc, v213, v210
	s_and_saveexec_b64 s[0:1], vcc
	s_xor_b64 s[0:1], exec, s[0:1]
	s_cbranch_execz .LBB98_394
; %bb.389:
	v_cmp_eq_u32_e32 vcc, 18, v213
	s_and_saveexec_b64 s[16:17], vcc
	s_cbranch_execz .LBB98_393
; %bb.390:
	v_cmp_ne_u32_e32 vcc, 18, v210
	s_xor_b64 s[18:19], s[14:15], -1
	s_and_b64 s[22:23], s[18:19], vcc
	s_and_saveexec_b64 s[18:19], s[22:23]
	s_cbranch_execz .LBB98_392
; %bb.391:
	v_ashrrev_i32_e32 v211, 31, v210
	v_lshl_add_u64 v[216:217], v[210:211], 2, v[208:209]
	global_load_dword v211, v[216:217], off
	global_load_dword v213, v[208:209], off offset:72
	s_waitcnt vmcnt(1)
	global_store_dword v[208:209], v211, off offset:72
	s_waitcnt vmcnt(1)
	global_store_dword v[216:217], v213, off
.LBB98_392:
	s_or_b64 exec, exec, s[18:19]
	v_mov_b32_e32 v213, v210
	v_mov_b32_e32 v215, v210
.LBB98_393:
	s_or_b64 exec, exec, s[16:17]
.LBB98_394:
	s_andn2_saveexec_b64 s[0:1], s[0:1]
	s_cbranch_execz .LBB98_396
; %bb.395:
	v_mov_b32_e32 v213, 18
	s_waitcnt vmcnt(30)
	ds_write2_b64 v212, v[116:117], v[118:119] offset0:38 offset1:39
	s_waitcnt vmcnt(29)
	ds_write2_b64 v212, v[112:113], v[114:115] offset0:40 offset1:41
	;; [unrolled: 2-line block ×31, first 2 shown]
.LBB98_396:
	s_or_b64 exec, exec, s[0:1]
	v_cmp_lt_i32_e32 vcc, 18, v213
	s_waitcnt lgkmcnt(0)
	s_barrier
	s_and_saveexec_b64 s[0:1], vcc
	s_cbranch_execz .LBB98_398
; %bb.397:
	ds_read2_b64 v[216:219], v212 offset0:38 offset1:39
	v_mul_f64 v[210:211], v[202:203], v[122:123]
	v_mul_f64 v[122:123], v[200:201], v[122:123]
	v_fmac_f64_e32 v[122:123], v[202:203], v[120:121]
	v_fma_f64 v[210:211], v[200:201], v[120:121], -v[210:211]
	ds_read2_b64 v[200:203], v212 offset0:40 offset1:41
	s_waitcnt lgkmcnt(1)
	v_mul_f64 v[120:121], v[218:219], v[122:123]
	v_fma_f64 v[120:121], v[216:217], v[210:211], -v[120:121]
	v_mul_f64 v[216:217], v[216:217], v[122:123]
	v_fmac_f64_e32 v[216:217], v[218:219], v[210:211]
	s_waitcnt vmcnt(30)
	v_add_f64 v[118:119], v[118:119], -v[216:217]
	ds_read2_b64 v[216:219], v212 offset0:42 offset1:43
	v_add_f64 v[116:117], v[116:117], -v[120:121]
	s_waitcnt lgkmcnt(1)
	v_mul_f64 v[120:121], v[202:203], v[122:123]
	v_fma_f64 v[120:121], v[200:201], v[210:211], -v[120:121]
	v_mul_f64 v[200:201], v[200:201], v[122:123]
	v_fmac_f64_e32 v[200:201], v[202:203], v[210:211]
	s_waitcnt vmcnt(29)
	v_add_f64 v[112:113], v[112:113], -v[120:121]
	v_add_f64 v[114:115], v[114:115], -v[200:201]
	ds_read2_b64 v[200:203], v212 offset0:44 offset1:45
	s_waitcnt lgkmcnt(1)
	v_mul_f64 v[120:121], v[218:219], v[122:123]
	v_fma_f64 v[120:121], v[216:217], v[210:211], -v[120:121]
	v_mul_f64 v[216:217], v[216:217], v[122:123]
	v_fmac_f64_e32 v[216:217], v[218:219], v[210:211]
	s_waitcnt vmcnt(28)
	v_add_f64 v[110:111], v[110:111], -v[216:217]
	ds_read2_b64 v[216:219], v212 offset0:46 offset1:47
	v_add_f64 v[108:109], v[108:109], -v[120:121]
	s_waitcnt lgkmcnt(1)
	v_mul_f64 v[120:121], v[202:203], v[122:123]
	v_fma_f64 v[120:121], v[200:201], v[210:211], -v[120:121]
	v_mul_f64 v[200:201], v[200:201], v[122:123]
	v_fmac_f64_e32 v[200:201], v[202:203], v[210:211]
	s_waitcnt vmcnt(27)
	v_add_f64 v[104:105], v[104:105], -v[120:121]
	v_add_f64 v[106:107], v[106:107], -v[200:201]
	;; [unrolled: 18-line block ×15, first 2 shown]
	s_waitcnt lgkmcnt(0)
	v_mul_f64 v[120:121], v[218:219], v[122:123]
	v_mul_f64 v[200:201], v[216:217], v[122:123]
	v_fma_f64 v[120:121], v[216:217], v[210:211], -v[120:121]
	v_fmac_f64_e32 v[200:201], v[218:219], v[210:211]
	s_waitcnt vmcnt(0)
	v_add_f64 v[196:197], v[196:197], -v[120:121]
	v_add_f64 v[198:199], v[198:199], -v[200:201]
	v_mov_b64_e32 v[120:121], v[210:211]
.LBB98_398:
	s_or_b64 exec, exec, s[0:1]
	v_lshl_add_u32 v200, v213, 4, v212
	s_barrier
	s_waitcnt vmcnt(30)
	ds_write2_b64 v200, v[116:117], v[118:119] offset1:1
	s_waitcnt lgkmcnt(0)
	s_barrier
	ds_read2_b64 v[200:203], v212 offset0:38 offset1:39
	s_cmp_lt_i32 s20, 21
	v_mov_b32_e32 v210, 19
	s_cbranch_scc1 .LBB98_401
; %bb.399:
	v_add_u32_e32 v211, 0x140, v212
	s_mov_b32 s16, 20
	v_mov_b32_e32 v210, 19
.LBB98_400:                             ; =>This Inner Loop Header: Depth=1
	ds_read2_b64 v[216:219], v211 offset1:1
	s_waitcnt lgkmcnt(1)
	v_xor_b32_e32 v221, 0x80000000, v201
	v_xor_b32_e32 v223, 0x80000000, v203
	v_cmp_gt_f64_e32 vcc, 0, v[202:203]
	v_cmp_gt_f64_e64 s[0:1], 0, v[200:201]
	v_mov_b32_e32 v220, v200
	v_mov_b32_e32 v222, v202
	v_cndmask_b32_e64 v221, v201, v221, s[0:1]
	v_cndmask_b32_e32 v223, v203, v223, vcc
	v_add_f64 v[220:221], v[220:221], v[222:223]
	s_waitcnt lgkmcnt(0)
	v_xor_b32_e32 v223, 0x80000000, v217
	v_xor_b32_e32 v225, 0x80000000, v219
	v_cmp_gt_f64_e32 vcc, 0, v[218:219]
	v_cmp_gt_f64_e64 s[0:1], 0, v[216:217]
	v_mov_b32_e32 v222, v216
	v_mov_b32_e32 v224, v218
	v_cndmask_b32_e64 v223, v217, v223, s[0:1]
	v_cndmask_b32_e32 v225, v219, v225, vcc
	v_add_f64 v[222:223], v[222:223], v[224:225]
	v_mov_b32_e32 v226, s16
	s_add_i32 s16, s16, 1
	v_cmp_lt_f64_e32 vcc, v[220:221], v[222:223]
	v_add_u32_e32 v211, 16, v211
	s_cmp_lg_u32 s20, s16
	v_cndmask_b32_e32 v201, v201, v217, vcc
	v_cndmask_b32_e32 v200, v200, v216, vcc
	;; [unrolled: 1-line block ×5, first 2 shown]
	s_cbranch_scc1 .LBB98_400
.LBB98_401:
	s_waitcnt lgkmcnt(0)
	v_cmp_eq_f64_e32 vcc, 0, v[200:201]
	v_cmp_eq_f64_e64 s[0:1], 0, v[202:203]
	s_and_b64 s[0:1], vcc, s[0:1]
	s_and_saveexec_b64 s[16:17], s[0:1]
	s_xor_b64 s[0:1], exec, s[16:17]
; %bb.402:
	v_cmp_ne_u32_e32 vcc, 0, v214
	s_nop 1
	v_cndmask_b32_e32 v214, 20, v214, vcc
; %bb.403:
	s_andn2_saveexec_b64 s[0:1], s[0:1]
	s_cbranch_execz .LBB98_409
; %bb.404:
	v_cmp_ngt_f64_e64 s[16:17], |v[200:201]|, |v[202:203]|
	s_and_saveexec_b64 s[18:19], s[16:17]
	s_xor_b64 s[16:17], exec, s[18:19]
	s_cbranch_execz .LBB98_406
; %bb.405:
	v_div_scale_f64 v[216:217], s[18:19], v[202:203], v[202:203], v[200:201]
	v_rcp_f64_e32 v[218:219], v[216:217]
	v_div_scale_f64 v[220:221], vcc, v[200:201], v[202:203], v[200:201]
	v_fma_f64 v[222:223], -v[216:217], v[218:219], 1.0
	v_fmac_f64_e32 v[218:219], v[218:219], v[222:223]
	v_fma_f64 v[222:223], -v[216:217], v[218:219], 1.0
	v_fmac_f64_e32 v[218:219], v[218:219], v[222:223]
	v_mul_f64 v[222:223], v[220:221], v[218:219]
	v_fma_f64 v[216:217], -v[216:217], v[222:223], v[220:221]
	v_div_fmas_f64 v[216:217], v[216:217], v[218:219], v[222:223]
	v_div_fixup_f64 v[216:217], v[216:217], v[202:203], v[200:201]
	v_fmac_f64_e32 v[202:203], v[200:201], v[216:217]
	v_div_scale_f64 v[200:201], s[18:19], v[202:203], v[202:203], 1.0
	v_rcp_f64_e32 v[218:219], v[200:201]
	s_nop 0
	v_fma_f64 v[220:221], -v[200:201], v[218:219], 1.0
	v_fmac_f64_e32 v[218:219], v[218:219], v[220:221]
	v_fma_f64 v[220:221], -v[200:201], v[218:219], 1.0
	v_fmac_f64_e32 v[218:219], v[218:219], v[220:221]
	v_div_scale_f64 v[220:221], vcc, 1.0, v[202:203], 1.0
	v_mul_f64 v[222:223], v[220:221], v[218:219]
	v_fma_f64 v[200:201], -v[200:201], v[222:223], v[220:221]
	s_nop 1
	v_div_fmas_f64 v[200:201], v[200:201], v[218:219], v[222:223]
	v_div_fixup_f64 v[202:203], v[200:201], v[202:203], 1.0
	v_mul_f64 v[200:201], v[216:217], v[202:203]
	v_xor_b32_e32 v203, 0x80000000, v203
.LBB98_406:
	s_andn2_saveexec_b64 s[16:17], s[16:17]
	s_cbranch_execz .LBB98_408
; %bb.407:
	v_div_scale_f64 v[216:217], s[18:19], v[200:201], v[200:201], v[202:203]
	v_rcp_f64_e32 v[218:219], v[216:217]
	v_div_scale_f64 v[220:221], vcc, v[202:203], v[200:201], v[202:203]
	v_fma_f64 v[222:223], -v[216:217], v[218:219], 1.0
	v_fmac_f64_e32 v[218:219], v[218:219], v[222:223]
	v_fma_f64 v[222:223], -v[216:217], v[218:219], 1.0
	v_fmac_f64_e32 v[218:219], v[218:219], v[222:223]
	v_mul_f64 v[222:223], v[220:221], v[218:219]
	v_fma_f64 v[216:217], -v[216:217], v[222:223], v[220:221]
	v_div_fmas_f64 v[216:217], v[216:217], v[218:219], v[222:223]
	v_div_fixup_f64 v[216:217], v[216:217], v[200:201], v[202:203]
	v_fmac_f64_e32 v[200:201], v[202:203], v[216:217]
	v_div_scale_f64 v[202:203], s[18:19], v[200:201], v[200:201], 1.0
	v_rcp_f64_e32 v[218:219], v[202:203]
	s_nop 0
	v_fma_f64 v[220:221], -v[202:203], v[218:219], 1.0
	v_fmac_f64_e32 v[218:219], v[218:219], v[220:221]
	v_fma_f64 v[220:221], -v[202:203], v[218:219], 1.0
	v_fmac_f64_e32 v[218:219], v[218:219], v[220:221]
	v_div_scale_f64 v[220:221], vcc, 1.0, v[200:201], 1.0
	v_mul_f64 v[222:223], v[220:221], v[218:219]
	v_fma_f64 v[202:203], -v[202:203], v[222:223], v[220:221]
	s_nop 1
	v_div_fmas_f64 v[202:203], v[202:203], v[218:219], v[222:223]
	v_div_fixup_f64 v[200:201], v[202:203], v[200:201], 1.0
	v_mul_f64 v[202:203], v[216:217], -v[200:201]
.LBB98_408:
	s_or_b64 exec, exec, s[16:17]
.LBB98_409:
	s_or_b64 exec, exec, s[0:1]
	v_cmp_ne_u32_e32 vcc, v213, v210
	s_and_saveexec_b64 s[0:1], vcc
	s_xor_b64 s[0:1], exec, s[0:1]
	s_cbranch_execz .LBB98_415
; %bb.410:
	v_cmp_eq_u32_e32 vcc, 19, v213
	s_and_saveexec_b64 s[16:17], vcc
	s_cbranch_execz .LBB98_414
; %bb.411:
	v_cmp_ne_u32_e32 vcc, 19, v210
	s_xor_b64 s[18:19], s[14:15], -1
	s_and_b64 s[22:23], s[18:19], vcc
	s_and_saveexec_b64 s[18:19], s[22:23]
	s_cbranch_execz .LBB98_413
; %bb.412:
	v_ashrrev_i32_e32 v211, 31, v210
	v_lshl_add_u64 v[216:217], v[210:211], 2, v[208:209]
	global_load_dword v211, v[216:217], off
	global_load_dword v213, v[208:209], off offset:76
	s_waitcnt vmcnt(1)
	global_store_dword v[208:209], v211, off offset:76
	s_waitcnt vmcnt(1)
	global_store_dword v[216:217], v213, off
.LBB98_413:
	s_or_b64 exec, exec, s[18:19]
	v_mov_b32_e32 v213, v210
	v_mov_b32_e32 v215, v210
.LBB98_414:
	s_or_b64 exec, exec, s[16:17]
.LBB98_415:
	s_andn2_saveexec_b64 s[0:1], s[0:1]
	s_cbranch_execz .LBB98_417
; %bb.416:
	v_mov_b32_e32 v213, 19
	s_waitcnt vmcnt(29)
	ds_write2_b64 v212, v[112:113], v[114:115] offset0:40 offset1:41
	s_waitcnt vmcnt(28)
	ds_write2_b64 v212, v[108:109], v[110:111] offset0:42 offset1:43
	;; [unrolled: 2-line block ×30, first 2 shown]
.LBB98_417:
	s_or_b64 exec, exec, s[0:1]
	v_cmp_lt_i32_e32 vcc, 19, v213
	s_waitcnt lgkmcnt(0)
	s_barrier
	s_and_saveexec_b64 s[0:1], vcc
	s_cbranch_execz .LBB98_419
; %bb.418:
	ds_read2_b64 v[216:219], v212 offset0:40 offset1:41
	v_mul_f64 v[210:211], v[202:203], v[118:119]
	v_mul_f64 v[118:119], v[200:201], v[118:119]
	v_fma_f64 v[210:211], v[200:201], v[116:117], -v[210:211]
	v_fmac_f64_e32 v[118:119], v[202:203], v[116:117]
	ds_read2_b64 v[200:203], v212 offset0:42 offset1:43
	s_waitcnt lgkmcnt(1)
	v_mul_f64 v[116:117], v[218:219], v[118:119]
	v_fma_f64 v[116:117], v[216:217], v[210:211], -v[116:117]
	v_mul_f64 v[216:217], v[216:217], v[118:119]
	v_fmac_f64_e32 v[216:217], v[218:219], v[210:211]
	s_waitcnt vmcnt(29)
	v_add_f64 v[112:113], v[112:113], -v[116:117]
	s_waitcnt lgkmcnt(0)
	v_mul_f64 v[116:117], v[202:203], v[118:119]
	v_add_f64 v[114:115], v[114:115], -v[216:217]
	v_fma_f64 v[116:117], v[200:201], v[210:211], -v[116:117]
	v_mul_f64 v[200:201], v[200:201], v[118:119]
	ds_read2_b64 v[216:219], v212 offset0:44 offset1:45
	v_fmac_f64_e32 v[200:201], v[202:203], v[210:211]
	s_waitcnt vmcnt(28)
	v_add_f64 v[110:111], v[110:111], -v[200:201]
	ds_read2_b64 v[200:203], v212 offset0:46 offset1:47
	v_add_f64 v[108:109], v[108:109], -v[116:117]
	s_waitcnt lgkmcnt(1)
	v_mul_f64 v[116:117], v[218:219], v[118:119]
	v_fma_f64 v[116:117], v[216:217], v[210:211], -v[116:117]
	v_mul_f64 v[216:217], v[216:217], v[118:119]
	v_fmac_f64_e32 v[216:217], v[218:219], v[210:211]
	s_waitcnt vmcnt(27)
	v_add_f64 v[104:105], v[104:105], -v[116:117]
	s_waitcnt lgkmcnt(0)
	v_mul_f64 v[116:117], v[202:203], v[118:119]
	v_add_f64 v[106:107], v[106:107], -v[216:217]
	v_fma_f64 v[116:117], v[200:201], v[210:211], -v[116:117]
	v_mul_f64 v[200:201], v[200:201], v[118:119]
	ds_read2_b64 v[216:219], v212 offset0:48 offset1:49
	v_fmac_f64_e32 v[200:201], v[202:203], v[210:211]
	s_waitcnt vmcnt(26)
	v_add_f64 v[102:103], v[102:103], -v[200:201]
	ds_read2_b64 v[200:203], v212 offset0:50 offset1:51
	v_add_f64 v[100:101], v[100:101], -v[116:117]
	;; [unrolled: 18-line block ×14, first 2 shown]
	s_waitcnt lgkmcnt(1)
	v_mul_f64 v[116:117], v[218:219], v[118:119]
	v_fma_f64 v[116:117], v[216:217], v[210:211], -v[116:117]
	s_waitcnt vmcnt(1)
	v_add_f64 v[0:1], v[0:1], -v[116:117]
	s_waitcnt lgkmcnt(0)
	v_mul_f64 v[116:117], v[202:203], v[118:119]
	v_mul_f64 v[216:217], v[216:217], v[118:119]
	v_fma_f64 v[116:117], v[200:201], v[210:211], -v[116:117]
	v_mul_f64 v[200:201], v[200:201], v[118:119]
	v_fmac_f64_e32 v[216:217], v[218:219], v[210:211]
	v_fmac_f64_e32 v[200:201], v[202:203], v[210:211]
	v_add_f64 v[2:3], v[2:3], -v[216:217]
	s_waitcnt vmcnt(0)
	v_add_f64 v[196:197], v[196:197], -v[116:117]
	v_add_f64 v[198:199], v[198:199], -v[200:201]
	v_mov_b64_e32 v[116:117], v[210:211]
.LBB98_419:
	s_or_b64 exec, exec, s[0:1]
	v_lshl_add_u32 v200, v213, 4, v212
	s_barrier
	s_waitcnt vmcnt(29)
	ds_write2_b64 v200, v[112:113], v[114:115] offset1:1
	s_waitcnt lgkmcnt(0)
	s_barrier
	ds_read2_b64 v[200:203], v212 offset0:40 offset1:41
	s_cmp_lt_i32 s20, 22
	v_mov_b32_e32 v210, 20
	s_cbranch_scc1 .LBB98_422
; %bb.420:
	v_add_u32_e32 v211, 0x150, v212
	s_mov_b32 s16, 21
	v_mov_b32_e32 v210, 20
.LBB98_421:                             ; =>This Inner Loop Header: Depth=1
	ds_read2_b64 v[216:219], v211 offset1:1
	s_waitcnt lgkmcnt(1)
	v_xor_b32_e32 v221, 0x80000000, v201
	v_xor_b32_e32 v223, 0x80000000, v203
	v_cmp_gt_f64_e32 vcc, 0, v[202:203]
	v_cmp_gt_f64_e64 s[0:1], 0, v[200:201]
	v_mov_b32_e32 v220, v200
	v_mov_b32_e32 v222, v202
	v_cndmask_b32_e64 v221, v201, v221, s[0:1]
	v_cndmask_b32_e32 v223, v203, v223, vcc
	v_add_f64 v[220:221], v[220:221], v[222:223]
	s_waitcnt lgkmcnt(0)
	v_xor_b32_e32 v223, 0x80000000, v217
	v_xor_b32_e32 v225, 0x80000000, v219
	v_cmp_gt_f64_e32 vcc, 0, v[218:219]
	v_cmp_gt_f64_e64 s[0:1], 0, v[216:217]
	v_mov_b32_e32 v222, v216
	v_mov_b32_e32 v224, v218
	v_cndmask_b32_e64 v223, v217, v223, s[0:1]
	v_cndmask_b32_e32 v225, v219, v225, vcc
	v_add_f64 v[222:223], v[222:223], v[224:225]
	v_mov_b32_e32 v226, s16
	s_add_i32 s16, s16, 1
	v_cmp_lt_f64_e32 vcc, v[220:221], v[222:223]
	v_add_u32_e32 v211, 16, v211
	s_cmp_lg_u32 s20, s16
	v_cndmask_b32_e32 v201, v201, v217, vcc
	v_cndmask_b32_e32 v200, v200, v216, vcc
	;; [unrolled: 1-line block ×5, first 2 shown]
	s_cbranch_scc1 .LBB98_421
.LBB98_422:
	s_waitcnt lgkmcnt(0)
	v_cmp_eq_f64_e32 vcc, 0, v[200:201]
	v_cmp_eq_f64_e64 s[0:1], 0, v[202:203]
	s_and_b64 s[0:1], vcc, s[0:1]
	s_and_saveexec_b64 s[16:17], s[0:1]
	s_xor_b64 s[0:1], exec, s[16:17]
; %bb.423:
	v_cmp_ne_u32_e32 vcc, 0, v214
	s_nop 1
	v_cndmask_b32_e32 v214, 21, v214, vcc
; %bb.424:
	s_andn2_saveexec_b64 s[0:1], s[0:1]
	s_cbranch_execz .LBB98_430
; %bb.425:
	v_cmp_ngt_f64_e64 s[16:17], |v[200:201]|, |v[202:203]|
	s_and_saveexec_b64 s[18:19], s[16:17]
	s_xor_b64 s[16:17], exec, s[18:19]
	s_cbranch_execz .LBB98_427
; %bb.426:
	v_div_scale_f64 v[216:217], s[18:19], v[202:203], v[202:203], v[200:201]
	v_rcp_f64_e32 v[218:219], v[216:217]
	v_div_scale_f64 v[220:221], vcc, v[200:201], v[202:203], v[200:201]
	v_fma_f64 v[222:223], -v[216:217], v[218:219], 1.0
	v_fmac_f64_e32 v[218:219], v[218:219], v[222:223]
	v_fma_f64 v[222:223], -v[216:217], v[218:219], 1.0
	v_fmac_f64_e32 v[218:219], v[218:219], v[222:223]
	v_mul_f64 v[222:223], v[220:221], v[218:219]
	v_fma_f64 v[216:217], -v[216:217], v[222:223], v[220:221]
	v_div_fmas_f64 v[216:217], v[216:217], v[218:219], v[222:223]
	v_div_fixup_f64 v[216:217], v[216:217], v[202:203], v[200:201]
	v_fmac_f64_e32 v[202:203], v[200:201], v[216:217]
	v_div_scale_f64 v[200:201], s[18:19], v[202:203], v[202:203], 1.0
	v_rcp_f64_e32 v[218:219], v[200:201]
	s_nop 0
	v_fma_f64 v[220:221], -v[200:201], v[218:219], 1.0
	v_fmac_f64_e32 v[218:219], v[218:219], v[220:221]
	v_fma_f64 v[220:221], -v[200:201], v[218:219], 1.0
	v_fmac_f64_e32 v[218:219], v[218:219], v[220:221]
	v_div_scale_f64 v[220:221], vcc, 1.0, v[202:203], 1.0
	v_mul_f64 v[222:223], v[220:221], v[218:219]
	v_fma_f64 v[200:201], -v[200:201], v[222:223], v[220:221]
	s_nop 1
	v_div_fmas_f64 v[200:201], v[200:201], v[218:219], v[222:223]
	v_div_fixup_f64 v[202:203], v[200:201], v[202:203], 1.0
	v_mul_f64 v[200:201], v[216:217], v[202:203]
	v_xor_b32_e32 v203, 0x80000000, v203
.LBB98_427:
	s_andn2_saveexec_b64 s[16:17], s[16:17]
	s_cbranch_execz .LBB98_429
; %bb.428:
	v_div_scale_f64 v[216:217], s[18:19], v[200:201], v[200:201], v[202:203]
	v_rcp_f64_e32 v[218:219], v[216:217]
	v_div_scale_f64 v[220:221], vcc, v[202:203], v[200:201], v[202:203]
	v_fma_f64 v[222:223], -v[216:217], v[218:219], 1.0
	v_fmac_f64_e32 v[218:219], v[218:219], v[222:223]
	v_fma_f64 v[222:223], -v[216:217], v[218:219], 1.0
	v_fmac_f64_e32 v[218:219], v[218:219], v[222:223]
	v_mul_f64 v[222:223], v[220:221], v[218:219]
	v_fma_f64 v[216:217], -v[216:217], v[222:223], v[220:221]
	v_div_fmas_f64 v[216:217], v[216:217], v[218:219], v[222:223]
	v_div_fixup_f64 v[216:217], v[216:217], v[200:201], v[202:203]
	v_fmac_f64_e32 v[200:201], v[202:203], v[216:217]
	v_div_scale_f64 v[202:203], s[18:19], v[200:201], v[200:201], 1.0
	v_rcp_f64_e32 v[218:219], v[202:203]
	s_nop 0
	v_fma_f64 v[220:221], -v[202:203], v[218:219], 1.0
	v_fmac_f64_e32 v[218:219], v[218:219], v[220:221]
	v_fma_f64 v[220:221], -v[202:203], v[218:219], 1.0
	v_fmac_f64_e32 v[218:219], v[218:219], v[220:221]
	v_div_scale_f64 v[220:221], vcc, 1.0, v[200:201], 1.0
	v_mul_f64 v[222:223], v[220:221], v[218:219]
	v_fma_f64 v[202:203], -v[202:203], v[222:223], v[220:221]
	s_nop 1
	v_div_fmas_f64 v[202:203], v[202:203], v[218:219], v[222:223]
	v_div_fixup_f64 v[200:201], v[202:203], v[200:201], 1.0
	v_mul_f64 v[202:203], v[216:217], -v[200:201]
.LBB98_429:
	s_or_b64 exec, exec, s[16:17]
.LBB98_430:
	s_or_b64 exec, exec, s[0:1]
	v_cmp_ne_u32_e32 vcc, v213, v210
	s_and_saveexec_b64 s[0:1], vcc
	s_xor_b64 s[0:1], exec, s[0:1]
	s_cbranch_execz .LBB98_436
; %bb.431:
	v_cmp_eq_u32_e32 vcc, 20, v213
	s_and_saveexec_b64 s[16:17], vcc
	s_cbranch_execz .LBB98_435
; %bb.432:
	v_cmp_ne_u32_e32 vcc, 20, v210
	s_xor_b64 s[18:19], s[14:15], -1
	s_and_b64 s[22:23], s[18:19], vcc
	s_and_saveexec_b64 s[18:19], s[22:23]
	s_cbranch_execz .LBB98_434
; %bb.433:
	v_ashrrev_i32_e32 v211, 31, v210
	v_lshl_add_u64 v[216:217], v[210:211], 2, v[208:209]
	global_load_dword v211, v[216:217], off
	global_load_dword v213, v[208:209], off offset:80
	s_waitcnt vmcnt(1)
	global_store_dword v[208:209], v211, off offset:80
	s_waitcnt vmcnt(1)
	global_store_dword v[216:217], v213, off
.LBB98_434:
	s_or_b64 exec, exec, s[18:19]
	v_mov_b32_e32 v213, v210
	v_mov_b32_e32 v215, v210
.LBB98_435:
	s_or_b64 exec, exec, s[16:17]
.LBB98_436:
	s_andn2_saveexec_b64 s[0:1], s[0:1]
	s_cbranch_execz .LBB98_438
; %bb.437:
	v_mov_b32_e32 v213, 20
	s_waitcnt vmcnt(28)
	ds_write2_b64 v212, v[108:109], v[110:111] offset0:42 offset1:43
	s_waitcnt vmcnt(27)
	ds_write2_b64 v212, v[104:105], v[106:107] offset0:44 offset1:45
	;; [unrolled: 2-line block ×29, first 2 shown]
.LBB98_438:
	s_or_b64 exec, exec, s[0:1]
	v_cmp_lt_i32_e32 vcc, 20, v213
	s_waitcnt lgkmcnt(0)
	s_barrier
	s_and_saveexec_b64 s[0:1], vcc
	s_cbranch_execz .LBB98_440
; %bb.439:
	ds_read2_b64 v[216:219], v212 offset0:42 offset1:43
	v_mul_f64 v[210:211], v[202:203], v[114:115]
	v_mul_f64 v[114:115], v[200:201], v[114:115]
	v_fmac_f64_e32 v[114:115], v[202:203], v[112:113]
	v_fma_f64 v[210:211], v[200:201], v[112:113], -v[210:211]
	ds_read2_b64 v[200:203], v212 offset0:44 offset1:45
	s_waitcnt lgkmcnt(1)
	v_mul_f64 v[112:113], v[218:219], v[114:115]
	v_fma_f64 v[112:113], v[216:217], v[210:211], -v[112:113]
	v_mul_f64 v[216:217], v[216:217], v[114:115]
	v_fmac_f64_e32 v[216:217], v[218:219], v[210:211]
	s_waitcnt vmcnt(28)
	v_add_f64 v[110:111], v[110:111], -v[216:217]
	ds_read2_b64 v[216:219], v212 offset0:46 offset1:47
	v_add_f64 v[108:109], v[108:109], -v[112:113]
	s_waitcnt lgkmcnt(1)
	v_mul_f64 v[112:113], v[202:203], v[114:115]
	v_fma_f64 v[112:113], v[200:201], v[210:211], -v[112:113]
	v_mul_f64 v[200:201], v[200:201], v[114:115]
	v_fmac_f64_e32 v[200:201], v[202:203], v[210:211]
	s_waitcnt vmcnt(27)
	v_add_f64 v[104:105], v[104:105], -v[112:113]
	v_add_f64 v[106:107], v[106:107], -v[200:201]
	ds_read2_b64 v[200:203], v212 offset0:48 offset1:49
	s_waitcnt lgkmcnt(1)
	v_mul_f64 v[112:113], v[218:219], v[114:115]
	v_fma_f64 v[112:113], v[216:217], v[210:211], -v[112:113]
	v_mul_f64 v[216:217], v[216:217], v[114:115]
	v_fmac_f64_e32 v[216:217], v[218:219], v[210:211]
	s_waitcnt vmcnt(26)
	v_add_f64 v[102:103], v[102:103], -v[216:217]
	ds_read2_b64 v[216:219], v212 offset0:50 offset1:51
	v_add_f64 v[100:101], v[100:101], -v[112:113]
	s_waitcnt lgkmcnt(1)
	v_mul_f64 v[112:113], v[202:203], v[114:115]
	v_fma_f64 v[112:113], v[200:201], v[210:211], -v[112:113]
	v_mul_f64 v[200:201], v[200:201], v[114:115]
	v_fmac_f64_e32 v[200:201], v[202:203], v[210:211]
	s_waitcnt vmcnt(25)
	v_add_f64 v[96:97], v[96:97], -v[112:113]
	v_add_f64 v[98:99], v[98:99], -v[200:201]
	ds_read2_b64 v[200:203], v212 offset0:52 offset1:53
	s_waitcnt lgkmcnt(1)
	v_mul_f64 v[112:113], v[218:219], v[114:115]
	v_fma_f64 v[112:113], v[216:217], v[210:211], -v[112:113]
	v_mul_f64 v[216:217], v[216:217], v[114:115]
	v_fmac_f64_e32 v[216:217], v[218:219], v[210:211]
	s_waitcnt vmcnt(24)
	v_add_f64 v[94:95], v[94:95], -v[216:217]
	ds_read2_b64 v[216:219], v212 offset0:54 offset1:55
	v_add_f64 v[92:93], v[92:93], -v[112:113]
	s_waitcnt lgkmcnt(1)
	v_mul_f64 v[112:113], v[202:203], v[114:115]
	v_fma_f64 v[112:113], v[200:201], v[210:211], -v[112:113]
	v_mul_f64 v[200:201], v[200:201], v[114:115]
	v_fmac_f64_e32 v[200:201], v[202:203], v[210:211]
	s_waitcnt vmcnt(23)
	v_add_f64 v[88:89], v[88:89], -v[112:113]
	v_add_f64 v[90:91], v[90:91], -v[200:201]
	ds_read2_b64 v[200:203], v212 offset0:56 offset1:57
	s_waitcnt lgkmcnt(1)
	v_mul_f64 v[112:113], v[218:219], v[114:115]
	v_fma_f64 v[112:113], v[216:217], v[210:211], -v[112:113]
	v_mul_f64 v[216:217], v[216:217], v[114:115]
	v_fmac_f64_e32 v[216:217], v[218:219], v[210:211]
	s_waitcnt vmcnt(22)
	v_add_f64 v[86:87], v[86:87], -v[216:217]
	ds_read2_b64 v[216:219], v212 offset0:58 offset1:59
	v_add_f64 v[84:85], v[84:85], -v[112:113]
	s_waitcnt lgkmcnt(1)
	v_mul_f64 v[112:113], v[202:203], v[114:115]
	v_fma_f64 v[112:113], v[200:201], v[210:211], -v[112:113]
	v_mul_f64 v[200:201], v[200:201], v[114:115]
	v_fmac_f64_e32 v[200:201], v[202:203], v[210:211]
	s_waitcnt vmcnt(21)
	v_add_f64 v[80:81], v[80:81], -v[112:113]
	v_add_f64 v[82:83], v[82:83], -v[200:201]
	ds_read2_b64 v[200:203], v212 offset0:60 offset1:61
	s_waitcnt lgkmcnt(1)
	v_mul_f64 v[112:113], v[218:219], v[114:115]
	v_fma_f64 v[112:113], v[216:217], v[210:211], -v[112:113]
	v_mul_f64 v[216:217], v[216:217], v[114:115]
	v_fmac_f64_e32 v[216:217], v[218:219], v[210:211]
	s_waitcnt vmcnt(20)
	v_add_f64 v[78:79], v[78:79], -v[216:217]
	ds_read2_b64 v[216:219], v212 offset0:62 offset1:63
	v_add_f64 v[76:77], v[76:77], -v[112:113]
	s_waitcnt lgkmcnt(1)
	v_mul_f64 v[112:113], v[202:203], v[114:115]
	v_fma_f64 v[112:113], v[200:201], v[210:211], -v[112:113]
	v_mul_f64 v[200:201], v[200:201], v[114:115]
	v_fmac_f64_e32 v[200:201], v[202:203], v[210:211]
	s_waitcnt vmcnt(19)
	v_add_f64 v[72:73], v[72:73], -v[112:113]
	v_add_f64 v[74:75], v[74:75], -v[200:201]
	ds_read2_b64 v[200:203], v212 offset0:64 offset1:65
	s_waitcnt lgkmcnt(1)
	v_mul_f64 v[112:113], v[218:219], v[114:115]
	v_fma_f64 v[112:113], v[216:217], v[210:211], -v[112:113]
	v_mul_f64 v[216:217], v[216:217], v[114:115]
	v_fmac_f64_e32 v[216:217], v[218:219], v[210:211]
	s_waitcnt vmcnt(18)
	v_add_f64 v[70:71], v[70:71], -v[216:217]
	ds_read2_b64 v[216:219], v212 offset0:66 offset1:67
	v_add_f64 v[68:69], v[68:69], -v[112:113]
	s_waitcnt lgkmcnt(1)
	v_mul_f64 v[112:113], v[202:203], v[114:115]
	v_fma_f64 v[112:113], v[200:201], v[210:211], -v[112:113]
	v_mul_f64 v[200:201], v[200:201], v[114:115]
	v_fmac_f64_e32 v[200:201], v[202:203], v[210:211]
	s_waitcnt vmcnt(17)
	v_add_f64 v[64:65], v[64:65], -v[112:113]
	v_add_f64 v[66:67], v[66:67], -v[200:201]
	ds_read2_b64 v[200:203], v212 offset0:68 offset1:69
	s_waitcnt lgkmcnt(1)
	v_mul_f64 v[112:113], v[218:219], v[114:115]
	v_fma_f64 v[112:113], v[216:217], v[210:211], -v[112:113]
	v_mul_f64 v[216:217], v[216:217], v[114:115]
	v_fmac_f64_e32 v[216:217], v[218:219], v[210:211]
	s_waitcnt vmcnt(16)
	v_add_f64 v[62:63], v[62:63], -v[216:217]
	ds_read2_b64 v[216:219], v212 offset0:70 offset1:71
	v_add_f64 v[60:61], v[60:61], -v[112:113]
	s_waitcnt lgkmcnt(1)
	v_mul_f64 v[112:113], v[202:203], v[114:115]
	v_fma_f64 v[112:113], v[200:201], v[210:211], -v[112:113]
	v_mul_f64 v[200:201], v[200:201], v[114:115]
	v_fmac_f64_e32 v[200:201], v[202:203], v[210:211]
	s_waitcnt vmcnt(15)
	v_add_f64 v[56:57], v[56:57], -v[112:113]
	v_add_f64 v[58:59], v[58:59], -v[200:201]
	ds_read2_b64 v[200:203], v212 offset0:72 offset1:73
	s_waitcnt lgkmcnt(1)
	v_mul_f64 v[112:113], v[218:219], v[114:115]
	v_fma_f64 v[112:113], v[216:217], v[210:211], -v[112:113]
	v_mul_f64 v[216:217], v[216:217], v[114:115]
	v_fmac_f64_e32 v[216:217], v[218:219], v[210:211]
	s_waitcnt vmcnt(14)
	v_add_f64 v[54:55], v[54:55], -v[216:217]
	ds_read2_b64 v[216:219], v212 offset0:74 offset1:75
	v_add_f64 v[52:53], v[52:53], -v[112:113]
	s_waitcnt lgkmcnt(1)
	v_mul_f64 v[112:113], v[202:203], v[114:115]
	v_fma_f64 v[112:113], v[200:201], v[210:211], -v[112:113]
	v_mul_f64 v[200:201], v[200:201], v[114:115]
	v_fmac_f64_e32 v[200:201], v[202:203], v[210:211]
	s_waitcnt vmcnt(13)
	v_add_f64 v[48:49], v[48:49], -v[112:113]
	v_add_f64 v[50:51], v[50:51], -v[200:201]
	ds_read2_b64 v[200:203], v212 offset0:76 offset1:77
	s_waitcnt lgkmcnt(1)
	v_mul_f64 v[112:113], v[218:219], v[114:115]
	v_fma_f64 v[112:113], v[216:217], v[210:211], -v[112:113]
	v_mul_f64 v[216:217], v[216:217], v[114:115]
	v_fmac_f64_e32 v[216:217], v[218:219], v[210:211]
	s_waitcnt vmcnt(12)
	v_add_f64 v[46:47], v[46:47], -v[216:217]
	ds_read2_b64 v[216:219], v212 offset0:78 offset1:79
	v_add_f64 v[44:45], v[44:45], -v[112:113]
	s_waitcnt lgkmcnt(1)
	v_mul_f64 v[112:113], v[202:203], v[114:115]
	v_fma_f64 v[112:113], v[200:201], v[210:211], -v[112:113]
	v_mul_f64 v[200:201], v[200:201], v[114:115]
	v_fmac_f64_e32 v[200:201], v[202:203], v[210:211]
	s_waitcnt vmcnt(11)
	v_add_f64 v[40:41], v[40:41], -v[112:113]
	v_add_f64 v[42:43], v[42:43], -v[200:201]
	ds_read2_b64 v[200:203], v212 offset0:80 offset1:81
	s_waitcnt lgkmcnt(1)
	v_mul_f64 v[112:113], v[218:219], v[114:115]
	v_fma_f64 v[112:113], v[216:217], v[210:211], -v[112:113]
	v_mul_f64 v[216:217], v[216:217], v[114:115]
	v_fmac_f64_e32 v[216:217], v[218:219], v[210:211]
	s_waitcnt vmcnt(10)
	v_add_f64 v[38:39], v[38:39], -v[216:217]
	ds_read2_b64 v[216:219], v212 offset0:82 offset1:83
	v_add_f64 v[36:37], v[36:37], -v[112:113]
	s_waitcnt lgkmcnt(1)
	v_mul_f64 v[112:113], v[202:203], v[114:115]
	v_fma_f64 v[112:113], v[200:201], v[210:211], -v[112:113]
	v_mul_f64 v[200:201], v[200:201], v[114:115]
	v_fmac_f64_e32 v[200:201], v[202:203], v[210:211]
	s_waitcnt vmcnt(9)
	v_add_f64 v[32:33], v[32:33], -v[112:113]
	v_add_f64 v[34:35], v[34:35], -v[200:201]
	ds_read2_b64 v[200:203], v212 offset0:84 offset1:85
	s_waitcnt lgkmcnt(1)
	v_mul_f64 v[112:113], v[218:219], v[114:115]
	v_fma_f64 v[112:113], v[216:217], v[210:211], -v[112:113]
	v_mul_f64 v[216:217], v[216:217], v[114:115]
	v_fmac_f64_e32 v[216:217], v[218:219], v[210:211]
	s_waitcnt vmcnt(8)
	v_add_f64 v[30:31], v[30:31], -v[216:217]
	ds_read2_b64 v[216:219], v212 offset0:86 offset1:87
	v_add_f64 v[28:29], v[28:29], -v[112:113]
	s_waitcnt lgkmcnt(1)
	v_mul_f64 v[112:113], v[202:203], v[114:115]
	v_fma_f64 v[112:113], v[200:201], v[210:211], -v[112:113]
	v_mul_f64 v[200:201], v[200:201], v[114:115]
	v_fmac_f64_e32 v[200:201], v[202:203], v[210:211]
	s_waitcnt vmcnt(7)
	v_add_f64 v[24:25], v[24:25], -v[112:113]
	v_add_f64 v[26:27], v[26:27], -v[200:201]
	ds_read2_b64 v[200:203], v212 offset0:88 offset1:89
	s_waitcnt lgkmcnt(1)
	v_mul_f64 v[112:113], v[218:219], v[114:115]
	v_fma_f64 v[112:113], v[216:217], v[210:211], -v[112:113]
	v_mul_f64 v[216:217], v[216:217], v[114:115]
	v_fmac_f64_e32 v[216:217], v[218:219], v[210:211]
	s_waitcnt vmcnt(6)
	v_add_f64 v[22:23], v[22:23], -v[216:217]
	ds_read2_b64 v[216:219], v212 offset0:90 offset1:91
	v_add_f64 v[20:21], v[20:21], -v[112:113]
	s_waitcnt lgkmcnt(1)
	v_mul_f64 v[112:113], v[202:203], v[114:115]
	v_fma_f64 v[112:113], v[200:201], v[210:211], -v[112:113]
	v_mul_f64 v[200:201], v[200:201], v[114:115]
	v_fmac_f64_e32 v[200:201], v[202:203], v[210:211]
	s_waitcnt vmcnt(5)
	v_add_f64 v[16:17], v[16:17], -v[112:113]
	v_add_f64 v[18:19], v[18:19], -v[200:201]
	ds_read2_b64 v[200:203], v212 offset0:92 offset1:93
	s_waitcnt lgkmcnt(1)
	v_mul_f64 v[112:113], v[218:219], v[114:115]
	v_fma_f64 v[112:113], v[216:217], v[210:211], -v[112:113]
	v_mul_f64 v[216:217], v[216:217], v[114:115]
	v_fmac_f64_e32 v[216:217], v[218:219], v[210:211]
	s_waitcnt vmcnt(4)
	v_add_f64 v[14:15], v[14:15], -v[216:217]
	ds_read2_b64 v[216:219], v212 offset0:94 offset1:95
	v_add_f64 v[12:13], v[12:13], -v[112:113]
	s_waitcnt lgkmcnt(1)
	v_mul_f64 v[112:113], v[202:203], v[114:115]
	v_fma_f64 v[112:113], v[200:201], v[210:211], -v[112:113]
	v_mul_f64 v[200:201], v[200:201], v[114:115]
	v_fmac_f64_e32 v[200:201], v[202:203], v[210:211]
	s_waitcnt vmcnt(3)
	v_add_f64 v[8:9], v[8:9], -v[112:113]
	v_add_f64 v[10:11], v[10:11], -v[200:201]
	ds_read2_b64 v[200:203], v212 offset0:96 offset1:97
	s_waitcnt lgkmcnt(1)
	v_mul_f64 v[112:113], v[218:219], v[114:115]
	v_fma_f64 v[112:113], v[216:217], v[210:211], -v[112:113]
	v_mul_f64 v[216:217], v[216:217], v[114:115]
	v_fmac_f64_e32 v[216:217], v[218:219], v[210:211]
	s_waitcnt vmcnt(2)
	v_add_f64 v[6:7], v[6:7], -v[216:217]
	ds_read2_b64 v[216:219], v212 offset0:98 offset1:99
	v_add_f64 v[4:5], v[4:5], -v[112:113]
	s_waitcnt lgkmcnt(1)
	v_mul_f64 v[112:113], v[202:203], v[114:115]
	v_fma_f64 v[112:113], v[200:201], v[210:211], -v[112:113]
	v_mul_f64 v[200:201], v[200:201], v[114:115]
	v_fmac_f64_e32 v[200:201], v[202:203], v[210:211]
	s_waitcnt vmcnt(1)
	v_add_f64 v[0:1], v[0:1], -v[112:113]
	v_add_f64 v[2:3], v[2:3], -v[200:201]
	s_waitcnt lgkmcnt(0)
	v_mul_f64 v[112:113], v[218:219], v[114:115]
	v_mul_f64 v[200:201], v[216:217], v[114:115]
	v_fma_f64 v[112:113], v[216:217], v[210:211], -v[112:113]
	v_fmac_f64_e32 v[200:201], v[218:219], v[210:211]
	s_waitcnt vmcnt(0)
	v_add_f64 v[196:197], v[196:197], -v[112:113]
	v_add_f64 v[198:199], v[198:199], -v[200:201]
	v_mov_b64_e32 v[112:113], v[210:211]
.LBB98_440:
	s_or_b64 exec, exec, s[0:1]
	v_lshl_add_u32 v200, v213, 4, v212
	s_barrier
	s_waitcnt vmcnt(28)
	ds_write2_b64 v200, v[108:109], v[110:111] offset1:1
	s_waitcnt lgkmcnt(0)
	s_barrier
	ds_read2_b64 v[200:203], v212 offset0:42 offset1:43
	s_cmp_lt_i32 s20, 23
	v_mov_b32_e32 v210, 21
	s_cbranch_scc1 .LBB98_443
; %bb.441:
	v_add_u32_e32 v211, 0x160, v212
	s_mov_b32 s16, 22
	v_mov_b32_e32 v210, 21
.LBB98_442:                             ; =>This Inner Loop Header: Depth=1
	ds_read2_b64 v[216:219], v211 offset1:1
	s_waitcnt lgkmcnt(1)
	v_xor_b32_e32 v221, 0x80000000, v201
	v_xor_b32_e32 v223, 0x80000000, v203
	v_cmp_gt_f64_e32 vcc, 0, v[202:203]
	v_cmp_gt_f64_e64 s[0:1], 0, v[200:201]
	v_mov_b32_e32 v220, v200
	v_mov_b32_e32 v222, v202
	v_cndmask_b32_e64 v221, v201, v221, s[0:1]
	v_cndmask_b32_e32 v223, v203, v223, vcc
	v_add_f64 v[220:221], v[220:221], v[222:223]
	s_waitcnt lgkmcnt(0)
	v_xor_b32_e32 v223, 0x80000000, v217
	v_xor_b32_e32 v225, 0x80000000, v219
	v_cmp_gt_f64_e32 vcc, 0, v[218:219]
	v_cmp_gt_f64_e64 s[0:1], 0, v[216:217]
	v_mov_b32_e32 v222, v216
	v_mov_b32_e32 v224, v218
	v_cndmask_b32_e64 v223, v217, v223, s[0:1]
	v_cndmask_b32_e32 v225, v219, v225, vcc
	v_add_f64 v[222:223], v[222:223], v[224:225]
	v_mov_b32_e32 v226, s16
	s_add_i32 s16, s16, 1
	v_cmp_lt_f64_e32 vcc, v[220:221], v[222:223]
	v_add_u32_e32 v211, 16, v211
	s_cmp_lg_u32 s20, s16
	v_cndmask_b32_e32 v201, v201, v217, vcc
	v_cndmask_b32_e32 v200, v200, v216, vcc
	;; [unrolled: 1-line block ×5, first 2 shown]
	s_cbranch_scc1 .LBB98_442
.LBB98_443:
	s_waitcnt lgkmcnt(0)
	v_cmp_eq_f64_e32 vcc, 0, v[200:201]
	v_cmp_eq_f64_e64 s[0:1], 0, v[202:203]
	s_and_b64 s[0:1], vcc, s[0:1]
	s_and_saveexec_b64 s[16:17], s[0:1]
	s_xor_b64 s[0:1], exec, s[16:17]
; %bb.444:
	v_cmp_ne_u32_e32 vcc, 0, v214
	s_nop 1
	v_cndmask_b32_e32 v214, 22, v214, vcc
; %bb.445:
	s_andn2_saveexec_b64 s[0:1], s[0:1]
	s_cbranch_execz .LBB98_451
; %bb.446:
	v_cmp_ngt_f64_e64 s[16:17], |v[200:201]|, |v[202:203]|
	s_and_saveexec_b64 s[18:19], s[16:17]
	s_xor_b64 s[16:17], exec, s[18:19]
	s_cbranch_execz .LBB98_448
; %bb.447:
	v_div_scale_f64 v[216:217], s[18:19], v[202:203], v[202:203], v[200:201]
	v_rcp_f64_e32 v[218:219], v[216:217]
	v_div_scale_f64 v[220:221], vcc, v[200:201], v[202:203], v[200:201]
	v_fma_f64 v[222:223], -v[216:217], v[218:219], 1.0
	v_fmac_f64_e32 v[218:219], v[218:219], v[222:223]
	v_fma_f64 v[222:223], -v[216:217], v[218:219], 1.0
	v_fmac_f64_e32 v[218:219], v[218:219], v[222:223]
	v_mul_f64 v[222:223], v[220:221], v[218:219]
	v_fma_f64 v[216:217], -v[216:217], v[222:223], v[220:221]
	v_div_fmas_f64 v[216:217], v[216:217], v[218:219], v[222:223]
	v_div_fixup_f64 v[216:217], v[216:217], v[202:203], v[200:201]
	v_fmac_f64_e32 v[202:203], v[200:201], v[216:217]
	v_div_scale_f64 v[200:201], s[18:19], v[202:203], v[202:203], 1.0
	v_rcp_f64_e32 v[218:219], v[200:201]
	s_nop 0
	v_fma_f64 v[220:221], -v[200:201], v[218:219], 1.0
	v_fmac_f64_e32 v[218:219], v[218:219], v[220:221]
	v_fma_f64 v[220:221], -v[200:201], v[218:219], 1.0
	v_fmac_f64_e32 v[218:219], v[218:219], v[220:221]
	v_div_scale_f64 v[220:221], vcc, 1.0, v[202:203], 1.0
	v_mul_f64 v[222:223], v[220:221], v[218:219]
	v_fma_f64 v[200:201], -v[200:201], v[222:223], v[220:221]
	s_nop 1
	v_div_fmas_f64 v[200:201], v[200:201], v[218:219], v[222:223]
	v_div_fixup_f64 v[202:203], v[200:201], v[202:203], 1.0
	v_mul_f64 v[200:201], v[216:217], v[202:203]
	v_xor_b32_e32 v203, 0x80000000, v203
.LBB98_448:
	s_andn2_saveexec_b64 s[16:17], s[16:17]
	s_cbranch_execz .LBB98_450
; %bb.449:
	v_div_scale_f64 v[216:217], s[18:19], v[200:201], v[200:201], v[202:203]
	v_rcp_f64_e32 v[218:219], v[216:217]
	v_div_scale_f64 v[220:221], vcc, v[202:203], v[200:201], v[202:203]
	v_fma_f64 v[222:223], -v[216:217], v[218:219], 1.0
	v_fmac_f64_e32 v[218:219], v[218:219], v[222:223]
	v_fma_f64 v[222:223], -v[216:217], v[218:219], 1.0
	v_fmac_f64_e32 v[218:219], v[218:219], v[222:223]
	v_mul_f64 v[222:223], v[220:221], v[218:219]
	v_fma_f64 v[216:217], -v[216:217], v[222:223], v[220:221]
	v_div_fmas_f64 v[216:217], v[216:217], v[218:219], v[222:223]
	v_div_fixup_f64 v[216:217], v[216:217], v[200:201], v[202:203]
	v_fmac_f64_e32 v[200:201], v[202:203], v[216:217]
	v_div_scale_f64 v[202:203], s[18:19], v[200:201], v[200:201], 1.0
	v_rcp_f64_e32 v[218:219], v[202:203]
	s_nop 0
	v_fma_f64 v[220:221], -v[202:203], v[218:219], 1.0
	v_fmac_f64_e32 v[218:219], v[218:219], v[220:221]
	v_fma_f64 v[220:221], -v[202:203], v[218:219], 1.0
	v_fmac_f64_e32 v[218:219], v[218:219], v[220:221]
	v_div_scale_f64 v[220:221], vcc, 1.0, v[200:201], 1.0
	v_mul_f64 v[222:223], v[220:221], v[218:219]
	v_fma_f64 v[202:203], -v[202:203], v[222:223], v[220:221]
	s_nop 1
	v_div_fmas_f64 v[202:203], v[202:203], v[218:219], v[222:223]
	v_div_fixup_f64 v[200:201], v[202:203], v[200:201], 1.0
	v_mul_f64 v[202:203], v[216:217], -v[200:201]
.LBB98_450:
	s_or_b64 exec, exec, s[16:17]
.LBB98_451:
	s_or_b64 exec, exec, s[0:1]
	v_cmp_ne_u32_e32 vcc, v213, v210
	s_and_saveexec_b64 s[0:1], vcc
	s_xor_b64 s[0:1], exec, s[0:1]
	s_cbranch_execz .LBB98_457
; %bb.452:
	v_cmp_eq_u32_e32 vcc, 21, v213
	s_and_saveexec_b64 s[16:17], vcc
	s_cbranch_execz .LBB98_456
; %bb.453:
	v_cmp_ne_u32_e32 vcc, 21, v210
	s_xor_b64 s[18:19], s[14:15], -1
	s_and_b64 s[22:23], s[18:19], vcc
	s_and_saveexec_b64 s[18:19], s[22:23]
	s_cbranch_execz .LBB98_455
; %bb.454:
	v_ashrrev_i32_e32 v211, 31, v210
	v_lshl_add_u64 v[216:217], v[210:211], 2, v[208:209]
	global_load_dword v211, v[216:217], off
	global_load_dword v213, v[208:209], off offset:84
	s_waitcnt vmcnt(1)
	global_store_dword v[208:209], v211, off offset:84
	s_waitcnt vmcnt(1)
	global_store_dword v[216:217], v213, off
.LBB98_455:
	s_or_b64 exec, exec, s[18:19]
	v_mov_b32_e32 v213, v210
	v_mov_b32_e32 v215, v210
.LBB98_456:
	s_or_b64 exec, exec, s[16:17]
.LBB98_457:
	s_andn2_saveexec_b64 s[0:1], s[0:1]
	s_cbranch_execz .LBB98_459
; %bb.458:
	v_mov_b32_e32 v213, 21
	s_waitcnt vmcnt(27)
	ds_write2_b64 v212, v[104:105], v[106:107] offset0:44 offset1:45
	s_waitcnt vmcnt(26)
	ds_write2_b64 v212, v[100:101], v[102:103] offset0:46 offset1:47
	;; [unrolled: 2-line block ×28, first 2 shown]
.LBB98_459:
	s_or_b64 exec, exec, s[0:1]
	v_cmp_lt_i32_e32 vcc, 21, v213
	s_waitcnt lgkmcnt(0)
	s_barrier
	s_and_saveexec_b64 s[0:1], vcc
	s_cbranch_execz .LBB98_461
; %bb.460:
	ds_read2_b64 v[216:219], v212 offset0:44 offset1:45
	v_mul_f64 v[210:211], v[202:203], v[110:111]
	v_mul_f64 v[110:111], v[200:201], v[110:111]
	v_fma_f64 v[210:211], v[200:201], v[108:109], -v[210:211]
	v_fmac_f64_e32 v[110:111], v[202:203], v[108:109]
	ds_read2_b64 v[200:203], v212 offset0:46 offset1:47
	s_waitcnt lgkmcnt(1)
	v_mul_f64 v[108:109], v[218:219], v[110:111]
	v_fma_f64 v[108:109], v[216:217], v[210:211], -v[108:109]
	v_mul_f64 v[216:217], v[216:217], v[110:111]
	v_fmac_f64_e32 v[216:217], v[218:219], v[210:211]
	s_waitcnt vmcnt(27)
	v_add_f64 v[104:105], v[104:105], -v[108:109]
	s_waitcnt lgkmcnt(0)
	v_mul_f64 v[108:109], v[202:203], v[110:111]
	v_add_f64 v[106:107], v[106:107], -v[216:217]
	v_fma_f64 v[108:109], v[200:201], v[210:211], -v[108:109]
	v_mul_f64 v[200:201], v[200:201], v[110:111]
	ds_read2_b64 v[216:219], v212 offset0:48 offset1:49
	v_fmac_f64_e32 v[200:201], v[202:203], v[210:211]
	s_waitcnt vmcnt(26)
	v_add_f64 v[102:103], v[102:103], -v[200:201]
	ds_read2_b64 v[200:203], v212 offset0:50 offset1:51
	v_add_f64 v[100:101], v[100:101], -v[108:109]
	s_waitcnt lgkmcnt(1)
	v_mul_f64 v[108:109], v[218:219], v[110:111]
	v_fma_f64 v[108:109], v[216:217], v[210:211], -v[108:109]
	v_mul_f64 v[216:217], v[216:217], v[110:111]
	v_fmac_f64_e32 v[216:217], v[218:219], v[210:211]
	s_waitcnt vmcnt(25)
	v_add_f64 v[96:97], v[96:97], -v[108:109]
	s_waitcnt lgkmcnt(0)
	v_mul_f64 v[108:109], v[202:203], v[110:111]
	v_add_f64 v[98:99], v[98:99], -v[216:217]
	v_fma_f64 v[108:109], v[200:201], v[210:211], -v[108:109]
	v_mul_f64 v[200:201], v[200:201], v[110:111]
	ds_read2_b64 v[216:219], v212 offset0:52 offset1:53
	v_fmac_f64_e32 v[200:201], v[202:203], v[210:211]
	s_waitcnt vmcnt(24)
	v_add_f64 v[94:95], v[94:95], -v[200:201]
	ds_read2_b64 v[200:203], v212 offset0:54 offset1:55
	v_add_f64 v[92:93], v[92:93], -v[108:109]
	;; [unrolled: 18-line block ×13, first 2 shown]
	s_waitcnt lgkmcnt(1)
	v_mul_f64 v[108:109], v[218:219], v[110:111]
	v_fma_f64 v[108:109], v[216:217], v[210:211], -v[108:109]
	s_waitcnt vmcnt(1)
	v_add_f64 v[0:1], v[0:1], -v[108:109]
	s_waitcnt lgkmcnt(0)
	v_mul_f64 v[108:109], v[202:203], v[110:111]
	v_mul_f64 v[216:217], v[216:217], v[110:111]
	v_fma_f64 v[108:109], v[200:201], v[210:211], -v[108:109]
	v_mul_f64 v[200:201], v[200:201], v[110:111]
	v_fmac_f64_e32 v[216:217], v[218:219], v[210:211]
	v_fmac_f64_e32 v[200:201], v[202:203], v[210:211]
	v_add_f64 v[2:3], v[2:3], -v[216:217]
	s_waitcnt vmcnt(0)
	v_add_f64 v[196:197], v[196:197], -v[108:109]
	v_add_f64 v[198:199], v[198:199], -v[200:201]
	v_mov_b64_e32 v[108:109], v[210:211]
.LBB98_461:
	s_or_b64 exec, exec, s[0:1]
	v_lshl_add_u32 v200, v213, 4, v212
	s_barrier
	s_waitcnt vmcnt(27)
	ds_write2_b64 v200, v[104:105], v[106:107] offset1:1
	s_waitcnt lgkmcnt(0)
	s_barrier
	ds_read2_b64 v[200:203], v212 offset0:44 offset1:45
	s_cmp_lt_i32 s20, 24
	v_mov_b32_e32 v210, 22
	s_cbranch_scc1 .LBB98_464
; %bb.462:
	v_add_u32_e32 v211, 0x170, v212
	s_mov_b32 s16, 23
	v_mov_b32_e32 v210, 22
.LBB98_463:                             ; =>This Inner Loop Header: Depth=1
	ds_read2_b64 v[216:219], v211 offset1:1
	s_waitcnt lgkmcnt(1)
	v_xor_b32_e32 v221, 0x80000000, v201
	v_xor_b32_e32 v223, 0x80000000, v203
	v_cmp_gt_f64_e32 vcc, 0, v[202:203]
	v_cmp_gt_f64_e64 s[0:1], 0, v[200:201]
	v_mov_b32_e32 v220, v200
	v_mov_b32_e32 v222, v202
	v_cndmask_b32_e64 v221, v201, v221, s[0:1]
	v_cndmask_b32_e32 v223, v203, v223, vcc
	v_add_f64 v[220:221], v[220:221], v[222:223]
	s_waitcnt lgkmcnt(0)
	v_xor_b32_e32 v223, 0x80000000, v217
	v_xor_b32_e32 v225, 0x80000000, v219
	v_cmp_gt_f64_e32 vcc, 0, v[218:219]
	v_cmp_gt_f64_e64 s[0:1], 0, v[216:217]
	v_mov_b32_e32 v222, v216
	v_mov_b32_e32 v224, v218
	v_cndmask_b32_e64 v223, v217, v223, s[0:1]
	v_cndmask_b32_e32 v225, v219, v225, vcc
	v_add_f64 v[222:223], v[222:223], v[224:225]
	v_mov_b32_e32 v226, s16
	s_add_i32 s16, s16, 1
	v_cmp_lt_f64_e32 vcc, v[220:221], v[222:223]
	v_add_u32_e32 v211, 16, v211
	s_cmp_lg_u32 s20, s16
	v_cndmask_b32_e32 v201, v201, v217, vcc
	v_cndmask_b32_e32 v200, v200, v216, vcc
	;; [unrolled: 1-line block ×5, first 2 shown]
	s_cbranch_scc1 .LBB98_463
.LBB98_464:
	s_waitcnt lgkmcnt(0)
	v_cmp_eq_f64_e32 vcc, 0, v[200:201]
	v_cmp_eq_f64_e64 s[0:1], 0, v[202:203]
	s_and_b64 s[0:1], vcc, s[0:1]
	s_and_saveexec_b64 s[16:17], s[0:1]
	s_xor_b64 s[0:1], exec, s[16:17]
; %bb.465:
	v_cmp_ne_u32_e32 vcc, 0, v214
	s_nop 1
	v_cndmask_b32_e32 v214, 23, v214, vcc
; %bb.466:
	s_andn2_saveexec_b64 s[0:1], s[0:1]
	s_cbranch_execz .LBB98_472
; %bb.467:
	v_cmp_ngt_f64_e64 s[16:17], |v[200:201]|, |v[202:203]|
	s_and_saveexec_b64 s[18:19], s[16:17]
	s_xor_b64 s[16:17], exec, s[18:19]
	s_cbranch_execz .LBB98_469
; %bb.468:
	v_div_scale_f64 v[216:217], s[18:19], v[202:203], v[202:203], v[200:201]
	v_rcp_f64_e32 v[218:219], v[216:217]
	v_div_scale_f64 v[220:221], vcc, v[200:201], v[202:203], v[200:201]
	v_fma_f64 v[222:223], -v[216:217], v[218:219], 1.0
	v_fmac_f64_e32 v[218:219], v[218:219], v[222:223]
	v_fma_f64 v[222:223], -v[216:217], v[218:219], 1.0
	v_fmac_f64_e32 v[218:219], v[218:219], v[222:223]
	v_mul_f64 v[222:223], v[220:221], v[218:219]
	v_fma_f64 v[216:217], -v[216:217], v[222:223], v[220:221]
	v_div_fmas_f64 v[216:217], v[216:217], v[218:219], v[222:223]
	v_div_fixup_f64 v[216:217], v[216:217], v[202:203], v[200:201]
	v_fmac_f64_e32 v[202:203], v[200:201], v[216:217]
	v_div_scale_f64 v[200:201], s[18:19], v[202:203], v[202:203], 1.0
	v_rcp_f64_e32 v[218:219], v[200:201]
	s_nop 0
	v_fma_f64 v[220:221], -v[200:201], v[218:219], 1.0
	v_fmac_f64_e32 v[218:219], v[218:219], v[220:221]
	v_fma_f64 v[220:221], -v[200:201], v[218:219], 1.0
	v_fmac_f64_e32 v[218:219], v[218:219], v[220:221]
	v_div_scale_f64 v[220:221], vcc, 1.0, v[202:203], 1.0
	v_mul_f64 v[222:223], v[220:221], v[218:219]
	v_fma_f64 v[200:201], -v[200:201], v[222:223], v[220:221]
	s_nop 1
	v_div_fmas_f64 v[200:201], v[200:201], v[218:219], v[222:223]
	v_div_fixup_f64 v[202:203], v[200:201], v[202:203], 1.0
	v_mul_f64 v[200:201], v[216:217], v[202:203]
	v_xor_b32_e32 v203, 0x80000000, v203
.LBB98_469:
	s_andn2_saveexec_b64 s[16:17], s[16:17]
	s_cbranch_execz .LBB98_471
; %bb.470:
	v_div_scale_f64 v[216:217], s[18:19], v[200:201], v[200:201], v[202:203]
	v_rcp_f64_e32 v[218:219], v[216:217]
	v_div_scale_f64 v[220:221], vcc, v[202:203], v[200:201], v[202:203]
	v_fma_f64 v[222:223], -v[216:217], v[218:219], 1.0
	v_fmac_f64_e32 v[218:219], v[218:219], v[222:223]
	v_fma_f64 v[222:223], -v[216:217], v[218:219], 1.0
	v_fmac_f64_e32 v[218:219], v[218:219], v[222:223]
	v_mul_f64 v[222:223], v[220:221], v[218:219]
	v_fma_f64 v[216:217], -v[216:217], v[222:223], v[220:221]
	v_div_fmas_f64 v[216:217], v[216:217], v[218:219], v[222:223]
	v_div_fixup_f64 v[216:217], v[216:217], v[200:201], v[202:203]
	v_fmac_f64_e32 v[200:201], v[202:203], v[216:217]
	v_div_scale_f64 v[202:203], s[18:19], v[200:201], v[200:201], 1.0
	v_rcp_f64_e32 v[218:219], v[202:203]
	s_nop 0
	v_fma_f64 v[220:221], -v[202:203], v[218:219], 1.0
	v_fmac_f64_e32 v[218:219], v[218:219], v[220:221]
	v_fma_f64 v[220:221], -v[202:203], v[218:219], 1.0
	v_fmac_f64_e32 v[218:219], v[218:219], v[220:221]
	v_div_scale_f64 v[220:221], vcc, 1.0, v[200:201], 1.0
	v_mul_f64 v[222:223], v[220:221], v[218:219]
	v_fma_f64 v[202:203], -v[202:203], v[222:223], v[220:221]
	s_nop 1
	v_div_fmas_f64 v[202:203], v[202:203], v[218:219], v[222:223]
	v_div_fixup_f64 v[200:201], v[202:203], v[200:201], 1.0
	v_mul_f64 v[202:203], v[216:217], -v[200:201]
.LBB98_471:
	s_or_b64 exec, exec, s[16:17]
.LBB98_472:
	s_or_b64 exec, exec, s[0:1]
	v_cmp_ne_u32_e32 vcc, v213, v210
	s_and_saveexec_b64 s[0:1], vcc
	s_xor_b64 s[0:1], exec, s[0:1]
	s_cbranch_execz .LBB98_478
; %bb.473:
	v_cmp_eq_u32_e32 vcc, 22, v213
	s_and_saveexec_b64 s[16:17], vcc
	s_cbranch_execz .LBB98_477
; %bb.474:
	v_cmp_ne_u32_e32 vcc, 22, v210
	s_xor_b64 s[18:19], s[14:15], -1
	s_and_b64 s[22:23], s[18:19], vcc
	s_and_saveexec_b64 s[18:19], s[22:23]
	s_cbranch_execz .LBB98_476
; %bb.475:
	v_ashrrev_i32_e32 v211, 31, v210
	v_lshl_add_u64 v[216:217], v[210:211], 2, v[208:209]
	global_load_dword v211, v[216:217], off
	global_load_dword v213, v[208:209], off offset:88
	s_waitcnt vmcnt(1)
	global_store_dword v[208:209], v211, off offset:88
	s_waitcnt vmcnt(1)
	global_store_dword v[216:217], v213, off
.LBB98_476:
	s_or_b64 exec, exec, s[18:19]
	v_mov_b32_e32 v213, v210
	v_mov_b32_e32 v215, v210
.LBB98_477:
	s_or_b64 exec, exec, s[16:17]
.LBB98_478:
	s_andn2_saveexec_b64 s[0:1], s[0:1]
	s_cbranch_execz .LBB98_480
; %bb.479:
	v_mov_b32_e32 v213, 22
	s_waitcnt vmcnt(26)
	ds_write2_b64 v212, v[100:101], v[102:103] offset0:46 offset1:47
	s_waitcnt vmcnt(25)
	ds_write2_b64 v212, v[96:97], v[98:99] offset0:48 offset1:49
	;; [unrolled: 2-line block ×27, first 2 shown]
.LBB98_480:
	s_or_b64 exec, exec, s[0:1]
	v_cmp_lt_i32_e32 vcc, 22, v213
	s_waitcnt lgkmcnt(0)
	s_barrier
	s_and_saveexec_b64 s[0:1], vcc
	s_cbranch_execz .LBB98_482
; %bb.481:
	ds_read2_b64 v[216:219], v212 offset0:46 offset1:47
	v_mul_f64 v[210:211], v[202:203], v[106:107]
	v_mul_f64 v[106:107], v[200:201], v[106:107]
	v_fmac_f64_e32 v[106:107], v[202:203], v[104:105]
	v_fma_f64 v[210:211], v[200:201], v[104:105], -v[210:211]
	ds_read2_b64 v[200:203], v212 offset0:48 offset1:49
	s_waitcnt lgkmcnt(1)
	v_mul_f64 v[104:105], v[218:219], v[106:107]
	v_fma_f64 v[104:105], v[216:217], v[210:211], -v[104:105]
	v_mul_f64 v[216:217], v[216:217], v[106:107]
	v_fmac_f64_e32 v[216:217], v[218:219], v[210:211]
	s_waitcnt vmcnt(26)
	v_add_f64 v[102:103], v[102:103], -v[216:217]
	ds_read2_b64 v[216:219], v212 offset0:50 offset1:51
	v_add_f64 v[100:101], v[100:101], -v[104:105]
	s_waitcnt lgkmcnt(1)
	v_mul_f64 v[104:105], v[202:203], v[106:107]
	v_fma_f64 v[104:105], v[200:201], v[210:211], -v[104:105]
	v_mul_f64 v[200:201], v[200:201], v[106:107]
	v_fmac_f64_e32 v[200:201], v[202:203], v[210:211]
	s_waitcnt vmcnt(25)
	v_add_f64 v[96:97], v[96:97], -v[104:105]
	v_add_f64 v[98:99], v[98:99], -v[200:201]
	ds_read2_b64 v[200:203], v212 offset0:52 offset1:53
	s_waitcnt lgkmcnt(1)
	v_mul_f64 v[104:105], v[218:219], v[106:107]
	v_fma_f64 v[104:105], v[216:217], v[210:211], -v[104:105]
	v_mul_f64 v[216:217], v[216:217], v[106:107]
	v_fmac_f64_e32 v[216:217], v[218:219], v[210:211]
	s_waitcnt vmcnt(24)
	v_add_f64 v[94:95], v[94:95], -v[216:217]
	ds_read2_b64 v[216:219], v212 offset0:54 offset1:55
	v_add_f64 v[92:93], v[92:93], -v[104:105]
	s_waitcnt lgkmcnt(1)
	v_mul_f64 v[104:105], v[202:203], v[106:107]
	v_fma_f64 v[104:105], v[200:201], v[210:211], -v[104:105]
	v_mul_f64 v[200:201], v[200:201], v[106:107]
	v_fmac_f64_e32 v[200:201], v[202:203], v[210:211]
	s_waitcnt vmcnt(23)
	v_add_f64 v[88:89], v[88:89], -v[104:105]
	v_add_f64 v[90:91], v[90:91], -v[200:201]
	;; [unrolled: 18-line block ×13, first 2 shown]
	s_waitcnt lgkmcnt(0)
	v_mul_f64 v[104:105], v[218:219], v[106:107]
	v_mul_f64 v[200:201], v[216:217], v[106:107]
	v_fma_f64 v[104:105], v[216:217], v[210:211], -v[104:105]
	v_fmac_f64_e32 v[200:201], v[218:219], v[210:211]
	s_waitcnt vmcnt(0)
	v_add_f64 v[196:197], v[196:197], -v[104:105]
	v_add_f64 v[198:199], v[198:199], -v[200:201]
	v_mov_b64_e32 v[104:105], v[210:211]
.LBB98_482:
	s_or_b64 exec, exec, s[0:1]
	v_lshl_add_u32 v200, v213, 4, v212
	s_barrier
	s_waitcnt vmcnt(26)
	ds_write2_b64 v200, v[100:101], v[102:103] offset1:1
	s_waitcnt lgkmcnt(0)
	s_barrier
	ds_read2_b64 v[200:203], v212 offset0:46 offset1:47
	s_cmp_lt_i32 s20, 25
	v_mov_b32_e32 v210, 23
	s_cbranch_scc1 .LBB98_485
; %bb.483:
	v_add_u32_e32 v211, 0x180, v212
	s_mov_b32 s16, 24
	v_mov_b32_e32 v210, 23
.LBB98_484:                             ; =>This Inner Loop Header: Depth=1
	ds_read2_b64 v[216:219], v211 offset1:1
	s_waitcnt lgkmcnt(1)
	v_xor_b32_e32 v221, 0x80000000, v201
	v_xor_b32_e32 v223, 0x80000000, v203
	v_cmp_gt_f64_e32 vcc, 0, v[202:203]
	v_cmp_gt_f64_e64 s[0:1], 0, v[200:201]
	v_mov_b32_e32 v220, v200
	v_mov_b32_e32 v222, v202
	v_cndmask_b32_e64 v221, v201, v221, s[0:1]
	v_cndmask_b32_e32 v223, v203, v223, vcc
	v_add_f64 v[220:221], v[220:221], v[222:223]
	s_waitcnt lgkmcnt(0)
	v_xor_b32_e32 v223, 0x80000000, v217
	v_xor_b32_e32 v225, 0x80000000, v219
	v_cmp_gt_f64_e32 vcc, 0, v[218:219]
	v_cmp_gt_f64_e64 s[0:1], 0, v[216:217]
	v_mov_b32_e32 v222, v216
	v_mov_b32_e32 v224, v218
	v_cndmask_b32_e64 v223, v217, v223, s[0:1]
	v_cndmask_b32_e32 v225, v219, v225, vcc
	v_add_f64 v[222:223], v[222:223], v[224:225]
	v_mov_b32_e32 v226, s16
	s_add_i32 s16, s16, 1
	v_cmp_lt_f64_e32 vcc, v[220:221], v[222:223]
	v_add_u32_e32 v211, 16, v211
	s_cmp_lg_u32 s20, s16
	v_cndmask_b32_e32 v201, v201, v217, vcc
	v_cndmask_b32_e32 v200, v200, v216, vcc
	;; [unrolled: 1-line block ×5, first 2 shown]
	s_cbranch_scc1 .LBB98_484
.LBB98_485:
	s_waitcnt lgkmcnt(0)
	v_cmp_eq_f64_e32 vcc, 0, v[200:201]
	v_cmp_eq_f64_e64 s[0:1], 0, v[202:203]
	s_and_b64 s[0:1], vcc, s[0:1]
	s_and_saveexec_b64 s[16:17], s[0:1]
	s_xor_b64 s[0:1], exec, s[16:17]
; %bb.486:
	v_cmp_ne_u32_e32 vcc, 0, v214
	s_nop 1
	v_cndmask_b32_e32 v214, 24, v214, vcc
; %bb.487:
	s_andn2_saveexec_b64 s[0:1], s[0:1]
	s_cbranch_execz .LBB98_493
; %bb.488:
	v_cmp_ngt_f64_e64 s[16:17], |v[200:201]|, |v[202:203]|
	s_and_saveexec_b64 s[18:19], s[16:17]
	s_xor_b64 s[16:17], exec, s[18:19]
	s_cbranch_execz .LBB98_490
; %bb.489:
	v_div_scale_f64 v[216:217], s[18:19], v[202:203], v[202:203], v[200:201]
	v_rcp_f64_e32 v[218:219], v[216:217]
	v_div_scale_f64 v[220:221], vcc, v[200:201], v[202:203], v[200:201]
	v_fma_f64 v[222:223], -v[216:217], v[218:219], 1.0
	v_fmac_f64_e32 v[218:219], v[218:219], v[222:223]
	v_fma_f64 v[222:223], -v[216:217], v[218:219], 1.0
	v_fmac_f64_e32 v[218:219], v[218:219], v[222:223]
	v_mul_f64 v[222:223], v[220:221], v[218:219]
	v_fma_f64 v[216:217], -v[216:217], v[222:223], v[220:221]
	v_div_fmas_f64 v[216:217], v[216:217], v[218:219], v[222:223]
	v_div_fixup_f64 v[216:217], v[216:217], v[202:203], v[200:201]
	v_fmac_f64_e32 v[202:203], v[200:201], v[216:217]
	v_div_scale_f64 v[200:201], s[18:19], v[202:203], v[202:203], 1.0
	v_rcp_f64_e32 v[218:219], v[200:201]
	s_nop 0
	v_fma_f64 v[220:221], -v[200:201], v[218:219], 1.0
	v_fmac_f64_e32 v[218:219], v[218:219], v[220:221]
	v_fma_f64 v[220:221], -v[200:201], v[218:219], 1.0
	v_fmac_f64_e32 v[218:219], v[218:219], v[220:221]
	v_div_scale_f64 v[220:221], vcc, 1.0, v[202:203], 1.0
	v_mul_f64 v[222:223], v[220:221], v[218:219]
	v_fma_f64 v[200:201], -v[200:201], v[222:223], v[220:221]
	s_nop 1
	v_div_fmas_f64 v[200:201], v[200:201], v[218:219], v[222:223]
	v_div_fixup_f64 v[202:203], v[200:201], v[202:203], 1.0
	v_mul_f64 v[200:201], v[216:217], v[202:203]
	v_xor_b32_e32 v203, 0x80000000, v203
.LBB98_490:
	s_andn2_saveexec_b64 s[16:17], s[16:17]
	s_cbranch_execz .LBB98_492
; %bb.491:
	v_div_scale_f64 v[216:217], s[18:19], v[200:201], v[200:201], v[202:203]
	v_rcp_f64_e32 v[218:219], v[216:217]
	v_div_scale_f64 v[220:221], vcc, v[202:203], v[200:201], v[202:203]
	v_fma_f64 v[222:223], -v[216:217], v[218:219], 1.0
	v_fmac_f64_e32 v[218:219], v[218:219], v[222:223]
	v_fma_f64 v[222:223], -v[216:217], v[218:219], 1.0
	v_fmac_f64_e32 v[218:219], v[218:219], v[222:223]
	v_mul_f64 v[222:223], v[220:221], v[218:219]
	v_fma_f64 v[216:217], -v[216:217], v[222:223], v[220:221]
	v_div_fmas_f64 v[216:217], v[216:217], v[218:219], v[222:223]
	v_div_fixup_f64 v[216:217], v[216:217], v[200:201], v[202:203]
	v_fmac_f64_e32 v[200:201], v[202:203], v[216:217]
	v_div_scale_f64 v[202:203], s[18:19], v[200:201], v[200:201], 1.0
	v_rcp_f64_e32 v[218:219], v[202:203]
	s_nop 0
	v_fma_f64 v[220:221], -v[202:203], v[218:219], 1.0
	v_fmac_f64_e32 v[218:219], v[218:219], v[220:221]
	v_fma_f64 v[220:221], -v[202:203], v[218:219], 1.0
	v_fmac_f64_e32 v[218:219], v[218:219], v[220:221]
	v_div_scale_f64 v[220:221], vcc, 1.0, v[200:201], 1.0
	v_mul_f64 v[222:223], v[220:221], v[218:219]
	v_fma_f64 v[202:203], -v[202:203], v[222:223], v[220:221]
	s_nop 1
	v_div_fmas_f64 v[202:203], v[202:203], v[218:219], v[222:223]
	v_div_fixup_f64 v[200:201], v[202:203], v[200:201], 1.0
	v_mul_f64 v[202:203], v[216:217], -v[200:201]
.LBB98_492:
	s_or_b64 exec, exec, s[16:17]
.LBB98_493:
	s_or_b64 exec, exec, s[0:1]
	v_cmp_ne_u32_e32 vcc, v213, v210
	s_and_saveexec_b64 s[0:1], vcc
	s_xor_b64 s[0:1], exec, s[0:1]
	s_cbranch_execz .LBB98_499
; %bb.494:
	v_cmp_eq_u32_e32 vcc, 23, v213
	s_and_saveexec_b64 s[16:17], vcc
	s_cbranch_execz .LBB98_498
; %bb.495:
	v_cmp_ne_u32_e32 vcc, 23, v210
	s_xor_b64 s[18:19], s[14:15], -1
	s_and_b64 s[22:23], s[18:19], vcc
	s_and_saveexec_b64 s[18:19], s[22:23]
	s_cbranch_execz .LBB98_497
; %bb.496:
	v_ashrrev_i32_e32 v211, 31, v210
	v_lshl_add_u64 v[216:217], v[210:211], 2, v[208:209]
	global_load_dword v211, v[216:217], off
	global_load_dword v213, v[208:209], off offset:92
	s_waitcnt vmcnt(1)
	global_store_dword v[208:209], v211, off offset:92
	s_waitcnt vmcnt(1)
	global_store_dword v[216:217], v213, off
.LBB98_497:
	s_or_b64 exec, exec, s[18:19]
	v_mov_b32_e32 v213, v210
	v_mov_b32_e32 v215, v210
.LBB98_498:
	s_or_b64 exec, exec, s[16:17]
.LBB98_499:
	s_andn2_saveexec_b64 s[0:1], s[0:1]
	s_cbranch_execz .LBB98_501
; %bb.500:
	v_mov_b32_e32 v213, 23
	s_waitcnt vmcnt(25)
	ds_write2_b64 v212, v[96:97], v[98:99] offset0:48 offset1:49
	s_waitcnt vmcnt(24)
	ds_write2_b64 v212, v[92:93], v[94:95] offset0:50 offset1:51
	;; [unrolled: 2-line block ×26, first 2 shown]
.LBB98_501:
	s_or_b64 exec, exec, s[0:1]
	v_cmp_lt_i32_e32 vcc, 23, v213
	s_waitcnt lgkmcnt(0)
	s_barrier
	s_and_saveexec_b64 s[0:1], vcc
	s_cbranch_execz .LBB98_503
; %bb.502:
	ds_read2_b64 v[216:219], v212 offset0:48 offset1:49
	v_mul_f64 v[210:211], v[202:203], v[102:103]
	v_mul_f64 v[102:103], v[200:201], v[102:103]
	v_fma_f64 v[210:211], v[200:201], v[100:101], -v[210:211]
	v_fmac_f64_e32 v[102:103], v[202:203], v[100:101]
	ds_read2_b64 v[200:203], v212 offset0:50 offset1:51
	s_waitcnt lgkmcnt(1)
	v_mul_f64 v[100:101], v[218:219], v[102:103]
	v_fma_f64 v[100:101], v[216:217], v[210:211], -v[100:101]
	v_mul_f64 v[216:217], v[216:217], v[102:103]
	v_fmac_f64_e32 v[216:217], v[218:219], v[210:211]
	s_waitcnt vmcnt(25)
	v_add_f64 v[96:97], v[96:97], -v[100:101]
	s_waitcnt lgkmcnt(0)
	v_mul_f64 v[100:101], v[202:203], v[102:103]
	v_add_f64 v[98:99], v[98:99], -v[216:217]
	v_fma_f64 v[100:101], v[200:201], v[210:211], -v[100:101]
	v_mul_f64 v[200:201], v[200:201], v[102:103]
	ds_read2_b64 v[216:219], v212 offset0:52 offset1:53
	v_fmac_f64_e32 v[200:201], v[202:203], v[210:211]
	s_waitcnt vmcnt(24)
	v_add_f64 v[94:95], v[94:95], -v[200:201]
	ds_read2_b64 v[200:203], v212 offset0:54 offset1:55
	v_add_f64 v[92:93], v[92:93], -v[100:101]
	s_waitcnt lgkmcnt(1)
	v_mul_f64 v[100:101], v[218:219], v[102:103]
	v_fma_f64 v[100:101], v[216:217], v[210:211], -v[100:101]
	v_mul_f64 v[216:217], v[216:217], v[102:103]
	v_fmac_f64_e32 v[216:217], v[218:219], v[210:211]
	s_waitcnt vmcnt(23)
	v_add_f64 v[88:89], v[88:89], -v[100:101]
	s_waitcnt lgkmcnt(0)
	v_mul_f64 v[100:101], v[202:203], v[102:103]
	v_add_f64 v[90:91], v[90:91], -v[216:217]
	v_fma_f64 v[100:101], v[200:201], v[210:211], -v[100:101]
	v_mul_f64 v[200:201], v[200:201], v[102:103]
	ds_read2_b64 v[216:219], v212 offset0:56 offset1:57
	v_fmac_f64_e32 v[200:201], v[202:203], v[210:211]
	s_waitcnt vmcnt(22)
	v_add_f64 v[86:87], v[86:87], -v[200:201]
	ds_read2_b64 v[200:203], v212 offset0:58 offset1:59
	v_add_f64 v[84:85], v[84:85], -v[100:101]
	;; [unrolled: 18-line block ×12, first 2 shown]
	s_waitcnt lgkmcnt(1)
	v_mul_f64 v[100:101], v[218:219], v[102:103]
	v_fma_f64 v[100:101], v[216:217], v[210:211], -v[100:101]
	s_waitcnt vmcnt(1)
	v_add_f64 v[0:1], v[0:1], -v[100:101]
	s_waitcnt lgkmcnt(0)
	v_mul_f64 v[100:101], v[202:203], v[102:103]
	v_mul_f64 v[216:217], v[216:217], v[102:103]
	v_fma_f64 v[100:101], v[200:201], v[210:211], -v[100:101]
	v_mul_f64 v[200:201], v[200:201], v[102:103]
	v_fmac_f64_e32 v[216:217], v[218:219], v[210:211]
	v_fmac_f64_e32 v[200:201], v[202:203], v[210:211]
	v_add_f64 v[2:3], v[2:3], -v[216:217]
	s_waitcnt vmcnt(0)
	v_add_f64 v[196:197], v[196:197], -v[100:101]
	v_add_f64 v[198:199], v[198:199], -v[200:201]
	v_mov_b64_e32 v[100:101], v[210:211]
.LBB98_503:
	s_or_b64 exec, exec, s[0:1]
	v_lshl_add_u32 v200, v213, 4, v212
	s_barrier
	s_waitcnt vmcnt(25)
	ds_write2_b64 v200, v[96:97], v[98:99] offset1:1
	s_waitcnt lgkmcnt(0)
	s_barrier
	ds_read2_b64 v[200:203], v212 offset0:48 offset1:49
	s_cmp_lt_i32 s20, 26
	v_mov_b32_e32 v210, 24
	s_cbranch_scc1 .LBB98_506
; %bb.504:
	v_add_u32_e32 v211, 0x190, v212
	s_mov_b32 s16, 25
	v_mov_b32_e32 v210, 24
.LBB98_505:                             ; =>This Inner Loop Header: Depth=1
	ds_read2_b64 v[216:219], v211 offset1:1
	s_waitcnt lgkmcnt(1)
	v_xor_b32_e32 v221, 0x80000000, v201
	v_xor_b32_e32 v223, 0x80000000, v203
	v_cmp_gt_f64_e32 vcc, 0, v[202:203]
	v_cmp_gt_f64_e64 s[0:1], 0, v[200:201]
	v_mov_b32_e32 v220, v200
	v_mov_b32_e32 v222, v202
	v_cndmask_b32_e64 v221, v201, v221, s[0:1]
	v_cndmask_b32_e32 v223, v203, v223, vcc
	v_add_f64 v[220:221], v[220:221], v[222:223]
	s_waitcnt lgkmcnt(0)
	v_xor_b32_e32 v223, 0x80000000, v217
	v_xor_b32_e32 v225, 0x80000000, v219
	v_cmp_gt_f64_e32 vcc, 0, v[218:219]
	v_cmp_gt_f64_e64 s[0:1], 0, v[216:217]
	v_mov_b32_e32 v222, v216
	v_mov_b32_e32 v224, v218
	v_cndmask_b32_e64 v223, v217, v223, s[0:1]
	v_cndmask_b32_e32 v225, v219, v225, vcc
	v_add_f64 v[222:223], v[222:223], v[224:225]
	v_mov_b32_e32 v226, s16
	s_add_i32 s16, s16, 1
	v_cmp_lt_f64_e32 vcc, v[220:221], v[222:223]
	v_add_u32_e32 v211, 16, v211
	s_cmp_lg_u32 s20, s16
	v_cndmask_b32_e32 v201, v201, v217, vcc
	v_cndmask_b32_e32 v200, v200, v216, vcc
	v_cndmask_b32_e32 v203, v203, v219, vcc
	v_cndmask_b32_e32 v202, v202, v218, vcc
	v_cndmask_b32_e32 v210, v210, v226, vcc
	s_cbranch_scc1 .LBB98_505
.LBB98_506:
	s_waitcnt lgkmcnt(0)
	v_cmp_eq_f64_e32 vcc, 0, v[200:201]
	v_cmp_eq_f64_e64 s[0:1], 0, v[202:203]
	s_and_b64 s[0:1], vcc, s[0:1]
	s_and_saveexec_b64 s[16:17], s[0:1]
	s_xor_b64 s[0:1], exec, s[16:17]
; %bb.507:
	v_cmp_ne_u32_e32 vcc, 0, v214
	s_nop 1
	v_cndmask_b32_e32 v214, 25, v214, vcc
; %bb.508:
	s_andn2_saveexec_b64 s[0:1], s[0:1]
	s_cbranch_execz .LBB98_514
; %bb.509:
	v_cmp_ngt_f64_e64 s[16:17], |v[200:201]|, |v[202:203]|
	s_and_saveexec_b64 s[18:19], s[16:17]
	s_xor_b64 s[16:17], exec, s[18:19]
	s_cbranch_execz .LBB98_511
; %bb.510:
	v_div_scale_f64 v[216:217], s[18:19], v[202:203], v[202:203], v[200:201]
	v_rcp_f64_e32 v[218:219], v[216:217]
	v_div_scale_f64 v[220:221], vcc, v[200:201], v[202:203], v[200:201]
	v_fma_f64 v[222:223], -v[216:217], v[218:219], 1.0
	v_fmac_f64_e32 v[218:219], v[218:219], v[222:223]
	v_fma_f64 v[222:223], -v[216:217], v[218:219], 1.0
	v_fmac_f64_e32 v[218:219], v[218:219], v[222:223]
	v_mul_f64 v[222:223], v[220:221], v[218:219]
	v_fma_f64 v[216:217], -v[216:217], v[222:223], v[220:221]
	v_div_fmas_f64 v[216:217], v[216:217], v[218:219], v[222:223]
	v_div_fixup_f64 v[216:217], v[216:217], v[202:203], v[200:201]
	v_fmac_f64_e32 v[202:203], v[200:201], v[216:217]
	v_div_scale_f64 v[200:201], s[18:19], v[202:203], v[202:203], 1.0
	v_rcp_f64_e32 v[218:219], v[200:201]
	s_nop 0
	v_fma_f64 v[220:221], -v[200:201], v[218:219], 1.0
	v_fmac_f64_e32 v[218:219], v[218:219], v[220:221]
	v_fma_f64 v[220:221], -v[200:201], v[218:219], 1.0
	v_fmac_f64_e32 v[218:219], v[218:219], v[220:221]
	v_div_scale_f64 v[220:221], vcc, 1.0, v[202:203], 1.0
	v_mul_f64 v[222:223], v[220:221], v[218:219]
	v_fma_f64 v[200:201], -v[200:201], v[222:223], v[220:221]
	s_nop 1
	v_div_fmas_f64 v[200:201], v[200:201], v[218:219], v[222:223]
	v_div_fixup_f64 v[202:203], v[200:201], v[202:203], 1.0
	v_mul_f64 v[200:201], v[216:217], v[202:203]
	v_xor_b32_e32 v203, 0x80000000, v203
.LBB98_511:
	s_andn2_saveexec_b64 s[16:17], s[16:17]
	s_cbranch_execz .LBB98_513
; %bb.512:
	v_div_scale_f64 v[216:217], s[18:19], v[200:201], v[200:201], v[202:203]
	v_rcp_f64_e32 v[218:219], v[216:217]
	v_div_scale_f64 v[220:221], vcc, v[202:203], v[200:201], v[202:203]
	v_fma_f64 v[222:223], -v[216:217], v[218:219], 1.0
	v_fmac_f64_e32 v[218:219], v[218:219], v[222:223]
	v_fma_f64 v[222:223], -v[216:217], v[218:219], 1.0
	v_fmac_f64_e32 v[218:219], v[218:219], v[222:223]
	v_mul_f64 v[222:223], v[220:221], v[218:219]
	v_fma_f64 v[216:217], -v[216:217], v[222:223], v[220:221]
	v_div_fmas_f64 v[216:217], v[216:217], v[218:219], v[222:223]
	v_div_fixup_f64 v[216:217], v[216:217], v[200:201], v[202:203]
	v_fmac_f64_e32 v[200:201], v[202:203], v[216:217]
	v_div_scale_f64 v[202:203], s[18:19], v[200:201], v[200:201], 1.0
	v_rcp_f64_e32 v[218:219], v[202:203]
	s_nop 0
	v_fma_f64 v[220:221], -v[202:203], v[218:219], 1.0
	v_fmac_f64_e32 v[218:219], v[218:219], v[220:221]
	v_fma_f64 v[220:221], -v[202:203], v[218:219], 1.0
	v_fmac_f64_e32 v[218:219], v[218:219], v[220:221]
	v_div_scale_f64 v[220:221], vcc, 1.0, v[200:201], 1.0
	v_mul_f64 v[222:223], v[220:221], v[218:219]
	v_fma_f64 v[202:203], -v[202:203], v[222:223], v[220:221]
	s_nop 1
	v_div_fmas_f64 v[202:203], v[202:203], v[218:219], v[222:223]
	v_div_fixup_f64 v[200:201], v[202:203], v[200:201], 1.0
	v_mul_f64 v[202:203], v[216:217], -v[200:201]
.LBB98_513:
	s_or_b64 exec, exec, s[16:17]
.LBB98_514:
	s_or_b64 exec, exec, s[0:1]
	v_cmp_ne_u32_e32 vcc, v213, v210
	s_and_saveexec_b64 s[0:1], vcc
	s_xor_b64 s[0:1], exec, s[0:1]
	s_cbranch_execz .LBB98_520
; %bb.515:
	v_cmp_eq_u32_e32 vcc, 24, v213
	s_and_saveexec_b64 s[16:17], vcc
	s_cbranch_execz .LBB98_519
; %bb.516:
	v_cmp_ne_u32_e32 vcc, 24, v210
	s_xor_b64 s[18:19], s[14:15], -1
	s_and_b64 s[22:23], s[18:19], vcc
	s_and_saveexec_b64 s[18:19], s[22:23]
	s_cbranch_execz .LBB98_518
; %bb.517:
	v_ashrrev_i32_e32 v211, 31, v210
	v_lshl_add_u64 v[216:217], v[210:211], 2, v[208:209]
	global_load_dword v211, v[216:217], off
	global_load_dword v213, v[208:209], off offset:96
	s_waitcnt vmcnt(1)
	global_store_dword v[208:209], v211, off offset:96
	s_waitcnt vmcnt(1)
	global_store_dword v[216:217], v213, off
.LBB98_518:
	s_or_b64 exec, exec, s[18:19]
	v_mov_b32_e32 v213, v210
	v_mov_b32_e32 v215, v210
.LBB98_519:
	s_or_b64 exec, exec, s[16:17]
.LBB98_520:
	s_andn2_saveexec_b64 s[0:1], s[0:1]
	s_cbranch_execz .LBB98_522
; %bb.521:
	v_mov_b32_e32 v213, 24
	s_waitcnt vmcnt(24)
	ds_write2_b64 v212, v[92:93], v[94:95] offset0:50 offset1:51
	s_waitcnt vmcnt(23)
	ds_write2_b64 v212, v[88:89], v[90:91] offset0:52 offset1:53
	;; [unrolled: 2-line block ×25, first 2 shown]
.LBB98_522:
	s_or_b64 exec, exec, s[0:1]
	v_cmp_lt_i32_e32 vcc, 24, v213
	s_waitcnt lgkmcnt(0)
	s_barrier
	s_and_saveexec_b64 s[0:1], vcc
	s_cbranch_execz .LBB98_524
; %bb.523:
	ds_read2_b64 v[216:219], v212 offset0:50 offset1:51
	v_mul_f64 v[210:211], v[202:203], v[98:99]
	v_mul_f64 v[98:99], v[200:201], v[98:99]
	v_fmac_f64_e32 v[98:99], v[202:203], v[96:97]
	v_fma_f64 v[210:211], v[200:201], v[96:97], -v[210:211]
	ds_read2_b64 v[200:203], v212 offset0:52 offset1:53
	s_waitcnt lgkmcnt(1)
	v_mul_f64 v[96:97], v[218:219], v[98:99]
	v_fma_f64 v[96:97], v[216:217], v[210:211], -v[96:97]
	v_mul_f64 v[216:217], v[216:217], v[98:99]
	v_fmac_f64_e32 v[216:217], v[218:219], v[210:211]
	s_waitcnt vmcnt(24)
	v_add_f64 v[94:95], v[94:95], -v[216:217]
	ds_read2_b64 v[216:219], v212 offset0:54 offset1:55
	v_add_f64 v[92:93], v[92:93], -v[96:97]
	s_waitcnt lgkmcnt(1)
	v_mul_f64 v[96:97], v[202:203], v[98:99]
	v_fma_f64 v[96:97], v[200:201], v[210:211], -v[96:97]
	v_mul_f64 v[200:201], v[200:201], v[98:99]
	v_fmac_f64_e32 v[200:201], v[202:203], v[210:211]
	s_waitcnt vmcnt(23)
	v_add_f64 v[88:89], v[88:89], -v[96:97]
	v_add_f64 v[90:91], v[90:91], -v[200:201]
	ds_read2_b64 v[200:203], v212 offset0:56 offset1:57
	s_waitcnt lgkmcnt(1)
	v_mul_f64 v[96:97], v[218:219], v[98:99]
	v_fma_f64 v[96:97], v[216:217], v[210:211], -v[96:97]
	v_mul_f64 v[216:217], v[216:217], v[98:99]
	v_fmac_f64_e32 v[216:217], v[218:219], v[210:211]
	s_waitcnt vmcnt(22)
	v_add_f64 v[86:87], v[86:87], -v[216:217]
	ds_read2_b64 v[216:219], v212 offset0:58 offset1:59
	v_add_f64 v[84:85], v[84:85], -v[96:97]
	s_waitcnt lgkmcnt(1)
	v_mul_f64 v[96:97], v[202:203], v[98:99]
	v_fma_f64 v[96:97], v[200:201], v[210:211], -v[96:97]
	v_mul_f64 v[200:201], v[200:201], v[98:99]
	v_fmac_f64_e32 v[200:201], v[202:203], v[210:211]
	s_waitcnt vmcnt(21)
	v_add_f64 v[80:81], v[80:81], -v[96:97]
	v_add_f64 v[82:83], v[82:83], -v[200:201]
	;; [unrolled: 18-line block ×12, first 2 shown]
	s_waitcnt lgkmcnt(0)
	v_mul_f64 v[96:97], v[218:219], v[98:99]
	v_mul_f64 v[200:201], v[216:217], v[98:99]
	v_fma_f64 v[96:97], v[216:217], v[210:211], -v[96:97]
	v_fmac_f64_e32 v[200:201], v[218:219], v[210:211]
	s_waitcnt vmcnt(0)
	v_add_f64 v[196:197], v[196:197], -v[96:97]
	v_add_f64 v[198:199], v[198:199], -v[200:201]
	v_mov_b64_e32 v[96:97], v[210:211]
.LBB98_524:
	s_or_b64 exec, exec, s[0:1]
	v_lshl_add_u32 v200, v213, 4, v212
	s_barrier
	s_waitcnt vmcnt(24)
	ds_write2_b64 v200, v[92:93], v[94:95] offset1:1
	s_waitcnt lgkmcnt(0)
	s_barrier
	ds_read2_b64 v[200:203], v212 offset0:50 offset1:51
	s_cmp_lt_i32 s20, 27
	v_mov_b32_e32 v210, 25
	s_cbranch_scc1 .LBB98_527
; %bb.525:
	v_add_u32_e32 v211, 0x1a0, v212
	s_mov_b32 s16, 26
	v_mov_b32_e32 v210, 25
.LBB98_526:                             ; =>This Inner Loop Header: Depth=1
	ds_read2_b64 v[216:219], v211 offset1:1
	s_waitcnt lgkmcnt(1)
	v_xor_b32_e32 v221, 0x80000000, v201
	v_xor_b32_e32 v223, 0x80000000, v203
	v_cmp_gt_f64_e32 vcc, 0, v[202:203]
	v_cmp_gt_f64_e64 s[0:1], 0, v[200:201]
	v_mov_b32_e32 v220, v200
	v_mov_b32_e32 v222, v202
	v_cndmask_b32_e64 v221, v201, v221, s[0:1]
	v_cndmask_b32_e32 v223, v203, v223, vcc
	v_add_f64 v[220:221], v[220:221], v[222:223]
	s_waitcnt lgkmcnt(0)
	v_xor_b32_e32 v223, 0x80000000, v217
	v_xor_b32_e32 v225, 0x80000000, v219
	v_cmp_gt_f64_e32 vcc, 0, v[218:219]
	v_cmp_gt_f64_e64 s[0:1], 0, v[216:217]
	v_mov_b32_e32 v222, v216
	v_mov_b32_e32 v224, v218
	v_cndmask_b32_e64 v223, v217, v223, s[0:1]
	v_cndmask_b32_e32 v225, v219, v225, vcc
	v_add_f64 v[222:223], v[222:223], v[224:225]
	v_mov_b32_e32 v226, s16
	s_add_i32 s16, s16, 1
	v_cmp_lt_f64_e32 vcc, v[220:221], v[222:223]
	v_add_u32_e32 v211, 16, v211
	s_cmp_lg_u32 s20, s16
	v_cndmask_b32_e32 v201, v201, v217, vcc
	v_cndmask_b32_e32 v200, v200, v216, vcc
	;; [unrolled: 1-line block ×5, first 2 shown]
	s_cbranch_scc1 .LBB98_526
.LBB98_527:
	s_waitcnt lgkmcnt(0)
	v_cmp_eq_f64_e32 vcc, 0, v[200:201]
	v_cmp_eq_f64_e64 s[0:1], 0, v[202:203]
	s_and_b64 s[0:1], vcc, s[0:1]
	s_and_saveexec_b64 s[16:17], s[0:1]
	s_xor_b64 s[0:1], exec, s[16:17]
; %bb.528:
	v_cmp_ne_u32_e32 vcc, 0, v214
	s_nop 1
	v_cndmask_b32_e32 v214, 26, v214, vcc
; %bb.529:
	s_andn2_saveexec_b64 s[0:1], s[0:1]
	s_cbranch_execz .LBB98_535
; %bb.530:
	v_cmp_ngt_f64_e64 s[16:17], |v[200:201]|, |v[202:203]|
	s_and_saveexec_b64 s[18:19], s[16:17]
	s_xor_b64 s[16:17], exec, s[18:19]
	s_cbranch_execz .LBB98_532
; %bb.531:
	v_div_scale_f64 v[216:217], s[18:19], v[202:203], v[202:203], v[200:201]
	v_rcp_f64_e32 v[218:219], v[216:217]
	v_div_scale_f64 v[220:221], vcc, v[200:201], v[202:203], v[200:201]
	v_fma_f64 v[222:223], -v[216:217], v[218:219], 1.0
	v_fmac_f64_e32 v[218:219], v[218:219], v[222:223]
	v_fma_f64 v[222:223], -v[216:217], v[218:219], 1.0
	v_fmac_f64_e32 v[218:219], v[218:219], v[222:223]
	v_mul_f64 v[222:223], v[220:221], v[218:219]
	v_fma_f64 v[216:217], -v[216:217], v[222:223], v[220:221]
	v_div_fmas_f64 v[216:217], v[216:217], v[218:219], v[222:223]
	v_div_fixup_f64 v[216:217], v[216:217], v[202:203], v[200:201]
	v_fmac_f64_e32 v[202:203], v[200:201], v[216:217]
	v_div_scale_f64 v[200:201], s[18:19], v[202:203], v[202:203], 1.0
	v_rcp_f64_e32 v[218:219], v[200:201]
	s_nop 0
	v_fma_f64 v[220:221], -v[200:201], v[218:219], 1.0
	v_fmac_f64_e32 v[218:219], v[218:219], v[220:221]
	v_fma_f64 v[220:221], -v[200:201], v[218:219], 1.0
	v_fmac_f64_e32 v[218:219], v[218:219], v[220:221]
	v_div_scale_f64 v[220:221], vcc, 1.0, v[202:203], 1.0
	v_mul_f64 v[222:223], v[220:221], v[218:219]
	v_fma_f64 v[200:201], -v[200:201], v[222:223], v[220:221]
	s_nop 1
	v_div_fmas_f64 v[200:201], v[200:201], v[218:219], v[222:223]
	v_div_fixup_f64 v[202:203], v[200:201], v[202:203], 1.0
	v_mul_f64 v[200:201], v[216:217], v[202:203]
	v_xor_b32_e32 v203, 0x80000000, v203
.LBB98_532:
	s_andn2_saveexec_b64 s[16:17], s[16:17]
	s_cbranch_execz .LBB98_534
; %bb.533:
	v_div_scale_f64 v[216:217], s[18:19], v[200:201], v[200:201], v[202:203]
	v_rcp_f64_e32 v[218:219], v[216:217]
	v_div_scale_f64 v[220:221], vcc, v[202:203], v[200:201], v[202:203]
	v_fma_f64 v[222:223], -v[216:217], v[218:219], 1.0
	v_fmac_f64_e32 v[218:219], v[218:219], v[222:223]
	v_fma_f64 v[222:223], -v[216:217], v[218:219], 1.0
	v_fmac_f64_e32 v[218:219], v[218:219], v[222:223]
	v_mul_f64 v[222:223], v[220:221], v[218:219]
	v_fma_f64 v[216:217], -v[216:217], v[222:223], v[220:221]
	v_div_fmas_f64 v[216:217], v[216:217], v[218:219], v[222:223]
	v_div_fixup_f64 v[216:217], v[216:217], v[200:201], v[202:203]
	v_fmac_f64_e32 v[200:201], v[202:203], v[216:217]
	v_div_scale_f64 v[202:203], s[18:19], v[200:201], v[200:201], 1.0
	v_rcp_f64_e32 v[218:219], v[202:203]
	s_nop 0
	v_fma_f64 v[220:221], -v[202:203], v[218:219], 1.0
	v_fmac_f64_e32 v[218:219], v[218:219], v[220:221]
	v_fma_f64 v[220:221], -v[202:203], v[218:219], 1.0
	v_fmac_f64_e32 v[218:219], v[218:219], v[220:221]
	v_div_scale_f64 v[220:221], vcc, 1.0, v[200:201], 1.0
	v_mul_f64 v[222:223], v[220:221], v[218:219]
	v_fma_f64 v[202:203], -v[202:203], v[222:223], v[220:221]
	s_nop 1
	v_div_fmas_f64 v[202:203], v[202:203], v[218:219], v[222:223]
	v_div_fixup_f64 v[200:201], v[202:203], v[200:201], 1.0
	v_mul_f64 v[202:203], v[216:217], -v[200:201]
.LBB98_534:
	s_or_b64 exec, exec, s[16:17]
.LBB98_535:
	s_or_b64 exec, exec, s[0:1]
	v_cmp_ne_u32_e32 vcc, v213, v210
	s_and_saveexec_b64 s[0:1], vcc
	s_xor_b64 s[0:1], exec, s[0:1]
	s_cbranch_execz .LBB98_541
; %bb.536:
	v_cmp_eq_u32_e32 vcc, 25, v213
	s_and_saveexec_b64 s[16:17], vcc
	s_cbranch_execz .LBB98_540
; %bb.537:
	v_cmp_ne_u32_e32 vcc, 25, v210
	s_xor_b64 s[18:19], s[14:15], -1
	s_and_b64 s[22:23], s[18:19], vcc
	s_and_saveexec_b64 s[18:19], s[22:23]
	s_cbranch_execz .LBB98_539
; %bb.538:
	v_ashrrev_i32_e32 v211, 31, v210
	v_lshl_add_u64 v[216:217], v[210:211], 2, v[208:209]
	global_load_dword v211, v[216:217], off
	global_load_dword v213, v[208:209], off offset:100
	s_waitcnt vmcnt(1)
	global_store_dword v[208:209], v211, off offset:100
	s_waitcnt vmcnt(1)
	global_store_dword v[216:217], v213, off
.LBB98_539:
	s_or_b64 exec, exec, s[18:19]
	v_mov_b32_e32 v213, v210
	v_mov_b32_e32 v215, v210
.LBB98_540:
	s_or_b64 exec, exec, s[16:17]
.LBB98_541:
	s_andn2_saveexec_b64 s[0:1], s[0:1]
	s_cbranch_execz .LBB98_543
; %bb.542:
	v_mov_b32_e32 v213, 25
	s_waitcnt vmcnt(23)
	ds_write2_b64 v212, v[88:89], v[90:91] offset0:52 offset1:53
	s_waitcnt vmcnt(22)
	ds_write2_b64 v212, v[84:85], v[86:87] offset0:54 offset1:55
	;; [unrolled: 2-line block ×24, first 2 shown]
.LBB98_543:
	s_or_b64 exec, exec, s[0:1]
	v_cmp_lt_i32_e32 vcc, 25, v213
	s_waitcnt lgkmcnt(0)
	s_barrier
	s_and_saveexec_b64 s[0:1], vcc
	s_cbranch_execz .LBB98_545
; %bb.544:
	ds_read2_b64 v[216:219], v212 offset0:52 offset1:53
	v_mul_f64 v[210:211], v[202:203], v[94:95]
	v_mul_f64 v[94:95], v[200:201], v[94:95]
	v_fma_f64 v[210:211], v[200:201], v[92:93], -v[210:211]
	v_fmac_f64_e32 v[94:95], v[202:203], v[92:93]
	ds_read2_b64 v[200:203], v212 offset0:54 offset1:55
	s_waitcnt lgkmcnt(1)
	v_mul_f64 v[92:93], v[218:219], v[94:95]
	v_fma_f64 v[92:93], v[216:217], v[210:211], -v[92:93]
	v_mul_f64 v[216:217], v[216:217], v[94:95]
	v_fmac_f64_e32 v[216:217], v[218:219], v[210:211]
	s_waitcnt vmcnt(23)
	v_add_f64 v[88:89], v[88:89], -v[92:93]
	s_waitcnt lgkmcnt(0)
	v_mul_f64 v[92:93], v[202:203], v[94:95]
	v_add_f64 v[90:91], v[90:91], -v[216:217]
	v_fma_f64 v[92:93], v[200:201], v[210:211], -v[92:93]
	v_mul_f64 v[200:201], v[200:201], v[94:95]
	ds_read2_b64 v[216:219], v212 offset0:56 offset1:57
	v_fmac_f64_e32 v[200:201], v[202:203], v[210:211]
	s_waitcnt vmcnt(22)
	v_add_f64 v[86:87], v[86:87], -v[200:201]
	ds_read2_b64 v[200:203], v212 offset0:58 offset1:59
	v_add_f64 v[84:85], v[84:85], -v[92:93]
	s_waitcnt lgkmcnt(1)
	v_mul_f64 v[92:93], v[218:219], v[94:95]
	v_fma_f64 v[92:93], v[216:217], v[210:211], -v[92:93]
	v_mul_f64 v[216:217], v[216:217], v[94:95]
	v_fmac_f64_e32 v[216:217], v[218:219], v[210:211]
	s_waitcnt vmcnt(21)
	v_add_f64 v[80:81], v[80:81], -v[92:93]
	s_waitcnt lgkmcnt(0)
	v_mul_f64 v[92:93], v[202:203], v[94:95]
	v_add_f64 v[82:83], v[82:83], -v[216:217]
	v_fma_f64 v[92:93], v[200:201], v[210:211], -v[92:93]
	v_mul_f64 v[200:201], v[200:201], v[94:95]
	ds_read2_b64 v[216:219], v212 offset0:60 offset1:61
	v_fmac_f64_e32 v[200:201], v[202:203], v[210:211]
	s_waitcnt vmcnt(20)
	v_add_f64 v[78:79], v[78:79], -v[200:201]
	ds_read2_b64 v[200:203], v212 offset0:62 offset1:63
	v_add_f64 v[76:77], v[76:77], -v[92:93]
	;; [unrolled: 18-line block ×11, first 2 shown]
	s_waitcnt lgkmcnt(1)
	v_mul_f64 v[92:93], v[218:219], v[94:95]
	v_fma_f64 v[92:93], v[216:217], v[210:211], -v[92:93]
	s_waitcnt vmcnt(1)
	v_add_f64 v[0:1], v[0:1], -v[92:93]
	s_waitcnt lgkmcnt(0)
	v_mul_f64 v[92:93], v[202:203], v[94:95]
	v_mul_f64 v[216:217], v[216:217], v[94:95]
	v_fma_f64 v[92:93], v[200:201], v[210:211], -v[92:93]
	v_mul_f64 v[200:201], v[200:201], v[94:95]
	v_fmac_f64_e32 v[216:217], v[218:219], v[210:211]
	v_fmac_f64_e32 v[200:201], v[202:203], v[210:211]
	v_add_f64 v[2:3], v[2:3], -v[216:217]
	s_waitcnt vmcnt(0)
	v_add_f64 v[196:197], v[196:197], -v[92:93]
	v_add_f64 v[198:199], v[198:199], -v[200:201]
	v_mov_b64_e32 v[92:93], v[210:211]
.LBB98_545:
	s_or_b64 exec, exec, s[0:1]
	v_lshl_add_u32 v200, v213, 4, v212
	s_barrier
	s_waitcnt vmcnt(23)
	ds_write2_b64 v200, v[88:89], v[90:91] offset1:1
	s_waitcnt lgkmcnt(0)
	s_barrier
	ds_read2_b64 v[200:203], v212 offset0:52 offset1:53
	s_cmp_lt_i32 s20, 28
	v_mov_b32_e32 v210, 26
	s_cbranch_scc1 .LBB98_548
; %bb.546:
	v_add_u32_e32 v211, 0x1b0, v212
	s_mov_b32 s16, 27
	v_mov_b32_e32 v210, 26
.LBB98_547:                             ; =>This Inner Loop Header: Depth=1
	ds_read2_b64 v[216:219], v211 offset1:1
	s_waitcnt lgkmcnt(1)
	v_xor_b32_e32 v221, 0x80000000, v201
	v_xor_b32_e32 v223, 0x80000000, v203
	v_cmp_gt_f64_e32 vcc, 0, v[202:203]
	v_cmp_gt_f64_e64 s[0:1], 0, v[200:201]
	v_mov_b32_e32 v220, v200
	v_mov_b32_e32 v222, v202
	v_cndmask_b32_e64 v221, v201, v221, s[0:1]
	v_cndmask_b32_e32 v223, v203, v223, vcc
	v_add_f64 v[220:221], v[220:221], v[222:223]
	s_waitcnt lgkmcnt(0)
	v_xor_b32_e32 v223, 0x80000000, v217
	v_xor_b32_e32 v225, 0x80000000, v219
	v_cmp_gt_f64_e32 vcc, 0, v[218:219]
	v_cmp_gt_f64_e64 s[0:1], 0, v[216:217]
	v_mov_b32_e32 v222, v216
	v_mov_b32_e32 v224, v218
	v_cndmask_b32_e64 v223, v217, v223, s[0:1]
	v_cndmask_b32_e32 v225, v219, v225, vcc
	v_add_f64 v[222:223], v[222:223], v[224:225]
	v_mov_b32_e32 v226, s16
	s_add_i32 s16, s16, 1
	v_cmp_lt_f64_e32 vcc, v[220:221], v[222:223]
	v_add_u32_e32 v211, 16, v211
	s_cmp_lg_u32 s20, s16
	v_cndmask_b32_e32 v201, v201, v217, vcc
	v_cndmask_b32_e32 v200, v200, v216, vcc
	;; [unrolled: 1-line block ×5, first 2 shown]
	s_cbranch_scc1 .LBB98_547
.LBB98_548:
	s_waitcnt lgkmcnt(0)
	v_cmp_eq_f64_e32 vcc, 0, v[200:201]
	v_cmp_eq_f64_e64 s[0:1], 0, v[202:203]
	s_and_b64 s[0:1], vcc, s[0:1]
	s_and_saveexec_b64 s[16:17], s[0:1]
	s_xor_b64 s[0:1], exec, s[16:17]
; %bb.549:
	v_cmp_ne_u32_e32 vcc, 0, v214
	s_nop 1
	v_cndmask_b32_e32 v214, 27, v214, vcc
; %bb.550:
	s_andn2_saveexec_b64 s[0:1], s[0:1]
	s_cbranch_execz .LBB98_556
; %bb.551:
	v_cmp_ngt_f64_e64 s[16:17], |v[200:201]|, |v[202:203]|
	s_and_saveexec_b64 s[18:19], s[16:17]
	s_xor_b64 s[16:17], exec, s[18:19]
	s_cbranch_execz .LBB98_553
; %bb.552:
	v_div_scale_f64 v[216:217], s[18:19], v[202:203], v[202:203], v[200:201]
	v_rcp_f64_e32 v[218:219], v[216:217]
	v_div_scale_f64 v[220:221], vcc, v[200:201], v[202:203], v[200:201]
	v_fma_f64 v[222:223], -v[216:217], v[218:219], 1.0
	v_fmac_f64_e32 v[218:219], v[218:219], v[222:223]
	v_fma_f64 v[222:223], -v[216:217], v[218:219], 1.0
	v_fmac_f64_e32 v[218:219], v[218:219], v[222:223]
	v_mul_f64 v[222:223], v[220:221], v[218:219]
	v_fma_f64 v[216:217], -v[216:217], v[222:223], v[220:221]
	v_div_fmas_f64 v[216:217], v[216:217], v[218:219], v[222:223]
	v_div_fixup_f64 v[216:217], v[216:217], v[202:203], v[200:201]
	v_fmac_f64_e32 v[202:203], v[200:201], v[216:217]
	v_div_scale_f64 v[200:201], s[18:19], v[202:203], v[202:203], 1.0
	v_rcp_f64_e32 v[218:219], v[200:201]
	s_nop 0
	v_fma_f64 v[220:221], -v[200:201], v[218:219], 1.0
	v_fmac_f64_e32 v[218:219], v[218:219], v[220:221]
	v_fma_f64 v[220:221], -v[200:201], v[218:219], 1.0
	v_fmac_f64_e32 v[218:219], v[218:219], v[220:221]
	v_div_scale_f64 v[220:221], vcc, 1.0, v[202:203], 1.0
	v_mul_f64 v[222:223], v[220:221], v[218:219]
	v_fma_f64 v[200:201], -v[200:201], v[222:223], v[220:221]
	s_nop 1
	v_div_fmas_f64 v[200:201], v[200:201], v[218:219], v[222:223]
	v_div_fixup_f64 v[202:203], v[200:201], v[202:203], 1.0
	v_mul_f64 v[200:201], v[216:217], v[202:203]
	v_xor_b32_e32 v203, 0x80000000, v203
.LBB98_553:
	s_andn2_saveexec_b64 s[16:17], s[16:17]
	s_cbranch_execz .LBB98_555
; %bb.554:
	v_div_scale_f64 v[216:217], s[18:19], v[200:201], v[200:201], v[202:203]
	v_rcp_f64_e32 v[218:219], v[216:217]
	v_div_scale_f64 v[220:221], vcc, v[202:203], v[200:201], v[202:203]
	v_fma_f64 v[222:223], -v[216:217], v[218:219], 1.0
	v_fmac_f64_e32 v[218:219], v[218:219], v[222:223]
	v_fma_f64 v[222:223], -v[216:217], v[218:219], 1.0
	v_fmac_f64_e32 v[218:219], v[218:219], v[222:223]
	v_mul_f64 v[222:223], v[220:221], v[218:219]
	v_fma_f64 v[216:217], -v[216:217], v[222:223], v[220:221]
	v_div_fmas_f64 v[216:217], v[216:217], v[218:219], v[222:223]
	v_div_fixup_f64 v[216:217], v[216:217], v[200:201], v[202:203]
	v_fmac_f64_e32 v[200:201], v[202:203], v[216:217]
	v_div_scale_f64 v[202:203], s[18:19], v[200:201], v[200:201], 1.0
	v_rcp_f64_e32 v[218:219], v[202:203]
	s_nop 0
	v_fma_f64 v[220:221], -v[202:203], v[218:219], 1.0
	v_fmac_f64_e32 v[218:219], v[218:219], v[220:221]
	v_fma_f64 v[220:221], -v[202:203], v[218:219], 1.0
	v_fmac_f64_e32 v[218:219], v[218:219], v[220:221]
	v_div_scale_f64 v[220:221], vcc, 1.0, v[200:201], 1.0
	v_mul_f64 v[222:223], v[220:221], v[218:219]
	v_fma_f64 v[202:203], -v[202:203], v[222:223], v[220:221]
	s_nop 1
	v_div_fmas_f64 v[202:203], v[202:203], v[218:219], v[222:223]
	v_div_fixup_f64 v[200:201], v[202:203], v[200:201], 1.0
	v_mul_f64 v[202:203], v[216:217], -v[200:201]
.LBB98_555:
	s_or_b64 exec, exec, s[16:17]
.LBB98_556:
	s_or_b64 exec, exec, s[0:1]
	v_cmp_ne_u32_e32 vcc, v213, v210
	s_and_saveexec_b64 s[0:1], vcc
	s_xor_b64 s[0:1], exec, s[0:1]
	s_cbranch_execz .LBB98_562
; %bb.557:
	v_cmp_eq_u32_e32 vcc, 26, v213
	s_and_saveexec_b64 s[16:17], vcc
	s_cbranch_execz .LBB98_561
; %bb.558:
	v_cmp_ne_u32_e32 vcc, 26, v210
	s_xor_b64 s[18:19], s[14:15], -1
	s_and_b64 s[22:23], s[18:19], vcc
	s_and_saveexec_b64 s[18:19], s[22:23]
	s_cbranch_execz .LBB98_560
; %bb.559:
	v_ashrrev_i32_e32 v211, 31, v210
	v_lshl_add_u64 v[216:217], v[210:211], 2, v[208:209]
	global_load_dword v211, v[216:217], off
	global_load_dword v213, v[208:209], off offset:104
	s_waitcnt vmcnt(1)
	global_store_dword v[208:209], v211, off offset:104
	s_waitcnt vmcnt(1)
	global_store_dword v[216:217], v213, off
.LBB98_560:
	s_or_b64 exec, exec, s[18:19]
	v_mov_b32_e32 v213, v210
	v_mov_b32_e32 v215, v210
.LBB98_561:
	s_or_b64 exec, exec, s[16:17]
.LBB98_562:
	s_andn2_saveexec_b64 s[0:1], s[0:1]
	s_cbranch_execz .LBB98_564
; %bb.563:
	v_mov_b32_e32 v213, 26
	s_waitcnt vmcnt(22)
	ds_write2_b64 v212, v[84:85], v[86:87] offset0:54 offset1:55
	s_waitcnt vmcnt(21)
	ds_write2_b64 v212, v[80:81], v[82:83] offset0:56 offset1:57
	;; [unrolled: 2-line block ×23, first 2 shown]
.LBB98_564:
	s_or_b64 exec, exec, s[0:1]
	v_cmp_lt_i32_e32 vcc, 26, v213
	s_waitcnt lgkmcnt(0)
	s_barrier
	s_and_saveexec_b64 s[0:1], vcc
	s_cbranch_execz .LBB98_566
; %bb.565:
	ds_read2_b64 v[216:219], v212 offset0:54 offset1:55
	v_mul_f64 v[210:211], v[202:203], v[90:91]
	v_mul_f64 v[90:91], v[200:201], v[90:91]
	v_fmac_f64_e32 v[90:91], v[202:203], v[88:89]
	v_fma_f64 v[210:211], v[200:201], v[88:89], -v[210:211]
	ds_read2_b64 v[200:203], v212 offset0:56 offset1:57
	s_waitcnt lgkmcnt(1)
	v_mul_f64 v[88:89], v[218:219], v[90:91]
	v_fma_f64 v[88:89], v[216:217], v[210:211], -v[88:89]
	v_mul_f64 v[216:217], v[216:217], v[90:91]
	v_fmac_f64_e32 v[216:217], v[218:219], v[210:211]
	s_waitcnt vmcnt(22)
	v_add_f64 v[86:87], v[86:87], -v[216:217]
	ds_read2_b64 v[216:219], v212 offset0:58 offset1:59
	v_add_f64 v[84:85], v[84:85], -v[88:89]
	s_waitcnt lgkmcnt(1)
	v_mul_f64 v[88:89], v[202:203], v[90:91]
	v_fma_f64 v[88:89], v[200:201], v[210:211], -v[88:89]
	v_mul_f64 v[200:201], v[200:201], v[90:91]
	v_fmac_f64_e32 v[200:201], v[202:203], v[210:211]
	s_waitcnt vmcnt(21)
	v_add_f64 v[80:81], v[80:81], -v[88:89]
	v_add_f64 v[82:83], v[82:83], -v[200:201]
	ds_read2_b64 v[200:203], v212 offset0:60 offset1:61
	s_waitcnt lgkmcnt(1)
	v_mul_f64 v[88:89], v[218:219], v[90:91]
	v_fma_f64 v[88:89], v[216:217], v[210:211], -v[88:89]
	v_mul_f64 v[216:217], v[216:217], v[90:91]
	v_fmac_f64_e32 v[216:217], v[218:219], v[210:211]
	s_waitcnt vmcnt(20)
	v_add_f64 v[78:79], v[78:79], -v[216:217]
	ds_read2_b64 v[216:219], v212 offset0:62 offset1:63
	v_add_f64 v[76:77], v[76:77], -v[88:89]
	s_waitcnt lgkmcnt(1)
	v_mul_f64 v[88:89], v[202:203], v[90:91]
	v_fma_f64 v[88:89], v[200:201], v[210:211], -v[88:89]
	v_mul_f64 v[200:201], v[200:201], v[90:91]
	v_fmac_f64_e32 v[200:201], v[202:203], v[210:211]
	s_waitcnt vmcnt(19)
	v_add_f64 v[72:73], v[72:73], -v[88:89]
	v_add_f64 v[74:75], v[74:75], -v[200:201]
	ds_read2_b64 v[200:203], v212 offset0:64 offset1:65
	s_waitcnt lgkmcnt(1)
	v_mul_f64 v[88:89], v[218:219], v[90:91]
	v_fma_f64 v[88:89], v[216:217], v[210:211], -v[88:89]
	v_mul_f64 v[216:217], v[216:217], v[90:91]
	v_fmac_f64_e32 v[216:217], v[218:219], v[210:211]
	s_waitcnt vmcnt(18)
	v_add_f64 v[70:71], v[70:71], -v[216:217]
	ds_read2_b64 v[216:219], v212 offset0:66 offset1:67
	v_add_f64 v[68:69], v[68:69], -v[88:89]
	s_waitcnt lgkmcnt(1)
	v_mul_f64 v[88:89], v[202:203], v[90:91]
	v_fma_f64 v[88:89], v[200:201], v[210:211], -v[88:89]
	v_mul_f64 v[200:201], v[200:201], v[90:91]
	v_fmac_f64_e32 v[200:201], v[202:203], v[210:211]
	s_waitcnt vmcnt(17)
	v_add_f64 v[64:65], v[64:65], -v[88:89]
	v_add_f64 v[66:67], v[66:67], -v[200:201]
	ds_read2_b64 v[200:203], v212 offset0:68 offset1:69
	s_waitcnt lgkmcnt(1)
	v_mul_f64 v[88:89], v[218:219], v[90:91]
	v_fma_f64 v[88:89], v[216:217], v[210:211], -v[88:89]
	v_mul_f64 v[216:217], v[216:217], v[90:91]
	v_fmac_f64_e32 v[216:217], v[218:219], v[210:211]
	s_waitcnt vmcnt(16)
	v_add_f64 v[62:63], v[62:63], -v[216:217]
	ds_read2_b64 v[216:219], v212 offset0:70 offset1:71
	v_add_f64 v[60:61], v[60:61], -v[88:89]
	s_waitcnt lgkmcnt(1)
	v_mul_f64 v[88:89], v[202:203], v[90:91]
	v_fma_f64 v[88:89], v[200:201], v[210:211], -v[88:89]
	v_mul_f64 v[200:201], v[200:201], v[90:91]
	v_fmac_f64_e32 v[200:201], v[202:203], v[210:211]
	s_waitcnt vmcnt(15)
	v_add_f64 v[56:57], v[56:57], -v[88:89]
	v_add_f64 v[58:59], v[58:59], -v[200:201]
	ds_read2_b64 v[200:203], v212 offset0:72 offset1:73
	s_waitcnt lgkmcnt(1)
	v_mul_f64 v[88:89], v[218:219], v[90:91]
	v_fma_f64 v[88:89], v[216:217], v[210:211], -v[88:89]
	v_mul_f64 v[216:217], v[216:217], v[90:91]
	v_fmac_f64_e32 v[216:217], v[218:219], v[210:211]
	s_waitcnt vmcnt(14)
	v_add_f64 v[54:55], v[54:55], -v[216:217]
	ds_read2_b64 v[216:219], v212 offset0:74 offset1:75
	v_add_f64 v[52:53], v[52:53], -v[88:89]
	s_waitcnt lgkmcnt(1)
	v_mul_f64 v[88:89], v[202:203], v[90:91]
	v_fma_f64 v[88:89], v[200:201], v[210:211], -v[88:89]
	v_mul_f64 v[200:201], v[200:201], v[90:91]
	v_fmac_f64_e32 v[200:201], v[202:203], v[210:211]
	s_waitcnt vmcnt(13)
	v_add_f64 v[48:49], v[48:49], -v[88:89]
	v_add_f64 v[50:51], v[50:51], -v[200:201]
	ds_read2_b64 v[200:203], v212 offset0:76 offset1:77
	s_waitcnt lgkmcnt(1)
	v_mul_f64 v[88:89], v[218:219], v[90:91]
	v_fma_f64 v[88:89], v[216:217], v[210:211], -v[88:89]
	v_mul_f64 v[216:217], v[216:217], v[90:91]
	v_fmac_f64_e32 v[216:217], v[218:219], v[210:211]
	s_waitcnt vmcnt(12)
	v_add_f64 v[46:47], v[46:47], -v[216:217]
	ds_read2_b64 v[216:219], v212 offset0:78 offset1:79
	v_add_f64 v[44:45], v[44:45], -v[88:89]
	s_waitcnt lgkmcnt(1)
	v_mul_f64 v[88:89], v[202:203], v[90:91]
	v_fma_f64 v[88:89], v[200:201], v[210:211], -v[88:89]
	v_mul_f64 v[200:201], v[200:201], v[90:91]
	v_fmac_f64_e32 v[200:201], v[202:203], v[210:211]
	s_waitcnt vmcnt(11)
	v_add_f64 v[40:41], v[40:41], -v[88:89]
	v_add_f64 v[42:43], v[42:43], -v[200:201]
	ds_read2_b64 v[200:203], v212 offset0:80 offset1:81
	s_waitcnt lgkmcnt(1)
	v_mul_f64 v[88:89], v[218:219], v[90:91]
	v_fma_f64 v[88:89], v[216:217], v[210:211], -v[88:89]
	v_mul_f64 v[216:217], v[216:217], v[90:91]
	v_fmac_f64_e32 v[216:217], v[218:219], v[210:211]
	s_waitcnt vmcnt(10)
	v_add_f64 v[38:39], v[38:39], -v[216:217]
	ds_read2_b64 v[216:219], v212 offset0:82 offset1:83
	v_add_f64 v[36:37], v[36:37], -v[88:89]
	s_waitcnt lgkmcnt(1)
	v_mul_f64 v[88:89], v[202:203], v[90:91]
	v_fma_f64 v[88:89], v[200:201], v[210:211], -v[88:89]
	v_mul_f64 v[200:201], v[200:201], v[90:91]
	v_fmac_f64_e32 v[200:201], v[202:203], v[210:211]
	s_waitcnt vmcnt(9)
	v_add_f64 v[32:33], v[32:33], -v[88:89]
	v_add_f64 v[34:35], v[34:35], -v[200:201]
	ds_read2_b64 v[200:203], v212 offset0:84 offset1:85
	s_waitcnt lgkmcnt(1)
	v_mul_f64 v[88:89], v[218:219], v[90:91]
	v_fma_f64 v[88:89], v[216:217], v[210:211], -v[88:89]
	v_mul_f64 v[216:217], v[216:217], v[90:91]
	v_fmac_f64_e32 v[216:217], v[218:219], v[210:211]
	s_waitcnt vmcnt(8)
	v_add_f64 v[30:31], v[30:31], -v[216:217]
	ds_read2_b64 v[216:219], v212 offset0:86 offset1:87
	v_add_f64 v[28:29], v[28:29], -v[88:89]
	s_waitcnt lgkmcnt(1)
	v_mul_f64 v[88:89], v[202:203], v[90:91]
	v_fma_f64 v[88:89], v[200:201], v[210:211], -v[88:89]
	v_mul_f64 v[200:201], v[200:201], v[90:91]
	v_fmac_f64_e32 v[200:201], v[202:203], v[210:211]
	s_waitcnt vmcnt(7)
	v_add_f64 v[24:25], v[24:25], -v[88:89]
	v_add_f64 v[26:27], v[26:27], -v[200:201]
	ds_read2_b64 v[200:203], v212 offset0:88 offset1:89
	s_waitcnt lgkmcnt(1)
	v_mul_f64 v[88:89], v[218:219], v[90:91]
	v_fma_f64 v[88:89], v[216:217], v[210:211], -v[88:89]
	v_mul_f64 v[216:217], v[216:217], v[90:91]
	v_fmac_f64_e32 v[216:217], v[218:219], v[210:211]
	s_waitcnt vmcnt(6)
	v_add_f64 v[22:23], v[22:23], -v[216:217]
	ds_read2_b64 v[216:219], v212 offset0:90 offset1:91
	v_add_f64 v[20:21], v[20:21], -v[88:89]
	s_waitcnt lgkmcnt(1)
	v_mul_f64 v[88:89], v[202:203], v[90:91]
	v_fma_f64 v[88:89], v[200:201], v[210:211], -v[88:89]
	v_mul_f64 v[200:201], v[200:201], v[90:91]
	v_fmac_f64_e32 v[200:201], v[202:203], v[210:211]
	s_waitcnt vmcnt(5)
	v_add_f64 v[16:17], v[16:17], -v[88:89]
	v_add_f64 v[18:19], v[18:19], -v[200:201]
	ds_read2_b64 v[200:203], v212 offset0:92 offset1:93
	s_waitcnt lgkmcnt(1)
	v_mul_f64 v[88:89], v[218:219], v[90:91]
	v_fma_f64 v[88:89], v[216:217], v[210:211], -v[88:89]
	v_mul_f64 v[216:217], v[216:217], v[90:91]
	v_fmac_f64_e32 v[216:217], v[218:219], v[210:211]
	s_waitcnt vmcnt(4)
	v_add_f64 v[14:15], v[14:15], -v[216:217]
	ds_read2_b64 v[216:219], v212 offset0:94 offset1:95
	v_add_f64 v[12:13], v[12:13], -v[88:89]
	s_waitcnt lgkmcnt(1)
	v_mul_f64 v[88:89], v[202:203], v[90:91]
	v_fma_f64 v[88:89], v[200:201], v[210:211], -v[88:89]
	v_mul_f64 v[200:201], v[200:201], v[90:91]
	v_fmac_f64_e32 v[200:201], v[202:203], v[210:211]
	s_waitcnt vmcnt(3)
	v_add_f64 v[8:9], v[8:9], -v[88:89]
	v_add_f64 v[10:11], v[10:11], -v[200:201]
	ds_read2_b64 v[200:203], v212 offset0:96 offset1:97
	s_waitcnt lgkmcnt(1)
	v_mul_f64 v[88:89], v[218:219], v[90:91]
	v_fma_f64 v[88:89], v[216:217], v[210:211], -v[88:89]
	v_mul_f64 v[216:217], v[216:217], v[90:91]
	v_fmac_f64_e32 v[216:217], v[218:219], v[210:211]
	s_waitcnt vmcnt(2)
	v_add_f64 v[6:7], v[6:7], -v[216:217]
	ds_read2_b64 v[216:219], v212 offset0:98 offset1:99
	v_add_f64 v[4:5], v[4:5], -v[88:89]
	s_waitcnt lgkmcnt(1)
	v_mul_f64 v[88:89], v[202:203], v[90:91]
	v_fma_f64 v[88:89], v[200:201], v[210:211], -v[88:89]
	v_mul_f64 v[200:201], v[200:201], v[90:91]
	v_fmac_f64_e32 v[200:201], v[202:203], v[210:211]
	s_waitcnt vmcnt(1)
	v_add_f64 v[0:1], v[0:1], -v[88:89]
	v_add_f64 v[2:3], v[2:3], -v[200:201]
	s_waitcnt lgkmcnt(0)
	v_mul_f64 v[88:89], v[218:219], v[90:91]
	v_mul_f64 v[200:201], v[216:217], v[90:91]
	v_fma_f64 v[88:89], v[216:217], v[210:211], -v[88:89]
	v_fmac_f64_e32 v[200:201], v[218:219], v[210:211]
	s_waitcnt vmcnt(0)
	v_add_f64 v[196:197], v[196:197], -v[88:89]
	v_add_f64 v[198:199], v[198:199], -v[200:201]
	v_mov_b64_e32 v[88:89], v[210:211]
.LBB98_566:
	s_or_b64 exec, exec, s[0:1]
	v_lshl_add_u32 v200, v213, 4, v212
	s_barrier
	s_waitcnt vmcnt(22)
	ds_write2_b64 v200, v[84:85], v[86:87] offset1:1
	s_waitcnt lgkmcnt(0)
	s_barrier
	ds_read2_b64 v[200:203], v212 offset0:54 offset1:55
	s_cmp_lt_i32 s20, 29
	v_mov_b32_e32 v210, 27
	s_cbranch_scc1 .LBB98_569
; %bb.567:
	v_add_u32_e32 v211, 0x1c0, v212
	s_mov_b32 s16, 28
	v_mov_b32_e32 v210, 27
.LBB98_568:                             ; =>This Inner Loop Header: Depth=1
	ds_read2_b64 v[216:219], v211 offset1:1
	s_waitcnt lgkmcnt(1)
	v_xor_b32_e32 v221, 0x80000000, v201
	v_xor_b32_e32 v223, 0x80000000, v203
	v_cmp_gt_f64_e32 vcc, 0, v[202:203]
	v_cmp_gt_f64_e64 s[0:1], 0, v[200:201]
	v_mov_b32_e32 v220, v200
	v_mov_b32_e32 v222, v202
	v_cndmask_b32_e64 v221, v201, v221, s[0:1]
	v_cndmask_b32_e32 v223, v203, v223, vcc
	v_add_f64 v[220:221], v[220:221], v[222:223]
	s_waitcnt lgkmcnt(0)
	v_xor_b32_e32 v223, 0x80000000, v217
	v_xor_b32_e32 v225, 0x80000000, v219
	v_cmp_gt_f64_e32 vcc, 0, v[218:219]
	v_cmp_gt_f64_e64 s[0:1], 0, v[216:217]
	v_mov_b32_e32 v222, v216
	v_mov_b32_e32 v224, v218
	v_cndmask_b32_e64 v223, v217, v223, s[0:1]
	v_cndmask_b32_e32 v225, v219, v225, vcc
	v_add_f64 v[222:223], v[222:223], v[224:225]
	v_mov_b32_e32 v226, s16
	s_add_i32 s16, s16, 1
	v_cmp_lt_f64_e32 vcc, v[220:221], v[222:223]
	v_add_u32_e32 v211, 16, v211
	s_cmp_lg_u32 s20, s16
	v_cndmask_b32_e32 v201, v201, v217, vcc
	v_cndmask_b32_e32 v200, v200, v216, vcc
	;; [unrolled: 1-line block ×5, first 2 shown]
	s_cbranch_scc1 .LBB98_568
.LBB98_569:
	s_waitcnt lgkmcnt(0)
	v_cmp_eq_f64_e32 vcc, 0, v[200:201]
	v_cmp_eq_f64_e64 s[0:1], 0, v[202:203]
	s_and_b64 s[0:1], vcc, s[0:1]
	s_and_saveexec_b64 s[16:17], s[0:1]
	s_xor_b64 s[0:1], exec, s[16:17]
; %bb.570:
	v_cmp_ne_u32_e32 vcc, 0, v214
	s_nop 1
	v_cndmask_b32_e32 v214, 28, v214, vcc
; %bb.571:
	s_andn2_saveexec_b64 s[0:1], s[0:1]
	s_cbranch_execz .LBB98_577
; %bb.572:
	v_cmp_ngt_f64_e64 s[16:17], |v[200:201]|, |v[202:203]|
	s_and_saveexec_b64 s[18:19], s[16:17]
	s_xor_b64 s[16:17], exec, s[18:19]
	s_cbranch_execz .LBB98_574
; %bb.573:
	v_div_scale_f64 v[216:217], s[18:19], v[202:203], v[202:203], v[200:201]
	v_rcp_f64_e32 v[218:219], v[216:217]
	v_div_scale_f64 v[220:221], vcc, v[200:201], v[202:203], v[200:201]
	v_fma_f64 v[222:223], -v[216:217], v[218:219], 1.0
	v_fmac_f64_e32 v[218:219], v[218:219], v[222:223]
	v_fma_f64 v[222:223], -v[216:217], v[218:219], 1.0
	v_fmac_f64_e32 v[218:219], v[218:219], v[222:223]
	v_mul_f64 v[222:223], v[220:221], v[218:219]
	v_fma_f64 v[216:217], -v[216:217], v[222:223], v[220:221]
	v_div_fmas_f64 v[216:217], v[216:217], v[218:219], v[222:223]
	v_div_fixup_f64 v[216:217], v[216:217], v[202:203], v[200:201]
	v_fmac_f64_e32 v[202:203], v[200:201], v[216:217]
	v_div_scale_f64 v[200:201], s[18:19], v[202:203], v[202:203], 1.0
	v_rcp_f64_e32 v[218:219], v[200:201]
	s_nop 0
	v_fma_f64 v[220:221], -v[200:201], v[218:219], 1.0
	v_fmac_f64_e32 v[218:219], v[218:219], v[220:221]
	v_fma_f64 v[220:221], -v[200:201], v[218:219], 1.0
	v_fmac_f64_e32 v[218:219], v[218:219], v[220:221]
	v_div_scale_f64 v[220:221], vcc, 1.0, v[202:203], 1.0
	v_mul_f64 v[222:223], v[220:221], v[218:219]
	v_fma_f64 v[200:201], -v[200:201], v[222:223], v[220:221]
	s_nop 1
	v_div_fmas_f64 v[200:201], v[200:201], v[218:219], v[222:223]
	v_div_fixup_f64 v[202:203], v[200:201], v[202:203], 1.0
	v_mul_f64 v[200:201], v[216:217], v[202:203]
	v_xor_b32_e32 v203, 0x80000000, v203
.LBB98_574:
	s_andn2_saveexec_b64 s[16:17], s[16:17]
	s_cbranch_execz .LBB98_576
; %bb.575:
	v_div_scale_f64 v[216:217], s[18:19], v[200:201], v[200:201], v[202:203]
	v_rcp_f64_e32 v[218:219], v[216:217]
	v_div_scale_f64 v[220:221], vcc, v[202:203], v[200:201], v[202:203]
	v_fma_f64 v[222:223], -v[216:217], v[218:219], 1.0
	v_fmac_f64_e32 v[218:219], v[218:219], v[222:223]
	v_fma_f64 v[222:223], -v[216:217], v[218:219], 1.0
	v_fmac_f64_e32 v[218:219], v[218:219], v[222:223]
	v_mul_f64 v[222:223], v[220:221], v[218:219]
	v_fma_f64 v[216:217], -v[216:217], v[222:223], v[220:221]
	v_div_fmas_f64 v[216:217], v[216:217], v[218:219], v[222:223]
	v_div_fixup_f64 v[216:217], v[216:217], v[200:201], v[202:203]
	v_fmac_f64_e32 v[200:201], v[202:203], v[216:217]
	v_div_scale_f64 v[202:203], s[18:19], v[200:201], v[200:201], 1.0
	v_rcp_f64_e32 v[218:219], v[202:203]
	s_nop 0
	v_fma_f64 v[220:221], -v[202:203], v[218:219], 1.0
	v_fmac_f64_e32 v[218:219], v[218:219], v[220:221]
	v_fma_f64 v[220:221], -v[202:203], v[218:219], 1.0
	v_fmac_f64_e32 v[218:219], v[218:219], v[220:221]
	v_div_scale_f64 v[220:221], vcc, 1.0, v[200:201], 1.0
	v_mul_f64 v[222:223], v[220:221], v[218:219]
	v_fma_f64 v[202:203], -v[202:203], v[222:223], v[220:221]
	s_nop 1
	v_div_fmas_f64 v[202:203], v[202:203], v[218:219], v[222:223]
	v_div_fixup_f64 v[200:201], v[202:203], v[200:201], 1.0
	v_mul_f64 v[202:203], v[216:217], -v[200:201]
.LBB98_576:
	s_or_b64 exec, exec, s[16:17]
.LBB98_577:
	s_or_b64 exec, exec, s[0:1]
	v_cmp_ne_u32_e32 vcc, v213, v210
	s_and_saveexec_b64 s[0:1], vcc
	s_xor_b64 s[0:1], exec, s[0:1]
	s_cbranch_execz .LBB98_583
; %bb.578:
	v_cmp_eq_u32_e32 vcc, 27, v213
	s_and_saveexec_b64 s[16:17], vcc
	s_cbranch_execz .LBB98_582
; %bb.579:
	v_cmp_ne_u32_e32 vcc, 27, v210
	s_xor_b64 s[18:19], s[14:15], -1
	s_and_b64 s[22:23], s[18:19], vcc
	s_and_saveexec_b64 s[18:19], s[22:23]
	s_cbranch_execz .LBB98_581
; %bb.580:
	v_ashrrev_i32_e32 v211, 31, v210
	v_lshl_add_u64 v[216:217], v[210:211], 2, v[208:209]
	global_load_dword v211, v[216:217], off
	global_load_dword v213, v[208:209], off offset:108
	s_waitcnt vmcnt(1)
	global_store_dword v[208:209], v211, off offset:108
	s_waitcnt vmcnt(1)
	global_store_dword v[216:217], v213, off
.LBB98_581:
	s_or_b64 exec, exec, s[18:19]
	v_mov_b32_e32 v213, v210
	v_mov_b32_e32 v215, v210
.LBB98_582:
	s_or_b64 exec, exec, s[16:17]
.LBB98_583:
	s_andn2_saveexec_b64 s[0:1], s[0:1]
	s_cbranch_execz .LBB98_585
; %bb.584:
	v_mov_b32_e32 v213, 27
	s_waitcnt vmcnt(21)
	ds_write2_b64 v212, v[80:81], v[82:83] offset0:56 offset1:57
	s_waitcnt vmcnt(20)
	ds_write2_b64 v212, v[76:77], v[78:79] offset0:58 offset1:59
	s_waitcnt vmcnt(19)
	ds_write2_b64 v212, v[72:73], v[74:75] offset0:60 offset1:61
	s_waitcnt vmcnt(18)
	ds_write2_b64 v212, v[68:69], v[70:71] offset0:62 offset1:63
	s_waitcnt vmcnt(17)
	ds_write2_b64 v212, v[64:65], v[66:67] offset0:64 offset1:65
	s_waitcnt vmcnt(16)
	ds_write2_b64 v212, v[60:61], v[62:63] offset0:66 offset1:67
	s_waitcnt vmcnt(15)
	ds_write2_b64 v212, v[56:57], v[58:59] offset0:68 offset1:69
	s_waitcnt vmcnt(14)
	ds_write2_b64 v212, v[52:53], v[54:55] offset0:70 offset1:71
	s_waitcnt vmcnt(13)
	ds_write2_b64 v212, v[48:49], v[50:51] offset0:72 offset1:73
	s_waitcnt vmcnt(12)
	ds_write2_b64 v212, v[44:45], v[46:47] offset0:74 offset1:75
	s_waitcnt vmcnt(11)
	ds_write2_b64 v212, v[40:41], v[42:43] offset0:76 offset1:77
	s_waitcnt vmcnt(10)
	ds_write2_b64 v212, v[36:37], v[38:39] offset0:78 offset1:79
	s_waitcnt vmcnt(9)
	ds_write2_b64 v212, v[32:33], v[34:35] offset0:80 offset1:81
	s_waitcnt vmcnt(8)
	ds_write2_b64 v212, v[28:29], v[30:31] offset0:82 offset1:83
	s_waitcnt vmcnt(7)
	ds_write2_b64 v212, v[24:25], v[26:27] offset0:84 offset1:85
	s_waitcnt vmcnt(6)
	ds_write2_b64 v212, v[20:21], v[22:23] offset0:86 offset1:87
	s_waitcnt vmcnt(5)
	ds_write2_b64 v212, v[16:17], v[18:19] offset0:88 offset1:89
	s_waitcnt vmcnt(4)
	ds_write2_b64 v212, v[12:13], v[14:15] offset0:90 offset1:91
	s_waitcnt vmcnt(3)
	ds_write2_b64 v212, v[8:9], v[10:11] offset0:92 offset1:93
	s_waitcnt vmcnt(2)
	ds_write2_b64 v212, v[4:5], v[6:7] offset0:94 offset1:95
	s_waitcnt vmcnt(1)
	ds_write2_b64 v212, v[0:1], v[2:3] offset0:96 offset1:97
	s_waitcnt vmcnt(0)
	ds_write2_b64 v212, v[196:197], v[198:199] offset0:98 offset1:99
.LBB98_585:
	s_or_b64 exec, exec, s[0:1]
	v_cmp_lt_i32_e32 vcc, 27, v213
	s_waitcnt lgkmcnt(0)
	s_barrier
	s_and_saveexec_b64 s[0:1], vcc
	s_cbranch_execz .LBB98_587
; %bb.586:
	ds_read2_b64 v[216:219], v212 offset0:56 offset1:57
	v_mul_f64 v[210:211], v[202:203], v[86:87]
	v_mul_f64 v[86:87], v[200:201], v[86:87]
	v_fma_f64 v[210:211], v[200:201], v[84:85], -v[210:211]
	v_fmac_f64_e32 v[86:87], v[202:203], v[84:85]
	ds_read2_b64 v[200:203], v212 offset0:58 offset1:59
	s_waitcnt lgkmcnt(1)
	v_mul_f64 v[84:85], v[218:219], v[86:87]
	v_fma_f64 v[84:85], v[216:217], v[210:211], -v[84:85]
	v_mul_f64 v[216:217], v[216:217], v[86:87]
	v_fmac_f64_e32 v[216:217], v[218:219], v[210:211]
	s_waitcnt vmcnt(21)
	v_add_f64 v[80:81], v[80:81], -v[84:85]
	s_waitcnt lgkmcnt(0)
	v_mul_f64 v[84:85], v[202:203], v[86:87]
	v_add_f64 v[82:83], v[82:83], -v[216:217]
	v_fma_f64 v[84:85], v[200:201], v[210:211], -v[84:85]
	v_mul_f64 v[200:201], v[200:201], v[86:87]
	ds_read2_b64 v[216:219], v212 offset0:60 offset1:61
	v_fmac_f64_e32 v[200:201], v[202:203], v[210:211]
	s_waitcnt vmcnt(20)
	v_add_f64 v[78:79], v[78:79], -v[200:201]
	ds_read2_b64 v[200:203], v212 offset0:62 offset1:63
	v_add_f64 v[76:77], v[76:77], -v[84:85]
	s_waitcnt lgkmcnt(1)
	v_mul_f64 v[84:85], v[218:219], v[86:87]
	v_fma_f64 v[84:85], v[216:217], v[210:211], -v[84:85]
	v_mul_f64 v[216:217], v[216:217], v[86:87]
	v_fmac_f64_e32 v[216:217], v[218:219], v[210:211]
	s_waitcnt vmcnt(19)
	v_add_f64 v[72:73], v[72:73], -v[84:85]
	s_waitcnt lgkmcnt(0)
	v_mul_f64 v[84:85], v[202:203], v[86:87]
	v_add_f64 v[74:75], v[74:75], -v[216:217]
	v_fma_f64 v[84:85], v[200:201], v[210:211], -v[84:85]
	v_mul_f64 v[200:201], v[200:201], v[86:87]
	ds_read2_b64 v[216:219], v212 offset0:64 offset1:65
	v_fmac_f64_e32 v[200:201], v[202:203], v[210:211]
	s_waitcnt vmcnt(18)
	v_add_f64 v[70:71], v[70:71], -v[200:201]
	ds_read2_b64 v[200:203], v212 offset0:66 offset1:67
	v_add_f64 v[68:69], v[68:69], -v[84:85]
	;; [unrolled: 18-line block ×10, first 2 shown]
	s_waitcnt lgkmcnt(1)
	v_mul_f64 v[84:85], v[218:219], v[86:87]
	v_fma_f64 v[84:85], v[216:217], v[210:211], -v[84:85]
	s_waitcnt vmcnt(1)
	v_add_f64 v[0:1], v[0:1], -v[84:85]
	s_waitcnt lgkmcnt(0)
	v_mul_f64 v[84:85], v[202:203], v[86:87]
	v_mul_f64 v[216:217], v[216:217], v[86:87]
	v_fma_f64 v[84:85], v[200:201], v[210:211], -v[84:85]
	v_mul_f64 v[200:201], v[200:201], v[86:87]
	v_fmac_f64_e32 v[216:217], v[218:219], v[210:211]
	v_fmac_f64_e32 v[200:201], v[202:203], v[210:211]
	v_add_f64 v[2:3], v[2:3], -v[216:217]
	s_waitcnt vmcnt(0)
	v_add_f64 v[196:197], v[196:197], -v[84:85]
	v_add_f64 v[198:199], v[198:199], -v[200:201]
	v_mov_b64_e32 v[84:85], v[210:211]
.LBB98_587:
	s_or_b64 exec, exec, s[0:1]
	v_lshl_add_u32 v200, v213, 4, v212
	s_barrier
	s_waitcnt vmcnt(21)
	ds_write2_b64 v200, v[80:81], v[82:83] offset1:1
	s_waitcnt lgkmcnt(0)
	s_barrier
	ds_read2_b64 v[200:203], v212 offset0:56 offset1:57
	s_cmp_lt_i32 s20, 30
	v_mov_b32_e32 v210, 28
	s_cbranch_scc1 .LBB98_590
; %bb.588:
	v_add_u32_e32 v211, 0x1d0, v212
	s_mov_b32 s16, 29
	v_mov_b32_e32 v210, 28
.LBB98_589:                             ; =>This Inner Loop Header: Depth=1
	ds_read2_b64 v[216:219], v211 offset1:1
	s_waitcnt lgkmcnt(1)
	v_xor_b32_e32 v221, 0x80000000, v201
	v_xor_b32_e32 v223, 0x80000000, v203
	v_cmp_gt_f64_e32 vcc, 0, v[202:203]
	v_cmp_gt_f64_e64 s[0:1], 0, v[200:201]
	v_mov_b32_e32 v220, v200
	v_mov_b32_e32 v222, v202
	v_cndmask_b32_e64 v221, v201, v221, s[0:1]
	v_cndmask_b32_e32 v223, v203, v223, vcc
	v_add_f64 v[220:221], v[220:221], v[222:223]
	s_waitcnt lgkmcnt(0)
	v_xor_b32_e32 v223, 0x80000000, v217
	v_xor_b32_e32 v225, 0x80000000, v219
	v_cmp_gt_f64_e32 vcc, 0, v[218:219]
	v_cmp_gt_f64_e64 s[0:1], 0, v[216:217]
	v_mov_b32_e32 v222, v216
	v_mov_b32_e32 v224, v218
	v_cndmask_b32_e64 v223, v217, v223, s[0:1]
	v_cndmask_b32_e32 v225, v219, v225, vcc
	v_add_f64 v[222:223], v[222:223], v[224:225]
	v_mov_b32_e32 v226, s16
	s_add_i32 s16, s16, 1
	v_cmp_lt_f64_e32 vcc, v[220:221], v[222:223]
	v_add_u32_e32 v211, 16, v211
	s_cmp_lg_u32 s20, s16
	v_cndmask_b32_e32 v201, v201, v217, vcc
	v_cndmask_b32_e32 v200, v200, v216, vcc
	v_cndmask_b32_e32 v203, v203, v219, vcc
	v_cndmask_b32_e32 v202, v202, v218, vcc
	v_cndmask_b32_e32 v210, v210, v226, vcc
	s_cbranch_scc1 .LBB98_589
.LBB98_590:
	s_waitcnt lgkmcnt(0)
	v_cmp_eq_f64_e32 vcc, 0, v[200:201]
	v_cmp_eq_f64_e64 s[0:1], 0, v[202:203]
	s_and_b64 s[0:1], vcc, s[0:1]
	s_and_saveexec_b64 s[16:17], s[0:1]
	s_xor_b64 s[0:1], exec, s[16:17]
; %bb.591:
	v_cmp_ne_u32_e32 vcc, 0, v214
	s_nop 1
	v_cndmask_b32_e32 v214, 29, v214, vcc
; %bb.592:
	s_andn2_saveexec_b64 s[0:1], s[0:1]
	s_cbranch_execz .LBB98_598
; %bb.593:
	v_cmp_ngt_f64_e64 s[16:17], |v[200:201]|, |v[202:203]|
	s_and_saveexec_b64 s[18:19], s[16:17]
	s_xor_b64 s[16:17], exec, s[18:19]
	s_cbranch_execz .LBB98_595
; %bb.594:
	v_div_scale_f64 v[216:217], s[18:19], v[202:203], v[202:203], v[200:201]
	v_rcp_f64_e32 v[218:219], v[216:217]
	v_div_scale_f64 v[220:221], vcc, v[200:201], v[202:203], v[200:201]
	v_fma_f64 v[222:223], -v[216:217], v[218:219], 1.0
	v_fmac_f64_e32 v[218:219], v[218:219], v[222:223]
	v_fma_f64 v[222:223], -v[216:217], v[218:219], 1.0
	v_fmac_f64_e32 v[218:219], v[218:219], v[222:223]
	v_mul_f64 v[222:223], v[220:221], v[218:219]
	v_fma_f64 v[216:217], -v[216:217], v[222:223], v[220:221]
	v_div_fmas_f64 v[216:217], v[216:217], v[218:219], v[222:223]
	v_div_fixup_f64 v[216:217], v[216:217], v[202:203], v[200:201]
	v_fmac_f64_e32 v[202:203], v[200:201], v[216:217]
	v_div_scale_f64 v[200:201], s[18:19], v[202:203], v[202:203], 1.0
	v_rcp_f64_e32 v[218:219], v[200:201]
	s_nop 0
	v_fma_f64 v[220:221], -v[200:201], v[218:219], 1.0
	v_fmac_f64_e32 v[218:219], v[218:219], v[220:221]
	v_fma_f64 v[220:221], -v[200:201], v[218:219], 1.0
	v_fmac_f64_e32 v[218:219], v[218:219], v[220:221]
	v_div_scale_f64 v[220:221], vcc, 1.0, v[202:203], 1.0
	v_mul_f64 v[222:223], v[220:221], v[218:219]
	v_fma_f64 v[200:201], -v[200:201], v[222:223], v[220:221]
	s_nop 1
	v_div_fmas_f64 v[200:201], v[200:201], v[218:219], v[222:223]
	v_div_fixup_f64 v[202:203], v[200:201], v[202:203], 1.0
	v_mul_f64 v[200:201], v[216:217], v[202:203]
	v_xor_b32_e32 v203, 0x80000000, v203
.LBB98_595:
	s_andn2_saveexec_b64 s[16:17], s[16:17]
	s_cbranch_execz .LBB98_597
; %bb.596:
	v_div_scale_f64 v[216:217], s[18:19], v[200:201], v[200:201], v[202:203]
	v_rcp_f64_e32 v[218:219], v[216:217]
	v_div_scale_f64 v[220:221], vcc, v[202:203], v[200:201], v[202:203]
	v_fma_f64 v[222:223], -v[216:217], v[218:219], 1.0
	v_fmac_f64_e32 v[218:219], v[218:219], v[222:223]
	v_fma_f64 v[222:223], -v[216:217], v[218:219], 1.0
	v_fmac_f64_e32 v[218:219], v[218:219], v[222:223]
	v_mul_f64 v[222:223], v[220:221], v[218:219]
	v_fma_f64 v[216:217], -v[216:217], v[222:223], v[220:221]
	v_div_fmas_f64 v[216:217], v[216:217], v[218:219], v[222:223]
	v_div_fixup_f64 v[216:217], v[216:217], v[200:201], v[202:203]
	v_fmac_f64_e32 v[200:201], v[202:203], v[216:217]
	v_div_scale_f64 v[202:203], s[18:19], v[200:201], v[200:201], 1.0
	v_rcp_f64_e32 v[218:219], v[202:203]
	s_nop 0
	v_fma_f64 v[220:221], -v[202:203], v[218:219], 1.0
	v_fmac_f64_e32 v[218:219], v[218:219], v[220:221]
	v_fma_f64 v[220:221], -v[202:203], v[218:219], 1.0
	v_fmac_f64_e32 v[218:219], v[218:219], v[220:221]
	v_div_scale_f64 v[220:221], vcc, 1.0, v[200:201], 1.0
	v_mul_f64 v[222:223], v[220:221], v[218:219]
	v_fma_f64 v[202:203], -v[202:203], v[222:223], v[220:221]
	s_nop 1
	v_div_fmas_f64 v[202:203], v[202:203], v[218:219], v[222:223]
	v_div_fixup_f64 v[200:201], v[202:203], v[200:201], 1.0
	v_mul_f64 v[202:203], v[216:217], -v[200:201]
.LBB98_597:
	s_or_b64 exec, exec, s[16:17]
.LBB98_598:
	s_or_b64 exec, exec, s[0:1]
	v_cmp_ne_u32_e32 vcc, v213, v210
	s_and_saveexec_b64 s[0:1], vcc
	s_xor_b64 s[0:1], exec, s[0:1]
	s_cbranch_execz .LBB98_604
; %bb.599:
	v_cmp_eq_u32_e32 vcc, 28, v213
	s_and_saveexec_b64 s[16:17], vcc
	s_cbranch_execz .LBB98_603
; %bb.600:
	v_cmp_ne_u32_e32 vcc, 28, v210
	s_xor_b64 s[18:19], s[14:15], -1
	s_and_b64 s[22:23], s[18:19], vcc
	s_and_saveexec_b64 s[18:19], s[22:23]
	s_cbranch_execz .LBB98_602
; %bb.601:
	v_ashrrev_i32_e32 v211, 31, v210
	v_lshl_add_u64 v[216:217], v[210:211], 2, v[208:209]
	global_load_dword v211, v[216:217], off
	global_load_dword v213, v[208:209], off offset:112
	s_waitcnt vmcnt(1)
	global_store_dword v[208:209], v211, off offset:112
	s_waitcnt vmcnt(1)
	global_store_dword v[216:217], v213, off
.LBB98_602:
	s_or_b64 exec, exec, s[18:19]
	v_mov_b32_e32 v213, v210
	v_mov_b32_e32 v215, v210
.LBB98_603:
	s_or_b64 exec, exec, s[16:17]
.LBB98_604:
	s_andn2_saveexec_b64 s[0:1], s[0:1]
	s_cbranch_execz .LBB98_606
; %bb.605:
	v_mov_b32_e32 v213, 28
	s_waitcnt vmcnt(20)
	ds_write2_b64 v212, v[76:77], v[78:79] offset0:58 offset1:59
	s_waitcnt vmcnt(19)
	ds_write2_b64 v212, v[72:73], v[74:75] offset0:60 offset1:61
	;; [unrolled: 2-line block ×21, first 2 shown]
.LBB98_606:
	s_or_b64 exec, exec, s[0:1]
	v_cmp_lt_i32_e32 vcc, 28, v213
	s_waitcnt lgkmcnt(0)
	s_barrier
	s_and_saveexec_b64 s[0:1], vcc
	s_cbranch_execz .LBB98_608
; %bb.607:
	ds_read2_b64 v[216:219], v212 offset0:58 offset1:59
	v_mul_f64 v[210:211], v[202:203], v[82:83]
	v_mul_f64 v[82:83], v[200:201], v[82:83]
	v_fmac_f64_e32 v[82:83], v[202:203], v[80:81]
	v_fma_f64 v[210:211], v[200:201], v[80:81], -v[210:211]
	ds_read2_b64 v[200:203], v212 offset0:60 offset1:61
	s_waitcnt lgkmcnt(1)
	v_mul_f64 v[80:81], v[218:219], v[82:83]
	v_fma_f64 v[80:81], v[216:217], v[210:211], -v[80:81]
	v_mul_f64 v[216:217], v[216:217], v[82:83]
	v_fmac_f64_e32 v[216:217], v[218:219], v[210:211]
	s_waitcnt vmcnt(20)
	v_add_f64 v[78:79], v[78:79], -v[216:217]
	ds_read2_b64 v[216:219], v212 offset0:62 offset1:63
	v_add_f64 v[76:77], v[76:77], -v[80:81]
	s_waitcnt lgkmcnt(1)
	v_mul_f64 v[80:81], v[202:203], v[82:83]
	v_fma_f64 v[80:81], v[200:201], v[210:211], -v[80:81]
	v_mul_f64 v[200:201], v[200:201], v[82:83]
	v_fmac_f64_e32 v[200:201], v[202:203], v[210:211]
	s_waitcnt vmcnt(19)
	v_add_f64 v[72:73], v[72:73], -v[80:81]
	v_add_f64 v[74:75], v[74:75], -v[200:201]
	ds_read2_b64 v[200:203], v212 offset0:64 offset1:65
	s_waitcnt lgkmcnt(1)
	v_mul_f64 v[80:81], v[218:219], v[82:83]
	v_fma_f64 v[80:81], v[216:217], v[210:211], -v[80:81]
	v_mul_f64 v[216:217], v[216:217], v[82:83]
	v_fmac_f64_e32 v[216:217], v[218:219], v[210:211]
	s_waitcnt vmcnt(18)
	v_add_f64 v[70:71], v[70:71], -v[216:217]
	ds_read2_b64 v[216:219], v212 offset0:66 offset1:67
	v_add_f64 v[68:69], v[68:69], -v[80:81]
	s_waitcnt lgkmcnt(1)
	v_mul_f64 v[80:81], v[202:203], v[82:83]
	v_fma_f64 v[80:81], v[200:201], v[210:211], -v[80:81]
	v_mul_f64 v[200:201], v[200:201], v[82:83]
	v_fmac_f64_e32 v[200:201], v[202:203], v[210:211]
	s_waitcnt vmcnt(17)
	v_add_f64 v[64:65], v[64:65], -v[80:81]
	v_add_f64 v[66:67], v[66:67], -v[200:201]
	;; [unrolled: 18-line block ×10, first 2 shown]
	s_waitcnt lgkmcnt(0)
	v_mul_f64 v[80:81], v[218:219], v[82:83]
	v_mul_f64 v[200:201], v[216:217], v[82:83]
	v_fma_f64 v[80:81], v[216:217], v[210:211], -v[80:81]
	v_fmac_f64_e32 v[200:201], v[218:219], v[210:211]
	s_waitcnt vmcnt(0)
	v_add_f64 v[196:197], v[196:197], -v[80:81]
	v_add_f64 v[198:199], v[198:199], -v[200:201]
	v_mov_b64_e32 v[80:81], v[210:211]
.LBB98_608:
	s_or_b64 exec, exec, s[0:1]
	v_lshl_add_u32 v200, v213, 4, v212
	s_barrier
	s_waitcnt vmcnt(20)
	ds_write2_b64 v200, v[76:77], v[78:79] offset1:1
	s_waitcnt lgkmcnt(0)
	s_barrier
	ds_read2_b64 v[200:203], v212 offset0:58 offset1:59
	s_cmp_lt_i32 s20, 31
	v_mov_b32_e32 v210, 29
	s_cbranch_scc1 .LBB98_611
; %bb.609:
	v_add_u32_e32 v211, 0x1e0, v212
	s_mov_b32 s16, 30
	v_mov_b32_e32 v210, 29
.LBB98_610:                             ; =>This Inner Loop Header: Depth=1
	ds_read2_b64 v[216:219], v211 offset1:1
	s_waitcnt lgkmcnt(1)
	v_xor_b32_e32 v221, 0x80000000, v201
	v_xor_b32_e32 v223, 0x80000000, v203
	v_cmp_gt_f64_e32 vcc, 0, v[202:203]
	v_cmp_gt_f64_e64 s[0:1], 0, v[200:201]
	v_mov_b32_e32 v220, v200
	v_mov_b32_e32 v222, v202
	v_cndmask_b32_e64 v221, v201, v221, s[0:1]
	v_cndmask_b32_e32 v223, v203, v223, vcc
	v_add_f64 v[220:221], v[220:221], v[222:223]
	s_waitcnt lgkmcnt(0)
	v_xor_b32_e32 v223, 0x80000000, v217
	v_xor_b32_e32 v225, 0x80000000, v219
	v_cmp_gt_f64_e32 vcc, 0, v[218:219]
	v_cmp_gt_f64_e64 s[0:1], 0, v[216:217]
	v_mov_b32_e32 v222, v216
	v_mov_b32_e32 v224, v218
	v_cndmask_b32_e64 v223, v217, v223, s[0:1]
	v_cndmask_b32_e32 v225, v219, v225, vcc
	v_add_f64 v[222:223], v[222:223], v[224:225]
	v_mov_b32_e32 v226, s16
	s_add_i32 s16, s16, 1
	v_cmp_lt_f64_e32 vcc, v[220:221], v[222:223]
	v_add_u32_e32 v211, 16, v211
	s_cmp_lg_u32 s20, s16
	v_cndmask_b32_e32 v201, v201, v217, vcc
	v_cndmask_b32_e32 v200, v200, v216, vcc
	;; [unrolled: 1-line block ×5, first 2 shown]
	s_cbranch_scc1 .LBB98_610
.LBB98_611:
	s_waitcnt lgkmcnt(0)
	v_cmp_eq_f64_e32 vcc, 0, v[200:201]
	v_cmp_eq_f64_e64 s[0:1], 0, v[202:203]
	s_and_b64 s[0:1], vcc, s[0:1]
	s_and_saveexec_b64 s[16:17], s[0:1]
	s_xor_b64 s[0:1], exec, s[16:17]
; %bb.612:
	v_cmp_ne_u32_e32 vcc, 0, v214
	s_nop 1
	v_cndmask_b32_e32 v214, 30, v214, vcc
; %bb.613:
	s_andn2_saveexec_b64 s[0:1], s[0:1]
	s_cbranch_execz .LBB98_619
; %bb.614:
	v_cmp_ngt_f64_e64 s[16:17], |v[200:201]|, |v[202:203]|
	s_and_saveexec_b64 s[18:19], s[16:17]
	s_xor_b64 s[16:17], exec, s[18:19]
	s_cbranch_execz .LBB98_616
; %bb.615:
	v_div_scale_f64 v[216:217], s[18:19], v[202:203], v[202:203], v[200:201]
	v_rcp_f64_e32 v[218:219], v[216:217]
	v_div_scale_f64 v[220:221], vcc, v[200:201], v[202:203], v[200:201]
	v_fma_f64 v[222:223], -v[216:217], v[218:219], 1.0
	v_fmac_f64_e32 v[218:219], v[218:219], v[222:223]
	v_fma_f64 v[222:223], -v[216:217], v[218:219], 1.0
	v_fmac_f64_e32 v[218:219], v[218:219], v[222:223]
	v_mul_f64 v[222:223], v[220:221], v[218:219]
	v_fma_f64 v[216:217], -v[216:217], v[222:223], v[220:221]
	v_div_fmas_f64 v[216:217], v[216:217], v[218:219], v[222:223]
	v_div_fixup_f64 v[216:217], v[216:217], v[202:203], v[200:201]
	v_fmac_f64_e32 v[202:203], v[200:201], v[216:217]
	v_div_scale_f64 v[200:201], s[18:19], v[202:203], v[202:203], 1.0
	v_rcp_f64_e32 v[218:219], v[200:201]
	s_nop 0
	v_fma_f64 v[220:221], -v[200:201], v[218:219], 1.0
	v_fmac_f64_e32 v[218:219], v[218:219], v[220:221]
	v_fma_f64 v[220:221], -v[200:201], v[218:219], 1.0
	v_fmac_f64_e32 v[218:219], v[218:219], v[220:221]
	v_div_scale_f64 v[220:221], vcc, 1.0, v[202:203], 1.0
	v_mul_f64 v[222:223], v[220:221], v[218:219]
	v_fma_f64 v[200:201], -v[200:201], v[222:223], v[220:221]
	s_nop 1
	v_div_fmas_f64 v[200:201], v[200:201], v[218:219], v[222:223]
	v_div_fixup_f64 v[202:203], v[200:201], v[202:203], 1.0
	v_mul_f64 v[200:201], v[216:217], v[202:203]
	v_xor_b32_e32 v203, 0x80000000, v203
.LBB98_616:
	s_andn2_saveexec_b64 s[16:17], s[16:17]
	s_cbranch_execz .LBB98_618
; %bb.617:
	v_div_scale_f64 v[216:217], s[18:19], v[200:201], v[200:201], v[202:203]
	v_rcp_f64_e32 v[218:219], v[216:217]
	v_div_scale_f64 v[220:221], vcc, v[202:203], v[200:201], v[202:203]
	v_fma_f64 v[222:223], -v[216:217], v[218:219], 1.0
	v_fmac_f64_e32 v[218:219], v[218:219], v[222:223]
	v_fma_f64 v[222:223], -v[216:217], v[218:219], 1.0
	v_fmac_f64_e32 v[218:219], v[218:219], v[222:223]
	v_mul_f64 v[222:223], v[220:221], v[218:219]
	v_fma_f64 v[216:217], -v[216:217], v[222:223], v[220:221]
	v_div_fmas_f64 v[216:217], v[216:217], v[218:219], v[222:223]
	v_div_fixup_f64 v[216:217], v[216:217], v[200:201], v[202:203]
	v_fmac_f64_e32 v[200:201], v[202:203], v[216:217]
	v_div_scale_f64 v[202:203], s[18:19], v[200:201], v[200:201], 1.0
	v_rcp_f64_e32 v[218:219], v[202:203]
	s_nop 0
	v_fma_f64 v[220:221], -v[202:203], v[218:219], 1.0
	v_fmac_f64_e32 v[218:219], v[218:219], v[220:221]
	v_fma_f64 v[220:221], -v[202:203], v[218:219], 1.0
	v_fmac_f64_e32 v[218:219], v[218:219], v[220:221]
	v_div_scale_f64 v[220:221], vcc, 1.0, v[200:201], 1.0
	v_mul_f64 v[222:223], v[220:221], v[218:219]
	v_fma_f64 v[202:203], -v[202:203], v[222:223], v[220:221]
	s_nop 1
	v_div_fmas_f64 v[202:203], v[202:203], v[218:219], v[222:223]
	v_div_fixup_f64 v[200:201], v[202:203], v[200:201], 1.0
	v_mul_f64 v[202:203], v[216:217], -v[200:201]
.LBB98_618:
	s_or_b64 exec, exec, s[16:17]
.LBB98_619:
	s_or_b64 exec, exec, s[0:1]
	v_cmp_ne_u32_e32 vcc, v213, v210
	s_and_saveexec_b64 s[0:1], vcc
	s_xor_b64 s[0:1], exec, s[0:1]
	s_cbranch_execz .LBB98_625
; %bb.620:
	v_cmp_eq_u32_e32 vcc, 29, v213
	s_and_saveexec_b64 s[16:17], vcc
	s_cbranch_execz .LBB98_624
; %bb.621:
	v_cmp_ne_u32_e32 vcc, 29, v210
	s_xor_b64 s[18:19], s[14:15], -1
	s_and_b64 s[22:23], s[18:19], vcc
	s_and_saveexec_b64 s[18:19], s[22:23]
	s_cbranch_execz .LBB98_623
; %bb.622:
	v_ashrrev_i32_e32 v211, 31, v210
	v_lshl_add_u64 v[216:217], v[210:211], 2, v[208:209]
	global_load_dword v211, v[216:217], off
	global_load_dword v213, v[208:209], off offset:116
	s_waitcnt vmcnt(1)
	global_store_dword v[208:209], v211, off offset:116
	s_waitcnt vmcnt(1)
	global_store_dword v[216:217], v213, off
.LBB98_623:
	s_or_b64 exec, exec, s[18:19]
	v_mov_b32_e32 v213, v210
	v_mov_b32_e32 v215, v210
.LBB98_624:
	s_or_b64 exec, exec, s[16:17]
.LBB98_625:
	s_andn2_saveexec_b64 s[0:1], s[0:1]
	s_cbranch_execz .LBB98_627
; %bb.626:
	v_mov_b32_e32 v213, 29
	s_waitcnt vmcnt(19)
	ds_write2_b64 v212, v[72:73], v[74:75] offset0:60 offset1:61
	s_waitcnt vmcnt(18)
	ds_write2_b64 v212, v[68:69], v[70:71] offset0:62 offset1:63
	;; [unrolled: 2-line block ×20, first 2 shown]
.LBB98_627:
	s_or_b64 exec, exec, s[0:1]
	v_cmp_lt_i32_e32 vcc, 29, v213
	s_waitcnt lgkmcnt(0)
	s_barrier
	s_and_saveexec_b64 s[0:1], vcc
	s_cbranch_execz .LBB98_629
; %bb.628:
	ds_read2_b64 v[216:219], v212 offset0:60 offset1:61
	v_mul_f64 v[210:211], v[202:203], v[78:79]
	v_mul_f64 v[78:79], v[200:201], v[78:79]
	v_fma_f64 v[210:211], v[200:201], v[76:77], -v[210:211]
	v_fmac_f64_e32 v[78:79], v[202:203], v[76:77]
	ds_read2_b64 v[200:203], v212 offset0:62 offset1:63
	s_waitcnt lgkmcnt(1)
	v_mul_f64 v[76:77], v[218:219], v[78:79]
	v_fma_f64 v[76:77], v[216:217], v[210:211], -v[76:77]
	v_mul_f64 v[216:217], v[216:217], v[78:79]
	v_fmac_f64_e32 v[216:217], v[218:219], v[210:211]
	s_waitcnt vmcnt(19)
	v_add_f64 v[72:73], v[72:73], -v[76:77]
	s_waitcnt lgkmcnt(0)
	v_mul_f64 v[76:77], v[202:203], v[78:79]
	v_add_f64 v[74:75], v[74:75], -v[216:217]
	v_fma_f64 v[76:77], v[200:201], v[210:211], -v[76:77]
	v_mul_f64 v[200:201], v[200:201], v[78:79]
	ds_read2_b64 v[216:219], v212 offset0:64 offset1:65
	v_fmac_f64_e32 v[200:201], v[202:203], v[210:211]
	s_waitcnt vmcnt(18)
	v_add_f64 v[70:71], v[70:71], -v[200:201]
	ds_read2_b64 v[200:203], v212 offset0:66 offset1:67
	v_add_f64 v[68:69], v[68:69], -v[76:77]
	s_waitcnt lgkmcnt(1)
	v_mul_f64 v[76:77], v[218:219], v[78:79]
	v_fma_f64 v[76:77], v[216:217], v[210:211], -v[76:77]
	v_mul_f64 v[216:217], v[216:217], v[78:79]
	v_fmac_f64_e32 v[216:217], v[218:219], v[210:211]
	s_waitcnt vmcnt(17)
	v_add_f64 v[64:65], v[64:65], -v[76:77]
	s_waitcnt lgkmcnt(0)
	v_mul_f64 v[76:77], v[202:203], v[78:79]
	v_add_f64 v[66:67], v[66:67], -v[216:217]
	v_fma_f64 v[76:77], v[200:201], v[210:211], -v[76:77]
	v_mul_f64 v[200:201], v[200:201], v[78:79]
	ds_read2_b64 v[216:219], v212 offset0:68 offset1:69
	v_fmac_f64_e32 v[200:201], v[202:203], v[210:211]
	s_waitcnt vmcnt(16)
	v_add_f64 v[62:63], v[62:63], -v[200:201]
	ds_read2_b64 v[200:203], v212 offset0:70 offset1:71
	v_add_f64 v[60:61], v[60:61], -v[76:77]
	;; [unrolled: 18-line block ×9, first 2 shown]
	s_waitcnt lgkmcnt(1)
	v_mul_f64 v[76:77], v[218:219], v[78:79]
	v_fma_f64 v[76:77], v[216:217], v[210:211], -v[76:77]
	s_waitcnt vmcnt(1)
	v_add_f64 v[0:1], v[0:1], -v[76:77]
	s_waitcnt lgkmcnt(0)
	v_mul_f64 v[76:77], v[202:203], v[78:79]
	v_mul_f64 v[216:217], v[216:217], v[78:79]
	v_fma_f64 v[76:77], v[200:201], v[210:211], -v[76:77]
	v_mul_f64 v[200:201], v[200:201], v[78:79]
	v_fmac_f64_e32 v[216:217], v[218:219], v[210:211]
	v_fmac_f64_e32 v[200:201], v[202:203], v[210:211]
	v_add_f64 v[2:3], v[2:3], -v[216:217]
	s_waitcnt vmcnt(0)
	v_add_f64 v[196:197], v[196:197], -v[76:77]
	v_add_f64 v[198:199], v[198:199], -v[200:201]
	v_mov_b64_e32 v[76:77], v[210:211]
.LBB98_629:
	s_or_b64 exec, exec, s[0:1]
	v_lshl_add_u32 v200, v213, 4, v212
	s_barrier
	s_waitcnt vmcnt(19)
	ds_write2_b64 v200, v[72:73], v[74:75] offset1:1
	s_waitcnt lgkmcnt(0)
	s_barrier
	ds_read2_b64 v[200:203], v212 offset0:60 offset1:61
	s_cmp_lt_i32 s20, 32
	v_mov_b32_e32 v210, 30
	s_cbranch_scc1 .LBB98_632
; %bb.630:
	v_add_u32_e32 v211, 0x1f0, v212
	s_mov_b32 s16, 31
	v_mov_b32_e32 v210, 30
.LBB98_631:                             ; =>This Inner Loop Header: Depth=1
	ds_read2_b64 v[216:219], v211 offset1:1
	s_waitcnt lgkmcnt(1)
	v_xor_b32_e32 v221, 0x80000000, v201
	v_xor_b32_e32 v223, 0x80000000, v203
	v_cmp_gt_f64_e32 vcc, 0, v[202:203]
	v_cmp_gt_f64_e64 s[0:1], 0, v[200:201]
	v_mov_b32_e32 v220, v200
	v_mov_b32_e32 v222, v202
	v_cndmask_b32_e64 v221, v201, v221, s[0:1]
	v_cndmask_b32_e32 v223, v203, v223, vcc
	v_add_f64 v[220:221], v[220:221], v[222:223]
	s_waitcnt lgkmcnt(0)
	v_xor_b32_e32 v223, 0x80000000, v217
	v_xor_b32_e32 v225, 0x80000000, v219
	v_cmp_gt_f64_e32 vcc, 0, v[218:219]
	v_cmp_gt_f64_e64 s[0:1], 0, v[216:217]
	v_mov_b32_e32 v222, v216
	v_mov_b32_e32 v224, v218
	v_cndmask_b32_e64 v223, v217, v223, s[0:1]
	v_cndmask_b32_e32 v225, v219, v225, vcc
	v_add_f64 v[222:223], v[222:223], v[224:225]
	v_mov_b32_e32 v226, s16
	s_add_i32 s16, s16, 1
	v_cmp_lt_f64_e32 vcc, v[220:221], v[222:223]
	v_add_u32_e32 v211, 16, v211
	s_cmp_lg_u32 s20, s16
	v_cndmask_b32_e32 v201, v201, v217, vcc
	v_cndmask_b32_e32 v200, v200, v216, vcc
	;; [unrolled: 1-line block ×5, first 2 shown]
	s_cbranch_scc1 .LBB98_631
.LBB98_632:
	s_waitcnt lgkmcnt(0)
	v_cmp_eq_f64_e32 vcc, 0, v[200:201]
	v_cmp_eq_f64_e64 s[0:1], 0, v[202:203]
	s_and_b64 s[0:1], vcc, s[0:1]
	s_and_saveexec_b64 s[16:17], s[0:1]
	s_xor_b64 s[0:1], exec, s[16:17]
; %bb.633:
	v_cmp_ne_u32_e32 vcc, 0, v214
	s_nop 1
	v_cndmask_b32_e32 v214, 31, v214, vcc
; %bb.634:
	s_andn2_saveexec_b64 s[0:1], s[0:1]
	s_cbranch_execz .LBB98_640
; %bb.635:
	v_cmp_ngt_f64_e64 s[16:17], |v[200:201]|, |v[202:203]|
	s_and_saveexec_b64 s[18:19], s[16:17]
	s_xor_b64 s[16:17], exec, s[18:19]
	s_cbranch_execz .LBB98_637
; %bb.636:
	v_div_scale_f64 v[216:217], s[18:19], v[202:203], v[202:203], v[200:201]
	v_rcp_f64_e32 v[218:219], v[216:217]
	v_div_scale_f64 v[220:221], vcc, v[200:201], v[202:203], v[200:201]
	v_fma_f64 v[222:223], -v[216:217], v[218:219], 1.0
	v_fmac_f64_e32 v[218:219], v[218:219], v[222:223]
	v_fma_f64 v[222:223], -v[216:217], v[218:219], 1.0
	v_fmac_f64_e32 v[218:219], v[218:219], v[222:223]
	v_mul_f64 v[222:223], v[220:221], v[218:219]
	v_fma_f64 v[216:217], -v[216:217], v[222:223], v[220:221]
	v_div_fmas_f64 v[216:217], v[216:217], v[218:219], v[222:223]
	v_div_fixup_f64 v[216:217], v[216:217], v[202:203], v[200:201]
	v_fmac_f64_e32 v[202:203], v[200:201], v[216:217]
	v_div_scale_f64 v[200:201], s[18:19], v[202:203], v[202:203], 1.0
	v_rcp_f64_e32 v[218:219], v[200:201]
	s_nop 0
	v_fma_f64 v[220:221], -v[200:201], v[218:219], 1.0
	v_fmac_f64_e32 v[218:219], v[218:219], v[220:221]
	v_fma_f64 v[220:221], -v[200:201], v[218:219], 1.0
	v_fmac_f64_e32 v[218:219], v[218:219], v[220:221]
	v_div_scale_f64 v[220:221], vcc, 1.0, v[202:203], 1.0
	v_mul_f64 v[222:223], v[220:221], v[218:219]
	v_fma_f64 v[200:201], -v[200:201], v[222:223], v[220:221]
	s_nop 1
	v_div_fmas_f64 v[200:201], v[200:201], v[218:219], v[222:223]
	v_div_fixup_f64 v[202:203], v[200:201], v[202:203], 1.0
	v_mul_f64 v[200:201], v[216:217], v[202:203]
	v_xor_b32_e32 v203, 0x80000000, v203
.LBB98_637:
	s_andn2_saveexec_b64 s[16:17], s[16:17]
	s_cbranch_execz .LBB98_639
; %bb.638:
	v_div_scale_f64 v[216:217], s[18:19], v[200:201], v[200:201], v[202:203]
	v_rcp_f64_e32 v[218:219], v[216:217]
	v_div_scale_f64 v[220:221], vcc, v[202:203], v[200:201], v[202:203]
	v_fma_f64 v[222:223], -v[216:217], v[218:219], 1.0
	v_fmac_f64_e32 v[218:219], v[218:219], v[222:223]
	v_fma_f64 v[222:223], -v[216:217], v[218:219], 1.0
	v_fmac_f64_e32 v[218:219], v[218:219], v[222:223]
	v_mul_f64 v[222:223], v[220:221], v[218:219]
	v_fma_f64 v[216:217], -v[216:217], v[222:223], v[220:221]
	v_div_fmas_f64 v[216:217], v[216:217], v[218:219], v[222:223]
	v_div_fixup_f64 v[216:217], v[216:217], v[200:201], v[202:203]
	v_fmac_f64_e32 v[200:201], v[202:203], v[216:217]
	v_div_scale_f64 v[202:203], s[18:19], v[200:201], v[200:201], 1.0
	v_rcp_f64_e32 v[218:219], v[202:203]
	s_nop 0
	v_fma_f64 v[220:221], -v[202:203], v[218:219], 1.0
	v_fmac_f64_e32 v[218:219], v[218:219], v[220:221]
	v_fma_f64 v[220:221], -v[202:203], v[218:219], 1.0
	v_fmac_f64_e32 v[218:219], v[218:219], v[220:221]
	v_div_scale_f64 v[220:221], vcc, 1.0, v[200:201], 1.0
	v_mul_f64 v[222:223], v[220:221], v[218:219]
	v_fma_f64 v[202:203], -v[202:203], v[222:223], v[220:221]
	s_nop 1
	v_div_fmas_f64 v[202:203], v[202:203], v[218:219], v[222:223]
	v_div_fixup_f64 v[200:201], v[202:203], v[200:201], 1.0
	v_mul_f64 v[202:203], v[216:217], -v[200:201]
.LBB98_639:
	s_or_b64 exec, exec, s[16:17]
.LBB98_640:
	s_or_b64 exec, exec, s[0:1]
	v_cmp_ne_u32_e32 vcc, v213, v210
	s_and_saveexec_b64 s[0:1], vcc
	s_xor_b64 s[0:1], exec, s[0:1]
	s_cbranch_execz .LBB98_646
; %bb.641:
	v_cmp_eq_u32_e32 vcc, 30, v213
	s_and_saveexec_b64 s[16:17], vcc
	s_cbranch_execz .LBB98_645
; %bb.642:
	v_cmp_ne_u32_e32 vcc, 30, v210
	s_xor_b64 s[18:19], s[14:15], -1
	s_and_b64 s[22:23], s[18:19], vcc
	s_and_saveexec_b64 s[18:19], s[22:23]
	s_cbranch_execz .LBB98_644
; %bb.643:
	v_ashrrev_i32_e32 v211, 31, v210
	v_lshl_add_u64 v[216:217], v[210:211], 2, v[208:209]
	global_load_dword v211, v[216:217], off
	global_load_dword v213, v[208:209], off offset:120
	s_waitcnt vmcnt(1)
	global_store_dword v[208:209], v211, off offset:120
	s_waitcnt vmcnt(1)
	global_store_dword v[216:217], v213, off
.LBB98_644:
	s_or_b64 exec, exec, s[18:19]
	v_mov_b32_e32 v213, v210
	v_mov_b32_e32 v215, v210
.LBB98_645:
	s_or_b64 exec, exec, s[16:17]
.LBB98_646:
	s_andn2_saveexec_b64 s[0:1], s[0:1]
	s_cbranch_execz .LBB98_648
; %bb.647:
	v_mov_b32_e32 v213, 30
	s_waitcnt vmcnt(18)
	ds_write2_b64 v212, v[68:69], v[70:71] offset0:62 offset1:63
	s_waitcnt vmcnt(17)
	ds_write2_b64 v212, v[64:65], v[66:67] offset0:64 offset1:65
	s_waitcnt vmcnt(16)
	ds_write2_b64 v212, v[60:61], v[62:63] offset0:66 offset1:67
	s_waitcnt vmcnt(15)
	ds_write2_b64 v212, v[56:57], v[58:59] offset0:68 offset1:69
	s_waitcnt vmcnt(14)
	ds_write2_b64 v212, v[52:53], v[54:55] offset0:70 offset1:71
	s_waitcnt vmcnt(13)
	ds_write2_b64 v212, v[48:49], v[50:51] offset0:72 offset1:73
	s_waitcnt vmcnt(12)
	ds_write2_b64 v212, v[44:45], v[46:47] offset0:74 offset1:75
	s_waitcnt vmcnt(11)
	ds_write2_b64 v212, v[40:41], v[42:43] offset0:76 offset1:77
	s_waitcnt vmcnt(10)
	ds_write2_b64 v212, v[36:37], v[38:39] offset0:78 offset1:79
	s_waitcnt vmcnt(9)
	ds_write2_b64 v212, v[32:33], v[34:35] offset0:80 offset1:81
	s_waitcnt vmcnt(8)
	ds_write2_b64 v212, v[28:29], v[30:31] offset0:82 offset1:83
	s_waitcnt vmcnt(7)
	ds_write2_b64 v212, v[24:25], v[26:27] offset0:84 offset1:85
	s_waitcnt vmcnt(6)
	ds_write2_b64 v212, v[20:21], v[22:23] offset0:86 offset1:87
	s_waitcnt vmcnt(5)
	ds_write2_b64 v212, v[16:17], v[18:19] offset0:88 offset1:89
	s_waitcnt vmcnt(4)
	ds_write2_b64 v212, v[12:13], v[14:15] offset0:90 offset1:91
	s_waitcnt vmcnt(3)
	ds_write2_b64 v212, v[8:9], v[10:11] offset0:92 offset1:93
	s_waitcnt vmcnt(2)
	ds_write2_b64 v212, v[4:5], v[6:7] offset0:94 offset1:95
	s_waitcnt vmcnt(1)
	ds_write2_b64 v212, v[0:1], v[2:3] offset0:96 offset1:97
	s_waitcnt vmcnt(0)
	ds_write2_b64 v212, v[196:197], v[198:199] offset0:98 offset1:99
.LBB98_648:
	s_or_b64 exec, exec, s[0:1]
	v_cmp_lt_i32_e32 vcc, 30, v213
	s_waitcnt lgkmcnt(0)
	s_barrier
	s_and_saveexec_b64 s[0:1], vcc
	s_cbranch_execz .LBB98_650
; %bb.649:
	ds_read2_b64 v[216:219], v212 offset0:62 offset1:63
	v_mul_f64 v[210:211], v[202:203], v[74:75]
	v_mul_f64 v[74:75], v[200:201], v[74:75]
	v_fmac_f64_e32 v[74:75], v[202:203], v[72:73]
	v_fma_f64 v[210:211], v[200:201], v[72:73], -v[210:211]
	ds_read2_b64 v[200:203], v212 offset0:64 offset1:65
	s_waitcnt lgkmcnt(1)
	v_mul_f64 v[72:73], v[218:219], v[74:75]
	v_fma_f64 v[72:73], v[216:217], v[210:211], -v[72:73]
	v_mul_f64 v[216:217], v[216:217], v[74:75]
	v_fmac_f64_e32 v[216:217], v[218:219], v[210:211]
	s_waitcnt vmcnt(18)
	v_add_f64 v[70:71], v[70:71], -v[216:217]
	ds_read2_b64 v[216:219], v212 offset0:66 offset1:67
	v_add_f64 v[68:69], v[68:69], -v[72:73]
	s_waitcnt lgkmcnt(1)
	v_mul_f64 v[72:73], v[202:203], v[74:75]
	v_fma_f64 v[72:73], v[200:201], v[210:211], -v[72:73]
	v_mul_f64 v[200:201], v[200:201], v[74:75]
	v_fmac_f64_e32 v[200:201], v[202:203], v[210:211]
	s_waitcnt vmcnt(17)
	v_add_f64 v[64:65], v[64:65], -v[72:73]
	v_add_f64 v[66:67], v[66:67], -v[200:201]
	ds_read2_b64 v[200:203], v212 offset0:68 offset1:69
	s_waitcnt lgkmcnt(1)
	v_mul_f64 v[72:73], v[218:219], v[74:75]
	v_fma_f64 v[72:73], v[216:217], v[210:211], -v[72:73]
	v_mul_f64 v[216:217], v[216:217], v[74:75]
	v_fmac_f64_e32 v[216:217], v[218:219], v[210:211]
	s_waitcnt vmcnt(16)
	v_add_f64 v[62:63], v[62:63], -v[216:217]
	ds_read2_b64 v[216:219], v212 offset0:70 offset1:71
	v_add_f64 v[60:61], v[60:61], -v[72:73]
	s_waitcnt lgkmcnt(1)
	v_mul_f64 v[72:73], v[202:203], v[74:75]
	v_fma_f64 v[72:73], v[200:201], v[210:211], -v[72:73]
	v_mul_f64 v[200:201], v[200:201], v[74:75]
	v_fmac_f64_e32 v[200:201], v[202:203], v[210:211]
	s_waitcnt vmcnt(15)
	v_add_f64 v[56:57], v[56:57], -v[72:73]
	v_add_f64 v[58:59], v[58:59], -v[200:201]
	;; [unrolled: 18-line block ×9, first 2 shown]
	s_waitcnt lgkmcnt(0)
	v_mul_f64 v[72:73], v[218:219], v[74:75]
	v_mul_f64 v[200:201], v[216:217], v[74:75]
	v_fma_f64 v[72:73], v[216:217], v[210:211], -v[72:73]
	v_fmac_f64_e32 v[200:201], v[218:219], v[210:211]
	s_waitcnt vmcnt(0)
	v_add_f64 v[196:197], v[196:197], -v[72:73]
	v_add_f64 v[198:199], v[198:199], -v[200:201]
	v_mov_b64_e32 v[72:73], v[210:211]
.LBB98_650:
	s_or_b64 exec, exec, s[0:1]
	v_lshl_add_u32 v200, v213, 4, v212
	s_barrier
	s_waitcnt vmcnt(18)
	ds_write2_b64 v200, v[68:69], v[70:71] offset1:1
	s_waitcnt lgkmcnt(0)
	s_barrier
	ds_read2_b64 v[200:203], v212 offset0:62 offset1:63
	s_cmp_lt_i32 s20, 33
	v_mov_b32_e32 v210, 31
	s_cbranch_scc1 .LBB98_653
; %bb.651:
	v_add_u32_e32 v211, 0x200, v212
	s_mov_b32 s16, 32
	v_mov_b32_e32 v210, 31
.LBB98_652:                             ; =>This Inner Loop Header: Depth=1
	ds_read2_b64 v[216:219], v211 offset1:1
	s_waitcnt lgkmcnt(1)
	v_xor_b32_e32 v221, 0x80000000, v201
	v_xor_b32_e32 v223, 0x80000000, v203
	v_cmp_gt_f64_e32 vcc, 0, v[202:203]
	v_cmp_gt_f64_e64 s[0:1], 0, v[200:201]
	v_mov_b32_e32 v220, v200
	v_mov_b32_e32 v222, v202
	v_cndmask_b32_e64 v221, v201, v221, s[0:1]
	v_cndmask_b32_e32 v223, v203, v223, vcc
	v_add_f64 v[220:221], v[220:221], v[222:223]
	s_waitcnt lgkmcnt(0)
	v_xor_b32_e32 v223, 0x80000000, v217
	v_xor_b32_e32 v225, 0x80000000, v219
	v_cmp_gt_f64_e32 vcc, 0, v[218:219]
	v_cmp_gt_f64_e64 s[0:1], 0, v[216:217]
	v_mov_b32_e32 v222, v216
	v_mov_b32_e32 v224, v218
	v_cndmask_b32_e64 v223, v217, v223, s[0:1]
	v_cndmask_b32_e32 v225, v219, v225, vcc
	v_add_f64 v[222:223], v[222:223], v[224:225]
	v_mov_b32_e32 v226, s16
	s_add_i32 s16, s16, 1
	v_cmp_lt_f64_e32 vcc, v[220:221], v[222:223]
	v_add_u32_e32 v211, 16, v211
	s_cmp_lg_u32 s20, s16
	v_cndmask_b32_e32 v201, v201, v217, vcc
	v_cndmask_b32_e32 v200, v200, v216, vcc
	;; [unrolled: 1-line block ×5, first 2 shown]
	s_cbranch_scc1 .LBB98_652
.LBB98_653:
	s_waitcnt lgkmcnt(0)
	v_cmp_eq_f64_e32 vcc, 0, v[200:201]
	v_cmp_eq_f64_e64 s[0:1], 0, v[202:203]
	s_and_b64 s[0:1], vcc, s[0:1]
	s_and_saveexec_b64 s[16:17], s[0:1]
	s_xor_b64 s[0:1], exec, s[16:17]
; %bb.654:
	v_cmp_ne_u32_e32 vcc, 0, v214
	s_nop 1
	v_cndmask_b32_e32 v214, 32, v214, vcc
; %bb.655:
	s_andn2_saveexec_b64 s[0:1], s[0:1]
	s_cbranch_execz .LBB98_661
; %bb.656:
	v_cmp_ngt_f64_e64 s[16:17], |v[200:201]|, |v[202:203]|
	s_and_saveexec_b64 s[18:19], s[16:17]
	s_xor_b64 s[16:17], exec, s[18:19]
	s_cbranch_execz .LBB98_658
; %bb.657:
	v_div_scale_f64 v[216:217], s[18:19], v[202:203], v[202:203], v[200:201]
	v_rcp_f64_e32 v[218:219], v[216:217]
	v_div_scale_f64 v[220:221], vcc, v[200:201], v[202:203], v[200:201]
	v_fma_f64 v[222:223], -v[216:217], v[218:219], 1.0
	v_fmac_f64_e32 v[218:219], v[218:219], v[222:223]
	v_fma_f64 v[222:223], -v[216:217], v[218:219], 1.0
	v_fmac_f64_e32 v[218:219], v[218:219], v[222:223]
	v_mul_f64 v[222:223], v[220:221], v[218:219]
	v_fma_f64 v[216:217], -v[216:217], v[222:223], v[220:221]
	v_div_fmas_f64 v[216:217], v[216:217], v[218:219], v[222:223]
	v_div_fixup_f64 v[216:217], v[216:217], v[202:203], v[200:201]
	v_fmac_f64_e32 v[202:203], v[200:201], v[216:217]
	v_div_scale_f64 v[200:201], s[18:19], v[202:203], v[202:203], 1.0
	v_rcp_f64_e32 v[218:219], v[200:201]
	s_nop 0
	v_fma_f64 v[220:221], -v[200:201], v[218:219], 1.0
	v_fmac_f64_e32 v[218:219], v[218:219], v[220:221]
	v_fma_f64 v[220:221], -v[200:201], v[218:219], 1.0
	v_fmac_f64_e32 v[218:219], v[218:219], v[220:221]
	v_div_scale_f64 v[220:221], vcc, 1.0, v[202:203], 1.0
	v_mul_f64 v[222:223], v[220:221], v[218:219]
	v_fma_f64 v[200:201], -v[200:201], v[222:223], v[220:221]
	s_nop 1
	v_div_fmas_f64 v[200:201], v[200:201], v[218:219], v[222:223]
	v_div_fixup_f64 v[202:203], v[200:201], v[202:203], 1.0
	v_mul_f64 v[200:201], v[216:217], v[202:203]
	v_xor_b32_e32 v203, 0x80000000, v203
.LBB98_658:
	s_andn2_saveexec_b64 s[16:17], s[16:17]
	s_cbranch_execz .LBB98_660
; %bb.659:
	v_div_scale_f64 v[216:217], s[18:19], v[200:201], v[200:201], v[202:203]
	v_rcp_f64_e32 v[218:219], v[216:217]
	v_div_scale_f64 v[220:221], vcc, v[202:203], v[200:201], v[202:203]
	v_fma_f64 v[222:223], -v[216:217], v[218:219], 1.0
	v_fmac_f64_e32 v[218:219], v[218:219], v[222:223]
	v_fma_f64 v[222:223], -v[216:217], v[218:219], 1.0
	v_fmac_f64_e32 v[218:219], v[218:219], v[222:223]
	v_mul_f64 v[222:223], v[220:221], v[218:219]
	v_fma_f64 v[216:217], -v[216:217], v[222:223], v[220:221]
	v_div_fmas_f64 v[216:217], v[216:217], v[218:219], v[222:223]
	v_div_fixup_f64 v[216:217], v[216:217], v[200:201], v[202:203]
	v_fmac_f64_e32 v[200:201], v[202:203], v[216:217]
	v_div_scale_f64 v[202:203], s[18:19], v[200:201], v[200:201], 1.0
	v_rcp_f64_e32 v[218:219], v[202:203]
	s_nop 0
	v_fma_f64 v[220:221], -v[202:203], v[218:219], 1.0
	v_fmac_f64_e32 v[218:219], v[218:219], v[220:221]
	v_fma_f64 v[220:221], -v[202:203], v[218:219], 1.0
	v_fmac_f64_e32 v[218:219], v[218:219], v[220:221]
	v_div_scale_f64 v[220:221], vcc, 1.0, v[200:201], 1.0
	v_mul_f64 v[222:223], v[220:221], v[218:219]
	v_fma_f64 v[202:203], -v[202:203], v[222:223], v[220:221]
	s_nop 1
	v_div_fmas_f64 v[202:203], v[202:203], v[218:219], v[222:223]
	v_div_fixup_f64 v[200:201], v[202:203], v[200:201], 1.0
	v_mul_f64 v[202:203], v[216:217], -v[200:201]
.LBB98_660:
	s_or_b64 exec, exec, s[16:17]
.LBB98_661:
	s_or_b64 exec, exec, s[0:1]
	v_cmp_ne_u32_e32 vcc, v213, v210
	s_and_saveexec_b64 s[0:1], vcc
	s_xor_b64 s[0:1], exec, s[0:1]
	s_cbranch_execz .LBB98_667
; %bb.662:
	v_cmp_eq_u32_e32 vcc, 31, v213
	s_and_saveexec_b64 s[16:17], vcc
	s_cbranch_execz .LBB98_666
; %bb.663:
	v_cmp_ne_u32_e32 vcc, 31, v210
	s_xor_b64 s[18:19], s[14:15], -1
	s_and_b64 s[22:23], s[18:19], vcc
	s_and_saveexec_b64 s[18:19], s[22:23]
	s_cbranch_execz .LBB98_665
; %bb.664:
	v_ashrrev_i32_e32 v211, 31, v210
	v_lshl_add_u64 v[216:217], v[210:211], 2, v[208:209]
	global_load_dword v211, v[216:217], off
	global_load_dword v213, v[208:209], off offset:124
	s_waitcnt vmcnt(1)
	global_store_dword v[208:209], v211, off offset:124
	s_waitcnt vmcnt(1)
	global_store_dword v[216:217], v213, off
.LBB98_665:
	s_or_b64 exec, exec, s[18:19]
	v_mov_b32_e32 v213, v210
	v_mov_b32_e32 v215, v210
.LBB98_666:
	s_or_b64 exec, exec, s[16:17]
.LBB98_667:
	s_andn2_saveexec_b64 s[0:1], s[0:1]
	s_cbranch_execz .LBB98_669
; %bb.668:
	v_mov_b32_e32 v213, 31
	s_waitcnt vmcnt(17)
	ds_write2_b64 v212, v[64:65], v[66:67] offset0:64 offset1:65
	s_waitcnt vmcnt(16)
	ds_write2_b64 v212, v[60:61], v[62:63] offset0:66 offset1:67
	;; [unrolled: 2-line block ×18, first 2 shown]
.LBB98_669:
	s_or_b64 exec, exec, s[0:1]
	v_cmp_lt_i32_e32 vcc, 31, v213
	s_waitcnt lgkmcnt(0)
	s_barrier
	s_and_saveexec_b64 s[0:1], vcc
	s_cbranch_execz .LBB98_671
; %bb.670:
	ds_read2_b64 v[216:219], v212 offset0:64 offset1:65
	v_mul_f64 v[210:211], v[202:203], v[70:71]
	v_mul_f64 v[70:71], v[200:201], v[70:71]
	v_fma_f64 v[210:211], v[200:201], v[68:69], -v[210:211]
	v_fmac_f64_e32 v[70:71], v[202:203], v[68:69]
	ds_read2_b64 v[200:203], v212 offset0:66 offset1:67
	s_waitcnt lgkmcnt(1)
	v_mul_f64 v[68:69], v[218:219], v[70:71]
	v_fma_f64 v[68:69], v[216:217], v[210:211], -v[68:69]
	v_mul_f64 v[216:217], v[216:217], v[70:71]
	v_fmac_f64_e32 v[216:217], v[218:219], v[210:211]
	s_waitcnt vmcnt(17)
	v_add_f64 v[64:65], v[64:65], -v[68:69]
	s_waitcnt lgkmcnt(0)
	v_mul_f64 v[68:69], v[202:203], v[70:71]
	v_add_f64 v[66:67], v[66:67], -v[216:217]
	v_fma_f64 v[68:69], v[200:201], v[210:211], -v[68:69]
	v_mul_f64 v[200:201], v[200:201], v[70:71]
	ds_read2_b64 v[216:219], v212 offset0:68 offset1:69
	v_fmac_f64_e32 v[200:201], v[202:203], v[210:211]
	s_waitcnt vmcnt(16)
	v_add_f64 v[62:63], v[62:63], -v[200:201]
	ds_read2_b64 v[200:203], v212 offset0:70 offset1:71
	v_add_f64 v[60:61], v[60:61], -v[68:69]
	s_waitcnt lgkmcnt(1)
	v_mul_f64 v[68:69], v[218:219], v[70:71]
	v_fma_f64 v[68:69], v[216:217], v[210:211], -v[68:69]
	v_mul_f64 v[216:217], v[216:217], v[70:71]
	v_fmac_f64_e32 v[216:217], v[218:219], v[210:211]
	s_waitcnt vmcnt(15)
	v_add_f64 v[56:57], v[56:57], -v[68:69]
	s_waitcnt lgkmcnt(0)
	v_mul_f64 v[68:69], v[202:203], v[70:71]
	v_add_f64 v[58:59], v[58:59], -v[216:217]
	v_fma_f64 v[68:69], v[200:201], v[210:211], -v[68:69]
	v_mul_f64 v[200:201], v[200:201], v[70:71]
	ds_read2_b64 v[216:219], v212 offset0:72 offset1:73
	v_fmac_f64_e32 v[200:201], v[202:203], v[210:211]
	s_waitcnt vmcnt(14)
	v_add_f64 v[54:55], v[54:55], -v[200:201]
	ds_read2_b64 v[200:203], v212 offset0:74 offset1:75
	v_add_f64 v[52:53], v[52:53], -v[68:69]
	;; [unrolled: 18-line block ×8, first 2 shown]
	s_waitcnt lgkmcnt(1)
	v_mul_f64 v[68:69], v[218:219], v[70:71]
	v_fma_f64 v[68:69], v[216:217], v[210:211], -v[68:69]
	s_waitcnt vmcnt(1)
	v_add_f64 v[0:1], v[0:1], -v[68:69]
	s_waitcnt lgkmcnt(0)
	v_mul_f64 v[68:69], v[202:203], v[70:71]
	v_mul_f64 v[216:217], v[216:217], v[70:71]
	v_fma_f64 v[68:69], v[200:201], v[210:211], -v[68:69]
	v_mul_f64 v[200:201], v[200:201], v[70:71]
	v_fmac_f64_e32 v[216:217], v[218:219], v[210:211]
	v_fmac_f64_e32 v[200:201], v[202:203], v[210:211]
	v_add_f64 v[2:3], v[2:3], -v[216:217]
	s_waitcnt vmcnt(0)
	v_add_f64 v[196:197], v[196:197], -v[68:69]
	v_add_f64 v[198:199], v[198:199], -v[200:201]
	v_mov_b64_e32 v[68:69], v[210:211]
.LBB98_671:
	s_or_b64 exec, exec, s[0:1]
	v_lshl_add_u32 v200, v213, 4, v212
	s_barrier
	s_waitcnt vmcnt(17)
	ds_write2_b64 v200, v[64:65], v[66:67] offset1:1
	s_waitcnt lgkmcnt(0)
	s_barrier
	ds_read2_b64 v[200:203], v212 offset0:64 offset1:65
	s_cmp_lt_i32 s20, 34
	v_mov_b32_e32 v210, 32
	s_cbranch_scc1 .LBB98_674
; %bb.672:
	v_add_u32_e32 v211, 0x210, v212
	s_mov_b32 s16, 33
	v_mov_b32_e32 v210, 32
.LBB98_673:                             ; =>This Inner Loop Header: Depth=1
	ds_read2_b64 v[216:219], v211 offset1:1
	s_waitcnt lgkmcnt(1)
	v_xor_b32_e32 v221, 0x80000000, v201
	v_xor_b32_e32 v223, 0x80000000, v203
	v_cmp_gt_f64_e32 vcc, 0, v[202:203]
	v_cmp_gt_f64_e64 s[0:1], 0, v[200:201]
	v_mov_b32_e32 v220, v200
	v_mov_b32_e32 v222, v202
	v_cndmask_b32_e64 v221, v201, v221, s[0:1]
	v_cndmask_b32_e32 v223, v203, v223, vcc
	v_add_f64 v[220:221], v[220:221], v[222:223]
	s_waitcnt lgkmcnt(0)
	v_xor_b32_e32 v223, 0x80000000, v217
	v_xor_b32_e32 v225, 0x80000000, v219
	v_cmp_gt_f64_e32 vcc, 0, v[218:219]
	v_cmp_gt_f64_e64 s[0:1], 0, v[216:217]
	v_mov_b32_e32 v222, v216
	v_mov_b32_e32 v224, v218
	v_cndmask_b32_e64 v223, v217, v223, s[0:1]
	v_cndmask_b32_e32 v225, v219, v225, vcc
	v_add_f64 v[222:223], v[222:223], v[224:225]
	v_mov_b32_e32 v226, s16
	s_add_i32 s16, s16, 1
	v_cmp_lt_f64_e32 vcc, v[220:221], v[222:223]
	v_add_u32_e32 v211, 16, v211
	s_cmp_lg_u32 s20, s16
	v_cndmask_b32_e32 v201, v201, v217, vcc
	v_cndmask_b32_e32 v200, v200, v216, vcc
	;; [unrolled: 1-line block ×5, first 2 shown]
	s_cbranch_scc1 .LBB98_673
.LBB98_674:
	s_waitcnt lgkmcnt(0)
	v_cmp_eq_f64_e32 vcc, 0, v[200:201]
	v_cmp_eq_f64_e64 s[0:1], 0, v[202:203]
	s_and_b64 s[0:1], vcc, s[0:1]
	s_and_saveexec_b64 s[16:17], s[0:1]
	s_xor_b64 s[0:1], exec, s[16:17]
; %bb.675:
	v_cmp_ne_u32_e32 vcc, 0, v214
	s_nop 1
	v_cndmask_b32_e32 v214, 33, v214, vcc
; %bb.676:
	s_andn2_saveexec_b64 s[0:1], s[0:1]
	s_cbranch_execz .LBB98_682
; %bb.677:
	v_cmp_ngt_f64_e64 s[16:17], |v[200:201]|, |v[202:203]|
	s_and_saveexec_b64 s[18:19], s[16:17]
	s_xor_b64 s[16:17], exec, s[18:19]
	s_cbranch_execz .LBB98_679
; %bb.678:
	v_div_scale_f64 v[216:217], s[18:19], v[202:203], v[202:203], v[200:201]
	v_rcp_f64_e32 v[218:219], v[216:217]
	v_div_scale_f64 v[220:221], vcc, v[200:201], v[202:203], v[200:201]
	v_fma_f64 v[222:223], -v[216:217], v[218:219], 1.0
	v_fmac_f64_e32 v[218:219], v[218:219], v[222:223]
	v_fma_f64 v[222:223], -v[216:217], v[218:219], 1.0
	v_fmac_f64_e32 v[218:219], v[218:219], v[222:223]
	v_mul_f64 v[222:223], v[220:221], v[218:219]
	v_fma_f64 v[216:217], -v[216:217], v[222:223], v[220:221]
	v_div_fmas_f64 v[216:217], v[216:217], v[218:219], v[222:223]
	v_div_fixup_f64 v[216:217], v[216:217], v[202:203], v[200:201]
	v_fmac_f64_e32 v[202:203], v[200:201], v[216:217]
	v_div_scale_f64 v[200:201], s[18:19], v[202:203], v[202:203], 1.0
	v_rcp_f64_e32 v[218:219], v[200:201]
	s_nop 0
	v_fma_f64 v[220:221], -v[200:201], v[218:219], 1.0
	v_fmac_f64_e32 v[218:219], v[218:219], v[220:221]
	v_fma_f64 v[220:221], -v[200:201], v[218:219], 1.0
	v_fmac_f64_e32 v[218:219], v[218:219], v[220:221]
	v_div_scale_f64 v[220:221], vcc, 1.0, v[202:203], 1.0
	v_mul_f64 v[222:223], v[220:221], v[218:219]
	v_fma_f64 v[200:201], -v[200:201], v[222:223], v[220:221]
	s_nop 1
	v_div_fmas_f64 v[200:201], v[200:201], v[218:219], v[222:223]
	v_div_fixup_f64 v[202:203], v[200:201], v[202:203], 1.0
	v_mul_f64 v[200:201], v[216:217], v[202:203]
	v_xor_b32_e32 v203, 0x80000000, v203
.LBB98_679:
	s_andn2_saveexec_b64 s[16:17], s[16:17]
	s_cbranch_execz .LBB98_681
; %bb.680:
	v_div_scale_f64 v[216:217], s[18:19], v[200:201], v[200:201], v[202:203]
	v_rcp_f64_e32 v[218:219], v[216:217]
	v_div_scale_f64 v[220:221], vcc, v[202:203], v[200:201], v[202:203]
	v_fma_f64 v[222:223], -v[216:217], v[218:219], 1.0
	v_fmac_f64_e32 v[218:219], v[218:219], v[222:223]
	v_fma_f64 v[222:223], -v[216:217], v[218:219], 1.0
	v_fmac_f64_e32 v[218:219], v[218:219], v[222:223]
	v_mul_f64 v[222:223], v[220:221], v[218:219]
	v_fma_f64 v[216:217], -v[216:217], v[222:223], v[220:221]
	v_div_fmas_f64 v[216:217], v[216:217], v[218:219], v[222:223]
	v_div_fixup_f64 v[216:217], v[216:217], v[200:201], v[202:203]
	v_fmac_f64_e32 v[200:201], v[202:203], v[216:217]
	v_div_scale_f64 v[202:203], s[18:19], v[200:201], v[200:201], 1.0
	v_rcp_f64_e32 v[218:219], v[202:203]
	s_nop 0
	v_fma_f64 v[220:221], -v[202:203], v[218:219], 1.0
	v_fmac_f64_e32 v[218:219], v[218:219], v[220:221]
	v_fma_f64 v[220:221], -v[202:203], v[218:219], 1.0
	v_fmac_f64_e32 v[218:219], v[218:219], v[220:221]
	v_div_scale_f64 v[220:221], vcc, 1.0, v[200:201], 1.0
	v_mul_f64 v[222:223], v[220:221], v[218:219]
	v_fma_f64 v[202:203], -v[202:203], v[222:223], v[220:221]
	s_nop 1
	v_div_fmas_f64 v[202:203], v[202:203], v[218:219], v[222:223]
	v_div_fixup_f64 v[200:201], v[202:203], v[200:201], 1.0
	v_mul_f64 v[202:203], v[216:217], -v[200:201]
.LBB98_681:
	s_or_b64 exec, exec, s[16:17]
.LBB98_682:
	s_or_b64 exec, exec, s[0:1]
	v_cmp_ne_u32_e32 vcc, v213, v210
	s_and_saveexec_b64 s[0:1], vcc
	s_xor_b64 s[0:1], exec, s[0:1]
	s_cbranch_execz .LBB98_688
; %bb.683:
	v_cmp_eq_u32_e32 vcc, 32, v213
	s_and_saveexec_b64 s[16:17], vcc
	s_cbranch_execz .LBB98_687
; %bb.684:
	v_cmp_ne_u32_e32 vcc, 32, v210
	s_xor_b64 s[18:19], s[14:15], -1
	s_and_b64 s[22:23], s[18:19], vcc
	s_and_saveexec_b64 s[18:19], s[22:23]
	s_cbranch_execz .LBB98_686
; %bb.685:
	v_ashrrev_i32_e32 v211, 31, v210
	v_lshl_add_u64 v[216:217], v[210:211], 2, v[208:209]
	global_load_dword v211, v[216:217], off
	global_load_dword v213, v[208:209], off offset:128
	s_waitcnt vmcnt(1)
	global_store_dword v[208:209], v211, off offset:128
	s_waitcnt vmcnt(1)
	global_store_dword v[216:217], v213, off
.LBB98_686:
	s_or_b64 exec, exec, s[18:19]
	v_mov_b32_e32 v213, v210
	v_mov_b32_e32 v215, v210
.LBB98_687:
	s_or_b64 exec, exec, s[16:17]
.LBB98_688:
	s_andn2_saveexec_b64 s[0:1], s[0:1]
	s_cbranch_execz .LBB98_690
; %bb.689:
	v_mov_b32_e32 v213, 32
	s_waitcnt vmcnt(16)
	ds_write2_b64 v212, v[60:61], v[62:63] offset0:66 offset1:67
	s_waitcnt vmcnt(15)
	ds_write2_b64 v212, v[56:57], v[58:59] offset0:68 offset1:69
	;; [unrolled: 2-line block ×17, first 2 shown]
.LBB98_690:
	s_or_b64 exec, exec, s[0:1]
	v_cmp_lt_i32_e32 vcc, 32, v213
	s_waitcnt lgkmcnt(0)
	s_barrier
	s_and_saveexec_b64 s[0:1], vcc
	s_cbranch_execz .LBB98_692
; %bb.691:
	ds_read2_b64 v[216:219], v212 offset0:66 offset1:67
	v_mul_f64 v[210:211], v[202:203], v[66:67]
	v_mul_f64 v[66:67], v[200:201], v[66:67]
	v_fmac_f64_e32 v[66:67], v[202:203], v[64:65]
	v_fma_f64 v[210:211], v[200:201], v[64:65], -v[210:211]
	ds_read2_b64 v[200:203], v212 offset0:68 offset1:69
	s_waitcnt lgkmcnt(1)
	v_mul_f64 v[64:65], v[218:219], v[66:67]
	v_fma_f64 v[64:65], v[216:217], v[210:211], -v[64:65]
	v_mul_f64 v[216:217], v[216:217], v[66:67]
	v_fmac_f64_e32 v[216:217], v[218:219], v[210:211]
	s_waitcnt vmcnt(16)
	v_add_f64 v[62:63], v[62:63], -v[216:217]
	ds_read2_b64 v[216:219], v212 offset0:70 offset1:71
	v_add_f64 v[60:61], v[60:61], -v[64:65]
	s_waitcnt lgkmcnt(1)
	v_mul_f64 v[64:65], v[202:203], v[66:67]
	v_fma_f64 v[64:65], v[200:201], v[210:211], -v[64:65]
	v_mul_f64 v[200:201], v[200:201], v[66:67]
	v_fmac_f64_e32 v[200:201], v[202:203], v[210:211]
	s_waitcnt vmcnt(15)
	v_add_f64 v[56:57], v[56:57], -v[64:65]
	v_add_f64 v[58:59], v[58:59], -v[200:201]
	ds_read2_b64 v[200:203], v212 offset0:72 offset1:73
	s_waitcnt lgkmcnt(1)
	v_mul_f64 v[64:65], v[218:219], v[66:67]
	v_fma_f64 v[64:65], v[216:217], v[210:211], -v[64:65]
	v_mul_f64 v[216:217], v[216:217], v[66:67]
	v_fmac_f64_e32 v[216:217], v[218:219], v[210:211]
	s_waitcnt vmcnt(14)
	v_add_f64 v[54:55], v[54:55], -v[216:217]
	ds_read2_b64 v[216:219], v212 offset0:74 offset1:75
	v_add_f64 v[52:53], v[52:53], -v[64:65]
	s_waitcnt lgkmcnt(1)
	v_mul_f64 v[64:65], v[202:203], v[66:67]
	v_fma_f64 v[64:65], v[200:201], v[210:211], -v[64:65]
	v_mul_f64 v[200:201], v[200:201], v[66:67]
	v_fmac_f64_e32 v[200:201], v[202:203], v[210:211]
	s_waitcnt vmcnt(13)
	v_add_f64 v[48:49], v[48:49], -v[64:65]
	v_add_f64 v[50:51], v[50:51], -v[200:201]
	;; [unrolled: 18-line block ×8, first 2 shown]
	s_waitcnt lgkmcnt(0)
	v_mul_f64 v[64:65], v[218:219], v[66:67]
	v_mul_f64 v[200:201], v[216:217], v[66:67]
	v_fma_f64 v[64:65], v[216:217], v[210:211], -v[64:65]
	v_fmac_f64_e32 v[200:201], v[218:219], v[210:211]
	s_waitcnt vmcnt(0)
	v_add_f64 v[196:197], v[196:197], -v[64:65]
	v_add_f64 v[198:199], v[198:199], -v[200:201]
	v_mov_b64_e32 v[64:65], v[210:211]
.LBB98_692:
	s_or_b64 exec, exec, s[0:1]
	v_lshl_add_u32 v200, v213, 4, v212
	s_barrier
	s_waitcnt vmcnt(16)
	ds_write2_b64 v200, v[60:61], v[62:63] offset1:1
	s_waitcnt lgkmcnt(0)
	s_barrier
	ds_read2_b64 v[200:203], v212 offset0:66 offset1:67
	s_cmp_lt_i32 s20, 35
	v_mov_b32_e32 v210, 33
	s_cbranch_scc1 .LBB98_695
; %bb.693:
	v_add_u32_e32 v211, 0x220, v212
	s_mov_b32 s16, 34
	v_mov_b32_e32 v210, 33
.LBB98_694:                             ; =>This Inner Loop Header: Depth=1
	ds_read2_b64 v[216:219], v211 offset1:1
	s_waitcnt lgkmcnt(1)
	v_xor_b32_e32 v221, 0x80000000, v201
	v_xor_b32_e32 v223, 0x80000000, v203
	v_cmp_gt_f64_e32 vcc, 0, v[202:203]
	v_cmp_gt_f64_e64 s[0:1], 0, v[200:201]
	v_mov_b32_e32 v220, v200
	v_mov_b32_e32 v222, v202
	v_cndmask_b32_e64 v221, v201, v221, s[0:1]
	v_cndmask_b32_e32 v223, v203, v223, vcc
	v_add_f64 v[220:221], v[220:221], v[222:223]
	s_waitcnt lgkmcnt(0)
	v_xor_b32_e32 v223, 0x80000000, v217
	v_xor_b32_e32 v225, 0x80000000, v219
	v_cmp_gt_f64_e32 vcc, 0, v[218:219]
	v_cmp_gt_f64_e64 s[0:1], 0, v[216:217]
	v_mov_b32_e32 v222, v216
	v_mov_b32_e32 v224, v218
	v_cndmask_b32_e64 v223, v217, v223, s[0:1]
	v_cndmask_b32_e32 v225, v219, v225, vcc
	v_add_f64 v[222:223], v[222:223], v[224:225]
	v_mov_b32_e32 v226, s16
	s_add_i32 s16, s16, 1
	v_cmp_lt_f64_e32 vcc, v[220:221], v[222:223]
	v_add_u32_e32 v211, 16, v211
	s_cmp_lg_u32 s20, s16
	v_cndmask_b32_e32 v201, v201, v217, vcc
	v_cndmask_b32_e32 v200, v200, v216, vcc
	;; [unrolled: 1-line block ×5, first 2 shown]
	s_cbranch_scc1 .LBB98_694
.LBB98_695:
	s_waitcnt lgkmcnt(0)
	v_cmp_eq_f64_e32 vcc, 0, v[200:201]
	v_cmp_eq_f64_e64 s[0:1], 0, v[202:203]
	s_and_b64 s[0:1], vcc, s[0:1]
	s_and_saveexec_b64 s[16:17], s[0:1]
	s_xor_b64 s[0:1], exec, s[16:17]
; %bb.696:
	v_cmp_ne_u32_e32 vcc, 0, v214
	s_nop 1
	v_cndmask_b32_e32 v214, 34, v214, vcc
; %bb.697:
	s_andn2_saveexec_b64 s[0:1], s[0:1]
	s_cbranch_execz .LBB98_703
; %bb.698:
	v_cmp_ngt_f64_e64 s[16:17], |v[200:201]|, |v[202:203]|
	s_and_saveexec_b64 s[18:19], s[16:17]
	s_xor_b64 s[16:17], exec, s[18:19]
	s_cbranch_execz .LBB98_700
; %bb.699:
	v_div_scale_f64 v[216:217], s[18:19], v[202:203], v[202:203], v[200:201]
	v_rcp_f64_e32 v[218:219], v[216:217]
	v_div_scale_f64 v[220:221], vcc, v[200:201], v[202:203], v[200:201]
	v_fma_f64 v[222:223], -v[216:217], v[218:219], 1.0
	v_fmac_f64_e32 v[218:219], v[218:219], v[222:223]
	v_fma_f64 v[222:223], -v[216:217], v[218:219], 1.0
	v_fmac_f64_e32 v[218:219], v[218:219], v[222:223]
	v_mul_f64 v[222:223], v[220:221], v[218:219]
	v_fma_f64 v[216:217], -v[216:217], v[222:223], v[220:221]
	v_div_fmas_f64 v[216:217], v[216:217], v[218:219], v[222:223]
	v_div_fixup_f64 v[216:217], v[216:217], v[202:203], v[200:201]
	v_fmac_f64_e32 v[202:203], v[200:201], v[216:217]
	v_div_scale_f64 v[200:201], s[18:19], v[202:203], v[202:203], 1.0
	v_rcp_f64_e32 v[218:219], v[200:201]
	s_nop 0
	v_fma_f64 v[220:221], -v[200:201], v[218:219], 1.0
	v_fmac_f64_e32 v[218:219], v[218:219], v[220:221]
	v_fma_f64 v[220:221], -v[200:201], v[218:219], 1.0
	v_fmac_f64_e32 v[218:219], v[218:219], v[220:221]
	v_div_scale_f64 v[220:221], vcc, 1.0, v[202:203], 1.0
	v_mul_f64 v[222:223], v[220:221], v[218:219]
	v_fma_f64 v[200:201], -v[200:201], v[222:223], v[220:221]
	s_nop 1
	v_div_fmas_f64 v[200:201], v[200:201], v[218:219], v[222:223]
	v_div_fixup_f64 v[202:203], v[200:201], v[202:203], 1.0
	v_mul_f64 v[200:201], v[216:217], v[202:203]
	v_xor_b32_e32 v203, 0x80000000, v203
.LBB98_700:
	s_andn2_saveexec_b64 s[16:17], s[16:17]
	s_cbranch_execz .LBB98_702
; %bb.701:
	v_div_scale_f64 v[216:217], s[18:19], v[200:201], v[200:201], v[202:203]
	v_rcp_f64_e32 v[218:219], v[216:217]
	v_div_scale_f64 v[220:221], vcc, v[202:203], v[200:201], v[202:203]
	v_fma_f64 v[222:223], -v[216:217], v[218:219], 1.0
	v_fmac_f64_e32 v[218:219], v[218:219], v[222:223]
	v_fma_f64 v[222:223], -v[216:217], v[218:219], 1.0
	v_fmac_f64_e32 v[218:219], v[218:219], v[222:223]
	v_mul_f64 v[222:223], v[220:221], v[218:219]
	v_fma_f64 v[216:217], -v[216:217], v[222:223], v[220:221]
	v_div_fmas_f64 v[216:217], v[216:217], v[218:219], v[222:223]
	v_div_fixup_f64 v[216:217], v[216:217], v[200:201], v[202:203]
	v_fmac_f64_e32 v[200:201], v[202:203], v[216:217]
	v_div_scale_f64 v[202:203], s[18:19], v[200:201], v[200:201], 1.0
	v_rcp_f64_e32 v[218:219], v[202:203]
	s_nop 0
	v_fma_f64 v[220:221], -v[202:203], v[218:219], 1.0
	v_fmac_f64_e32 v[218:219], v[218:219], v[220:221]
	v_fma_f64 v[220:221], -v[202:203], v[218:219], 1.0
	v_fmac_f64_e32 v[218:219], v[218:219], v[220:221]
	v_div_scale_f64 v[220:221], vcc, 1.0, v[200:201], 1.0
	v_mul_f64 v[222:223], v[220:221], v[218:219]
	v_fma_f64 v[202:203], -v[202:203], v[222:223], v[220:221]
	s_nop 1
	v_div_fmas_f64 v[202:203], v[202:203], v[218:219], v[222:223]
	v_div_fixup_f64 v[200:201], v[202:203], v[200:201], 1.0
	v_mul_f64 v[202:203], v[216:217], -v[200:201]
.LBB98_702:
	s_or_b64 exec, exec, s[16:17]
.LBB98_703:
	s_or_b64 exec, exec, s[0:1]
	v_cmp_ne_u32_e32 vcc, v213, v210
	s_and_saveexec_b64 s[0:1], vcc
	s_xor_b64 s[0:1], exec, s[0:1]
	s_cbranch_execz .LBB98_709
; %bb.704:
	v_cmp_eq_u32_e32 vcc, 33, v213
	s_and_saveexec_b64 s[16:17], vcc
	s_cbranch_execz .LBB98_708
; %bb.705:
	v_cmp_ne_u32_e32 vcc, 33, v210
	s_xor_b64 s[18:19], s[14:15], -1
	s_and_b64 s[22:23], s[18:19], vcc
	s_and_saveexec_b64 s[18:19], s[22:23]
	s_cbranch_execz .LBB98_707
; %bb.706:
	v_ashrrev_i32_e32 v211, 31, v210
	v_lshl_add_u64 v[216:217], v[210:211], 2, v[208:209]
	global_load_dword v211, v[216:217], off
	global_load_dword v213, v[208:209], off offset:132
	s_waitcnt vmcnt(1)
	global_store_dword v[208:209], v211, off offset:132
	s_waitcnt vmcnt(1)
	global_store_dword v[216:217], v213, off
.LBB98_707:
	s_or_b64 exec, exec, s[18:19]
	v_mov_b32_e32 v213, v210
	v_mov_b32_e32 v215, v210
.LBB98_708:
	s_or_b64 exec, exec, s[16:17]
.LBB98_709:
	s_andn2_saveexec_b64 s[0:1], s[0:1]
	s_cbranch_execz .LBB98_711
; %bb.710:
	v_mov_b32_e32 v213, 33
	s_waitcnt vmcnt(15)
	ds_write2_b64 v212, v[56:57], v[58:59] offset0:68 offset1:69
	s_waitcnt vmcnt(14)
	ds_write2_b64 v212, v[52:53], v[54:55] offset0:70 offset1:71
	;; [unrolled: 2-line block ×16, first 2 shown]
.LBB98_711:
	s_or_b64 exec, exec, s[0:1]
	v_cmp_lt_i32_e32 vcc, 33, v213
	s_waitcnt lgkmcnt(0)
	s_barrier
	s_and_saveexec_b64 s[0:1], vcc
	s_cbranch_execz .LBB98_713
; %bb.712:
	ds_read2_b64 v[216:219], v212 offset0:68 offset1:69
	v_mul_f64 v[210:211], v[200:201], v[62:63]
	v_mul_f64 v[62:63], v[202:203], v[62:63]
	v_fmac_f64_e32 v[210:211], v[202:203], v[60:61]
	v_fma_f64 v[60:61], v[200:201], v[60:61], -v[62:63]
	ds_read2_b64 v[200:203], v212 offset0:70 offset1:71
	s_waitcnt lgkmcnt(1)
	v_mul_f64 v[62:63], v[218:219], v[210:211]
	v_fma_f64 v[62:63], v[216:217], v[60:61], -v[62:63]
	v_mul_f64 v[216:217], v[216:217], v[210:211]
	v_fmac_f64_e32 v[216:217], v[218:219], v[60:61]
	s_waitcnt vmcnt(15)
	v_add_f64 v[56:57], v[56:57], -v[62:63]
	s_waitcnt lgkmcnt(0)
	v_mul_f64 v[62:63], v[202:203], v[210:211]
	v_add_f64 v[58:59], v[58:59], -v[216:217]
	v_fma_f64 v[62:63], v[200:201], v[60:61], -v[62:63]
	v_mul_f64 v[200:201], v[200:201], v[210:211]
	ds_read2_b64 v[216:219], v212 offset0:72 offset1:73
	v_fmac_f64_e32 v[200:201], v[202:203], v[60:61]
	s_waitcnt vmcnt(14)
	v_add_f64 v[54:55], v[54:55], -v[200:201]
	ds_read2_b64 v[200:203], v212 offset0:74 offset1:75
	v_add_f64 v[52:53], v[52:53], -v[62:63]
	s_waitcnt lgkmcnt(1)
	v_mul_f64 v[62:63], v[218:219], v[210:211]
	v_fma_f64 v[62:63], v[216:217], v[60:61], -v[62:63]
	v_mul_f64 v[216:217], v[216:217], v[210:211]
	v_fmac_f64_e32 v[216:217], v[218:219], v[60:61]
	s_waitcnt vmcnt(13)
	v_add_f64 v[48:49], v[48:49], -v[62:63]
	s_waitcnt lgkmcnt(0)
	v_mul_f64 v[62:63], v[202:203], v[210:211]
	v_add_f64 v[50:51], v[50:51], -v[216:217]
	v_fma_f64 v[62:63], v[200:201], v[60:61], -v[62:63]
	v_mul_f64 v[200:201], v[200:201], v[210:211]
	ds_read2_b64 v[216:219], v212 offset0:76 offset1:77
	v_fmac_f64_e32 v[200:201], v[202:203], v[60:61]
	s_waitcnt vmcnt(12)
	v_add_f64 v[46:47], v[46:47], -v[200:201]
	ds_read2_b64 v[200:203], v212 offset0:78 offset1:79
	v_add_f64 v[44:45], v[44:45], -v[62:63]
	;; [unrolled: 18-line block ×7, first 2 shown]
	s_waitcnt lgkmcnt(1)
	v_mul_f64 v[62:63], v[218:219], v[210:211]
	v_fma_f64 v[62:63], v[216:217], v[60:61], -v[62:63]
	s_waitcnt vmcnt(1)
	v_add_f64 v[0:1], v[0:1], -v[62:63]
	s_waitcnt lgkmcnt(0)
	v_mul_f64 v[62:63], v[202:203], v[210:211]
	v_mul_f64 v[216:217], v[216:217], v[210:211]
	v_fma_f64 v[62:63], v[200:201], v[60:61], -v[62:63]
	v_mul_f64 v[200:201], v[200:201], v[210:211]
	v_fmac_f64_e32 v[216:217], v[218:219], v[60:61]
	v_fmac_f64_e32 v[200:201], v[202:203], v[60:61]
	v_add_f64 v[2:3], v[2:3], -v[216:217]
	s_waitcnt vmcnt(0)
	v_add_f64 v[196:197], v[196:197], -v[62:63]
	v_add_f64 v[198:199], v[198:199], -v[200:201]
	v_mov_b64_e32 v[62:63], v[210:211]
.LBB98_713:
	s_or_b64 exec, exec, s[0:1]
	v_lshl_add_u32 v200, v213, 4, v212
	s_barrier
	s_waitcnt vmcnt(15)
	ds_write2_b64 v200, v[56:57], v[58:59] offset1:1
	s_waitcnt lgkmcnt(0)
	s_barrier
	ds_read2_b64 v[200:203], v212 offset0:68 offset1:69
	s_cmp_lt_i32 s20, 36
	v_mov_b32_e32 v210, 34
	s_cbranch_scc1 .LBB98_716
; %bb.714:
	v_add_u32_e32 v211, 0x230, v212
	s_mov_b32 s16, 35
	v_mov_b32_e32 v210, 34
.LBB98_715:                             ; =>This Inner Loop Header: Depth=1
	ds_read2_b64 v[216:219], v211 offset1:1
	s_waitcnt lgkmcnt(1)
	v_xor_b32_e32 v221, 0x80000000, v201
	v_xor_b32_e32 v223, 0x80000000, v203
	v_cmp_gt_f64_e32 vcc, 0, v[202:203]
	v_cmp_gt_f64_e64 s[0:1], 0, v[200:201]
	v_mov_b32_e32 v220, v200
	v_mov_b32_e32 v222, v202
	v_cndmask_b32_e64 v221, v201, v221, s[0:1]
	v_cndmask_b32_e32 v223, v203, v223, vcc
	v_add_f64 v[220:221], v[220:221], v[222:223]
	s_waitcnt lgkmcnt(0)
	v_xor_b32_e32 v223, 0x80000000, v217
	v_xor_b32_e32 v225, 0x80000000, v219
	v_cmp_gt_f64_e32 vcc, 0, v[218:219]
	v_cmp_gt_f64_e64 s[0:1], 0, v[216:217]
	v_mov_b32_e32 v222, v216
	v_mov_b32_e32 v224, v218
	v_cndmask_b32_e64 v223, v217, v223, s[0:1]
	v_cndmask_b32_e32 v225, v219, v225, vcc
	v_add_f64 v[222:223], v[222:223], v[224:225]
	v_mov_b32_e32 v226, s16
	s_add_i32 s16, s16, 1
	v_cmp_lt_f64_e32 vcc, v[220:221], v[222:223]
	v_add_u32_e32 v211, 16, v211
	s_cmp_lg_u32 s20, s16
	v_cndmask_b32_e32 v201, v201, v217, vcc
	v_cndmask_b32_e32 v200, v200, v216, vcc
	;; [unrolled: 1-line block ×5, first 2 shown]
	s_cbranch_scc1 .LBB98_715
.LBB98_716:
	s_waitcnt lgkmcnt(0)
	v_cmp_eq_f64_e32 vcc, 0, v[200:201]
	v_cmp_eq_f64_e64 s[0:1], 0, v[202:203]
	s_and_b64 s[0:1], vcc, s[0:1]
	s_and_saveexec_b64 s[16:17], s[0:1]
	s_xor_b64 s[0:1], exec, s[16:17]
; %bb.717:
	v_cmp_ne_u32_e32 vcc, 0, v214
	s_nop 1
	v_cndmask_b32_e32 v214, 35, v214, vcc
; %bb.718:
	s_andn2_saveexec_b64 s[0:1], s[0:1]
	s_cbranch_execz .LBB98_724
; %bb.719:
	v_cmp_ngt_f64_e64 s[16:17], |v[200:201]|, |v[202:203]|
	s_and_saveexec_b64 s[18:19], s[16:17]
	s_xor_b64 s[16:17], exec, s[18:19]
	s_cbranch_execz .LBB98_721
; %bb.720:
	v_div_scale_f64 v[216:217], s[18:19], v[202:203], v[202:203], v[200:201]
	v_rcp_f64_e32 v[218:219], v[216:217]
	v_div_scale_f64 v[220:221], vcc, v[200:201], v[202:203], v[200:201]
	v_fma_f64 v[222:223], -v[216:217], v[218:219], 1.0
	v_fmac_f64_e32 v[218:219], v[218:219], v[222:223]
	v_fma_f64 v[222:223], -v[216:217], v[218:219], 1.0
	v_fmac_f64_e32 v[218:219], v[218:219], v[222:223]
	v_mul_f64 v[222:223], v[220:221], v[218:219]
	v_fma_f64 v[216:217], -v[216:217], v[222:223], v[220:221]
	v_div_fmas_f64 v[216:217], v[216:217], v[218:219], v[222:223]
	v_div_fixup_f64 v[216:217], v[216:217], v[202:203], v[200:201]
	v_fmac_f64_e32 v[202:203], v[200:201], v[216:217]
	v_div_scale_f64 v[200:201], s[18:19], v[202:203], v[202:203], 1.0
	v_rcp_f64_e32 v[218:219], v[200:201]
	s_nop 0
	v_fma_f64 v[220:221], -v[200:201], v[218:219], 1.0
	v_fmac_f64_e32 v[218:219], v[218:219], v[220:221]
	v_fma_f64 v[220:221], -v[200:201], v[218:219], 1.0
	v_fmac_f64_e32 v[218:219], v[218:219], v[220:221]
	v_div_scale_f64 v[220:221], vcc, 1.0, v[202:203], 1.0
	v_mul_f64 v[222:223], v[220:221], v[218:219]
	v_fma_f64 v[200:201], -v[200:201], v[222:223], v[220:221]
	s_nop 1
	v_div_fmas_f64 v[200:201], v[200:201], v[218:219], v[222:223]
	v_div_fixup_f64 v[202:203], v[200:201], v[202:203], 1.0
	v_mul_f64 v[200:201], v[216:217], v[202:203]
	v_xor_b32_e32 v203, 0x80000000, v203
.LBB98_721:
	s_andn2_saveexec_b64 s[16:17], s[16:17]
	s_cbranch_execz .LBB98_723
; %bb.722:
	v_div_scale_f64 v[216:217], s[18:19], v[200:201], v[200:201], v[202:203]
	v_rcp_f64_e32 v[218:219], v[216:217]
	v_div_scale_f64 v[220:221], vcc, v[202:203], v[200:201], v[202:203]
	v_fma_f64 v[222:223], -v[216:217], v[218:219], 1.0
	v_fmac_f64_e32 v[218:219], v[218:219], v[222:223]
	v_fma_f64 v[222:223], -v[216:217], v[218:219], 1.0
	v_fmac_f64_e32 v[218:219], v[218:219], v[222:223]
	v_mul_f64 v[222:223], v[220:221], v[218:219]
	v_fma_f64 v[216:217], -v[216:217], v[222:223], v[220:221]
	v_div_fmas_f64 v[216:217], v[216:217], v[218:219], v[222:223]
	v_div_fixup_f64 v[216:217], v[216:217], v[200:201], v[202:203]
	v_fmac_f64_e32 v[200:201], v[202:203], v[216:217]
	v_div_scale_f64 v[202:203], s[18:19], v[200:201], v[200:201], 1.0
	v_rcp_f64_e32 v[218:219], v[202:203]
	s_nop 0
	v_fma_f64 v[220:221], -v[202:203], v[218:219], 1.0
	v_fmac_f64_e32 v[218:219], v[218:219], v[220:221]
	v_fma_f64 v[220:221], -v[202:203], v[218:219], 1.0
	v_fmac_f64_e32 v[218:219], v[218:219], v[220:221]
	v_div_scale_f64 v[220:221], vcc, 1.0, v[200:201], 1.0
	v_mul_f64 v[222:223], v[220:221], v[218:219]
	v_fma_f64 v[202:203], -v[202:203], v[222:223], v[220:221]
	s_nop 1
	v_div_fmas_f64 v[202:203], v[202:203], v[218:219], v[222:223]
	v_div_fixup_f64 v[200:201], v[202:203], v[200:201], 1.0
	v_mul_f64 v[202:203], v[216:217], -v[200:201]
.LBB98_723:
	s_or_b64 exec, exec, s[16:17]
.LBB98_724:
	s_or_b64 exec, exec, s[0:1]
	v_cmp_ne_u32_e32 vcc, v213, v210
	s_and_saveexec_b64 s[0:1], vcc
	s_xor_b64 s[0:1], exec, s[0:1]
	s_cbranch_execz .LBB98_730
; %bb.725:
	v_cmp_eq_u32_e32 vcc, 34, v213
	s_and_saveexec_b64 s[16:17], vcc
	s_cbranch_execz .LBB98_729
; %bb.726:
	v_cmp_ne_u32_e32 vcc, 34, v210
	s_xor_b64 s[18:19], s[14:15], -1
	s_and_b64 s[22:23], s[18:19], vcc
	s_and_saveexec_b64 s[18:19], s[22:23]
	s_cbranch_execz .LBB98_728
; %bb.727:
	v_ashrrev_i32_e32 v211, 31, v210
	v_lshl_add_u64 v[216:217], v[210:211], 2, v[208:209]
	global_load_dword v211, v[216:217], off
	global_load_dword v213, v[208:209], off offset:136
	s_waitcnt vmcnt(1)
	global_store_dword v[208:209], v211, off offset:136
	s_waitcnt vmcnt(1)
	global_store_dword v[216:217], v213, off
.LBB98_728:
	s_or_b64 exec, exec, s[18:19]
	v_mov_b32_e32 v213, v210
	v_mov_b32_e32 v215, v210
.LBB98_729:
	s_or_b64 exec, exec, s[16:17]
.LBB98_730:
	s_andn2_saveexec_b64 s[0:1], s[0:1]
	s_cbranch_execz .LBB98_732
; %bb.731:
	v_mov_b32_e32 v213, 34
	s_waitcnt vmcnt(14)
	ds_write2_b64 v212, v[52:53], v[54:55] offset0:70 offset1:71
	s_waitcnt vmcnt(13)
	ds_write2_b64 v212, v[48:49], v[50:51] offset0:72 offset1:73
	;; [unrolled: 2-line block ×15, first 2 shown]
.LBB98_732:
	s_or_b64 exec, exec, s[0:1]
	v_cmp_lt_i32_e32 vcc, 34, v213
	s_waitcnt lgkmcnt(0)
	s_barrier
	s_and_saveexec_b64 s[0:1], vcc
	s_cbranch_execz .LBB98_734
; %bb.733:
	ds_read2_b64 v[216:219], v212 offset0:70 offset1:71
	v_mul_f64 v[210:211], v[200:201], v[58:59]
	v_fmac_f64_e32 v[210:211], v[202:203], v[56:57]
	v_mul_f64 v[58:59], v[202:203], v[58:59]
	v_fma_f64 v[56:57], v[200:201], v[56:57], -v[58:59]
	ds_read2_b64 v[200:203], v212 offset0:72 offset1:73
	s_waitcnt lgkmcnt(1)
	v_mul_f64 v[58:59], v[218:219], v[210:211]
	v_fma_f64 v[58:59], v[216:217], v[56:57], -v[58:59]
	v_mul_f64 v[216:217], v[216:217], v[210:211]
	v_fmac_f64_e32 v[216:217], v[218:219], v[56:57]
	s_waitcnt vmcnt(14)
	v_add_f64 v[54:55], v[54:55], -v[216:217]
	ds_read2_b64 v[216:219], v212 offset0:74 offset1:75
	v_add_f64 v[52:53], v[52:53], -v[58:59]
	s_waitcnt lgkmcnt(1)
	v_mul_f64 v[58:59], v[202:203], v[210:211]
	v_fma_f64 v[58:59], v[200:201], v[56:57], -v[58:59]
	v_mul_f64 v[200:201], v[200:201], v[210:211]
	v_fmac_f64_e32 v[200:201], v[202:203], v[56:57]
	s_waitcnt vmcnt(13)
	v_add_f64 v[48:49], v[48:49], -v[58:59]
	v_add_f64 v[50:51], v[50:51], -v[200:201]
	ds_read2_b64 v[200:203], v212 offset0:76 offset1:77
	s_waitcnt lgkmcnt(1)
	v_mul_f64 v[58:59], v[218:219], v[210:211]
	v_fma_f64 v[58:59], v[216:217], v[56:57], -v[58:59]
	v_mul_f64 v[216:217], v[216:217], v[210:211]
	v_fmac_f64_e32 v[216:217], v[218:219], v[56:57]
	s_waitcnt vmcnt(12)
	v_add_f64 v[46:47], v[46:47], -v[216:217]
	ds_read2_b64 v[216:219], v212 offset0:78 offset1:79
	v_add_f64 v[44:45], v[44:45], -v[58:59]
	s_waitcnt lgkmcnt(1)
	v_mul_f64 v[58:59], v[202:203], v[210:211]
	v_fma_f64 v[58:59], v[200:201], v[56:57], -v[58:59]
	v_mul_f64 v[200:201], v[200:201], v[210:211]
	v_fmac_f64_e32 v[200:201], v[202:203], v[56:57]
	s_waitcnt vmcnt(11)
	v_add_f64 v[40:41], v[40:41], -v[58:59]
	v_add_f64 v[42:43], v[42:43], -v[200:201]
	;; [unrolled: 18-line block ×7, first 2 shown]
	s_waitcnt lgkmcnt(0)
	v_mul_f64 v[58:59], v[218:219], v[210:211]
	v_mul_f64 v[200:201], v[216:217], v[210:211]
	v_fma_f64 v[58:59], v[216:217], v[56:57], -v[58:59]
	v_fmac_f64_e32 v[200:201], v[218:219], v[56:57]
	s_waitcnt vmcnt(0)
	v_add_f64 v[196:197], v[196:197], -v[58:59]
	v_add_f64 v[198:199], v[198:199], -v[200:201]
	v_mov_b64_e32 v[58:59], v[210:211]
.LBB98_734:
	s_or_b64 exec, exec, s[0:1]
	v_lshl_add_u32 v200, v213, 4, v212
	s_barrier
	s_waitcnt vmcnt(14)
	ds_write2_b64 v200, v[52:53], v[54:55] offset1:1
	s_waitcnt lgkmcnt(0)
	s_barrier
	ds_read2_b64 v[200:203], v212 offset0:70 offset1:71
	s_cmp_lt_i32 s20, 37
	v_mov_b32_e32 v210, 35
	s_cbranch_scc1 .LBB98_737
; %bb.735:
	v_add_u32_e32 v211, 0x240, v212
	s_mov_b32 s16, 36
	v_mov_b32_e32 v210, 35
.LBB98_736:                             ; =>This Inner Loop Header: Depth=1
	ds_read2_b64 v[216:219], v211 offset1:1
	s_waitcnt lgkmcnt(1)
	v_xor_b32_e32 v221, 0x80000000, v201
	v_xor_b32_e32 v223, 0x80000000, v203
	v_cmp_gt_f64_e32 vcc, 0, v[202:203]
	v_cmp_gt_f64_e64 s[0:1], 0, v[200:201]
	v_mov_b32_e32 v220, v200
	v_mov_b32_e32 v222, v202
	v_cndmask_b32_e64 v221, v201, v221, s[0:1]
	v_cndmask_b32_e32 v223, v203, v223, vcc
	v_add_f64 v[220:221], v[220:221], v[222:223]
	s_waitcnt lgkmcnt(0)
	v_xor_b32_e32 v223, 0x80000000, v217
	v_xor_b32_e32 v225, 0x80000000, v219
	v_cmp_gt_f64_e32 vcc, 0, v[218:219]
	v_cmp_gt_f64_e64 s[0:1], 0, v[216:217]
	v_mov_b32_e32 v222, v216
	v_mov_b32_e32 v224, v218
	v_cndmask_b32_e64 v223, v217, v223, s[0:1]
	v_cndmask_b32_e32 v225, v219, v225, vcc
	v_add_f64 v[222:223], v[222:223], v[224:225]
	v_mov_b32_e32 v226, s16
	s_add_i32 s16, s16, 1
	v_cmp_lt_f64_e32 vcc, v[220:221], v[222:223]
	v_add_u32_e32 v211, 16, v211
	s_cmp_lg_u32 s20, s16
	v_cndmask_b32_e32 v201, v201, v217, vcc
	v_cndmask_b32_e32 v200, v200, v216, vcc
	;; [unrolled: 1-line block ×5, first 2 shown]
	s_cbranch_scc1 .LBB98_736
.LBB98_737:
	s_waitcnt lgkmcnt(0)
	v_cmp_eq_f64_e32 vcc, 0, v[200:201]
	v_cmp_eq_f64_e64 s[0:1], 0, v[202:203]
	s_and_b64 s[0:1], vcc, s[0:1]
	s_and_saveexec_b64 s[16:17], s[0:1]
	s_xor_b64 s[0:1], exec, s[16:17]
; %bb.738:
	v_cmp_ne_u32_e32 vcc, 0, v214
	s_nop 1
	v_cndmask_b32_e32 v214, 36, v214, vcc
; %bb.739:
	s_andn2_saveexec_b64 s[0:1], s[0:1]
	s_cbranch_execz .LBB98_745
; %bb.740:
	v_cmp_ngt_f64_e64 s[16:17], |v[200:201]|, |v[202:203]|
	s_and_saveexec_b64 s[18:19], s[16:17]
	s_xor_b64 s[16:17], exec, s[18:19]
	s_cbranch_execz .LBB98_742
; %bb.741:
	v_div_scale_f64 v[216:217], s[18:19], v[202:203], v[202:203], v[200:201]
	v_rcp_f64_e32 v[218:219], v[216:217]
	v_div_scale_f64 v[220:221], vcc, v[200:201], v[202:203], v[200:201]
	v_fma_f64 v[222:223], -v[216:217], v[218:219], 1.0
	v_fmac_f64_e32 v[218:219], v[218:219], v[222:223]
	v_fma_f64 v[222:223], -v[216:217], v[218:219], 1.0
	v_fmac_f64_e32 v[218:219], v[218:219], v[222:223]
	v_mul_f64 v[222:223], v[220:221], v[218:219]
	v_fma_f64 v[216:217], -v[216:217], v[222:223], v[220:221]
	v_div_fmas_f64 v[216:217], v[216:217], v[218:219], v[222:223]
	v_div_fixup_f64 v[216:217], v[216:217], v[202:203], v[200:201]
	v_fmac_f64_e32 v[202:203], v[200:201], v[216:217]
	v_div_scale_f64 v[200:201], s[18:19], v[202:203], v[202:203], 1.0
	v_rcp_f64_e32 v[218:219], v[200:201]
	s_nop 0
	v_fma_f64 v[220:221], -v[200:201], v[218:219], 1.0
	v_fmac_f64_e32 v[218:219], v[218:219], v[220:221]
	v_fma_f64 v[220:221], -v[200:201], v[218:219], 1.0
	v_fmac_f64_e32 v[218:219], v[218:219], v[220:221]
	v_div_scale_f64 v[220:221], vcc, 1.0, v[202:203], 1.0
	v_mul_f64 v[222:223], v[220:221], v[218:219]
	v_fma_f64 v[200:201], -v[200:201], v[222:223], v[220:221]
	s_nop 1
	v_div_fmas_f64 v[200:201], v[200:201], v[218:219], v[222:223]
	v_div_fixup_f64 v[202:203], v[200:201], v[202:203], 1.0
	v_mul_f64 v[200:201], v[216:217], v[202:203]
	v_xor_b32_e32 v203, 0x80000000, v203
.LBB98_742:
	s_andn2_saveexec_b64 s[16:17], s[16:17]
	s_cbranch_execz .LBB98_744
; %bb.743:
	v_div_scale_f64 v[216:217], s[18:19], v[200:201], v[200:201], v[202:203]
	v_rcp_f64_e32 v[218:219], v[216:217]
	v_div_scale_f64 v[220:221], vcc, v[202:203], v[200:201], v[202:203]
	v_fma_f64 v[222:223], -v[216:217], v[218:219], 1.0
	v_fmac_f64_e32 v[218:219], v[218:219], v[222:223]
	v_fma_f64 v[222:223], -v[216:217], v[218:219], 1.0
	v_fmac_f64_e32 v[218:219], v[218:219], v[222:223]
	v_mul_f64 v[222:223], v[220:221], v[218:219]
	v_fma_f64 v[216:217], -v[216:217], v[222:223], v[220:221]
	v_div_fmas_f64 v[216:217], v[216:217], v[218:219], v[222:223]
	v_div_fixup_f64 v[216:217], v[216:217], v[200:201], v[202:203]
	v_fmac_f64_e32 v[200:201], v[202:203], v[216:217]
	v_div_scale_f64 v[202:203], s[18:19], v[200:201], v[200:201], 1.0
	v_rcp_f64_e32 v[218:219], v[202:203]
	s_nop 0
	v_fma_f64 v[220:221], -v[202:203], v[218:219], 1.0
	v_fmac_f64_e32 v[218:219], v[218:219], v[220:221]
	v_fma_f64 v[220:221], -v[202:203], v[218:219], 1.0
	v_fmac_f64_e32 v[218:219], v[218:219], v[220:221]
	v_div_scale_f64 v[220:221], vcc, 1.0, v[200:201], 1.0
	v_mul_f64 v[222:223], v[220:221], v[218:219]
	v_fma_f64 v[202:203], -v[202:203], v[222:223], v[220:221]
	s_nop 1
	v_div_fmas_f64 v[202:203], v[202:203], v[218:219], v[222:223]
	v_div_fixup_f64 v[200:201], v[202:203], v[200:201], 1.0
	v_mul_f64 v[202:203], v[216:217], -v[200:201]
.LBB98_744:
	s_or_b64 exec, exec, s[16:17]
.LBB98_745:
	s_or_b64 exec, exec, s[0:1]
	v_cmp_ne_u32_e32 vcc, v213, v210
	s_and_saveexec_b64 s[0:1], vcc
	s_xor_b64 s[0:1], exec, s[0:1]
	s_cbranch_execz .LBB98_751
; %bb.746:
	v_cmp_eq_u32_e32 vcc, 35, v213
	s_and_saveexec_b64 s[16:17], vcc
	s_cbranch_execz .LBB98_750
; %bb.747:
	v_cmp_ne_u32_e32 vcc, 35, v210
	s_xor_b64 s[18:19], s[14:15], -1
	s_and_b64 s[22:23], s[18:19], vcc
	s_and_saveexec_b64 s[18:19], s[22:23]
	s_cbranch_execz .LBB98_749
; %bb.748:
	v_ashrrev_i32_e32 v211, 31, v210
	v_lshl_add_u64 v[216:217], v[210:211], 2, v[208:209]
	global_load_dword v211, v[216:217], off
	global_load_dword v213, v[208:209], off offset:140
	s_waitcnt vmcnt(1)
	global_store_dword v[208:209], v211, off offset:140
	s_waitcnt vmcnt(1)
	global_store_dword v[216:217], v213, off
.LBB98_749:
	s_or_b64 exec, exec, s[18:19]
	v_mov_b32_e32 v213, v210
	v_mov_b32_e32 v215, v210
.LBB98_750:
	s_or_b64 exec, exec, s[16:17]
.LBB98_751:
	s_andn2_saveexec_b64 s[0:1], s[0:1]
	s_cbranch_execz .LBB98_753
; %bb.752:
	v_mov_b32_e32 v213, 35
	s_waitcnt vmcnt(13)
	ds_write2_b64 v212, v[48:49], v[50:51] offset0:72 offset1:73
	s_waitcnt vmcnt(12)
	ds_write2_b64 v212, v[44:45], v[46:47] offset0:74 offset1:75
	;; [unrolled: 2-line block ×14, first 2 shown]
.LBB98_753:
	s_or_b64 exec, exec, s[0:1]
	v_cmp_lt_i32_e32 vcc, 35, v213
	s_waitcnt lgkmcnt(0)
	s_barrier
	s_and_saveexec_b64 s[0:1], vcc
	s_cbranch_execz .LBB98_755
; %bb.754:
	ds_read2_b64 v[216:219], v212 offset0:72 offset1:73
	v_mul_f64 v[210:211], v[200:201], v[54:55]
	v_mul_f64 v[54:55], v[202:203], v[54:55]
	v_fmac_f64_e32 v[210:211], v[202:203], v[52:53]
	v_fma_f64 v[52:53], v[200:201], v[52:53], -v[54:55]
	ds_read2_b64 v[200:203], v212 offset0:74 offset1:75
	s_waitcnt lgkmcnt(1)
	v_mul_f64 v[54:55], v[218:219], v[210:211]
	v_fma_f64 v[54:55], v[216:217], v[52:53], -v[54:55]
	v_mul_f64 v[216:217], v[216:217], v[210:211]
	v_fmac_f64_e32 v[216:217], v[218:219], v[52:53]
	s_waitcnt vmcnt(13)
	v_add_f64 v[48:49], v[48:49], -v[54:55]
	s_waitcnt lgkmcnt(0)
	v_mul_f64 v[54:55], v[202:203], v[210:211]
	v_add_f64 v[50:51], v[50:51], -v[216:217]
	v_fma_f64 v[54:55], v[200:201], v[52:53], -v[54:55]
	v_mul_f64 v[200:201], v[200:201], v[210:211]
	ds_read2_b64 v[216:219], v212 offset0:76 offset1:77
	v_fmac_f64_e32 v[200:201], v[202:203], v[52:53]
	s_waitcnt vmcnt(12)
	v_add_f64 v[46:47], v[46:47], -v[200:201]
	ds_read2_b64 v[200:203], v212 offset0:78 offset1:79
	v_add_f64 v[44:45], v[44:45], -v[54:55]
	s_waitcnt lgkmcnt(1)
	v_mul_f64 v[54:55], v[218:219], v[210:211]
	v_fma_f64 v[54:55], v[216:217], v[52:53], -v[54:55]
	v_mul_f64 v[216:217], v[216:217], v[210:211]
	v_fmac_f64_e32 v[216:217], v[218:219], v[52:53]
	s_waitcnt vmcnt(11)
	v_add_f64 v[40:41], v[40:41], -v[54:55]
	s_waitcnt lgkmcnt(0)
	v_mul_f64 v[54:55], v[202:203], v[210:211]
	v_add_f64 v[42:43], v[42:43], -v[216:217]
	v_fma_f64 v[54:55], v[200:201], v[52:53], -v[54:55]
	v_mul_f64 v[200:201], v[200:201], v[210:211]
	ds_read2_b64 v[216:219], v212 offset0:80 offset1:81
	v_fmac_f64_e32 v[200:201], v[202:203], v[52:53]
	s_waitcnt vmcnt(10)
	v_add_f64 v[38:39], v[38:39], -v[200:201]
	ds_read2_b64 v[200:203], v212 offset0:82 offset1:83
	v_add_f64 v[36:37], v[36:37], -v[54:55]
	;; [unrolled: 18-line block ×6, first 2 shown]
	s_waitcnt lgkmcnt(1)
	v_mul_f64 v[54:55], v[218:219], v[210:211]
	v_fma_f64 v[54:55], v[216:217], v[52:53], -v[54:55]
	s_waitcnt vmcnt(1)
	v_add_f64 v[0:1], v[0:1], -v[54:55]
	s_waitcnt lgkmcnt(0)
	v_mul_f64 v[54:55], v[202:203], v[210:211]
	v_mul_f64 v[216:217], v[216:217], v[210:211]
	v_fma_f64 v[54:55], v[200:201], v[52:53], -v[54:55]
	v_mul_f64 v[200:201], v[200:201], v[210:211]
	v_fmac_f64_e32 v[216:217], v[218:219], v[52:53]
	v_fmac_f64_e32 v[200:201], v[202:203], v[52:53]
	v_add_f64 v[2:3], v[2:3], -v[216:217]
	s_waitcnt vmcnt(0)
	v_add_f64 v[196:197], v[196:197], -v[54:55]
	v_add_f64 v[198:199], v[198:199], -v[200:201]
	v_mov_b64_e32 v[54:55], v[210:211]
.LBB98_755:
	s_or_b64 exec, exec, s[0:1]
	v_lshl_add_u32 v200, v213, 4, v212
	s_barrier
	s_waitcnt vmcnt(13)
	ds_write2_b64 v200, v[48:49], v[50:51] offset1:1
	s_waitcnt lgkmcnt(0)
	s_barrier
	ds_read2_b64 v[200:203], v212 offset0:72 offset1:73
	s_cmp_lt_i32 s20, 38
	v_mov_b32_e32 v210, 36
	s_cbranch_scc1 .LBB98_758
; %bb.756:
	v_add_u32_e32 v211, 0x250, v212
	s_mov_b32 s16, 37
	v_mov_b32_e32 v210, 36
.LBB98_757:                             ; =>This Inner Loop Header: Depth=1
	ds_read2_b64 v[216:219], v211 offset1:1
	s_waitcnt lgkmcnt(1)
	v_xor_b32_e32 v221, 0x80000000, v201
	v_xor_b32_e32 v223, 0x80000000, v203
	v_cmp_gt_f64_e32 vcc, 0, v[202:203]
	v_cmp_gt_f64_e64 s[0:1], 0, v[200:201]
	v_mov_b32_e32 v220, v200
	v_mov_b32_e32 v222, v202
	v_cndmask_b32_e64 v221, v201, v221, s[0:1]
	v_cndmask_b32_e32 v223, v203, v223, vcc
	v_add_f64 v[220:221], v[220:221], v[222:223]
	s_waitcnt lgkmcnt(0)
	v_xor_b32_e32 v223, 0x80000000, v217
	v_xor_b32_e32 v225, 0x80000000, v219
	v_cmp_gt_f64_e32 vcc, 0, v[218:219]
	v_cmp_gt_f64_e64 s[0:1], 0, v[216:217]
	v_mov_b32_e32 v222, v216
	v_mov_b32_e32 v224, v218
	v_cndmask_b32_e64 v223, v217, v223, s[0:1]
	v_cndmask_b32_e32 v225, v219, v225, vcc
	v_add_f64 v[222:223], v[222:223], v[224:225]
	v_mov_b32_e32 v226, s16
	s_add_i32 s16, s16, 1
	v_cmp_lt_f64_e32 vcc, v[220:221], v[222:223]
	v_add_u32_e32 v211, 16, v211
	s_cmp_lg_u32 s20, s16
	v_cndmask_b32_e32 v201, v201, v217, vcc
	v_cndmask_b32_e32 v200, v200, v216, vcc
	;; [unrolled: 1-line block ×5, first 2 shown]
	s_cbranch_scc1 .LBB98_757
.LBB98_758:
	s_waitcnt lgkmcnt(0)
	v_cmp_eq_f64_e32 vcc, 0, v[200:201]
	v_cmp_eq_f64_e64 s[0:1], 0, v[202:203]
	s_and_b64 s[0:1], vcc, s[0:1]
	s_and_saveexec_b64 s[16:17], s[0:1]
	s_xor_b64 s[0:1], exec, s[16:17]
; %bb.759:
	v_cmp_ne_u32_e32 vcc, 0, v214
	s_nop 1
	v_cndmask_b32_e32 v214, 37, v214, vcc
; %bb.760:
	s_andn2_saveexec_b64 s[0:1], s[0:1]
	s_cbranch_execz .LBB98_766
; %bb.761:
	v_cmp_ngt_f64_e64 s[16:17], |v[200:201]|, |v[202:203]|
	s_and_saveexec_b64 s[18:19], s[16:17]
	s_xor_b64 s[16:17], exec, s[18:19]
	s_cbranch_execz .LBB98_763
; %bb.762:
	v_div_scale_f64 v[216:217], s[18:19], v[202:203], v[202:203], v[200:201]
	v_rcp_f64_e32 v[218:219], v[216:217]
	v_div_scale_f64 v[220:221], vcc, v[200:201], v[202:203], v[200:201]
	v_fma_f64 v[222:223], -v[216:217], v[218:219], 1.0
	v_fmac_f64_e32 v[218:219], v[218:219], v[222:223]
	v_fma_f64 v[222:223], -v[216:217], v[218:219], 1.0
	v_fmac_f64_e32 v[218:219], v[218:219], v[222:223]
	v_mul_f64 v[222:223], v[220:221], v[218:219]
	v_fma_f64 v[216:217], -v[216:217], v[222:223], v[220:221]
	v_div_fmas_f64 v[216:217], v[216:217], v[218:219], v[222:223]
	v_div_fixup_f64 v[216:217], v[216:217], v[202:203], v[200:201]
	v_fmac_f64_e32 v[202:203], v[200:201], v[216:217]
	v_div_scale_f64 v[200:201], s[18:19], v[202:203], v[202:203], 1.0
	v_rcp_f64_e32 v[218:219], v[200:201]
	s_nop 0
	v_fma_f64 v[220:221], -v[200:201], v[218:219], 1.0
	v_fmac_f64_e32 v[218:219], v[218:219], v[220:221]
	v_fma_f64 v[220:221], -v[200:201], v[218:219], 1.0
	v_fmac_f64_e32 v[218:219], v[218:219], v[220:221]
	v_div_scale_f64 v[220:221], vcc, 1.0, v[202:203], 1.0
	v_mul_f64 v[222:223], v[220:221], v[218:219]
	v_fma_f64 v[200:201], -v[200:201], v[222:223], v[220:221]
	s_nop 1
	v_div_fmas_f64 v[200:201], v[200:201], v[218:219], v[222:223]
	v_div_fixup_f64 v[202:203], v[200:201], v[202:203], 1.0
	v_mul_f64 v[200:201], v[216:217], v[202:203]
	v_xor_b32_e32 v203, 0x80000000, v203
.LBB98_763:
	s_andn2_saveexec_b64 s[16:17], s[16:17]
	s_cbranch_execz .LBB98_765
; %bb.764:
	v_div_scale_f64 v[216:217], s[18:19], v[200:201], v[200:201], v[202:203]
	v_rcp_f64_e32 v[218:219], v[216:217]
	v_div_scale_f64 v[220:221], vcc, v[202:203], v[200:201], v[202:203]
	v_fma_f64 v[222:223], -v[216:217], v[218:219], 1.0
	v_fmac_f64_e32 v[218:219], v[218:219], v[222:223]
	v_fma_f64 v[222:223], -v[216:217], v[218:219], 1.0
	v_fmac_f64_e32 v[218:219], v[218:219], v[222:223]
	v_mul_f64 v[222:223], v[220:221], v[218:219]
	v_fma_f64 v[216:217], -v[216:217], v[222:223], v[220:221]
	v_div_fmas_f64 v[216:217], v[216:217], v[218:219], v[222:223]
	v_div_fixup_f64 v[216:217], v[216:217], v[200:201], v[202:203]
	v_fmac_f64_e32 v[200:201], v[202:203], v[216:217]
	v_div_scale_f64 v[202:203], s[18:19], v[200:201], v[200:201], 1.0
	v_rcp_f64_e32 v[218:219], v[202:203]
	s_nop 0
	v_fma_f64 v[220:221], -v[202:203], v[218:219], 1.0
	v_fmac_f64_e32 v[218:219], v[218:219], v[220:221]
	v_fma_f64 v[220:221], -v[202:203], v[218:219], 1.0
	v_fmac_f64_e32 v[218:219], v[218:219], v[220:221]
	v_div_scale_f64 v[220:221], vcc, 1.0, v[200:201], 1.0
	v_mul_f64 v[222:223], v[220:221], v[218:219]
	v_fma_f64 v[202:203], -v[202:203], v[222:223], v[220:221]
	s_nop 1
	v_div_fmas_f64 v[202:203], v[202:203], v[218:219], v[222:223]
	v_div_fixup_f64 v[200:201], v[202:203], v[200:201], 1.0
	v_mul_f64 v[202:203], v[216:217], -v[200:201]
.LBB98_765:
	s_or_b64 exec, exec, s[16:17]
.LBB98_766:
	s_or_b64 exec, exec, s[0:1]
	v_cmp_ne_u32_e32 vcc, v213, v210
	s_and_saveexec_b64 s[0:1], vcc
	s_xor_b64 s[0:1], exec, s[0:1]
	s_cbranch_execz .LBB98_772
; %bb.767:
	v_cmp_eq_u32_e32 vcc, 36, v213
	s_and_saveexec_b64 s[16:17], vcc
	s_cbranch_execz .LBB98_771
; %bb.768:
	v_cmp_ne_u32_e32 vcc, 36, v210
	s_xor_b64 s[18:19], s[14:15], -1
	s_and_b64 s[22:23], s[18:19], vcc
	s_and_saveexec_b64 s[18:19], s[22:23]
	s_cbranch_execz .LBB98_770
; %bb.769:
	v_ashrrev_i32_e32 v211, 31, v210
	v_lshl_add_u64 v[216:217], v[210:211], 2, v[208:209]
	global_load_dword v211, v[216:217], off
	global_load_dword v213, v[208:209], off offset:144
	s_waitcnt vmcnt(1)
	global_store_dword v[208:209], v211, off offset:144
	s_waitcnt vmcnt(1)
	global_store_dword v[216:217], v213, off
.LBB98_770:
	s_or_b64 exec, exec, s[18:19]
	v_mov_b32_e32 v213, v210
	v_mov_b32_e32 v215, v210
.LBB98_771:
	s_or_b64 exec, exec, s[16:17]
.LBB98_772:
	s_andn2_saveexec_b64 s[0:1], s[0:1]
	s_cbranch_execz .LBB98_774
; %bb.773:
	v_mov_b32_e32 v213, 36
	s_waitcnt vmcnt(12)
	ds_write2_b64 v212, v[44:45], v[46:47] offset0:74 offset1:75
	s_waitcnt vmcnt(11)
	ds_write2_b64 v212, v[40:41], v[42:43] offset0:76 offset1:77
	;; [unrolled: 2-line block ×13, first 2 shown]
.LBB98_774:
	s_or_b64 exec, exec, s[0:1]
	v_cmp_lt_i32_e32 vcc, 36, v213
	s_waitcnt lgkmcnt(0)
	s_barrier
	s_and_saveexec_b64 s[0:1], vcc
	s_cbranch_execz .LBB98_776
; %bb.775:
	ds_read2_b64 v[216:219], v212 offset0:74 offset1:75
	v_mul_f64 v[210:211], v[200:201], v[50:51]
	v_fmac_f64_e32 v[210:211], v[202:203], v[48:49]
	v_mul_f64 v[50:51], v[202:203], v[50:51]
	v_fma_f64 v[48:49], v[200:201], v[48:49], -v[50:51]
	ds_read2_b64 v[200:203], v212 offset0:76 offset1:77
	s_waitcnt lgkmcnt(1)
	v_mul_f64 v[50:51], v[218:219], v[210:211]
	v_fma_f64 v[50:51], v[216:217], v[48:49], -v[50:51]
	v_mul_f64 v[216:217], v[216:217], v[210:211]
	v_fmac_f64_e32 v[216:217], v[218:219], v[48:49]
	s_waitcnt vmcnt(12)
	v_add_f64 v[46:47], v[46:47], -v[216:217]
	ds_read2_b64 v[216:219], v212 offset0:78 offset1:79
	v_add_f64 v[44:45], v[44:45], -v[50:51]
	s_waitcnt lgkmcnt(1)
	v_mul_f64 v[50:51], v[202:203], v[210:211]
	v_fma_f64 v[50:51], v[200:201], v[48:49], -v[50:51]
	v_mul_f64 v[200:201], v[200:201], v[210:211]
	v_fmac_f64_e32 v[200:201], v[202:203], v[48:49]
	s_waitcnt vmcnt(11)
	v_add_f64 v[40:41], v[40:41], -v[50:51]
	v_add_f64 v[42:43], v[42:43], -v[200:201]
	ds_read2_b64 v[200:203], v212 offset0:80 offset1:81
	s_waitcnt lgkmcnt(1)
	v_mul_f64 v[50:51], v[218:219], v[210:211]
	v_fma_f64 v[50:51], v[216:217], v[48:49], -v[50:51]
	v_mul_f64 v[216:217], v[216:217], v[210:211]
	v_fmac_f64_e32 v[216:217], v[218:219], v[48:49]
	s_waitcnt vmcnt(10)
	v_add_f64 v[38:39], v[38:39], -v[216:217]
	ds_read2_b64 v[216:219], v212 offset0:82 offset1:83
	v_add_f64 v[36:37], v[36:37], -v[50:51]
	s_waitcnt lgkmcnt(1)
	v_mul_f64 v[50:51], v[202:203], v[210:211]
	v_fma_f64 v[50:51], v[200:201], v[48:49], -v[50:51]
	v_mul_f64 v[200:201], v[200:201], v[210:211]
	v_fmac_f64_e32 v[200:201], v[202:203], v[48:49]
	s_waitcnt vmcnt(9)
	v_add_f64 v[32:33], v[32:33], -v[50:51]
	v_add_f64 v[34:35], v[34:35], -v[200:201]
	;; [unrolled: 18-line block ×6, first 2 shown]
	s_waitcnt lgkmcnt(0)
	v_mul_f64 v[50:51], v[218:219], v[210:211]
	v_mul_f64 v[200:201], v[216:217], v[210:211]
	v_fma_f64 v[50:51], v[216:217], v[48:49], -v[50:51]
	v_fmac_f64_e32 v[200:201], v[218:219], v[48:49]
	s_waitcnt vmcnt(0)
	v_add_f64 v[196:197], v[196:197], -v[50:51]
	v_add_f64 v[198:199], v[198:199], -v[200:201]
	v_mov_b64_e32 v[50:51], v[210:211]
.LBB98_776:
	s_or_b64 exec, exec, s[0:1]
	v_lshl_add_u32 v200, v213, 4, v212
	s_barrier
	s_waitcnt vmcnt(12)
	ds_write2_b64 v200, v[44:45], v[46:47] offset1:1
	s_waitcnt lgkmcnt(0)
	s_barrier
	ds_read2_b64 v[200:203], v212 offset0:74 offset1:75
	s_cmp_lt_i32 s20, 39
	v_mov_b32_e32 v210, 37
	s_cbranch_scc1 .LBB98_779
; %bb.777:
	v_add_u32_e32 v211, 0x260, v212
	s_mov_b32 s16, 38
	v_mov_b32_e32 v210, 37
.LBB98_778:                             ; =>This Inner Loop Header: Depth=1
	ds_read2_b64 v[216:219], v211 offset1:1
	s_waitcnt lgkmcnt(1)
	v_xor_b32_e32 v221, 0x80000000, v201
	v_xor_b32_e32 v223, 0x80000000, v203
	v_cmp_gt_f64_e32 vcc, 0, v[202:203]
	v_cmp_gt_f64_e64 s[0:1], 0, v[200:201]
	v_mov_b32_e32 v220, v200
	v_mov_b32_e32 v222, v202
	v_cndmask_b32_e64 v221, v201, v221, s[0:1]
	v_cndmask_b32_e32 v223, v203, v223, vcc
	v_add_f64 v[220:221], v[220:221], v[222:223]
	s_waitcnt lgkmcnt(0)
	v_xor_b32_e32 v223, 0x80000000, v217
	v_xor_b32_e32 v225, 0x80000000, v219
	v_cmp_gt_f64_e32 vcc, 0, v[218:219]
	v_cmp_gt_f64_e64 s[0:1], 0, v[216:217]
	v_mov_b32_e32 v222, v216
	v_mov_b32_e32 v224, v218
	v_cndmask_b32_e64 v223, v217, v223, s[0:1]
	v_cndmask_b32_e32 v225, v219, v225, vcc
	v_add_f64 v[222:223], v[222:223], v[224:225]
	v_mov_b32_e32 v226, s16
	s_add_i32 s16, s16, 1
	v_cmp_lt_f64_e32 vcc, v[220:221], v[222:223]
	v_add_u32_e32 v211, 16, v211
	s_cmp_lg_u32 s20, s16
	v_cndmask_b32_e32 v201, v201, v217, vcc
	v_cndmask_b32_e32 v200, v200, v216, vcc
	;; [unrolled: 1-line block ×5, first 2 shown]
	s_cbranch_scc1 .LBB98_778
.LBB98_779:
	s_waitcnt lgkmcnt(0)
	v_cmp_eq_f64_e32 vcc, 0, v[200:201]
	v_cmp_eq_f64_e64 s[0:1], 0, v[202:203]
	s_and_b64 s[0:1], vcc, s[0:1]
	s_and_saveexec_b64 s[16:17], s[0:1]
	s_xor_b64 s[0:1], exec, s[16:17]
; %bb.780:
	v_cmp_ne_u32_e32 vcc, 0, v214
	s_nop 1
	v_cndmask_b32_e32 v214, 38, v214, vcc
; %bb.781:
	s_andn2_saveexec_b64 s[0:1], s[0:1]
	s_cbranch_execz .LBB98_787
; %bb.782:
	v_cmp_ngt_f64_e64 s[16:17], |v[200:201]|, |v[202:203]|
	s_and_saveexec_b64 s[18:19], s[16:17]
	s_xor_b64 s[16:17], exec, s[18:19]
	s_cbranch_execz .LBB98_784
; %bb.783:
	v_div_scale_f64 v[216:217], s[18:19], v[202:203], v[202:203], v[200:201]
	v_rcp_f64_e32 v[218:219], v[216:217]
	v_div_scale_f64 v[220:221], vcc, v[200:201], v[202:203], v[200:201]
	v_fma_f64 v[222:223], -v[216:217], v[218:219], 1.0
	v_fmac_f64_e32 v[218:219], v[218:219], v[222:223]
	v_fma_f64 v[222:223], -v[216:217], v[218:219], 1.0
	v_fmac_f64_e32 v[218:219], v[218:219], v[222:223]
	v_mul_f64 v[222:223], v[220:221], v[218:219]
	v_fma_f64 v[216:217], -v[216:217], v[222:223], v[220:221]
	v_div_fmas_f64 v[216:217], v[216:217], v[218:219], v[222:223]
	v_div_fixup_f64 v[216:217], v[216:217], v[202:203], v[200:201]
	v_fmac_f64_e32 v[202:203], v[200:201], v[216:217]
	v_div_scale_f64 v[200:201], s[18:19], v[202:203], v[202:203], 1.0
	v_rcp_f64_e32 v[218:219], v[200:201]
	s_nop 0
	v_fma_f64 v[220:221], -v[200:201], v[218:219], 1.0
	v_fmac_f64_e32 v[218:219], v[218:219], v[220:221]
	v_fma_f64 v[220:221], -v[200:201], v[218:219], 1.0
	v_fmac_f64_e32 v[218:219], v[218:219], v[220:221]
	v_div_scale_f64 v[220:221], vcc, 1.0, v[202:203], 1.0
	v_mul_f64 v[222:223], v[220:221], v[218:219]
	v_fma_f64 v[200:201], -v[200:201], v[222:223], v[220:221]
	s_nop 1
	v_div_fmas_f64 v[200:201], v[200:201], v[218:219], v[222:223]
	v_div_fixup_f64 v[202:203], v[200:201], v[202:203], 1.0
	v_mul_f64 v[200:201], v[216:217], v[202:203]
	v_xor_b32_e32 v203, 0x80000000, v203
.LBB98_784:
	s_andn2_saveexec_b64 s[16:17], s[16:17]
	s_cbranch_execz .LBB98_786
; %bb.785:
	v_div_scale_f64 v[216:217], s[18:19], v[200:201], v[200:201], v[202:203]
	v_rcp_f64_e32 v[218:219], v[216:217]
	v_div_scale_f64 v[220:221], vcc, v[202:203], v[200:201], v[202:203]
	v_fma_f64 v[222:223], -v[216:217], v[218:219], 1.0
	v_fmac_f64_e32 v[218:219], v[218:219], v[222:223]
	v_fma_f64 v[222:223], -v[216:217], v[218:219], 1.0
	v_fmac_f64_e32 v[218:219], v[218:219], v[222:223]
	v_mul_f64 v[222:223], v[220:221], v[218:219]
	v_fma_f64 v[216:217], -v[216:217], v[222:223], v[220:221]
	v_div_fmas_f64 v[216:217], v[216:217], v[218:219], v[222:223]
	v_div_fixup_f64 v[216:217], v[216:217], v[200:201], v[202:203]
	v_fmac_f64_e32 v[200:201], v[202:203], v[216:217]
	v_div_scale_f64 v[202:203], s[18:19], v[200:201], v[200:201], 1.0
	v_rcp_f64_e32 v[218:219], v[202:203]
	s_nop 0
	v_fma_f64 v[220:221], -v[202:203], v[218:219], 1.0
	v_fmac_f64_e32 v[218:219], v[218:219], v[220:221]
	v_fma_f64 v[220:221], -v[202:203], v[218:219], 1.0
	v_fmac_f64_e32 v[218:219], v[218:219], v[220:221]
	v_div_scale_f64 v[220:221], vcc, 1.0, v[200:201], 1.0
	v_mul_f64 v[222:223], v[220:221], v[218:219]
	v_fma_f64 v[202:203], -v[202:203], v[222:223], v[220:221]
	s_nop 1
	v_div_fmas_f64 v[202:203], v[202:203], v[218:219], v[222:223]
	v_div_fixup_f64 v[200:201], v[202:203], v[200:201], 1.0
	v_mul_f64 v[202:203], v[216:217], -v[200:201]
.LBB98_786:
	s_or_b64 exec, exec, s[16:17]
.LBB98_787:
	s_or_b64 exec, exec, s[0:1]
	v_cmp_ne_u32_e32 vcc, v213, v210
	s_and_saveexec_b64 s[0:1], vcc
	s_xor_b64 s[0:1], exec, s[0:1]
	s_cbranch_execz .LBB98_793
; %bb.788:
	v_cmp_eq_u32_e32 vcc, 37, v213
	s_and_saveexec_b64 s[16:17], vcc
	s_cbranch_execz .LBB98_792
; %bb.789:
	v_cmp_ne_u32_e32 vcc, 37, v210
	s_xor_b64 s[18:19], s[14:15], -1
	s_and_b64 s[22:23], s[18:19], vcc
	s_and_saveexec_b64 s[18:19], s[22:23]
	s_cbranch_execz .LBB98_791
; %bb.790:
	v_ashrrev_i32_e32 v211, 31, v210
	v_lshl_add_u64 v[216:217], v[210:211], 2, v[208:209]
	global_load_dword v211, v[216:217], off
	global_load_dword v213, v[208:209], off offset:148
	s_waitcnt vmcnt(1)
	global_store_dword v[208:209], v211, off offset:148
	s_waitcnt vmcnt(1)
	global_store_dword v[216:217], v213, off
.LBB98_791:
	s_or_b64 exec, exec, s[18:19]
	v_mov_b32_e32 v213, v210
	v_mov_b32_e32 v215, v210
.LBB98_792:
	s_or_b64 exec, exec, s[16:17]
.LBB98_793:
	s_andn2_saveexec_b64 s[0:1], s[0:1]
	s_cbranch_execz .LBB98_795
; %bb.794:
	v_mov_b32_e32 v213, 37
	s_waitcnt vmcnt(11)
	ds_write2_b64 v212, v[40:41], v[42:43] offset0:76 offset1:77
	s_waitcnt vmcnt(10)
	ds_write2_b64 v212, v[36:37], v[38:39] offset0:78 offset1:79
	;; [unrolled: 2-line block ×12, first 2 shown]
.LBB98_795:
	s_or_b64 exec, exec, s[0:1]
	v_cmp_lt_i32_e32 vcc, 37, v213
	s_waitcnt lgkmcnt(0)
	s_barrier
	s_and_saveexec_b64 s[0:1], vcc
	s_cbranch_execz .LBB98_797
; %bb.796:
	ds_read2_b64 v[216:219], v212 offset0:76 offset1:77
	v_mul_f64 v[210:211], v[200:201], v[46:47]
	v_mul_f64 v[46:47], v[202:203], v[46:47]
	v_fmac_f64_e32 v[210:211], v[202:203], v[44:45]
	v_fma_f64 v[44:45], v[200:201], v[44:45], -v[46:47]
	ds_read2_b64 v[200:203], v212 offset0:78 offset1:79
	s_waitcnt lgkmcnt(1)
	v_mul_f64 v[46:47], v[218:219], v[210:211]
	v_fma_f64 v[46:47], v[216:217], v[44:45], -v[46:47]
	v_mul_f64 v[216:217], v[216:217], v[210:211]
	v_fmac_f64_e32 v[216:217], v[218:219], v[44:45]
	s_waitcnt vmcnt(11)
	v_add_f64 v[40:41], v[40:41], -v[46:47]
	s_waitcnt lgkmcnt(0)
	v_mul_f64 v[46:47], v[202:203], v[210:211]
	v_add_f64 v[42:43], v[42:43], -v[216:217]
	v_fma_f64 v[46:47], v[200:201], v[44:45], -v[46:47]
	v_mul_f64 v[200:201], v[200:201], v[210:211]
	ds_read2_b64 v[216:219], v212 offset0:80 offset1:81
	v_fmac_f64_e32 v[200:201], v[202:203], v[44:45]
	s_waitcnt vmcnt(10)
	v_add_f64 v[38:39], v[38:39], -v[200:201]
	ds_read2_b64 v[200:203], v212 offset0:82 offset1:83
	v_add_f64 v[36:37], v[36:37], -v[46:47]
	s_waitcnt lgkmcnt(1)
	v_mul_f64 v[46:47], v[218:219], v[210:211]
	v_fma_f64 v[46:47], v[216:217], v[44:45], -v[46:47]
	v_mul_f64 v[216:217], v[216:217], v[210:211]
	v_fmac_f64_e32 v[216:217], v[218:219], v[44:45]
	s_waitcnt vmcnt(9)
	v_add_f64 v[32:33], v[32:33], -v[46:47]
	s_waitcnt lgkmcnt(0)
	v_mul_f64 v[46:47], v[202:203], v[210:211]
	v_add_f64 v[34:35], v[34:35], -v[216:217]
	v_fma_f64 v[46:47], v[200:201], v[44:45], -v[46:47]
	v_mul_f64 v[200:201], v[200:201], v[210:211]
	ds_read2_b64 v[216:219], v212 offset0:84 offset1:85
	v_fmac_f64_e32 v[200:201], v[202:203], v[44:45]
	s_waitcnt vmcnt(8)
	v_add_f64 v[30:31], v[30:31], -v[200:201]
	ds_read2_b64 v[200:203], v212 offset0:86 offset1:87
	v_add_f64 v[28:29], v[28:29], -v[46:47]
	;; [unrolled: 18-line block ×5, first 2 shown]
	s_waitcnt lgkmcnt(1)
	v_mul_f64 v[46:47], v[218:219], v[210:211]
	v_fma_f64 v[46:47], v[216:217], v[44:45], -v[46:47]
	s_waitcnt vmcnt(1)
	v_add_f64 v[0:1], v[0:1], -v[46:47]
	s_waitcnt lgkmcnt(0)
	v_mul_f64 v[46:47], v[202:203], v[210:211]
	v_mul_f64 v[216:217], v[216:217], v[210:211]
	v_fma_f64 v[46:47], v[200:201], v[44:45], -v[46:47]
	v_mul_f64 v[200:201], v[200:201], v[210:211]
	v_fmac_f64_e32 v[216:217], v[218:219], v[44:45]
	v_fmac_f64_e32 v[200:201], v[202:203], v[44:45]
	v_add_f64 v[2:3], v[2:3], -v[216:217]
	s_waitcnt vmcnt(0)
	v_add_f64 v[196:197], v[196:197], -v[46:47]
	v_add_f64 v[198:199], v[198:199], -v[200:201]
	v_mov_b64_e32 v[46:47], v[210:211]
.LBB98_797:
	s_or_b64 exec, exec, s[0:1]
	v_lshl_add_u32 v200, v213, 4, v212
	s_barrier
	s_waitcnt vmcnt(11)
	ds_write2_b64 v200, v[40:41], v[42:43] offset1:1
	s_waitcnt lgkmcnt(0)
	s_barrier
	ds_read2_b64 v[200:203], v212 offset0:76 offset1:77
	s_cmp_lt_i32 s20, 40
	v_mov_b32_e32 v210, 38
	s_cbranch_scc1 .LBB98_800
; %bb.798:
	v_add_u32_e32 v211, 0x270, v212
	s_mov_b32 s16, 39
	v_mov_b32_e32 v210, 38
.LBB98_799:                             ; =>This Inner Loop Header: Depth=1
	ds_read2_b64 v[216:219], v211 offset1:1
	s_waitcnt lgkmcnt(1)
	v_xor_b32_e32 v221, 0x80000000, v201
	v_xor_b32_e32 v223, 0x80000000, v203
	v_cmp_gt_f64_e32 vcc, 0, v[202:203]
	v_cmp_gt_f64_e64 s[0:1], 0, v[200:201]
	v_mov_b32_e32 v220, v200
	v_mov_b32_e32 v222, v202
	v_cndmask_b32_e64 v221, v201, v221, s[0:1]
	v_cndmask_b32_e32 v223, v203, v223, vcc
	v_add_f64 v[220:221], v[220:221], v[222:223]
	s_waitcnt lgkmcnt(0)
	v_xor_b32_e32 v223, 0x80000000, v217
	v_xor_b32_e32 v225, 0x80000000, v219
	v_cmp_gt_f64_e32 vcc, 0, v[218:219]
	v_cmp_gt_f64_e64 s[0:1], 0, v[216:217]
	v_mov_b32_e32 v222, v216
	v_mov_b32_e32 v224, v218
	v_cndmask_b32_e64 v223, v217, v223, s[0:1]
	v_cndmask_b32_e32 v225, v219, v225, vcc
	v_add_f64 v[222:223], v[222:223], v[224:225]
	v_mov_b32_e32 v226, s16
	s_add_i32 s16, s16, 1
	v_cmp_lt_f64_e32 vcc, v[220:221], v[222:223]
	v_add_u32_e32 v211, 16, v211
	s_cmp_lg_u32 s20, s16
	v_cndmask_b32_e32 v201, v201, v217, vcc
	v_cndmask_b32_e32 v200, v200, v216, vcc
	;; [unrolled: 1-line block ×5, first 2 shown]
	s_cbranch_scc1 .LBB98_799
.LBB98_800:
	s_waitcnt lgkmcnt(0)
	v_cmp_eq_f64_e32 vcc, 0, v[200:201]
	v_cmp_eq_f64_e64 s[0:1], 0, v[202:203]
	s_and_b64 s[0:1], vcc, s[0:1]
	s_and_saveexec_b64 s[16:17], s[0:1]
	s_xor_b64 s[0:1], exec, s[16:17]
; %bb.801:
	v_cmp_ne_u32_e32 vcc, 0, v214
	s_nop 1
	v_cndmask_b32_e32 v214, 39, v214, vcc
; %bb.802:
	s_andn2_saveexec_b64 s[0:1], s[0:1]
	s_cbranch_execz .LBB98_808
; %bb.803:
	v_cmp_ngt_f64_e64 s[16:17], |v[200:201]|, |v[202:203]|
	s_and_saveexec_b64 s[18:19], s[16:17]
	s_xor_b64 s[16:17], exec, s[18:19]
	s_cbranch_execz .LBB98_805
; %bb.804:
	v_div_scale_f64 v[216:217], s[18:19], v[202:203], v[202:203], v[200:201]
	v_rcp_f64_e32 v[218:219], v[216:217]
	v_div_scale_f64 v[220:221], vcc, v[200:201], v[202:203], v[200:201]
	v_fma_f64 v[222:223], -v[216:217], v[218:219], 1.0
	v_fmac_f64_e32 v[218:219], v[218:219], v[222:223]
	v_fma_f64 v[222:223], -v[216:217], v[218:219], 1.0
	v_fmac_f64_e32 v[218:219], v[218:219], v[222:223]
	v_mul_f64 v[222:223], v[220:221], v[218:219]
	v_fma_f64 v[216:217], -v[216:217], v[222:223], v[220:221]
	v_div_fmas_f64 v[216:217], v[216:217], v[218:219], v[222:223]
	v_div_fixup_f64 v[216:217], v[216:217], v[202:203], v[200:201]
	v_fmac_f64_e32 v[202:203], v[200:201], v[216:217]
	v_div_scale_f64 v[200:201], s[18:19], v[202:203], v[202:203], 1.0
	v_rcp_f64_e32 v[218:219], v[200:201]
	s_nop 0
	v_fma_f64 v[220:221], -v[200:201], v[218:219], 1.0
	v_fmac_f64_e32 v[218:219], v[218:219], v[220:221]
	v_fma_f64 v[220:221], -v[200:201], v[218:219], 1.0
	v_fmac_f64_e32 v[218:219], v[218:219], v[220:221]
	v_div_scale_f64 v[220:221], vcc, 1.0, v[202:203], 1.0
	v_mul_f64 v[222:223], v[220:221], v[218:219]
	v_fma_f64 v[200:201], -v[200:201], v[222:223], v[220:221]
	s_nop 1
	v_div_fmas_f64 v[200:201], v[200:201], v[218:219], v[222:223]
	v_div_fixup_f64 v[202:203], v[200:201], v[202:203], 1.0
	v_mul_f64 v[200:201], v[216:217], v[202:203]
	v_xor_b32_e32 v203, 0x80000000, v203
.LBB98_805:
	s_andn2_saveexec_b64 s[16:17], s[16:17]
	s_cbranch_execz .LBB98_807
; %bb.806:
	v_div_scale_f64 v[216:217], s[18:19], v[200:201], v[200:201], v[202:203]
	v_rcp_f64_e32 v[218:219], v[216:217]
	v_div_scale_f64 v[220:221], vcc, v[202:203], v[200:201], v[202:203]
	v_fma_f64 v[222:223], -v[216:217], v[218:219], 1.0
	v_fmac_f64_e32 v[218:219], v[218:219], v[222:223]
	v_fma_f64 v[222:223], -v[216:217], v[218:219], 1.0
	v_fmac_f64_e32 v[218:219], v[218:219], v[222:223]
	v_mul_f64 v[222:223], v[220:221], v[218:219]
	v_fma_f64 v[216:217], -v[216:217], v[222:223], v[220:221]
	v_div_fmas_f64 v[216:217], v[216:217], v[218:219], v[222:223]
	v_div_fixup_f64 v[216:217], v[216:217], v[200:201], v[202:203]
	v_fmac_f64_e32 v[200:201], v[202:203], v[216:217]
	v_div_scale_f64 v[202:203], s[18:19], v[200:201], v[200:201], 1.0
	v_rcp_f64_e32 v[218:219], v[202:203]
	s_nop 0
	v_fma_f64 v[220:221], -v[202:203], v[218:219], 1.0
	v_fmac_f64_e32 v[218:219], v[218:219], v[220:221]
	v_fma_f64 v[220:221], -v[202:203], v[218:219], 1.0
	v_fmac_f64_e32 v[218:219], v[218:219], v[220:221]
	v_div_scale_f64 v[220:221], vcc, 1.0, v[200:201], 1.0
	v_mul_f64 v[222:223], v[220:221], v[218:219]
	v_fma_f64 v[202:203], -v[202:203], v[222:223], v[220:221]
	s_nop 1
	v_div_fmas_f64 v[202:203], v[202:203], v[218:219], v[222:223]
	v_div_fixup_f64 v[200:201], v[202:203], v[200:201], 1.0
	v_mul_f64 v[202:203], v[216:217], -v[200:201]
.LBB98_807:
	s_or_b64 exec, exec, s[16:17]
.LBB98_808:
	s_or_b64 exec, exec, s[0:1]
	v_cmp_ne_u32_e32 vcc, v213, v210
	s_and_saveexec_b64 s[0:1], vcc
	s_xor_b64 s[0:1], exec, s[0:1]
	s_cbranch_execz .LBB98_814
; %bb.809:
	v_cmp_eq_u32_e32 vcc, 38, v213
	s_and_saveexec_b64 s[16:17], vcc
	s_cbranch_execz .LBB98_813
; %bb.810:
	v_cmp_ne_u32_e32 vcc, 38, v210
	s_xor_b64 s[18:19], s[14:15], -1
	s_and_b64 s[22:23], s[18:19], vcc
	s_and_saveexec_b64 s[18:19], s[22:23]
	s_cbranch_execz .LBB98_812
; %bb.811:
	v_ashrrev_i32_e32 v211, 31, v210
	v_lshl_add_u64 v[216:217], v[210:211], 2, v[208:209]
	global_load_dword v211, v[216:217], off
	global_load_dword v213, v[208:209], off offset:152
	s_waitcnt vmcnt(1)
	global_store_dword v[208:209], v211, off offset:152
	s_waitcnt vmcnt(1)
	global_store_dword v[216:217], v213, off
.LBB98_812:
	s_or_b64 exec, exec, s[18:19]
	v_mov_b32_e32 v213, v210
	v_mov_b32_e32 v215, v210
.LBB98_813:
	s_or_b64 exec, exec, s[16:17]
.LBB98_814:
	s_andn2_saveexec_b64 s[0:1], s[0:1]
	s_cbranch_execz .LBB98_816
; %bb.815:
	v_mov_b32_e32 v213, 38
	s_waitcnt vmcnt(10)
	ds_write2_b64 v212, v[36:37], v[38:39] offset0:78 offset1:79
	s_waitcnt vmcnt(9)
	ds_write2_b64 v212, v[32:33], v[34:35] offset0:80 offset1:81
	;; [unrolled: 2-line block ×11, first 2 shown]
.LBB98_816:
	s_or_b64 exec, exec, s[0:1]
	v_cmp_lt_i32_e32 vcc, 38, v213
	s_waitcnt lgkmcnt(0)
	s_barrier
	s_and_saveexec_b64 s[0:1], vcc
	s_cbranch_execz .LBB98_818
; %bb.817:
	ds_read2_b64 v[216:219], v212 offset0:78 offset1:79
	v_mul_f64 v[210:211], v[200:201], v[42:43]
	v_fmac_f64_e32 v[210:211], v[202:203], v[40:41]
	v_mul_f64 v[42:43], v[202:203], v[42:43]
	v_fma_f64 v[40:41], v[200:201], v[40:41], -v[42:43]
	ds_read2_b64 v[200:203], v212 offset0:80 offset1:81
	s_waitcnt lgkmcnt(1)
	v_mul_f64 v[42:43], v[218:219], v[210:211]
	v_fma_f64 v[42:43], v[216:217], v[40:41], -v[42:43]
	v_mul_f64 v[216:217], v[216:217], v[210:211]
	v_fmac_f64_e32 v[216:217], v[218:219], v[40:41]
	s_waitcnt vmcnt(10)
	v_add_f64 v[38:39], v[38:39], -v[216:217]
	ds_read2_b64 v[216:219], v212 offset0:82 offset1:83
	v_add_f64 v[36:37], v[36:37], -v[42:43]
	s_waitcnt lgkmcnt(1)
	v_mul_f64 v[42:43], v[202:203], v[210:211]
	v_fma_f64 v[42:43], v[200:201], v[40:41], -v[42:43]
	v_mul_f64 v[200:201], v[200:201], v[210:211]
	v_fmac_f64_e32 v[200:201], v[202:203], v[40:41]
	s_waitcnt vmcnt(9)
	v_add_f64 v[32:33], v[32:33], -v[42:43]
	v_add_f64 v[34:35], v[34:35], -v[200:201]
	ds_read2_b64 v[200:203], v212 offset0:84 offset1:85
	s_waitcnt lgkmcnt(1)
	v_mul_f64 v[42:43], v[218:219], v[210:211]
	v_fma_f64 v[42:43], v[216:217], v[40:41], -v[42:43]
	v_mul_f64 v[216:217], v[216:217], v[210:211]
	v_fmac_f64_e32 v[216:217], v[218:219], v[40:41]
	s_waitcnt vmcnt(8)
	v_add_f64 v[30:31], v[30:31], -v[216:217]
	ds_read2_b64 v[216:219], v212 offset0:86 offset1:87
	v_add_f64 v[28:29], v[28:29], -v[42:43]
	s_waitcnt lgkmcnt(1)
	v_mul_f64 v[42:43], v[202:203], v[210:211]
	v_fma_f64 v[42:43], v[200:201], v[40:41], -v[42:43]
	v_mul_f64 v[200:201], v[200:201], v[210:211]
	v_fmac_f64_e32 v[200:201], v[202:203], v[40:41]
	s_waitcnt vmcnt(7)
	v_add_f64 v[24:25], v[24:25], -v[42:43]
	v_add_f64 v[26:27], v[26:27], -v[200:201]
	;; [unrolled: 18-line block ×5, first 2 shown]
	s_waitcnt lgkmcnt(0)
	v_mul_f64 v[42:43], v[218:219], v[210:211]
	v_mul_f64 v[200:201], v[216:217], v[210:211]
	v_fma_f64 v[42:43], v[216:217], v[40:41], -v[42:43]
	v_fmac_f64_e32 v[200:201], v[218:219], v[40:41]
	s_waitcnt vmcnt(0)
	v_add_f64 v[196:197], v[196:197], -v[42:43]
	v_add_f64 v[198:199], v[198:199], -v[200:201]
	v_mov_b64_e32 v[42:43], v[210:211]
.LBB98_818:
	s_or_b64 exec, exec, s[0:1]
	v_lshl_add_u32 v200, v213, 4, v212
	s_barrier
	s_waitcnt vmcnt(10)
	ds_write2_b64 v200, v[36:37], v[38:39] offset1:1
	s_waitcnt lgkmcnt(0)
	s_barrier
	ds_read2_b64 v[200:203], v212 offset0:78 offset1:79
	s_cmp_lt_i32 s20, 41
	v_mov_b32_e32 v210, 39
	s_cbranch_scc1 .LBB98_821
; %bb.819:
	v_add_u32_e32 v211, 0x280, v212
	s_mov_b32 s16, 40
	v_mov_b32_e32 v210, 39
.LBB98_820:                             ; =>This Inner Loop Header: Depth=1
	ds_read2_b64 v[216:219], v211 offset1:1
	s_waitcnt lgkmcnt(1)
	v_xor_b32_e32 v221, 0x80000000, v201
	v_xor_b32_e32 v223, 0x80000000, v203
	v_cmp_gt_f64_e32 vcc, 0, v[202:203]
	v_cmp_gt_f64_e64 s[0:1], 0, v[200:201]
	v_mov_b32_e32 v220, v200
	v_mov_b32_e32 v222, v202
	v_cndmask_b32_e64 v221, v201, v221, s[0:1]
	v_cndmask_b32_e32 v223, v203, v223, vcc
	v_add_f64 v[220:221], v[220:221], v[222:223]
	s_waitcnt lgkmcnt(0)
	v_xor_b32_e32 v223, 0x80000000, v217
	v_xor_b32_e32 v225, 0x80000000, v219
	v_cmp_gt_f64_e32 vcc, 0, v[218:219]
	v_cmp_gt_f64_e64 s[0:1], 0, v[216:217]
	v_mov_b32_e32 v222, v216
	v_mov_b32_e32 v224, v218
	v_cndmask_b32_e64 v223, v217, v223, s[0:1]
	v_cndmask_b32_e32 v225, v219, v225, vcc
	v_add_f64 v[222:223], v[222:223], v[224:225]
	v_mov_b32_e32 v226, s16
	s_add_i32 s16, s16, 1
	v_cmp_lt_f64_e32 vcc, v[220:221], v[222:223]
	v_add_u32_e32 v211, 16, v211
	s_cmp_lg_u32 s20, s16
	v_cndmask_b32_e32 v201, v201, v217, vcc
	v_cndmask_b32_e32 v200, v200, v216, vcc
	;; [unrolled: 1-line block ×5, first 2 shown]
	s_cbranch_scc1 .LBB98_820
.LBB98_821:
	s_waitcnt lgkmcnt(0)
	v_cmp_eq_f64_e32 vcc, 0, v[200:201]
	v_cmp_eq_f64_e64 s[0:1], 0, v[202:203]
	s_and_b64 s[0:1], vcc, s[0:1]
	s_and_saveexec_b64 s[16:17], s[0:1]
	s_xor_b64 s[0:1], exec, s[16:17]
; %bb.822:
	v_cmp_ne_u32_e32 vcc, 0, v214
	s_nop 1
	v_cndmask_b32_e32 v214, 40, v214, vcc
; %bb.823:
	s_andn2_saveexec_b64 s[0:1], s[0:1]
	s_cbranch_execz .LBB98_829
; %bb.824:
	v_cmp_ngt_f64_e64 s[16:17], |v[200:201]|, |v[202:203]|
	s_and_saveexec_b64 s[18:19], s[16:17]
	s_xor_b64 s[16:17], exec, s[18:19]
	s_cbranch_execz .LBB98_826
; %bb.825:
	v_div_scale_f64 v[216:217], s[18:19], v[202:203], v[202:203], v[200:201]
	v_rcp_f64_e32 v[218:219], v[216:217]
	v_div_scale_f64 v[220:221], vcc, v[200:201], v[202:203], v[200:201]
	v_fma_f64 v[222:223], -v[216:217], v[218:219], 1.0
	v_fmac_f64_e32 v[218:219], v[218:219], v[222:223]
	v_fma_f64 v[222:223], -v[216:217], v[218:219], 1.0
	v_fmac_f64_e32 v[218:219], v[218:219], v[222:223]
	v_mul_f64 v[222:223], v[220:221], v[218:219]
	v_fma_f64 v[216:217], -v[216:217], v[222:223], v[220:221]
	v_div_fmas_f64 v[216:217], v[216:217], v[218:219], v[222:223]
	v_div_fixup_f64 v[216:217], v[216:217], v[202:203], v[200:201]
	v_fmac_f64_e32 v[202:203], v[200:201], v[216:217]
	v_div_scale_f64 v[200:201], s[18:19], v[202:203], v[202:203], 1.0
	v_rcp_f64_e32 v[218:219], v[200:201]
	s_nop 0
	v_fma_f64 v[220:221], -v[200:201], v[218:219], 1.0
	v_fmac_f64_e32 v[218:219], v[218:219], v[220:221]
	v_fma_f64 v[220:221], -v[200:201], v[218:219], 1.0
	v_fmac_f64_e32 v[218:219], v[218:219], v[220:221]
	v_div_scale_f64 v[220:221], vcc, 1.0, v[202:203], 1.0
	v_mul_f64 v[222:223], v[220:221], v[218:219]
	v_fma_f64 v[200:201], -v[200:201], v[222:223], v[220:221]
	s_nop 1
	v_div_fmas_f64 v[200:201], v[200:201], v[218:219], v[222:223]
	v_div_fixup_f64 v[202:203], v[200:201], v[202:203], 1.0
	v_mul_f64 v[200:201], v[216:217], v[202:203]
	v_xor_b32_e32 v203, 0x80000000, v203
.LBB98_826:
	s_andn2_saveexec_b64 s[16:17], s[16:17]
	s_cbranch_execz .LBB98_828
; %bb.827:
	v_div_scale_f64 v[216:217], s[18:19], v[200:201], v[200:201], v[202:203]
	v_rcp_f64_e32 v[218:219], v[216:217]
	v_div_scale_f64 v[220:221], vcc, v[202:203], v[200:201], v[202:203]
	v_fma_f64 v[222:223], -v[216:217], v[218:219], 1.0
	v_fmac_f64_e32 v[218:219], v[218:219], v[222:223]
	v_fma_f64 v[222:223], -v[216:217], v[218:219], 1.0
	v_fmac_f64_e32 v[218:219], v[218:219], v[222:223]
	v_mul_f64 v[222:223], v[220:221], v[218:219]
	v_fma_f64 v[216:217], -v[216:217], v[222:223], v[220:221]
	v_div_fmas_f64 v[216:217], v[216:217], v[218:219], v[222:223]
	v_div_fixup_f64 v[216:217], v[216:217], v[200:201], v[202:203]
	v_fmac_f64_e32 v[200:201], v[202:203], v[216:217]
	v_div_scale_f64 v[202:203], s[18:19], v[200:201], v[200:201], 1.0
	v_rcp_f64_e32 v[218:219], v[202:203]
	s_nop 0
	v_fma_f64 v[220:221], -v[202:203], v[218:219], 1.0
	v_fmac_f64_e32 v[218:219], v[218:219], v[220:221]
	v_fma_f64 v[220:221], -v[202:203], v[218:219], 1.0
	v_fmac_f64_e32 v[218:219], v[218:219], v[220:221]
	v_div_scale_f64 v[220:221], vcc, 1.0, v[200:201], 1.0
	v_mul_f64 v[222:223], v[220:221], v[218:219]
	v_fma_f64 v[202:203], -v[202:203], v[222:223], v[220:221]
	s_nop 1
	v_div_fmas_f64 v[202:203], v[202:203], v[218:219], v[222:223]
	v_div_fixup_f64 v[200:201], v[202:203], v[200:201], 1.0
	v_mul_f64 v[202:203], v[216:217], -v[200:201]
.LBB98_828:
	s_or_b64 exec, exec, s[16:17]
.LBB98_829:
	s_or_b64 exec, exec, s[0:1]
	v_cmp_ne_u32_e32 vcc, v213, v210
	s_and_saveexec_b64 s[0:1], vcc
	s_xor_b64 s[0:1], exec, s[0:1]
	s_cbranch_execz .LBB98_835
; %bb.830:
	v_cmp_eq_u32_e32 vcc, 39, v213
	s_and_saveexec_b64 s[16:17], vcc
	s_cbranch_execz .LBB98_834
; %bb.831:
	v_cmp_ne_u32_e32 vcc, 39, v210
	s_xor_b64 s[18:19], s[14:15], -1
	s_and_b64 s[22:23], s[18:19], vcc
	s_and_saveexec_b64 s[18:19], s[22:23]
	s_cbranch_execz .LBB98_833
; %bb.832:
	v_ashrrev_i32_e32 v211, 31, v210
	v_lshl_add_u64 v[216:217], v[210:211], 2, v[208:209]
	global_load_dword v211, v[216:217], off
	global_load_dword v213, v[208:209], off offset:156
	s_waitcnt vmcnt(1)
	global_store_dword v[208:209], v211, off offset:156
	s_waitcnt vmcnt(1)
	global_store_dword v[216:217], v213, off
.LBB98_833:
	s_or_b64 exec, exec, s[18:19]
	v_mov_b32_e32 v213, v210
	v_mov_b32_e32 v215, v210
.LBB98_834:
	s_or_b64 exec, exec, s[16:17]
.LBB98_835:
	s_andn2_saveexec_b64 s[0:1], s[0:1]
	s_cbranch_execz .LBB98_837
; %bb.836:
	v_mov_b32_e32 v213, 39
	s_waitcnt vmcnt(9)
	ds_write2_b64 v212, v[32:33], v[34:35] offset0:80 offset1:81
	s_waitcnt vmcnt(8)
	ds_write2_b64 v212, v[28:29], v[30:31] offset0:82 offset1:83
	s_waitcnt vmcnt(7)
	ds_write2_b64 v212, v[24:25], v[26:27] offset0:84 offset1:85
	s_waitcnt vmcnt(6)
	ds_write2_b64 v212, v[20:21], v[22:23] offset0:86 offset1:87
	s_waitcnt vmcnt(5)
	ds_write2_b64 v212, v[16:17], v[18:19] offset0:88 offset1:89
	s_waitcnt vmcnt(4)
	ds_write2_b64 v212, v[12:13], v[14:15] offset0:90 offset1:91
	s_waitcnt vmcnt(3)
	ds_write2_b64 v212, v[8:9], v[10:11] offset0:92 offset1:93
	s_waitcnt vmcnt(2)
	ds_write2_b64 v212, v[4:5], v[6:7] offset0:94 offset1:95
	s_waitcnt vmcnt(1)
	ds_write2_b64 v212, v[0:1], v[2:3] offset0:96 offset1:97
	s_waitcnt vmcnt(0)
	ds_write2_b64 v212, v[196:197], v[198:199] offset0:98 offset1:99
.LBB98_837:
	s_or_b64 exec, exec, s[0:1]
	v_cmp_lt_i32_e32 vcc, 39, v213
	s_waitcnt lgkmcnt(0)
	s_barrier
	s_and_saveexec_b64 s[0:1], vcc
	s_cbranch_execz .LBB98_839
; %bb.838:
	ds_read2_b64 v[216:219], v212 offset0:80 offset1:81
	v_mul_f64 v[210:211], v[200:201], v[38:39]
	v_mul_f64 v[38:39], v[202:203], v[38:39]
	v_fmac_f64_e32 v[210:211], v[202:203], v[36:37]
	v_fma_f64 v[36:37], v[200:201], v[36:37], -v[38:39]
	ds_read2_b64 v[200:203], v212 offset0:82 offset1:83
	s_waitcnt lgkmcnt(1)
	v_mul_f64 v[38:39], v[218:219], v[210:211]
	v_fma_f64 v[38:39], v[216:217], v[36:37], -v[38:39]
	v_mul_f64 v[216:217], v[216:217], v[210:211]
	v_fmac_f64_e32 v[216:217], v[218:219], v[36:37]
	s_waitcnt vmcnt(9)
	v_add_f64 v[32:33], v[32:33], -v[38:39]
	s_waitcnt lgkmcnt(0)
	v_mul_f64 v[38:39], v[202:203], v[210:211]
	v_add_f64 v[34:35], v[34:35], -v[216:217]
	v_fma_f64 v[38:39], v[200:201], v[36:37], -v[38:39]
	v_mul_f64 v[200:201], v[200:201], v[210:211]
	ds_read2_b64 v[216:219], v212 offset0:84 offset1:85
	v_fmac_f64_e32 v[200:201], v[202:203], v[36:37]
	s_waitcnt vmcnt(8)
	v_add_f64 v[30:31], v[30:31], -v[200:201]
	ds_read2_b64 v[200:203], v212 offset0:86 offset1:87
	v_add_f64 v[28:29], v[28:29], -v[38:39]
	s_waitcnt lgkmcnt(1)
	v_mul_f64 v[38:39], v[218:219], v[210:211]
	v_fma_f64 v[38:39], v[216:217], v[36:37], -v[38:39]
	v_mul_f64 v[216:217], v[216:217], v[210:211]
	v_fmac_f64_e32 v[216:217], v[218:219], v[36:37]
	s_waitcnt vmcnt(7)
	v_add_f64 v[24:25], v[24:25], -v[38:39]
	s_waitcnt lgkmcnt(0)
	v_mul_f64 v[38:39], v[202:203], v[210:211]
	v_add_f64 v[26:27], v[26:27], -v[216:217]
	v_fma_f64 v[38:39], v[200:201], v[36:37], -v[38:39]
	v_mul_f64 v[200:201], v[200:201], v[210:211]
	ds_read2_b64 v[216:219], v212 offset0:88 offset1:89
	v_fmac_f64_e32 v[200:201], v[202:203], v[36:37]
	s_waitcnt vmcnt(6)
	v_add_f64 v[22:23], v[22:23], -v[200:201]
	ds_read2_b64 v[200:203], v212 offset0:90 offset1:91
	v_add_f64 v[20:21], v[20:21], -v[38:39]
	;; [unrolled: 18-line block ×4, first 2 shown]
	s_waitcnt lgkmcnt(1)
	v_mul_f64 v[38:39], v[218:219], v[210:211]
	v_fma_f64 v[38:39], v[216:217], v[36:37], -v[38:39]
	s_waitcnt vmcnt(1)
	v_add_f64 v[0:1], v[0:1], -v[38:39]
	s_waitcnt lgkmcnt(0)
	v_mul_f64 v[38:39], v[202:203], v[210:211]
	v_mul_f64 v[216:217], v[216:217], v[210:211]
	v_fma_f64 v[38:39], v[200:201], v[36:37], -v[38:39]
	v_mul_f64 v[200:201], v[200:201], v[210:211]
	v_fmac_f64_e32 v[216:217], v[218:219], v[36:37]
	v_fmac_f64_e32 v[200:201], v[202:203], v[36:37]
	v_add_f64 v[2:3], v[2:3], -v[216:217]
	s_waitcnt vmcnt(0)
	v_add_f64 v[196:197], v[196:197], -v[38:39]
	v_add_f64 v[198:199], v[198:199], -v[200:201]
	v_mov_b64_e32 v[38:39], v[210:211]
.LBB98_839:
	s_or_b64 exec, exec, s[0:1]
	v_lshl_add_u32 v200, v213, 4, v212
	s_barrier
	s_waitcnt vmcnt(9)
	ds_write2_b64 v200, v[32:33], v[34:35] offset1:1
	s_waitcnt lgkmcnt(0)
	s_barrier
	ds_read2_b64 v[200:203], v212 offset0:80 offset1:81
	s_cmp_lt_i32 s20, 42
	v_mov_b32_e32 v210, 40
	s_cbranch_scc1 .LBB98_842
; %bb.840:
	v_add_u32_e32 v211, 0x290, v212
	s_mov_b32 s16, 41
	v_mov_b32_e32 v210, 40
.LBB98_841:                             ; =>This Inner Loop Header: Depth=1
	ds_read2_b64 v[216:219], v211 offset1:1
	s_waitcnt lgkmcnt(1)
	v_xor_b32_e32 v221, 0x80000000, v201
	v_xor_b32_e32 v223, 0x80000000, v203
	v_cmp_gt_f64_e32 vcc, 0, v[202:203]
	v_cmp_gt_f64_e64 s[0:1], 0, v[200:201]
	v_mov_b32_e32 v220, v200
	v_mov_b32_e32 v222, v202
	v_cndmask_b32_e64 v221, v201, v221, s[0:1]
	v_cndmask_b32_e32 v223, v203, v223, vcc
	v_add_f64 v[220:221], v[220:221], v[222:223]
	s_waitcnt lgkmcnt(0)
	v_xor_b32_e32 v223, 0x80000000, v217
	v_xor_b32_e32 v225, 0x80000000, v219
	v_cmp_gt_f64_e32 vcc, 0, v[218:219]
	v_cmp_gt_f64_e64 s[0:1], 0, v[216:217]
	v_mov_b32_e32 v222, v216
	v_mov_b32_e32 v224, v218
	v_cndmask_b32_e64 v223, v217, v223, s[0:1]
	v_cndmask_b32_e32 v225, v219, v225, vcc
	v_add_f64 v[222:223], v[222:223], v[224:225]
	v_mov_b32_e32 v226, s16
	s_add_i32 s16, s16, 1
	v_cmp_lt_f64_e32 vcc, v[220:221], v[222:223]
	v_add_u32_e32 v211, 16, v211
	s_cmp_lg_u32 s20, s16
	v_cndmask_b32_e32 v201, v201, v217, vcc
	v_cndmask_b32_e32 v200, v200, v216, vcc
	;; [unrolled: 1-line block ×5, first 2 shown]
	s_cbranch_scc1 .LBB98_841
.LBB98_842:
	s_waitcnt lgkmcnt(0)
	v_cmp_eq_f64_e32 vcc, 0, v[200:201]
	v_cmp_eq_f64_e64 s[0:1], 0, v[202:203]
	s_and_b64 s[0:1], vcc, s[0:1]
	s_and_saveexec_b64 s[16:17], s[0:1]
	s_xor_b64 s[0:1], exec, s[16:17]
; %bb.843:
	v_cmp_ne_u32_e32 vcc, 0, v214
	s_nop 1
	v_cndmask_b32_e32 v214, 41, v214, vcc
; %bb.844:
	s_andn2_saveexec_b64 s[0:1], s[0:1]
	s_cbranch_execz .LBB98_850
; %bb.845:
	v_cmp_ngt_f64_e64 s[16:17], |v[200:201]|, |v[202:203]|
	s_and_saveexec_b64 s[18:19], s[16:17]
	s_xor_b64 s[16:17], exec, s[18:19]
	s_cbranch_execz .LBB98_847
; %bb.846:
	v_div_scale_f64 v[216:217], s[18:19], v[202:203], v[202:203], v[200:201]
	v_rcp_f64_e32 v[218:219], v[216:217]
	v_div_scale_f64 v[220:221], vcc, v[200:201], v[202:203], v[200:201]
	v_fma_f64 v[222:223], -v[216:217], v[218:219], 1.0
	v_fmac_f64_e32 v[218:219], v[218:219], v[222:223]
	v_fma_f64 v[222:223], -v[216:217], v[218:219], 1.0
	v_fmac_f64_e32 v[218:219], v[218:219], v[222:223]
	v_mul_f64 v[222:223], v[220:221], v[218:219]
	v_fma_f64 v[216:217], -v[216:217], v[222:223], v[220:221]
	v_div_fmas_f64 v[216:217], v[216:217], v[218:219], v[222:223]
	v_div_fixup_f64 v[216:217], v[216:217], v[202:203], v[200:201]
	v_fmac_f64_e32 v[202:203], v[200:201], v[216:217]
	v_div_scale_f64 v[200:201], s[18:19], v[202:203], v[202:203], 1.0
	v_rcp_f64_e32 v[218:219], v[200:201]
	s_nop 0
	v_fma_f64 v[220:221], -v[200:201], v[218:219], 1.0
	v_fmac_f64_e32 v[218:219], v[218:219], v[220:221]
	v_fma_f64 v[220:221], -v[200:201], v[218:219], 1.0
	v_fmac_f64_e32 v[218:219], v[218:219], v[220:221]
	v_div_scale_f64 v[220:221], vcc, 1.0, v[202:203], 1.0
	v_mul_f64 v[222:223], v[220:221], v[218:219]
	v_fma_f64 v[200:201], -v[200:201], v[222:223], v[220:221]
	s_nop 1
	v_div_fmas_f64 v[200:201], v[200:201], v[218:219], v[222:223]
	v_div_fixup_f64 v[202:203], v[200:201], v[202:203], 1.0
	v_mul_f64 v[200:201], v[216:217], v[202:203]
	v_xor_b32_e32 v203, 0x80000000, v203
.LBB98_847:
	s_andn2_saveexec_b64 s[16:17], s[16:17]
	s_cbranch_execz .LBB98_849
; %bb.848:
	v_div_scale_f64 v[216:217], s[18:19], v[200:201], v[200:201], v[202:203]
	v_rcp_f64_e32 v[218:219], v[216:217]
	v_div_scale_f64 v[220:221], vcc, v[202:203], v[200:201], v[202:203]
	v_fma_f64 v[222:223], -v[216:217], v[218:219], 1.0
	v_fmac_f64_e32 v[218:219], v[218:219], v[222:223]
	v_fma_f64 v[222:223], -v[216:217], v[218:219], 1.0
	v_fmac_f64_e32 v[218:219], v[218:219], v[222:223]
	v_mul_f64 v[222:223], v[220:221], v[218:219]
	v_fma_f64 v[216:217], -v[216:217], v[222:223], v[220:221]
	v_div_fmas_f64 v[216:217], v[216:217], v[218:219], v[222:223]
	v_div_fixup_f64 v[216:217], v[216:217], v[200:201], v[202:203]
	v_fmac_f64_e32 v[200:201], v[202:203], v[216:217]
	v_div_scale_f64 v[202:203], s[18:19], v[200:201], v[200:201], 1.0
	v_rcp_f64_e32 v[218:219], v[202:203]
	s_nop 0
	v_fma_f64 v[220:221], -v[202:203], v[218:219], 1.0
	v_fmac_f64_e32 v[218:219], v[218:219], v[220:221]
	v_fma_f64 v[220:221], -v[202:203], v[218:219], 1.0
	v_fmac_f64_e32 v[218:219], v[218:219], v[220:221]
	v_div_scale_f64 v[220:221], vcc, 1.0, v[200:201], 1.0
	v_mul_f64 v[222:223], v[220:221], v[218:219]
	v_fma_f64 v[202:203], -v[202:203], v[222:223], v[220:221]
	s_nop 1
	v_div_fmas_f64 v[202:203], v[202:203], v[218:219], v[222:223]
	v_div_fixup_f64 v[200:201], v[202:203], v[200:201], 1.0
	v_mul_f64 v[202:203], v[216:217], -v[200:201]
.LBB98_849:
	s_or_b64 exec, exec, s[16:17]
.LBB98_850:
	s_or_b64 exec, exec, s[0:1]
	v_cmp_ne_u32_e32 vcc, v213, v210
	s_and_saveexec_b64 s[0:1], vcc
	s_xor_b64 s[0:1], exec, s[0:1]
	s_cbranch_execz .LBB98_856
; %bb.851:
	v_cmp_eq_u32_e32 vcc, 40, v213
	s_and_saveexec_b64 s[16:17], vcc
	s_cbranch_execz .LBB98_855
; %bb.852:
	v_cmp_ne_u32_e32 vcc, 40, v210
	s_xor_b64 s[18:19], s[14:15], -1
	s_and_b64 s[22:23], s[18:19], vcc
	s_and_saveexec_b64 s[18:19], s[22:23]
	s_cbranch_execz .LBB98_854
; %bb.853:
	v_ashrrev_i32_e32 v211, 31, v210
	v_lshl_add_u64 v[216:217], v[210:211], 2, v[208:209]
	global_load_dword v211, v[216:217], off
	global_load_dword v213, v[208:209], off offset:160
	s_waitcnt vmcnt(1)
	global_store_dword v[208:209], v211, off offset:160
	s_waitcnt vmcnt(1)
	global_store_dword v[216:217], v213, off
.LBB98_854:
	s_or_b64 exec, exec, s[18:19]
	v_mov_b32_e32 v213, v210
	v_mov_b32_e32 v215, v210
.LBB98_855:
	s_or_b64 exec, exec, s[16:17]
.LBB98_856:
	s_andn2_saveexec_b64 s[0:1], s[0:1]
	s_cbranch_execz .LBB98_858
; %bb.857:
	v_mov_b32_e32 v213, 40
	s_waitcnt vmcnt(8)
	ds_write2_b64 v212, v[28:29], v[30:31] offset0:82 offset1:83
	s_waitcnt vmcnt(7)
	ds_write2_b64 v212, v[24:25], v[26:27] offset0:84 offset1:85
	;; [unrolled: 2-line block ×9, first 2 shown]
.LBB98_858:
	s_or_b64 exec, exec, s[0:1]
	v_cmp_lt_i32_e32 vcc, 40, v213
	s_waitcnt lgkmcnt(0)
	s_barrier
	s_and_saveexec_b64 s[0:1], vcc
	s_cbranch_execz .LBB98_860
; %bb.859:
	ds_read2_b64 v[216:219], v212 offset0:82 offset1:83
	v_mul_f64 v[210:211], v[200:201], v[34:35]
	v_fmac_f64_e32 v[210:211], v[202:203], v[32:33]
	v_mul_f64 v[34:35], v[202:203], v[34:35]
	v_fma_f64 v[32:33], v[200:201], v[32:33], -v[34:35]
	ds_read2_b64 v[200:203], v212 offset0:84 offset1:85
	s_waitcnt lgkmcnt(1)
	v_mul_f64 v[34:35], v[218:219], v[210:211]
	v_fma_f64 v[34:35], v[216:217], v[32:33], -v[34:35]
	v_mul_f64 v[216:217], v[216:217], v[210:211]
	v_fmac_f64_e32 v[216:217], v[218:219], v[32:33]
	s_waitcnt vmcnt(8)
	v_add_f64 v[30:31], v[30:31], -v[216:217]
	ds_read2_b64 v[216:219], v212 offset0:86 offset1:87
	v_add_f64 v[28:29], v[28:29], -v[34:35]
	s_waitcnt lgkmcnt(1)
	v_mul_f64 v[34:35], v[202:203], v[210:211]
	v_fma_f64 v[34:35], v[200:201], v[32:33], -v[34:35]
	v_mul_f64 v[200:201], v[200:201], v[210:211]
	v_fmac_f64_e32 v[200:201], v[202:203], v[32:33]
	s_waitcnt vmcnt(7)
	v_add_f64 v[24:25], v[24:25], -v[34:35]
	v_add_f64 v[26:27], v[26:27], -v[200:201]
	ds_read2_b64 v[200:203], v212 offset0:88 offset1:89
	s_waitcnt lgkmcnt(1)
	v_mul_f64 v[34:35], v[218:219], v[210:211]
	v_fma_f64 v[34:35], v[216:217], v[32:33], -v[34:35]
	v_mul_f64 v[216:217], v[216:217], v[210:211]
	v_fmac_f64_e32 v[216:217], v[218:219], v[32:33]
	s_waitcnt vmcnt(6)
	v_add_f64 v[22:23], v[22:23], -v[216:217]
	ds_read2_b64 v[216:219], v212 offset0:90 offset1:91
	v_add_f64 v[20:21], v[20:21], -v[34:35]
	s_waitcnt lgkmcnt(1)
	v_mul_f64 v[34:35], v[202:203], v[210:211]
	v_fma_f64 v[34:35], v[200:201], v[32:33], -v[34:35]
	v_mul_f64 v[200:201], v[200:201], v[210:211]
	v_fmac_f64_e32 v[200:201], v[202:203], v[32:33]
	s_waitcnt vmcnt(5)
	v_add_f64 v[16:17], v[16:17], -v[34:35]
	v_add_f64 v[18:19], v[18:19], -v[200:201]
	;; [unrolled: 18-line block ×4, first 2 shown]
	s_waitcnt lgkmcnt(0)
	v_mul_f64 v[34:35], v[218:219], v[210:211]
	v_mul_f64 v[200:201], v[216:217], v[210:211]
	v_fma_f64 v[34:35], v[216:217], v[32:33], -v[34:35]
	v_fmac_f64_e32 v[200:201], v[218:219], v[32:33]
	s_waitcnt vmcnt(0)
	v_add_f64 v[196:197], v[196:197], -v[34:35]
	v_add_f64 v[198:199], v[198:199], -v[200:201]
	v_mov_b64_e32 v[34:35], v[210:211]
.LBB98_860:
	s_or_b64 exec, exec, s[0:1]
	v_lshl_add_u32 v200, v213, 4, v212
	s_barrier
	s_waitcnt vmcnt(8)
	ds_write2_b64 v200, v[28:29], v[30:31] offset1:1
	s_waitcnt lgkmcnt(0)
	s_barrier
	ds_read2_b64 v[200:203], v212 offset0:82 offset1:83
	s_cmp_lt_i32 s20, 43
	v_mov_b32_e32 v210, 41
	s_cbranch_scc1 .LBB98_863
; %bb.861:
	v_add_u32_e32 v211, 0x2a0, v212
	s_mov_b32 s16, 42
	v_mov_b32_e32 v210, 41
.LBB98_862:                             ; =>This Inner Loop Header: Depth=1
	ds_read2_b64 v[216:219], v211 offset1:1
	s_waitcnt lgkmcnt(1)
	v_xor_b32_e32 v221, 0x80000000, v201
	v_xor_b32_e32 v223, 0x80000000, v203
	v_cmp_gt_f64_e32 vcc, 0, v[202:203]
	v_cmp_gt_f64_e64 s[0:1], 0, v[200:201]
	v_mov_b32_e32 v220, v200
	v_mov_b32_e32 v222, v202
	v_cndmask_b32_e64 v221, v201, v221, s[0:1]
	v_cndmask_b32_e32 v223, v203, v223, vcc
	v_add_f64 v[220:221], v[220:221], v[222:223]
	s_waitcnt lgkmcnt(0)
	v_xor_b32_e32 v223, 0x80000000, v217
	v_xor_b32_e32 v225, 0x80000000, v219
	v_cmp_gt_f64_e32 vcc, 0, v[218:219]
	v_cmp_gt_f64_e64 s[0:1], 0, v[216:217]
	v_mov_b32_e32 v222, v216
	v_mov_b32_e32 v224, v218
	v_cndmask_b32_e64 v223, v217, v223, s[0:1]
	v_cndmask_b32_e32 v225, v219, v225, vcc
	v_add_f64 v[222:223], v[222:223], v[224:225]
	v_mov_b32_e32 v226, s16
	s_add_i32 s16, s16, 1
	v_cmp_lt_f64_e32 vcc, v[220:221], v[222:223]
	v_add_u32_e32 v211, 16, v211
	s_cmp_lg_u32 s20, s16
	v_cndmask_b32_e32 v201, v201, v217, vcc
	v_cndmask_b32_e32 v200, v200, v216, vcc
	;; [unrolled: 1-line block ×5, first 2 shown]
	s_cbranch_scc1 .LBB98_862
.LBB98_863:
	s_waitcnt lgkmcnt(0)
	v_cmp_eq_f64_e32 vcc, 0, v[200:201]
	v_cmp_eq_f64_e64 s[0:1], 0, v[202:203]
	s_and_b64 s[0:1], vcc, s[0:1]
	s_and_saveexec_b64 s[16:17], s[0:1]
	s_xor_b64 s[0:1], exec, s[16:17]
; %bb.864:
	v_cmp_ne_u32_e32 vcc, 0, v214
	s_nop 1
	v_cndmask_b32_e32 v214, 42, v214, vcc
; %bb.865:
	s_andn2_saveexec_b64 s[0:1], s[0:1]
	s_cbranch_execz .LBB98_871
; %bb.866:
	v_cmp_ngt_f64_e64 s[16:17], |v[200:201]|, |v[202:203]|
	s_and_saveexec_b64 s[18:19], s[16:17]
	s_xor_b64 s[16:17], exec, s[18:19]
	s_cbranch_execz .LBB98_868
; %bb.867:
	v_div_scale_f64 v[216:217], s[18:19], v[202:203], v[202:203], v[200:201]
	v_rcp_f64_e32 v[218:219], v[216:217]
	v_div_scale_f64 v[220:221], vcc, v[200:201], v[202:203], v[200:201]
	v_fma_f64 v[222:223], -v[216:217], v[218:219], 1.0
	v_fmac_f64_e32 v[218:219], v[218:219], v[222:223]
	v_fma_f64 v[222:223], -v[216:217], v[218:219], 1.0
	v_fmac_f64_e32 v[218:219], v[218:219], v[222:223]
	v_mul_f64 v[222:223], v[220:221], v[218:219]
	v_fma_f64 v[216:217], -v[216:217], v[222:223], v[220:221]
	v_div_fmas_f64 v[216:217], v[216:217], v[218:219], v[222:223]
	v_div_fixup_f64 v[216:217], v[216:217], v[202:203], v[200:201]
	v_fmac_f64_e32 v[202:203], v[200:201], v[216:217]
	v_div_scale_f64 v[200:201], s[18:19], v[202:203], v[202:203], 1.0
	v_rcp_f64_e32 v[218:219], v[200:201]
	s_nop 0
	v_fma_f64 v[220:221], -v[200:201], v[218:219], 1.0
	v_fmac_f64_e32 v[218:219], v[218:219], v[220:221]
	v_fma_f64 v[220:221], -v[200:201], v[218:219], 1.0
	v_fmac_f64_e32 v[218:219], v[218:219], v[220:221]
	v_div_scale_f64 v[220:221], vcc, 1.0, v[202:203], 1.0
	v_mul_f64 v[222:223], v[220:221], v[218:219]
	v_fma_f64 v[200:201], -v[200:201], v[222:223], v[220:221]
	s_nop 1
	v_div_fmas_f64 v[200:201], v[200:201], v[218:219], v[222:223]
	v_div_fixup_f64 v[202:203], v[200:201], v[202:203], 1.0
	v_mul_f64 v[200:201], v[216:217], v[202:203]
	v_xor_b32_e32 v203, 0x80000000, v203
.LBB98_868:
	s_andn2_saveexec_b64 s[16:17], s[16:17]
	s_cbranch_execz .LBB98_870
; %bb.869:
	v_div_scale_f64 v[216:217], s[18:19], v[200:201], v[200:201], v[202:203]
	v_rcp_f64_e32 v[218:219], v[216:217]
	v_div_scale_f64 v[220:221], vcc, v[202:203], v[200:201], v[202:203]
	v_fma_f64 v[222:223], -v[216:217], v[218:219], 1.0
	v_fmac_f64_e32 v[218:219], v[218:219], v[222:223]
	v_fma_f64 v[222:223], -v[216:217], v[218:219], 1.0
	v_fmac_f64_e32 v[218:219], v[218:219], v[222:223]
	v_mul_f64 v[222:223], v[220:221], v[218:219]
	v_fma_f64 v[216:217], -v[216:217], v[222:223], v[220:221]
	v_div_fmas_f64 v[216:217], v[216:217], v[218:219], v[222:223]
	v_div_fixup_f64 v[216:217], v[216:217], v[200:201], v[202:203]
	v_fmac_f64_e32 v[200:201], v[202:203], v[216:217]
	v_div_scale_f64 v[202:203], s[18:19], v[200:201], v[200:201], 1.0
	v_rcp_f64_e32 v[218:219], v[202:203]
	s_nop 0
	v_fma_f64 v[220:221], -v[202:203], v[218:219], 1.0
	v_fmac_f64_e32 v[218:219], v[218:219], v[220:221]
	v_fma_f64 v[220:221], -v[202:203], v[218:219], 1.0
	v_fmac_f64_e32 v[218:219], v[218:219], v[220:221]
	v_div_scale_f64 v[220:221], vcc, 1.0, v[200:201], 1.0
	v_mul_f64 v[222:223], v[220:221], v[218:219]
	v_fma_f64 v[202:203], -v[202:203], v[222:223], v[220:221]
	s_nop 1
	v_div_fmas_f64 v[202:203], v[202:203], v[218:219], v[222:223]
	v_div_fixup_f64 v[200:201], v[202:203], v[200:201], 1.0
	v_mul_f64 v[202:203], v[216:217], -v[200:201]
.LBB98_870:
	s_or_b64 exec, exec, s[16:17]
.LBB98_871:
	s_or_b64 exec, exec, s[0:1]
	v_cmp_ne_u32_e32 vcc, v213, v210
	s_and_saveexec_b64 s[0:1], vcc
	s_xor_b64 s[0:1], exec, s[0:1]
	s_cbranch_execz .LBB98_877
; %bb.872:
	v_cmp_eq_u32_e32 vcc, 41, v213
	s_and_saveexec_b64 s[16:17], vcc
	s_cbranch_execz .LBB98_876
; %bb.873:
	v_cmp_ne_u32_e32 vcc, 41, v210
	s_xor_b64 s[18:19], s[14:15], -1
	s_and_b64 s[22:23], s[18:19], vcc
	s_and_saveexec_b64 s[18:19], s[22:23]
	s_cbranch_execz .LBB98_875
; %bb.874:
	v_ashrrev_i32_e32 v211, 31, v210
	v_lshl_add_u64 v[216:217], v[210:211], 2, v[208:209]
	global_load_dword v211, v[216:217], off
	global_load_dword v213, v[208:209], off offset:164
	s_waitcnt vmcnt(1)
	global_store_dword v[208:209], v211, off offset:164
	s_waitcnt vmcnt(1)
	global_store_dword v[216:217], v213, off
.LBB98_875:
	s_or_b64 exec, exec, s[18:19]
	v_mov_b32_e32 v213, v210
	v_mov_b32_e32 v215, v210
.LBB98_876:
	s_or_b64 exec, exec, s[16:17]
.LBB98_877:
	s_andn2_saveexec_b64 s[0:1], s[0:1]
	s_cbranch_execz .LBB98_879
; %bb.878:
	v_mov_b32_e32 v213, 41
	s_waitcnt vmcnt(7)
	ds_write2_b64 v212, v[24:25], v[26:27] offset0:84 offset1:85
	s_waitcnt vmcnt(6)
	ds_write2_b64 v212, v[20:21], v[22:23] offset0:86 offset1:87
	;; [unrolled: 2-line block ×8, first 2 shown]
.LBB98_879:
	s_or_b64 exec, exec, s[0:1]
	v_cmp_lt_i32_e32 vcc, 41, v213
	s_waitcnt lgkmcnt(0)
	s_barrier
	s_and_saveexec_b64 s[0:1], vcc
	s_cbranch_execz .LBB98_881
; %bb.880:
	ds_read2_b64 v[216:219], v212 offset0:84 offset1:85
	v_mul_f64 v[210:211], v[200:201], v[30:31]
	v_mul_f64 v[30:31], v[202:203], v[30:31]
	v_fmac_f64_e32 v[210:211], v[202:203], v[28:29]
	v_fma_f64 v[28:29], v[200:201], v[28:29], -v[30:31]
	ds_read2_b64 v[200:203], v212 offset0:86 offset1:87
	s_waitcnt lgkmcnt(1)
	v_mul_f64 v[30:31], v[218:219], v[210:211]
	v_fma_f64 v[30:31], v[216:217], v[28:29], -v[30:31]
	v_mul_f64 v[216:217], v[216:217], v[210:211]
	v_fmac_f64_e32 v[216:217], v[218:219], v[28:29]
	s_waitcnt vmcnt(7)
	v_add_f64 v[24:25], v[24:25], -v[30:31]
	s_waitcnt lgkmcnt(0)
	v_mul_f64 v[30:31], v[202:203], v[210:211]
	v_add_f64 v[26:27], v[26:27], -v[216:217]
	v_fma_f64 v[30:31], v[200:201], v[28:29], -v[30:31]
	v_mul_f64 v[200:201], v[200:201], v[210:211]
	ds_read2_b64 v[216:219], v212 offset0:88 offset1:89
	v_fmac_f64_e32 v[200:201], v[202:203], v[28:29]
	s_waitcnt vmcnt(6)
	v_add_f64 v[22:23], v[22:23], -v[200:201]
	ds_read2_b64 v[200:203], v212 offset0:90 offset1:91
	v_add_f64 v[20:21], v[20:21], -v[30:31]
	s_waitcnt lgkmcnt(1)
	v_mul_f64 v[30:31], v[218:219], v[210:211]
	v_fma_f64 v[30:31], v[216:217], v[28:29], -v[30:31]
	v_mul_f64 v[216:217], v[216:217], v[210:211]
	v_fmac_f64_e32 v[216:217], v[218:219], v[28:29]
	s_waitcnt vmcnt(5)
	v_add_f64 v[16:17], v[16:17], -v[30:31]
	s_waitcnt lgkmcnt(0)
	v_mul_f64 v[30:31], v[202:203], v[210:211]
	v_add_f64 v[18:19], v[18:19], -v[216:217]
	v_fma_f64 v[30:31], v[200:201], v[28:29], -v[30:31]
	v_mul_f64 v[200:201], v[200:201], v[210:211]
	ds_read2_b64 v[216:219], v212 offset0:92 offset1:93
	v_fmac_f64_e32 v[200:201], v[202:203], v[28:29]
	s_waitcnt vmcnt(4)
	v_add_f64 v[14:15], v[14:15], -v[200:201]
	ds_read2_b64 v[200:203], v212 offset0:94 offset1:95
	v_add_f64 v[12:13], v[12:13], -v[30:31]
	;; [unrolled: 18-line block ×3, first 2 shown]
	s_waitcnt lgkmcnt(1)
	v_mul_f64 v[30:31], v[218:219], v[210:211]
	v_fma_f64 v[30:31], v[216:217], v[28:29], -v[30:31]
	s_waitcnt vmcnt(1)
	v_add_f64 v[0:1], v[0:1], -v[30:31]
	s_waitcnt lgkmcnt(0)
	v_mul_f64 v[30:31], v[202:203], v[210:211]
	v_mul_f64 v[216:217], v[216:217], v[210:211]
	v_fma_f64 v[30:31], v[200:201], v[28:29], -v[30:31]
	v_mul_f64 v[200:201], v[200:201], v[210:211]
	v_fmac_f64_e32 v[216:217], v[218:219], v[28:29]
	v_fmac_f64_e32 v[200:201], v[202:203], v[28:29]
	v_add_f64 v[2:3], v[2:3], -v[216:217]
	s_waitcnt vmcnt(0)
	v_add_f64 v[196:197], v[196:197], -v[30:31]
	v_add_f64 v[198:199], v[198:199], -v[200:201]
	v_mov_b64_e32 v[30:31], v[210:211]
.LBB98_881:
	s_or_b64 exec, exec, s[0:1]
	v_lshl_add_u32 v200, v213, 4, v212
	s_barrier
	s_waitcnt vmcnt(7)
	ds_write2_b64 v200, v[24:25], v[26:27] offset1:1
	s_waitcnt lgkmcnt(0)
	s_barrier
	ds_read2_b64 v[200:203], v212 offset0:84 offset1:85
	s_cmp_lt_i32 s20, 44
	v_mov_b32_e32 v210, 42
	s_cbranch_scc1 .LBB98_884
; %bb.882:
	v_add_u32_e32 v211, 0x2b0, v212
	s_mov_b32 s16, 43
	v_mov_b32_e32 v210, 42
.LBB98_883:                             ; =>This Inner Loop Header: Depth=1
	ds_read2_b64 v[216:219], v211 offset1:1
	s_waitcnt lgkmcnt(1)
	v_xor_b32_e32 v221, 0x80000000, v201
	v_xor_b32_e32 v223, 0x80000000, v203
	v_cmp_gt_f64_e32 vcc, 0, v[202:203]
	v_cmp_gt_f64_e64 s[0:1], 0, v[200:201]
	v_mov_b32_e32 v220, v200
	v_mov_b32_e32 v222, v202
	v_cndmask_b32_e64 v221, v201, v221, s[0:1]
	v_cndmask_b32_e32 v223, v203, v223, vcc
	v_add_f64 v[220:221], v[220:221], v[222:223]
	s_waitcnt lgkmcnt(0)
	v_xor_b32_e32 v223, 0x80000000, v217
	v_xor_b32_e32 v225, 0x80000000, v219
	v_cmp_gt_f64_e32 vcc, 0, v[218:219]
	v_cmp_gt_f64_e64 s[0:1], 0, v[216:217]
	v_mov_b32_e32 v222, v216
	v_mov_b32_e32 v224, v218
	v_cndmask_b32_e64 v223, v217, v223, s[0:1]
	v_cndmask_b32_e32 v225, v219, v225, vcc
	v_add_f64 v[222:223], v[222:223], v[224:225]
	v_mov_b32_e32 v226, s16
	s_add_i32 s16, s16, 1
	v_cmp_lt_f64_e32 vcc, v[220:221], v[222:223]
	v_add_u32_e32 v211, 16, v211
	s_cmp_lg_u32 s20, s16
	v_cndmask_b32_e32 v201, v201, v217, vcc
	v_cndmask_b32_e32 v200, v200, v216, vcc
	;; [unrolled: 1-line block ×5, first 2 shown]
	s_cbranch_scc1 .LBB98_883
.LBB98_884:
	s_waitcnt lgkmcnt(0)
	v_cmp_eq_f64_e32 vcc, 0, v[200:201]
	v_cmp_eq_f64_e64 s[0:1], 0, v[202:203]
	s_and_b64 s[0:1], vcc, s[0:1]
	s_and_saveexec_b64 s[16:17], s[0:1]
	s_xor_b64 s[0:1], exec, s[16:17]
; %bb.885:
	v_cmp_ne_u32_e32 vcc, 0, v214
	s_nop 1
	v_cndmask_b32_e32 v214, 43, v214, vcc
; %bb.886:
	s_andn2_saveexec_b64 s[0:1], s[0:1]
	s_cbranch_execz .LBB98_892
; %bb.887:
	v_cmp_ngt_f64_e64 s[16:17], |v[200:201]|, |v[202:203]|
	s_and_saveexec_b64 s[18:19], s[16:17]
	s_xor_b64 s[16:17], exec, s[18:19]
	s_cbranch_execz .LBB98_889
; %bb.888:
	v_div_scale_f64 v[216:217], s[18:19], v[202:203], v[202:203], v[200:201]
	v_rcp_f64_e32 v[218:219], v[216:217]
	v_div_scale_f64 v[220:221], vcc, v[200:201], v[202:203], v[200:201]
	v_fma_f64 v[222:223], -v[216:217], v[218:219], 1.0
	v_fmac_f64_e32 v[218:219], v[218:219], v[222:223]
	v_fma_f64 v[222:223], -v[216:217], v[218:219], 1.0
	v_fmac_f64_e32 v[218:219], v[218:219], v[222:223]
	v_mul_f64 v[222:223], v[220:221], v[218:219]
	v_fma_f64 v[216:217], -v[216:217], v[222:223], v[220:221]
	v_div_fmas_f64 v[216:217], v[216:217], v[218:219], v[222:223]
	v_div_fixup_f64 v[216:217], v[216:217], v[202:203], v[200:201]
	v_fmac_f64_e32 v[202:203], v[200:201], v[216:217]
	v_div_scale_f64 v[200:201], s[18:19], v[202:203], v[202:203], 1.0
	v_rcp_f64_e32 v[218:219], v[200:201]
	s_nop 0
	v_fma_f64 v[220:221], -v[200:201], v[218:219], 1.0
	v_fmac_f64_e32 v[218:219], v[218:219], v[220:221]
	v_fma_f64 v[220:221], -v[200:201], v[218:219], 1.0
	v_fmac_f64_e32 v[218:219], v[218:219], v[220:221]
	v_div_scale_f64 v[220:221], vcc, 1.0, v[202:203], 1.0
	v_mul_f64 v[222:223], v[220:221], v[218:219]
	v_fma_f64 v[200:201], -v[200:201], v[222:223], v[220:221]
	s_nop 1
	v_div_fmas_f64 v[200:201], v[200:201], v[218:219], v[222:223]
	v_div_fixup_f64 v[202:203], v[200:201], v[202:203], 1.0
	v_mul_f64 v[200:201], v[216:217], v[202:203]
	v_xor_b32_e32 v203, 0x80000000, v203
.LBB98_889:
	s_andn2_saveexec_b64 s[16:17], s[16:17]
	s_cbranch_execz .LBB98_891
; %bb.890:
	v_div_scale_f64 v[216:217], s[18:19], v[200:201], v[200:201], v[202:203]
	v_rcp_f64_e32 v[218:219], v[216:217]
	v_div_scale_f64 v[220:221], vcc, v[202:203], v[200:201], v[202:203]
	v_fma_f64 v[222:223], -v[216:217], v[218:219], 1.0
	v_fmac_f64_e32 v[218:219], v[218:219], v[222:223]
	v_fma_f64 v[222:223], -v[216:217], v[218:219], 1.0
	v_fmac_f64_e32 v[218:219], v[218:219], v[222:223]
	v_mul_f64 v[222:223], v[220:221], v[218:219]
	v_fma_f64 v[216:217], -v[216:217], v[222:223], v[220:221]
	v_div_fmas_f64 v[216:217], v[216:217], v[218:219], v[222:223]
	v_div_fixup_f64 v[216:217], v[216:217], v[200:201], v[202:203]
	v_fmac_f64_e32 v[200:201], v[202:203], v[216:217]
	v_div_scale_f64 v[202:203], s[18:19], v[200:201], v[200:201], 1.0
	v_rcp_f64_e32 v[218:219], v[202:203]
	s_nop 0
	v_fma_f64 v[220:221], -v[202:203], v[218:219], 1.0
	v_fmac_f64_e32 v[218:219], v[218:219], v[220:221]
	v_fma_f64 v[220:221], -v[202:203], v[218:219], 1.0
	v_fmac_f64_e32 v[218:219], v[218:219], v[220:221]
	v_div_scale_f64 v[220:221], vcc, 1.0, v[200:201], 1.0
	v_mul_f64 v[222:223], v[220:221], v[218:219]
	v_fma_f64 v[202:203], -v[202:203], v[222:223], v[220:221]
	s_nop 1
	v_div_fmas_f64 v[202:203], v[202:203], v[218:219], v[222:223]
	v_div_fixup_f64 v[200:201], v[202:203], v[200:201], 1.0
	v_mul_f64 v[202:203], v[216:217], -v[200:201]
.LBB98_891:
	s_or_b64 exec, exec, s[16:17]
.LBB98_892:
	s_or_b64 exec, exec, s[0:1]
	v_cmp_ne_u32_e32 vcc, v213, v210
	s_and_saveexec_b64 s[0:1], vcc
	s_xor_b64 s[0:1], exec, s[0:1]
	s_cbranch_execz .LBB98_898
; %bb.893:
	v_cmp_eq_u32_e32 vcc, 42, v213
	s_and_saveexec_b64 s[16:17], vcc
	s_cbranch_execz .LBB98_897
; %bb.894:
	v_cmp_ne_u32_e32 vcc, 42, v210
	s_xor_b64 s[18:19], s[14:15], -1
	s_and_b64 s[22:23], s[18:19], vcc
	s_and_saveexec_b64 s[18:19], s[22:23]
	s_cbranch_execz .LBB98_896
; %bb.895:
	v_ashrrev_i32_e32 v211, 31, v210
	v_lshl_add_u64 v[216:217], v[210:211], 2, v[208:209]
	global_load_dword v211, v[216:217], off
	global_load_dword v213, v[208:209], off offset:168
	s_waitcnt vmcnt(1)
	global_store_dword v[208:209], v211, off offset:168
	s_waitcnt vmcnt(1)
	global_store_dword v[216:217], v213, off
.LBB98_896:
	s_or_b64 exec, exec, s[18:19]
	v_mov_b32_e32 v213, v210
	v_mov_b32_e32 v215, v210
.LBB98_897:
	s_or_b64 exec, exec, s[16:17]
.LBB98_898:
	s_andn2_saveexec_b64 s[0:1], s[0:1]
	s_cbranch_execz .LBB98_900
; %bb.899:
	v_mov_b32_e32 v213, 42
	s_waitcnt vmcnt(6)
	ds_write2_b64 v212, v[20:21], v[22:23] offset0:86 offset1:87
	s_waitcnt vmcnt(5)
	ds_write2_b64 v212, v[16:17], v[18:19] offset0:88 offset1:89
	;; [unrolled: 2-line block ×7, first 2 shown]
.LBB98_900:
	s_or_b64 exec, exec, s[0:1]
	v_cmp_lt_i32_e32 vcc, 42, v213
	s_waitcnt lgkmcnt(0)
	s_barrier
	s_and_saveexec_b64 s[0:1], vcc
	s_cbranch_execz .LBB98_902
; %bb.901:
	ds_read2_b64 v[216:219], v212 offset0:86 offset1:87
	v_mul_f64 v[210:211], v[200:201], v[26:27]
	v_fmac_f64_e32 v[210:211], v[202:203], v[24:25]
	v_mul_f64 v[26:27], v[202:203], v[26:27]
	v_fma_f64 v[24:25], v[200:201], v[24:25], -v[26:27]
	ds_read2_b64 v[200:203], v212 offset0:88 offset1:89
	s_waitcnt lgkmcnt(1)
	v_mul_f64 v[26:27], v[218:219], v[210:211]
	v_fma_f64 v[26:27], v[216:217], v[24:25], -v[26:27]
	v_mul_f64 v[216:217], v[216:217], v[210:211]
	v_fmac_f64_e32 v[216:217], v[218:219], v[24:25]
	s_waitcnt vmcnt(6)
	v_add_f64 v[22:23], v[22:23], -v[216:217]
	ds_read2_b64 v[216:219], v212 offset0:90 offset1:91
	v_add_f64 v[20:21], v[20:21], -v[26:27]
	s_waitcnt lgkmcnt(1)
	v_mul_f64 v[26:27], v[202:203], v[210:211]
	v_fma_f64 v[26:27], v[200:201], v[24:25], -v[26:27]
	v_mul_f64 v[200:201], v[200:201], v[210:211]
	v_fmac_f64_e32 v[200:201], v[202:203], v[24:25]
	s_waitcnt vmcnt(5)
	v_add_f64 v[16:17], v[16:17], -v[26:27]
	v_add_f64 v[18:19], v[18:19], -v[200:201]
	ds_read2_b64 v[200:203], v212 offset0:92 offset1:93
	s_waitcnt lgkmcnt(1)
	v_mul_f64 v[26:27], v[218:219], v[210:211]
	v_fma_f64 v[26:27], v[216:217], v[24:25], -v[26:27]
	v_mul_f64 v[216:217], v[216:217], v[210:211]
	v_fmac_f64_e32 v[216:217], v[218:219], v[24:25]
	s_waitcnt vmcnt(4)
	v_add_f64 v[14:15], v[14:15], -v[216:217]
	ds_read2_b64 v[216:219], v212 offset0:94 offset1:95
	v_add_f64 v[12:13], v[12:13], -v[26:27]
	s_waitcnt lgkmcnt(1)
	v_mul_f64 v[26:27], v[202:203], v[210:211]
	v_fma_f64 v[26:27], v[200:201], v[24:25], -v[26:27]
	v_mul_f64 v[200:201], v[200:201], v[210:211]
	v_fmac_f64_e32 v[200:201], v[202:203], v[24:25]
	s_waitcnt vmcnt(3)
	v_add_f64 v[8:9], v[8:9], -v[26:27]
	v_add_f64 v[10:11], v[10:11], -v[200:201]
	;; [unrolled: 18-line block ×3, first 2 shown]
	s_waitcnt lgkmcnt(0)
	v_mul_f64 v[26:27], v[218:219], v[210:211]
	v_mul_f64 v[200:201], v[216:217], v[210:211]
	v_fma_f64 v[26:27], v[216:217], v[24:25], -v[26:27]
	v_fmac_f64_e32 v[200:201], v[218:219], v[24:25]
	s_waitcnt vmcnt(0)
	v_add_f64 v[196:197], v[196:197], -v[26:27]
	v_add_f64 v[198:199], v[198:199], -v[200:201]
	v_mov_b64_e32 v[26:27], v[210:211]
.LBB98_902:
	s_or_b64 exec, exec, s[0:1]
	v_lshl_add_u32 v200, v213, 4, v212
	s_barrier
	s_waitcnt vmcnt(6)
	ds_write2_b64 v200, v[20:21], v[22:23] offset1:1
	s_waitcnt lgkmcnt(0)
	s_barrier
	ds_read2_b64 v[200:203], v212 offset0:86 offset1:87
	s_cmp_lt_i32 s20, 45
	v_mov_b32_e32 v210, 43
	s_cbranch_scc1 .LBB98_905
; %bb.903:
	v_add_u32_e32 v211, 0x2c0, v212
	s_mov_b32 s16, 44
	v_mov_b32_e32 v210, 43
.LBB98_904:                             ; =>This Inner Loop Header: Depth=1
	ds_read2_b64 v[216:219], v211 offset1:1
	s_waitcnt lgkmcnt(1)
	v_xor_b32_e32 v221, 0x80000000, v201
	v_xor_b32_e32 v223, 0x80000000, v203
	v_cmp_gt_f64_e32 vcc, 0, v[202:203]
	v_cmp_gt_f64_e64 s[0:1], 0, v[200:201]
	v_mov_b32_e32 v220, v200
	v_mov_b32_e32 v222, v202
	v_cndmask_b32_e64 v221, v201, v221, s[0:1]
	v_cndmask_b32_e32 v223, v203, v223, vcc
	v_add_f64 v[220:221], v[220:221], v[222:223]
	s_waitcnt lgkmcnt(0)
	v_xor_b32_e32 v223, 0x80000000, v217
	v_xor_b32_e32 v225, 0x80000000, v219
	v_cmp_gt_f64_e32 vcc, 0, v[218:219]
	v_cmp_gt_f64_e64 s[0:1], 0, v[216:217]
	v_mov_b32_e32 v222, v216
	v_mov_b32_e32 v224, v218
	v_cndmask_b32_e64 v223, v217, v223, s[0:1]
	v_cndmask_b32_e32 v225, v219, v225, vcc
	v_add_f64 v[222:223], v[222:223], v[224:225]
	v_mov_b32_e32 v226, s16
	s_add_i32 s16, s16, 1
	v_cmp_lt_f64_e32 vcc, v[220:221], v[222:223]
	v_add_u32_e32 v211, 16, v211
	s_cmp_lg_u32 s20, s16
	v_cndmask_b32_e32 v201, v201, v217, vcc
	v_cndmask_b32_e32 v200, v200, v216, vcc
	;; [unrolled: 1-line block ×5, first 2 shown]
	s_cbranch_scc1 .LBB98_904
.LBB98_905:
	s_waitcnt lgkmcnt(0)
	v_cmp_eq_f64_e32 vcc, 0, v[200:201]
	v_cmp_eq_f64_e64 s[0:1], 0, v[202:203]
	s_and_b64 s[0:1], vcc, s[0:1]
	s_and_saveexec_b64 s[16:17], s[0:1]
	s_xor_b64 s[0:1], exec, s[16:17]
; %bb.906:
	v_cmp_ne_u32_e32 vcc, 0, v214
	s_nop 1
	v_cndmask_b32_e32 v214, 44, v214, vcc
; %bb.907:
	s_andn2_saveexec_b64 s[0:1], s[0:1]
	s_cbranch_execz .LBB98_913
; %bb.908:
	v_cmp_ngt_f64_e64 s[16:17], |v[200:201]|, |v[202:203]|
	s_and_saveexec_b64 s[18:19], s[16:17]
	s_xor_b64 s[16:17], exec, s[18:19]
	s_cbranch_execz .LBB98_910
; %bb.909:
	v_div_scale_f64 v[216:217], s[18:19], v[202:203], v[202:203], v[200:201]
	v_rcp_f64_e32 v[218:219], v[216:217]
	v_div_scale_f64 v[220:221], vcc, v[200:201], v[202:203], v[200:201]
	v_fma_f64 v[222:223], -v[216:217], v[218:219], 1.0
	v_fmac_f64_e32 v[218:219], v[218:219], v[222:223]
	v_fma_f64 v[222:223], -v[216:217], v[218:219], 1.0
	v_fmac_f64_e32 v[218:219], v[218:219], v[222:223]
	v_mul_f64 v[222:223], v[220:221], v[218:219]
	v_fma_f64 v[216:217], -v[216:217], v[222:223], v[220:221]
	v_div_fmas_f64 v[216:217], v[216:217], v[218:219], v[222:223]
	v_div_fixup_f64 v[216:217], v[216:217], v[202:203], v[200:201]
	v_fmac_f64_e32 v[202:203], v[200:201], v[216:217]
	v_div_scale_f64 v[200:201], s[18:19], v[202:203], v[202:203], 1.0
	v_rcp_f64_e32 v[218:219], v[200:201]
	s_nop 0
	v_fma_f64 v[220:221], -v[200:201], v[218:219], 1.0
	v_fmac_f64_e32 v[218:219], v[218:219], v[220:221]
	v_fma_f64 v[220:221], -v[200:201], v[218:219], 1.0
	v_fmac_f64_e32 v[218:219], v[218:219], v[220:221]
	v_div_scale_f64 v[220:221], vcc, 1.0, v[202:203], 1.0
	v_mul_f64 v[222:223], v[220:221], v[218:219]
	v_fma_f64 v[200:201], -v[200:201], v[222:223], v[220:221]
	s_nop 1
	v_div_fmas_f64 v[200:201], v[200:201], v[218:219], v[222:223]
	v_div_fixup_f64 v[202:203], v[200:201], v[202:203], 1.0
	v_mul_f64 v[200:201], v[216:217], v[202:203]
	v_xor_b32_e32 v203, 0x80000000, v203
.LBB98_910:
	s_andn2_saveexec_b64 s[16:17], s[16:17]
	s_cbranch_execz .LBB98_912
; %bb.911:
	v_div_scale_f64 v[216:217], s[18:19], v[200:201], v[200:201], v[202:203]
	v_rcp_f64_e32 v[218:219], v[216:217]
	v_div_scale_f64 v[220:221], vcc, v[202:203], v[200:201], v[202:203]
	v_fma_f64 v[222:223], -v[216:217], v[218:219], 1.0
	v_fmac_f64_e32 v[218:219], v[218:219], v[222:223]
	v_fma_f64 v[222:223], -v[216:217], v[218:219], 1.0
	v_fmac_f64_e32 v[218:219], v[218:219], v[222:223]
	v_mul_f64 v[222:223], v[220:221], v[218:219]
	v_fma_f64 v[216:217], -v[216:217], v[222:223], v[220:221]
	v_div_fmas_f64 v[216:217], v[216:217], v[218:219], v[222:223]
	v_div_fixup_f64 v[216:217], v[216:217], v[200:201], v[202:203]
	v_fmac_f64_e32 v[200:201], v[202:203], v[216:217]
	v_div_scale_f64 v[202:203], s[18:19], v[200:201], v[200:201], 1.0
	v_rcp_f64_e32 v[218:219], v[202:203]
	s_nop 0
	v_fma_f64 v[220:221], -v[202:203], v[218:219], 1.0
	v_fmac_f64_e32 v[218:219], v[218:219], v[220:221]
	v_fma_f64 v[220:221], -v[202:203], v[218:219], 1.0
	v_fmac_f64_e32 v[218:219], v[218:219], v[220:221]
	v_div_scale_f64 v[220:221], vcc, 1.0, v[200:201], 1.0
	v_mul_f64 v[222:223], v[220:221], v[218:219]
	v_fma_f64 v[202:203], -v[202:203], v[222:223], v[220:221]
	s_nop 1
	v_div_fmas_f64 v[202:203], v[202:203], v[218:219], v[222:223]
	v_div_fixup_f64 v[200:201], v[202:203], v[200:201], 1.0
	v_mul_f64 v[202:203], v[216:217], -v[200:201]
.LBB98_912:
	s_or_b64 exec, exec, s[16:17]
.LBB98_913:
	s_or_b64 exec, exec, s[0:1]
	v_cmp_ne_u32_e32 vcc, v213, v210
	s_and_saveexec_b64 s[0:1], vcc
	s_xor_b64 s[0:1], exec, s[0:1]
	s_cbranch_execz .LBB98_919
; %bb.914:
	v_cmp_eq_u32_e32 vcc, 43, v213
	s_and_saveexec_b64 s[16:17], vcc
	s_cbranch_execz .LBB98_918
; %bb.915:
	v_cmp_ne_u32_e32 vcc, 43, v210
	s_xor_b64 s[18:19], s[14:15], -1
	s_and_b64 s[22:23], s[18:19], vcc
	s_and_saveexec_b64 s[18:19], s[22:23]
	s_cbranch_execz .LBB98_917
; %bb.916:
	v_ashrrev_i32_e32 v211, 31, v210
	v_lshl_add_u64 v[216:217], v[210:211], 2, v[208:209]
	global_load_dword v211, v[216:217], off
	global_load_dword v213, v[208:209], off offset:172
	s_waitcnt vmcnt(1)
	global_store_dword v[208:209], v211, off offset:172
	s_waitcnt vmcnt(1)
	global_store_dword v[216:217], v213, off
.LBB98_917:
	s_or_b64 exec, exec, s[18:19]
	v_mov_b32_e32 v213, v210
	v_mov_b32_e32 v215, v210
.LBB98_918:
	s_or_b64 exec, exec, s[16:17]
.LBB98_919:
	s_andn2_saveexec_b64 s[0:1], s[0:1]
	s_cbranch_execz .LBB98_921
; %bb.920:
	v_mov_b32_e32 v213, 43
	s_waitcnt vmcnt(5)
	ds_write2_b64 v212, v[16:17], v[18:19] offset0:88 offset1:89
	s_waitcnt vmcnt(4)
	ds_write2_b64 v212, v[12:13], v[14:15] offset0:90 offset1:91
	;; [unrolled: 2-line block ×6, first 2 shown]
.LBB98_921:
	s_or_b64 exec, exec, s[0:1]
	v_cmp_lt_i32_e32 vcc, 43, v213
	s_waitcnt lgkmcnt(0)
	s_barrier
	s_and_saveexec_b64 s[0:1], vcc
	s_cbranch_execz .LBB98_923
; %bb.922:
	ds_read2_b64 v[216:219], v212 offset0:88 offset1:89
	v_mul_f64 v[210:211], v[200:201], v[22:23]
	v_mul_f64 v[22:23], v[202:203], v[22:23]
	v_fmac_f64_e32 v[210:211], v[202:203], v[20:21]
	v_fma_f64 v[20:21], v[200:201], v[20:21], -v[22:23]
	ds_read2_b64 v[200:203], v212 offset0:90 offset1:91
	s_waitcnt lgkmcnt(1)
	v_mul_f64 v[22:23], v[218:219], v[210:211]
	v_fma_f64 v[22:23], v[216:217], v[20:21], -v[22:23]
	v_mul_f64 v[216:217], v[216:217], v[210:211]
	v_fmac_f64_e32 v[216:217], v[218:219], v[20:21]
	s_waitcnt vmcnt(5)
	v_add_f64 v[16:17], v[16:17], -v[22:23]
	s_waitcnt lgkmcnt(0)
	v_mul_f64 v[22:23], v[202:203], v[210:211]
	v_add_f64 v[18:19], v[18:19], -v[216:217]
	v_fma_f64 v[22:23], v[200:201], v[20:21], -v[22:23]
	v_mul_f64 v[200:201], v[200:201], v[210:211]
	ds_read2_b64 v[216:219], v212 offset0:92 offset1:93
	v_fmac_f64_e32 v[200:201], v[202:203], v[20:21]
	s_waitcnt vmcnt(4)
	v_add_f64 v[14:15], v[14:15], -v[200:201]
	ds_read2_b64 v[200:203], v212 offset0:94 offset1:95
	v_add_f64 v[12:13], v[12:13], -v[22:23]
	s_waitcnt lgkmcnt(1)
	v_mul_f64 v[22:23], v[218:219], v[210:211]
	v_fma_f64 v[22:23], v[216:217], v[20:21], -v[22:23]
	v_mul_f64 v[216:217], v[216:217], v[210:211]
	v_fmac_f64_e32 v[216:217], v[218:219], v[20:21]
	s_waitcnt vmcnt(3)
	v_add_f64 v[8:9], v[8:9], -v[22:23]
	s_waitcnt lgkmcnt(0)
	v_mul_f64 v[22:23], v[202:203], v[210:211]
	v_add_f64 v[10:11], v[10:11], -v[216:217]
	v_fma_f64 v[22:23], v[200:201], v[20:21], -v[22:23]
	v_mul_f64 v[200:201], v[200:201], v[210:211]
	ds_read2_b64 v[216:219], v212 offset0:96 offset1:97
	v_fmac_f64_e32 v[200:201], v[202:203], v[20:21]
	s_waitcnt vmcnt(2)
	v_add_f64 v[6:7], v[6:7], -v[200:201]
	ds_read2_b64 v[200:203], v212 offset0:98 offset1:99
	v_add_f64 v[4:5], v[4:5], -v[22:23]
	s_waitcnt lgkmcnt(1)
	v_mul_f64 v[22:23], v[218:219], v[210:211]
	v_fma_f64 v[22:23], v[216:217], v[20:21], -v[22:23]
	s_waitcnt vmcnt(1)
	v_add_f64 v[0:1], v[0:1], -v[22:23]
	s_waitcnt lgkmcnt(0)
	v_mul_f64 v[22:23], v[202:203], v[210:211]
	v_mul_f64 v[216:217], v[216:217], v[210:211]
	v_fma_f64 v[22:23], v[200:201], v[20:21], -v[22:23]
	v_mul_f64 v[200:201], v[200:201], v[210:211]
	v_fmac_f64_e32 v[216:217], v[218:219], v[20:21]
	v_fmac_f64_e32 v[200:201], v[202:203], v[20:21]
	v_add_f64 v[2:3], v[2:3], -v[216:217]
	s_waitcnt vmcnt(0)
	v_add_f64 v[196:197], v[196:197], -v[22:23]
	v_add_f64 v[198:199], v[198:199], -v[200:201]
	v_mov_b64_e32 v[22:23], v[210:211]
.LBB98_923:
	s_or_b64 exec, exec, s[0:1]
	v_lshl_add_u32 v200, v213, 4, v212
	s_barrier
	s_waitcnt vmcnt(5)
	ds_write2_b64 v200, v[16:17], v[18:19] offset1:1
	s_waitcnt lgkmcnt(0)
	s_barrier
	ds_read2_b64 v[200:203], v212 offset0:88 offset1:89
	s_cmp_lt_i32 s20, 46
	v_mov_b32_e32 v210, 44
	s_cbranch_scc1 .LBB98_926
; %bb.924:
	v_add_u32_e32 v211, 0x2d0, v212
	s_mov_b32 s16, 45
	v_mov_b32_e32 v210, 44
.LBB98_925:                             ; =>This Inner Loop Header: Depth=1
	ds_read2_b64 v[216:219], v211 offset1:1
	s_waitcnt lgkmcnt(1)
	v_xor_b32_e32 v221, 0x80000000, v201
	v_xor_b32_e32 v223, 0x80000000, v203
	v_cmp_gt_f64_e32 vcc, 0, v[202:203]
	v_cmp_gt_f64_e64 s[0:1], 0, v[200:201]
	v_mov_b32_e32 v220, v200
	v_mov_b32_e32 v222, v202
	v_cndmask_b32_e64 v221, v201, v221, s[0:1]
	v_cndmask_b32_e32 v223, v203, v223, vcc
	v_add_f64 v[220:221], v[220:221], v[222:223]
	s_waitcnt lgkmcnt(0)
	v_xor_b32_e32 v223, 0x80000000, v217
	v_xor_b32_e32 v225, 0x80000000, v219
	v_cmp_gt_f64_e32 vcc, 0, v[218:219]
	v_cmp_gt_f64_e64 s[0:1], 0, v[216:217]
	v_mov_b32_e32 v222, v216
	v_mov_b32_e32 v224, v218
	v_cndmask_b32_e64 v223, v217, v223, s[0:1]
	v_cndmask_b32_e32 v225, v219, v225, vcc
	v_add_f64 v[222:223], v[222:223], v[224:225]
	v_mov_b32_e32 v226, s16
	s_add_i32 s16, s16, 1
	v_cmp_lt_f64_e32 vcc, v[220:221], v[222:223]
	v_add_u32_e32 v211, 16, v211
	s_cmp_lg_u32 s20, s16
	v_cndmask_b32_e32 v201, v201, v217, vcc
	v_cndmask_b32_e32 v200, v200, v216, vcc
	;; [unrolled: 1-line block ×5, first 2 shown]
	s_cbranch_scc1 .LBB98_925
.LBB98_926:
	s_waitcnt lgkmcnt(0)
	v_cmp_eq_f64_e32 vcc, 0, v[200:201]
	v_cmp_eq_f64_e64 s[0:1], 0, v[202:203]
	s_and_b64 s[0:1], vcc, s[0:1]
	s_and_saveexec_b64 s[16:17], s[0:1]
	s_xor_b64 s[0:1], exec, s[16:17]
; %bb.927:
	v_cmp_ne_u32_e32 vcc, 0, v214
	s_nop 1
	v_cndmask_b32_e32 v214, 45, v214, vcc
; %bb.928:
	s_andn2_saveexec_b64 s[0:1], s[0:1]
	s_cbranch_execz .LBB98_934
; %bb.929:
	v_cmp_ngt_f64_e64 s[16:17], |v[200:201]|, |v[202:203]|
	s_and_saveexec_b64 s[18:19], s[16:17]
	s_xor_b64 s[16:17], exec, s[18:19]
	s_cbranch_execz .LBB98_931
; %bb.930:
	v_div_scale_f64 v[216:217], s[18:19], v[202:203], v[202:203], v[200:201]
	v_rcp_f64_e32 v[218:219], v[216:217]
	v_div_scale_f64 v[220:221], vcc, v[200:201], v[202:203], v[200:201]
	v_fma_f64 v[222:223], -v[216:217], v[218:219], 1.0
	v_fmac_f64_e32 v[218:219], v[218:219], v[222:223]
	v_fma_f64 v[222:223], -v[216:217], v[218:219], 1.0
	v_fmac_f64_e32 v[218:219], v[218:219], v[222:223]
	v_mul_f64 v[222:223], v[220:221], v[218:219]
	v_fma_f64 v[216:217], -v[216:217], v[222:223], v[220:221]
	v_div_fmas_f64 v[216:217], v[216:217], v[218:219], v[222:223]
	v_div_fixup_f64 v[216:217], v[216:217], v[202:203], v[200:201]
	v_fmac_f64_e32 v[202:203], v[200:201], v[216:217]
	v_div_scale_f64 v[200:201], s[18:19], v[202:203], v[202:203], 1.0
	v_rcp_f64_e32 v[218:219], v[200:201]
	s_nop 0
	v_fma_f64 v[220:221], -v[200:201], v[218:219], 1.0
	v_fmac_f64_e32 v[218:219], v[218:219], v[220:221]
	v_fma_f64 v[220:221], -v[200:201], v[218:219], 1.0
	v_fmac_f64_e32 v[218:219], v[218:219], v[220:221]
	v_div_scale_f64 v[220:221], vcc, 1.0, v[202:203], 1.0
	v_mul_f64 v[222:223], v[220:221], v[218:219]
	v_fma_f64 v[200:201], -v[200:201], v[222:223], v[220:221]
	s_nop 1
	v_div_fmas_f64 v[200:201], v[200:201], v[218:219], v[222:223]
	v_div_fixup_f64 v[202:203], v[200:201], v[202:203], 1.0
	v_mul_f64 v[200:201], v[216:217], v[202:203]
	v_xor_b32_e32 v203, 0x80000000, v203
.LBB98_931:
	s_andn2_saveexec_b64 s[16:17], s[16:17]
	s_cbranch_execz .LBB98_933
; %bb.932:
	v_div_scale_f64 v[216:217], s[18:19], v[200:201], v[200:201], v[202:203]
	v_rcp_f64_e32 v[218:219], v[216:217]
	v_div_scale_f64 v[220:221], vcc, v[202:203], v[200:201], v[202:203]
	v_fma_f64 v[222:223], -v[216:217], v[218:219], 1.0
	v_fmac_f64_e32 v[218:219], v[218:219], v[222:223]
	v_fma_f64 v[222:223], -v[216:217], v[218:219], 1.0
	v_fmac_f64_e32 v[218:219], v[218:219], v[222:223]
	v_mul_f64 v[222:223], v[220:221], v[218:219]
	v_fma_f64 v[216:217], -v[216:217], v[222:223], v[220:221]
	v_div_fmas_f64 v[216:217], v[216:217], v[218:219], v[222:223]
	v_div_fixup_f64 v[216:217], v[216:217], v[200:201], v[202:203]
	v_fmac_f64_e32 v[200:201], v[202:203], v[216:217]
	v_div_scale_f64 v[202:203], s[18:19], v[200:201], v[200:201], 1.0
	v_rcp_f64_e32 v[218:219], v[202:203]
	s_nop 0
	v_fma_f64 v[220:221], -v[202:203], v[218:219], 1.0
	v_fmac_f64_e32 v[218:219], v[218:219], v[220:221]
	v_fma_f64 v[220:221], -v[202:203], v[218:219], 1.0
	v_fmac_f64_e32 v[218:219], v[218:219], v[220:221]
	v_div_scale_f64 v[220:221], vcc, 1.0, v[200:201], 1.0
	v_mul_f64 v[222:223], v[220:221], v[218:219]
	v_fma_f64 v[202:203], -v[202:203], v[222:223], v[220:221]
	s_nop 1
	v_div_fmas_f64 v[202:203], v[202:203], v[218:219], v[222:223]
	v_div_fixup_f64 v[200:201], v[202:203], v[200:201], 1.0
	v_mul_f64 v[202:203], v[216:217], -v[200:201]
.LBB98_933:
	s_or_b64 exec, exec, s[16:17]
.LBB98_934:
	s_or_b64 exec, exec, s[0:1]
	v_cmp_ne_u32_e32 vcc, v213, v210
	s_and_saveexec_b64 s[0:1], vcc
	s_xor_b64 s[0:1], exec, s[0:1]
	s_cbranch_execz .LBB98_940
; %bb.935:
	v_cmp_eq_u32_e32 vcc, 44, v213
	s_and_saveexec_b64 s[16:17], vcc
	s_cbranch_execz .LBB98_939
; %bb.936:
	v_cmp_ne_u32_e32 vcc, 44, v210
	s_xor_b64 s[18:19], s[14:15], -1
	s_and_b64 s[22:23], s[18:19], vcc
	s_and_saveexec_b64 s[18:19], s[22:23]
	s_cbranch_execz .LBB98_938
; %bb.937:
	v_ashrrev_i32_e32 v211, 31, v210
	v_lshl_add_u64 v[216:217], v[210:211], 2, v[208:209]
	global_load_dword v211, v[216:217], off
	global_load_dword v213, v[208:209], off offset:176
	s_waitcnt vmcnt(1)
	global_store_dword v[208:209], v211, off offset:176
	s_waitcnt vmcnt(1)
	global_store_dword v[216:217], v213, off
.LBB98_938:
	s_or_b64 exec, exec, s[18:19]
	v_mov_b32_e32 v213, v210
	v_mov_b32_e32 v215, v210
.LBB98_939:
	s_or_b64 exec, exec, s[16:17]
.LBB98_940:
	s_andn2_saveexec_b64 s[0:1], s[0:1]
	s_cbranch_execz .LBB98_942
; %bb.941:
	v_mov_b32_e32 v213, 44
	s_waitcnt vmcnt(4)
	ds_write2_b64 v212, v[12:13], v[14:15] offset0:90 offset1:91
	s_waitcnt vmcnt(3)
	ds_write2_b64 v212, v[8:9], v[10:11] offset0:92 offset1:93
	;; [unrolled: 2-line block ×5, first 2 shown]
.LBB98_942:
	s_or_b64 exec, exec, s[0:1]
	v_cmp_lt_i32_e32 vcc, 44, v213
	s_waitcnt lgkmcnt(0)
	s_barrier
	s_and_saveexec_b64 s[0:1], vcc
	s_cbranch_execz .LBB98_944
; %bb.943:
	ds_read2_b64 v[216:219], v212 offset0:90 offset1:91
	v_mul_f64 v[210:211], v[200:201], v[18:19]
	v_fmac_f64_e32 v[210:211], v[202:203], v[16:17]
	v_mul_f64 v[18:19], v[202:203], v[18:19]
	v_fma_f64 v[16:17], v[200:201], v[16:17], -v[18:19]
	ds_read2_b64 v[200:203], v212 offset0:92 offset1:93
	s_waitcnt lgkmcnt(1)
	v_mul_f64 v[18:19], v[218:219], v[210:211]
	v_fma_f64 v[18:19], v[216:217], v[16:17], -v[18:19]
	v_mul_f64 v[216:217], v[216:217], v[210:211]
	v_fmac_f64_e32 v[216:217], v[218:219], v[16:17]
	s_waitcnt vmcnt(4)
	v_add_f64 v[14:15], v[14:15], -v[216:217]
	ds_read2_b64 v[216:219], v212 offset0:94 offset1:95
	v_add_f64 v[12:13], v[12:13], -v[18:19]
	s_waitcnt lgkmcnt(1)
	v_mul_f64 v[18:19], v[202:203], v[210:211]
	v_fma_f64 v[18:19], v[200:201], v[16:17], -v[18:19]
	v_mul_f64 v[200:201], v[200:201], v[210:211]
	v_fmac_f64_e32 v[200:201], v[202:203], v[16:17]
	s_waitcnt vmcnt(3)
	v_add_f64 v[8:9], v[8:9], -v[18:19]
	v_add_f64 v[10:11], v[10:11], -v[200:201]
	ds_read2_b64 v[200:203], v212 offset0:96 offset1:97
	s_waitcnt lgkmcnt(1)
	v_mul_f64 v[18:19], v[218:219], v[210:211]
	v_fma_f64 v[18:19], v[216:217], v[16:17], -v[18:19]
	v_mul_f64 v[216:217], v[216:217], v[210:211]
	v_fmac_f64_e32 v[216:217], v[218:219], v[16:17]
	s_waitcnt vmcnt(2)
	v_add_f64 v[6:7], v[6:7], -v[216:217]
	ds_read2_b64 v[216:219], v212 offset0:98 offset1:99
	v_add_f64 v[4:5], v[4:5], -v[18:19]
	s_waitcnt lgkmcnt(1)
	v_mul_f64 v[18:19], v[202:203], v[210:211]
	v_fma_f64 v[18:19], v[200:201], v[16:17], -v[18:19]
	v_mul_f64 v[200:201], v[200:201], v[210:211]
	v_fmac_f64_e32 v[200:201], v[202:203], v[16:17]
	s_waitcnt vmcnt(1)
	v_add_f64 v[0:1], v[0:1], -v[18:19]
	v_add_f64 v[2:3], v[2:3], -v[200:201]
	s_waitcnt lgkmcnt(0)
	v_mul_f64 v[18:19], v[218:219], v[210:211]
	v_mul_f64 v[200:201], v[216:217], v[210:211]
	v_fma_f64 v[18:19], v[216:217], v[16:17], -v[18:19]
	v_fmac_f64_e32 v[200:201], v[218:219], v[16:17]
	s_waitcnt vmcnt(0)
	v_add_f64 v[196:197], v[196:197], -v[18:19]
	v_add_f64 v[198:199], v[198:199], -v[200:201]
	v_mov_b64_e32 v[18:19], v[210:211]
.LBB98_944:
	s_or_b64 exec, exec, s[0:1]
	v_lshl_add_u32 v200, v213, 4, v212
	s_barrier
	s_waitcnt vmcnt(4)
	ds_write2_b64 v200, v[12:13], v[14:15] offset1:1
	s_waitcnt lgkmcnt(0)
	s_barrier
	ds_read2_b64 v[200:203], v212 offset0:90 offset1:91
	s_cmp_lt_i32 s20, 47
	v_mov_b32_e32 v210, 45
	s_cbranch_scc1 .LBB98_947
; %bb.945:
	v_add_u32_e32 v211, 0x2e0, v212
	s_mov_b32 s16, 46
	v_mov_b32_e32 v210, 45
.LBB98_946:                             ; =>This Inner Loop Header: Depth=1
	ds_read2_b64 v[216:219], v211 offset1:1
	s_waitcnt lgkmcnt(1)
	v_xor_b32_e32 v221, 0x80000000, v201
	v_xor_b32_e32 v223, 0x80000000, v203
	v_cmp_gt_f64_e32 vcc, 0, v[202:203]
	v_cmp_gt_f64_e64 s[0:1], 0, v[200:201]
	v_mov_b32_e32 v220, v200
	v_mov_b32_e32 v222, v202
	v_cndmask_b32_e64 v221, v201, v221, s[0:1]
	v_cndmask_b32_e32 v223, v203, v223, vcc
	v_add_f64 v[220:221], v[220:221], v[222:223]
	s_waitcnt lgkmcnt(0)
	v_xor_b32_e32 v223, 0x80000000, v217
	v_xor_b32_e32 v225, 0x80000000, v219
	v_cmp_gt_f64_e32 vcc, 0, v[218:219]
	v_cmp_gt_f64_e64 s[0:1], 0, v[216:217]
	v_mov_b32_e32 v222, v216
	v_mov_b32_e32 v224, v218
	v_cndmask_b32_e64 v223, v217, v223, s[0:1]
	v_cndmask_b32_e32 v225, v219, v225, vcc
	v_add_f64 v[222:223], v[222:223], v[224:225]
	v_mov_b32_e32 v226, s16
	s_add_i32 s16, s16, 1
	v_cmp_lt_f64_e32 vcc, v[220:221], v[222:223]
	v_add_u32_e32 v211, 16, v211
	s_cmp_lg_u32 s20, s16
	v_cndmask_b32_e32 v201, v201, v217, vcc
	v_cndmask_b32_e32 v200, v200, v216, vcc
	;; [unrolled: 1-line block ×5, first 2 shown]
	s_cbranch_scc1 .LBB98_946
.LBB98_947:
	s_waitcnt lgkmcnt(0)
	v_cmp_eq_f64_e32 vcc, 0, v[200:201]
	v_cmp_eq_f64_e64 s[0:1], 0, v[202:203]
	s_and_b64 s[0:1], vcc, s[0:1]
	s_and_saveexec_b64 s[16:17], s[0:1]
	s_xor_b64 s[0:1], exec, s[16:17]
; %bb.948:
	v_cmp_ne_u32_e32 vcc, 0, v214
	s_nop 1
	v_cndmask_b32_e32 v214, 46, v214, vcc
; %bb.949:
	s_andn2_saveexec_b64 s[0:1], s[0:1]
	s_cbranch_execz .LBB98_955
; %bb.950:
	v_cmp_ngt_f64_e64 s[16:17], |v[200:201]|, |v[202:203]|
	s_and_saveexec_b64 s[18:19], s[16:17]
	s_xor_b64 s[16:17], exec, s[18:19]
	s_cbranch_execz .LBB98_952
; %bb.951:
	v_div_scale_f64 v[216:217], s[18:19], v[202:203], v[202:203], v[200:201]
	v_rcp_f64_e32 v[218:219], v[216:217]
	v_div_scale_f64 v[220:221], vcc, v[200:201], v[202:203], v[200:201]
	v_fma_f64 v[222:223], -v[216:217], v[218:219], 1.0
	v_fmac_f64_e32 v[218:219], v[218:219], v[222:223]
	v_fma_f64 v[222:223], -v[216:217], v[218:219], 1.0
	v_fmac_f64_e32 v[218:219], v[218:219], v[222:223]
	v_mul_f64 v[222:223], v[220:221], v[218:219]
	v_fma_f64 v[216:217], -v[216:217], v[222:223], v[220:221]
	v_div_fmas_f64 v[216:217], v[216:217], v[218:219], v[222:223]
	v_div_fixup_f64 v[216:217], v[216:217], v[202:203], v[200:201]
	v_fmac_f64_e32 v[202:203], v[200:201], v[216:217]
	v_div_scale_f64 v[200:201], s[18:19], v[202:203], v[202:203], 1.0
	v_rcp_f64_e32 v[218:219], v[200:201]
	s_nop 0
	v_fma_f64 v[220:221], -v[200:201], v[218:219], 1.0
	v_fmac_f64_e32 v[218:219], v[218:219], v[220:221]
	v_fma_f64 v[220:221], -v[200:201], v[218:219], 1.0
	v_fmac_f64_e32 v[218:219], v[218:219], v[220:221]
	v_div_scale_f64 v[220:221], vcc, 1.0, v[202:203], 1.0
	v_mul_f64 v[222:223], v[220:221], v[218:219]
	v_fma_f64 v[200:201], -v[200:201], v[222:223], v[220:221]
	s_nop 1
	v_div_fmas_f64 v[200:201], v[200:201], v[218:219], v[222:223]
	v_div_fixup_f64 v[202:203], v[200:201], v[202:203], 1.0
	v_mul_f64 v[200:201], v[216:217], v[202:203]
	v_xor_b32_e32 v203, 0x80000000, v203
.LBB98_952:
	s_andn2_saveexec_b64 s[16:17], s[16:17]
	s_cbranch_execz .LBB98_954
; %bb.953:
	v_div_scale_f64 v[216:217], s[18:19], v[200:201], v[200:201], v[202:203]
	v_rcp_f64_e32 v[218:219], v[216:217]
	v_div_scale_f64 v[220:221], vcc, v[202:203], v[200:201], v[202:203]
	v_fma_f64 v[222:223], -v[216:217], v[218:219], 1.0
	v_fmac_f64_e32 v[218:219], v[218:219], v[222:223]
	v_fma_f64 v[222:223], -v[216:217], v[218:219], 1.0
	v_fmac_f64_e32 v[218:219], v[218:219], v[222:223]
	v_mul_f64 v[222:223], v[220:221], v[218:219]
	v_fma_f64 v[216:217], -v[216:217], v[222:223], v[220:221]
	v_div_fmas_f64 v[216:217], v[216:217], v[218:219], v[222:223]
	v_div_fixup_f64 v[216:217], v[216:217], v[200:201], v[202:203]
	v_fmac_f64_e32 v[200:201], v[202:203], v[216:217]
	v_div_scale_f64 v[202:203], s[18:19], v[200:201], v[200:201], 1.0
	v_rcp_f64_e32 v[218:219], v[202:203]
	s_nop 0
	v_fma_f64 v[220:221], -v[202:203], v[218:219], 1.0
	v_fmac_f64_e32 v[218:219], v[218:219], v[220:221]
	v_fma_f64 v[220:221], -v[202:203], v[218:219], 1.0
	v_fmac_f64_e32 v[218:219], v[218:219], v[220:221]
	v_div_scale_f64 v[220:221], vcc, 1.0, v[200:201], 1.0
	v_mul_f64 v[222:223], v[220:221], v[218:219]
	v_fma_f64 v[202:203], -v[202:203], v[222:223], v[220:221]
	s_nop 1
	v_div_fmas_f64 v[202:203], v[202:203], v[218:219], v[222:223]
	v_div_fixup_f64 v[200:201], v[202:203], v[200:201], 1.0
	v_mul_f64 v[202:203], v[216:217], -v[200:201]
.LBB98_954:
	s_or_b64 exec, exec, s[16:17]
.LBB98_955:
	s_or_b64 exec, exec, s[0:1]
	v_cmp_ne_u32_e32 vcc, v213, v210
	s_and_saveexec_b64 s[0:1], vcc
	s_xor_b64 s[0:1], exec, s[0:1]
	s_cbranch_execz .LBB98_961
; %bb.956:
	v_cmp_eq_u32_e32 vcc, 45, v213
	s_and_saveexec_b64 s[16:17], vcc
	s_cbranch_execz .LBB98_960
; %bb.957:
	v_cmp_ne_u32_e32 vcc, 45, v210
	s_xor_b64 s[18:19], s[14:15], -1
	s_and_b64 s[22:23], s[18:19], vcc
	s_and_saveexec_b64 s[18:19], s[22:23]
	s_cbranch_execz .LBB98_959
; %bb.958:
	v_ashrrev_i32_e32 v211, 31, v210
	v_lshl_add_u64 v[216:217], v[210:211], 2, v[208:209]
	global_load_dword v211, v[216:217], off
	global_load_dword v213, v[208:209], off offset:180
	s_waitcnt vmcnt(1)
	global_store_dword v[208:209], v211, off offset:180
	s_waitcnt vmcnt(1)
	global_store_dword v[216:217], v213, off
.LBB98_959:
	s_or_b64 exec, exec, s[18:19]
	v_mov_b32_e32 v213, v210
	v_mov_b32_e32 v215, v210
.LBB98_960:
	s_or_b64 exec, exec, s[16:17]
.LBB98_961:
	s_andn2_saveexec_b64 s[0:1], s[0:1]
	s_cbranch_execz .LBB98_963
; %bb.962:
	v_mov_b32_e32 v213, 45
	s_waitcnt vmcnt(3)
	ds_write2_b64 v212, v[8:9], v[10:11] offset0:92 offset1:93
	s_waitcnt vmcnt(2)
	ds_write2_b64 v212, v[4:5], v[6:7] offset0:94 offset1:95
	;; [unrolled: 2-line block ×4, first 2 shown]
.LBB98_963:
	s_or_b64 exec, exec, s[0:1]
	v_cmp_lt_i32_e32 vcc, 45, v213
	s_waitcnt lgkmcnt(0)
	s_barrier
	s_and_saveexec_b64 s[0:1], vcc
	s_cbranch_execz .LBB98_965
; %bb.964:
	ds_read2_b64 v[216:219], v212 offset0:92 offset1:93
	v_mul_f64 v[210:211], v[200:201], v[14:15]
	v_mul_f64 v[14:15], v[202:203], v[14:15]
	v_fmac_f64_e32 v[210:211], v[202:203], v[12:13]
	v_fma_f64 v[12:13], v[200:201], v[12:13], -v[14:15]
	ds_read2_b64 v[200:203], v212 offset0:94 offset1:95
	s_waitcnt lgkmcnt(1)
	v_mul_f64 v[14:15], v[218:219], v[210:211]
	v_fma_f64 v[14:15], v[216:217], v[12:13], -v[14:15]
	v_mul_f64 v[216:217], v[216:217], v[210:211]
	v_fmac_f64_e32 v[216:217], v[218:219], v[12:13]
	s_waitcnt vmcnt(3)
	v_add_f64 v[8:9], v[8:9], -v[14:15]
	s_waitcnt lgkmcnt(0)
	v_mul_f64 v[14:15], v[202:203], v[210:211]
	v_add_f64 v[10:11], v[10:11], -v[216:217]
	v_fma_f64 v[14:15], v[200:201], v[12:13], -v[14:15]
	v_mul_f64 v[200:201], v[200:201], v[210:211]
	ds_read2_b64 v[216:219], v212 offset0:96 offset1:97
	v_fmac_f64_e32 v[200:201], v[202:203], v[12:13]
	s_waitcnt vmcnt(2)
	v_add_f64 v[6:7], v[6:7], -v[200:201]
	ds_read2_b64 v[200:203], v212 offset0:98 offset1:99
	v_add_f64 v[4:5], v[4:5], -v[14:15]
	s_waitcnt lgkmcnt(1)
	v_mul_f64 v[14:15], v[218:219], v[210:211]
	v_fma_f64 v[14:15], v[216:217], v[12:13], -v[14:15]
	s_waitcnt vmcnt(1)
	v_add_f64 v[0:1], v[0:1], -v[14:15]
	s_waitcnt lgkmcnt(0)
	v_mul_f64 v[14:15], v[202:203], v[210:211]
	v_mul_f64 v[216:217], v[216:217], v[210:211]
	v_fma_f64 v[14:15], v[200:201], v[12:13], -v[14:15]
	v_mul_f64 v[200:201], v[200:201], v[210:211]
	v_fmac_f64_e32 v[216:217], v[218:219], v[12:13]
	v_fmac_f64_e32 v[200:201], v[202:203], v[12:13]
	v_add_f64 v[2:3], v[2:3], -v[216:217]
	s_waitcnt vmcnt(0)
	v_add_f64 v[196:197], v[196:197], -v[14:15]
	v_add_f64 v[198:199], v[198:199], -v[200:201]
	v_mov_b64_e32 v[14:15], v[210:211]
.LBB98_965:
	s_or_b64 exec, exec, s[0:1]
	v_lshl_add_u32 v200, v213, 4, v212
	s_barrier
	s_waitcnt vmcnt(3)
	ds_write2_b64 v200, v[8:9], v[10:11] offset1:1
	s_waitcnt lgkmcnt(0)
	s_barrier
	ds_read2_b64 v[200:203], v212 offset0:92 offset1:93
	s_cmp_lt_i32 s20, 48
	v_mov_b32_e32 v210, 46
	s_cbranch_scc1 .LBB98_968
; %bb.966:
	v_add_u32_e32 v211, 0x2f0, v212
	s_mov_b32 s16, 47
	v_mov_b32_e32 v210, 46
.LBB98_967:                             ; =>This Inner Loop Header: Depth=1
	ds_read2_b64 v[216:219], v211 offset1:1
	s_waitcnt lgkmcnt(1)
	v_xor_b32_e32 v221, 0x80000000, v201
	v_xor_b32_e32 v223, 0x80000000, v203
	v_cmp_gt_f64_e32 vcc, 0, v[202:203]
	v_cmp_gt_f64_e64 s[0:1], 0, v[200:201]
	v_mov_b32_e32 v220, v200
	v_mov_b32_e32 v222, v202
	v_cndmask_b32_e64 v221, v201, v221, s[0:1]
	v_cndmask_b32_e32 v223, v203, v223, vcc
	v_add_f64 v[220:221], v[220:221], v[222:223]
	s_waitcnt lgkmcnt(0)
	v_xor_b32_e32 v223, 0x80000000, v217
	v_xor_b32_e32 v225, 0x80000000, v219
	v_cmp_gt_f64_e32 vcc, 0, v[218:219]
	v_cmp_gt_f64_e64 s[0:1], 0, v[216:217]
	v_mov_b32_e32 v222, v216
	v_mov_b32_e32 v224, v218
	v_cndmask_b32_e64 v223, v217, v223, s[0:1]
	v_cndmask_b32_e32 v225, v219, v225, vcc
	v_add_f64 v[222:223], v[222:223], v[224:225]
	v_mov_b32_e32 v226, s16
	s_add_i32 s16, s16, 1
	v_cmp_lt_f64_e32 vcc, v[220:221], v[222:223]
	v_add_u32_e32 v211, 16, v211
	s_cmp_lg_u32 s20, s16
	v_cndmask_b32_e32 v201, v201, v217, vcc
	v_cndmask_b32_e32 v200, v200, v216, vcc
	;; [unrolled: 1-line block ×5, first 2 shown]
	s_cbranch_scc1 .LBB98_967
.LBB98_968:
	s_waitcnt lgkmcnt(0)
	v_cmp_eq_f64_e32 vcc, 0, v[200:201]
	v_cmp_eq_f64_e64 s[0:1], 0, v[202:203]
	s_and_b64 s[0:1], vcc, s[0:1]
	s_and_saveexec_b64 s[16:17], s[0:1]
	s_xor_b64 s[0:1], exec, s[16:17]
; %bb.969:
	v_cmp_ne_u32_e32 vcc, 0, v214
	s_nop 1
	v_cndmask_b32_e32 v214, 47, v214, vcc
; %bb.970:
	s_andn2_saveexec_b64 s[0:1], s[0:1]
	s_cbranch_execz .LBB98_976
; %bb.971:
	v_cmp_ngt_f64_e64 s[16:17], |v[200:201]|, |v[202:203]|
	s_and_saveexec_b64 s[18:19], s[16:17]
	s_xor_b64 s[16:17], exec, s[18:19]
	s_cbranch_execz .LBB98_973
; %bb.972:
	v_div_scale_f64 v[216:217], s[18:19], v[202:203], v[202:203], v[200:201]
	v_rcp_f64_e32 v[218:219], v[216:217]
	v_div_scale_f64 v[220:221], vcc, v[200:201], v[202:203], v[200:201]
	v_fma_f64 v[222:223], -v[216:217], v[218:219], 1.0
	v_fmac_f64_e32 v[218:219], v[218:219], v[222:223]
	v_fma_f64 v[222:223], -v[216:217], v[218:219], 1.0
	v_fmac_f64_e32 v[218:219], v[218:219], v[222:223]
	v_mul_f64 v[222:223], v[220:221], v[218:219]
	v_fma_f64 v[216:217], -v[216:217], v[222:223], v[220:221]
	v_div_fmas_f64 v[216:217], v[216:217], v[218:219], v[222:223]
	v_div_fixup_f64 v[216:217], v[216:217], v[202:203], v[200:201]
	v_fmac_f64_e32 v[202:203], v[200:201], v[216:217]
	v_div_scale_f64 v[200:201], s[18:19], v[202:203], v[202:203], 1.0
	v_rcp_f64_e32 v[218:219], v[200:201]
	s_nop 0
	v_fma_f64 v[220:221], -v[200:201], v[218:219], 1.0
	v_fmac_f64_e32 v[218:219], v[218:219], v[220:221]
	v_fma_f64 v[220:221], -v[200:201], v[218:219], 1.0
	v_fmac_f64_e32 v[218:219], v[218:219], v[220:221]
	v_div_scale_f64 v[220:221], vcc, 1.0, v[202:203], 1.0
	v_mul_f64 v[222:223], v[220:221], v[218:219]
	v_fma_f64 v[200:201], -v[200:201], v[222:223], v[220:221]
	s_nop 1
	v_div_fmas_f64 v[200:201], v[200:201], v[218:219], v[222:223]
	v_div_fixup_f64 v[202:203], v[200:201], v[202:203], 1.0
	v_mul_f64 v[200:201], v[216:217], v[202:203]
	v_xor_b32_e32 v203, 0x80000000, v203
.LBB98_973:
	s_andn2_saveexec_b64 s[16:17], s[16:17]
	s_cbranch_execz .LBB98_975
; %bb.974:
	v_div_scale_f64 v[216:217], s[18:19], v[200:201], v[200:201], v[202:203]
	v_rcp_f64_e32 v[218:219], v[216:217]
	v_div_scale_f64 v[220:221], vcc, v[202:203], v[200:201], v[202:203]
	v_fma_f64 v[222:223], -v[216:217], v[218:219], 1.0
	v_fmac_f64_e32 v[218:219], v[218:219], v[222:223]
	v_fma_f64 v[222:223], -v[216:217], v[218:219], 1.0
	v_fmac_f64_e32 v[218:219], v[218:219], v[222:223]
	v_mul_f64 v[222:223], v[220:221], v[218:219]
	v_fma_f64 v[216:217], -v[216:217], v[222:223], v[220:221]
	v_div_fmas_f64 v[216:217], v[216:217], v[218:219], v[222:223]
	v_div_fixup_f64 v[216:217], v[216:217], v[200:201], v[202:203]
	v_fmac_f64_e32 v[200:201], v[202:203], v[216:217]
	v_div_scale_f64 v[202:203], s[18:19], v[200:201], v[200:201], 1.0
	v_rcp_f64_e32 v[218:219], v[202:203]
	s_nop 0
	v_fma_f64 v[220:221], -v[202:203], v[218:219], 1.0
	v_fmac_f64_e32 v[218:219], v[218:219], v[220:221]
	v_fma_f64 v[220:221], -v[202:203], v[218:219], 1.0
	v_fmac_f64_e32 v[218:219], v[218:219], v[220:221]
	v_div_scale_f64 v[220:221], vcc, 1.0, v[200:201], 1.0
	v_mul_f64 v[222:223], v[220:221], v[218:219]
	v_fma_f64 v[202:203], -v[202:203], v[222:223], v[220:221]
	s_nop 1
	v_div_fmas_f64 v[202:203], v[202:203], v[218:219], v[222:223]
	v_div_fixup_f64 v[200:201], v[202:203], v[200:201], 1.0
	v_mul_f64 v[202:203], v[216:217], -v[200:201]
.LBB98_975:
	s_or_b64 exec, exec, s[16:17]
.LBB98_976:
	s_or_b64 exec, exec, s[0:1]
	v_cmp_ne_u32_e32 vcc, v213, v210
	s_and_saveexec_b64 s[0:1], vcc
	s_xor_b64 s[0:1], exec, s[0:1]
	s_cbranch_execz .LBB98_982
; %bb.977:
	v_cmp_eq_u32_e32 vcc, 46, v213
	s_and_saveexec_b64 s[16:17], vcc
	s_cbranch_execz .LBB98_981
; %bb.978:
	v_cmp_ne_u32_e32 vcc, 46, v210
	s_xor_b64 s[18:19], s[14:15], -1
	s_and_b64 s[22:23], s[18:19], vcc
	s_and_saveexec_b64 s[18:19], s[22:23]
	s_cbranch_execz .LBB98_980
; %bb.979:
	v_ashrrev_i32_e32 v211, 31, v210
	v_lshl_add_u64 v[216:217], v[210:211], 2, v[208:209]
	global_load_dword v211, v[216:217], off
	global_load_dword v213, v[208:209], off offset:184
	s_waitcnt vmcnt(1)
	global_store_dword v[208:209], v211, off offset:184
	s_waitcnt vmcnt(1)
	global_store_dword v[216:217], v213, off
.LBB98_980:
	s_or_b64 exec, exec, s[18:19]
	v_mov_b32_e32 v213, v210
	v_mov_b32_e32 v215, v210
.LBB98_981:
	s_or_b64 exec, exec, s[16:17]
.LBB98_982:
	s_andn2_saveexec_b64 s[0:1], s[0:1]
	s_cbranch_execz .LBB98_984
; %bb.983:
	v_mov_b32_e32 v213, 46
	s_waitcnt vmcnt(2)
	ds_write2_b64 v212, v[4:5], v[6:7] offset0:94 offset1:95
	s_waitcnt vmcnt(1)
	ds_write2_b64 v212, v[0:1], v[2:3] offset0:96 offset1:97
	;; [unrolled: 2-line block ×3, first 2 shown]
.LBB98_984:
	s_or_b64 exec, exec, s[0:1]
	v_cmp_lt_i32_e32 vcc, 46, v213
	s_waitcnt lgkmcnt(0)
	s_barrier
	s_and_saveexec_b64 s[0:1], vcc
	s_cbranch_execz .LBB98_986
; %bb.985:
	ds_read2_b64 v[216:219], v212 offset0:94 offset1:95
	v_mul_f64 v[210:211], v[200:201], v[10:11]
	v_fmac_f64_e32 v[210:211], v[202:203], v[8:9]
	v_mul_f64 v[10:11], v[202:203], v[10:11]
	v_fma_f64 v[8:9], v[200:201], v[8:9], -v[10:11]
	ds_read2_b64 v[200:203], v212 offset0:96 offset1:97
	s_waitcnt lgkmcnt(1)
	v_mul_f64 v[10:11], v[218:219], v[210:211]
	v_fma_f64 v[10:11], v[216:217], v[8:9], -v[10:11]
	v_mul_f64 v[216:217], v[216:217], v[210:211]
	v_fmac_f64_e32 v[216:217], v[218:219], v[8:9]
	s_waitcnt vmcnt(2)
	v_add_f64 v[6:7], v[6:7], -v[216:217]
	ds_read2_b64 v[216:219], v212 offset0:98 offset1:99
	v_add_f64 v[4:5], v[4:5], -v[10:11]
	s_waitcnt lgkmcnt(1)
	v_mul_f64 v[10:11], v[202:203], v[210:211]
	v_fma_f64 v[10:11], v[200:201], v[8:9], -v[10:11]
	v_mul_f64 v[200:201], v[200:201], v[210:211]
	v_fmac_f64_e32 v[200:201], v[202:203], v[8:9]
	s_waitcnt vmcnt(1)
	v_add_f64 v[0:1], v[0:1], -v[10:11]
	v_add_f64 v[2:3], v[2:3], -v[200:201]
	s_waitcnt lgkmcnt(0)
	v_mul_f64 v[10:11], v[218:219], v[210:211]
	v_mul_f64 v[200:201], v[216:217], v[210:211]
	v_fma_f64 v[10:11], v[216:217], v[8:9], -v[10:11]
	v_fmac_f64_e32 v[200:201], v[218:219], v[8:9]
	s_waitcnt vmcnt(0)
	v_add_f64 v[196:197], v[196:197], -v[10:11]
	v_add_f64 v[198:199], v[198:199], -v[200:201]
	v_mov_b64_e32 v[10:11], v[210:211]
.LBB98_986:
	s_or_b64 exec, exec, s[0:1]
	v_lshl_add_u32 v200, v213, 4, v212
	s_barrier
	s_waitcnt vmcnt(2)
	ds_write2_b64 v200, v[4:5], v[6:7] offset1:1
	s_waitcnt lgkmcnt(0)
	s_barrier
	ds_read2_b64 v[200:203], v212 offset0:94 offset1:95
	s_cmp_lt_i32 s20, 49
	v_mov_b32_e32 v210, 47
	s_cbranch_scc1 .LBB98_989
; %bb.987:
	v_add_u32_e32 v211, 0x300, v212
	s_mov_b32 s16, 48
	v_mov_b32_e32 v210, 47
.LBB98_988:                             ; =>This Inner Loop Header: Depth=1
	ds_read2_b64 v[216:219], v211 offset1:1
	s_waitcnt lgkmcnt(1)
	v_xor_b32_e32 v221, 0x80000000, v201
	v_xor_b32_e32 v223, 0x80000000, v203
	v_cmp_gt_f64_e32 vcc, 0, v[202:203]
	v_cmp_gt_f64_e64 s[0:1], 0, v[200:201]
	v_mov_b32_e32 v220, v200
	v_mov_b32_e32 v222, v202
	v_cndmask_b32_e64 v221, v201, v221, s[0:1]
	v_cndmask_b32_e32 v223, v203, v223, vcc
	v_add_f64 v[220:221], v[220:221], v[222:223]
	s_waitcnt lgkmcnt(0)
	v_xor_b32_e32 v223, 0x80000000, v217
	v_xor_b32_e32 v225, 0x80000000, v219
	v_cmp_gt_f64_e32 vcc, 0, v[218:219]
	v_cmp_gt_f64_e64 s[0:1], 0, v[216:217]
	v_mov_b32_e32 v222, v216
	v_mov_b32_e32 v224, v218
	v_cndmask_b32_e64 v223, v217, v223, s[0:1]
	v_cndmask_b32_e32 v225, v219, v225, vcc
	v_add_f64 v[222:223], v[222:223], v[224:225]
	v_mov_b32_e32 v226, s16
	s_add_i32 s16, s16, 1
	v_cmp_lt_f64_e32 vcc, v[220:221], v[222:223]
	v_add_u32_e32 v211, 16, v211
	s_cmp_lg_u32 s20, s16
	v_cndmask_b32_e32 v201, v201, v217, vcc
	v_cndmask_b32_e32 v200, v200, v216, vcc
	;; [unrolled: 1-line block ×5, first 2 shown]
	s_cbranch_scc1 .LBB98_988
.LBB98_989:
	s_waitcnt lgkmcnt(0)
	v_cmp_eq_f64_e32 vcc, 0, v[200:201]
	v_cmp_eq_f64_e64 s[0:1], 0, v[202:203]
	s_and_b64 s[0:1], vcc, s[0:1]
	s_and_saveexec_b64 s[16:17], s[0:1]
	s_xor_b64 s[0:1], exec, s[16:17]
; %bb.990:
	v_cmp_ne_u32_e32 vcc, 0, v214
	s_nop 1
	v_cndmask_b32_e32 v214, 48, v214, vcc
; %bb.991:
	s_andn2_saveexec_b64 s[0:1], s[0:1]
	s_cbranch_execz .LBB98_997
; %bb.992:
	v_cmp_ngt_f64_e64 s[16:17], |v[200:201]|, |v[202:203]|
	s_and_saveexec_b64 s[18:19], s[16:17]
	s_xor_b64 s[16:17], exec, s[18:19]
	s_cbranch_execz .LBB98_994
; %bb.993:
	v_div_scale_f64 v[216:217], s[18:19], v[202:203], v[202:203], v[200:201]
	v_rcp_f64_e32 v[218:219], v[216:217]
	v_div_scale_f64 v[220:221], vcc, v[200:201], v[202:203], v[200:201]
	v_fma_f64 v[222:223], -v[216:217], v[218:219], 1.0
	v_fmac_f64_e32 v[218:219], v[218:219], v[222:223]
	v_fma_f64 v[222:223], -v[216:217], v[218:219], 1.0
	v_fmac_f64_e32 v[218:219], v[218:219], v[222:223]
	v_mul_f64 v[222:223], v[220:221], v[218:219]
	v_fma_f64 v[216:217], -v[216:217], v[222:223], v[220:221]
	v_div_fmas_f64 v[216:217], v[216:217], v[218:219], v[222:223]
	v_div_fixup_f64 v[216:217], v[216:217], v[202:203], v[200:201]
	v_fmac_f64_e32 v[202:203], v[200:201], v[216:217]
	v_div_scale_f64 v[200:201], s[18:19], v[202:203], v[202:203], 1.0
	v_rcp_f64_e32 v[218:219], v[200:201]
	s_nop 0
	v_fma_f64 v[220:221], -v[200:201], v[218:219], 1.0
	v_fmac_f64_e32 v[218:219], v[218:219], v[220:221]
	v_fma_f64 v[220:221], -v[200:201], v[218:219], 1.0
	v_fmac_f64_e32 v[218:219], v[218:219], v[220:221]
	v_div_scale_f64 v[220:221], vcc, 1.0, v[202:203], 1.0
	v_mul_f64 v[222:223], v[220:221], v[218:219]
	v_fma_f64 v[200:201], -v[200:201], v[222:223], v[220:221]
	s_nop 1
	v_div_fmas_f64 v[200:201], v[200:201], v[218:219], v[222:223]
	v_div_fixup_f64 v[202:203], v[200:201], v[202:203], 1.0
	v_mul_f64 v[200:201], v[216:217], v[202:203]
	v_xor_b32_e32 v203, 0x80000000, v203
.LBB98_994:
	s_andn2_saveexec_b64 s[16:17], s[16:17]
	s_cbranch_execz .LBB98_996
; %bb.995:
	v_div_scale_f64 v[216:217], s[18:19], v[200:201], v[200:201], v[202:203]
	v_rcp_f64_e32 v[218:219], v[216:217]
	v_div_scale_f64 v[220:221], vcc, v[202:203], v[200:201], v[202:203]
	v_fma_f64 v[222:223], -v[216:217], v[218:219], 1.0
	v_fmac_f64_e32 v[218:219], v[218:219], v[222:223]
	v_fma_f64 v[222:223], -v[216:217], v[218:219], 1.0
	v_fmac_f64_e32 v[218:219], v[218:219], v[222:223]
	v_mul_f64 v[222:223], v[220:221], v[218:219]
	v_fma_f64 v[216:217], -v[216:217], v[222:223], v[220:221]
	v_div_fmas_f64 v[216:217], v[216:217], v[218:219], v[222:223]
	v_div_fixup_f64 v[216:217], v[216:217], v[200:201], v[202:203]
	v_fmac_f64_e32 v[200:201], v[202:203], v[216:217]
	v_div_scale_f64 v[202:203], s[18:19], v[200:201], v[200:201], 1.0
	v_rcp_f64_e32 v[218:219], v[202:203]
	s_nop 0
	v_fma_f64 v[220:221], -v[202:203], v[218:219], 1.0
	v_fmac_f64_e32 v[218:219], v[218:219], v[220:221]
	v_fma_f64 v[220:221], -v[202:203], v[218:219], 1.0
	v_fmac_f64_e32 v[218:219], v[218:219], v[220:221]
	v_div_scale_f64 v[220:221], vcc, 1.0, v[200:201], 1.0
	v_mul_f64 v[222:223], v[220:221], v[218:219]
	v_fma_f64 v[202:203], -v[202:203], v[222:223], v[220:221]
	s_nop 1
	v_div_fmas_f64 v[202:203], v[202:203], v[218:219], v[222:223]
	v_div_fixup_f64 v[200:201], v[202:203], v[200:201], 1.0
	v_mul_f64 v[202:203], v[216:217], -v[200:201]
.LBB98_996:
	s_or_b64 exec, exec, s[16:17]
.LBB98_997:
	s_or_b64 exec, exec, s[0:1]
	v_cmp_ne_u32_e32 vcc, v213, v210
	s_and_saveexec_b64 s[0:1], vcc
	s_xor_b64 s[0:1], exec, s[0:1]
	s_cbranch_execz .LBB98_1003
; %bb.998:
	v_cmp_eq_u32_e32 vcc, 47, v213
	s_and_saveexec_b64 s[16:17], vcc
	s_cbranch_execz .LBB98_1002
; %bb.999:
	v_cmp_ne_u32_e32 vcc, 47, v210
	s_xor_b64 s[18:19], s[14:15], -1
	s_and_b64 s[22:23], s[18:19], vcc
	s_and_saveexec_b64 s[18:19], s[22:23]
	s_cbranch_execz .LBB98_1001
; %bb.1000:
	v_ashrrev_i32_e32 v211, 31, v210
	v_lshl_add_u64 v[216:217], v[210:211], 2, v[208:209]
	global_load_dword v211, v[216:217], off
	global_load_dword v213, v[208:209], off offset:188
	s_waitcnt vmcnt(1)
	global_store_dword v[208:209], v211, off offset:188
	s_waitcnt vmcnt(1)
	global_store_dword v[216:217], v213, off
.LBB98_1001:
	s_or_b64 exec, exec, s[18:19]
	v_mov_b32_e32 v213, v210
	v_mov_b32_e32 v215, v210
.LBB98_1002:
	s_or_b64 exec, exec, s[16:17]
.LBB98_1003:
	s_andn2_saveexec_b64 s[0:1], s[0:1]
	s_cbranch_execz .LBB98_1005
; %bb.1004:
	v_mov_b32_e32 v213, 47
	s_waitcnt vmcnt(1)
	ds_write2_b64 v212, v[0:1], v[2:3] offset0:96 offset1:97
	s_waitcnt vmcnt(0)
	ds_write2_b64 v212, v[196:197], v[198:199] offset0:98 offset1:99
.LBB98_1005:
	s_or_b64 exec, exec, s[0:1]
	v_cmp_lt_i32_e32 vcc, 47, v213
	s_waitcnt lgkmcnt(0)
	s_barrier
	s_and_saveexec_b64 s[0:1], vcc
	s_cbranch_execz .LBB98_1007
; %bb.1006:
	ds_read2_b64 v[216:219], v212 offset0:96 offset1:97
	v_mul_f64 v[210:211], v[200:201], v[6:7]
	v_mul_f64 v[6:7], v[202:203], v[6:7]
	v_fmac_f64_e32 v[210:211], v[202:203], v[4:5]
	v_fma_f64 v[4:5], v[200:201], v[4:5], -v[6:7]
	ds_read2_b64 v[200:203], v212 offset0:98 offset1:99
	s_waitcnt lgkmcnt(1)
	v_mul_f64 v[6:7], v[218:219], v[210:211]
	v_fma_f64 v[6:7], v[216:217], v[4:5], -v[6:7]
	s_waitcnt vmcnt(1)
	v_add_f64 v[0:1], v[0:1], -v[6:7]
	v_mul_f64 v[216:217], v[216:217], v[210:211]
	s_waitcnt lgkmcnt(0)
	v_mul_f64 v[6:7], v[202:203], v[210:211]
	v_fma_f64 v[6:7], v[200:201], v[4:5], -v[6:7]
	v_mul_f64 v[200:201], v[200:201], v[210:211]
	v_fmac_f64_e32 v[216:217], v[218:219], v[4:5]
	v_fmac_f64_e32 v[200:201], v[202:203], v[4:5]
	v_add_f64 v[2:3], v[2:3], -v[216:217]
	s_waitcnt vmcnt(0)
	v_add_f64 v[196:197], v[196:197], -v[6:7]
	v_add_f64 v[198:199], v[198:199], -v[200:201]
	v_mov_b64_e32 v[6:7], v[210:211]
.LBB98_1007:
	s_or_b64 exec, exec, s[0:1]
	v_lshl_add_u32 v200, v213, 4, v212
	s_barrier
	s_waitcnt vmcnt(1)
	ds_write2_b64 v200, v[0:1], v[2:3] offset1:1
	s_waitcnt lgkmcnt(0)
	s_barrier
	ds_read2_b64 v[200:203], v212 offset0:96 offset1:97
	s_cmp_lt_i32 s20, 50
	v_mov_b32_e32 v210, 48
	s_cbranch_scc1 .LBB98_1010
; %bb.1008:
	v_add_u32_e32 v211, 0x310, v212
	s_mov_b32 s16, 49
	v_mov_b32_e32 v210, 48
.LBB98_1009:                            ; =>This Inner Loop Header: Depth=1
	ds_read2_b64 v[216:219], v211 offset1:1
	s_waitcnt lgkmcnt(1)
	v_xor_b32_e32 v221, 0x80000000, v201
	v_xor_b32_e32 v223, 0x80000000, v203
	v_cmp_gt_f64_e32 vcc, 0, v[202:203]
	v_cmp_gt_f64_e64 s[0:1], 0, v[200:201]
	v_mov_b32_e32 v220, v200
	v_mov_b32_e32 v222, v202
	v_cndmask_b32_e64 v221, v201, v221, s[0:1]
	v_cndmask_b32_e32 v223, v203, v223, vcc
	v_add_f64 v[220:221], v[220:221], v[222:223]
	s_waitcnt lgkmcnt(0)
	v_xor_b32_e32 v223, 0x80000000, v217
	v_xor_b32_e32 v225, 0x80000000, v219
	v_cmp_gt_f64_e32 vcc, 0, v[218:219]
	v_cmp_gt_f64_e64 s[0:1], 0, v[216:217]
	v_mov_b32_e32 v222, v216
	v_mov_b32_e32 v224, v218
	v_cndmask_b32_e64 v223, v217, v223, s[0:1]
	v_cndmask_b32_e32 v225, v219, v225, vcc
	v_add_f64 v[222:223], v[222:223], v[224:225]
	v_mov_b32_e32 v226, s16
	s_add_i32 s16, s16, 1
	v_cmp_lt_f64_e32 vcc, v[220:221], v[222:223]
	v_add_u32_e32 v211, 16, v211
	s_cmp_lg_u32 s20, s16
	v_cndmask_b32_e32 v201, v201, v217, vcc
	v_cndmask_b32_e32 v200, v200, v216, vcc
	;; [unrolled: 1-line block ×5, first 2 shown]
	s_cbranch_scc1 .LBB98_1009
.LBB98_1010:
	s_waitcnt lgkmcnt(0)
	v_cmp_eq_f64_e32 vcc, 0, v[200:201]
	v_cmp_eq_f64_e64 s[0:1], 0, v[202:203]
	s_and_b64 s[0:1], vcc, s[0:1]
	s_and_saveexec_b64 s[16:17], s[0:1]
	s_xor_b64 s[0:1], exec, s[16:17]
; %bb.1011:
	v_cmp_ne_u32_e32 vcc, 0, v214
	s_nop 1
	v_cndmask_b32_e32 v214, 49, v214, vcc
; %bb.1012:
	s_andn2_saveexec_b64 s[0:1], s[0:1]
	s_cbranch_execz .LBB98_1018
; %bb.1013:
	v_cmp_ngt_f64_e64 s[16:17], |v[200:201]|, |v[202:203]|
	s_and_saveexec_b64 s[18:19], s[16:17]
	s_xor_b64 s[16:17], exec, s[18:19]
	s_cbranch_execz .LBB98_1015
; %bb.1014:
	v_div_scale_f64 v[216:217], s[18:19], v[202:203], v[202:203], v[200:201]
	v_rcp_f64_e32 v[218:219], v[216:217]
	v_div_scale_f64 v[220:221], vcc, v[200:201], v[202:203], v[200:201]
	v_fma_f64 v[222:223], -v[216:217], v[218:219], 1.0
	v_fmac_f64_e32 v[218:219], v[218:219], v[222:223]
	v_fma_f64 v[222:223], -v[216:217], v[218:219], 1.0
	v_fmac_f64_e32 v[218:219], v[218:219], v[222:223]
	v_mul_f64 v[222:223], v[220:221], v[218:219]
	v_fma_f64 v[216:217], -v[216:217], v[222:223], v[220:221]
	v_div_fmas_f64 v[216:217], v[216:217], v[218:219], v[222:223]
	v_div_fixup_f64 v[216:217], v[216:217], v[202:203], v[200:201]
	v_fmac_f64_e32 v[202:203], v[200:201], v[216:217]
	v_div_scale_f64 v[200:201], s[18:19], v[202:203], v[202:203], 1.0
	v_rcp_f64_e32 v[218:219], v[200:201]
	s_nop 0
	v_fma_f64 v[220:221], -v[200:201], v[218:219], 1.0
	v_fmac_f64_e32 v[218:219], v[218:219], v[220:221]
	v_fma_f64 v[220:221], -v[200:201], v[218:219], 1.0
	v_fmac_f64_e32 v[218:219], v[218:219], v[220:221]
	v_div_scale_f64 v[220:221], vcc, 1.0, v[202:203], 1.0
	v_mul_f64 v[222:223], v[220:221], v[218:219]
	v_fma_f64 v[200:201], -v[200:201], v[222:223], v[220:221]
	s_nop 1
	v_div_fmas_f64 v[200:201], v[200:201], v[218:219], v[222:223]
	v_div_fixup_f64 v[202:203], v[200:201], v[202:203], 1.0
	v_mul_f64 v[200:201], v[216:217], v[202:203]
	v_xor_b32_e32 v203, 0x80000000, v203
.LBB98_1015:
	s_andn2_saveexec_b64 s[16:17], s[16:17]
	s_cbranch_execz .LBB98_1017
; %bb.1016:
	v_div_scale_f64 v[216:217], s[18:19], v[200:201], v[200:201], v[202:203]
	v_rcp_f64_e32 v[218:219], v[216:217]
	v_div_scale_f64 v[220:221], vcc, v[202:203], v[200:201], v[202:203]
	v_fma_f64 v[222:223], -v[216:217], v[218:219], 1.0
	v_fmac_f64_e32 v[218:219], v[218:219], v[222:223]
	v_fma_f64 v[222:223], -v[216:217], v[218:219], 1.0
	v_fmac_f64_e32 v[218:219], v[218:219], v[222:223]
	v_mul_f64 v[222:223], v[220:221], v[218:219]
	v_fma_f64 v[216:217], -v[216:217], v[222:223], v[220:221]
	v_div_fmas_f64 v[216:217], v[216:217], v[218:219], v[222:223]
	v_div_fixup_f64 v[216:217], v[216:217], v[200:201], v[202:203]
	v_fmac_f64_e32 v[200:201], v[202:203], v[216:217]
	v_div_scale_f64 v[202:203], s[18:19], v[200:201], v[200:201], 1.0
	v_rcp_f64_e32 v[218:219], v[202:203]
	s_nop 0
	v_fma_f64 v[220:221], -v[202:203], v[218:219], 1.0
	v_fmac_f64_e32 v[218:219], v[218:219], v[220:221]
	v_fma_f64 v[220:221], -v[202:203], v[218:219], 1.0
	v_fmac_f64_e32 v[218:219], v[218:219], v[220:221]
	v_div_scale_f64 v[220:221], vcc, 1.0, v[200:201], 1.0
	v_mul_f64 v[222:223], v[220:221], v[218:219]
	v_fma_f64 v[202:203], -v[202:203], v[222:223], v[220:221]
	s_nop 1
	v_div_fmas_f64 v[202:203], v[202:203], v[218:219], v[222:223]
	v_div_fixup_f64 v[200:201], v[202:203], v[200:201], 1.0
	v_mul_f64 v[202:203], v[216:217], -v[200:201]
.LBB98_1017:
	s_or_b64 exec, exec, s[16:17]
.LBB98_1018:
	s_or_b64 exec, exec, s[0:1]
	v_cmp_ne_u32_e32 vcc, v213, v210
	s_and_saveexec_b64 s[0:1], vcc
	s_xor_b64 s[0:1], exec, s[0:1]
	s_cbranch_execz .LBB98_1024
; %bb.1019:
	v_cmp_eq_u32_e32 vcc, 48, v213
	s_and_saveexec_b64 s[16:17], vcc
	s_cbranch_execz .LBB98_1023
; %bb.1020:
	v_cmp_ne_u32_e32 vcc, 48, v210
	s_xor_b64 s[18:19], s[14:15], -1
	s_and_b64 s[22:23], s[18:19], vcc
	s_and_saveexec_b64 s[18:19], s[22:23]
	s_cbranch_execz .LBB98_1022
; %bb.1021:
	v_ashrrev_i32_e32 v211, 31, v210
	v_lshl_add_u64 v[216:217], v[210:211], 2, v[208:209]
	global_load_dword v211, v[216:217], off
	global_load_dword v213, v[208:209], off offset:192
	s_waitcnt vmcnt(1)
	global_store_dword v[208:209], v211, off offset:192
	s_waitcnt vmcnt(1)
	global_store_dword v[216:217], v213, off
.LBB98_1022:
	s_or_b64 exec, exec, s[18:19]
	v_mov_b32_e32 v213, v210
	v_mov_b32_e32 v215, v210
.LBB98_1023:
	s_or_b64 exec, exec, s[16:17]
.LBB98_1024:
	s_andn2_saveexec_b64 s[0:1], s[0:1]
	s_cbranch_execz .LBB98_1026
; %bb.1025:
	v_mov_b32_e32 v213, 48
	s_waitcnt vmcnt(0)
	ds_write2_b64 v212, v[196:197], v[198:199] offset0:98 offset1:99
.LBB98_1026:
	s_or_b64 exec, exec, s[0:1]
	v_cmp_lt_i32_e32 vcc, 48, v213
	s_waitcnt lgkmcnt(0)
	s_barrier
	s_and_saveexec_b64 s[0:1], vcc
	s_cbranch_execz .LBB98_1028
; %bb.1027:
	ds_read2_b64 v[216:219], v212 offset0:98 offset1:99
	v_mul_f64 v[210:211], v[200:201], v[2:3]
	v_mul_f64 v[2:3], v[202:203], v[2:3]
	v_fmac_f64_e32 v[210:211], v[202:203], v[0:1]
	v_fma_f64 v[0:1], v[200:201], v[0:1], -v[2:3]
	s_waitcnt lgkmcnt(0)
	v_mul_f64 v[2:3], v[218:219], v[210:211]
	v_mul_f64 v[200:201], v[216:217], v[210:211]
	v_fma_f64 v[2:3], v[216:217], v[0:1], -v[2:3]
	v_fmac_f64_e32 v[200:201], v[218:219], v[0:1]
	s_waitcnt vmcnt(0)
	v_add_f64 v[196:197], v[196:197], -v[2:3]
	v_add_f64 v[198:199], v[198:199], -v[200:201]
	v_mov_b64_e32 v[2:3], v[210:211]
.LBB98_1028:
	s_or_b64 exec, exec, s[0:1]
	v_lshl_add_u32 v200, v213, 4, v212
	s_barrier
	s_waitcnt vmcnt(0)
	ds_write2_b64 v200, v[196:197], v[198:199] offset1:1
	s_waitcnt lgkmcnt(0)
	s_barrier
	ds_read2_b64 v[200:203], v212 offset0:98 offset1:99
	s_cmp_lt_i32 s20, 51
	v_mov_b32_e32 v210, 49
	s_cbranch_scc1 .LBB98_1031
; %bb.1029:
	v_add_u32_e32 v211, 0x320, v212
	s_mov_b32 s16, 50
	v_mov_b32_e32 v210, 49
.LBB98_1030:                            ; =>This Inner Loop Header: Depth=1
	ds_read2_b64 v[216:219], v211 offset1:1
	s_waitcnt lgkmcnt(1)
	v_xor_b32_e32 v212, 0x80000000, v201
	v_xor_b32_e32 v223, 0x80000000, v203
	v_cmp_gt_f64_e32 vcc, 0, v[202:203]
	v_cmp_gt_f64_e64 s[0:1], 0, v[200:201]
	v_mov_b32_e32 v220, v200
	v_mov_b32_e32 v222, v202
	v_cndmask_b32_e64 v221, v201, v212, s[0:1]
	v_cndmask_b32_e32 v223, v203, v223, vcc
	s_waitcnt lgkmcnt(0)
	v_xor_b32_e32 v212, 0x80000000, v217
	v_xor_b32_e32 v225, 0x80000000, v219
	v_cmp_gt_f64_e32 vcc, 0, v[218:219]
	v_cmp_gt_f64_e64 s[0:1], 0, v[216:217]
	v_add_f64 v[220:221], v[220:221], v[222:223]
	v_mov_b32_e32 v222, v216
	v_mov_b32_e32 v224, v218
	v_cndmask_b32_e64 v223, v217, v212, s[0:1]
	v_cndmask_b32_e32 v225, v219, v225, vcc
	v_add_f64 v[222:223], v[222:223], v[224:225]
	v_mov_b32_e32 v226, s16
	s_add_i32 s16, s16, 1
	v_cmp_lt_f64_e32 vcc, v[220:221], v[222:223]
	v_add_u32_e32 v211, 16, v211
	s_cmp_lg_u32 s20, s16
	v_cndmask_b32_e32 v201, v201, v217, vcc
	v_cndmask_b32_e32 v200, v200, v216, vcc
	;; [unrolled: 1-line block ×5, first 2 shown]
	s_cbranch_scc1 .LBB98_1030
.LBB98_1031:
	s_waitcnt lgkmcnt(0)
	v_cmp_eq_f64_e32 vcc, 0, v[200:201]
	v_cmp_eq_f64_e64 s[0:1], 0, v[202:203]
	s_and_b64 s[0:1], vcc, s[0:1]
	s_and_saveexec_b64 s[16:17], s[0:1]
	s_xor_b64 s[0:1], exec, s[16:17]
; %bb.1032:
	v_cmp_ne_u32_e32 vcc, 0, v214
	s_nop 1
	v_cndmask_b32_e32 v214, 50, v214, vcc
; %bb.1033:
	s_andn2_saveexec_b64 s[0:1], s[0:1]
	s_cbranch_execz .LBB98_1039
; %bb.1034:
	v_cmp_ngt_f64_e64 s[16:17], |v[200:201]|, |v[202:203]|
	s_and_saveexec_b64 s[18:19], s[16:17]
	s_xor_b64 s[16:17], exec, s[18:19]
	s_cbranch_execz .LBB98_1036
; %bb.1035:
	v_div_scale_f64 v[216:217], s[18:19], v[202:203], v[202:203], v[200:201]
	v_rcp_f64_e32 v[218:219], v[216:217]
	v_div_scale_f64 v[220:221], vcc, v[200:201], v[202:203], v[200:201]
	v_fma_f64 v[222:223], -v[216:217], v[218:219], 1.0
	v_fmac_f64_e32 v[218:219], v[218:219], v[222:223]
	v_fma_f64 v[222:223], -v[216:217], v[218:219], 1.0
	v_fmac_f64_e32 v[218:219], v[218:219], v[222:223]
	v_mul_f64 v[222:223], v[220:221], v[218:219]
	v_fma_f64 v[216:217], -v[216:217], v[222:223], v[220:221]
	v_div_fmas_f64 v[216:217], v[216:217], v[218:219], v[222:223]
	v_div_fixup_f64 v[216:217], v[216:217], v[202:203], v[200:201]
	v_fmac_f64_e32 v[202:203], v[200:201], v[216:217]
	v_div_scale_f64 v[200:201], s[18:19], v[202:203], v[202:203], 1.0
	v_rcp_f64_e32 v[218:219], v[200:201]
	s_nop 0
	v_fma_f64 v[220:221], -v[200:201], v[218:219], 1.0
	v_fmac_f64_e32 v[218:219], v[218:219], v[220:221]
	v_fma_f64 v[220:221], -v[200:201], v[218:219], 1.0
	v_fmac_f64_e32 v[218:219], v[218:219], v[220:221]
	v_div_scale_f64 v[220:221], vcc, 1.0, v[202:203], 1.0
	v_mul_f64 v[222:223], v[220:221], v[218:219]
	v_fma_f64 v[200:201], -v[200:201], v[222:223], v[220:221]
	s_nop 1
	v_div_fmas_f64 v[200:201], v[200:201], v[218:219], v[222:223]
	v_div_fixup_f64 v[202:203], v[200:201], v[202:203], 1.0
	v_mul_f64 v[200:201], v[216:217], v[202:203]
	v_xor_b32_e32 v203, 0x80000000, v203
.LBB98_1036:
	s_andn2_saveexec_b64 s[16:17], s[16:17]
	s_cbranch_execz .LBB98_1038
; %bb.1037:
	v_div_scale_f64 v[216:217], s[18:19], v[200:201], v[200:201], v[202:203]
	v_rcp_f64_e32 v[218:219], v[216:217]
	v_div_scale_f64 v[220:221], vcc, v[202:203], v[200:201], v[202:203]
	v_fma_f64 v[222:223], -v[216:217], v[218:219], 1.0
	v_fmac_f64_e32 v[218:219], v[218:219], v[222:223]
	v_fma_f64 v[222:223], -v[216:217], v[218:219], 1.0
	v_fmac_f64_e32 v[218:219], v[218:219], v[222:223]
	v_mul_f64 v[222:223], v[220:221], v[218:219]
	v_fma_f64 v[216:217], -v[216:217], v[222:223], v[220:221]
	v_div_fmas_f64 v[216:217], v[216:217], v[218:219], v[222:223]
	v_div_fixup_f64 v[216:217], v[216:217], v[200:201], v[202:203]
	v_fmac_f64_e32 v[200:201], v[202:203], v[216:217]
	v_div_scale_f64 v[202:203], s[18:19], v[200:201], v[200:201], 1.0
	v_rcp_f64_e32 v[218:219], v[202:203]
	s_nop 0
	v_fma_f64 v[220:221], -v[202:203], v[218:219], 1.0
	v_fmac_f64_e32 v[218:219], v[218:219], v[220:221]
	v_fma_f64 v[220:221], -v[202:203], v[218:219], 1.0
	v_fmac_f64_e32 v[218:219], v[218:219], v[220:221]
	v_div_scale_f64 v[220:221], vcc, 1.0, v[200:201], 1.0
	v_mul_f64 v[222:223], v[220:221], v[218:219]
	v_fma_f64 v[202:203], -v[202:203], v[222:223], v[220:221]
	s_nop 1
	v_div_fmas_f64 v[202:203], v[202:203], v[218:219], v[222:223]
	v_div_fixup_f64 v[200:201], v[202:203], v[200:201], 1.0
	v_mul_f64 v[202:203], v[216:217], -v[200:201]
.LBB98_1038:
	s_or_b64 exec, exec, s[16:17]
.LBB98_1039:
	s_or_b64 exec, exec, s[0:1]
	v_cmp_ne_u32_e32 vcc, v213, v210
	v_mov_b32_e32 v212, 49
	s_and_saveexec_b64 s[0:1], vcc
	s_cbranch_execz .LBB98_1045
; %bb.1040:
	v_cmp_eq_u32_e32 vcc, 49, v213
	s_and_saveexec_b64 s[16:17], vcc
	s_cbranch_execz .LBB98_1044
; %bb.1041:
	v_cmp_ne_u32_e32 vcc, 49, v210
	s_xor_b64 s[14:15], s[14:15], -1
	s_and_b64 s[18:19], s[14:15], vcc
	s_and_saveexec_b64 s[14:15], s[18:19]
	s_cbranch_execz .LBB98_1043
; %bb.1042:
	v_ashrrev_i32_e32 v211, 31, v210
	v_lshl_add_u64 v[212:213], v[210:211], 2, v[208:209]
	global_load_dword v211, v[212:213], off
	global_load_dword v215, v[208:209], off offset:196
	s_waitcnt vmcnt(1)
	global_store_dword v[208:209], v211, off offset:196
	s_waitcnt vmcnt(1)
	global_store_dword v[212:213], v215, off
.LBB98_1043:
	s_or_b64 exec, exec, s[14:15]
	v_mov_b32_e32 v213, v210
	v_mov_b32_e32 v215, v210
.LBB98_1044:
	s_or_b64 exec, exec, s[16:17]
	v_mov_b32_e32 v212, v213
.LBB98_1045:
	s_or_b64 exec, exec, s[0:1]
	v_cmp_gt_i32_e32 vcc, 50, v212
	v_ashrrev_i32_e32 v213, 31, v212
	s_barrier
	s_barrier
	s_and_saveexec_b64 s[0:1], vcc
	s_cbranch_execz .LBB98_1047
; %bb.1046:
	v_mov_b32_e32 v208, s6
	v_mov_b32_e32 v209, s7
	v_mul_lo_u32 v216, s11, v206
	v_mul_lo_u32 v217, s10, v207
	v_mad_u64_u32 v[210:211], s[6:7], s10, v206, 0
	v_add3_u32 v211, v211, v217, v216
	v_lshl_add_u64 v[208:209], v[210:211], 2, v[208:209]
	v_lshl_add_u64 v[208:209], s[8:9], 2, v[208:209]
	;; [unrolled: 1-line block ×3, first 2 shown]
	v_add3_u32 v210, v215, s13, 1
	global_store_dword v[208:209], v210, off
.LBB98_1047:
	s_or_b64 exec, exec, s[0:1]
	v_cmp_eq_u32_e32 vcc, 0, v212
	s_and_saveexec_b64 s[6:7], vcc
	s_cbranch_execz .LBB98_1050
; %bb.1048:
	v_mov_b32_e32 v208, s4
	v_mov_b32_e32 v209, s5
	v_lshl_add_u64 v[206:207], v[206:207], 2, v[208:209]
	global_load_dword v208, v[206:207], off
	v_cmp_ne_u32_e64 s[0:1], 0, v214
	s_waitcnt vmcnt(0)
	v_cmp_eq_u32_e32 vcc, 0, v208
	s_and_b64 s[0:1], vcc, s[0:1]
	s_and_b64 exec, exec, s[0:1]
	s_cbranch_execz .LBB98_1050
; %bb.1049:
	v_add_u32_e32 v208, s13, v214
	global_store_dword v[206:207], v208, off
.LBB98_1050:
	s_or_b64 exec, exec, s[6:7]
	v_mul_f64 v[206:207], v[202:203], v[198:199]
	v_fma_f64 v[206:207], v[200:201], v[196:197], -v[206:207]
	v_mul_f64 v[200:201], v[200:201], v[198:199]
	v_fmac_f64_e32 v[200:201], v[202:203], v[196:197]
	v_cmp_lt_i32_e32 vcc, 49, v212
	s_nop 1
	v_cndmask_b32_e32 v199, v199, v201, vcc
	v_cndmask_b32_e32 v198, v198, v200, vcc
	v_lshl_add_u64 v[200:201], v[212:213], 4, v[204:205]
	global_store_dwordx4 v[200:201], v[132:135], off
	v_cndmask_b32_e32 v197, v197, v207, vcc
	v_cndmask_b32_e32 v196, v196, v206, vcc
	v_lshl_add_u64 v[132:133], s[2:3], 4, v[200:201]
	global_store_dwordx4 v[132:133], v[128:131], off
	s_nop 1
	v_add_u32_e32 v128, s12, v212
	v_ashrrev_i32_e32 v129, 31, v128
	v_lshl_add_u64 v[130:131], v[128:129], 4, v[204:205]
	v_add_u32_e32 v128, s2, v128
	v_ashrrev_i32_e32 v129, 31, v128
	global_store_dwordx4 v[130:131], v[192:195], off
	v_lshl_add_u64 v[130:131], v[128:129], 4, v[204:205]
	v_add_u32_e32 v128, s2, v128
	v_ashrrev_i32_e32 v129, 31, v128
	global_store_dwordx4 v[130:131], v[188:191], off
	;; [unrolled: 4-line block ×15, first 2 shown]
	v_lshl_add_u64 v[130:131], v[128:129], 4, v[204:205]
	global_store_dwordx4 v[130:131], v[124:127], off
	s_nop 1
	v_add_u32_e32 v124, s2, v128
	v_ashrrev_i32_e32 v125, 31, v124
	v_lshl_add_u64 v[126:127], v[124:125], 4, v[204:205]
	global_store_dwordx4 v[126:127], v[120:123], off
	s_nop 1
	v_add_u32_e32 v120, s2, v124
	v_ashrrev_i32_e32 v121, 31, v120
	;; [unrolled: 5-line block ×32, first 2 shown]
	v_lshl_add_u64 v[0:1], v[0:1], 4, v[204:205]
	global_store_dwordx4 v[0:1], v[196:199], off
.LBB98_1051:
	s_endpgm
	.section	.rodata,"a",@progbits
	.p2align	6, 0x0
	.amdhsa_kernel _ZN9rocsolver6v33100L18getf2_small_kernelILi50E19rocblas_complex_numIdEiiPS3_EEvT1_T3_lS5_lPS5_llPT2_S5_S5_S7_l
		.amdhsa_group_segment_fixed_size 0
		.amdhsa_private_segment_fixed_size 0
		.amdhsa_kernarg_size 352
		.amdhsa_user_sgpr_count 2
		.amdhsa_user_sgpr_dispatch_ptr 0
		.amdhsa_user_sgpr_queue_ptr 0
		.amdhsa_user_sgpr_kernarg_segment_ptr 1
		.amdhsa_user_sgpr_dispatch_id 0
		.amdhsa_user_sgpr_kernarg_preload_length 0
		.amdhsa_user_sgpr_kernarg_preload_offset 0
		.amdhsa_user_sgpr_private_segment_size 0
		.amdhsa_uses_dynamic_stack 0
		.amdhsa_enable_private_segment 0
		.amdhsa_system_sgpr_workgroup_id_x 1
		.amdhsa_system_sgpr_workgroup_id_y 1
		.amdhsa_system_sgpr_workgroup_id_z 0
		.amdhsa_system_sgpr_workgroup_info 0
		.amdhsa_system_vgpr_workitem_id 1
		.amdhsa_next_free_vgpr 242
		.amdhsa_next_free_sgpr 26
		.amdhsa_accum_offset 244
		.amdhsa_reserve_vcc 1
		.amdhsa_float_round_mode_32 0
		.amdhsa_float_round_mode_16_64 0
		.amdhsa_float_denorm_mode_32 3
		.amdhsa_float_denorm_mode_16_64 3
		.amdhsa_dx10_clamp 1
		.amdhsa_ieee_mode 1
		.amdhsa_fp16_overflow 0
		.amdhsa_tg_split 0
		.amdhsa_exception_fp_ieee_invalid_op 0
		.amdhsa_exception_fp_denorm_src 0
		.amdhsa_exception_fp_ieee_div_zero 0
		.amdhsa_exception_fp_ieee_overflow 0
		.amdhsa_exception_fp_ieee_underflow 0
		.amdhsa_exception_fp_ieee_inexact 0
		.amdhsa_exception_int_div_zero 0
	.end_amdhsa_kernel
	.section	.text._ZN9rocsolver6v33100L18getf2_small_kernelILi50E19rocblas_complex_numIdEiiPS3_EEvT1_T3_lS5_lPS5_llPT2_S5_S5_S7_l,"axG",@progbits,_ZN9rocsolver6v33100L18getf2_small_kernelILi50E19rocblas_complex_numIdEiiPS3_EEvT1_T3_lS5_lPS5_llPT2_S5_S5_S7_l,comdat
.Lfunc_end98:
	.size	_ZN9rocsolver6v33100L18getf2_small_kernelILi50E19rocblas_complex_numIdEiiPS3_EEvT1_T3_lS5_lPS5_llPT2_S5_S5_S7_l, .Lfunc_end98-_ZN9rocsolver6v33100L18getf2_small_kernelILi50E19rocblas_complex_numIdEiiPS3_EEvT1_T3_lS5_lPS5_llPT2_S5_S5_S7_l
                                        ; -- End function
	.set _ZN9rocsolver6v33100L18getf2_small_kernelILi50E19rocblas_complex_numIdEiiPS3_EEvT1_T3_lS5_lPS5_llPT2_S5_S5_S7_l.num_vgpr, 242
	.set _ZN9rocsolver6v33100L18getf2_small_kernelILi50E19rocblas_complex_numIdEiiPS3_EEvT1_T3_lS5_lPS5_llPT2_S5_S5_S7_l.num_agpr, 0
	.set _ZN9rocsolver6v33100L18getf2_small_kernelILi50E19rocblas_complex_numIdEiiPS3_EEvT1_T3_lS5_lPS5_llPT2_S5_S5_S7_l.numbered_sgpr, 26
	.set _ZN9rocsolver6v33100L18getf2_small_kernelILi50E19rocblas_complex_numIdEiiPS3_EEvT1_T3_lS5_lPS5_llPT2_S5_S5_S7_l.num_named_barrier, 0
	.set _ZN9rocsolver6v33100L18getf2_small_kernelILi50E19rocblas_complex_numIdEiiPS3_EEvT1_T3_lS5_lPS5_llPT2_S5_S5_S7_l.private_seg_size, 0
	.set _ZN9rocsolver6v33100L18getf2_small_kernelILi50E19rocblas_complex_numIdEiiPS3_EEvT1_T3_lS5_lPS5_llPT2_S5_S5_S7_l.uses_vcc, 1
	.set _ZN9rocsolver6v33100L18getf2_small_kernelILi50E19rocblas_complex_numIdEiiPS3_EEvT1_T3_lS5_lPS5_llPT2_S5_S5_S7_l.uses_flat_scratch, 0
	.set _ZN9rocsolver6v33100L18getf2_small_kernelILi50E19rocblas_complex_numIdEiiPS3_EEvT1_T3_lS5_lPS5_llPT2_S5_S5_S7_l.has_dyn_sized_stack, 0
	.set _ZN9rocsolver6v33100L18getf2_small_kernelILi50E19rocblas_complex_numIdEiiPS3_EEvT1_T3_lS5_lPS5_llPT2_S5_S5_S7_l.has_recursion, 0
	.set _ZN9rocsolver6v33100L18getf2_small_kernelILi50E19rocblas_complex_numIdEiiPS3_EEvT1_T3_lS5_lPS5_llPT2_S5_S5_S7_l.has_indirect_call, 0
	.section	.AMDGPU.csdata,"",@progbits
; Kernel info:
; codeLenInByte = 134360
; TotalNumSgprs: 32
; NumVgprs: 242
; NumAgprs: 0
; TotalNumVgprs: 242
; ScratchSize: 0
; MemoryBound: 0
; FloatMode: 240
; IeeeMode: 1
; LDSByteSize: 0 bytes/workgroup (compile time only)
; SGPRBlocks: 3
; VGPRBlocks: 30
; NumSGPRsForWavesPerEU: 32
; NumVGPRsForWavesPerEU: 242
; AccumOffset: 244
; Occupancy: 2
; WaveLimiterHint : 0
; COMPUTE_PGM_RSRC2:SCRATCH_EN: 0
; COMPUTE_PGM_RSRC2:USER_SGPR: 2
; COMPUTE_PGM_RSRC2:TRAP_HANDLER: 0
; COMPUTE_PGM_RSRC2:TGID_X_EN: 1
; COMPUTE_PGM_RSRC2:TGID_Y_EN: 1
; COMPUTE_PGM_RSRC2:TGID_Z_EN: 0
; COMPUTE_PGM_RSRC2:TIDIG_COMP_CNT: 1
; COMPUTE_PGM_RSRC3_GFX90A:ACCUM_OFFSET: 60
; COMPUTE_PGM_RSRC3_GFX90A:TG_SPLIT: 0
	.section	.text._ZN9rocsolver6v33100L23getf2_npvt_small_kernelILi50E19rocblas_complex_numIdEiiPS3_EEvT1_T3_lS5_lPT2_S5_S5_,"axG",@progbits,_ZN9rocsolver6v33100L23getf2_npvt_small_kernelILi50E19rocblas_complex_numIdEiiPS3_EEvT1_T3_lS5_lPT2_S5_S5_,comdat
	.globl	_ZN9rocsolver6v33100L23getf2_npvt_small_kernelILi50E19rocblas_complex_numIdEiiPS3_EEvT1_T3_lS5_lPT2_S5_S5_ ; -- Begin function _ZN9rocsolver6v33100L23getf2_npvt_small_kernelILi50E19rocblas_complex_numIdEiiPS3_EEvT1_T3_lS5_lPT2_S5_S5_
	.p2align	8
	.type	_ZN9rocsolver6v33100L23getf2_npvt_small_kernelILi50E19rocblas_complex_numIdEiiPS3_EEvT1_T3_lS5_lPT2_S5_S5_,@function
_ZN9rocsolver6v33100L23getf2_npvt_small_kernelILi50E19rocblas_complex_numIdEiiPS3_EEvT1_T3_lS5_lPT2_S5_S5_: ; @_ZN9rocsolver6v33100L23getf2_npvt_small_kernelILi50E19rocblas_complex_numIdEiiPS3_EEvT1_T3_lS5_lPT2_S5_S5_
; %bb.0:
	s_load_dword s2, s[0:1], 0x44
	s_load_dwordx2 s[8:9], s[0:1], 0x30
	v_bfe_u32 v2, v0, 10, 10
	s_waitcnt lgkmcnt(0)
	s_lshr_b32 s2, s2, 16
	s_mul_i32 s3, s3, s2
	v_add_u32_e32 v178, s3, v2
	v_cmp_gt_i32_e32 vcc, s8, v178
	s_and_saveexec_b64 s[4:5], vcc
	s_cbranch_execz .LBB99_453
; %bb.1:
	s_load_dwordx4 s[12:15], s[0:1], 0x8
	s_load_dword s10, s[0:1], 0x18
	s_load_dwordx4 s[4:7], s[0:1], 0x20
	v_ashrrev_i32_e32 v179, 31, v178
	v_and_b32_e32 v234, 0x3ff, v0
	s_waitcnt lgkmcnt(0)
	v_mov_b32_e32 v0, s12
	v_mov_b32_e32 v1, s13
	v_mul_lo_u32 v3, s5, v178
	v_mul_lo_u32 v6, s4, v179
	v_mad_u64_u32 v[4:5], s[0:1], s4, v178, 0
	v_add3_u32 v5, v5, v6, v3
	v_lshl_add_u64 v[0:1], v[4:5], 4, v[0:1]
	v_lshl_add_u64 v[0:1], s[14:15], 4, v[0:1]
	v_lshlrev_b32_e32 v4, 4, v234
	v_mov_b32_e32 v5, 0
	s_add_i32 s0, s10, s10
	v_lshl_add_u64 v[240:241], v[0:1], 0, v[4:5]
	v_add_u32_e32 v4, s0, v234
	v_ashrrev_i32_e32 v5, 31, v4
	v_lshl_add_u64 v[6:7], v[4:5], 4, v[0:1]
	v_add_u32_e32 v4, s10, v4
	v_ashrrev_i32_e32 v5, 31, v4
	;; [unrolled: 3-line block ×47, first 2 shown]
	v_lshl_add_u64 v[112:113], v[4:5], 4, v[0:1]
	v_add_u32_e32 v4, s10, v4
	s_mulk_i32 s2, 0x320
	v_ashrrev_i32_e32 v5, 31, v4
	s_movk_i32 s0, 0x320
	s_add_i32 s1, s2, 0
	v_lshl_add_u64 v[110:111], v[4:5], 4, v[0:1]
	v_mad_u32_u24 v233, v2, s0, 0
	v_lshl_add_u32 v194, v2, 4, s1
	global_load_dwordx4 v[0:3], v[240:241], off
	s_ashr_i32 s11, s10, 31
	v_lshl_add_u64 v[108:109], s[10:11], 4, v[240:241]
	v_cmp_ne_u32_e64 s[2:3], 0, v234
	v_cmp_eq_u32_e64 s[0:1], 0, v234
	s_waitcnt vmcnt(0)
	scratch_store_dwordx4 off, v[0:3], off offset:336 ; 16-byte Folded Spill
	global_load_dwordx4 v[0:3], v[108:109], off
	s_waitcnt vmcnt(0)
	scratch_store_dwordx4 off, v[0:3], off offset:320 ; 16-byte Folded Spill
	scratch_store_dwordx2 off, v[6:7], off offset:1024 ; 8-byte Folded Spill
	global_load_dwordx4 v[0:3], v[6:7], off
	s_waitcnt vmcnt(0)
	scratch_store_dwordx4 off, v[0:3], off offset:304 ; 16-byte Folded Spill
	global_load_dwordx4 v[0:3], v[242:243], off
	s_waitcnt vmcnt(0)
	scratch_store_dwordx4 off, v[0:3], off offset:288 ; 16-byte Folded Spill
	;; [unrolled: 3-line block ×19, first 2 shown]
	global_load_dwordx4 v[0:3], v[250:251], off
	s_waitcnt vmcnt(0)
	scratch_store_dwordx4 off, v[0:3], off  ; 16-byte Folded Spill
	global_load_dwordx4 v[104:107], v[248:249], off
	global_load_dwordx4 v[100:103], v[158:159], off
	;; [unrolled: 1-line block ×28, first 2 shown]
	s_and_saveexec_b64 s[10:11], s[0:1]
	s_cbranch_execz .LBB99_8
; %bb.2:
	scratch_load_dwordx4 v[200:203], off, off offset:336 ; 16-byte Folded Reload
	s_waitcnt vmcnt(0)
	ds_write2_b64 v194, v[200:201], v[202:203] offset1:1
	scratch_load_dwordx4 v[200:203], off, off offset:320 ; 16-byte Folded Reload
	s_waitcnt vmcnt(0)
	ds_write2_b64 v233, v[200:201], v[202:203] offset0:2 offset1:3
	scratch_load_dwordx4 v[200:203], off, off offset:304 ; 16-byte Folded Reload
	s_waitcnt vmcnt(0)
	ds_write2_b64 v233, v[200:201], v[202:203] offset0:4 offset1:5
	;; [unrolled: 3-line block ×20, first 2 shown]
	scratch_load_dwordx4 v[200:203], off, off ; 16-byte Folded Reload
	s_waitcnt vmcnt(0)
	ds_write2_b64 v233, v[200:201], v[202:203] offset0:42 offset1:43
	ds_write2_b64 v233, v[104:105], v[106:107] offset0:44 offset1:45
	;; [unrolled: 1-line block ×29, first 2 shown]
	ds_read2_b64 v[200:203], v194 offset1:1
	s_waitcnt lgkmcnt(0)
	v_cmp_neq_f64_e32 vcc, 0, v[200:201]
	v_cmp_neq_f64_e64 s[4:5], 0, v[202:203]
	s_or_b64 s[4:5], vcc, s[4:5]
	s_and_b64 exec, exec, s[4:5]
	s_cbranch_execz .LBB99_8
; %bb.3:
	v_cmp_ngt_f64_e64 s[4:5], |v[200:201]|, |v[202:203]|
                                        ; implicit-def: $vgpr204_vgpr205
	s_and_saveexec_b64 s[12:13], s[4:5]
	s_xor_b64 s[4:5], exec, s[12:13]
                                        ; implicit-def: $vgpr206_vgpr207
	s_cbranch_execz .LBB99_5
; %bb.4:
	v_div_scale_f64 v[204:205], s[12:13], v[202:203], v[202:203], v[200:201]
	v_rcp_f64_e32 v[206:207], v[204:205]
	v_div_scale_f64 v[208:209], vcc, v[200:201], v[202:203], v[200:201]
	v_fma_f64 v[210:211], -v[204:205], v[206:207], 1.0
	v_fmac_f64_e32 v[206:207], v[206:207], v[210:211]
	v_fma_f64 v[210:211], -v[204:205], v[206:207], 1.0
	v_fmac_f64_e32 v[206:207], v[206:207], v[210:211]
	v_mul_f64 v[210:211], v[208:209], v[206:207]
	v_fma_f64 v[204:205], -v[204:205], v[210:211], v[208:209]
	v_div_fmas_f64 v[204:205], v[204:205], v[206:207], v[210:211]
	v_div_fixup_f64 v[204:205], v[204:205], v[202:203], v[200:201]
	v_fmac_f64_e32 v[202:203], v[200:201], v[204:205]
	v_div_scale_f64 v[200:201], s[12:13], v[202:203], v[202:203], 1.0
	v_rcp_f64_e32 v[206:207], v[200:201]
	s_nop 0
	v_fma_f64 v[208:209], -v[200:201], v[206:207], 1.0
	v_fmac_f64_e32 v[206:207], v[206:207], v[208:209]
	v_fma_f64 v[208:209], -v[200:201], v[206:207], 1.0
	v_fmac_f64_e32 v[206:207], v[206:207], v[208:209]
	v_div_scale_f64 v[208:209], vcc, 1.0, v[202:203], 1.0
	v_mul_f64 v[210:211], v[208:209], v[206:207]
	v_fma_f64 v[200:201], -v[200:201], v[210:211], v[208:209]
	s_nop 1
	v_div_fmas_f64 v[200:201], v[200:201], v[206:207], v[210:211]
	v_div_fixup_f64 v[206:207], v[200:201], v[202:203], 1.0
	v_mul_f64 v[204:205], v[204:205], v[206:207]
	v_xor_b32_e32 v207, 0x80000000, v207
                                        ; implicit-def: $vgpr200_vgpr201
.LBB99_5:
	s_andn2_saveexec_b64 s[4:5], s[4:5]
	s_cbranch_execz .LBB99_7
; %bb.6:
	v_div_scale_f64 v[204:205], s[12:13], v[200:201], v[200:201], v[202:203]
	v_rcp_f64_e32 v[206:207], v[204:205]
	v_div_scale_f64 v[208:209], vcc, v[202:203], v[200:201], v[202:203]
	v_fma_f64 v[210:211], -v[204:205], v[206:207], 1.0
	v_fmac_f64_e32 v[206:207], v[206:207], v[210:211]
	v_fma_f64 v[210:211], -v[204:205], v[206:207], 1.0
	v_fmac_f64_e32 v[206:207], v[206:207], v[210:211]
	v_mul_f64 v[210:211], v[208:209], v[206:207]
	v_fma_f64 v[204:205], -v[204:205], v[210:211], v[208:209]
	v_div_fmas_f64 v[204:205], v[204:205], v[206:207], v[210:211]
	v_div_fixup_f64 v[206:207], v[204:205], v[200:201], v[202:203]
	v_fmac_f64_e32 v[200:201], v[202:203], v[206:207]
	v_div_scale_f64 v[202:203], s[12:13], v[200:201], v[200:201], 1.0
	v_rcp_f64_e32 v[204:205], v[202:203]
	s_nop 0
	v_fma_f64 v[208:209], -v[202:203], v[204:205], 1.0
	v_fmac_f64_e32 v[204:205], v[204:205], v[208:209]
	v_fma_f64 v[208:209], -v[202:203], v[204:205], 1.0
	v_fmac_f64_e32 v[204:205], v[204:205], v[208:209]
	v_div_scale_f64 v[208:209], vcc, 1.0, v[200:201], 1.0
	v_mul_f64 v[210:211], v[208:209], v[204:205]
	v_fma_f64 v[202:203], -v[202:203], v[210:211], v[208:209]
	s_nop 1
	v_div_fmas_f64 v[202:203], v[202:203], v[204:205], v[210:211]
	v_div_fixup_f64 v[204:205], v[202:203], v[200:201], 1.0
	v_mul_f64 v[206:207], v[206:207], -v[204:205]
.LBB99_7:
	s_or_b64 exec, exec, s[4:5]
	ds_write2_b64 v194, v[204:205], v[206:207] offset1:1
.LBB99_8:
	s_or_b64 exec, exec, s[10:11]
	s_waitcnt lgkmcnt(0)
	s_barrier
	ds_read2_b64 v[200:203], v194 offset1:1
	s_waitcnt lgkmcnt(0)
	scratch_store_dwordx4 off, v[200:203], off offset:352 ; 16-byte Folded Spill
	s_and_saveexec_b64 s[4:5], s[2:3]
	s_cbranch_execz .LBB99_10
; %bb.9:
	scratch_load_dwordx4 v[206:209], off, off offset:336 ; 16-byte Folded Reload
	scratch_load_dwordx4 v[202:205], off, off offset:352 ; 16-byte Folded Reload
	s_waitcnt vmcnt(0)
	v_mul_f64 v[200:201], v[204:205], v[208:209]
	v_mul_f64 v[208:209], v[202:203], v[208:209]
	v_fma_f64 v[200:201], v[202:203], v[206:207], -v[200:201]
	v_fmac_f64_e32 v[208:209], v[204:205], v[206:207]
	ds_read2_b64 v[202:205], v233 offset0:2 offset1:3
	s_waitcnt lgkmcnt(0)
	v_mul_f64 v[192:193], v[204:205], v[208:209]
	v_fma_f64 v[192:193], v[202:203], v[200:201], -v[192:193]
	v_mul_f64 v[202:203], v[202:203], v[208:209]
	v_fmac_f64_e32 v[202:203], v[204:205], v[200:201]
	scratch_load_dwordx4 v[204:207], off, off offset:320 ; 16-byte Folded Reload
	s_waitcnt vmcnt(0)
	v_add_f64 v[204:205], v[204:205], -v[192:193]
	v_add_f64 v[206:207], v[206:207], -v[202:203]
	scratch_store_dwordx4 off, v[204:207], off offset:320 ; 16-byte Folded Spill
	ds_read2_b64 v[202:205], v233 offset0:4 offset1:5
	s_waitcnt lgkmcnt(0)
	v_mul_f64 v[192:193], v[204:205], v[208:209]
	v_fma_f64 v[192:193], v[202:203], v[200:201], -v[192:193]
	v_mul_f64 v[202:203], v[202:203], v[208:209]
	v_fmac_f64_e32 v[202:203], v[204:205], v[200:201]
	scratch_load_dwordx4 v[204:207], off, off offset:304 ; 16-byte Folded Reload
	s_waitcnt vmcnt(0)
	v_add_f64 v[204:205], v[204:205], -v[192:193]
	v_add_f64 v[206:207], v[206:207], -v[202:203]
	scratch_store_dwordx4 off, v[204:207], off offset:304 ; 16-byte Folded Spill
	;; [unrolled: 11-line block ×20, first 2 shown]
	ds_read2_b64 v[202:205], v233 offset0:42 offset1:43
	s_waitcnt lgkmcnt(0)
	v_mul_f64 v[192:193], v[204:205], v[208:209]
	v_fma_f64 v[192:193], v[202:203], v[200:201], -v[192:193]
	v_mul_f64 v[202:203], v[202:203], v[208:209]
	v_fmac_f64_e32 v[202:203], v[204:205], v[200:201]
	scratch_load_dwordx4 v[204:207], off, off ; 16-byte Folded Reload
	s_waitcnt vmcnt(0)
	v_add_f64 v[204:205], v[204:205], -v[192:193]
	v_add_f64 v[206:207], v[206:207], -v[202:203]
	scratch_store_dwordx4 off, v[204:207], off ; 16-byte Folded Spill
	ds_read2_b64 v[202:205], v233 offset0:44 offset1:45
	s_waitcnt lgkmcnt(0)
	v_mul_f64 v[192:193], v[204:205], v[208:209]
	v_fma_f64 v[192:193], v[202:203], v[200:201], -v[192:193]
	v_mul_f64 v[202:203], v[202:203], v[208:209]
	v_fmac_f64_e32 v[202:203], v[204:205], v[200:201]
	v_add_f64 v[106:107], v[106:107], -v[202:203]
	ds_read2_b64 v[202:205], v233 offset0:46 offset1:47
	v_add_f64 v[104:105], v[104:105], -v[192:193]
	v_mov_b64_e32 v[206:207], v[200:201]
	scratch_store_dwordx4 off, v[206:209], off offset:336 ; 16-byte Folded Spill
	s_waitcnt lgkmcnt(0)
	v_mul_f64 v[192:193], v[204:205], v[208:209]
	v_fma_f64 v[192:193], v[202:203], v[200:201], -v[192:193]
	v_mul_f64 v[202:203], v[202:203], v[208:209]
	v_fmac_f64_e32 v[202:203], v[204:205], v[200:201]
	v_add_f64 v[102:103], v[102:103], -v[202:203]
	ds_read2_b64 v[202:205], v233 offset0:48 offset1:49
	v_add_f64 v[100:101], v[100:101], -v[192:193]
	s_waitcnt lgkmcnt(0)
	v_mul_f64 v[192:193], v[204:205], v[208:209]
	v_fma_f64 v[192:193], v[202:203], v[200:201], -v[192:193]
	v_mul_f64 v[202:203], v[202:203], v[208:209]
	v_fmac_f64_e32 v[202:203], v[204:205], v[200:201]
	v_add_f64 v[98:99], v[98:99], -v[202:203]
	ds_read2_b64 v[202:205], v233 offset0:50 offset1:51
	v_add_f64 v[96:97], v[96:97], -v[192:193]
	;; [unrolled: 8-line block ×26, first 2 shown]
	s_waitcnt lgkmcnt(0)
	v_mul_f64 v[192:193], v[204:205], v[208:209]
	v_fma_f64 v[192:193], v[202:203], v[200:201], -v[192:193]
	v_mul_f64 v[202:203], v[202:203], v[208:209]
	v_fmac_f64_e32 v[202:203], v[204:205], v[200:201]
	v_add_f64 v[196:197], v[196:197], -v[192:193]
	v_add_f64 v[198:199], v[198:199], -v[202:203]
.LBB99_10:
	s_or_b64 exec, exec, s[4:5]
	v_cmp_eq_u32_e32 vcc, 1, v234
	s_barrier
	s_and_saveexec_b64 s[4:5], vcc
	s_cbranch_execz .LBB99_17
; %bb.11:
	scratch_load_dwordx4 v[200:203], off, off offset:320 ; 16-byte Folded Reload
	s_waitcnt vmcnt(0)
	ds_write2_b64 v194, v[200:201], v[202:203] offset1:1
	scratch_load_dwordx4 v[200:203], off, off offset:304 ; 16-byte Folded Reload
	s_waitcnt vmcnt(0)
	ds_write2_b64 v233, v[200:201], v[202:203] offset0:4 offset1:5
	scratch_load_dwordx4 v[200:203], off, off offset:288 ; 16-byte Folded Reload
	s_waitcnt vmcnt(0)
	ds_write2_b64 v233, v[200:201], v[202:203] offset0:6 offset1:7
	;; [unrolled: 3-line block ×19, first 2 shown]
	scratch_load_dwordx4 v[200:203], off, off ; 16-byte Folded Reload
	s_waitcnt vmcnt(0)
	ds_write2_b64 v233, v[200:201], v[202:203] offset0:42 offset1:43
	ds_write2_b64 v233, v[104:105], v[106:107] offset0:44 offset1:45
	;; [unrolled: 1-line block ×29, first 2 shown]
	ds_read2_b64 v[200:203], v194 offset1:1
	s_waitcnt lgkmcnt(0)
	v_cmp_neq_f64_e32 vcc, 0, v[200:201]
	v_cmp_neq_f64_e64 s[2:3], 0, v[202:203]
	s_or_b64 s[2:3], vcc, s[2:3]
	s_and_b64 exec, exec, s[2:3]
	s_cbranch_execz .LBB99_17
; %bb.12:
	v_cmp_ngt_f64_e64 s[2:3], |v[200:201]|, |v[202:203]|
                                        ; implicit-def: $vgpr204_vgpr205
	s_and_saveexec_b64 s[10:11], s[2:3]
	s_xor_b64 s[2:3], exec, s[10:11]
                                        ; implicit-def: $vgpr206_vgpr207
	s_cbranch_execz .LBB99_14
; %bb.13:
	v_div_scale_f64 v[204:205], s[10:11], v[202:203], v[202:203], v[200:201]
	v_rcp_f64_e32 v[206:207], v[204:205]
	v_div_scale_f64 v[208:209], vcc, v[200:201], v[202:203], v[200:201]
	v_fma_f64 v[210:211], -v[204:205], v[206:207], 1.0
	v_fmac_f64_e32 v[206:207], v[206:207], v[210:211]
	v_fma_f64 v[210:211], -v[204:205], v[206:207], 1.0
	v_fmac_f64_e32 v[206:207], v[206:207], v[210:211]
	v_mul_f64 v[210:211], v[208:209], v[206:207]
	v_fma_f64 v[204:205], -v[204:205], v[210:211], v[208:209]
	v_div_fmas_f64 v[204:205], v[204:205], v[206:207], v[210:211]
	v_div_fixup_f64 v[204:205], v[204:205], v[202:203], v[200:201]
	v_fmac_f64_e32 v[202:203], v[200:201], v[204:205]
	v_div_scale_f64 v[200:201], s[10:11], v[202:203], v[202:203], 1.0
	v_rcp_f64_e32 v[206:207], v[200:201]
	s_nop 0
	v_fma_f64 v[208:209], -v[200:201], v[206:207], 1.0
	v_fmac_f64_e32 v[206:207], v[206:207], v[208:209]
	v_fma_f64 v[208:209], -v[200:201], v[206:207], 1.0
	v_fmac_f64_e32 v[206:207], v[206:207], v[208:209]
	v_div_scale_f64 v[208:209], vcc, 1.0, v[202:203], 1.0
	v_mul_f64 v[210:211], v[208:209], v[206:207]
	v_fma_f64 v[200:201], -v[200:201], v[210:211], v[208:209]
	s_nop 1
	v_div_fmas_f64 v[200:201], v[200:201], v[206:207], v[210:211]
	v_div_fixup_f64 v[206:207], v[200:201], v[202:203], 1.0
	v_mul_f64 v[204:205], v[204:205], v[206:207]
	v_xor_b32_e32 v207, 0x80000000, v207
                                        ; implicit-def: $vgpr200_vgpr201
.LBB99_14:
	s_andn2_saveexec_b64 s[2:3], s[2:3]
	s_cbranch_execz .LBB99_16
; %bb.15:
	v_div_scale_f64 v[204:205], s[10:11], v[200:201], v[200:201], v[202:203]
	v_rcp_f64_e32 v[206:207], v[204:205]
	v_div_scale_f64 v[208:209], vcc, v[202:203], v[200:201], v[202:203]
	v_fma_f64 v[210:211], -v[204:205], v[206:207], 1.0
	v_fmac_f64_e32 v[206:207], v[206:207], v[210:211]
	v_fma_f64 v[210:211], -v[204:205], v[206:207], 1.0
	v_fmac_f64_e32 v[206:207], v[206:207], v[210:211]
	v_mul_f64 v[210:211], v[208:209], v[206:207]
	v_fma_f64 v[204:205], -v[204:205], v[210:211], v[208:209]
	v_div_fmas_f64 v[204:205], v[204:205], v[206:207], v[210:211]
	v_div_fixup_f64 v[206:207], v[204:205], v[200:201], v[202:203]
	v_fmac_f64_e32 v[200:201], v[202:203], v[206:207]
	v_div_scale_f64 v[202:203], s[10:11], v[200:201], v[200:201], 1.0
	v_rcp_f64_e32 v[204:205], v[202:203]
	s_nop 0
	v_fma_f64 v[208:209], -v[202:203], v[204:205], 1.0
	v_fmac_f64_e32 v[204:205], v[204:205], v[208:209]
	v_fma_f64 v[208:209], -v[202:203], v[204:205], 1.0
	v_fmac_f64_e32 v[204:205], v[204:205], v[208:209]
	v_div_scale_f64 v[208:209], vcc, 1.0, v[200:201], 1.0
	v_mul_f64 v[210:211], v[208:209], v[204:205]
	v_fma_f64 v[202:203], -v[202:203], v[210:211], v[208:209]
	s_nop 1
	v_div_fmas_f64 v[202:203], v[202:203], v[204:205], v[210:211]
	v_div_fixup_f64 v[204:205], v[202:203], v[200:201], 1.0
	v_mul_f64 v[206:207], v[206:207], -v[204:205]
.LBB99_16:
	s_or_b64 exec, exec, s[2:3]
	ds_write2_b64 v194, v[204:205], v[206:207] offset1:1
.LBB99_17:
	s_or_b64 exec, exec, s[4:5]
	s_waitcnt lgkmcnt(0)
	s_barrier
	ds_read2_b64 v[200:203], v194 offset1:1
	v_cmp_lt_u32_e32 vcc, 1, v234
	s_waitcnt lgkmcnt(0)
	scratch_store_dwordx4 off, v[200:203], off offset:368 ; 16-byte Folded Spill
	s_and_saveexec_b64 s[2:3], vcc
	s_cbranch_execz .LBB99_19
; %bb.18:
	scratch_load_dwordx4 v[206:209], off, off offset:320 ; 16-byte Folded Reload
	scratch_load_dwordx4 v[202:205], off, off offset:368 ; 16-byte Folded Reload
	s_waitcnt vmcnt(0)
	v_mul_f64 v[200:201], v[204:205], v[208:209]
	v_mul_f64 v[208:209], v[202:203], v[208:209]
	v_fma_f64 v[200:201], v[202:203], v[206:207], -v[200:201]
	v_fmac_f64_e32 v[208:209], v[204:205], v[206:207]
	ds_read2_b64 v[202:205], v233 offset0:4 offset1:5
	s_waitcnt lgkmcnt(0)
	v_mul_f64 v[188:189], v[204:205], v[208:209]
	v_fma_f64 v[188:189], v[202:203], v[200:201], -v[188:189]
	v_mul_f64 v[202:203], v[202:203], v[208:209]
	v_fmac_f64_e32 v[202:203], v[204:205], v[200:201]
	scratch_load_dwordx4 v[204:207], off, off offset:304 ; 16-byte Folded Reload
	s_waitcnt vmcnt(0)
	v_add_f64 v[204:205], v[204:205], -v[188:189]
	v_add_f64 v[206:207], v[206:207], -v[202:203]
	scratch_store_dwordx4 off, v[204:207], off offset:304 ; 16-byte Folded Spill
	ds_read2_b64 v[202:205], v233 offset0:6 offset1:7
	s_waitcnt lgkmcnt(0)
	v_mul_f64 v[188:189], v[204:205], v[208:209]
	v_fma_f64 v[188:189], v[202:203], v[200:201], -v[188:189]
	v_mul_f64 v[202:203], v[202:203], v[208:209]
	v_fmac_f64_e32 v[202:203], v[204:205], v[200:201]
	scratch_load_dwordx4 v[204:207], off, off offset:288 ; 16-byte Folded Reload
	s_waitcnt vmcnt(0)
	v_add_f64 v[204:205], v[204:205], -v[188:189]
	v_add_f64 v[206:207], v[206:207], -v[202:203]
	scratch_store_dwordx4 off, v[204:207], off offset:288 ; 16-byte Folded Spill
	;; [unrolled: 11-line block ×19, first 2 shown]
	ds_read2_b64 v[202:205], v233 offset0:42 offset1:43
	s_waitcnt lgkmcnt(0)
	v_mul_f64 v[188:189], v[204:205], v[208:209]
	v_fma_f64 v[188:189], v[202:203], v[200:201], -v[188:189]
	v_mul_f64 v[202:203], v[202:203], v[208:209]
	v_fmac_f64_e32 v[202:203], v[204:205], v[200:201]
	scratch_load_dwordx4 v[204:207], off, off ; 16-byte Folded Reload
	s_waitcnt vmcnt(0)
	v_add_f64 v[204:205], v[204:205], -v[188:189]
	v_add_f64 v[206:207], v[206:207], -v[202:203]
	scratch_store_dwordx4 off, v[204:207], off ; 16-byte Folded Spill
	ds_read2_b64 v[202:205], v233 offset0:44 offset1:45
	s_waitcnt lgkmcnt(0)
	v_mul_f64 v[188:189], v[204:205], v[208:209]
	v_fma_f64 v[188:189], v[202:203], v[200:201], -v[188:189]
	v_mul_f64 v[202:203], v[202:203], v[208:209]
	v_fmac_f64_e32 v[202:203], v[204:205], v[200:201]
	v_add_f64 v[106:107], v[106:107], -v[202:203]
	ds_read2_b64 v[202:205], v233 offset0:46 offset1:47
	v_add_f64 v[104:105], v[104:105], -v[188:189]
	v_mov_b64_e32 v[206:207], v[200:201]
	scratch_store_dwordx4 off, v[206:209], off offset:320 ; 16-byte Folded Spill
	s_waitcnt lgkmcnt(0)
	v_mul_f64 v[188:189], v[204:205], v[208:209]
	v_fma_f64 v[188:189], v[202:203], v[200:201], -v[188:189]
	v_mul_f64 v[202:203], v[202:203], v[208:209]
	v_fmac_f64_e32 v[202:203], v[204:205], v[200:201]
	v_add_f64 v[102:103], v[102:103], -v[202:203]
	ds_read2_b64 v[202:205], v233 offset0:48 offset1:49
	v_add_f64 v[100:101], v[100:101], -v[188:189]
	s_waitcnt lgkmcnt(0)
	v_mul_f64 v[188:189], v[204:205], v[208:209]
	v_fma_f64 v[188:189], v[202:203], v[200:201], -v[188:189]
	v_mul_f64 v[202:203], v[202:203], v[208:209]
	v_fmac_f64_e32 v[202:203], v[204:205], v[200:201]
	v_add_f64 v[98:99], v[98:99], -v[202:203]
	ds_read2_b64 v[202:205], v233 offset0:50 offset1:51
	v_add_f64 v[96:97], v[96:97], -v[188:189]
	;; [unrolled: 8-line block ×26, first 2 shown]
	s_waitcnt lgkmcnt(0)
	v_mul_f64 v[188:189], v[204:205], v[208:209]
	v_fma_f64 v[188:189], v[202:203], v[200:201], -v[188:189]
	v_mul_f64 v[202:203], v[202:203], v[208:209]
	v_fmac_f64_e32 v[202:203], v[204:205], v[200:201]
	v_add_f64 v[196:197], v[196:197], -v[188:189]
	v_add_f64 v[198:199], v[198:199], -v[202:203]
.LBB99_19:
	s_or_b64 exec, exec, s[2:3]
	v_cmp_eq_u32_e32 vcc, 2, v234
	s_barrier
	s_and_saveexec_b64 s[4:5], vcc
	s_cbranch_execz .LBB99_26
; %bb.20:
	scratch_load_dwordx4 v[200:203], off, off offset:304 ; 16-byte Folded Reload
	s_waitcnt vmcnt(0)
	ds_write2_b64 v194, v[200:201], v[202:203] offset1:1
	scratch_load_dwordx4 v[200:203], off, off offset:288 ; 16-byte Folded Reload
	s_waitcnt vmcnt(0)
	ds_write2_b64 v233, v[200:201], v[202:203] offset0:6 offset1:7
	scratch_load_dwordx4 v[200:203], off, off offset:272 ; 16-byte Folded Reload
	s_waitcnt vmcnt(0)
	ds_write2_b64 v233, v[200:201], v[202:203] offset0:8 offset1:9
	;; [unrolled: 3-line block ×18, first 2 shown]
	scratch_load_dwordx4 v[200:203], off, off ; 16-byte Folded Reload
	s_waitcnt vmcnt(0)
	ds_write2_b64 v233, v[200:201], v[202:203] offset0:42 offset1:43
	ds_write2_b64 v233, v[104:105], v[106:107] offset0:44 offset1:45
	;; [unrolled: 1-line block ×29, first 2 shown]
	ds_read2_b64 v[200:203], v194 offset1:1
	s_waitcnt lgkmcnt(0)
	v_cmp_neq_f64_e32 vcc, 0, v[200:201]
	v_cmp_neq_f64_e64 s[2:3], 0, v[202:203]
	s_or_b64 s[2:3], vcc, s[2:3]
	s_and_b64 exec, exec, s[2:3]
	s_cbranch_execz .LBB99_26
; %bb.21:
	v_cmp_ngt_f64_e64 s[2:3], |v[200:201]|, |v[202:203]|
                                        ; implicit-def: $vgpr204_vgpr205
	s_and_saveexec_b64 s[10:11], s[2:3]
	s_xor_b64 s[2:3], exec, s[10:11]
                                        ; implicit-def: $vgpr206_vgpr207
	s_cbranch_execz .LBB99_23
; %bb.22:
	v_div_scale_f64 v[204:205], s[10:11], v[202:203], v[202:203], v[200:201]
	v_rcp_f64_e32 v[206:207], v[204:205]
	v_div_scale_f64 v[208:209], vcc, v[200:201], v[202:203], v[200:201]
	v_fma_f64 v[210:211], -v[204:205], v[206:207], 1.0
	v_fmac_f64_e32 v[206:207], v[206:207], v[210:211]
	v_fma_f64 v[210:211], -v[204:205], v[206:207], 1.0
	v_fmac_f64_e32 v[206:207], v[206:207], v[210:211]
	v_mul_f64 v[210:211], v[208:209], v[206:207]
	v_fma_f64 v[204:205], -v[204:205], v[210:211], v[208:209]
	v_div_fmas_f64 v[204:205], v[204:205], v[206:207], v[210:211]
	v_div_fixup_f64 v[204:205], v[204:205], v[202:203], v[200:201]
	v_fmac_f64_e32 v[202:203], v[200:201], v[204:205]
	v_div_scale_f64 v[200:201], s[10:11], v[202:203], v[202:203], 1.0
	v_rcp_f64_e32 v[206:207], v[200:201]
	s_nop 0
	v_fma_f64 v[208:209], -v[200:201], v[206:207], 1.0
	v_fmac_f64_e32 v[206:207], v[206:207], v[208:209]
	v_fma_f64 v[208:209], -v[200:201], v[206:207], 1.0
	v_fmac_f64_e32 v[206:207], v[206:207], v[208:209]
	v_div_scale_f64 v[208:209], vcc, 1.0, v[202:203], 1.0
	v_mul_f64 v[210:211], v[208:209], v[206:207]
	v_fma_f64 v[200:201], -v[200:201], v[210:211], v[208:209]
	s_nop 1
	v_div_fmas_f64 v[200:201], v[200:201], v[206:207], v[210:211]
	v_div_fixup_f64 v[206:207], v[200:201], v[202:203], 1.0
	v_mul_f64 v[204:205], v[204:205], v[206:207]
	v_xor_b32_e32 v207, 0x80000000, v207
                                        ; implicit-def: $vgpr200_vgpr201
.LBB99_23:
	s_andn2_saveexec_b64 s[2:3], s[2:3]
	s_cbranch_execz .LBB99_25
; %bb.24:
	v_div_scale_f64 v[204:205], s[10:11], v[200:201], v[200:201], v[202:203]
	v_rcp_f64_e32 v[206:207], v[204:205]
	v_div_scale_f64 v[208:209], vcc, v[202:203], v[200:201], v[202:203]
	v_fma_f64 v[210:211], -v[204:205], v[206:207], 1.0
	v_fmac_f64_e32 v[206:207], v[206:207], v[210:211]
	v_fma_f64 v[210:211], -v[204:205], v[206:207], 1.0
	v_fmac_f64_e32 v[206:207], v[206:207], v[210:211]
	v_mul_f64 v[210:211], v[208:209], v[206:207]
	v_fma_f64 v[204:205], -v[204:205], v[210:211], v[208:209]
	v_div_fmas_f64 v[204:205], v[204:205], v[206:207], v[210:211]
	v_div_fixup_f64 v[206:207], v[204:205], v[200:201], v[202:203]
	v_fmac_f64_e32 v[200:201], v[202:203], v[206:207]
	v_div_scale_f64 v[202:203], s[10:11], v[200:201], v[200:201], 1.0
	v_rcp_f64_e32 v[204:205], v[202:203]
	s_nop 0
	v_fma_f64 v[208:209], -v[202:203], v[204:205], 1.0
	v_fmac_f64_e32 v[204:205], v[204:205], v[208:209]
	v_fma_f64 v[208:209], -v[202:203], v[204:205], 1.0
	v_fmac_f64_e32 v[204:205], v[204:205], v[208:209]
	v_div_scale_f64 v[208:209], vcc, 1.0, v[200:201], 1.0
	v_mul_f64 v[210:211], v[208:209], v[204:205]
	v_fma_f64 v[202:203], -v[202:203], v[210:211], v[208:209]
	s_nop 1
	v_div_fmas_f64 v[202:203], v[202:203], v[204:205], v[210:211]
	v_div_fixup_f64 v[204:205], v[202:203], v[200:201], 1.0
	v_mul_f64 v[206:207], v[206:207], -v[204:205]
.LBB99_25:
	s_or_b64 exec, exec, s[2:3]
	ds_write2_b64 v194, v[204:205], v[206:207] offset1:1
.LBB99_26:
	s_or_b64 exec, exec, s[4:5]
	s_waitcnt lgkmcnt(0)
	s_barrier
	ds_read2_b64 v[200:203], v194 offset1:1
	v_cmp_lt_u32_e32 vcc, 2, v234
	s_waitcnt lgkmcnt(0)
	scratch_store_dwordx4 off, v[200:203], off offset:384 ; 16-byte Folded Spill
	s_and_saveexec_b64 s[2:3], vcc
	s_cbranch_execz .LBB99_28
; %bb.27:
	scratch_load_dwordx4 v[206:209], off, off offset:304 ; 16-byte Folded Reload
	scratch_load_dwordx4 v[202:205], off, off offset:384 ; 16-byte Folded Reload
	v_mov_b64_e32 v[188:189], v[184:185]
	s_waitcnt vmcnt(0)
	v_mul_f64 v[200:201], v[204:205], v[208:209]
	v_mul_f64 v[208:209], v[202:203], v[208:209]
	v_fma_f64 v[200:201], v[202:203], v[206:207], -v[200:201]
	v_fmac_f64_e32 v[208:209], v[204:205], v[206:207]
	ds_read2_b64 v[202:205], v233 offset0:6 offset1:7
	s_waitcnt lgkmcnt(0)
	v_mul_f64 v[184:185], v[204:205], v[208:209]
	v_fma_f64 v[184:185], v[202:203], v[200:201], -v[184:185]
	v_mul_f64 v[202:203], v[202:203], v[208:209]
	v_fmac_f64_e32 v[202:203], v[204:205], v[200:201]
	scratch_load_dwordx4 v[204:207], off, off offset:288 ; 16-byte Folded Reload
	s_waitcnt vmcnt(0)
	v_add_f64 v[204:205], v[204:205], -v[184:185]
	v_add_f64 v[206:207], v[206:207], -v[202:203]
	scratch_store_dwordx4 off, v[204:207], off offset:288 ; 16-byte Folded Spill
	ds_read2_b64 v[202:205], v233 offset0:8 offset1:9
	s_waitcnt lgkmcnt(0)
	v_mul_f64 v[184:185], v[204:205], v[208:209]
	v_fma_f64 v[184:185], v[202:203], v[200:201], -v[184:185]
	v_mul_f64 v[202:203], v[202:203], v[208:209]
	v_fmac_f64_e32 v[202:203], v[204:205], v[200:201]
	scratch_load_dwordx4 v[204:207], off, off offset:272 ; 16-byte Folded Reload
	s_waitcnt vmcnt(0)
	v_add_f64 v[204:205], v[204:205], -v[184:185]
	v_add_f64 v[206:207], v[206:207], -v[202:203]
	scratch_store_dwordx4 off, v[204:207], off offset:272 ; 16-byte Folded Spill
	;; [unrolled: 11-line block ×18, first 2 shown]
	ds_read2_b64 v[202:205], v233 offset0:42 offset1:43
	s_waitcnt lgkmcnt(0)
	v_mul_f64 v[184:185], v[204:205], v[208:209]
	v_fma_f64 v[184:185], v[202:203], v[200:201], -v[184:185]
	v_mul_f64 v[202:203], v[202:203], v[208:209]
	v_fmac_f64_e32 v[202:203], v[204:205], v[200:201]
	scratch_load_dwordx4 v[204:207], off, off ; 16-byte Folded Reload
	s_waitcnt vmcnt(0)
	v_add_f64 v[204:205], v[204:205], -v[184:185]
	v_add_f64 v[206:207], v[206:207], -v[202:203]
	scratch_store_dwordx4 off, v[204:207], off ; 16-byte Folded Spill
	ds_read2_b64 v[202:205], v233 offset0:44 offset1:45
	s_waitcnt lgkmcnt(0)
	v_mul_f64 v[184:185], v[204:205], v[208:209]
	v_fma_f64 v[184:185], v[202:203], v[200:201], -v[184:185]
	v_mul_f64 v[202:203], v[202:203], v[208:209]
	v_fmac_f64_e32 v[202:203], v[204:205], v[200:201]
	v_add_f64 v[106:107], v[106:107], -v[202:203]
	ds_read2_b64 v[202:205], v233 offset0:46 offset1:47
	v_add_f64 v[104:105], v[104:105], -v[184:185]
	v_mov_b64_e32 v[206:207], v[200:201]
	scratch_store_dwordx4 off, v[206:209], off offset:304 ; 16-byte Folded Spill
	s_waitcnt lgkmcnt(0)
	v_mul_f64 v[184:185], v[204:205], v[208:209]
	v_fma_f64 v[184:185], v[202:203], v[200:201], -v[184:185]
	v_mul_f64 v[202:203], v[202:203], v[208:209]
	v_fmac_f64_e32 v[202:203], v[204:205], v[200:201]
	v_add_f64 v[102:103], v[102:103], -v[202:203]
	ds_read2_b64 v[202:205], v233 offset0:48 offset1:49
	v_add_f64 v[100:101], v[100:101], -v[184:185]
	s_waitcnt lgkmcnt(0)
	v_mul_f64 v[184:185], v[204:205], v[208:209]
	v_fma_f64 v[184:185], v[202:203], v[200:201], -v[184:185]
	v_mul_f64 v[202:203], v[202:203], v[208:209]
	v_fmac_f64_e32 v[202:203], v[204:205], v[200:201]
	v_add_f64 v[98:99], v[98:99], -v[202:203]
	ds_read2_b64 v[202:205], v233 offset0:50 offset1:51
	v_add_f64 v[96:97], v[96:97], -v[184:185]
	;; [unrolled: 8-line block ×26, first 2 shown]
	s_waitcnt lgkmcnt(0)
	v_mul_f64 v[184:185], v[204:205], v[208:209]
	v_fma_f64 v[184:185], v[202:203], v[200:201], -v[184:185]
	v_mul_f64 v[202:203], v[202:203], v[208:209]
	v_fmac_f64_e32 v[202:203], v[204:205], v[200:201]
	v_add_f64 v[196:197], v[196:197], -v[184:185]
	v_mov_b64_e32 v[184:185], v[188:189]
	v_add_f64 v[198:199], v[198:199], -v[202:203]
.LBB99_28:
	s_or_b64 exec, exec, s[2:3]
	v_cmp_eq_u32_e32 vcc, 3, v234
	s_barrier
	s_and_saveexec_b64 s[4:5], vcc
	s_cbranch_execz .LBB99_35
; %bb.29:
	scratch_load_dwordx4 v[200:203], off, off offset:288 ; 16-byte Folded Reload
	s_waitcnt vmcnt(0)
	ds_write2_b64 v194, v[200:201], v[202:203] offset1:1
	scratch_load_dwordx4 v[200:203], off, off offset:272 ; 16-byte Folded Reload
	s_waitcnt vmcnt(0)
	ds_write2_b64 v233, v[200:201], v[202:203] offset0:8 offset1:9
	scratch_load_dwordx4 v[200:203], off, off offset:256 ; 16-byte Folded Reload
	s_waitcnt vmcnt(0)
	ds_write2_b64 v233, v[200:201], v[202:203] offset0:10 offset1:11
	;; [unrolled: 3-line block ×17, first 2 shown]
	scratch_load_dwordx4 v[200:203], off, off ; 16-byte Folded Reload
	s_waitcnt vmcnt(0)
	ds_write2_b64 v233, v[200:201], v[202:203] offset0:42 offset1:43
	ds_write2_b64 v233, v[104:105], v[106:107] offset0:44 offset1:45
	;; [unrolled: 1-line block ×29, first 2 shown]
	ds_read2_b64 v[200:203], v194 offset1:1
	s_waitcnt lgkmcnt(0)
	v_cmp_neq_f64_e32 vcc, 0, v[200:201]
	v_cmp_neq_f64_e64 s[2:3], 0, v[202:203]
	s_or_b64 s[2:3], vcc, s[2:3]
	s_and_b64 exec, exec, s[2:3]
	s_cbranch_execz .LBB99_35
; %bb.30:
	v_cmp_ngt_f64_e64 s[2:3], |v[200:201]|, |v[202:203]|
                                        ; implicit-def: $vgpr204_vgpr205
	s_and_saveexec_b64 s[10:11], s[2:3]
	s_xor_b64 s[2:3], exec, s[10:11]
                                        ; implicit-def: $vgpr206_vgpr207
	s_cbranch_execz .LBB99_32
; %bb.31:
	v_div_scale_f64 v[204:205], s[10:11], v[202:203], v[202:203], v[200:201]
	v_rcp_f64_e32 v[206:207], v[204:205]
	v_div_scale_f64 v[208:209], vcc, v[200:201], v[202:203], v[200:201]
	v_fma_f64 v[210:211], -v[204:205], v[206:207], 1.0
	v_fmac_f64_e32 v[206:207], v[206:207], v[210:211]
	v_fma_f64 v[210:211], -v[204:205], v[206:207], 1.0
	v_fmac_f64_e32 v[206:207], v[206:207], v[210:211]
	v_mul_f64 v[210:211], v[208:209], v[206:207]
	v_fma_f64 v[204:205], -v[204:205], v[210:211], v[208:209]
	v_div_fmas_f64 v[204:205], v[204:205], v[206:207], v[210:211]
	v_div_fixup_f64 v[204:205], v[204:205], v[202:203], v[200:201]
	v_fmac_f64_e32 v[202:203], v[200:201], v[204:205]
	v_div_scale_f64 v[200:201], s[10:11], v[202:203], v[202:203], 1.0
	v_rcp_f64_e32 v[206:207], v[200:201]
	s_nop 0
	v_fma_f64 v[208:209], -v[200:201], v[206:207], 1.0
	v_fmac_f64_e32 v[206:207], v[206:207], v[208:209]
	v_fma_f64 v[208:209], -v[200:201], v[206:207], 1.0
	v_fmac_f64_e32 v[206:207], v[206:207], v[208:209]
	v_div_scale_f64 v[208:209], vcc, 1.0, v[202:203], 1.0
	v_mul_f64 v[210:211], v[208:209], v[206:207]
	v_fma_f64 v[200:201], -v[200:201], v[210:211], v[208:209]
	s_nop 1
	v_div_fmas_f64 v[200:201], v[200:201], v[206:207], v[210:211]
	v_div_fixup_f64 v[206:207], v[200:201], v[202:203], 1.0
	v_mul_f64 v[204:205], v[204:205], v[206:207]
	v_xor_b32_e32 v207, 0x80000000, v207
                                        ; implicit-def: $vgpr200_vgpr201
.LBB99_32:
	s_andn2_saveexec_b64 s[2:3], s[2:3]
	s_cbranch_execz .LBB99_34
; %bb.33:
	v_div_scale_f64 v[204:205], s[10:11], v[200:201], v[200:201], v[202:203]
	v_rcp_f64_e32 v[206:207], v[204:205]
	v_div_scale_f64 v[208:209], vcc, v[202:203], v[200:201], v[202:203]
	v_fma_f64 v[210:211], -v[204:205], v[206:207], 1.0
	v_fmac_f64_e32 v[206:207], v[206:207], v[210:211]
	v_fma_f64 v[210:211], -v[204:205], v[206:207], 1.0
	v_fmac_f64_e32 v[206:207], v[206:207], v[210:211]
	v_mul_f64 v[210:211], v[208:209], v[206:207]
	v_fma_f64 v[204:205], -v[204:205], v[210:211], v[208:209]
	v_div_fmas_f64 v[204:205], v[204:205], v[206:207], v[210:211]
	v_div_fixup_f64 v[206:207], v[204:205], v[200:201], v[202:203]
	v_fmac_f64_e32 v[200:201], v[202:203], v[206:207]
	v_div_scale_f64 v[202:203], s[10:11], v[200:201], v[200:201], 1.0
	v_rcp_f64_e32 v[204:205], v[202:203]
	s_nop 0
	v_fma_f64 v[208:209], -v[202:203], v[204:205], 1.0
	v_fmac_f64_e32 v[204:205], v[204:205], v[208:209]
	v_fma_f64 v[208:209], -v[202:203], v[204:205], 1.0
	v_fmac_f64_e32 v[204:205], v[204:205], v[208:209]
	v_div_scale_f64 v[208:209], vcc, 1.0, v[200:201], 1.0
	v_mul_f64 v[210:211], v[208:209], v[204:205]
	v_fma_f64 v[202:203], -v[202:203], v[210:211], v[208:209]
	s_nop 1
	v_div_fmas_f64 v[202:203], v[202:203], v[204:205], v[210:211]
	v_div_fixup_f64 v[204:205], v[202:203], v[200:201], 1.0
	v_mul_f64 v[206:207], v[206:207], -v[204:205]
.LBB99_34:
	s_or_b64 exec, exec, s[2:3]
	ds_write2_b64 v194, v[204:205], v[206:207] offset1:1
.LBB99_35:
	s_or_b64 exec, exec, s[4:5]
	s_waitcnt lgkmcnt(0)
	s_barrier
	ds_read2_b64 v[200:203], v194 offset1:1
	v_cmp_lt_u32_e32 vcc, 3, v234
	s_waitcnt lgkmcnt(0)
	scratch_store_dwordx4 off, v[200:203], off offset:400 ; 16-byte Folded Spill
	s_and_saveexec_b64 s[2:3], vcc
	s_cbranch_execz .LBB99_37
; %bb.36:
	scratch_load_dwordx4 v[206:209], off, off offset:288 ; 16-byte Folded Reload
	scratch_load_dwordx4 v[202:205], off, off offset:400 ; 16-byte Folded Reload
	v_mov_b64_e32 v[188:189], v[180:181]
	s_waitcnt vmcnt(0)
	v_mul_f64 v[200:201], v[204:205], v[208:209]
	v_mul_f64 v[208:209], v[202:203], v[208:209]
	v_fma_f64 v[200:201], v[202:203], v[206:207], -v[200:201]
	v_fmac_f64_e32 v[208:209], v[204:205], v[206:207]
	ds_read2_b64 v[202:205], v233 offset0:8 offset1:9
	s_waitcnt lgkmcnt(0)
	v_mul_f64 v[180:181], v[204:205], v[208:209]
	v_fma_f64 v[180:181], v[202:203], v[200:201], -v[180:181]
	v_mul_f64 v[202:203], v[202:203], v[208:209]
	v_fmac_f64_e32 v[202:203], v[204:205], v[200:201]
	scratch_load_dwordx4 v[204:207], off, off offset:272 ; 16-byte Folded Reload
	s_waitcnt vmcnt(0)
	v_add_f64 v[204:205], v[204:205], -v[180:181]
	v_add_f64 v[206:207], v[206:207], -v[202:203]
	scratch_store_dwordx4 off, v[204:207], off offset:272 ; 16-byte Folded Spill
	ds_read2_b64 v[202:205], v233 offset0:10 offset1:11
	s_waitcnt lgkmcnt(0)
	v_mul_f64 v[180:181], v[204:205], v[208:209]
	v_fma_f64 v[180:181], v[202:203], v[200:201], -v[180:181]
	v_mul_f64 v[202:203], v[202:203], v[208:209]
	v_fmac_f64_e32 v[202:203], v[204:205], v[200:201]
	scratch_load_dwordx4 v[204:207], off, off offset:256 ; 16-byte Folded Reload
	s_waitcnt vmcnt(0)
	v_add_f64 v[204:205], v[204:205], -v[180:181]
	v_add_f64 v[206:207], v[206:207], -v[202:203]
	scratch_store_dwordx4 off, v[204:207], off offset:256 ; 16-byte Folded Spill
	;; [unrolled: 11-line block ×17, first 2 shown]
	ds_read2_b64 v[202:205], v233 offset0:42 offset1:43
	s_waitcnt lgkmcnt(0)
	v_mul_f64 v[180:181], v[204:205], v[208:209]
	v_fma_f64 v[180:181], v[202:203], v[200:201], -v[180:181]
	v_mul_f64 v[202:203], v[202:203], v[208:209]
	v_fmac_f64_e32 v[202:203], v[204:205], v[200:201]
	scratch_load_dwordx4 v[204:207], off, off ; 16-byte Folded Reload
	s_waitcnt vmcnt(0)
	v_add_f64 v[204:205], v[204:205], -v[180:181]
	v_add_f64 v[206:207], v[206:207], -v[202:203]
	scratch_store_dwordx4 off, v[204:207], off ; 16-byte Folded Spill
	ds_read2_b64 v[202:205], v233 offset0:44 offset1:45
	s_waitcnt lgkmcnt(0)
	v_mul_f64 v[180:181], v[204:205], v[208:209]
	v_fma_f64 v[180:181], v[202:203], v[200:201], -v[180:181]
	v_mul_f64 v[202:203], v[202:203], v[208:209]
	v_fmac_f64_e32 v[202:203], v[204:205], v[200:201]
	v_add_f64 v[106:107], v[106:107], -v[202:203]
	ds_read2_b64 v[202:205], v233 offset0:46 offset1:47
	v_add_f64 v[104:105], v[104:105], -v[180:181]
	v_mov_b64_e32 v[206:207], v[200:201]
	scratch_store_dwordx4 off, v[206:209], off offset:288 ; 16-byte Folded Spill
	s_waitcnt lgkmcnt(0)
	v_mul_f64 v[180:181], v[204:205], v[208:209]
	v_fma_f64 v[180:181], v[202:203], v[200:201], -v[180:181]
	v_mul_f64 v[202:203], v[202:203], v[208:209]
	v_fmac_f64_e32 v[202:203], v[204:205], v[200:201]
	v_add_f64 v[102:103], v[102:103], -v[202:203]
	ds_read2_b64 v[202:205], v233 offset0:48 offset1:49
	v_add_f64 v[100:101], v[100:101], -v[180:181]
	s_waitcnt lgkmcnt(0)
	v_mul_f64 v[180:181], v[204:205], v[208:209]
	v_fma_f64 v[180:181], v[202:203], v[200:201], -v[180:181]
	v_mul_f64 v[202:203], v[202:203], v[208:209]
	v_fmac_f64_e32 v[202:203], v[204:205], v[200:201]
	v_add_f64 v[98:99], v[98:99], -v[202:203]
	ds_read2_b64 v[202:205], v233 offset0:50 offset1:51
	v_add_f64 v[96:97], v[96:97], -v[180:181]
	;; [unrolled: 8-line block ×26, first 2 shown]
	s_waitcnt lgkmcnt(0)
	v_mul_f64 v[180:181], v[204:205], v[208:209]
	v_fma_f64 v[180:181], v[202:203], v[200:201], -v[180:181]
	v_mul_f64 v[202:203], v[202:203], v[208:209]
	v_fmac_f64_e32 v[202:203], v[204:205], v[200:201]
	v_add_f64 v[196:197], v[196:197], -v[180:181]
	v_mov_b64_e32 v[180:181], v[188:189]
	v_add_f64 v[198:199], v[198:199], -v[202:203]
.LBB99_37:
	s_or_b64 exec, exec, s[2:3]
	v_cmp_eq_u32_e32 vcc, 4, v234
	s_barrier
	s_and_saveexec_b64 s[4:5], vcc
	s_cbranch_execz .LBB99_44
; %bb.38:
	scratch_load_dwordx4 v[200:203], off, off offset:272 ; 16-byte Folded Reload
	s_waitcnt vmcnt(0)
	ds_write2_b64 v194, v[200:201], v[202:203] offset1:1
	scratch_load_dwordx4 v[200:203], off, off offset:256 ; 16-byte Folded Reload
	s_waitcnt vmcnt(0)
	ds_write2_b64 v233, v[200:201], v[202:203] offset0:10 offset1:11
	scratch_load_dwordx4 v[200:203], off, off offset:240 ; 16-byte Folded Reload
	s_waitcnt vmcnt(0)
	ds_write2_b64 v233, v[200:201], v[202:203] offset0:12 offset1:13
	;; [unrolled: 3-line block ×16, first 2 shown]
	scratch_load_dwordx4 v[200:203], off, off ; 16-byte Folded Reload
	s_waitcnt vmcnt(0)
	ds_write2_b64 v233, v[200:201], v[202:203] offset0:42 offset1:43
	ds_write2_b64 v233, v[104:105], v[106:107] offset0:44 offset1:45
	;; [unrolled: 1-line block ×29, first 2 shown]
	ds_read2_b64 v[200:203], v194 offset1:1
	s_waitcnt lgkmcnt(0)
	v_cmp_neq_f64_e32 vcc, 0, v[200:201]
	v_cmp_neq_f64_e64 s[2:3], 0, v[202:203]
	s_or_b64 s[2:3], vcc, s[2:3]
	s_and_b64 exec, exec, s[2:3]
	s_cbranch_execz .LBB99_44
; %bb.39:
	v_cmp_ngt_f64_e64 s[2:3], |v[200:201]|, |v[202:203]|
                                        ; implicit-def: $vgpr204_vgpr205
	s_and_saveexec_b64 s[10:11], s[2:3]
	s_xor_b64 s[2:3], exec, s[10:11]
                                        ; implicit-def: $vgpr206_vgpr207
	s_cbranch_execz .LBB99_41
; %bb.40:
	v_div_scale_f64 v[204:205], s[10:11], v[202:203], v[202:203], v[200:201]
	v_rcp_f64_e32 v[206:207], v[204:205]
	v_div_scale_f64 v[208:209], vcc, v[200:201], v[202:203], v[200:201]
	v_fma_f64 v[210:211], -v[204:205], v[206:207], 1.0
	v_fmac_f64_e32 v[206:207], v[206:207], v[210:211]
	v_fma_f64 v[210:211], -v[204:205], v[206:207], 1.0
	v_fmac_f64_e32 v[206:207], v[206:207], v[210:211]
	v_mul_f64 v[210:211], v[208:209], v[206:207]
	v_fma_f64 v[204:205], -v[204:205], v[210:211], v[208:209]
	v_div_fmas_f64 v[204:205], v[204:205], v[206:207], v[210:211]
	v_div_fixup_f64 v[204:205], v[204:205], v[202:203], v[200:201]
	v_fmac_f64_e32 v[202:203], v[200:201], v[204:205]
	v_div_scale_f64 v[200:201], s[10:11], v[202:203], v[202:203], 1.0
	v_rcp_f64_e32 v[206:207], v[200:201]
	s_nop 0
	v_fma_f64 v[208:209], -v[200:201], v[206:207], 1.0
	v_fmac_f64_e32 v[206:207], v[206:207], v[208:209]
	v_fma_f64 v[208:209], -v[200:201], v[206:207], 1.0
	v_fmac_f64_e32 v[206:207], v[206:207], v[208:209]
	v_div_scale_f64 v[208:209], vcc, 1.0, v[202:203], 1.0
	v_mul_f64 v[210:211], v[208:209], v[206:207]
	v_fma_f64 v[200:201], -v[200:201], v[210:211], v[208:209]
	s_nop 1
	v_div_fmas_f64 v[200:201], v[200:201], v[206:207], v[210:211]
	v_div_fixup_f64 v[206:207], v[200:201], v[202:203], 1.0
	v_mul_f64 v[204:205], v[204:205], v[206:207]
	v_xor_b32_e32 v207, 0x80000000, v207
                                        ; implicit-def: $vgpr200_vgpr201
.LBB99_41:
	s_andn2_saveexec_b64 s[2:3], s[2:3]
	s_cbranch_execz .LBB99_43
; %bb.42:
	v_div_scale_f64 v[204:205], s[10:11], v[200:201], v[200:201], v[202:203]
	v_rcp_f64_e32 v[206:207], v[204:205]
	v_div_scale_f64 v[208:209], vcc, v[202:203], v[200:201], v[202:203]
	v_fma_f64 v[210:211], -v[204:205], v[206:207], 1.0
	v_fmac_f64_e32 v[206:207], v[206:207], v[210:211]
	v_fma_f64 v[210:211], -v[204:205], v[206:207], 1.0
	v_fmac_f64_e32 v[206:207], v[206:207], v[210:211]
	v_mul_f64 v[210:211], v[208:209], v[206:207]
	v_fma_f64 v[204:205], -v[204:205], v[210:211], v[208:209]
	v_div_fmas_f64 v[204:205], v[204:205], v[206:207], v[210:211]
	v_div_fixup_f64 v[206:207], v[204:205], v[200:201], v[202:203]
	v_fmac_f64_e32 v[200:201], v[202:203], v[206:207]
	v_div_scale_f64 v[202:203], s[10:11], v[200:201], v[200:201], 1.0
	v_rcp_f64_e32 v[204:205], v[202:203]
	s_nop 0
	v_fma_f64 v[208:209], -v[202:203], v[204:205], 1.0
	v_fmac_f64_e32 v[204:205], v[204:205], v[208:209]
	v_fma_f64 v[208:209], -v[202:203], v[204:205], 1.0
	v_fmac_f64_e32 v[204:205], v[204:205], v[208:209]
	v_div_scale_f64 v[208:209], vcc, 1.0, v[200:201], 1.0
	v_mul_f64 v[210:211], v[208:209], v[204:205]
	v_fma_f64 v[202:203], -v[202:203], v[210:211], v[208:209]
	s_nop 1
	v_div_fmas_f64 v[202:203], v[202:203], v[204:205], v[210:211]
	v_div_fixup_f64 v[204:205], v[202:203], v[200:201], 1.0
	v_mul_f64 v[206:207], v[206:207], -v[204:205]
.LBB99_43:
	s_or_b64 exec, exec, s[2:3]
	ds_write2_b64 v194, v[204:205], v[206:207] offset1:1
.LBB99_44:
	s_or_b64 exec, exec, s[4:5]
	s_waitcnt lgkmcnt(0)
	s_barrier
	ds_read2_b64 v[200:203], v194 offset1:1
	v_cmp_lt_u32_e32 vcc, 4, v234
	s_waitcnt lgkmcnt(0)
	scratch_store_dwordx4 off, v[200:203], off offset:416 ; 16-byte Folded Spill
	s_and_saveexec_b64 s[2:3], vcc
	s_cbranch_execz .LBB99_46
; %bb.45:
	scratch_load_dwordx4 v[206:209], off, off offset:272 ; 16-byte Folded Reload
	scratch_load_dwordx4 v[202:205], off, off offset:416 ; 16-byte Folded Reload
	v_mov_b64_e32 v[188:189], v[176:177]
	s_waitcnt vmcnt(0)
	v_mul_f64 v[200:201], v[204:205], v[208:209]
	v_mul_f64 v[208:209], v[202:203], v[208:209]
	v_fma_f64 v[200:201], v[202:203], v[206:207], -v[200:201]
	v_fmac_f64_e32 v[208:209], v[204:205], v[206:207]
	ds_read2_b64 v[202:205], v233 offset0:10 offset1:11
	s_waitcnt lgkmcnt(0)
	v_mul_f64 v[176:177], v[204:205], v[208:209]
	v_fma_f64 v[176:177], v[202:203], v[200:201], -v[176:177]
	v_mul_f64 v[202:203], v[202:203], v[208:209]
	v_fmac_f64_e32 v[202:203], v[204:205], v[200:201]
	scratch_load_dwordx4 v[204:207], off, off offset:256 ; 16-byte Folded Reload
	s_waitcnt vmcnt(0)
	v_add_f64 v[204:205], v[204:205], -v[176:177]
	v_add_f64 v[206:207], v[206:207], -v[202:203]
	scratch_store_dwordx4 off, v[204:207], off offset:256 ; 16-byte Folded Spill
	ds_read2_b64 v[202:205], v233 offset0:12 offset1:13
	s_waitcnt lgkmcnt(0)
	v_mul_f64 v[176:177], v[204:205], v[208:209]
	v_fma_f64 v[176:177], v[202:203], v[200:201], -v[176:177]
	v_mul_f64 v[202:203], v[202:203], v[208:209]
	v_fmac_f64_e32 v[202:203], v[204:205], v[200:201]
	scratch_load_dwordx4 v[204:207], off, off offset:240 ; 16-byte Folded Reload
	s_waitcnt vmcnt(0)
	v_add_f64 v[204:205], v[204:205], -v[176:177]
	v_add_f64 v[206:207], v[206:207], -v[202:203]
	scratch_store_dwordx4 off, v[204:207], off offset:240 ; 16-byte Folded Spill
	;; [unrolled: 11-line block ×16, first 2 shown]
	ds_read2_b64 v[202:205], v233 offset0:42 offset1:43
	s_waitcnt lgkmcnt(0)
	v_mul_f64 v[176:177], v[204:205], v[208:209]
	v_fma_f64 v[176:177], v[202:203], v[200:201], -v[176:177]
	v_mul_f64 v[202:203], v[202:203], v[208:209]
	v_fmac_f64_e32 v[202:203], v[204:205], v[200:201]
	scratch_load_dwordx4 v[204:207], off, off ; 16-byte Folded Reload
	s_waitcnt vmcnt(0)
	v_add_f64 v[204:205], v[204:205], -v[176:177]
	v_add_f64 v[206:207], v[206:207], -v[202:203]
	scratch_store_dwordx4 off, v[204:207], off ; 16-byte Folded Spill
	ds_read2_b64 v[202:205], v233 offset0:44 offset1:45
	s_waitcnt lgkmcnt(0)
	v_mul_f64 v[176:177], v[204:205], v[208:209]
	v_fma_f64 v[176:177], v[202:203], v[200:201], -v[176:177]
	v_mul_f64 v[202:203], v[202:203], v[208:209]
	v_fmac_f64_e32 v[202:203], v[204:205], v[200:201]
	v_add_f64 v[106:107], v[106:107], -v[202:203]
	ds_read2_b64 v[202:205], v233 offset0:46 offset1:47
	v_add_f64 v[104:105], v[104:105], -v[176:177]
	v_mov_b64_e32 v[206:207], v[200:201]
	scratch_store_dwordx4 off, v[206:209], off offset:272 ; 16-byte Folded Spill
	s_waitcnt lgkmcnt(0)
	v_mul_f64 v[176:177], v[204:205], v[208:209]
	v_fma_f64 v[176:177], v[202:203], v[200:201], -v[176:177]
	v_mul_f64 v[202:203], v[202:203], v[208:209]
	v_fmac_f64_e32 v[202:203], v[204:205], v[200:201]
	v_add_f64 v[102:103], v[102:103], -v[202:203]
	ds_read2_b64 v[202:205], v233 offset0:48 offset1:49
	v_add_f64 v[100:101], v[100:101], -v[176:177]
	s_waitcnt lgkmcnt(0)
	v_mul_f64 v[176:177], v[204:205], v[208:209]
	v_fma_f64 v[176:177], v[202:203], v[200:201], -v[176:177]
	v_mul_f64 v[202:203], v[202:203], v[208:209]
	v_fmac_f64_e32 v[202:203], v[204:205], v[200:201]
	v_add_f64 v[98:99], v[98:99], -v[202:203]
	ds_read2_b64 v[202:205], v233 offset0:50 offset1:51
	v_add_f64 v[96:97], v[96:97], -v[176:177]
	;; [unrolled: 8-line block ×26, first 2 shown]
	s_waitcnt lgkmcnt(0)
	v_mul_f64 v[176:177], v[204:205], v[208:209]
	v_fma_f64 v[176:177], v[202:203], v[200:201], -v[176:177]
	v_mul_f64 v[202:203], v[202:203], v[208:209]
	v_fmac_f64_e32 v[202:203], v[204:205], v[200:201]
	v_add_f64 v[196:197], v[196:197], -v[176:177]
	v_mov_b64_e32 v[176:177], v[188:189]
	v_add_f64 v[198:199], v[198:199], -v[202:203]
.LBB99_46:
	s_or_b64 exec, exec, s[2:3]
	v_cmp_eq_u32_e32 vcc, 5, v234
	s_barrier
	s_and_saveexec_b64 s[4:5], vcc
	s_cbranch_execz .LBB99_53
; %bb.47:
	scratch_load_dwordx4 v[200:203], off, off offset:256 ; 16-byte Folded Reload
	s_waitcnt vmcnt(0)
	ds_write2_b64 v194, v[200:201], v[202:203] offset1:1
	scratch_load_dwordx4 v[200:203], off, off offset:240 ; 16-byte Folded Reload
	s_waitcnt vmcnt(0)
	ds_write2_b64 v233, v[200:201], v[202:203] offset0:12 offset1:13
	scratch_load_dwordx4 v[200:203], off, off offset:224 ; 16-byte Folded Reload
	s_waitcnt vmcnt(0)
	ds_write2_b64 v233, v[200:201], v[202:203] offset0:14 offset1:15
	;; [unrolled: 3-line block ×15, first 2 shown]
	scratch_load_dwordx4 v[200:203], off, off ; 16-byte Folded Reload
	s_waitcnt vmcnt(0)
	ds_write2_b64 v233, v[200:201], v[202:203] offset0:42 offset1:43
	ds_write2_b64 v233, v[104:105], v[106:107] offset0:44 offset1:45
	ds_write2_b64 v233, v[100:101], v[102:103] offset0:46 offset1:47
	ds_write2_b64 v233, v[96:97], v[98:99] offset0:48 offset1:49
	ds_write2_b64 v233, v[92:93], v[94:95] offset0:50 offset1:51
	ds_write2_b64 v233, v[88:89], v[90:91] offset0:52 offset1:53
	ds_write2_b64 v233, v[84:85], v[86:87] offset0:54 offset1:55
	ds_write2_b64 v233, v[80:81], v[82:83] offset0:56 offset1:57
	ds_write2_b64 v233, v[76:77], v[78:79] offset0:58 offset1:59
	ds_write2_b64 v233, v[72:73], v[74:75] offset0:60 offset1:61
	ds_write2_b64 v233, v[68:69], v[70:71] offset0:62 offset1:63
	ds_write2_b64 v233, v[64:65], v[66:67] offset0:64 offset1:65
	ds_write2_b64 v233, v[60:61], v[62:63] offset0:66 offset1:67
	ds_write2_b64 v233, v[56:57], v[58:59] offset0:68 offset1:69
	ds_write2_b64 v233, v[52:53], v[54:55] offset0:70 offset1:71
	ds_write2_b64 v233, v[48:49], v[50:51] offset0:72 offset1:73
	ds_write2_b64 v233, v[44:45], v[46:47] offset0:74 offset1:75
	ds_write2_b64 v233, v[40:41], v[42:43] offset0:76 offset1:77
	ds_write2_b64 v233, v[36:37], v[38:39] offset0:78 offset1:79
	ds_write2_b64 v233, v[32:33], v[34:35] offset0:80 offset1:81
	ds_write2_b64 v233, v[28:29], v[30:31] offset0:82 offset1:83
	ds_write2_b64 v233, v[24:25], v[26:27] offset0:84 offset1:85
	ds_write2_b64 v233, v[20:21], v[22:23] offset0:86 offset1:87
	ds_write2_b64 v233, v[16:17], v[18:19] offset0:88 offset1:89
	ds_write2_b64 v233, v[12:13], v[14:15] offset0:90 offset1:91
	ds_write2_b64 v233, v[8:9], v[10:11] offset0:92 offset1:93
	ds_write2_b64 v233, v[4:5], v[6:7] offset0:94 offset1:95
	ds_write2_b64 v233, v[0:1], v[2:3] offset0:96 offset1:97
	ds_write2_b64 v233, v[196:197], v[198:199] offset0:98 offset1:99
	ds_read2_b64 v[200:203], v194 offset1:1
	s_waitcnt lgkmcnt(0)
	v_cmp_neq_f64_e32 vcc, 0, v[200:201]
	v_cmp_neq_f64_e64 s[2:3], 0, v[202:203]
	s_or_b64 s[2:3], vcc, s[2:3]
	s_and_b64 exec, exec, s[2:3]
	s_cbranch_execz .LBB99_53
; %bb.48:
	v_cmp_ngt_f64_e64 s[2:3], |v[200:201]|, |v[202:203]|
                                        ; implicit-def: $vgpr204_vgpr205
	s_and_saveexec_b64 s[10:11], s[2:3]
	s_xor_b64 s[2:3], exec, s[10:11]
                                        ; implicit-def: $vgpr206_vgpr207
	s_cbranch_execz .LBB99_50
; %bb.49:
	v_div_scale_f64 v[204:205], s[10:11], v[202:203], v[202:203], v[200:201]
	v_rcp_f64_e32 v[206:207], v[204:205]
	v_div_scale_f64 v[208:209], vcc, v[200:201], v[202:203], v[200:201]
	v_fma_f64 v[210:211], -v[204:205], v[206:207], 1.0
	v_fmac_f64_e32 v[206:207], v[206:207], v[210:211]
	v_fma_f64 v[210:211], -v[204:205], v[206:207], 1.0
	v_fmac_f64_e32 v[206:207], v[206:207], v[210:211]
	v_mul_f64 v[210:211], v[208:209], v[206:207]
	v_fma_f64 v[204:205], -v[204:205], v[210:211], v[208:209]
	v_div_fmas_f64 v[204:205], v[204:205], v[206:207], v[210:211]
	v_div_fixup_f64 v[204:205], v[204:205], v[202:203], v[200:201]
	v_fmac_f64_e32 v[202:203], v[200:201], v[204:205]
	v_div_scale_f64 v[200:201], s[10:11], v[202:203], v[202:203], 1.0
	v_rcp_f64_e32 v[206:207], v[200:201]
	s_nop 0
	v_fma_f64 v[208:209], -v[200:201], v[206:207], 1.0
	v_fmac_f64_e32 v[206:207], v[206:207], v[208:209]
	v_fma_f64 v[208:209], -v[200:201], v[206:207], 1.0
	v_fmac_f64_e32 v[206:207], v[206:207], v[208:209]
	v_div_scale_f64 v[208:209], vcc, 1.0, v[202:203], 1.0
	v_mul_f64 v[210:211], v[208:209], v[206:207]
	v_fma_f64 v[200:201], -v[200:201], v[210:211], v[208:209]
	s_nop 1
	v_div_fmas_f64 v[200:201], v[200:201], v[206:207], v[210:211]
	v_div_fixup_f64 v[206:207], v[200:201], v[202:203], 1.0
	v_mul_f64 v[204:205], v[204:205], v[206:207]
	v_xor_b32_e32 v207, 0x80000000, v207
                                        ; implicit-def: $vgpr200_vgpr201
.LBB99_50:
	s_andn2_saveexec_b64 s[2:3], s[2:3]
	s_cbranch_execz .LBB99_52
; %bb.51:
	v_div_scale_f64 v[204:205], s[10:11], v[200:201], v[200:201], v[202:203]
	v_rcp_f64_e32 v[206:207], v[204:205]
	v_div_scale_f64 v[208:209], vcc, v[202:203], v[200:201], v[202:203]
	v_fma_f64 v[210:211], -v[204:205], v[206:207], 1.0
	v_fmac_f64_e32 v[206:207], v[206:207], v[210:211]
	v_fma_f64 v[210:211], -v[204:205], v[206:207], 1.0
	v_fmac_f64_e32 v[206:207], v[206:207], v[210:211]
	v_mul_f64 v[210:211], v[208:209], v[206:207]
	v_fma_f64 v[204:205], -v[204:205], v[210:211], v[208:209]
	v_div_fmas_f64 v[204:205], v[204:205], v[206:207], v[210:211]
	v_div_fixup_f64 v[206:207], v[204:205], v[200:201], v[202:203]
	v_fmac_f64_e32 v[200:201], v[202:203], v[206:207]
	v_div_scale_f64 v[202:203], s[10:11], v[200:201], v[200:201], 1.0
	v_rcp_f64_e32 v[204:205], v[202:203]
	s_nop 0
	v_fma_f64 v[208:209], -v[202:203], v[204:205], 1.0
	v_fmac_f64_e32 v[204:205], v[204:205], v[208:209]
	v_fma_f64 v[208:209], -v[202:203], v[204:205], 1.0
	v_fmac_f64_e32 v[204:205], v[204:205], v[208:209]
	v_div_scale_f64 v[208:209], vcc, 1.0, v[200:201], 1.0
	v_mul_f64 v[210:211], v[208:209], v[204:205]
	v_fma_f64 v[202:203], -v[202:203], v[210:211], v[208:209]
	s_nop 1
	v_div_fmas_f64 v[202:203], v[202:203], v[204:205], v[210:211]
	v_div_fixup_f64 v[204:205], v[202:203], v[200:201], 1.0
	v_mul_f64 v[206:207], v[206:207], -v[204:205]
.LBB99_52:
	s_or_b64 exec, exec, s[2:3]
	ds_write2_b64 v194, v[204:205], v[206:207] offset1:1
.LBB99_53:
	s_or_b64 exec, exec, s[4:5]
	s_waitcnt lgkmcnt(0)
	s_barrier
	ds_read2_b64 v[200:203], v194 offset1:1
	v_cmp_lt_u32_e32 vcc, 5, v234
	s_waitcnt lgkmcnt(0)
	scratch_store_dwordx4 off, v[200:203], off offset:432 ; 16-byte Folded Spill
	s_and_saveexec_b64 s[2:3], vcc
	s_cbranch_execz .LBB99_55
; %bb.54:
	scratch_load_dwordx4 v[206:209], off, off offset:256 ; 16-byte Folded Reload
	scratch_load_dwordx4 v[202:205], off, off offset:432 ; 16-byte Folded Reload
	v_mov_b64_e32 v[188:189], v[172:173]
	s_waitcnt vmcnt(0)
	v_mul_f64 v[200:201], v[204:205], v[208:209]
	v_mul_f64 v[208:209], v[202:203], v[208:209]
	v_fma_f64 v[200:201], v[202:203], v[206:207], -v[200:201]
	v_fmac_f64_e32 v[208:209], v[204:205], v[206:207]
	ds_read2_b64 v[202:205], v233 offset0:12 offset1:13
	s_waitcnt lgkmcnt(0)
	v_mul_f64 v[172:173], v[204:205], v[208:209]
	v_fma_f64 v[172:173], v[202:203], v[200:201], -v[172:173]
	v_mul_f64 v[202:203], v[202:203], v[208:209]
	v_fmac_f64_e32 v[202:203], v[204:205], v[200:201]
	scratch_load_dwordx4 v[204:207], off, off offset:240 ; 16-byte Folded Reload
	s_waitcnt vmcnt(0)
	v_add_f64 v[204:205], v[204:205], -v[172:173]
	v_add_f64 v[206:207], v[206:207], -v[202:203]
	scratch_store_dwordx4 off, v[204:207], off offset:240 ; 16-byte Folded Spill
	ds_read2_b64 v[202:205], v233 offset0:14 offset1:15
	s_waitcnt lgkmcnt(0)
	v_mul_f64 v[172:173], v[204:205], v[208:209]
	v_fma_f64 v[172:173], v[202:203], v[200:201], -v[172:173]
	v_mul_f64 v[202:203], v[202:203], v[208:209]
	v_fmac_f64_e32 v[202:203], v[204:205], v[200:201]
	scratch_load_dwordx4 v[204:207], off, off offset:224 ; 16-byte Folded Reload
	s_waitcnt vmcnt(0)
	v_add_f64 v[204:205], v[204:205], -v[172:173]
	v_add_f64 v[206:207], v[206:207], -v[202:203]
	scratch_store_dwordx4 off, v[204:207], off offset:224 ; 16-byte Folded Spill
	;; [unrolled: 11-line block ×15, first 2 shown]
	ds_read2_b64 v[202:205], v233 offset0:42 offset1:43
	s_waitcnt lgkmcnt(0)
	v_mul_f64 v[172:173], v[204:205], v[208:209]
	v_fma_f64 v[172:173], v[202:203], v[200:201], -v[172:173]
	v_mul_f64 v[202:203], v[202:203], v[208:209]
	v_fmac_f64_e32 v[202:203], v[204:205], v[200:201]
	scratch_load_dwordx4 v[204:207], off, off ; 16-byte Folded Reload
	s_waitcnt vmcnt(0)
	v_add_f64 v[204:205], v[204:205], -v[172:173]
	v_add_f64 v[206:207], v[206:207], -v[202:203]
	scratch_store_dwordx4 off, v[204:207], off ; 16-byte Folded Spill
	ds_read2_b64 v[202:205], v233 offset0:44 offset1:45
	s_waitcnt lgkmcnt(0)
	v_mul_f64 v[172:173], v[204:205], v[208:209]
	v_fma_f64 v[172:173], v[202:203], v[200:201], -v[172:173]
	v_mul_f64 v[202:203], v[202:203], v[208:209]
	v_fmac_f64_e32 v[202:203], v[204:205], v[200:201]
	v_add_f64 v[106:107], v[106:107], -v[202:203]
	ds_read2_b64 v[202:205], v233 offset0:46 offset1:47
	v_add_f64 v[104:105], v[104:105], -v[172:173]
	v_mov_b64_e32 v[206:207], v[200:201]
	scratch_store_dwordx4 off, v[206:209], off offset:256 ; 16-byte Folded Spill
	s_waitcnt lgkmcnt(0)
	v_mul_f64 v[172:173], v[204:205], v[208:209]
	v_fma_f64 v[172:173], v[202:203], v[200:201], -v[172:173]
	v_mul_f64 v[202:203], v[202:203], v[208:209]
	v_fmac_f64_e32 v[202:203], v[204:205], v[200:201]
	v_add_f64 v[102:103], v[102:103], -v[202:203]
	ds_read2_b64 v[202:205], v233 offset0:48 offset1:49
	v_add_f64 v[100:101], v[100:101], -v[172:173]
	s_waitcnt lgkmcnt(0)
	v_mul_f64 v[172:173], v[204:205], v[208:209]
	v_fma_f64 v[172:173], v[202:203], v[200:201], -v[172:173]
	v_mul_f64 v[202:203], v[202:203], v[208:209]
	v_fmac_f64_e32 v[202:203], v[204:205], v[200:201]
	v_add_f64 v[98:99], v[98:99], -v[202:203]
	ds_read2_b64 v[202:205], v233 offset0:50 offset1:51
	v_add_f64 v[96:97], v[96:97], -v[172:173]
	;; [unrolled: 8-line block ×26, first 2 shown]
	s_waitcnt lgkmcnt(0)
	v_mul_f64 v[172:173], v[204:205], v[208:209]
	v_fma_f64 v[172:173], v[202:203], v[200:201], -v[172:173]
	v_mul_f64 v[202:203], v[202:203], v[208:209]
	v_fmac_f64_e32 v[202:203], v[204:205], v[200:201]
	v_add_f64 v[196:197], v[196:197], -v[172:173]
	v_mov_b64_e32 v[172:173], v[188:189]
	v_add_f64 v[198:199], v[198:199], -v[202:203]
.LBB99_55:
	s_or_b64 exec, exec, s[2:3]
	v_cmp_eq_u32_e32 vcc, 6, v234
	s_barrier
	s_and_saveexec_b64 s[4:5], vcc
	s_cbranch_execz .LBB99_62
; %bb.56:
	scratch_load_dwordx4 v[200:203], off, off offset:240 ; 16-byte Folded Reload
	s_waitcnt vmcnt(0)
	ds_write2_b64 v194, v[200:201], v[202:203] offset1:1
	scratch_load_dwordx4 v[200:203], off, off offset:224 ; 16-byte Folded Reload
	s_waitcnt vmcnt(0)
	ds_write2_b64 v233, v[200:201], v[202:203] offset0:14 offset1:15
	scratch_load_dwordx4 v[200:203], off, off offset:208 ; 16-byte Folded Reload
	s_waitcnt vmcnt(0)
	ds_write2_b64 v233, v[200:201], v[202:203] offset0:16 offset1:17
	;; [unrolled: 3-line block ×14, first 2 shown]
	scratch_load_dwordx4 v[200:203], off, off ; 16-byte Folded Reload
	s_waitcnt vmcnt(0)
	ds_write2_b64 v233, v[200:201], v[202:203] offset0:42 offset1:43
	ds_write2_b64 v233, v[104:105], v[106:107] offset0:44 offset1:45
	;; [unrolled: 1-line block ×29, first 2 shown]
	ds_read2_b64 v[200:203], v194 offset1:1
	s_waitcnt lgkmcnt(0)
	v_cmp_neq_f64_e32 vcc, 0, v[200:201]
	v_cmp_neq_f64_e64 s[2:3], 0, v[202:203]
	s_or_b64 s[2:3], vcc, s[2:3]
	s_and_b64 exec, exec, s[2:3]
	s_cbranch_execz .LBB99_62
; %bb.57:
	v_cmp_ngt_f64_e64 s[2:3], |v[200:201]|, |v[202:203]|
                                        ; implicit-def: $vgpr204_vgpr205
	s_and_saveexec_b64 s[10:11], s[2:3]
	s_xor_b64 s[2:3], exec, s[10:11]
                                        ; implicit-def: $vgpr206_vgpr207
	s_cbranch_execz .LBB99_59
; %bb.58:
	v_div_scale_f64 v[204:205], s[10:11], v[202:203], v[202:203], v[200:201]
	v_rcp_f64_e32 v[206:207], v[204:205]
	v_div_scale_f64 v[208:209], vcc, v[200:201], v[202:203], v[200:201]
	v_fma_f64 v[210:211], -v[204:205], v[206:207], 1.0
	v_fmac_f64_e32 v[206:207], v[206:207], v[210:211]
	v_fma_f64 v[210:211], -v[204:205], v[206:207], 1.0
	v_fmac_f64_e32 v[206:207], v[206:207], v[210:211]
	v_mul_f64 v[210:211], v[208:209], v[206:207]
	v_fma_f64 v[204:205], -v[204:205], v[210:211], v[208:209]
	v_div_fmas_f64 v[204:205], v[204:205], v[206:207], v[210:211]
	v_div_fixup_f64 v[204:205], v[204:205], v[202:203], v[200:201]
	v_fmac_f64_e32 v[202:203], v[200:201], v[204:205]
	v_div_scale_f64 v[200:201], s[10:11], v[202:203], v[202:203], 1.0
	v_rcp_f64_e32 v[206:207], v[200:201]
	s_nop 0
	v_fma_f64 v[208:209], -v[200:201], v[206:207], 1.0
	v_fmac_f64_e32 v[206:207], v[206:207], v[208:209]
	v_fma_f64 v[208:209], -v[200:201], v[206:207], 1.0
	v_fmac_f64_e32 v[206:207], v[206:207], v[208:209]
	v_div_scale_f64 v[208:209], vcc, 1.0, v[202:203], 1.0
	v_mul_f64 v[210:211], v[208:209], v[206:207]
	v_fma_f64 v[200:201], -v[200:201], v[210:211], v[208:209]
	s_nop 1
	v_div_fmas_f64 v[200:201], v[200:201], v[206:207], v[210:211]
	v_div_fixup_f64 v[206:207], v[200:201], v[202:203], 1.0
	v_mul_f64 v[204:205], v[204:205], v[206:207]
	v_xor_b32_e32 v207, 0x80000000, v207
                                        ; implicit-def: $vgpr200_vgpr201
.LBB99_59:
	s_andn2_saveexec_b64 s[2:3], s[2:3]
	s_cbranch_execz .LBB99_61
; %bb.60:
	v_div_scale_f64 v[204:205], s[10:11], v[200:201], v[200:201], v[202:203]
	v_rcp_f64_e32 v[206:207], v[204:205]
	v_div_scale_f64 v[208:209], vcc, v[202:203], v[200:201], v[202:203]
	v_fma_f64 v[210:211], -v[204:205], v[206:207], 1.0
	v_fmac_f64_e32 v[206:207], v[206:207], v[210:211]
	v_fma_f64 v[210:211], -v[204:205], v[206:207], 1.0
	v_fmac_f64_e32 v[206:207], v[206:207], v[210:211]
	v_mul_f64 v[210:211], v[208:209], v[206:207]
	v_fma_f64 v[204:205], -v[204:205], v[210:211], v[208:209]
	v_div_fmas_f64 v[204:205], v[204:205], v[206:207], v[210:211]
	v_div_fixup_f64 v[206:207], v[204:205], v[200:201], v[202:203]
	v_fmac_f64_e32 v[200:201], v[202:203], v[206:207]
	v_div_scale_f64 v[202:203], s[10:11], v[200:201], v[200:201], 1.0
	v_rcp_f64_e32 v[204:205], v[202:203]
	s_nop 0
	v_fma_f64 v[208:209], -v[202:203], v[204:205], 1.0
	v_fmac_f64_e32 v[204:205], v[204:205], v[208:209]
	v_fma_f64 v[208:209], -v[202:203], v[204:205], 1.0
	v_fmac_f64_e32 v[204:205], v[204:205], v[208:209]
	v_div_scale_f64 v[208:209], vcc, 1.0, v[200:201], 1.0
	v_mul_f64 v[210:211], v[208:209], v[204:205]
	v_fma_f64 v[202:203], -v[202:203], v[210:211], v[208:209]
	s_nop 1
	v_div_fmas_f64 v[202:203], v[202:203], v[204:205], v[210:211]
	v_div_fixup_f64 v[204:205], v[202:203], v[200:201], 1.0
	v_mul_f64 v[206:207], v[206:207], -v[204:205]
.LBB99_61:
	s_or_b64 exec, exec, s[2:3]
	ds_write2_b64 v194, v[204:205], v[206:207] offset1:1
.LBB99_62:
	s_or_b64 exec, exec, s[4:5]
	s_waitcnt lgkmcnt(0)
	s_barrier
	ds_read2_b64 v[200:203], v194 offset1:1
	v_cmp_lt_u32_e32 vcc, 6, v234
	s_waitcnt lgkmcnt(0)
	scratch_store_dwordx4 off, v[200:203], off offset:448 ; 16-byte Folded Spill
	s_and_saveexec_b64 s[2:3], vcc
	s_cbranch_execz .LBB99_64
; %bb.63:
	scratch_load_dwordx4 v[206:209], off, off offset:240 ; 16-byte Folded Reload
	scratch_load_dwordx4 v[202:205], off, off offset:448 ; 16-byte Folded Reload
	v_mov_b64_e32 v[188:189], v[168:169]
	s_waitcnt vmcnt(0)
	v_mul_f64 v[200:201], v[204:205], v[208:209]
	v_mul_f64 v[208:209], v[202:203], v[208:209]
	v_fma_f64 v[200:201], v[202:203], v[206:207], -v[200:201]
	v_fmac_f64_e32 v[208:209], v[204:205], v[206:207]
	ds_read2_b64 v[202:205], v233 offset0:14 offset1:15
	s_waitcnt lgkmcnt(0)
	v_mul_f64 v[168:169], v[204:205], v[208:209]
	v_fma_f64 v[168:169], v[202:203], v[200:201], -v[168:169]
	v_mul_f64 v[202:203], v[202:203], v[208:209]
	v_fmac_f64_e32 v[202:203], v[204:205], v[200:201]
	scratch_load_dwordx4 v[204:207], off, off offset:224 ; 16-byte Folded Reload
	s_waitcnt vmcnt(0)
	v_add_f64 v[204:205], v[204:205], -v[168:169]
	v_add_f64 v[206:207], v[206:207], -v[202:203]
	scratch_store_dwordx4 off, v[204:207], off offset:224 ; 16-byte Folded Spill
	ds_read2_b64 v[202:205], v233 offset0:16 offset1:17
	s_waitcnt lgkmcnt(0)
	v_mul_f64 v[168:169], v[204:205], v[208:209]
	v_fma_f64 v[168:169], v[202:203], v[200:201], -v[168:169]
	v_mul_f64 v[202:203], v[202:203], v[208:209]
	v_fmac_f64_e32 v[202:203], v[204:205], v[200:201]
	scratch_load_dwordx4 v[204:207], off, off offset:208 ; 16-byte Folded Reload
	s_waitcnt vmcnt(0)
	v_add_f64 v[204:205], v[204:205], -v[168:169]
	v_add_f64 v[206:207], v[206:207], -v[202:203]
	scratch_store_dwordx4 off, v[204:207], off offset:208 ; 16-byte Folded Spill
	;; [unrolled: 11-line block ×14, first 2 shown]
	ds_read2_b64 v[202:205], v233 offset0:42 offset1:43
	s_waitcnt lgkmcnt(0)
	v_mul_f64 v[168:169], v[204:205], v[208:209]
	v_fma_f64 v[168:169], v[202:203], v[200:201], -v[168:169]
	v_mul_f64 v[202:203], v[202:203], v[208:209]
	v_fmac_f64_e32 v[202:203], v[204:205], v[200:201]
	scratch_load_dwordx4 v[204:207], off, off ; 16-byte Folded Reload
	s_waitcnt vmcnt(0)
	v_add_f64 v[204:205], v[204:205], -v[168:169]
	v_add_f64 v[206:207], v[206:207], -v[202:203]
	scratch_store_dwordx4 off, v[204:207], off ; 16-byte Folded Spill
	ds_read2_b64 v[202:205], v233 offset0:44 offset1:45
	s_waitcnt lgkmcnt(0)
	v_mul_f64 v[168:169], v[204:205], v[208:209]
	v_fma_f64 v[168:169], v[202:203], v[200:201], -v[168:169]
	v_mul_f64 v[202:203], v[202:203], v[208:209]
	v_fmac_f64_e32 v[202:203], v[204:205], v[200:201]
	v_add_f64 v[106:107], v[106:107], -v[202:203]
	ds_read2_b64 v[202:205], v233 offset0:46 offset1:47
	v_add_f64 v[104:105], v[104:105], -v[168:169]
	v_mov_b64_e32 v[206:207], v[200:201]
	scratch_store_dwordx4 off, v[206:209], off offset:240 ; 16-byte Folded Spill
	s_waitcnt lgkmcnt(0)
	v_mul_f64 v[168:169], v[204:205], v[208:209]
	v_fma_f64 v[168:169], v[202:203], v[200:201], -v[168:169]
	v_mul_f64 v[202:203], v[202:203], v[208:209]
	v_fmac_f64_e32 v[202:203], v[204:205], v[200:201]
	v_add_f64 v[102:103], v[102:103], -v[202:203]
	ds_read2_b64 v[202:205], v233 offset0:48 offset1:49
	v_add_f64 v[100:101], v[100:101], -v[168:169]
	s_waitcnt lgkmcnt(0)
	v_mul_f64 v[168:169], v[204:205], v[208:209]
	v_fma_f64 v[168:169], v[202:203], v[200:201], -v[168:169]
	v_mul_f64 v[202:203], v[202:203], v[208:209]
	v_fmac_f64_e32 v[202:203], v[204:205], v[200:201]
	v_add_f64 v[98:99], v[98:99], -v[202:203]
	ds_read2_b64 v[202:205], v233 offset0:50 offset1:51
	v_add_f64 v[96:97], v[96:97], -v[168:169]
	;; [unrolled: 8-line block ×26, first 2 shown]
	s_waitcnt lgkmcnt(0)
	v_mul_f64 v[168:169], v[204:205], v[208:209]
	v_fma_f64 v[168:169], v[202:203], v[200:201], -v[168:169]
	v_mul_f64 v[202:203], v[202:203], v[208:209]
	v_fmac_f64_e32 v[202:203], v[204:205], v[200:201]
	v_add_f64 v[196:197], v[196:197], -v[168:169]
	v_mov_b64_e32 v[168:169], v[188:189]
	v_add_f64 v[198:199], v[198:199], -v[202:203]
.LBB99_64:
	s_or_b64 exec, exec, s[2:3]
	v_cmp_eq_u32_e32 vcc, 7, v234
	s_barrier
	s_and_saveexec_b64 s[4:5], vcc
	s_cbranch_execz .LBB99_71
; %bb.65:
	scratch_load_dwordx4 v[200:203], off, off offset:224 ; 16-byte Folded Reload
	s_waitcnt vmcnt(0)
	ds_write2_b64 v194, v[200:201], v[202:203] offset1:1
	scratch_load_dwordx4 v[200:203], off, off offset:208 ; 16-byte Folded Reload
	s_waitcnt vmcnt(0)
	ds_write2_b64 v233, v[200:201], v[202:203] offset0:16 offset1:17
	scratch_load_dwordx4 v[200:203], off, off offset:192 ; 16-byte Folded Reload
	s_waitcnt vmcnt(0)
	ds_write2_b64 v233, v[200:201], v[202:203] offset0:18 offset1:19
	;; [unrolled: 3-line block ×13, first 2 shown]
	scratch_load_dwordx4 v[200:203], off, off ; 16-byte Folded Reload
	s_waitcnt vmcnt(0)
	ds_write2_b64 v233, v[200:201], v[202:203] offset0:42 offset1:43
	ds_write2_b64 v233, v[104:105], v[106:107] offset0:44 offset1:45
	;; [unrolled: 1-line block ×29, first 2 shown]
	ds_read2_b64 v[200:203], v194 offset1:1
	s_waitcnt lgkmcnt(0)
	v_cmp_neq_f64_e32 vcc, 0, v[200:201]
	v_cmp_neq_f64_e64 s[2:3], 0, v[202:203]
	s_or_b64 s[2:3], vcc, s[2:3]
	s_and_b64 exec, exec, s[2:3]
	s_cbranch_execz .LBB99_71
; %bb.66:
	v_cmp_ngt_f64_e64 s[2:3], |v[200:201]|, |v[202:203]|
                                        ; implicit-def: $vgpr204_vgpr205
	s_and_saveexec_b64 s[10:11], s[2:3]
	s_xor_b64 s[2:3], exec, s[10:11]
                                        ; implicit-def: $vgpr206_vgpr207
	s_cbranch_execz .LBB99_68
; %bb.67:
	v_div_scale_f64 v[204:205], s[10:11], v[202:203], v[202:203], v[200:201]
	v_rcp_f64_e32 v[206:207], v[204:205]
	v_div_scale_f64 v[208:209], vcc, v[200:201], v[202:203], v[200:201]
	v_fma_f64 v[210:211], -v[204:205], v[206:207], 1.0
	v_fmac_f64_e32 v[206:207], v[206:207], v[210:211]
	v_fma_f64 v[210:211], -v[204:205], v[206:207], 1.0
	v_fmac_f64_e32 v[206:207], v[206:207], v[210:211]
	v_mul_f64 v[210:211], v[208:209], v[206:207]
	v_fma_f64 v[204:205], -v[204:205], v[210:211], v[208:209]
	v_div_fmas_f64 v[204:205], v[204:205], v[206:207], v[210:211]
	v_div_fixup_f64 v[204:205], v[204:205], v[202:203], v[200:201]
	v_fmac_f64_e32 v[202:203], v[200:201], v[204:205]
	v_div_scale_f64 v[200:201], s[10:11], v[202:203], v[202:203], 1.0
	v_rcp_f64_e32 v[206:207], v[200:201]
	s_nop 0
	v_fma_f64 v[208:209], -v[200:201], v[206:207], 1.0
	v_fmac_f64_e32 v[206:207], v[206:207], v[208:209]
	v_fma_f64 v[208:209], -v[200:201], v[206:207], 1.0
	v_fmac_f64_e32 v[206:207], v[206:207], v[208:209]
	v_div_scale_f64 v[208:209], vcc, 1.0, v[202:203], 1.0
	v_mul_f64 v[210:211], v[208:209], v[206:207]
	v_fma_f64 v[200:201], -v[200:201], v[210:211], v[208:209]
	s_nop 1
	v_div_fmas_f64 v[200:201], v[200:201], v[206:207], v[210:211]
	v_div_fixup_f64 v[206:207], v[200:201], v[202:203], 1.0
	v_mul_f64 v[204:205], v[204:205], v[206:207]
	v_xor_b32_e32 v207, 0x80000000, v207
                                        ; implicit-def: $vgpr200_vgpr201
.LBB99_68:
	s_andn2_saveexec_b64 s[2:3], s[2:3]
	s_cbranch_execz .LBB99_70
; %bb.69:
	v_div_scale_f64 v[204:205], s[10:11], v[200:201], v[200:201], v[202:203]
	v_rcp_f64_e32 v[206:207], v[204:205]
	v_div_scale_f64 v[208:209], vcc, v[202:203], v[200:201], v[202:203]
	v_fma_f64 v[210:211], -v[204:205], v[206:207], 1.0
	v_fmac_f64_e32 v[206:207], v[206:207], v[210:211]
	v_fma_f64 v[210:211], -v[204:205], v[206:207], 1.0
	v_fmac_f64_e32 v[206:207], v[206:207], v[210:211]
	v_mul_f64 v[210:211], v[208:209], v[206:207]
	v_fma_f64 v[204:205], -v[204:205], v[210:211], v[208:209]
	v_div_fmas_f64 v[204:205], v[204:205], v[206:207], v[210:211]
	v_div_fixup_f64 v[206:207], v[204:205], v[200:201], v[202:203]
	v_fmac_f64_e32 v[200:201], v[202:203], v[206:207]
	v_div_scale_f64 v[202:203], s[10:11], v[200:201], v[200:201], 1.0
	v_rcp_f64_e32 v[204:205], v[202:203]
	s_nop 0
	v_fma_f64 v[208:209], -v[202:203], v[204:205], 1.0
	v_fmac_f64_e32 v[204:205], v[204:205], v[208:209]
	v_fma_f64 v[208:209], -v[202:203], v[204:205], 1.0
	v_fmac_f64_e32 v[204:205], v[204:205], v[208:209]
	v_div_scale_f64 v[208:209], vcc, 1.0, v[200:201], 1.0
	v_mul_f64 v[210:211], v[208:209], v[204:205]
	v_fma_f64 v[202:203], -v[202:203], v[210:211], v[208:209]
	s_nop 1
	v_div_fmas_f64 v[202:203], v[202:203], v[204:205], v[210:211]
	v_div_fixup_f64 v[204:205], v[202:203], v[200:201], 1.0
	v_mul_f64 v[206:207], v[206:207], -v[204:205]
.LBB99_70:
	s_or_b64 exec, exec, s[2:3]
	ds_write2_b64 v194, v[204:205], v[206:207] offset1:1
.LBB99_71:
	s_or_b64 exec, exec, s[4:5]
	s_waitcnt lgkmcnt(0)
	s_barrier
	ds_read2_b64 v[200:203], v194 offset1:1
	v_cmp_lt_u32_e32 vcc, 7, v234
	s_waitcnt lgkmcnt(0)
	scratch_store_dwordx4 off, v[200:203], off offset:464 ; 16-byte Folded Spill
	s_and_saveexec_b64 s[2:3], vcc
	s_cbranch_execz .LBB99_73
; %bb.72:
	scratch_load_dwordx4 v[206:209], off, off offset:224 ; 16-byte Folded Reload
	scratch_load_dwordx4 v[202:205], off, off offset:464 ; 16-byte Folded Reload
	v_mov_b64_e32 v[188:189], v[164:165]
	s_waitcnt vmcnt(0)
	v_mul_f64 v[200:201], v[204:205], v[208:209]
	v_mul_f64 v[208:209], v[202:203], v[208:209]
	v_fma_f64 v[200:201], v[202:203], v[206:207], -v[200:201]
	v_fmac_f64_e32 v[208:209], v[204:205], v[206:207]
	ds_read2_b64 v[202:205], v233 offset0:16 offset1:17
	s_waitcnt lgkmcnt(0)
	v_mul_f64 v[164:165], v[204:205], v[208:209]
	v_fma_f64 v[164:165], v[202:203], v[200:201], -v[164:165]
	v_mul_f64 v[202:203], v[202:203], v[208:209]
	v_fmac_f64_e32 v[202:203], v[204:205], v[200:201]
	scratch_load_dwordx4 v[204:207], off, off offset:208 ; 16-byte Folded Reload
	s_waitcnt vmcnt(0)
	v_add_f64 v[204:205], v[204:205], -v[164:165]
	v_add_f64 v[206:207], v[206:207], -v[202:203]
	scratch_store_dwordx4 off, v[204:207], off offset:208 ; 16-byte Folded Spill
	ds_read2_b64 v[202:205], v233 offset0:18 offset1:19
	s_waitcnt lgkmcnt(0)
	v_mul_f64 v[164:165], v[204:205], v[208:209]
	v_fma_f64 v[164:165], v[202:203], v[200:201], -v[164:165]
	v_mul_f64 v[202:203], v[202:203], v[208:209]
	v_fmac_f64_e32 v[202:203], v[204:205], v[200:201]
	scratch_load_dwordx4 v[204:207], off, off offset:192 ; 16-byte Folded Reload
	s_waitcnt vmcnt(0)
	v_add_f64 v[204:205], v[204:205], -v[164:165]
	v_add_f64 v[206:207], v[206:207], -v[202:203]
	scratch_store_dwordx4 off, v[204:207], off offset:192 ; 16-byte Folded Spill
	;; [unrolled: 11-line block ×13, first 2 shown]
	ds_read2_b64 v[202:205], v233 offset0:42 offset1:43
	s_waitcnt lgkmcnt(0)
	v_mul_f64 v[164:165], v[204:205], v[208:209]
	v_fma_f64 v[164:165], v[202:203], v[200:201], -v[164:165]
	v_mul_f64 v[202:203], v[202:203], v[208:209]
	v_fmac_f64_e32 v[202:203], v[204:205], v[200:201]
	scratch_load_dwordx4 v[204:207], off, off ; 16-byte Folded Reload
	s_waitcnt vmcnt(0)
	v_add_f64 v[204:205], v[204:205], -v[164:165]
	v_add_f64 v[206:207], v[206:207], -v[202:203]
	scratch_store_dwordx4 off, v[204:207], off ; 16-byte Folded Spill
	ds_read2_b64 v[202:205], v233 offset0:44 offset1:45
	s_waitcnt lgkmcnt(0)
	v_mul_f64 v[164:165], v[204:205], v[208:209]
	v_fma_f64 v[164:165], v[202:203], v[200:201], -v[164:165]
	v_mul_f64 v[202:203], v[202:203], v[208:209]
	v_fmac_f64_e32 v[202:203], v[204:205], v[200:201]
	v_add_f64 v[106:107], v[106:107], -v[202:203]
	ds_read2_b64 v[202:205], v233 offset0:46 offset1:47
	v_add_f64 v[104:105], v[104:105], -v[164:165]
	v_mov_b64_e32 v[206:207], v[200:201]
	scratch_store_dwordx4 off, v[206:209], off offset:224 ; 16-byte Folded Spill
	s_waitcnt lgkmcnt(0)
	v_mul_f64 v[164:165], v[204:205], v[208:209]
	v_fma_f64 v[164:165], v[202:203], v[200:201], -v[164:165]
	v_mul_f64 v[202:203], v[202:203], v[208:209]
	v_fmac_f64_e32 v[202:203], v[204:205], v[200:201]
	v_add_f64 v[102:103], v[102:103], -v[202:203]
	ds_read2_b64 v[202:205], v233 offset0:48 offset1:49
	v_add_f64 v[100:101], v[100:101], -v[164:165]
	s_waitcnt lgkmcnt(0)
	v_mul_f64 v[164:165], v[204:205], v[208:209]
	v_fma_f64 v[164:165], v[202:203], v[200:201], -v[164:165]
	v_mul_f64 v[202:203], v[202:203], v[208:209]
	v_fmac_f64_e32 v[202:203], v[204:205], v[200:201]
	v_add_f64 v[98:99], v[98:99], -v[202:203]
	ds_read2_b64 v[202:205], v233 offset0:50 offset1:51
	v_add_f64 v[96:97], v[96:97], -v[164:165]
	;; [unrolled: 8-line block ×26, first 2 shown]
	s_waitcnt lgkmcnt(0)
	v_mul_f64 v[164:165], v[204:205], v[208:209]
	v_fma_f64 v[164:165], v[202:203], v[200:201], -v[164:165]
	v_mul_f64 v[202:203], v[202:203], v[208:209]
	v_fmac_f64_e32 v[202:203], v[204:205], v[200:201]
	v_add_f64 v[196:197], v[196:197], -v[164:165]
	v_mov_b64_e32 v[164:165], v[188:189]
	v_add_f64 v[198:199], v[198:199], -v[202:203]
.LBB99_73:
	s_or_b64 exec, exec, s[2:3]
	v_cmp_eq_u32_e32 vcc, 8, v234
	s_barrier
	s_and_saveexec_b64 s[4:5], vcc
	s_cbranch_execz .LBB99_80
; %bb.74:
	scratch_load_dwordx4 v[200:203], off, off offset:208 ; 16-byte Folded Reload
	s_waitcnt vmcnt(0)
	ds_write2_b64 v194, v[200:201], v[202:203] offset1:1
	scratch_load_dwordx4 v[200:203], off, off offset:192 ; 16-byte Folded Reload
	s_waitcnt vmcnt(0)
	ds_write2_b64 v233, v[200:201], v[202:203] offset0:18 offset1:19
	scratch_load_dwordx4 v[200:203], off, off offset:176 ; 16-byte Folded Reload
	s_waitcnt vmcnt(0)
	ds_write2_b64 v233, v[200:201], v[202:203] offset0:20 offset1:21
	;; [unrolled: 3-line block ×12, first 2 shown]
	scratch_load_dwordx4 v[200:203], off, off ; 16-byte Folded Reload
	s_waitcnt vmcnt(0)
	ds_write2_b64 v233, v[200:201], v[202:203] offset0:42 offset1:43
	ds_write2_b64 v233, v[104:105], v[106:107] offset0:44 offset1:45
	;; [unrolled: 1-line block ×29, first 2 shown]
	ds_read2_b64 v[200:203], v194 offset1:1
	s_waitcnt lgkmcnt(0)
	v_cmp_neq_f64_e32 vcc, 0, v[200:201]
	v_cmp_neq_f64_e64 s[2:3], 0, v[202:203]
	s_or_b64 s[2:3], vcc, s[2:3]
	s_and_b64 exec, exec, s[2:3]
	s_cbranch_execz .LBB99_80
; %bb.75:
	v_cmp_ngt_f64_e64 s[2:3], |v[200:201]|, |v[202:203]|
                                        ; implicit-def: $vgpr204_vgpr205
	s_and_saveexec_b64 s[10:11], s[2:3]
	s_xor_b64 s[2:3], exec, s[10:11]
                                        ; implicit-def: $vgpr206_vgpr207
	s_cbranch_execz .LBB99_77
; %bb.76:
	v_div_scale_f64 v[204:205], s[10:11], v[202:203], v[202:203], v[200:201]
	v_rcp_f64_e32 v[206:207], v[204:205]
	v_div_scale_f64 v[208:209], vcc, v[200:201], v[202:203], v[200:201]
	v_fma_f64 v[210:211], -v[204:205], v[206:207], 1.0
	v_fmac_f64_e32 v[206:207], v[206:207], v[210:211]
	v_fma_f64 v[210:211], -v[204:205], v[206:207], 1.0
	v_fmac_f64_e32 v[206:207], v[206:207], v[210:211]
	v_mul_f64 v[210:211], v[208:209], v[206:207]
	v_fma_f64 v[204:205], -v[204:205], v[210:211], v[208:209]
	v_div_fmas_f64 v[204:205], v[204:205], v[206:207], v[210:211]
	v_div_fixup_f64 v[204:205], v[204:205], v[202:203], v[200:201]
	v_fmac_f64_e32 v[202:203], v[200:201], v[204:205]
	v_div_scale_f64 v[200:201], s[10:11], v[202:203], v[202:203], 1.0
	v_rcp_f64_e32 v[206:207], v[200:201]
	s_nop 0
	v_fma_f64 v[208:209], -v[200:201], v[206:207], 1.0
	v_fmac_f64_e32 v[206:207], v[206:207], v[208:209]
	v_fma_f64 v[208:209], -v[200:201], v[206:207], 1.0
	v_fmac_f64_e32 v[206:207], v[206:207], v[208:209]
	v_div_scale_f64 v[208:209], vcc, 1.0, v[202:203], 1.0
	v_mul_f64 v[210:211], v[208:209], v[206:207]
	v_fma_f64 v[200:201], -v[200:201], v[210:211], v[208:209]
	s_nop 1
	v_div_fmas_f64 v[200:201], v[200:201], v[206:207], v[210:211]
	v_div_fixup_f64 v[206:207], v[200:201], v[202:203], 1.0
	v_mul_f64 v[204:205], v[204:205], v[206:207]
	v_xor_b32_e32 v207, 0x80000000, v207
                                        ; implicit-def: $vgpr200_vgpr201
.LBB99_77:
	s_andn2_saveexec_b64 s[2:3], s[2:3]
	s_cbranch_execz .LBB99_79
; %bb.78:
	v_div_scale_f64 v[204:205], s[10:11], v[200:201], v[200:201], v[202:203]
	v_rcp_f64_e32 v[206:207], v[204:205]
	v_div_scale_f64 v[208:209], vcc, v[202:203], v[200:201], v[202:203]
	v_fma_f64 v[210:211], -v[204:205], v[206:207], 1.0
	v_fmac_f64_e32 v[206:207], v[206:207], v[210:211]
	v_fma_f64 v[210:211], -v[204:205], v[206:207], 1.0
	v_fmac_f64_e32 v[206:207], v[206:207], v[210:211]
	v_mul_f64 v[210:211], v[208:209], v[206:207]
	v_fma_f64 v[204:205], -v[204:205], v[210:211], v[208:209]
	v_div_fmas_f64 v[204:205], v[204:205], v[206:207], v[210:211]
	v_div_fixup_f64 v[206:207], v[204:205], v[200:201], v[202:203]
	v_fmac_f64_e32 v[200:201], v[202:203], v[206:207]
	v_div_scale_f64 v[202:203], s[10:11], v[200:201], v[200:201], 1.0
	v_rcp_f64_e32 v[204:205], v[202:203]
	s_nop 0
	v_fma_f64 v[208:209], -v[202:203], v[204:205], 1.0
	v_fmac_f64_e32 v[204:205], v[204:205], v[208:209]
	v_fma_f64 v[208:209], -v[202:203], v[204:205], 1.0
	v_fmac_f64_e32 v[204:205], v[204:205], v[208:209]
	v_div_scale_f64 v[208:209], vcc, 1.0, v[200:201], 1.0
	v_mul_f64 v[210:211], v[208:209], v[204:205]
	v_fma_f64 v[202:203], -v[202:203], v[210:211], v[208:209]
	s_nop 1
	v_div_fmas_f64 v[202:203], v[202:203], v[204:205], v[210:211]
	v_div_fixup_f64 v[204:205], v[202:203], v[200:201], 1.0
	v_mul_f64 v[206:207], v[206:207], -v[204:205]
.LBB99_79:
	s_or_b64 exec, exec, s[2:3]
	ds_write2_b64 v194, v[204:205], v[206:207] offset1:1
.LBB99_80:
	s_or_b64 exec, exec, s[4:5]
	s_waitcnt lgkmcnt(0)
	s_barrier
	ds_read2_b64 v[200:203], v194 offset1:1
	v_cmp_lt_u32_e32 vcc, 8, v234
	s_waitcnt lgkmcnt(0)
	scratch_store_dwordx4 off, v[200:203], off offset:480 ; 16-byte Folded Spill
	s_and_saveexec_b64 s[2:3], vcc
	s_cbranch_execz .LBB99_82
; %bb.81:
	scratch_load_dwordx4 v[206:209], off, off offset:208 ; 16-byte Folded Reload
	scratch_load_dwordx4 v[202:205], off, off offset:480 ; 16-byte Folded Reload
	v_mov_b64_e32 v[188:189], v[160:161]
	s_waitcnt vmcnt(0)
	v_mul_f64 v[200:201], v[204:205], v[208:209]
	v_mul_f64 v[208:209], v[202:203], v[208:209]
	v_fma_f64 v[200:201], v[202:203], v[206:207], -v[200:201]
	v_fmac_f64_e32 v[208:209], v[204:205], v[206:207]
	ds_read2_b64 v[202:205], v233 offset0:18 offset1:19
	s_waitcnt lgkmcnt(0)
	v_mul_f64 v[160:161], v[204:205], v[208:209]
	v_fma_f64 v[160:161], v[202:203], v[200:201], -v[160:161]
	v_mul_f64 v[202:203], v[202:203], v[208:209]
	v_fmac_f64_e32 v[202:203], v[204:205], v[200:201]
	scratch_load_dwordx4 v[204:207], off, off offset:192 ; 16-byte Folded Reload
	s_waitcnt vmcnt(0)
	v_add_f64 v[204:205], v[204:205], -v[160:161]
	v_add_f64 v[206:207], v[206:207], -v[202:203]
	scratch_store_dwordx4 off, v[204:207], off offset:192 ; 16-byte Folded Spill
	ds_read2_b64 v[202:205], v233 offset0:20 offset1:21
	s_waitcnt lgkmcnt(0)
	v_mul_f64 v[160:161], v[204:205], v[208:209]
	v_fma_f64 v[160:161], v[202:203], v[200:201], -v[160:161]
	v_mul_f64 v[202:203], v[202:203], v[208:209]
	v_fmac_f64_e32 v[202:203], v[204:205], v[200:201]
	scratch_load_dwordx4 v[204:207], off, off offset:176 ; 16-byte Folded Reload
	s_waitcnt vmcnt(0)
	v_add_f64 v[204:205], v[204:205], -v[160:161]
	v_add_f64 v[206:207], v[206:207], -v[202:203]
	scratch_store_dwordx4 off, v[204:207], off offset:176 ; 16-byte Folded Spill
	;; [unrolled: 11-line block ×12, first 2 shown]
	ds_read2_b64 v[202:205], v233 offset0:42 offset1:43
	s_waitcnt lgkmcnt(0)
	v_mul_f64 v[160:161], v[204:205], v[208:209]
	v_fma_f64 v[160:161], v[202:203], v[200:201], -v[160:161]
	v_mul_f64 v[202:203], v[202:203], v[208:209]
	v_fmac_f64_e32 v[202:203], v[204:205], v[200:201]
	scratch_load_dwordx4 v[204:207], off, off ; 16-byte Folded Reload
	s_waitcnt vmcnt(0)
	v_add_f64 v[204:205], v[204:205], -v[160:161]
	v_add_f64 v[206:207], v[206:207], -v[202:203]
	scratch_store_dwordx4 off, v[204:207], off ; 16-byte Folded Spill
	ds_read2_b64 v[202:205], v233 offset0:44 offset1:45
	s_waitcnt lgkmcnt(0)
	v_mul_f64 v[160:161], v[204:205], v[208:209]
	v_fma_f64 v[160:161], v[202:203], v[200:201], -v[160:161]
	v_mul_f64 v[202:203], v[202:203], v[208:209]
	v_fmac_f64_e32 v[202:203], v[204:205], v[200:201]
	v_add_f64 v[106:107], v[106:107], -v[202:203]
	ds_read2_b64 v[202:205], v233 offset0:46 offset1:47
	v_add_f64 v[104:105], v[104:105], -v[160:161]
	v_mov_b64_e32 v[206:207], v[200:201]
	scratch_store_dwordx4 off, v[206:209], off offset:208 ; 16-byte Folded Spill
	s_waitcnt lgkmcnt(0)
	v_mul_f64 v[160:161], v[204:205], v[208:209]
	v_fma_f64 v[160:161], v[202:203], v[200:201], -v[160:161]
	v_mul_f64 v[202:203], v[202:203], v[208:209]
	v_fmac_f64_e32 v[202:203], v[204:205], v[200:201]
	v_add_f64 v[102:103], v[102:103], -v[202:203]
	ds_read2_b64 v[202:205], v233 offset0:48 offset1:49
	v_add_f64 v[100:101], v[100:101], -v[160:161]
	s_waitcnt lgkmcnt(0)
	v_mul_f64 v[160:161], v[204:205], v[208:209]
	v_fma_f64 v[160:161], v[202:203], v[200:201], -v[160:161]
	v_mul_f64 v[202:203], v[202:203], v[208:209]
	v_fmac_f64_e32 v[202:203], v[204:205], v[200:201]
	v_add_f64 v[98:99], v[98:99], -v[202:203]
	ds_read2_b64 v[202:205], v233 offset0:50 offset1:51
	v_add_f64 v[96:97], v[96:97], -v[160:161]
	;; [unrolled: 8-line block ×26, first 2 shown]
	s_waitcnt lgkmcnt(0)
	v_mul_f64 v[160:161], v[204:205], v[208:209]
	v_fma_f64 v[160:161], v[202:203], v[200:201], -v[160:161]
	v_mul_f64 v[202:203], v[202:203], v[208:209]
	v_fmac_f64_e32 v[202:203], v[204:205], v[200:201]
	v_add_f64 v[196:197], v[196:197], -v[160:161]
	v_mov_b64_e32 v[160:161], v[188:189]
	v_add_f64 v[198:199], v[198:199], -v[202:203]
.LBB99_82:
	s_or_b64 exec, exec, s[2:3]
	v_cmp_eq_u32_e32 vcc, 9, v234
	s_barrier
	s_and_saveexec_b64 s[4:5], vcc
	s_cbranch_execz .LBB99_89
; %bb.83:
	scratch_load_dwordx4 v[200:203], off, off offset:192 ; 16-byte Folded Reload
	s_waitcnt vmcnt(0)
	ds_write2_b64 v194, v[200:201], v[202:203] offset1:1
	scratch_load_dwordx4 v[200:203], off, off offset:176 ; 16-byte Folded Reload
	s_waitcnt vmcnt(0)
	ds_write2_b64 v233, v[200:201], v[202:203] offset0:20 offset1:21
	scratch_load_dwordx4 v[200:203], off, off offset:160 ; 16-byte Folded Reload
	s_waitcnt vmcnt(0)
	ds_write2_b64 v233, v[200:201], v[202:203] offset0:22 offset1:23
	;; [unrolled: 3-line block ×11, first 2 shown]
	scratch_load_dwordx4 v[200:203], off, off ; 16-byte Folded Reload
	s_waitcnt vmcnt(0)
	ds_write2_b64 v233, v[200:201], v[202:203] offset0:42 offset1:43
	ds_write2_b64 v233, v[104:105], v[106:107] offset0:44 offset1:45
	;; [unrolled: 1-line block ×29, first 2 shown]
	ds_read2_b64 v[200:203], v194 offset1:1
	s_waitcnt lgkmcnt(0)
	v_cmp_neq_f64_e32 vcc, 0, v[200:201]
	v_cmp_neq_f64_e64 s[2:3], 0, v[202:203]
	s_or_b64 s[2:3], vcc, s[2:3]
	s_and_b64 exec, exec, s[2:3]
	s_cbranch_execz .LBB99_89
; %bb.84:
	v_cmp_ngt_f64_e64 s[2:3], |v[200:201]|, |v[202:203]|
                                        ; implicit-def: $vgpr204_vgpr205
	s_and_saveexec_b64 s[10:11], s[2:3]
	s_xor_b64 s[2:3], exec, s[10:11]
                                        ; implicit-def: $vgpr206_vgpr207
	s_cbranch_execz .LBB99_86
; %bb.85:
	v_div_scale_f64 v[204:205], s[10:11], v[202:203], v[202:203], v[200:201]
	v_rcp_f64_e32 v[206:207], v[204:205]
	v_div_scale_f64 v[208:209], vcc, v[200:201], v[202:203], v[200:201]
	v_fma_f64 v[210:211], -v[204:205], v[206:207], 1.0
	v_fmac_f64_e32 v[206:207], v[206:207], v[210:211]
	v_fma_f64 v[210:211], -v[204:205], v[206:207], 1.0
	v_fmac_f64_e32 v[206:207], v[206:207], v[210:211]
	v_mul_f64 v[210:211], v[208:209], v[206:207]
	v_fma_f64 v[204:205], -v[204:205], v[210:211], v[208:209]
	v_div_fmas_f64 v[204:205], v[204:205], v[206:207], v[210:211]
	v_div_fixup_f64 v[204:205], v[204:205], v[202:203], v[200:201]
	v_fmac_f64_e32 v[202:203], v[200:201], v[204:205]
	v_div_scale_f64 v[200:201], s[10:11], v[202:203], v[202:203], 1.0
	v_rcp_f64_e32 v[206:207], v[200:201]
	s_nop 0
	v_fma_f64 v[208:209], -v[200:201], v[206:207], 1.0
	v_fmac_f64_e32 v[206:207], v[206:207], v[208:209]
	v_fma_f64 v[208:209], -v[200:201], v[206:207], 1.0
	v_fmac_f64_e32 v[206:207], v[206:207], v[208:209]
	v_div_scale_f64 v[208:209], vcc, 1.0, v[202:203], 1.0
	v_mul_f64 v[210:211], v[208:209], v[206:207]
	v_fma_f64 v[200:201], -v[200:201], v[210:211], v[208:209]
	s_nop 1
	v_div_fmas_f64 v[200:201], v[200:201], v[206:207], v[210:211]
	v_div_fixup_f64 v[206:207], v[200:201], v[202:203], 1.0
	v_mul_f64 v[204:205], v[204:205], v[206:207]
	v_xor_b32_e32 v207, 0x80000000, v207
                                        ; implicit-def: $vgpr200_vgpr201
.LBB99_86:
	s_andn2_saveexec_b64 s[2:3], s[2:3]
	s_cbranch_execz .LBB99_88
; %bb.87:
	v_div_scale_f64 v[204:205], s[10:11], v[200:201], v[200:201], v[202:203]
	v_rcp_f64_e32 v[206:207], v[204:205]
	v_div_scale_f64 v[208:209], vcc, v[202:203], v[200:201], v[202:203]
	v_fma_f64 v[210:211], -v[204:205], v[206:207], 1.0
	v_fmac_f64_e32 v[206:207], v[206:207], v[210:211]
	v_fma_f64 v[210:211], -v[204:205], v[206:207], 1.0
	v_fmac_f64_e32 v[206:207], v[206:207], v[210:211]
	v_mul_f64 v[210:211], v[208:209], v[206:207]
	v_fma_f64 v[204:205], -v[204:205], v[210:211], v[208:209]
	v_div_fmas_f64 v[204:205], v[204:205], v[206:207], v[210:211]
	v_div_fixup_f64 v[206:207], v[204:205], v[200:201], v[202:203]
	v_fmac_f64_e32 v[200:201], v[202:203], v[206:207]
	v_div_scale_f64 v[202:203], s[10:11], v[200:201], v[200:201], 1.0
	v_rcp_f64_e32 v[204:205], v[202:203]
	s_nop 0
	v_fma_f64 v[208:209], -v[202:203], v[204:205], 1.0
	v_fmac_f64_e32 v[204:205], v[204:205], v[208:209]
	v_fma_f64 v[208:209], -v[202:203], v[204:205], 1.0
	v_fmac_f64_e32 v[204:205], v[204:205], v[208:209]
	v_div_scale_f64 v[208:209], vcc, 1.0, v[200:201], 1.0
	v_mul_f64 v[210:211], v[208:209], v[204:205]
	v_fma_f64 v[202:203], -v[202:203], v[210:211], v[208:209]
	s_nop 1
	v_div_fmas_f64 v[202:203], v[202:203], v[204:205], v[210:211]
	v_div_fixup_f64 v[204:205], v[202:203], v[200:201], 1.0
	v_mul_f64 v[206:207], v[206:207], -v[204:205]
.LBB99_88:
	s_or_b64 exec, exec, s[2:3]
	ds_write2_b64 v194, v[204:205], v[206:207] offset1:1
.LBB99_89:
	s_or_b64 exec, exec, s[4:5]
	s_waitcnt lgkmcnt(0)
	s_barrier
	ds_read2_b64 v[200:203], v194 offset1:1
	v_cmp_lt_u32_e32 vcc, 9, v234
	s_waitcnt lgkmcnt(0)
	scratch_store_dwordx4 off, v[200:203], off offset:496 ; 16-byte Folded Spill
	s_and_saveexec_b64 s[2:3], vcc
	s_cbranch_execz .LBB99_91
; %bb.90:
	scratch_load_dwordx4 v[206:209], off, off offset:192 ; 16-byte Folded Reload
	scratch_load_dwordx4 v[202:205], off, off offset:496 ; 16-byte Folded Reload
	v_mov_b64_e32 v[188:189], v[156:157]
	s_waitcnt vmcnt(0)
	v_mul_f64 v[200:201], v[204:205], v[208:209]
	v_mul_f64 v[208:209], v[202:203], v[208:209]
	v_fma_f64 v[200:201], v[202:203], v[206:207], -v[200:201]
	v_fmac_f64_e32 v[208:209], v[204:205], v[206:207]
	ds_read2_b64 v[202:205], v233 offset0:20 offset1:21
	s_waitcnt lgkmcnt(0)
	v_mul_f64 v[156:157], v[204:205], v[208:209]
	v_fma_f64 v[156:157], v[202:203], v[200:201], -v[156:157]
	v_mul_f64 v[202:203], v[202:203], v[208:209]
	v_fmac_f64_e32 v[202:203], v[204:205], v[200:201]
	scratch_load_dwordx4 v[204:207], off, off offset:176 ; 16-byte Folded Reload
	s_waitcnt vmcnt(0)
	v_add_f64 v[204:205], v[204:205], -v[156:157]
	v_add_f64 v[206:207], v[206:207], -v[202:203]
	scratch_store_dwordx4 off, v[204:207], off offset:176 ; 16-byte Folded Spill
	ds_read2_b64 v[202:205], v233 offset0:22 offset1:23
	s_waitcnt lgkmcnt(0)
	v_mul_f64 v[156:157], v[204:205], v[208:209]
	v_fma_f64 v[156:157], v[202:203], v[200:201], -v[156:157]
	v_mul_f64 v[202:203], v[202:203], v[208:209]
	v_fmac_f64_e32 v[202:203], v[204:205], v[200:201]
	scratch_load_dwordx4 v[204:207], off, off offset:160 ; 16-byte Folded Reload
	s_waitcnt vmcnt(0)
	v_add_f64 v[204:205], v[204:205], -v[156:157]
	v_add_f64 v[206:207], v[206:207], -v[202:203]
	scratch_store_dwordx4 off, v[204:207], off offset:160 ; 16-byte Folded Spill
	;; [unrolled: 11-line block ×11, first 2 shown]
	ds_read2_b64 v[202:205], v233 offset0:42 offset1:43
	s_waitcnt lgkmcnt(0)
	v_mul_f64 v[156:157], v[204:205], v[208:209]
	v_fma_f64 v[156:157], v[202:203], v[200:201], -v[156:157]
	v_mul_f64 v[202:203], v[202:203], v[208:209]
	v_fmac_f64_e32 v[202:203], v[204:205], v[200:201]
	scratch_load_dwordx4 v[204:207], off, off ; 16-byte Folded Reload
	s_waitcnt vmcnt(0)
	v_add_f64 v[204:205], v[204:205], -v[156:157]
	v_add_f64 v[206:207], v[206:207], -v[202:203]
	scratch_store_dwordx4 off, v[204:207], off ; 16-byte Folded Spill
	ds_read2_b64 v[202:205], v233 offset0:44 offset1:45
	s_waitcnt lgkmcnt(0)
	v_mul_f64 v[156:157], v[204:205], v[208:209]
	v_fma_f64 v[156:157], v[202:203], v[200:201], -v[156:157]
	v_mul_f64 v[202:203], v[202:203], v[208:209]
	v_fmac_f64_e32 v[202:203], v[204:205], v[200:201]
	v_add_f64 v[106:107], v[106:107], -v[202:203]
	ds_read2_b64 v[202:205], v233 offset0:46 offset1:47
	v_add_f64 v[104:105], v[104:105], -v[156:157]
	v_mov_b64_e32 v[206:207], v[200:201]
	scratch_store_dwordx4 off, v[206:209], off offset:192 ; 16-byte Folded Spill
	s_waitcnt lgkmcnt(0)
	v_mul_f64 v[156:157], v[204:205], v[208:209]
	v_fma_f64 v[156:157], v[202:203], v[200:201], -v[156:157]
	v_mul_f64 v[202:203], v[202:203], v[208:209]
	v_fmac_f64_e32 v[202:203], v[204:205], v[200:201]
	v_add_f64 v[102:103], v[102:103], -v[202:203]
	ds_read2_b64 v[202:205], v233 offset0:48 offset1:49
	v_add_f64 v[100:101], v[100:101], -v[156:157]
	s_waitcnt lgkmcnt(0)
	v_mul_f64 v[156:157], v[204:205], v[208:209]
	v_fma_f64 v[156:157], v[202:203], v[200:201], -v[156:157]
	v_mul_f64 v[202:203], v[202:203], v[208:209]
	v_fmac_f64_e32 v[202:203], v[204:205], v[200:201]
	v_add_f64 v[98:99], v[98:99], -v[202:203]
	ds_read2_b64 v[202:205], v233 offset0:50 offset1:51
	v_add_f64 v[96:97], v[96:97], -v[156:157]
	s_waitcnt lgkmcnt(0)
	v_mul_f64 v[156:157], v[204:205], v[208:209]
	v_fma_f64 v[156:157], v[202:203], v[200:201], -v[156:157]
	v_mul_f64 v[202:203], v[202:203], v[208:209]
	v_fmac_f64_e32 v[202:203], v[204:205], v[200:201]
	v_add_f64 v[94:95], v[94:95], -v[202:203]
	ds_read2_b64 v[202:205], v233 offset0:52 offset1:53
	v_add_f64 v[92:93], v[92:93], -v[156:157]
	s_waitcnt lgkmcnt(0)
	v_mul_f64 v[156:157], v[204:205], v[208:209]
	v_fma_f64 v[156:157], v[202:203], v[200:201], -v[156:157]
	v_mul_f64 v[202:203], v[202:203], v[208:209]
	v_fmac_f64_e32 v[202:203], v[204:205], v[200:201]
	v_add_f64 v[90:91], v[90:91], -v[202:203]
	ds_read2_b64 v[202:205], v233 offset0:54 offset1:55
	v_add_f64 v[88:89], v[88:89], -v[156:157]
	s_waitcnt lgkmcnt(0)
	v_mul_f64 v[156:157], v[204:205], v[208:209]
	v_fma_f64 v[156:157], v[202:203], v[200:201], -v[156:157]
	v_mul_f64 v[202:203], v[202:203], v[208:209]
	v_fmac_f64_e32 v[202:203], v[204:205], v[200:201]
	v_add_f64 v[86:87], v[86:87], -v[202:203]
	ds_read2_b64 v[202:205], v233 offset0:56 offset1:57
	v_add_f64 v[84:85], v[84:85], -v[156:157]
	s_waitcnt lgkmcnt(0)
	v_mul_f64 v[156:157], v[204:205], v[208:209]
	v_fma_f64 v[156:157], v[202:203], v[200:201], -v[156:157]
	v_mul_f64 v[202:203], v[202:203], v[208:209]
	v_fmac_f64_e32 v[202:203], v[204:205], v[200:201]
	v_add_f64 v[82:83], v[82:83], -v[202:203]
	ds_read2_b64 v[202:205], v233 offset0:58 offset1:59
	v_add_f64 v[80:81], v[80:81], -v[156:157]
	s_waitcnt lgkmcnt(0)
	v_mul_f64 v[156:157], v[204:205], v[208:209]
	v_fma_f64 v[156:157], v[202:203], v[200:201], -v[156:157]
	v_mul_f64 v[202:203], v[202:203], v[208:209]
	v_fmac_f64_e32 v[202:203], v[204:205], v[200:201]
	v_add_f64 v[78:79], v[78:79], -v[202:203]
	ds_read2_b64 v[202:205], v233 offset0:60 offset1:61
	v_add_f64 v[76:77], v[76:77], -v[156:157]
	s_waitcnt lgkmcnt(0)
	v_mul_f64 v[156:157], v[204:205], v[208:209]
	v_fma_f64 v[156:157], v[202:203], v[200:201], -v[156:157]
	v_mul_f64 v[202:203], v[202:203], v[208:209]
	v_fmac_f64_e32 v[202:203], v[204:205], v[200:201]
	v_add_f64 v[74:75], v[74:75], -v[202:203]
	ds_read2_b64 v[202:205], v233 offset0:62 offset1:63
	v_add_f64 v[72:73], v[72:73], -v[156:157]
	s_waitcnt lgkmcnt(0)
	v_mul_f64 v[156:157], v[204:205], v[208:209]
	v_fma_f64 v[156:157], v[202:203], v[200:201], -v[156:157]
	v_mul_f64 v[202:203], v[202:203], v[208:209]
	v_fmac_f64_e32 v[202:203], v[204:205], v[200:201]
	v_add_f64 v[70:71], v[70:71], -v[202:203]
	ds_read2_b64 v[202:205], v233 offset0:64 offset1:65
	v_add_f64 v[68:69], v[68:69], -v[156:157]
	s_waitcnt lgkmcnt(0)
	v_mul_f64 v[156:157], v[204:205], v[208:209]
	v_fma_f64 v[156:157], v[202:203], v[200:201], -v[156:157]
	v_mul_f64 v[202:203], v[202:203], v[208:209]
	v_fmac_f64_e32 v[202:203], v[204:205], v[200:201]
	v_add_f64 v[66:67], v[66:67], -v[202:203]
	ds_read2_b64 v[202:205], v233 offset0:66 offset1:67
	v_add_f64 v[64:65], v[64:65], -v[156:157]
	s_waitcnt lgkmcnt(0)
	v_mul_f64 v[156:157], v[204:205], v[208:209]
	v_fma_f64 v[156:157], v[202:203], v[200:201], -v[156:157]
	v_mul_f64 v[202:203], v[202:203], v[208:209]
	v_fmac_f64_e32 v[202:203], v[204:205], v[200:201]
	v_add_f64 v[62:63], v[62:63], -v[202:203]
	ds_read2_b64 v[202:205], v233 offset0:68 offset1:69
	v_add_f64 v[60:61], v[60:61], -v[156:157]
	s_waitcnt lgkmcnt(0)
	v_mul_f64 v[156:157], v[204:205], v[208:209]
	v_fma_f64 v[156:157], v[202:203], v[200:201], -v[156:157]
	v_mul_f64 v[202:203], v[202:203], v[208:209]
	v_fmac_f64_e32 v[202:203], v[204:205], v[200:201]
	v_add_f64 v[58:59], v[58:59], -v[202:203]
	ds_read2_b64 v[202:205], v233 offset0:70 offset1:71
	v_add_f64 v[56:57], v[56:57], -v[156:157]
	s_waitcnt lgkmcnt(0)
	v_mul_f64 v[156:157], v[204:205], v[208:209]
	v_fma_f64 v[156:157], v[202:203], v[200:201], -v[156:157]
	v_mul_f64 v[202:203], v[202:203], v[208:209]
	v_fmac_f64_e32 v[202:203], v[204:205], v[200:201]
	v_add_f64 v[54:55], v[54:55], -v[202:203]
	ds_read2_b64 v[202:205], v233 offset0:72 offset1:73
	v_add_f64 v[52:53], v[52:53], -v[156:157]
	s_waitcnt lgkmcnt(0)
	v_mul_f64 v[156:157], v[204:205], v[208:209]
	v_fma_f64 v[156:157], v[202:203], v[200:201], -v[156:157]
	v_mul_f64 v[202:203], v[202:203], v[208:209]
	v_fmac_f64_e32 v[202:203], v[204:205], v[200:201]
	v_add_f64 v[50:51], v[50:51], -v[202:203]
	ds_read2_b64 v[202:205], v233 offset0:74 offset1:75
	v_add_f64 v[48:49], v[48:49], -v[156:157]
	s_waitcnt lgkmcnt(0)
	v_mul_f64 v[156:157], v[204:205], v[208:209]
	v_fma_f64 v[156:157], v[202:203], v[200:201], -v[156:157]
	v_mul_f64 v[202:203], v[202:203], v[208:209]
	v_fmac_f64_e32 v[202:203], v[204:205], v[200:201]
	v_add_f64 v[46:47], v[46:47], -v[202:203]
	ds_read2_b64 v[202:205], v233 offset0:76 offset1:77
	v_add_f64 v[44:45], v[44:45], -v[156:157]
	s_waitcnt lgkmcnt(0)
	v_mul_f64 v[156:157], v[204:205], v[208:209]
	v_fma_f64 v[156:157], v[202:203], v[200:201], -v[156:157]
	v_mul_f64 v[202:203], v[202:203], v[208:209]
	v_fmac_f64_e32 v[202:203], v[204:205], v[200:201]
	v_add_f64 v[42:43], v[42:43], -v[202:203]
	ds_read2_b64 v[202:205], v233 offset0:78 offset1:79
	v_add_f64 v[40:41], v[40:41], -v[156:157]
	s_waitcnt lgkmcnt(0)
	v_mul_f64 v[156:157], v[204:205], v[208:209]
	v_fma_f64 v[156:157], v[202:203], v[200:201], -v[156:157]
	v_mul_f64 v[202:203], v[202:203], v[208:209]
	v_fmac_f64_e32 v[202:203], v[204:205], v[200:201]
	v_add_f64 v[38:39], v[38:39], -v[202:203]
	ds_read2_b64 v[202:205], v233 offset0:80 offset1:81
	v_add_f64 v[36:37], v[36:37], -v[156:157]
	s_waitcnt lgkmcnt(0)
	v_mul_f64 v[156:157], v[204:205], v[208:209]
	v_fma_f64 v[156:157], v[202:203], v[200:201], -v[156:157]
	v_mul_f64 v[202:203], v[202:203], v[208:209]
	v_fmac_f64_e32 v[202:203], v[204:205], v[200:201]
	v_add_f64 v[34:35], v[34:35], -v[202:203]
	ds_read2_b64 v[202:205], v233 offset0:82 offset1:83
	v_add_f64 v[32:33], v[32:33], -v[156:157]
	s_waitcnt lgkmcnt(0)
	v_mul_f64 v[156:157], v[204:205], v[208:209]
	v_fma_f64 v[156:157], v[202:203], v[200:201], -v[156:157]
	v_mul_f64 v[202:203], v[202:203], v[208:209]
	v_fmac_f64_e32 v[202:203], v[204:205], v[200:201]
	v_add_f64 v[30:31], v[30:31], -v[202:203]
	ds_read2_b64 v[202:205], v233 offset0:84 offset1:85
	v_add_f64 v[28:29], v[28:29], -v[156:157]
	s_waitcnt lgkmcnt(0)
	v_mul_f64 v[156:157], v[204:205], v[208:209]
	v_fma_f64 v[156:157], v[202:203], v[200:201], -v[156:157]
	v_mul_f64 v[202:203], v[202:203], v[208:209]
	v_fmac_f64_e32 v[202:203], v[204:205], v[200:201]
	v_add_f64 v[26:27], v[26:27], -v[202:203]
	ds_read2_b64 v[202:205], v233 offset0:86 offset1:87
	v_add_f64 v[24:25], v[24:25], -v[156:157]
	s_waitcnt lgkmcnt(0)
	v_mul_f64 v[156:157], v[204:205], v[208:209]
	v_fma_f64 v[156:157], v[202:203], v[200:201], -v[156:157]
	v_mul_f64 v[202:203], v[202:203], v[208:209]
	v_fmac_f64_e32 v[202:203], v[204:205], v[200:201]
	v_add_f64 v[22:23], v[22:23], -v[202:203]
	ds_read2_b64 v[202:205], v233 offset0:88 offset1:89
	v_add_f64 v[20:21], v[20:21], -v[156:157]
	s_waitcnt lgkmcnt(0)
	v_mul_f64 v[156:157], v[204:205], v[208:209]
	v_fma_f64 v[156:157], v[202:203], v[200:201], -v[156:157]
	v_mul_f64 v[202:203], v[202:203], v[208:209]
	v_fmac_f64_e32 v[202:203], v[204:205], v[200:201]
	v_add_f64 v[18:19], v[18:19], -v[202:203]
	ds_read2_b64 v[202:205], v233 offset0:90 offset1:91
	v_add_f64 v[16:17], v[16:17], -v[156:157]
	s_waitcnt lgkmcnt(0)
	v_mul_f64 v[156:157], v[204:205], v[208:209]
	v_fma_f64 v[156:157], v[202:203], v[200:201], -v[156:157]
	v_mul_f64 v[202:203], v[202:203], v[208:209]
	v_fmac_f64_e32 v[202:203], v[204:205], v[200:201]
	v_add_f64 v[14:15], v[14:15], -v[202:203]
	ds_read2_b64 v[202:205], v233 offset0:92 offset1:93
	v_add_f64 v[12:13], v[12:13], -v[156:157]
	s_waitcnt lgkmcnt(0)
	v_mul_f64 v[156:157], v[204:205], v[208:209]
	v_fma_f64 v[156:157], v[202:203], v[200:201], -v[156:157]
	v_mul_f64 v[202:203], v[202:203], v[208:209]
	v_fmac_f64_e32 v[202:203], v[204:205], v[200:201]
	v_add_f64 v[10:11], v[10:11], -v[202:203]
	ds_read2_b64 v[202:205], v233 offset0:94 offset1:95
	v_add_f64 v[8:9], v[8:9], -v[156:157]
	s_waitcnt lgkmcnt(0)
	v_mul_f64 v[156:157], v[204:205], v[208:209]
	v_fma_f64 v[156:157], v[202:203], v[200:201], -v[156:157]
	v_mul_f64 v[202:203], v[202:203], v[208:209]
	v_fmac_f64_e32 v[202:203], v[204:205], v[200:201]
	v_add_f64 v[6:7], v[6:7], -v[202:203]
	ds_read2_b64 v[202:205], v233 offset0:96 offset1:97
	v_add_f64 v[4:5], v[4:5], -v[156:157]
	s_waitcnt lgkmcnt(0)
	v_mul_f64 v[156:157], v[204:205], v[208:209]
	v_fma_f64 v[156:157], v[202:203], v[200:201], -v[156:157]
	v_mul_f64 v[202:203], v[202:203], v[208:209]
	v_fmac_f64_e32 v[202:203], v[204:205], v[200:201]
	v_add_f64 v[2:3], v[2:3], -v[202:203]
	ds_read2_b64 v[202:205], v233 offset0:98 offset1:99
	v_add_f64 v[0:1], v[0:1], -v[156:157]
	s_waitcnt lgkmcnt(0)
	v_mul_f64 v[156:157], v[204:205], v[208:209]
	v_fma_f64 v[156:157], v[202:203], v[200:201], -v[156:157]
	v_mul_f64 v[202:203], v[202:203], v[208:209]
	v_fmac_f64_e32 v[202:203], v[204:205], v[200:201]
	v_add_f64 v[196:197], v[196:197], -v[156:157]
	v_mov_b64_e32 v[156:157], v[188:189]
	v_add_f64 v[198:199], v[198:199], -v[202:203]
.LBB99_91:
	s_or_b64 exec, exec, s[2:3]
	v_cmp_eq_u32_e32 vcc, 10, v234
	s_barrier
	s_and_saveexec_b64 s[4:5], vcc
	s_cbranch_execz .LBB99_98
; %bb.92:
	scratch_load_dwordx4 v[200:203], off, off offset:176 ; 16-byte Folded Reload
	s_waitcnt vmcnt(0)
	ds_write2_b64 v194, v[200:201], v[202:203] offset1:1
	scratch_load_dwordx4 v[200:203], off, off offset:160 ; 16-byte Folded Reload
	s_waitcnt vmcnt(0)
	ds_write2_b64 v233, v[200:201], v[202:203] offset0:22 offset1:23
	scratch_load_dwordx4 v[200:203], off, off offset:144 ; 16-byte Folded Reload
	s_waitcnt vmcnt(0)
	ds_write2_b64 v233, v[200:201], v[202:203] offset0:24 offset1:25
	;; [unrolled: 3-line block ×10, first 2 shown]
	scratch_load_dwordx4 v[200:203], off, off ; 16-byte Folded Reload
	s_waitcnt vmcnt(0)
	ds_write2_b64 v233, v[200:201], v[202:203] offset0:42 offset1:43
	ds_write2_b64 v233, v[104:105], v[106:107] offset0:44 offset1:45
	;; [unrolled: 1-line block ×29, first 2 shown]
	ds_read2_b64 v[200:203], v194 offset1:1
	s_waitcnt lgkmcnt(0)
	v_cmp_neq_f64_e32 vcc, 0, v[200:201]
	v_cmp_neq_f64_e64 s[2:3], 0, v[202:203]
	s_or_b64 s[2:3], vcc, s[2:3]
	s_and_b64 exec, exec, s[2:3]
	s_cbranch_execz .LBB99_98
; %bb.93:
	v_cmp_ngt_f64_e64 s[2:3], |v[200:201]|, |v[202:203]|
                                        ; implicit-def: $vgpr204_vgpr205
	s_and_saveexec_b64 s[10:11], s[2:3]
	s_xor_b64 s[2:3], exec, s[10:11]
                                        ; implicit-def: $vgpr206_vgpr207
	s_cbranch_execz .LBB99_95
; %bb.94:
	v_div_scale_f64 v[204:205], s[10:11], v[202:203], v[202:203], v[200:201]
	v_rcp_f64_e32 v[206:207], v[204:205]
	v_div_scale_f64 v[208:209], vcc, v[200:201], v[202:203], v[200:201]
	v_fma_f64 v[210:211], -v[204:205], v[206:207], 1.0
	v_fmac_f64_e32 v[206:207], v[206:207], v[210:211]
	v_fma_f64 v[210:211], -v[204:205], v[206:207], 1.0
	v_fmac_f64_e32 v[206:207], v[206:207], v[210:211]
	v_mul_f64 v[210:211], v[208:209], v[206:207]
	v_fma_f64 v[204:205], -v[204:205], v[210:211], v[208:209]
	v_div_fmas_f64 v[204:205], v[204:205], v[206:207], v[210:211]
	v_div_fixup_f64 v[204:205], v[204:205], v[202:203], v[200:201]
	v_fmac_f64_e32 v[202:203], v[200:201], v[204:205]
	v_div_scale_f64 v[200:201], s[10:11], v[202:203], v[202:203], 1.0
	v_rcp_f64_e32 v[206:207], v[200:201]
	s_nop 0
	v_fma_f64 v[208:209], -v[200:201], v[206:207], 1.0
	v_fmac_f64_e32 v[206:207], v[206:207], v[208:209]
	v_fma_f64 v[208:209], -v[200:201], v[206:207], 1.0
	v_fmac_f64_e32 v[206:207], v[206:207], v[208:209]
	v_div_scale_f64 v[208:209], vcc, 1.0, v[202:203], 1.0
	v_mul_f64 v[210:211], v[208:209], v[206:207]
	v_fma_f64 v[200:201], -v[200:201], v[210:211], v[208:209]
	s_nop 1
	v_div_fmas_f64 v[200:201], v[200:201], v[206:207], v[210:211]
	v_div_fixup_f64 v[206:207], v[200:201], v[202:203], 1.0
	v_mul_f64 v[204:205], v[204:205], v[206:207]
	v_xor_b32_e32 v207, 0x80000000, v207
                                        ; implicit-def: $vgpr200_vgpr201
.LBB99_95:
	s_andn2_saveexec_b64 s[2:3], s[2:3]
	s_cbranch_execz .LBB99_97
; %bb.96:
	v_div_scale_f64 v[204:205], s[10:11], v[200:201], v[200:201], v[202:203]
	v_rcp_f64_e32 v[206:207], v[204:205]
	v_div_scale_f64 v[208:209], vcc, v[202:203], v[200:201], v[202:203]
	v_fma_f64 v[210:211], -v[204:205], v[206:207], 1.0
	v_fmac_f64_e32 v[206:207], v[206:207], v[210:211]
	v_fma_f64 v[210:211], -v[204:205], v[206:207], 1.0
	v_fmac_f64_e32 v[206:207], v[206:207], v[210:211]
	v_mul_f64 v[210:211], v[208:209], v[206:207]
	v_fma_f64 v[204:205], -v[204:205], v[210:211], v[208:209]
	v_div_fmas_f64 v[204:205], v[204:205], v[206:207], v[210:211]
	v_div_fixup_f64 v[206:207], v[204:205], v[200:201], v[202:203]
	v_fmac_f64_e32 v[200:201], v[202:203], v[206:207]
	v_div_scale_f64 v[202:203], s[10:11], v[200:201], v[200:201], 1.0
	v_rcp_f64_e32 v[204:205], v[202:203]
	s_nop 0
	v_fma_f64 v[208:209], -v[202:203], v[204:205], 1.0
	v_fmac_f64_e32 v[204:205], v[204:205], v[208:209]
	v_fma_f64 v[208:209], -v[202:203], v[204:205], 1.0
	v_fmac_f64_e32 v[204:205], v[204:205], v[208:209]
	v_div_scale_f64 v[208:209], vcc, 1.0, v[200:201], 1.0
	v_mul_f64 v[210:211], v[208:209], v[204:205]
	v_fma_f64 v[202:203], -v[202:203], v[210:211], v[208:209]
	s_nop 1
	v_div_fmas_f64 v[202:203], v[202:203], v[204:205], v[210:211]
	v_div_fixup_f64 v[204:205], v[202:203], v[200:201], 1.0
	v_mul_f64 v[206:207], v[206:207], -v[204:205]
.LBB99_97:
	s_or_b64 exec, exec, s[2:3]
	ds_write2_b64 v194, v[204:205], v[206:207] offset1:1
.LBB99_98:
	s_or_b64 exec, exec, s[4:5]
	s_waitcnt lgkmcnt(0)
	s_barrier
	ds_read2_b64 v[200:203], v194 offset1:1
	v_cmp_lt_u32_e32 vcc, 10, v234
	s_waitcnt lgkmcnt(0)
	scratch_store_dwordx4 off, v[200:203], off offset:512 ; 16-byte Folded Spill
	s_and_saveexec_b64 s[2:3], vcc
	s_cbranch_execz .LBB99_100
; %bb.99:
	scratch_load_dwordx4 v[206:209], off, off offset:176 ; 16-byte Folded Reload
	scratch_load_dwordx4 v[202:205], off, off offset:512 ; 16-byte Folded Reload
	v_mov_b64_e32 v[188:189], v[152:153]
	s_waitcnt vmcnt(0)
	v_mul_f64 v[200:201], v[204:205], v[208:209]
	v_mul_f64 v[208:209], v[202:203], v[208:209]
	v_fma_f64 v[200:201], v[202:203], v[206:207], -v[200:201]
	v_fmac_f64_e32 v[208:209], v[204:205], v[206:207]
	ds_read2_b64 v[202:205], v233 offset0:22 offset1:23
	s_waitcnt lgkmcnt(0)
	v_mul_f64 v[152:153], v[204:205], v[208:209]
	v_fma_f64 v[152:153], v[202:203], v[200:201], -v[152:153]
	v_mul_f64 v[202:203], v[202:203], v[208:209]
	v_fmac_f64_e32 v[202:203], v[204:205], v[200:201]
	scratch_load_dwordx4 v[204:207], off, off offset:160 ; 16-byte Folded Reload
	s_waitcnt vmcnt(0)
	v_add_f64 v[204:205], v[204:205], -v[152:153]
	v_add_f64 v[206:207], v[206:207], -v[202:203]
	scratch_store_dwordx4 off, v[204:207], off offset:160 ; 16-byte Folded Spill
	ds_read2_b64 v[202:205], v233 offset0:24 offset1:25
	s_waitcnt lgkmcnt(0)
	v_mul_f64 v[152:153], v[204:205], v[208:209]
	v_fma_f64 v[152:153], v[202:203], v[200:201], -v[152:153]
	v_mul_f64 v[202:203], v[202:203], v[208:209]
	v_fmac_f64_e32 v[202:203], v[204:205], v[200:201]
	scratch_load_dwordx4 v[204:207], off, off offset:144 ; 16-byte Folded Reload
	s_waitcnt vmcnt(0)
	v_add_f64 v[204:205], v[204:205], -v[152:153]
	v_add_f64 v[206:207], v[206:207], -v[202:203]
	scratch_store_dwordx4 off, v[204:207], off offset:144 ; 16-byte Folded Spill
	;; [unrolled: 11-line block ×10, first 2 shown]
	ds_read2_b64 v[202:205], v233 offset0:42 offset1:43
	s_waitcnt lgkmcnt(0)
	v_mul_f64 v[152:153], v[204:205], v[208:209]
	v_fma_f64 v[152:153], v[202:203], v[200:201], -v[152:153]
	v_mul_f64 v[202:203], v[202:203], v[208:209]
	v_fmac_f64_e32 v[202:203], v[204:205], v[200:201]
	scratch_load_dwordx4 v[204:207], off, off ; 16-byte Folded Reload
	s_waitcnt vmcnt(0)
	v_add_f64 v[204:205], v[204:205], -v[152:153]
	v_add_f64 v[206:207], v[206:207], -v[202:203]
	scratch_store_dwordx4 off, v[204:207], off ; 16-byte Folded Spill
	ds_read2_b64 v[202:205], v233 offset0:44 offset1:45
	s_waitcnt lgkmcnt(0)
	v_mul_f64 v[152:153], v[204:205], v[208:209]
	v_fma_f64 v[152:153], v[202:203], v[200:201], -v[152:153]
	v_mul_f64 v[202:203], v[202:203], v[208:209]
	v_fmac_f64_e32 v[202:203], v[204:205], v[200:201]
	v_add_f64 v[106:107], v[106:107], -v[202:203]
	ds_read2_b64 v[202:205], v233 offset0:46 offset1:47
	v_add_f64 v[104:105], v[104:105], -v[152:153]
	v_mov_b64_e32 v[206:207], v[200:201]
	scratch_store_dwordx4 off, v[206:209], off offset:176 ; 16-byte Folded Spill
	s_waitcnt lgkmcnt(0)
	v_mul_f64 v[152:153], v[204:205], v[208:209]
	v_fma_f64 v[152:153], v[202:203], v[200:201], -v[152:153]
	v_mul_f64 v[202:203], v[202:203], v[208:209]
	v_fmac_f64_e32 v[202:203], v[204:205], v[200:201]
	v_add_f64 v[102:103], v[102:103], -v[202:203]
	ds_read2_b64 v[202:205], v233 offset0:48 offset1:49
	v_add_f64 v[100:101], v[100:101], -v[152:153]
	s_waitcnt lgkmcnt(0)
	v_mul_f64 v[152:153], v[204:205], v[208:209]
	v_fma_f64 v[152:153], v[202:203], v[200:201], -v[152:153]
	v_mul_f64 v[202:203], v[202:203], v[208:209]
	v_fmac_f64_e32 v[202:203], v[204:205], v[200:201]
	v_add_f64 v[98:99], v[98:99], -v[202:203]
	ds_read2_b64 v[202:205], v233 offset0:50 offset1:51
	v_add_f64 v[96:97], v[96:97], -v[152:153]
	;; [unrolled: 8-line block ×26, first 2 shown]
	s_waitcnt lgkmcnt(0)
	v_mul_f64 v[152:153], v[204:205], v[208:209]
	v_fma_f64 v[152:153], v[202:203], v[200:201], -v[152:153]
	v_mul_f64 v[202:203], v[202:203], v[208:209]
	v_fmac_f64_e32 v[202:203], v[204:205], v[200:201]
	v_add_f64 v[196:197], v[196:197], -v[152:153]
	v_mov_b64_e32 v[152:153], v[188:189]
	v_add_f64 v[198:199], v[198:199], -v[202:203]
.LBB99_100:
	s_or_b64 exec, exec, s[2:3]
	v_cmp_eq_u32_e32 vcc, 11, v234
	s_barrier
	s_and_saveexec_b64 s[4:5], vcc
	s_cbranch_execz .LBB99_107
; %bb.101:
	scratch_load_dwordx4 v[200:203], off, off offset:160 ; 16-byte Folded Reload
	s_waitcnt vmcnt(0)
	ds_write2_b64 v194, v[200:201], v[202:203] offset1:1
	scratch_load_dwordx4 v[200:203], off, off offset:144 ; 16-byte Folded Reload
	s_waitcnt vmcnt(0)
	ds_write2_b64 v233, v[200:201], v[202:203] offset0:24 offset1:25
	scratch_load_dwordx4 v[200:203], off, off offset:128 ; 16-byte Folded Reload
	s_waitcnt vmcnt(0)
	ds_write2_b64 v233, v[200:201], v[202:203] offset0:26 offset1:27
	scratch_load_dwordx4 v[200:203], off, off offset:112 ; 16-byte Folded Reload
	s_waitcnt vmcnt(0)
	ds_write2_b64 v233, v[200:201], v[202:203] offset0:28 offset1:29
	scratch_load_dwordx4 v[200:203], off, off offset:96 ; 16-byte Folded Reload
	s_waitcnt vmcnt(0)
	ds_write2_b64 v233, v[200:201], v[202:203] offset0:30 offset1:31
	scratch_load_dwordx4 v[200:203], off, off offset:80 ; 16-byte Folded Reload
	s_waitcnt vmcnt(0)
	ds_write2_b64 v233, v[200:201], v[202:203] offset0:32 offset1:33
	scratch_load_dwordx4 v[200:203], off, off offset:64 ; 16-byte Folded Reload
	s_waitcnt vmcnt(0)
	ds_write2_b64 v233, v[200:201], v[202:203] offset0:34 offset1:35
	scratch_load_dwordx4 v[200:203], off, off offset:48 ; 16-byte Folded Reload
	s_waitcnt vmcnt(0)
	ds_write2_b64 v233, v[200:201], v[202:203] offset0:36 offset1:37
	scratch_load_dwordx4 v[200:203], off, off offset:32 ; 16-byte Folded Reload
	s_waitcnt vmcnt(0)
	ds_write2_b64 v233, v[200:201], v[202:203] offset0:38 offset1:39
	scratch_load_dwordx4 v[200:203], off, off offset:16 ; 16-byte Folded Reload
	s_waitcnt vmcnt(0)
	ds_write2_b64 v233, v[200:201], v[202:203] offset0:40 offset1:41
	scratch_load_dwordx4 v[200:203], off, off ; 16-byte Folded Reload
	s_waitcnt vmcnt(0)
	ds_write2_b64 v233, v[200:201], v[202:203] offset0:42 offset1:43
	ds_write2_b64 v233, v[104:105], v[106:107] offset0:44 offset1:45
	;; [unrolled: 1-line block ×29, first 2 shown]
	ds_read2_b64 v[200:203], v194 offset1:1
	s_waitcnt lgkmcnt(0)
	v_cmp_neq_f64_e32 vcc, 0, v[200:201]
	v_cmp_neq_f64_e64 s[2:3], 0, v[202:203]
	s_or_b64 s[2:3], vcc, s[2:3]
	s_and_b64 exec, exec, s[2:3]
	s_cbranch_execz .LBB99_107
; %bb.102:
	v_cmp_ngt_f64_e64 s[2:3], |v[200:201]|, |v[202:203]|
                                        ; implicit-def: $vgpr204_vgpr205
	s_and_saveexec_b64 s[10:11], s[2:3]
	s_xor_b64 s[2:3], exec, s[10:11]
                                        ; implicit-def: $vgpr206_vgpr207
	s_cbranch_execz .LBB99_104
; %bb.103:
	v_div_scale_f64 v[204:205], s[10:11], v[202:203], v[202:203], v[200:201]
	v_rcp_f64_e32 v[206:207], v[204:205]
	v_div_scale_f64 v[208:209], vcc, v[200:201], v[202:203], v[200:201]
	v_fma_f64 v[210:211], -v[204:205], v[206:207], 1.0
	v_fmac_f64_e32 v[206:207], v[206:207], v[210:211]
	v_fma_f64 v[210:211], -v[204:205], v[206:207], 1.0
	v_fmac_f64_e32 v[206:207], v[206:207], v[210:211]
	v_mul_f64 v[210:211], v[208:209], v[206:207]
	v_fma_f64 v[204:205], -v[204:205], v[210:211], v[208:209]
	v_div_fmas_f64 v[204:205], v[204:205], v[206:207], v[210:211]
	v_div_fixup_f64 v[204:205], v[204:205], v[202:203], v[200:201]
	v_fmac_f64_e32 v[202:203], v[200:201], v[204:205]
	v_div_scale_f64 v[200:201], s[10:11], v[202:203], v[202:203], 1.0
	v_rcp_f64_e32 v[206:207], v[200:201]
	s_nop 0
	v_fma_f64 v[208:209], -v[200:201], v[206:207], 1.0
	v_fmac_f64_e32 v[206:207], v[206:207], v[208:209]
	v_fma_f64 v[208:209], -v[200:201], v[206:207], 1.0
	v_fmac_f64_e32 v[206:207], v[206:207], v[208:209]
	v_div_scale_f64 v[208:209], vcc, 1.0, v[202:203], 1.0
	v_mul_f64 v[210:211], v[208:209], v[206:207]
	v_fma_f64 v[200:201], -v[200:201], v[210:211], v[208:209]
	s_nop 1
	v_div_fmas_f64 v[200:201], v[200:201], v[206:207], v[210:211]
	v_div_fixup_f64 v[206:207], v[200:201], v[202:203], 1.0
	v_mul_f64 v[204:205], v[204:205], v[206:207]
	v_xor_b32_e32 v207, 0x80000000, v207
                                        ; implicit-def: $vgpr200_vgpr201
.LBB99_104:
	s_andn2_saveexec_b64 s[2:3], s[2:3]
	s_cbranch_execz .LBB99_106
; %bb.105:
	v_div_scale_f64 v[204:205], s[10:11], v[200:201], v[200:201], v[202:203]
	v_rcp_f64_e32 v[206:207], v[204:205]
	v_div_scale_f64 v[208:209], vcc, v[202:203], v[200:201], v[202:203]
	v_fma_f64 v[210:211], -v[204:205], v[206:207], 1.0
	v_fmac_f64_e32 v[206:207], v[206:207], v[210:211]
	v_fma_f64 v[210:211], -v[204:205], v[206:207], 1.0
	v_fmac_f64_e32 v[206:207], v[206:207], v[210:211]
	v_mul_f64 v[210:211], v[208:209], v[206:207]
	v_fma_f64 v[204:205], -v[204:205], v[210:211], v[208:209]
	v_div_fmas_f64 v[204:205], v[204:205], v[206:207], v[210:211]
	v_div_fixup_f64 v[206:207], v[204:205], v[200:201], v[202:203]
	v_fmac_f64_e32 v[200:201], v[202:203], v[206:207]
	v_div_scale_f64 v[202:203], s[10:11], v[200:201], v[200:201], 1.0
	v_rcp_f64_e32 v[204:205], v[202:203]
	s_nop 0
	v_fma_f64 v[208:209], -v[202:203], v[204:205], 1.0
	v_fmac_f64_e32 v[204:205], v[204:205], v[208:209]
	v_fma_f64 v[208:209], -v[202:203], v[204:205], 1.0
	v_fmac_f64_e32 v[204:205], v[204:205], v[208:209]
	v_div_scale_f64 v[208:209], vcc, 1.0, v[200:201], 1.0
	v_mul_f64 v[210:211], v[208:209], v[204:205]
	v_fma_f64 v[202:203], -v[202:203], v[210:211], v[208:209]
	s_nop 1
	v_div_fmas_f64 v[202:203], v[202:203], v[204:205], v[210:211]
	v_div_fixup_f64 v[204:205], v[202:203], v[200:201], 1.0
	v_mul_f64 v[206:207], v[206:207], -v[204:205]
.LBB99_106:
	s_or_b64 exec, exec, s[2:3]
	ds_write2_b64 v194, v[204:205], v[206:207] offset1:1
.LBB99_107:
	s_or_b64 exec, exec, s[4:5]
	s_waitcnt lgkmcnt(0)
	s_barrier
	ds_read2_b64 v[200:203], v194 offset1:1
	v_cmp_lt_u32_e32 vcc, 11, v234
	s_waitcnt lgkmcnt(0)
	scratch_store_dwordx4 off, v[200:203], off offset:528 ; 16-byte Folded Spill
	s_and_saveexec_b64 s[2:3], vcc
	s_cbranch_execz .LBB99_109
; %bb.108:
	scratch_load_dwordx4 v[206:209], off, off offset:160 ; 16-byte Folded Reload
	scratch_load_dwordx4 v[202:205], off, off offset:528 ; 16-byte Folded Reload
	v_mov_b64_e32 v[188:189], v[148:149]
	s_waitcnt vmcnt(0)
	v_mul_f64 v[200:201], v[204:205], v[208:209]
	v_mul_f64 v[208:209], v[202:203], v[208:209]
	v_fma_f64 v[200:201], v[202:203], v[206:207], -v[200:201]
	v_fmac_f64_e32 v[208:209], v[204:205], v[206:207]
	ds_read2_b64 v[202:205], v233 offset0:24 offset1:25
	s_waitcnt lgkmcnt(0)
	v_mul_f64 v[148:149], v[204:205], v[208:209]
	v_fma_f64 v[148:149], v[202:203], v[200:201], -v[148:149]
	v_mul_f64 v[202:203], v[202:203], v[208:209]
	v_fmac_f64_e32 v[202:203], v[204:205], v[200:201]
	scratch_load_dwordx4 v[204:207], off, off offset:144 ; 16-byte Folded Reload
	s_waitcnt vmcnt(0)
	v_add_f64 v[204:205], v[204:205], -v[148:149]
	v_add_f64 v[206:207], v[206:207], -v[202:203]
	scratch_store_dwordx4 off, v[204:207], off offset:144 ; 16-byte Folded Spill
	ds_read2_b64 v[202:205], v233 offset0:26 offset1:27
	s_waitcnt lgkmcnt(0)
	v_mul_f64 v[148:149], v[204:205], v[208:209]
	v_fma_f64 v[148:149], v[202:203], v[200:201], -v[148:149]
	v_mul_f64 v[202:203], v[202:203], v[208:209]
	v_fmac_f64_e32 v[202:203], v[204:205], v[200:201]
	scratch_load_dwordx4 v[204:207], off, off offset:128 ; 16-byte Folded Reload
	s_waitcnt vmcnt(0)
	v_add_f64 v[204:205], v[204:205], -v[148:149]
	v_add_f64 v[206:207], v[206:207], -v[202:203]
	scratch_store_dwordx4 off, v[204:207], off offset:128 ; 16-byte Folded Spill
	;; [unrolled: 11-line block ×9, first 2 shown]
	ds_read2_b64 v[202:205], v233 offset0:42 offset1:43
	s_waitcnt lgkmcnt(0)
	v_mul_f64 v[148:149], v[204:205], v[208:209]
	v_fma_f64 v[148:149], v[202:203], v[200:201], -v[148:149]
	v_mul_f64 v[202:203], v[202:203], v[208:209]
	v_fmac_f64_e32 v[202:203], v[204:205], v[200:201]
	scratch_load_dwordx4 v[204:207], off, off ; 16-byte Folded Reload
	s_waitcnt vmcnt(0)
	v_add_f64 v[204:205], v[204:205], -v[148:149]
	v_add_f64 v[206:207], v[206:207], -v[202:203]
	scratch_store_dwordx4 off, v[204:207], off ; 16-byte Folded Spill
	ds_read2_b64 v[202:205], v233 offset0:44 offset1:45
	s_waitcnt lgkmcnt(0)
	v_mul_f64 v[148:149], v[204:205], v[208:209]
	v_fma_f64 v[148:149], v[202:203], v[200:201], -v[148:149]
	v_mul_f64 v[202:203], v[202:203], v[208:209]
	v_fmac_f64_e32 v[202:203], v[204:205], v[200:201]
	v_add_f64 v[106:107], v[106:107], -v[202:203]
	ds_read2_b64 v[202:205], v233 offset0:46 offset1:47
	v_add_f64 v[104:105], v[104:105], -v[148:149]
	v_mov_b64_e32 v[206:207], v[200:201]
	scratch_store_dwordx4 off, v[206:209], off offset:160 ; 16-byte Folded Spill
	s_waitcnt lgkmcnt(0)
	v_mul_f64 v[148:149], v[204:205], v[208:209]
	v_fma_f64 v[148:149], v[202:203], v[200:201], -v[148:149]
	v_mul_f64 v[202:203], v[202:203], v[208:209]
	v_fmac_f64_e32 v[202:203], v[204:205], v[200:201]
	v_add_f64 v[102:103], v[102:103], -v[202:203]
	ds_read2_b64 v[202:205], v233 offset0:48 offset1:49
	v_add_f64 v[100:101], v[100:101], -v[148:149]
	s_waitcnt lgkmcnt(0)
	v_mul_f64 v[148:149], v[204:205], v[208:209]
	v_fma_f64 v[148:149], v[202:203], v[200:201], -v[148:149]
	v_mul_f64 v[202:203], v[202:203], v[208:209]
	v_fmac_f64_e32 v[202:203], v[204:205], v[200:201]
	v_add_f64 v[98:99], v[98:99], -v[202:203]
	ds_read2_b64 v[202:205], v233 offset0:50 offset1:51
	v_add_f64 v[96:97], v[96:97], -v[148:149]
	;; [unrolled: 8-line block ×26, first 2 shown]
	s_waitcnt lgkmcnt(0)
	v_mul_f64 v[148:149], v[204:205], v[208:209]
	v_fma_f64 v[148:149], v[202:203], v[200:201], -v[148:149]
	v_mul_f64 v[202:203], v[202:203], v[208:209]
	v_fmac_f64_e32 v[202:203], v[204:205], v[200:201]
	v_add_f64 v[196:197], v[196:197], -v[148:149]
	v_mov_b64_e32 v[148:149], v[188:189]
	v_add_f64 v[198:199], v[198:199], -v[202:203]
.LBB99_109:
	s_or_b64 exec, exec, s[2:3]
	v_cmp_eq_u32_e32 vcc, 12, v234
	s_barrier
	s_and_saveexec_b64 s[4:5], vcc
	s_cbranch_execz .LBB99_116
; %bb.110:
	scratch_load_dwordx4 v[200:203], off, off offset:144 ; 16-byte Folded Reload
	s_waitcnt vmcnt(0)
	ds_write2_b64 v194, v[200:201], v[202:203] offset1:1
	scratch_load_dwordx4 v[200:203], off, off offset:128 ; 16-byte Folded Reload
	s_waitcnt vmcnt(0)
	ds_write2_b64 v233, v[200:201], v[202:203] offset0:26 offset1:27
	scratch_load_dwordx4 v[200:203], off, off offset:112 ; 16-byte Folded Reload
	s_waitcnt vmcnt(0)
	ds_write2_b64 v233, v[200:201], v[202:203] offset0:28 offset1:29
	;; [unrolled: 3-line block ×8, first 2 shown]
	scratch_load_dwordx4 v[200:203], off, off ; 16-byte Folded Reload
	s_waitcnt vmcnt(0)
	ds_write2_b64 v233, v[200:201], v[202:203] offset0:42 offset1:43
	ds_write2_b64 v233, v[104:105], v[106:107] offset0:44 offset1:45
	;; [unrolled: 1-line block ×29, first 2 shown]
	ds_read2_b64 v[200:203], v194 offset1:1
	s_waitcnt lgkmcnt(0)
	v_cmp_neq_f64_e32 vcc, 0, v[200:201]
	v_cmp_neq_f64_e64 s[2:3], 0, v[202:203]
	s_or_b64 s[2:3], vcc, s[2:3]
	s_and_b64 exec, exec, s[2:3]
	s_cbranch_execz .LBB99_116
; %bb.111:
	v_cmp_ngt_f64_e64 s[2:3], |v[200:201]|, |v[202:203]|
                                        ; implicit-def: $vgpr204_vgpr205
	s_and_saveexec_b64 s[10:11], s[2:3]
	s_xor_b64 s[2:3], exec, s[10:11]
                                        ; implicit-def: $vgpr206_vgpr207
	s_cbranch_execz .LBB99_113
; %bb.112:
	v_div_scale_f64 v[204:205], s[10:11], v[202:203], v[202:203], v[200:201]
	v_rcp_f64_e32 v[206:207], v[204:205]
	v_div_scale_f64 v[208:209], vcc, v[200:201], v[202:203], v[200:201]
	v_fma_f64 v[210:211], -v[204:205], v[206:207], 1.0
	v_fmac_f64_e32 v[206:207], v[206:207], v[210:211]
	v_fma_f64 v[210:211], -v[204:205], v[206:207], 1.0
	v_fmac_f64_e32 v[206:207], v[206:207], v[210:211]
	v_mul_f64 v[210:211], v[208:209], v[206:207]
	v_fma_f64 v[204:205], -v[204:205], v[210:211], v[208:209]
	v_div_fmas_f64 v[204:205], v[204:205], v[206:207], v[210:211]
	v_div_fixup_f64 v[204:205], v[204:205], v[202:203], v[200:201]
	v_fmac_f64_e32 v[202:203], v[200:201], v[204:205]
	v_div_scale_f64 v[200:201], s[10:11], v[202:203], v[202:203], 1.0
	v_rcp_f64_e32 v[206:207], v[200:201]
	s_nop 0
	v_fma_f64 v[208:209], -v[200:201], v[206:207], 1.0
	v_fmac_f64_e32 v[206:207], v[206:207], v[208:209]
	v_fma_f64 v[208:209], -v[200:201], v[206:207], 1.0
	v_fmac_f64_e32 v[206:207], v[206:207], v[208:209]
	v_div_scale_f64 v[208:209], vcc, 1.0, v[202:203], 1.0
	v_mul_f64 v[210:211], v[208:209], v[206:207]
	v_fma_f64 v[200:201], -v[200:201], v[210:211], v[208:209]
	s_nop 1
	v_div_fmas_f64 v[200:201], v[200:201], v[206:207], v[210:211]
	v_div_fixup_f64 v[206:207], v[200:201], v[202:203], 1.0
	v_mul_f64 v[204:205], v[204:205], v[206:207]
	v_xor_b32_e32 v207, 0x80000000, v207
                                        ; implicit-def: $vgpr200_vgpr201
.LBB99_113:
	s_andn2_saveexec_b64 s[2:3], s[2:3]
	s_cbranch_execz .LBB99_115
; %bb.114:
	v_div_scale_f64 v[204:205], s[10:11], v[200:201], v[200:201], v[202:203]
	v_rcp_f64_e32 v[206:207], v[204:205]
	v_div_scale_f64 v[208:209], vcc, v[202:203], v[200:201], v[202:203]
	v_fma_f64 v[210:211], -v[204:205], v[206:207], 1.0
	v_fmac_f64_e32 v[206:207], v[206:207], v[210:211]
	v_fma_f64 v[210:211], -v[204:205], v[206:207], 1.0
	v_fmac_f64_e32 v[206:207], v[206:207], v[210:211]
	v_mul_f64 v[210:211], v[208:209], v[206:207]
	v_fma_f64 v[204:205], -v[204:205], v[210:211], v[208:209]
	v_div_fmas_f64 v[204:205], v[204:205], v[206:207], v[210:211]
	v_div_fixup_f64 v[206:207], v[204:205], v[200:201], v[202:203]
	v_fmac_f64_e32 v[200:201], v[202:203], v[206:207]
	v_div_scale_f64 v[202:203], s[10:11], v[200:201], v[200:201], 1.0
	v_rcp_f64_e32 v[204:205], v[202:203]
	s_nop 0
	v_fma_f64 v[208:209], -v[202:203], v[204:205], 1.0
	v_fmac_f64_e32 v[204:205], v[204:205], v[208:209]
	v_fma_f64 v[208:209], -v[202:203], v[204:205], 1.0
	v_fmac_f64_e32 v[204:205], v[204:205], v[208:209]
	v_div_scale_f64 v[208:209], vcc, 1.0, v[200:201], 1.0
	v_mul_f64 v[210:211], v[208:209], v[204:205]
	v_fma_f64 v[202:203], -v[202:203], v[210:211], v[208:209]
	s_nop 1
	v_div_fmas_f64 v[202:203], v[202:203], v[204:205], v[210:211]
	v_div_fixup_f64 v[204:205], v[202:203], v[200:201], 1.0
	v_mul_f64 v[206:207], v[206:207], -v[204:205]
.LBB99_115:
	s_or_b64 exec, exec, s[2:3]
	ds_write2_b64 v194, v[204:205], v[206:207] offset1:1
.LBB99_116:
	s_or_b64 exec, exec, s[4:5]
	s_waitcnt lgkmcnt(0)
	s_barrier
	ds_read2_b64 v[200:203], v194 offset1:1
	v_cmp_lt_u32_e32 vcc, 12, v234
	s_waitcnt lgkmcnt(0)
	scratch_store_dwordx4 off, v[200:203], off offset:544 ; 16-byte Folded Spill
	s_and_saveexec_b64 s[2:3], vcc
	s_cbranch_execz .LBB99_118
; %bb.117:
	scratch_load_dwordx4 v[206:209], off, off offset:144 ; 16-byte Folded Reload
	scratch_load_dwordx4 v[202:205], off, off offset:544 ; 16-byte Folded Reload
	v_mov_b64_e32 v[188:189], v[144:145]
	s_waitcnt vmcnt(0)
	v_mul_f64 v[200:201], v[204:205], v[208:209]
	v_mul_f64 v[208:209], v[202:203], v[208:209]
	v_fma_f64 v[200:201], v[202:203], v[206:207], -v[200:201]
	v_fmac_f64_e32 v[208:209], v[204:205], v[206:207]
	ds_read2_b64 v[202:205], v233 offset0:26 offset1:27
	s_waitcnt lgkmcnt(0)
	v_mul_f64 v[144:145], v[204:205], v[208:209]
	v_fma_f64 v[144:145], v[202:203], v[200:201], -v[144:145]
	v_mul_f64 v[202:203], v[202:203], v[208:209]
	v_fmac_f64_e32 v[202:203], v[204:205], v[200:201]
	scratch_load_dwordx4 v[204:207], off, off offset:128 ; 16-byte Folded Reload
	s_waitcnt vmcnt(0)
	v_add_f64 v[204:205], v[204:205], -v[144:145]
	v_add_f64 v[206:207], v[206:207], -v[202:203]
	scratch_store_dwordx4 off, v[204:207], off offset:128 ; 16-byte Folded Spill
	ds_read2_b64 v[202:205], v233 offset0:28 offset1:29
	s_waitcnt lgkmcnt(0)
	v_mul_f64 v[144:145], v[204:205], v[208:209]
	v_fma_f64 v[144:145], v[202:203], v[200:201], -v[144:145]
	v_mul_f64 v[202:203], v[202:203], v[208:209]
	v_fmac_f64_e32 v[202:203], v[204:205], v[200:201]
	scratch_load_dwordx4 v[204:207], off, off offset:112 ; 16-byte Folded Reload
	s_waitcnt vmcnt(0)
	v_add_f64 v[204:205], v[204:205], -v[144:145]
	v_add_f64 v[206:207], v[206:207], -v[202:203]
	scratch_store_dwordx4 off, v[204:207], off offset:112 ; 16-byte Folded Spill
	;; [unrolled: 11-line block ×8, first 2 shown]
	ds_read2_b64 v[202:205], v233 offset0:42 offset1:43
	s_waitcnt lgkmcnt(0)
	v_mul_f64 v[144:145], v[204:205], v[208:209]
	v_fma_f64 v[144:145], v[202:203], v[200:201], -v[144:145]
	v_mul_f64 v[202:203], v[202:203], v[208:209]
	v_fmac_f64_e32 v[202:203], v[204:205], v[200:201]
	scratch_load_dwordx4 v[204:207], off, off ; 16-byte Folded Reload
	s_waitcnt vmcnt(0)
	v_add_f64 v[204:205], v[204:205], -v[144:145]
	v_add_f64 v[206:207], v[206:207], -v[202:203]
	scratch_store_dwordx4 off, v[204:207], off ; 16-byte Folded Spill
	ds_read2_b64 v[202:205], v233 offset0:44 offset1:45
	s_waitcnt lgkmcnt(0)
	v_mul_f64 v[144:145], v[204:205], v[208:209]
	v_fma_f64 v[144:145], v[202:203], v[200:201], -v[144:145]
	v_mul_f64 v[202:203], v[202:203], v[208:209]
	v_fmac_f64_e32 v[202:203], v[204:205], v[200:201]
	v_add_f64 v[106:107], v[106:107], -v[202:203]
	ds_read2_b64 v[202:205], v233 offset0:46 offset1:47
	v_add_f64 v[104:105], v[104:105], -v[144:145]
	v_mov_b64_e32 v[206:207], v[200:201]
	scratch_store_dwordx4 off, v[206:209], off offset:144 ; 16-byte Folded Spill
	s_waitcnt lgkmcnt(0)
	v_mul_f64 v[144:145], v[204:205], v[208:209]
	v_fma_f64 v[144:145], v[202:203], v[200:201], -v[144:145]
	v_mul_f64 v[202:203], v[202:203], v[208:209]
	v_fmac_f64_e32 v[202:203], v[204:205], v[200:201]
	v_add_f64 v[102:103], v[102:103], -v[202:203]
	ds_read2_b64 v[202:205], v233 offset0:48 offset1:49
	v_add_f64 v[100:101], v[100:101], -v[144:145]
	s_waitcnt lgkmcnt(0)
	v_mul_f64 v[144:145], v[204:205], v[208:209]
	v_fma_f64 v[144:145], v[202:203], v[200:201], -v[144:145]
	v_mul_f64 v[202:203], v[202:203], v[208:209]
	v_fmac_f64_e32 v[202:203], v[204:205], v[200:201]
	v_add_f64 v[98:99], v[98:99], -v[202:203]
	ds_read2_b64 v[202:205], v233 offset0:50 offset1:51
	v_add_f64 v[96:97], v[96:97], -v[144:145]
	;; [unrolled: 8-line block ×26, first 2 shown]
	s_waitcnt lgkmcnt(0)
	v_mul_f64 v[144:145], v[204:205], v[208:209]
	v_fma_f64 v[144:145], v[202:203], v[200:201], -v[144:145]
	v_mul_f64 v[202:203], v[202:203], v[208:209]
	v_fmac_f64_e32 v[202:203], v[204:205], v[200:201]
	v_add_f64 v[196:197], v[196:197], -v[144:145]
	v_mov_b64_e32 v[144:145], v[188:189]
	v_add_f64 v[198:199], v[198:199], -v[202:203]
.LBB99_118:
	s_or_b64 exec, exec, s[2:3]
	v_cmp_eq_u32_e32 vcc, 13, v234
	s_barrier
	s_and_saveexec_b64 s[4:5], vcc
	s_cbranch_execz .LBB99_125
; %bb.119:
	scratch_load_dwordx4 v[200:203], off, off offset:128 ; 16-byte Folded Reload
	s_waitcnt vmcnt(0)
	ds_write2_b64 v194, v[200:201], v[202:203] offset1:1
	scratch_load_dwordx4 v[200:203], off, off offset:112 ; 16-byte Folded Reload
	s_waitcnt vmcnt(0)
	ds_write2_b64 v233, v[200:201], v[202:203] offset0:28 offset1:29
	scratch_load_dwordx4 v[200:203], off, off offset:96 ; 16-byte Folded Reload
	s_waitcnt vmcnt(0)
	ds_write2_b64 v233, v[200:201], v[202:203] offset0:30 offset1:31
	;; [unrolled: 3-line block ×7, first 2 shown]
	scratch_load_dwordx4 v[200:203], off, off ; 16-byte Folded Reload
	s_waitcnt vmcnt(0)
	ds_write2_b64 v233, v[200:201], v[202:203] offset0:42 offset1:43
	ds_write2_b64 v233, v[104:105], v[106:107] offset0:44 offset1:45
	;; [unrolled: 1-line block ×29, first 2 shown]
	ds_read2_b64 v[200:203], v194 offset1:1
	s_waitcnt lgkmcnt(0)
	v_cmp_neq_f64_e32 vcc, 0, v[200:201]
	v_cmp_neq_f64_e64 s[2:3], 0, v[202:203]
	s_or_b64 s[2:3], vcc, s[2:3]
	s_and_b64 exec, exec, s[2:3]
	s_cbranch_execz .LBB99_125
; %bb.120:
	v_cmp_ngt_f64_e64 s[2:3], |v[200:201]|, |v[202:203]|
                                        ; implicit-def: $vgpr204_vgpr205
	s_and_saveexec_b64 s[10:11], s[2:3]
	s_xor_b64 s[2:3], exec, s[10:11]
                                        ; implicit-def: $vgpr206_vgpr207
	s_cbranch_execz .LBB99_122
; %bb.121:
	v_div_scale_f64 v[204:205], s[10:11], v[202:203], v[202:203], v[200:201]
	v_rcp_f64_e32 v[206:207], v[204:205]
	v_div_scale_f64 v[208:209], vcc, v[200:201], v[202:203], v[200:201]
	v_fma_f64 v[210:211], -v[204:205], v[206:207], 1.0
	v_fmac_f64_e32 v[206:207], v[206:207], v[210:211]
	v_fma_f64 v[210:211], -v[204:205], v[206:207], 1.0
	v_fmac_f64_e32 v[206:207], v[206:207], v[210:211]
	v_mul_f64 v[210:211], v[208:209], v[206:207]
	v_fma_f64 v[204:205], -v[204:205], v[210:211], v[208:209]
	v_div_fmas_f64 v[204:205], v[204:205], v[206:207], v[210:211]
	v_div_fixup_f64 v[204:205], v[204:205], v[202:203], v[200:201]
	v_fmac_f64_e32 v[202:203], v[200:201], v[204:205]
	v_div_scale_f64 v[200:201], s[10:11], v[202:203], v[202:203], 1.0
	v_rcp_f64_e32 v[206:207], v[200:201]
	s_nop 0
	v_fma_f64 v[208:209], -v[200:201], v[206:207], 1.0
	v_fmac_f64_e32 v[206:207], v[206:207], v[208:209]
	v_fma_f64 v[208:209], -v[200:201], v[206:207], 1.0
	v_fmac_f64_e32 v[206:207], v[206:207], v[208:209]
	v_div_scale_f64 v[208:209], vcc, 1.0, v[202:203], 1.0
	v_mul_f64 v[210:211], v[208:209], v[206:207]
	v_fma_f64 v[200:201], -v[200:201], v[210:211], v[208:209]
	s_nop 1
	v_div_fmas_f64 v[200:201], v[200:201], v[206:207], v[210:211]
	v_div_fixup_f64 v[206:207], v[200:201], v[202:203], 1.0
	v_mul_f64 v[204:205], v[204:205], v[206:207]
	v_xor_b32_e32 v207, 0x80000000, v207
                                        ; implicit-def: $vgpr200_vgpr201
.LBB99_122:
	s_andn2_saveexec_b64 s[2:3], s[2:3]
	s_cbranch_execz .LBB99_124
; %bb.123:
	v_div_scale_f64 v[204:205], s[10:11], v[200:201], v[200:201], v[202:203]
	v_rcp_f64_e32 v[206:207], v[204:205]
	v_div_scale_f64 v[208:209], vcc, v[202:203], v[200:201], v[202:203]
	v_fma_f64 v[210:211], -v[204:205], v[206:207], 1.0
	v_fmac_f64_e32 v[206:207], v[206:207], v[210:211]
	v_fma_f64 v[210:211], -v[204:205], v[206:207], 1.0
	v_fmac_f64_e32 v[206:207], v[206:207], v[210:211]
	v_mul_f64 v[210:211], v[208:209], v[206:207]
	v_fma_f64 v[204:205], -v[204:205], v[210:211], v[208:209]
	v_div_fmas_f64 v[204:205], v[204:205], v[206:207], v[210:211]
	v_div_fixup_f64 v[206:207], v[204:205], v[200:201], v[202:203]
	v_fmac_f64_e32 v[200:201], v[202:203], v[206:207]
	v_div_scale_f64 v[202:203], s[10:11], v[200:201], v[200:201], 1.0
	v_rcp_f64_e32 v[204:205], v[202:203]
	s_nop 0
	v_fma_f64 v[208:209], -v[202:203], v[204:205], 1.0
	v_fmac_f64_e32 v[204:205], v[204:205], v[208:209]
	v_fma_f64 v[208:209], -v[202:203], v[204:205], 1.0
	v_fmac_f64_e32 v[204:205], v[204:205], v[208:209]
	v_div_scale_f64 v[208:209], vcc, 1.0, v[200:201], 1.0
	v_mul_f64 v[210:211], v[208:209], v[204:205]
	v_fma_f64 v[202:203], -v[202:203], v[210:211], v[208:209]
	s_nop 1
	v_div_fmas_f64 v[202:203], v[202:203], v[204:205], v[210:211]
	v_div_fixup_f64 v[204:205], v[202:203], v[200:201], 1.0
	v_mul_f64 v[206:207], v[206:207], -v[204:205]
.LBB99_124:
	s_or_b64 exec, exec, s[2:3]
	ds_write2_b64 v194, v[204:205], v[206:207] offset1:1
.LBB99_125:
	s_or_b64 exec, exec, s[4:5]
	s_waitcnt lgkmcnt(0)
	s_barrier
	ds_read2_b64 v[200:203], v194 offset1:1
	v_cmp_lt_u32_e32 vcc, 13, v234
	s_waitcnt lgkmcnt(0)
	scratch_store_dwordx4 off, v[200:203], off offset:560 ; 16-byte Folded Spill
	s_and_saveexec_b64 s[2:3], vcc
	s_cbranch_execz .LBB99_127
; %bb.126:
	scratch_load_dwordx4 v[206:209], off, off offset:128 ; 16-byte Folded Reload
	scratch_load_dwordx4 v[202:205], off, off offset:560 ; 16-byte Folded Reload
	v_mov_b64_e32 v[188:189], v[140:141]
	s_waitcnt vmcnt(0)
	v_mul_f64 v[200:201], v[204:205], v[208:209]
	v_mul_f64 v[208:209], v[202:203], v[208:209]
	v_fma_f64 v[200:201], v[202:203], v[206:207], -v[200:201]
	v_fmac_f64_e32 v[208:209], v[204:205], v[206:207]
	ds_read2_b64 v[202:205], v233 offset0:28 offset1:29
	s_waitcnt lgkmcnt(0)
	v_mul_f64 v[140:141], v[204:205], v[208:209]
	v_fma_f64 v[140:141], v[202:203], v[200:201], -v[140:141]
	v_mul_f64 v[202:203], v[202:203], v[208:209]
	v_fmac_f64_e32 v[202:203], v[204:205], v[200:201]
	scratch_load_dwordx4 v[204:207], off, off offset:112 ; 16-byte Folded Reload
	s_waitcnt vmcnt(0)
	v_add_f64 v[204:205], v[204:205], -v[140:141]
	v_add_f64 v[206:207], v[206:207], -v[202:203]
	scratch_store_dwordx4 off, v[204:207], off offset:112 ; 16-byte Folded Spill
	ds_read2_b64 v[202:205], v233 offset0:30 offset1:31
	s_waitcnt lgkmcnt(0)
	v_mul_f64 v[140:141], v[204:205], v[208:209]
	v_fma_f64 v[140:141], v[202:203], v[200:201], -v[140:141]
	v_mul_f64 v[202:203], v[202:203], v[208:209]
	v_fmac_f64_e32 v[202:203], v[204:205], v[200:201]
	scratch_load_dwordx4 v[204:207], off, off offset:96 ; 16-byte Folded Reload
	s_waitcnt vmcnt(0)
	v_add_f64 v[204:205], v[204:205], -v[140:141]
	v_add_f64 v[206:207], v[206:207], -v[202:203]
	scratch_store_dwordx4 off, v[204:207], off offset:96 ; 16-byte Folded Spill
	;; [unrolled: 11-line block ×7, first 2 shown]
	ds_read2_b64 v[202:205], v233 offset0:42 offset1:43
	s_waitcnt lgkmcnt(0)
	v_mul_f64 v[140:141], v[204:205], v[208:209]
	v_fma_f64 v[140:141], v[202:203], v[200:201], -v[140:141]
	v_mul_f64 v[202:203], v[202:203], v[208:209]
	v_fmac_f64_e32 v[202:203], v[204:205], v[200:201]
	scratch_load_dwordx4 v[204:207], off, off ; 16-byte Folded Reload
	s_waitcnt vmcnt(0)
	v_add_f64 v[204:205], v[204:205], -v[140:141]
	v_add_f64 v[206:207], v[206:207], -v[202:203]
	scratch_store_dwordx4 off, v[204:207], off ; 16-byte Folded Spill
	ds_read2_b64 v[202:205], v233 offset0:44 offset1:45
	s_waitcnt lgkmcnt(0)
	v_mul_f64 v[140:141], v[204:205], v[208:209]
	v_fma_f64 v[140:141], v[202:203], v[200:201], -v[140:141]
	v_mul_f64 v[202:203], v[202:203], v[208:209]
	v_fmac_f64_e32 v[202:203], v[204:205], v[200:201]
	v_add_f64 v[106:107], v[106:107], -v[202:203]
	ds_read2_b64 v[202:205], v233 offset0:46 offset1:47
	v_add_f64 v[104:105], v[104:105], -v[140:141]
	v_mov_b64_e32 v[206:207], v[200:201]
	scratch_store_dwordx4 off, v[206:209], off offset:128 ; 16-byte Folded Spill
	s_waitcnt lgkmcnt(0)
	v_mul_f64 v[140:141], v[204:205], v[208:209]
	v_fma_f64 v[140:141], v[202:203], v[200:201], -v[140:141]
	v_mul_f64 v[202:203], v[202:203], v[208:209]
	v_fmac_f64_e32 v[202:203], v[204:205], v[200:201]
	v_add_f64 v[102:103], v[102:103], -v[202:203]
	ds_read2_b64 v[202:205], v233 offset0:48 offset1:49
	v_add_f64 v[100:101], v[100:101], -v[140:141]
	s_waitcnt lgkmcnt(0)
	v_mul_f64 v[140:141], v[204:205], v[208:209]
	v_fma_f64 v[140:141], v[202:203], v[200:201], -v[140:141]
	v_mul_f64 v[202:203], v[202:203], v[208:209]
	v_fmac_f64_e32 v[202:203], v[204:205], v[200:201]
	v_add_f64 v[98:99], v[98:99], -v[202:203]
	ds_read2_b64 v[202:205], v233 offset0:50 offset1:51
	v_add_f64 v[96:97], v[96:97], -v[140:141]
	;; [unrolled: 8-line block ×26, first 2 shown]
	s_waitcnt lgkmcnt(0)
	v_mul_f64 v[140:141], v[204:205], v[208:209]
	v_fma_f64 v[140:141], v[202:203], v[200:201], -v[140:141]
	v_mul_f64 v[202:203], v[202:203], v[208:209]
	v_fmac_f64_e32 v[202:203], v[204:205], v[200:201]
	v_add_f64 v[196:197], v[196:197], -v[140:141]
	v_mov_b64_e32 v[140:141], v[188:189]
	v_add_f64 v[198:199], v[198:199], -v[202:203]
.LBB99_127:
	s_or_b64 exec, exec, s[2:3]
	v_cmp_eq_u32_e32 vcc, 14, v234
	s_barrier
	s_and_saveexec_b64 s[4:5], vcc
	s_cbranch_execz .LBB99_134
; %bb.128:
	scratch_load_dwordx4 v[200:203], off, off offset:112 ; 16-byte Folded Reload
	s_waitcnt vmcnt(0)
	ds_write2_b64 v194, v[200:201], v[202:203] offset1:1
	scratch_load_dwordx4 v[200:203], off, off offset:96 ; 16-byte Folded Reload
	s_waitcnt vmcnt(0)
	ds_write2_b64 v233, v[200:201], v[202:203] offset0:30 offset1:31
	scratch_load_dwordx4 v[200:203], off, off offset:80 ; 16-byte Folded Reload
	s_waitcnt vmcnt(0)
	ds_write2_b64 v233, v[200:201], v[202:203] offset0:32 offset1:33
	;; [unrolled: 3-line block ×6, first 2 shown]
	scratch_load_dwordx4 v[200:203], off, off ; 16-byte Folded Reload
	s_waitcnt vmcnt(0)
	ds_write2_b64 v233, v[200:201], v[202:203] offset0:42 offset1:43
	ds_write2_b64 v233, v[104:105], v[106:107] offset0:44 offset1:45
	;; [unrolled: 1-line block ×29, first 2 shown]
	ds_read2_b64 v[200:203], v194 offset1:1
	s_waitcnt lgkmcnt(0)
	v_cmp_neq_f64_e32 vcc, 0, v[200:201]
	v_cmp_neq_f64_e64 s[2:3], 0, v[202:203]
	s_or_b64 s[2:3], vcc, s[2:3]
	s_and_b64 exec, exec, s[2:3]
	s_cbranch_execz .LBB99_134
; %bb.129:
	v_cmp_ngt_f64_e64 s[2:3], |v[200:201]|, |v[202:203]|
                                        ; implicit-def: $vgpr204_vgpr205
	s_and_saveexec_b64 s[10:11], s[2:3]
	s_xor_b64 s[2:3], exec, s[10:11]
                                        ; implicit-def: $vgpr206_vgpr207
	s_cbranch_execz .LBB99_131
; %bb.130:
	v_div_scale_f64 v[204:205], s[10:11], v[202:203], v[202:203], v[200:201]
	v_rcp_f64_e32 v[206:207], v[204:205]
	v_div_scale_f64 v[208:209], vcc, v[200:201], v[202:203], v[200:201]
	v_fma_f64 v[210:211], -v[204:205], v[206:207], 1.0
	v_fmac_f64_e32 v[206:207], v[206:207], v[210:211]
	v_fma_f64 v[210:211], -v[204:205], v[206:207], 1.0
	v_fmac_f64_e32 v[206:207], v[206:207], v[210:211]
	v_mul_f64 v[210:211], v[208:209], v[206:207]
	v_fma_f64 v[204:205], -v[204:205], v[210:211], v[208:209]
	v_div_fmas_f64 v[204:205], v[204:205], v[206:207], v[210:211]
	v_div_fixup_f64 v[204:205], v[204:205], v[202:203], v[200:201]
	v_fmac_f64_e32 v[202:203], v[200:201], v[204:205]
	v_div_scale_f64 v[200:201], s[10:11], v[202:203], v[202:203], 1.0
	v_rcp_f64_e32 v[206:207], v[200:201]
	s_nop 0
	v_fma_f64 v[208:209], -v[200:201], v[206:207], 1.0
	v_fmac_f64_e32 v[206:207], v[206:207], v[208:209]
	v_fma_f64 v[208:209], -v[200:201], v[206:207], 1.0
	v_fmac_f64_e32 v[206:207], v[206:207], v[208:209]
	v_div_scale_f64 v[208:209], vcc, 1.0, v[202:203], 1.0
	v_mul_f64 v[210:211], v[208:209], v[206:207]
	v_fma_f64 v[200:201], -v[200:201], v[210:211], v[208:209]
	s_nop 1
	v_div_fmas_f64 v[200:201], v[200:201], v[206:207], v[210:211]
	v_div_fixup_f64 v[206:207], v[200:201], v[202:203], 1.0
	v_mul_f64 v[204:205], v[204:205], v[206:207]
	v_xor_b32_e32 v207, 0x80000000, v207
                                        ; implicit-def: $vgpr200_vgpr201
.LBB99_131:
	s_andn2_saveexec_b64 s[2:3], s[2:3]
	s_cbranch_execz .LBB99_133
; %bb.132:
	v_div_scale_f64 v[204:205], s[10:11], v[200:201], v[200:201], v[202:203]
	v_rcp_f64_e32 v[206:207], v[204:205]
	v_div_scale_f64 v[208:209], vcc, v[202:203], v[200:201], v[202:203]
	v_fma_f64 v[210:211], -v[204:205], v[206:207], 1.0
	v_fmac_f64_e32 v[206:207], v[206:207], v[210:211]
	v_fma_f64 v[210:211], -v[204:205], v[206:207], 1.0
	v_fmac_f64_e32 v[206:207], v[206:207], v[210:211]
	v_mul_f64 v[210:211], v[208:209], v[206:207]
	v_fma_f64 v[204:205], -v[204:205], v[210:211], v[208:209]
	v_div_fmas_f64 v[204:205], v[204:205], v[206:207], v[210:211]
	v_div_fixup_f64 v[206:207], v[204:205], v[200:201], v[202:203]
	v_fmac_f64_e32 v[200:201], v[202:203], v[206:207]
	v_div_scale_f64 v[202:203], s[10:11], v[200:201], v[200:201], 1.0
	v_rcp_f64_e32 v[204:205], v[202:203]
	s_nop 0
	v_fma_f64 v[208:209], -v[202:203], v[204:205], 1.0
	v_fmac_f64_e32 v[204:205], v[204:205], v[208:209]
	v_fma_f64 v[208:209], -v[202:203], v[204:205], 1.0
	v_fmac_f64_e32 v[204:205], v[204:205], v[208:209]
	v_div_scale_f64 v[208:209], vcc, 1.0, v[200:201], 1.0
	v_mul_f64 v[210:211], v[208:209], v[204:205]
	v_fma_f64 v[202:203], -v[202:203], v[210:211], v[208:209]
	s_nop 1
	v_div_fmas_f64 v[202:203], v[202:203], v[204:205], v[210:211]
	v_div_fixup_f64 v[204:205], v[202:203], v[200:201], 1.0
	v_mul_f64 v[206:207], v[206:207], -v[204:205]
.LBB99_133:
	s_or_b64 exec, exec, s[2:3]
	ds_write2_b64 v194, v[204:205], v[206:207] offset1:1
.LBB99_134:
	s_or_b64 exec, exec, s[4:5]
	s_waitcnt lgkmcnt(0)
	s_barrier
	ds_read2_b64 v[200:203], v194 offset1:1
	v_cmp_lt_u32_e32 vcc, 14, v234
	s_waitcnt lgkmcnt(0)
	scratch_store_dwordx4 off, v[200:203], off offset:576 ; 16-byte Folded Spill
	s_and_saveexec_b64 s[2:3], vcc
	s_cbranch_execz .LBB99_136
; %bb.135:
	scratch_load_dwordx4 v[206:209], off, off offset:112 ; 16-byte Folded Reload
	scratch_load_dwordx4 v[202:205], off, off offset:576 ; 16-byte Folded Reload
	v_mov_b64_e32 v[188:189], v[136:137]
	s_waitcnt vmcnt(0)
	v_mul_f64 v[200:201], v[204:205], v[208:209]
	v_mul_f64 v[208:209], v[202:203], v[208:209]
	v_fma_f64 v[200:201], v[202:203], v[206:207], -v[200:201]
	v_fmac_f64_e32 v[208:209], v[204:205], v[206:207]
	ds_read2_b64 v[202:205], v233 offset0:30 offset1:31
	s_waitcnt lgkmcnt(0)
	v_mul_f64 v[136:137], v[204:205], v[208:209]
	v_fma_f64 v[136:137], v[202:203], v[200:201], -v[136:137]
	v_mul_f64 v[202:203], v[202:203], v[208:209]
	v_fmac_f64_e32 v[202:203], v[204:205], v[200:201]
	scratch_load_dwordx4 v[204:207], off, off offset:96 ; 16-byte Folded Reload
	s_waitcnt vmcnt(0)
	v_add_f64 v[204:205], v[204:205], -v[136:137]
	v_add_f64 v[206:207], v[206:207], -v[202:203]
	scratch_store_dwordx4 off, v[204:207], off offset:96 ; 16-byte Folded Spill
	ds_read2_b64 v[202:205], v233 offset0:32 offset1:33
	s_waitcnt lgkmcnt(0)
	v_mul_f64 v[136:137], v[204:205], v[208:209]
	v_fma_f64 v[136:137], v[202:203], v[200:201], -v[136:137]
	v_mul_f64 v[202:203], v[202:203], v[208:209]
	v_fmac_f64_e32 v[202:203], v[204:205], v[200:201]
	scratch_load_dwordx4 v[204:207], off, off offset:80 ; 16-byte Folded Reload
	s_waitcnt vmcnt(0)
	v_add_f64 v[204:205], v[204:205], -v[136:137]
	v_add_f64 v[206:207], v[206:207], -v[202:203]
	scratch_store_dwordx4 off, v[204:207], off offset:80 ; 16-byte Folded Spill
	;; [unrolled: 11-line block ×6, first 2 shown]
	ds_read2_b64 v[202:205], v233 offset0:42 offset1:43
	s_waitcnt lgkmcnt(0)
	v_mul_f64 v[136:137], v[204:205], v[208:209]
	v_fma_f64 v[136:137], v[202:203], v[200:201], -v[136:137]
	v_mul_f64 v[202:203], v[202:203], v[208:209]
	v_fmac_f64_e32 v[202:203], v[204:205], v[200:201]
	scratch_load_dwordx4 v[204:207], off, off ; 16-byte Folded Reload
	s_waitcnt vmcnt(0)
	v_add_f64 v[204:205], v[204:205], -v[136:137]
	v_add_f64 v[206:207], v[206:207], -v[202:203]
	scratch_store_dwordx4 off, v[204:207], off ; 16-byte Folded Spill
	ds_read2_b64 v[202:205], v233 offset0:44 offset1:45
	s_waitcnt lgkmcnt(0)
	v_mul_f64 v[136:137], v[204:205], v[208:209]
	v_fma_f64 v[136:137], v[202:203], v[200:201], -v[136:137]
	v_mul_f64 v[202:203], v[202:203], v[208:209]
	v_fmac_f64_e32 v[202:203], v[204:205], v[200:201]
	v_add_f64 v[106:107], v[106:107], -v[202:203]
	ds_read2_b64 v[202:205], v233 offset0:46 offset1:47
	v_add_f64 v[104:105], v[104:105], -v[136:137]
	v_mov_b64_e32 v[206:207], v[200:201]
	scratch_store_dwordx4 off, v[206:209], off offset:112 ; 16-byte Folded Spill
	s_waitcnt lgkmcnt(0)
	v_mul_f64 v[136:137], v[204:205], v[208:209]
	v_fma_f64 v[136:137], v[202:203], v[200:201], -v[136:137]
	v_mul_f64 v[202:203], v[202:203], v[208:209]
	v_fmac_f64_e32 v[202:203], v[204:205], v[200:201]
	v_add_f64 v[102:103], v[102:103], -v[202:203]
	ds_read2_b64 v[202:205], v233 offset0:48 offset1:49
	v_add_f64 v[100:101], v[100:101], -v[136:137]
	s_waitcnt lgkmcnt(0)
	v_mul_f64 v[136:137], v[204:205], v[208:209]
	v_fma_f64 v[136:137], v[202:203], v[200:201], -v[136:137]
	v_mul_f64 v[202:203], v[202:203], v[208:209]
	v_fmac_f64_e32 v[202:203], v[204:205], v[200:201]
	v_add_f64 v[98:99], v[98:99], -v[202:203]
	ds_read2_b64 v[202:205], v233 offset0:50 offset1:51
	v_add_f64 v[96:97], v[96:97], -v[136:137]
	;; [unrolled: 8-line block ×26, first 2 shown]
	s_waitcnt lgkmcnt(0)
	v_mul_f64 v[136:137], v[204:205], v[208:209]
	v_fma_f64 v[136:137], v[202:203], v[200:201], -v[136:137]
	v_mul_f64 v[202:203], v[202:203], v[208:209]
	v_fmac_f64_e32 v[202:203], v[204:205], v[200:201]
	v_add_f64 v[196:197], v[196:197], -v[136:137]
	v_mov_b64_e32 v[136:137], v[188:189]
	v_add_f64 v[198:199], v[198:199], -v[202:203]
.LBB99_136:
	s_or_b64 exec, exec, s[2:3]
	v_cmp_eq_u32_e32 vcc, 15, v234
	s_barrier
	s_and_saveexec_b64 s[4:5], vcc
	s_cbranch_execz .LBB99_143
; %bb.137:
	scratch_load_dwordx4 v[200:203], off, off offset:96 ; 16-byte Folded Reload
	s_waitcnt vmcnt(0)
	ds_write2_b64 v194, v[200:201], v[202:203] offset1:1
	scratch_load_dwordx4 v[200:203], off, off offset:80 ; 16-byte Folded Reload
	s_waitcnt vmcnt(0)
	ds_write2_b64 v233, v[200:201], v[202:203] offset0:32 offset1:33
	scratch_load_dwordx4 v[200:203], off, off offset:64 ; 16-byte Folded Reload
	s_waitcnt vmcnt(0)
	ds_write2_b64 v233, v[200:201], v[202:203] offset0:34 offset1:35
	;; [unrolled: 3-line block ×5, first 2 shown]
	scratch_load_dwordx4 v[200:203], off, off ; 16-byte Folded Reload
	s_waitcnt vmcnt(0)
	ds_write2_b64 v233, v[200:201], v[202:203] offset0:42 offset1:43
	ds_write2_b64 v233, v[104:105], v[106:107] offset0:44 offset1:45
	;; [unrolled: 1-line block ×29, first 2 shown]
	ds_read2_b64 v[200:203], v194 offset1:1
	s_waitcnt lgkmcnt(0)
	v_cmp_neq_f64_e32 vcc, 0, v[200:201]
	v_cmp_neq_f64_e64 s[2:3], 0, v[202:203]
	s_or_b64 s[2:3], vcc, s[2:3]
	s_and_b64 exec, exec, s[2:3]
	s_cbranch_execz .LBB99_143
; %bb.138:
	v_cmp_ngt_f64_e64 s[2:3], |v[200:201]|, |v[202:203]|
                                        ; implicit-def: $vgpr204_vgpr205
	s_and_saveexec_b64 s[10:11], s[2:3]
	s_xor_b64 s[2:3], exec, s[10:11]
                                        ; implicit-def: $vgpr206_vgpr207
	s_cbranch_execz .LBB99_140
; %bb.139:
	v_div_scale_f64 v[204:205], s[10:11], v[202:203], v[202:203], v[200:201]
	v_rcp_f64_e32 v[206:207], v[204:205]
	v_div_scale_f64 v[208:209], vcc, v[200:201], v[202:203], v[200:201]
	v_fma_f64 v[210:211], -v[204:205], v[206:207], 1.0
	v_fmac_f64_e32 v[206:207], v[206:207], v[210:211]
	v_fma_f64 v[210:211], -v[204:205], v[206:207], 1.0
	v_fmac_f64_e32 v[206:207], v[206:207], v[210:211]
	v_mul_f64 v[210:211], v[208:209], v[206:207]
	v_fma_f64 v[204:205], -v[204:205], v[210:211], v[208:209]
	v_div_fmas_f64 v[204:205], v[204:205], v[206:207], v[210:211]
	v_div_fixup_f64 v[204:205], v[204:205], v[202:203], v[200:201]
	v_fmac_f64_e32 v[202:203], v[200:201], v[204:205]
	v_div_scale_f64 v[200:201], s[10:11], v[202:203], v[202:203], 1.0
	v_rcp_f64_e32 v[206:207], v[200:201]
	s_nop 0
	v_fma_f64 v[208:209], -v[200:201], v[206:207], 1.0
	v_fmac_f64_e32 v[206:207], v[206:207], v[208:209]
	v_fma_f64 v[208:209], -v[200:201], v[206:207], 1.0
	v_fmac_f64_e32 v[206:207], v[206:207], v[208:209]
	v_div_scale_f64 v[208:209], vcc, 1.0, v[202:203], 1.0
	v_mul_f64 v[210:211], v[208:209], v[206:207]
	v_fma_f64 v[200:201], -v[200:201], v[210:211], v[208:209]
	s_nop 1
	v_div_fmas_f64 v[200:201], v[200:201], v[206:207], v[210:211]
	v_div_fixup_f64 v[206:207], v[200:201], v[202:203], 1.0
	v_mul_f64 v[204:205], v[204:205], v[206:207]
	v_xor_b32_e32 v207, 0x80000000, v207
                                        ; implicit-def: $vgpr200_vgpr201
.LBB99_140:
	s_andn2_saveexec_b64 s[2:3], s[2:3]
	s_cbranch_execz .LBB99_142
; %bb.141:
	v_div_scale_f64 v[204:205], s[10:11], v[200:201], v[200:201], v[202:203]
	v_rcp_f64_e32 v[206:207], v[204:205]
	v_div_scale_f64 v[208:209], vcc, v[202:203], v[200:201], v[202:203]
	v_fma_f64 v[210:211], -v[204:205], v[206:207], 1.0
	v_fmac_f64_e32 v[206:207], v[206:207], v[210:211]
	v_fma_f64 v[210:211], -v[204:205], v[206:207], 1.0
	v_fmac_f64_e32 v[206:207], v[206:207], v[210:211]
	v_mul_f64 v[210:211], v[208:209], v[206:207]
	v_fma_f64 v[204:205], -v[204:205], v[210:211], v[208:209]
	v_div_fmas_f64 v[204:205], v[204:205], v[206:207], v[210:211]
	v_div_fixup_f64 v[206:207], v[204:205], v[200:201], v[202:203]
	v_fmac_f64_e32 v[200:201], v[202:203], v[206:207]
	v_div_scale_f64 v[202:203], s[10:11], v[200:201], v[200:201], 1.0
	v_rcp_f64_e32 v[204:205], v[202:203]
	s_nop 0
	v_fma_f64 v[208:209], -v[202:203], v[204:205], 1.0
	v_fmac_f64_e32 v[204:205], v[204:205], v[208:209]
	v_fma_f64 v[208:209], -v[202:203], v[204:205], 1.0
	v_fmac_f64_e32 v[204:205], v[204:205], v[208:209]
	v_div_scale_f64 v[208:209], vcc, 1.0, v[200:201], 1.0
	v_mul_f64 v[210:211], v[208:209], v[204:205]
	v_fma_f64 v[202:203], -v[202:203], v[210:211], v[208:209]
	s_nop 1
	v_div_fmas_f64 v[202:203], v[202:203], v[204:205], v[210:211]
	v_div_fixup_f64 v[204:205], v[202:203], v[200:201], 1.0
	v_mul_f64 v[206:207], v[206:207], -v[204:205]
.LBB99_142:
	s_or_b64 exec, exec, s[2:3]
	ds_write2_b64 v194, v[204:205], v[206:207] offset1:1
.LBB99_143:
	s_or_b64 exec, exec, s[4:5]
	s_waitcnt lgkmcnt(0)
	s_barrier
	ds_read2_b64 v[200:203], v194 offset1:1
	v_cmp_lt_u32_e32 vcc, 15, v234
	s_waitcnt lgkmcnt(0)
	scratch_store_dwordx4 off, v[200:203], off offset:592 ; 16-byte Folded Spill
	s_and_saveexec_b64 s[2:3], vcc
	s_cbranch_execz .LBB99_145
; %bb.144:
	scratch_load_dwordx4 v[206:209], off, off offset:96 ; 16-byte Folded Reload
	scratch_load_dwordx4 v[202:205], off, off offset:592 ; 16-byte Folded Reload
	v_mov_b64_e32 v[188:189], v[132:133]
	s_waitcnt vmcnt(0)
	v_mul_f64 v[200:201], v[204:205], v[208:209]
	v_mul_f64 v[208:209], v[202:203], v[208:209]
	v_fma_f64 v[200:201], v[202:203], v[206:207], -v[200:201]
	v_fmac_f64_e32 v[208:209], v[204:205], v[206:207]
	ds_read2_b64 v[202:205], v233 offset0:32 offset1:33
	s_waitcnt lgkmcnt(0)
	v_mul_f64 v[132:133], v[204:205], v[208:209]
	v_fma_f64 v[132:133], v[202:203], v[200:201], -v[132:133]
	v_mul_f64 v[202:203], v[202:203], v[208:209]
	v_fmac_f64_e32 v[202:203], v[204:205], v[200:201]
	scratch_load_dwordx4 v[204:207], off, off offset:80 ; 16-byte Folded Reload
	s_waitcnt vmcnt(0)
	v_add_f64 v[204:205], v[204:205], -v[132:133]
	v_add_f64 v[206:207], v[206:207], -v[202:203]
	scratch_store_dwordx4 off, v[204:207], off offset:80 ; 16-byte Folded Spill
	ds_read2_b64 v[202:205], v233 offset0:34 offset1:35
	s_waitcnt lgkmcnt(0)
	v_mul_f64 v[132:133], v[204:205], v[208:209]
	v_fma_f64 v[132:133], v[202:203], v[200:201], -v[132:133]
	v_mul_f64 v[202:203], v[202:203], v[208:209]
	v_fmac_f64_e32 v[202:203], v[204:205], v[200:201]
	scratch_load_dwordx4 v[204:207], off, off offset:64 ; 16-byte Folded Reload
	s_waitcnt vmcnt(0)
	v_add_f64 v[204:205], v[204:205], -v[132:133]
	v_add_f64 v[206:207], v[206:207], -v[202:203]
	scratch_store_dwordx4 off, v[204:207], off offset:64 ; 16-byte Folded Spill
	;; [unrolled: 11-line block ×5, first 2 shown]
	ds_read2_b64 v[202:205], v233 offset0:42 offset1:43
	s_waitcnt lgkmcnt(0)
	v_mul_f64 v[132:133], v[204:205], v[208:209]
	v_fma_f64 v[132:133], v[202:203], v[200:201], -v[132:133]
	v_mul_f64 v[202:203], v[202:203], v[208:209]
	v_fmac_f64_e32 v[202:203], v[204:205], v[200:201]
	scratch_load_dwordx4 v[204:207], off, off ; 16-byte Folded Reload
	s_waitcnt vmcnt(0)
	v_add_f64 v[204:205], v[204:205], -v[132:133]
	v_add_f64 v[206:207], v[206:207], -v[202:203]
	scratch_store_dwordx4 off, v[204:207], off ; 16-byte Folded Spill
	ds_read2_b64 v[202:205], v233 offset0:44 offset1:45
	s_waitcnt lgkmcnt(0)
	v_mul_f64 v[132:133], v[204:205], v[208:209]
	v_fma_f64 v[132:133], v[202:203], v[200:201], -v[132:133]
	v_mul_f64 v[202:203], v[202:203], v[208:209]
	v_fmac_f64_e32 v[202:203], v[204:205], v[200:201]
	v_add_f64 v[106:107], v[106:107], -v[202:203]
	ds_read2_b64 v[202:205], v233 offset0:46 offset1:47
	v_add_f64 v[104:105], v[104:105], -v[132:133]
	v_mov_b64_e32 v[206:207], v[200:201]
	scratch_store_dwordx4 off, v[206:209], off offset:96 ; 16-byte Folded Spill
	s_waitcnt lgkmcnt(0)
	v_mul_f64 v[132:133], v[204:205], v[208:209]
	v_fma_f64 v[132:133], v[202:203], v[200:201], -v[132:133]
	v_mul_f64 v[202:203], v[202:203], v[208:209]
	v_fmac_f64_e32 v[202:203], v[204:205], v[200:201]
	v_add_f64 v[102:103], v[102:103], -v[202:203]
	ds_read2_b64 v[202:205], v233 offset0:48 offset1:49
	v_add_f64 v[100:101], v[100:101], -v[132:133]
	s_waitcnt lgkmcnt(0)
	v_mul_f64 v[132:133], v[204:205], v[208:209]
	v_fma_f64 v[132:133], v[202:203], v[200:201], -v[132:133]
	v_mul_f64 v[202:203], v[202:203], v[208:209]
	v_fmac_f64_e32 v[202:203], v[204:205], v[200:201]
	v_add_f64 v[98:99], v[98:99], -v[202:203]
	ds_read2_b64 v[202:205], v233 offset0:50 offset1:51
	v_add_f64 v[96:97], v[96:97], -v[132:133]
	;; [unrolled: 8-line block ×26, first 2 shown]
	s_waitcnt lgkmcnt(0)
	v_mul_f64 v[132:133], v[204:205], v[208:209]
	v_fma_f64 v[132:133], v[202:203], v[200:201], -v[132:133]
	v_mul_f64 v[202:203], v[202:203], v[208:209]
	v_fmac_f64_e32 v[202:203], v[204:205], v[200:201]
	v_add_f64 v[196:197], v[196:197], -v[132:133]
	v_mov_b64_e32 v[132:133], v[188:189]
	v_add_f64 v[198:199], v[198:199], -v[202:203]
.LBB99_145:
	s_or_b64 exec, exec, s[2:3]
	v_cmp_eq_u32_e32 vcc, 16, v234
	s_barrier
	s_and_saveexec_b64 s[4:5], vcc
	s_cbranch_execz .LBB99_152
; %bb.146:
	scratch_load_dwordx4 v[200:203], off, off offset:80 ; 16-byte Folded Reload
	s_waitcnt vmcnt(0)
	ds_write2_b64 v194, v[200:201], v[202:203] offset1:1
	scratch_load_dwordx4 v[200:203], off, off offset:64 ; 16-byte Folded Reload
	s_waitcnt vmcnt(0)
	ds_write2_b64 v233, v[200:201], v[202:203] offset0:34 offset1:35
	scratch_load_dwordx4 v[200:203], off, off offset:48 ; 16-byte Folded Reload
	s_waitcnt vmcnt(0)
	ds_write2_b64 v233, v[200:201], v[202:203] offset0:36 offset1:37
	;; [unrolled: 3-line block ×4, first 2 shown]
	scratch_load_dwordx4 v[200:203], off, off ; 16-byte Folded Reload
	s_waitcnt vmcnt(0)
	ds_write2_b64 v233, v[200:201], v[202:203] offset0:42 offset1:43
	ds_write2_b64 v233, v[104:105], v[106:107] offset0:44 offset1:45
	;; [unrolled: 1-line block ×29, first 2 shown]
	ds_read2_b64 v[200:203], v194 offset1:1
	s_waitcnt lgkmcnt(0)
	v_cmp_neq_f64_e32 vcc, 0, v[200:201]
	v_cmp_neq_f64_e64 s[2:3], 0, v[202:203]
	s_or_b64 s[2:3], vcc, s[2:3]
	s_and_b64 exec, exec, s[2:3]
	s_cbranch_execz .LBB99_152
; %bb.147:
	v_cmp_ngt_f64_e64 s[2:3], |v[200:201]|, |v[202:203]|
                                        ; implicit-def: $vgpr204_vgpr205
	s_and_saveexec_b64 s[10:11], s[2:3]
	s_xor_b64 s[2:3], exec, s[10:11]
                                        ; implicit-def: $vgpr206_vgpr207
	s_cbranch_execz .LBB99_149
; %bb.148:
	v_div_scale_f64 v[204:205], s[10:11], v[202:203], v[202:203], v[200:201]
	v_rcp_f64_e32 v[206:207], v[204:205]
	v_div_scale_f64 v[208:209], vcc, v[200:201], v[202:203], v[200:201]
	v_fma_f64 v[210:211], -v[204:205], v[206:207], 1.0
	v_fmac_f64_e32 v[206:207], v[206:207], v[210:211]
	v_fma_f64 v[210:211], -v[204:205], v[206:207], 1.0
	v_fmac_f64_e32 v[206:207], v[206:207], v[210:211]
	v_mul_f64 v[210:211], v[208:209], v[206:207]
	v_fma_f64 v[204:205], -v[204:205], v[210:211], v[208:209]
	v_div_fmas_f64 v[204:205], v[204:205], v[206:207], v[210:211]
	v_div_fixup_f64 v[204:205], v[204:205], v[202:203], v[200:201]
	v_fmac_f64_e32 v[202:203], v[200:201], v[204:205]
	v_div_scale_f64 v[200:201], s[10:11], v[202:203], v[202:203], 1.0
	v_rcp_f64_e32 v[206:207], v[200:201]
	s_nop 0
	v_fma_f64 v[208:209], -v[200:201], v[206:207], 1.0
	v_fmac_f64_e32 v[206:207], v[206:207], v[208:209]
	v_fma_f64 v[208:209], -v[200:201], v[206:207], 1.0
	v_fmac_f64_e32 v[206:207], v[206:207], v[208:209]
	v_div_scale_f64 v[208:209], vcc, 1.0, v[202:203], 1.0
	v_mul_f64 v[210:211], v[208:209], v[206:207]
	v_fma_f64 v[200:201], -v[200:201], v[210:211], v[208:209]
	s_nop 1
	v_div_fmas_f64 v[200:201], v[200:201], v[206:207], v[210:211]
	v_div_fixup_f64 v[206:207], v[200:201], v[202:203], 1.0
	v_mul_f64 v[204:205], v[204:205], v[206:207]
	v_xor_b32_e32 v207, 0x80000000, v207
                                        ; implicit-def: $vgpr200_vgpr201
.LBB99_149:
	s_andn2_saveexec_b64 s[2:3], s[2:3]
	s_cbranch_execz .LBB99_151
; %bb.150:
	v_div_scale_f64 v[204:205], s[10:11], v[200:201], v[200:201], v[202:203]
	v_rcp_f64_e32 v[206:207], v[204:205]
	v_div_scale_f64 v[208:209], vcc, v[202:203], v[200:201], v[202:203]
	v_fma_f64 v[210:211], -v[204:205], v[206:207], 1.0
	v_fmac_f64_e32 v[206:207], v[206:207], v[210:211]
	v_fma_f64 v[210:211], -v[204:205], v[206:207], 1.0
	v_fmac_f64_e32 v[206:207], v[206:207], v[210:211]
	v_mul_f64 v[210:211], v[208:209], v[206:207]
	v_fma_f64 v[204:205], -v[204:205], v[210:211], v[208:209]
	v_div_fmas_f64 v[204:205], v[204:205], v[206:207], v[210:211]
	v_div_fixup_f64 v[206:207], v[204:205], v[200:201], v[202:203]
	v_fmac_f64_e32 v[200:201], v[202:203], v[206:207]
	v_div_scale_f64 v[202:203], s[10:11], v[200:201], v[200:201], 1.0
	v_rcp_f64_e32 v[204:205], v[202:203]
	s_nop 0
	v_fma_f64 v[208:209], -v[202:203], v[204:205], 1.0
	v_fmac_f64_e32 v[204:205], v[204:205], v[208:209]
	v_fma_f64 v[208:209], -v[202:203], v[204:205], 1.0
	v_fmac_f64_e32 v[204:205], v[204:205], v[208:209]
	v_div_scale_f64 v[208:209], vcc, 1.0, v[200:201], 1.0
	v_mul_f64 v[210:211], v[208:209], v[204:205]
	v_fma_f64 v[202:203], -v[202:203], v[210:211], v[208:209]
	s_nop 1
	v_div_fmas_f64 v[202:203], v[202:203], v[204:205], v[210:211]
	v_div_fixup_f64 v[204:205], v[202:203], v[200:201], 1.0
	v_mul_f64 v[206:207], v[206:207], -v[204:205]
.LBB99_151:
	s_or_b64 exec, exec, s[2:3]
	ds_write2_b64 v194, v[204:205], v[206:207] offset1:1
.LBB99_152:
	s_or_b64 exec, exec, s[4:5]
	s_waitcnt lgkmcnt(0)
	s_barrier
	ds_read2_b64 v[200:203], v194 offset1:1
	v_cmp_lt_u32_e32 vcc, 16, v234
	s_waitcnt lgkmcnt(0)
	scratch_store_dwordx4 off, v[200:203], off offset:608 ; 16-byte Folded Spill
	s_and_saveexec_b64 s[2:3], vcc
	s_cbranch_execz .LBB99_154
; %bb.153:
	scratch_load_dwordx4 v[206:209], off, off offset:80 ; 16-byte Folded Reload
	scratch_load_dwordx4 v[202:205], off, off offset:608 ; 16-byte Folded Reload
	v_mov_b64_e32 v[188:189], v[128:129]
	s_waitcnt vmcnt(0)
	v_mul_f64 v[200:201], v[204:205], v[208:209]
	v_mul_f64 v[208:209], v[202:203], v[208:209]
	v_fma_f64 v[200:201], v[202:203], v[206:207], -v[200:201]
	v_fmac_f64_e32 v[208:209], v[204:205], v[206:207]
	ds_read2_b64 v[202:205], v233 offset0:34 offset1:35
	s_waitcnt lgkmcnt(0)
	v_mul_f64 v[128:129], v[204:205], v[208:209]
	v_fma_f64 v[128:129], v[202:203], v[200:201], -v[128:129]
	v_mul_f64 v[202:203], v[202:203], v[208:209]
	v_fmac_f64_e32 v[202:203], v[204:205], v[200:201]
	scratch_load_dwordx4 v[204:207], off, off offset:64 ; 16-byte Folded Reload
	s_waitcnt vmcnt(0)
	v_add_f64 v[204:205], v[204:205], -v[128:129]
	v_add_f64 v[206:207], v[206:207], -v[202:203]
	scratch_store_dwordx4 off, v[204:207], off offset:64 ; 16-byte Folded Spill
	ds_read2_b64 v[202:205], v233 offset0:36 offset1:37
	s_waitcnt lgkmcnt(0)
	v_mul_f64 v[128:129], v[204:205], v[208:209]
	v_fma_f64 v[128:129], v[202:203], v[200:201], -v[128:129]
	v_mul_f64 v[202:203], v[202:203], v[208:209]
	v_fmac_f64_e32 v[202:203], v[204:205], v[200:201]
	scratch_load_dwordx4 v[204:207], off, off offset:48 ; 16-byte Folded Reload
	s_waitcnt vmcnt(0)
	v_add_f64 v[204:205], v[204:205], -v[128:129]
	v_add_f64 v[206:207], v[206:207], -v[202:203]
	scratch_store_dwordx4 off, v[204:207], off offset:48 ; 16-byte Folded Spill
	;; [unrolled: 11-line block ×4, first 2 shown]
	ds_read2_b64 v[202:205], v233 offset0:42 offset1:43
	s_waitcnt lgkmcnt(0)
	v_mul_f64 v[128:129], v[204:205], v[208:209]
	v_fma_f64 v[128:129], v[202:203], v[200:201], -v[128:129]
	v_mul_f64 v[202:203], v[202:203], v[208:209]
	v_fmac_f64_e32 v[202:203], v[204:205], v[200:201]
	scratch_load_dwordx4 v[204:207], off, off ; 16-byte Folded Reload
	s_waitcnt vmcnt(0)
	v_add_f64 v[204:205], v[204:205], -v[128:129]
	v_add_f64 v[206:207], v[206:207], -v[202:203]
	scratch_store_dwordx4 off, v[204:207], off ; 16-byte Folded Spill
	ds_read2_b64 v[202:205], v233 offset0:44 offset1:45
	s_waitcnt lgkmcnt(0)
	v_mul_f64 v[128:129], v[204:205], v[208:209]
	v_fma_f64 v[128:129], v[202:203], v[200:201], -v[128:129]
	v_mul_f64 v[202:203], v[202:203], v[208:209]
	v_fmac_f64_e32 v[202:203], v[204:205], v[200:201]
	v_add_f64 v[106:107], v[106:107], -v[202:203]
	ds_read2_b64 v[202:205], v233 offset0:46 offset1:47
	v_add_f64 v[104:105], v[104:105], -v[128:129]
	v_mov_b64_e32 v[206:207], v[200:201]
	scratch_store_dwordx4 off, v[206:209], off offset:80 ; 16-byte Folded Spill
	s_waitcnt lgkmcnt(0)
	v_mul_f64 v[128:129], v[204:205], v[208:209]
	v_fma_f64 v[128:129], v[202:203], v[200:201], -v[128:129]
	v_mul_f64 v[202:203], v[202:203], v[208:209]
	v_fmac_f64_e32 v[202:203], v[204:205], v[200:201]
	v_add_f64 v[102:103], v[102:103], -v[202:203]
	ds_read2_b64 v[202:205], v233 offset0:48 offset1:49
	v_add_f64 v[100:101], v[100:101], -v[128:129]
	s_waitcnt lgkmcnt(0)
	v_mul_f64 v[128:129], v[204:205], v[208:209]
	v_fma_f64 v[128:129], v[202:203], v[200:201], -v[128:129]
	v_mul_f64 v[202:203], v[202:203], v[208:209]
	v_fmac_f64_e32 v[202:203], v[204:205], v[200:201]
	v_add_f64 v[98:99], v[98:99], -v[202:203]
	ds_read2_b64 v[202:205], v233 offset0:50 offset1:51
	v_add_f64 v[96:97], v[96:97], -v[128:129]
	;; [unrolled: 8-line block ×26, first 2 shown]
	s_waitcnt lgkmcnt(0)
	v_mul_f64 v[128:129], v[204:205], v[208:209]
	v_fma_f64 v[128:129], v[202:203], v[200:201], -v[128:129]
	v_mul_f64 v[202:203], v[202:203], v[208:209]
	v_fmac_f64_e32 v[202:203], v[204:205], v[200:201]
	v_add_f64 v[196:197], v[196:197], -v[128:129]
	v_mov_b64_e32 v[128:129], v[188:189]
	v_add_f64 v[198:199], v[198:199], -v[202:203]
.LBB99_154:
	s_or_b64 exec, exec, s[2:3]
	v_cmp_eq_u32_e32 vcc, 17, v234
	s_barrier
	s_and_saveexec_b64 s[4:5], vcc
	s_cbranch_execz .LBB99_161
; %bb.155:
	scratch_load_dwordx4 v[200:203], off, off offset:64 ; 16-byte Folded Reload
	s_waitcnt vmcnt(0)
	ds_write2_b64 v194, v[200:201], v[202:203] offset1:1
	scratch_load_dwordx4 v[200:203], off, off offset:48 ; 16-byte Folded Reload
	s_waitcnt vmcnt(0)
	ds_write2_b64 v233, v[200:201], v[202:203] offset0:36 offset1:37
	scratch_load_dwordx4 v[200:203], off, off offset:32 ; 16-byte Folded Reload
	s_waitcnt vmcnt(0)
	ds_write2_b64 v233, v[200:201], v[202:203] offset0:38 offset1:39
	;; [unrolled: 3-line block ×3, first 2 shown]
	scratch_load_dwordx4 v[200:203], off, off ; 16-byte Folded Reload
	s_waitcnt vmcnt(0)
	ds_write2_b64 v233, v[200:201], v[202:203] offset0:42 offset1:43
	ds_write2_b64 v233, v[104:105], v[106:107] offset0:44 offset1:45
	;; [unrolled: 1-line block ×29, first 2 shown]
	ds_read2_b64 v[200:203], v194 offset1:1
	s_waitcnt lgkmcnt(0)
	v_cmp_neq_f64_e32 vcc, 0, v[200:201]
	v_cmp_neq_f64_e64 s[2:3], 0, v[202:203]
	s_or_b64 s[2:3], vcc, s[2:3]
	s_and_b64 exec, exec, s[2:3]
	s_cbranch_execz .LBB99_161
; %bb.156:
	v_cmp_ngt_f64_e64 s[2:3], |v[200:201]|, |v[202:203]|
                                        ; implicit-def: $vgpr204_vgpr205
	s_and_saveexec_b64 s[10:11], s[2:3]
	s_xor_b64 s[2:3], exec, s[10:11]
                                        ; implicit-def: $vgpr206_vgpr207
	s_cbranch_execz .LBB99_158
; %bb.157:
	v_div_scale_f64 v[204:205], s[10:11], v[202:203], v[202:203], v[200:201]
	v_rcp_f64_e32 v[206:207], v[204:205]
	v_div_scale_f64 v[208:209], vcc, v[200:201], v[202:203], v[200:201]
	v_fma_f64 v[210:211], -v[204:205], v[206:207], 1.0
	v_fmac_f64_e32 v[206:207], v[206:207], v[210:211]
	v_fma_f64 v[210:211], -v[204:205], v[206:207], 1.0
	v_fmac_f64_e32 v[206:207], v[206:207], v[210:211]
	v_mul_f64 v[210:211], v[208:209], v[206:207]
	v_fma_f64 v[204:205], -v[204:205], v[210:211], v[208:209]
	v_div_fmas_f64 v[204:205], v[204:205], v[206:207], v[210:211]
	v_div_fixup_f64 v[204:205], v[204:205], v[202:203], v[200:201]
	v_fmac_f64_e32 v[202:203], v[200:201], v[204:205]
	v_div_scale_f64 v[200:201], s[10:11], v[202:203], v[202:203], 1.0
	v_rcp_f64_e32 v[206:207], v[200:201]
	s_nop 0
	v_fma_f64 v[208:209], -v[200:201], v[206:207], 1.0
	v_fmac_f64_e32 v[206:207], v[206:207], v[208:209]
	v_fma_f64 v[208:209], -v[200:201], v[206:207], 1.0
	v_fmac_f64_e32 v[206:207], v[206:207], v[208:209]
	v_div_scale_f64 v[208:209], vcc, 1.0, v[202:203], 1.0
	v_mul_f64 v[210:211], v[208:209], v[206:207]
	v_fma_f64 v[200:201], -v[200:201], v[210:211], v[208:209]
	s_nop 1
	v_div_fmas_f64 v[200:201], v[200:201], v[206:207], v[210:211]
	v_div_fixup_f64 v[206:207], v[200:201], v[202:203], 1.0
	v_mul_f64 v[204:205], v[204:205], v[206:207]
	v_xor_b32_e32 v207, 0x80000000, v207
                                        ; implicit-def: $vgpr200_vgpr201
.LBB99_158:
	s_andn2_saveexec_b64 s[2:3], s[2:3]
	s_cbranch_execz .LBB99_160
; %bb.159:
	v_div_scale_f64 v[204:205], s[10:11], v[200:201], v[200:201], v[202:203]
	v_rcp_f64_e32 v[206:207], v[204:205]
	v_div_scale_f64 v[208:209], vcc, v[202:203], v[200:201], v[202:203]
	v_fma_f64 v[210:211], -v[204:205], v[206:207], 1.0
	v_fmac_f64_e32 v[206:207], v[206:207], v[210:211]
	v_fma_f64 v[210:211], -v[204:205], v[206:207], 1.0
	v_fmac_f64_e32 v[206:207], v[206:207], v[210:211]
	v_mul_f64 v[210:211], v[208:209], v[206:207]
	v_fma_f64 v[204:205], -v[204:205], v[210:211], v[208:209]
	v_div_fmas_f64 v[204:205], v[204:205], v[206:207], v[210:211]
	v_div_fixup_f64 v[206:207], v[204:205], v[200:201], v[202:203]
	v_fmac_f64_e32 v[200:201], v[202:203], v[206:207]
	v_div_scale_f64 v[202:203], s[10:11], v[200:201], v[200:201], 1.0
	v_rcp_f64_e32 v[204:205], v[202:203]
	s_nop 0
	v_fma_f64 v[208:209], -v[202:203], v[204:205], 1.0
	v_fmac_f64_e32 v[204:205], v[204:205], v[208:209]
	v_fma_f64 v[208:209], -v[202:203], v[204:205], 1.0
	v_fmac_f64_e32 v[204:205], v[204:205], v[208:209]
	v_div_scale_f64 v[208:209], vcc, 1.0, v[200:201], 1.0
	v_mul_f64 v[210:211], v[208:209], v[204:205]
	v_fma_f64 v[202:203], -v[202:203], v[210:211], v[208:209]
	s_nop 1
	v_div_fmas_f64 v[202:203], v[202:203], v[204:205], v[210:211]
	v_div_fixup_f64 v[204:205], v[202:203], v[200:201], 1.0
	v_mul_f64 v[206:207], v[206:207], -v[204:205]
.LBB99_160:
	s_or_b64 exec, exec, s[2:3]
	ds_write2_b64 v194, v[204:205], v[206:207] offset1:1
.LBB99_161:
	s_or_b64 exec, exec, s[4:5]
	s_waitcnt lgkmcnt(0)
	s_barrier
	ds_read2_b64 v[200:203], v194 offset1:1
	v_cmp_lt_u32_e32 vcc, 17, v234
	s_waitcnt lgkmcnt(0)
	scratch_store_dwordx4 off, v[200:203], off offset:624 ; 16-byte Folded Spill
	s_and_saveexec_b64 s[2:3], vcc
	s_cbranch_execz .LBB99_163
; %bb.162:
	scratch_load_dwordx4 v[206:209], off, off offset:64 ; 16-byte Folded Reload
	scratch_load_dwordx4 v[202:205], off, off offset:624 ; 16-byte Folded Reload
	v_mov_b64_e32 v[188:189], v[124:125]
	s_waitcnt vmcnt(0)
	v_mul_f64 v[200:201], v[204:205], v[208:209]
	v_mul_f64 v[208:209], v[202:203], v[208:209]
	v_fma_f64 v[200:201], v[202:203], v[206:207], -v[200:201]
	v_fmac_f64_e32 v[208:209], v[204:205], v[206:207]
	ds_read2_b64 v[202:205], v233 offset0:36 offset1:37
	s_waitcnt lgkmcnt(0)
	v_mul_f64 v[124:125], v[204:205], v[208:209]
	v_fma_f64 v[124:125], v[202:203], v[200:201], -v[124:125]
	v_mul_f64 v[202:203], v[202:203], v[208:209]
	v_fmac_f64_e32 v[202:203], v[204:205], v[200:201]
	scratch_load_dwordx4 v[204:207], off, off offset:48 ; 16-byte Folded Reload
	s_waitcnt vmcnt(0)
	v_add_f64 v[204:205], v[204:205], -v[124:125]
	v_add_f64 v[206:207], v[206:207], -v[202:203]
	scratch_store_dwordx4 off, v[204:207], off offset:48 ; 16-byte Folded Spill
	ds_read2_b64 v[202:205], v233 offset0:38 offset1:39
	s_waitcnt lgkmcnt(0)
	v_mul_f64 v[124:125], v[204:205], v[208:209]
	v_fma_f64 v[124:125], v[202:203], v[200:201], -v[124:125]
	v_mul_f64 v[202:203], v[202:203], v[208:209]
	v_fmac_f64_e32 v[202:203], v[204:205], v[200:201]
	scratch_load_dwordx4 v[204:207], off, off offset:32 ; 16-byte Folded Reload
	s_waitcnt vmcnt(0)
	v_add_f64 v[204:205], v[204:205], -v[124:125]
	v_add_f64 v[206:207], v[206:207], -v[202:203]
	scratch_store_dwordx4 off, v[204:207], off offset:32 ; 16-byte Folded Spill
	;; [unrolled: 11-line block ×3, first 2 shown]
	ds_read2_b64 v[202:205], v233 offset0:42 offset1:43
	s_waitcnt lgkmcnt(0)
	v_mul_f64 v[124:125], v[204:205], v[208:209]
	v_fma_f64 v[124:125], v[202:203], v[200:201], -v[124:125]
	v_mul_f64 v[202:203], v[202:203], v[208:209]
	v_fmac_f64_e32 v[202:203], v[204:205], v[200:201]
	scratch_load_dwordx4 v[204:207], off, off ; 16-byte Folded Reload
	s_waitcnt vmcnt(0)
	v_add_f64 v[204:205], v[204:205], -v[124:125]
	v_add_f64 v[206:207], v[206:207], -v[202:203]
	scratch_store_dwordx4 off, v[204:207], off ; 16-byte Folded Spill
	ds_read2_b64 v[202:205], v233 offset0:44 offset1:45
	s_waitcnt lgkmcnt(0)
	v_mul_f64 v[124:125], v[204:205], v[208:209]
	v_fma_f64 v[124:125], v[202:203], v[200:201], -v[124:125]
	v_mul_f64 v[202:203], v[202:203], v[208:209]
	v_fmac_f64_e32 v[202:203], v[204:205], v[200:201]
	v_add_f64 v[106:107], v[106:107], -v[202:203]
	ds_read2_b64 v[202:205], v233 offset0:46 offset1:47
	v_add_f64 v[104:105], v[104:105], -v[124:125]
	v_mov_b64_e32 v[206:207], v[200:201]
	scratch_store_dwordx4 off, v[206:209], off offset:64 ; 16-byte Folded Spill
	s_waitcnt lgkmcnt(0)
	v_mul_f64 v[124:125], v[204:205], v[208:209]
	v_fma_f64 v[124:125], v[202:203], v[200:201], -v[124:125]
	v_mul_f64 v[202:203], v[202:203], v[208:209]
	v_fmac_f64_e32 v[202:203], v[204:205], v[200:201]
	v_add_f64 v[102:103], v[102:103], -v[202:203]
	ds_read2_b64 v[202:205], v233 offset0:48 offset1:49
	v_add_f64 v[100:101], v[100:101], -v[124:125]
	s_waitcnt lgkmcnt(0)
	v_mul_f64 v[124:125], v[204:205], v[208:209]
	v_fma_f64 v[124:125], v[202:203], v[200:201], -v[124:125]
	v_mul_f64 v[202:203], v[202:203], v[208:209]
	v_fmac_f64_e32 v[202:203], v[204:205], v[200:201]
	v_add_f64 v[98:99], v[98:99], -v[202:203]
	ds_read2_b64 v[202:205], v233 offset0:50 offset1:51
	v_add_f64 v[96:97], v[96:97], -v[124:125]
	;; [unrolled: 8-line block ×26, first 2 shown]
	s_waitcnt lgkmcnt(0)
	v_mul_f64 v[124:125], v[204:205], v[208:209]
	v_fma_f64 v[124:125], v[202:203], v[200:201], -v[124:125]
	v_mul_f64 v[202:203], v[202:203], v[208:209]
	v_fmac_f64_e32 v[202:203], v[204:205], v[200:201]
	v_add_f64 v[196:197], v[196:197], -v[124:125]
	v_mov_b64_e32 v[124:125], v[188:189]
	v_add_f64 v[198:199], v[198:199], -v[202:203]
.LBB99_163:
	s_or_b64 exec, exec, s[2:3]
	v_cmp_eq_u32_e32 vcc, 18, v234
	s_barrier
	s_and_saveexec_b64 s[4:5], vcc
	s_cbranch_execz .LBB99_170
; %bb.164:
	scratch_load_dwordx4 v[200:203], off, off offset:48 ; 16-byte Folded Reload
	s_waitcnt vmcnt(0)
	ds_write2_b64 v194, v[200:201], v[202:203] offset1:1
	scratch_load_dwordx4 v[200:203], off, off offset:32 ; 16-byte Folded Reload
	s_waitcnt vmcnt(0)
	ds_write2_b64 v233, v[200:201], v[202:203] offset0:38 offset1:39
	scratch_load_dwordx4 v[200:203], off, off offset:16 ; 16-byte Folded Reload
	s_waitcnt vmcnt(0)
	ds_write2_b64 v233, v[200:201], v[202:203] offset0:40 offset1:41
	scratch_load_dwordx4 v[200:203], off, off ; 16-byte Folded Reload
	s_waitcnt vmcnt(0)
	ds_write2_b64 v233, v[200:201], v[202:203] offset0:42 offset1:43
	ds_write2_b64 v233, v[104:105], v[106:107] offset0:44 offset1:45
	;; [unrolled: 1-line block ×29, first 2 shown]
	ds_read2_b64 v[200:203], v194 offset1:1
	s_waitcnt lgkmcnt(0)
	v_cmp_neq_f64_e32 vcc, 0, v[200:201]
	v_cmp_neq_f64_e64 s[2:3], 0, v[202:203]
	s_or_b64 s[2:3], vcc, s[2:3]
	s_and_b64 exec, exec, s[2:3]
	s_cbranch_execz .LBB99_170
; %bb.165:
	v_cmp_ngt_f64_e64 s[2:3], |v[200:201]|, |v[202:203]|
                                        ; implicit-def: $vgpr204_vgpr205
	s_and_saveexec_b64 s[10:11], s[2:3]
	s_xor_b64 s[2:3], exec, s[10:11]
                                        ; implicit-def: $vgpr206_vgpr207
	s_cbranch_execz .LBB99_167
; %bb.166:
	v_div_scale_f64 v[204:205], s[10:11], v[202:203], v[202:203], v[200:201]
	v_rcp_f64_e32 v[206:207], v[204:205]
	v_div_scale_f64 v[208:209], vcc, v[200:201], v[202:203], v[200:201]
	v_fma_f64 v[210:211], -v[204:205], v[206:207], 1.0
	v_fmac_f64_e32 v[206:207], v[206:207], v[210:211]
	v_fma_f64 v[210:211], -v[204:205], v[206:207], 1.0
	v_fmac_f64_e32 v[206:207], v[206:207], v[210:211]
	v_mul_f64 v[210:211], v[208:209], v[206:207]
	v_fma_f64 v[204:205], -v[204:205], v[210:211], v[208:209]
	v_div_fmas_f64 v[204:205], v[204:205], v[206:207], v[210:211]
	v_div_fixup_f64 v[204:205], v[204:205], v[202:203], v[200:201]
	v_fmac_f64_e32 v[202:203], v[200:201], v[204:205]
	v_div_scale_f64 v[200:201], s[10:11], v[202:203], v[202:203], 1.0
	v_rcp_f64_e32 v[206:207], v[200:201]
	s_nop 0
	v_fma_f64 v[208:209], -v[200:201], v[206:207], 1.0
	v_fmac_f64_e32 v[206:207], v[206:207], v[208:209]
	v_fma_f64 v[208:209], -v[200:201], v[206:207], 1.0
	v_fmac_f64_e32 v[206:207], v[206:207], v[208:209]
	v_div_scale_f64 v[208:209], vcc, 1.0, v[202:203], 1.0
	v_mul_f64 v[210:211], v[208:209], v[206:207]
	v_fma_f64 v[200:201], -v[200:201], v[210:211], v[208:209]
	s_nop 1
	v_div_fmas_f64 v[200:201], v[200:201], v[206:207], v[210:211]
	v_div_fixup_f64 v[206:207], v[200:201], v[202:203], 1.0
	v_mul_f64 v[204:205], v[204:205], v[206:207]
	v_xor_b32_e32 v207, 0x80000000, v207
                                        ; implicit-def: $vgpr200_vgpr201
.LBB99_167:
	s_andn2_saveexec_b64 s[2:3], s[2:3]
	s_cbranch_execz .LBB99_169
; %bb.168:
	v_div_scale_f64 v[204:205], s[10:11], v[200:201], v[200:201], v[202:203]
	v_rcp_f64_e32 v[206:207], v[204:205]
	v_div_scale_f64 v[208:209], vcc, v[202:203], v[200:201], v[202:203]
	v_fma_f64 v[210:211], -v[204:205], v[206:207], 1.0
	v_fmac_f64_e32 v[206:207], v[206:207], v[210:211]
	v_fma_f64 v[210:211], -v[204:205], v[206:207], 1.0
	v_fmac_f64_e32 v[206:207], v[206:207], v[210:211]
	v_mul_f64 v[210:211], v[208:209], v[206:207]
	v_fma_f64 v[204:205], -v[204:205], v[210:211], v[208:209]
	v_div_fmas_f64 v[204:205], v[204:205], v[206:207], v[210:211]
	v_div_fixup_f64 v[206:207], v[204:205], v[200:201], v[202:203]
	v_fmac_f64_e32 v[200:201], v[202:203], v[206:207]
	v_div_scale_f64 v[202:203], s[10:11], v[200:201], v[200:201], 1.0
	v_rcp_f64_e32 v[204:205], v[202:203]
	s_nop 0
	v_fma_f64 v[208:209], -v[202:203], v[204:205], 1.0
	v_fmac_f64_e32 v[204:205], v[204:205], v[208:209]
	v_fma_f64 v[208:209], -v[202:203], v[204:205], 1.0
	v_fmac_f64_e32 v[204:205], v[204:205], v[208:209]
	v_div_scale_f64 v[208:209], vcc, 1.0, v[200:201], 1.0
	v_mul_f64 v[210:211], v[208:209], v[204:205]
	v_fma_f64 v[202:203], -v[202:203], v[210:211], v[208:209]
	s_nop 1
	v_div_fmas_f64 v[202:203], v[202:203], v[204:205], v[210:211]
	v_div_fixup_f64 v[204:205], v[202:203], v[200:201], 1.0
	v_mul_f64 v[206:207], v[206:207], -v[204:205]
.LBB99_169:
	s_or_b64 exec, exec, s[2:3]
	ds_write2_b64 v194, v[204:205], v[206:207] offset1:1
.LBB99_170:
	s_or_b64 exec, exec, s[4:5]
	s_waitcnt lgkmcnt(0)
	s_barrier
	ds_read2_b64 v[200:203], v194 offset1:1
	v_cmp_lt_u32_e32 vcc, 18, v234
	s_waitcnt lgkmcnt(0)
	scratch_store_dwordx4 off, v[200:203], off offset:640 ; 16-byte Folded Spill
	s_and_saveexec_b64 s[2:3], vcc
	s_cbranch_execz .LBB99_172
; %bb.171:
	scratch_load_dwordx4 v[206:209], off, off offset:48 ; 16-byte Folded Reload
	scratch_load_dwordx4 v[202:205], off, off offset:640 ; 16-byte Folded Reload
	v_mov_b64_e32 v[188:189], v[120:121]
	s_waitcnt vmcnt(0)
	v_mul_f64 v[200:201], v[204:205], v[208:209]
	v_mul_f64 v[208:209], v[202:203], v[208:209]
	v_fma_f64 v[200:201], v[202:203], v[206:207], -v[200:201]
	v_fmac_f64_e32 v[208:209], v[204:205], v[206:207]
	ds_read2_b64 v[202:205], v233 offset0:38 offset1:39
	s_waitcnt lgkmcnt(0)
	v_mul_f64 v[120:121], v[204:205], v[208:209]
	v_fma_f64 v[120:121], v[202:203], v[200:201], -v[120:121]
	v_mul_f64 v[202:203], v[202:203], v[208:209]
	v_fmac_f64_e32 v[202:203], v[204:205], v[200:201]
	scratch_load_dwordx4 v[204:207], off, off offset:32 ; 16-byte Folded Reload
	s_waitcnt vmcnt(0)
	v_add_f64 v[204:205], v[204:205], -v[120:121]
	v_add_f64 v[206:207], v[206:207], -v[202:203]
	scratch_store_dwordx4 off, v[204:207], off offset:32 ; 16-byte Folded Spill
	ds_read2_b64 v[202:205], v233 offset0:40 offset1:41
	s_waitcnt lgkmcnt(0)
	v_mul_f64 v[120:121], v[204:205], v[208:209]
	v_fma_f64 v[120:121], v[202:203], v[200:201], -v[120:121]
	v_mul_f64 v[202:203], v[202:203], v[208:209]
	v_fmac_f64_e32 v[202:203], v[204:205], v[200:201]
	scratch_load_dwordx4 v[204:207], off, off offset:16 ; 16-byte Folded Reload
	s_waitcnt vmcnt(0)
	v_add_f64 v[204:205], v[204:205], -v[120:121]
	v_add_f64 v[206:207], v[206:207], -v[202:203]
	scratch_store_dwordx4 off, v[204:207], off offset:16 ; 16-byte Folded Spill
	ds_read2_b64 v[202:205], v233 offset0:42 offset1:43
	s_waitcnt lgkmcnt(0)
	v_mul_f64 v[120:121], v[204:205], v[208:209]
	v_fma_f64 v[120:121], v[202:203], v[200:201], -v[120:121]
	v_mul_f64 v[202:203], v[202:203], v[208:209]
	v_fmac_f64_e32 v[202:203], v[204:205], v[200:201]
	scratch_load_dwordx4 v[204:207], off, off ; 16-byte Folded Reload
	s_waitcnt vmcnt(0)
	v_add_f64 v[204:205], v[204:205], -v[120:121]
	v_add_f64 v[206:207], v[206:207], -v[202:203]
	scratch_store_dwordx4 off, v[204:207], off ; 16-byte Folded Spill
	ds_read2_b64 v[202:205], v233 offset0:44 offset1:45
	s_waitcnt lgkmcnt(0)
	v_mul_f64 v[120:121], v[204:205], v[208:209]
	v_fma_f64 v[120:121], v[202:203], v[200:201], -v[120:121]
	v_mul_f64 v[202:203], v[202:203], v[208:209]
	v_fmac_f64_e32 v[202:203], v[204:205], v[200:201]
	v_add_f64 v[106:107], v[106:107], -v[202:203]
	ds_read2_b64 v[202:205], v233 offset0:46 offset1:47
	v_add_f64 v[104:105], v[104:105], -v[120:121]
	v_mov_b64_e32 v[206:207], v[200:201]
	scratch_store_dwordx4 off, v[206:209], off offset:48 ; 16-byte Folded Spill
	s_waitcnt lgkmcnt(0)
	v_mul_f64 v[120:121], v[204:205], v[208:209]
	v_fma_f64 v[120:121], v[202:203], v[200:201], -v[120:121]
	v_mul_f64 v[202:203], v[202:203], v[208:209]
	v_fmac_f64_e32 v[202:203], v[204:205], v[200:201]
	v_add_f64 v[102:103], v[102:103], -v[202:203]
	ds_read2_b64 v[202:205], v233 offset0:48 offset1:49
	v_add_f64 v[100:101], v[100:101], -v[120:121]
	s_waitcnt lgkmcnt(0)
	v_mul_f64 v[120:121], v[204:205], v[208:209]
	v_fma_f64 v[120:121], v[202:203], v[200:201], -v[120:121]
	v_mul_f64 v[202:203], v[202:203], v[208:209]
	v_fmac_f64_e32 v[202:203], v[204:205], v[200:201]
	v_add_f64 v[98:99], v[98:99], -v[202:203]
	ds_read2_b64 v[202:205], v233 offset0:50 offset1:51
	v_add_f64 v[96:97], v[96:97], -v[120:121]
	;; [unrolled: 8-line block ×26, first 2 shown]
	s_waitcnt lgkmcnt(0)
	v_mul_f64 v[120:121], v[204:205], v[208:209]
	v_fma_f64 v[120:121], v[202:203], v[200:201], -v[120:121]
	v_mul_f64 v[202:203], v[202:203], v[208:209]
	v_fmac_f64_e32 v[202:203], v[204:205], v[200:201]
	v_add_f64 v[196:197], v[196:197], -v[120:121]
	v_mov_b64_e32 v[120:121], v[188:189]
	v_add_f64 v[198:199], v[198:199], -v[202:203]
.LBB99_172:
	s_or_b64 exec, exec, s[2:3]
	v_cmp_eq_u32_e32 vcc, 19, v234
	s_barrier
	s_and_saveexec_b64 s[4:5], vcc
	s_cbranch_execz .LBB99_179
; %bb.173:
	scratch_load_dwordx4 v[200:203], off, off offset:32 ; 16-byte Folded Reload
	s_waitcnt vmcnt(0)
	ds_write2_b64 v194, v[200:201], v[202:203] offset1:1
	scratch_load_dwordx4 v[200:203], off, off offset:16 ; 16-byte Folded Reload
	s_waitcnt vmcnt(0)
	ds_write2_b64 v233, v[200:201], v[202:203] offset0:40 offset1:41
	scratch_load_dwordx4 v[200:203], off, off ; 16-byte Folded Reload
	s_waitcnt vmcnt(0)
	ds_write2_b64 v233, v[200:201], v[202:203] offset0:42 offset1:43
	ds_write2_b64 v233, v[104:105], v[106:107] offset0:44 offset1:45
	;; [unrolled: 1-line block ×29, first 2 shown]
	ds_read2_b64 v[200:203], v194 offset1:1
	s_waitcnt lgkmcnt(0)
	v_cmp_neq_f64_e32 vcc, 0, v[200:201]
	v_cmp_neq_f64_e64 s[2:3], 0, v[202:203]
	s_or_b64 s[2:3], vcc, s[2:3]
	s_and_b64 exec, exec, s[2:3]
	s_cbranch_execz .LBB99_179
; %bb.174:
	v_cmp_ngt_f64_e64 s[2:3], |v[200:201]|, |v[202:203]|
                                        ; implicit-def: $vgpr204_vgpr205
	s_and_saveexec_b64 s[10:11], s[2:3]
	s_xor_b64 s[2:3], exec, s[10:11]
                                        ; implicit-def: $vgpr206_vgpr207
	s_cbranch_execz .LBB99_176
; %bb.175:
	v_div_scale_f64 v[204:205], s[10:11], v[202:203], v[202:203], v[200:201]
	v_rcp_f64_e32 v[206:207], v[204:205]
	v_div_scale_f64 v[208:209], vcc, v[200:201], v[202:203], v[200:201]
	v_fma_f64 v[210:211], -v[204:205], v[206:207], 1.0
	v_fmac_f64_e32 v[206:207], v[206:207], v[210:211]
	v_fma_f64 v[210:211], -v[204:205], v[206:207], 1.0
	v_fmac_f64_e32 v[206:207], v[206:207], v[210:211]
	v_mul_f64 v[210:211], v[208:209], v[206:207]
	v_fma_f64 v[204:205], -v[204:205], v[210:211], v[208:209]
	v_div_fmas_f64 v[204:205], v[204:205], v[206:207], v[210:211]
	v_div_fixup_f64 v[204:205], v[204:205], v[202:203], v[200:201]
	v_fmac_f64_e32 v[202:203], v[200:201], v[204:205]
	v_div_scale_f64 v[200:201], s[10:11], v[202:203], v[202:203], 1.0
	v_rcp_f64_e32 v[206:207], v[200:201]
	s_nop 0
	v_fma_f64 v[208:209], -v[200:201], v[206:207], 1.0
	v_fmac_f64_e32 v[206:207], v[206:207], v[208:209]
	v_fma_f64 v[208:209], -v[200:201], v[206:207], 1.0
	v_fmac_f64_e32 v[206:207], v[206:207], v[208:209]
	v_div_scale_f64 v[208:209], vcc, 1.0, v[202:203], 1.0
	v_mul_f64 v[210:211], v[208:209], v[206:207]
	v_fma_f64 v[200:201], -v[200:201], v[210:211], v[208:209]
	s_nop 1
	v_div_fmas_f64 v[200:201], v[200:201], v[206:207], v[210:211]
	v_div_fixup_f64 v[206:207], v[200:201], v[202:203], 1.0
	v_mul_f64 v[204:205], v[204:205], v[206:207]
	v_xor_b32_e32 v207, 0x80000000, v207
                                        ; implicit-def: $vgpr200_vgpr201
.LBB99_176:
	s_andn2_saveexec_b64 s[2:3], s[2:3]
	s_cbranch_execz .LBB99_178
; %bb.177:
	v_div_scale_f64 v[204:205], s[10:11], v[200:201], v[200:201], v[202:203]
	v_rcp_f64_e32 v[206:207], v[204:205]
	v_div_scale_f64 v[208:209], vcc, v[202:203], v[200:201], v[202:203]
	v_fma_f64 v[210:211], -v[204:205], v[206:207], 1.0
	v_fmac_f64_e32 v[206:207], v[206:207], v[210:211]
	v_fma_f64 v[210:211], -v[204:205], v[206:207], 1.0
	v_fmac_f64_e32 v[206:207], v[206:207], v[210:211]
	v_mul_f64 v[210:211], v[208:209], v[206:207]
	v_fma_f64 v[204:205], -v[204:205], v[210:211], v[208:209]
	v_div_fmas_f64 v[204:205], v[204:205], v[206:207], v[210:211]
	v_div_fixup_f64 v[206:207], v[204:205], v[200:201], v[202:203]
	v_fmac_f64_e32 v[200:201], v[202:203], v[206:207]
	v_div_scale_f64 v[202:203], s[10:11], v[200:201], v[200:201], 1.0
	v_rcp_f64_e32 v[204:205], v[202:203]
	s_nop 0
	v_fma_f64 v[208:209], -v[202:203], v[204:205], 1.0
	v_fmac_f64_e32 v[204:205], v[204:205], v[208:209]
	v_fma_f64 v[208:209], -v[202:203], v[204:205], 1.0
	v_fmac_f64_e32 v[204:205], v[204:205], v[208:209]
	v_div_scale_f64 v[208:209], vcc, 1.0, v[200:201], 1.0
	v_mul_f64 v[210:211], v[208:209], v[204:205]
	v_fma_f64 v[202:203], -v[202:203], v[210:211], v[208:209]
	s_nop 1
	v_div_fmas_f64 v[202:203], v[202:203], v[204:205], v[210:211]
	v_div_fixup_f64 v[204:205], v[202:203], v[200:201], 1.0
	v_mul_f64 v[206:207], v[206:207], -v[204:205]
.LBB99_178:
	s_or_b64 exec, exec, s[2:3]
	ds_write2_b64 v194, v[204:205], v[206:207] offset1:1
.LBB99_179:
	s_or_b64 exec, exec, s[4:5]
	s_waitcnt lgkmcnt(0)
	s_barrier
	ds_read2_b64 v[200:203], v194 offset1:1
	v_cmp_lt_u32_e32 vcc, 19, v234
	s_waitcnt lgkmcnt(0)
	scratch_store_dwordx4 off, v[200:203], off offset:656 ; 16-byte Folded Spill
	s_and_saveexec_b64 s[2:3], vcc
	s_cbranch_execz .LBB99_181
; %bb.180:
	scratch_load_dwordx4 v[206:209], off, off offset:32 ; 16-byte Folded Reload
	scratch_load_dwordx4 v[202:205], off, off offset:656 ; 16-byte Folded Reload
	v_mov_b64_e32 v[188:189], v[116:117]
	s_waitcnt vmcnt(0)
	v_mul_f64 v[200:201], v[204:205], v[208:209]
	v_mul_f64 v[208:209], v[202:203], v[208:209]
	v_fma_f64 v[200:201], v[202:203], v[206:207], -v[200:201]
	v_fmac_f64_e32 v[208:209], v[204:205], v[206:207]
	ds_read2_b64 v[202:205], v233 offset0:40 offset1:41
	s_waitcnt lgkmcnt(0)
	v_mul_f64 v[116:117], v[204:205], v[208:209]
	v_fma_f64 v[116:117], v[202:203], v[200:201], -v[116:117]
	v_mul_f64 v[202:203], v[202:203], v[208:209]
	v_fmac_f64_e32 v[202:203], v[204:205], v[200:201]
	scratch_load_dwordx4 v[204:207], off, off offset:16 ; 16-byte Folded Reload
	s_waitcnt vmcnt(0)
	v_add_f64 v[204:205], v[204:205], -v[116:117]
	v_add_f64 v[206:207], v[206:207], -v[202:203]
	scratch_store_dwordx4 off, v[204:207], off offset:16 ; 16-byte Folded Spill
	ds_read2_b64 v[202:205], v233 offset0:42 offset1:43
	s_waitcnt lgkmcnt(0)
	v_mul_f64 v[116:117], v[204:205], v[208:209]
	v_fma_f64 v[116:117], v[202:203], v[200:201], -v[116:117]
	v_mul_f64 v[202:203], v[202:203], v[208:209]
	v_fmac_f64_e32 v[202:203], v[204:205], v[200:201]
	scratch_load_dwordx4 v[204:207], off, off ; 16-byte Folded Reload
	s_waitcnt vmcnt(0)
	v_add_f64 v[204:205], v[204:205], -v[116:117]
	v_add_f64 v[206:207], v[206:207], -v[202:203]
	scratch_store_dwordx4 off, v[204:207], off ; 16-byte Folded Spill
	ds_read2_b64 v[202:205], v233 offset0:44 offset1:45
	s_waitcnt lgkmcnt(0)
	v_mul_f64 v[116:117], v[204:205], v[208:209]
	v_fma_f64 v[116:117], v[202:203], v[200:201], -v[116:117]
	v_mul_f64 v[202:203], v[202:203], v[208:209]
	v_fmac_f64_e32 v[202:203], v[204:205], v[200:201]
	v_add_f64 v[106:107], v[106:107], -v[202:203]
	ds_read2_b64 v[202:205], v233 offset0:46 offset1:47
	v_add_f64 v[104:105], v[104:105], -v[116:117]
	v_mov_b64_e32 v[206:207], v[200:201]
	scratch_store_dwordx4 off, v[206:209], off offset:32 ; 16-byte Folded Spill
	s_waitcnt lgkmcnt(0)
	v_mul_f64 v[116:117], v[204:205], v[208:209]
	v_fma_f64 v[116:117], v[202:203], v[200:201], -v[116:117]
	v_mul_f64 v[202:203], v[202:203], v[208:209]
	v_fmac_f64_e32 v[202:203], v[204:205], v[200:201]
	v_add_f64 v[102:103], v[102:103], -v[202:203]
	ds_read2_b64 v[202:205], v233 offset0:48 offset1:49
	v_add_f64 v[100:101], v[100:101], -v[116:117]
	s_waitcnt lgkmcnt(0)
	v_mul_f64 v[116:117], v[204:205], v[208:209]
	v_fma_f64 v[116:117], v[202:203], v[200:201], -v[116:117]
	v_mul_f64 v[202:203], v[202:203], v[208:209]
	v_fmac_f64_e32 v[202:203], v[204:205], v[200:201]
	v_add_f64 v[98:99], v[98:99], -v[202:203]
	ds_read2_b64 v[202:205], v233 offset0:50 offset1:51
	v_add_f64 v[96:97], v[96:97], -v[116:117]
	;; [unrolled: 8-line block ×26, first 2 shown]
	s_waitcnt lgkmcnt(0)
	v_mul_f64 v[116:117], v[204:205], v[208:209]
	v_fma_f64 v[116:117], v[202:203], v[200:201], -v[116:117]
	v_mul_f64 v[202:203], v[202:203], v[208:209]
	v_fmac_f64_e32 v[202:203], v[204:205], v[200:201]
	v_add_f64 v[196:197], v[196:197], -v[116:117]
	v_mov_b64_e32 v[116:117], v[188:189]
	v_add_f64 v[198:199], v[198:199], -v[202:203]
.LBB99_181:
	s_or_b64 exec, exec, s[2:3]
	v_cmp_eq_u32_e32 vcc, 20, v234
	s_barrier
	s_and_saveexec_b64 s[4:5], vcc
	s_cbranch_execz .LBB99_188
; %bb.182:
	scratch_load_dwordx4 v[200:203], off, off offset:16 ; 16-byte Folded Reload
	s_waitcnt vmcnt(0)
	ds_write2_b64 v194, v[200:201], v[202:203] offset1:1
	scratch_load_dwordx4 v[200:203], off, off ; 16-byte Folded Reload
	s_waitcnt vmcnt(0)
	ds_write2_b64 v233, v[200:201], v[202:203] offset0:42 offset1:43
	ds_write2_b64 v233, v[104:105], v[106:107] offset0:44 offset1:45
	;; [unrolled: 1-line block ×29, first 2 shown]
	ds_read2_b64 v[200:203], v194 offset1:1
	s_waitcnt lgkmcnt(0)
	v_cmp_neq_f64_e32 vcc, 0, v[200:201]
	v_cmp_neq_f64_e64 s[2:3], 0, v[202:203]
	s_or_b64 s[2:3], vcc, s[2:3]
	s_and_b64 exec, exec, s[2:3]
	s_cbranch_execz .LBB99_188
; %bb.183:
	v_cmp_ngt_f64_e64 s[2:3], |v[200:201]|, |v[202:203]|
                                        ; implicit-def: $vgpr204_vgpr205
	s_and_saveexec_b64 s[10:11], s[2:3]
	s_xor_b64 s[2:3], exec, s[10:11]
                                        ; implicit-def: $vgpr206_vgpr207
	s_cbranch_execz .LBB99_185
; %bb.184:
	v_div_scale_f64 v[204:205], s[10:11], v[202:203], v[202:203], v[200:201]
	v_rcp_f64_e32 v[206:207], v[204:205]
	v_div_scale_f64 v[208:209], vcc, v[200:201], v[202:203], v[200:201]
	v_fma_f64 v[210:211], -v[204:205], v[206:207], 1.0
	v_fmac_f64_e32 v[206:207], v[206:207], v[210:211]
	v_fma_f64 v[210:211], -v[204:205], v[206:207], 1.0
	v_fmac_f64_e32 v[206:207], v[206:207], v[210:211]
	v_mul_f64 v[210:211], v[208:209], v[206:207]
	v_fma_f64 v[204:205], -v[204:205], v[210:211], v[208:209]
	v_div_fmas_f64 v[204:205], v[204:205], v[206:207], v[210:211]
	v_div_fixup_f64 v[204:205], v[204:205], v[202:203], v[200:201]
	v_fmac_f64_e32 v[202:203], v[200:201], v[204:205]
	v_div_scale_f64 v[200:201], s[10:11], v[202:203], v[202:203], 1.0
	v_rcp_f64_e32 v[206:207], v[200:201]
	s_nop 0
	v_fma_f64 v[208:209], -v[200:201], v[206:207], 1.0
	v_fmac_f64_e32 v[206:207], v[206:207], v[208:209]
	v_fma_f64 v[208:209], -v[200:201], v[206:207], 1.0
	v_fmac_f64_e32 v[206:207], v[206:207], v[208:209]
	v_div_scale_f64 v[208:209], vcc, 1.0, v[202:203], 1.0
	v_mul_f64 v[210:211], v[208:209], v[206:207]
	v_fma_f64 v[200:201], -v[200:201], v[210:211], v[208:209]
	s_nop 1
	v_div_fmas_f64 v[200:201], v[200:201], v[206:207], v[210:211]
	v_div_fixup_f64 v[206:207], v[200:201], v[202:203], 1.0
	v_mul_f64 v[204:205], v[204:205], v[206:207]
	v_xor_b32_e32 v207, 0x80000000, v207
                                        ; implicit-def: $vgpr200_vgpr201
.LBB99_185:
	s_andn2_saveexec_b64 s[2:3], s[2:3]
	s_cbranch_execz .LBB99_187
; %bb.186:
	v_div_scale_f64 v[204:205], s[10:11], v[200:201], v[200:201], v[202:203]
	v_rcp_f64_e32 v[206:207], v[204:205]
	v_div_scale_f64 v[208:209], vcc, v[202:203], v[200:201], v[202:203]
	v_fma_f64 v[210:211], -v[204:205], v[206:207], 1.0
	v_fmac_f64_e32 v[206:207], v[206:207], v[210:211]
	v_fma_f64 v[210:211], -v[204:205], v[206:207], 1.0
	v_fmac_f64_e32 v[206:207], v[206:207], v[210:211]
	v_mul_f64 v[210:211], v[208:209], v[206:207]
	v_fma_f64 v[204:205], -v[204:205], v[210:211], v[208:209]
	v_div_fmas_f64 v[204:205], v[204:205], v[206:207], v[210:211]
	v_div_fixup_f64 v[206:207], v[204:205], v[200:201], v[202:203]
	v_fmac_f64_e32 v[200:201], v[202:203], v[206:207]
	v_div_scale_f64 v[202:203], s[10:11], v[200:201], v[200:201], 1.0
	v_rcp_f64_e32 v[204:205], v[202:203]
	s_nop 0
	v_fma_f64 v[208:209], -v[202:203], v[204:205], 1.0
	v_fmac_f64_e32 v[204:205], v[204:205], v[208:209]
	v_fma_f64 v[208:209], -v[202:203], v[204:205], 1.0
	v_fmac_f64_e32 v[204:205], v[204:205], v[208:209]
	v_div_scale_f64 v[208:209], vcc, 1.0, v[200:201], 1.0
	v_mul_f64 v[210:211], v[208:209], v[204:205]
	v_fma_f64 v[202:203], -v[202:203], v[210:211], v[208:209]
	s_nop 1
	v_div_fmas_f64 v[202:203], v[202:203], v[204:205], v[210:211]
	v_div_fixup_f64 v[204:205], v[202:203], v[200:201], 1.0
	v_mul_f64 v[206:207], v[206:207], -v[204:205]
.LBB99_187:
	s_or_b64 exec, exec, s[2:3]
	ds_write2_b64 v194, v[204:205], v[206:207] offset1:1
.LBB99_188:
	s_or_b64 exec, exec, s[4:5]
	s_waitcnt lgkmcnt(0)
	s_barrier
	ds_read2_b64 v[200:203], v194 offset1:1
	v_cmp_lt_u32_e32 vcc, 20, v234
	s_waitcnt lgkmcnt(0)
	scratch_store_dwordx4 off, v[200:203], off offset:672 ; 16-byte Folded Spill
	s_and_saveexec_b64 s[2:3], vcc
	s_cbranch_execz .LBB99_190
; %bb.189:
	scratch_load_dwordx4 v[206:209], off, off offset:16 ; 16-byte Folded Reload
	scratch_load_dwordx4 v[202:205], off, off offset:672 ; 16-byte Folded Reload
	v_mov_b64_e32 v[188:189], v[112:113]
	s_waitcnt vmcnt(0)
	v_mul_f64 v[200:201], v[204:205], v[208:209]
	v_mul_f64 v[208:209], v[202:203], v[208:209]
	v_fma_f64 v[200:201], v[202:203], v[206:207], -v[200:201]
	v_fmac_f64_e32 v[208:209], v[204:205], v[206:207]
	ds_read2_b64 v[202:205], v233 offset0:42 offset1:43
	s_waitcnt lgkmcnt(0)
	v_mul_f64 v[112:113], v[204:205], v[208:209]
	v_fma_f64 v[112:113], v[202:203], v[200:201], -v[112:113]
	v_mul_f64 v[202:203], v[202:203], v[208:209]
	v_fmac_f64_e32 v[202:203], v[204:205], v[200:201]
	scratch_load_dwordx4 v[204:207], off, off ; 16-byte Folded Reload
	s_waitcnt vmcnt(0)
	v_add_f64 v[204:205], v[204:205], -v[112:113]
	v_add_f64 v[206:207], v[206:207], -v[202:203]
	scratch_store_dwordx4 off, v[204:207], off ; 16-byte Folded Spill
	ds_read2_b64 v[202:205], v233 offset0:44 offset1:45
	s_waitcnt lgkmcnt(0)
	v_mul_f64 v[112:113], v[204:205], v[208:209]
	v_fma_f64 v[112:113], v[202:203], v[200:201], -v[112:113]
	v_mul_f64 v[202:203], v[202:203], v[208:209]
	v_fmac_f64_e32 v[202:203], v[204:205], v[200:201]
	v_add_f64 v[106:107], v[106:107], -v[202:203]
	ds_read2_b64 v[202:205], v233 offset0:46 offset1:47
	v_add_f64 v[104:105], v[104:105], -v[112:113]
	v_mov_b64_e32 v[206:207], v[200:201]
	scratch_store_dwordx4 off, v[206:209], off offset:16 ; 16-byte Folded Spill
	s_waitcnt lgkmcnt(0)
	v_mul_f64 v[112:113], v[204:205], v[208:209]
	v_fma_f64 v[112:113], v[202:203], v[200:201], -v[112:113]
	v_mul_f64 v[202:203], v[202:203], v[208:209]
	v_fmac_f64_e32 v[202:203], v[204:205], v[200:201]
	v_add_f64 v[102:103], v[102:103], -v[202:203]
	ds_read2_b64 v[202:205], v233 offset0:48 offset1:49
	v_add_f64 v[100:101], v[100:101], -v[112:113]
	s_waitcnt lgkmcnt(0)
	v_mul_f64 v[112:113], v[204:205], v[208:209]
	v_fma_f64 v[112:113], v[202:203], v[200:201], -v[112:113]
	v_mul_f64 v[202:203], v[202:203], v[208:209]
	v_fmac_f64_e32 v[202:203], v[204:205], v[200:201]
	v_add_f64 v[98:99], v[98:99], -v[202:203]
	ds_read2_b64 v[202:205], v233 offset0:50 offset1:51
	v_add_f64 v[96:97], v[96:97], -v[112:113]
	;; [unrolled: 8-line block ×26, first 2 shown]
	s_waitcnt lgkmcnt(0)
	v_mul_f64 v[112:113], v[204:205], v[208:209]
	v_fma_f64 v[112:113], v[202:203], v[200:201], -v[112:113]
	v_mul_f64 v[202:203], v[202:203], v[208:209]
	v_fmac_f64_e32 v[202:203], v[204:205], v[200:201]
	v_add_f64 v[196:197], v[196:197], -v[112:113]
	v_mov_b64_e32 v[112:113], v[188:189]
	v_add_f64 v[198:199], v[198:199], -v[202:203]
.LBB99_190:
	s_or_b64 exec, exec, s[2:3]
	v_cmp_eq_u32_e32 vcc, 21, v234
	s_barrier
	s_and_saveexec_b64 s[4:5], vcc
	s_cbranch_execz .LBB99_197
; %bb.191:
	scratch_load_dwordx4 v[200:203], off, off ; 16-byte Folded Reload
	s_waitcnt vmcnt(0)
	ds_write2_b64 v194, v[200:201], v[202:203] offset1:1
	ds_write2_b64 v233, v[104:105], v[106:107] offset0:44 offset1:45
	ds_write2_b64 v233, v[100:101], v[102:103] offset0:46 offset1:47
	;; [unrolled: 1-line block ×28, first 2 shown]
	ds_read2_b64 v[200:203], v194 offset1:1
	s_waitcnt lgkmcnt(0)
	v_cmp_neq_f64_e32 vcc, 0, v[200:201]
	v_cmp_neq_f64_e64 s[2:3], 0, v[202:203]
	s_or_b64 s[2:3], vcc, s[2:3]
	s_and_b64 exec, exec, s[2:3]
	s_cbranch_execz .LBB99_197
; %bb.192:
	v_cmp_ngt_f64_e64 s[2:3], |v[200:201]|, |v[202:203]|
                                        ; implicit-def: $vgpr204_vgpr205
	s_and_saveexec_b64 s[10:11], s[2:3]
	s_xor_b64 s[2:3], exec, s[10:11]
                                        ; implicit-def: $vgpr206_vgpr207
	s_cbranch_execz .LBB99_194
; %bb.193:
	v_div_scale_f64 v[204:205], s[10:11], v[202:203], v[202:203], v[200:201]
	v_rcp_f64_e32 v[206:207], v[204:205]
	v_div_scale_f64 v[208:209], vcc, v[200:201], v[202:203], v[200:201]
	v_fma_f64 v[210:211], -v[204:205], v[206:207], 1.0
	v_fmac_f64_e32 v[206:207], v[206:207], v[210:211]
	v_fma_f64 v[210:211], -v[204:205], v[206:207], 1.0
	v_fmac_f64_e32 v[206:207], v[206:207], v[210:211]
	v_mul_f64 v[210:211], v[208:209], v[206:207]
	v_fma_f64 v[204:205], -v[204:205], v[210:211], v[208:209]
	v_div_fmas_f64 v[204:205], v[204:205], v[206:207], v[210:211]
	v_div_fixup_f64 v[204:205], v[204:205], v[202:203], v[200:201]
	v_fmac_f64_e32 v[202:203], v[200:201], v[204:205]
	v_div_scale_f64 v[200:201], s[10:11], v[202:203], v[202:203], 1.0
	v_rcp_f64_e32 v[206:207], v[200:201]
	s_nop 0
	v_fma_f64 v[208:209], -v[200:201], v[206:207], 1.0
	v_fmac_f64_e32 v[206:207], v[206:207], v[208:209]
	v_fma_f64 v[208:209], -v[200:201], v[206:207], 1.0
	v_fmac_f64_e32 v[206:207], v[206:207], v[208:209]
	v_div_scale_f64 v[208:209], vcc, 1.0, v[202:203], 1.0
	v_mul_f64 v[210:211], v[208:209], v[206:207]
	v_fma_f64 v[200:201], -v[200:201], v[210:211], v[208:209]
	s_nop 1
	v_div_fmas_f64 v[200:201], v[200:201], v[206:207], v[210:211]
	v_div_fixup_f64 v[206:207], v[200:201], v[202:203], 1.0
	v_mul_f64 v[204:205], v[204:205], v[206:207]
	v_xor_b32_e32 v207, 0x80000000, v207
                                        ; implicit-def: $vgpr200_vgpr201
.LBB99_194:
	s_andn2_saveexec_b64 s[2:3], s[2:3]
	s_cbranch_execz .LBB99_196
; %bb.195:
	v_div_scale_f64 v[204:205], s[10:11], v[200:201], v[200:201], v[202:203]
	v_rcp_f64_e32 v[206:207], v[204:205]
	v_div_scale_f64 v[208:209], vcc, v[202:203], v[200:201], v[202:203]
	v_fma_f64 v[210:211], -v[204:205], v[206:207], 1.0
	v_fmac_f64_e32 v[206:207], v[206:207], v[210:211]
	v_fma_f64 v[210:211], -v[204:205], v[206:207], 1.0
	v_fmac_f64_e32 v[206:207], v[206:207], v[210:211]
	v_mul_f64 v[210:211], v[208:209], v[206:207]
	v_fma_f64 v[204:205], -v[204:205], v[210:211], v[208:209]
	v_div_fmas_f64 v[204:205], v[204:205], v[206:207], v[210:211]
	v_div_fixup_f64 v[206:207], v[204:205], v[200:201], v[202:203]
	v_fmac_f64_e32 v[200:201], v[202:203], v[206:207]
	v_div_scale_f64 v[202:203], s[10:11], v[200:201], v[200:201], 1.0
	v_rcp_f64_e32 v[204:205], v[202:203]
	s_nop 0
	v_fma_f64 v[208:209], -v[202:203], v[204:205], 1.0
	v_fmac_f64_e32 v[204:205], v[204:205], v[208:209]
	v_fma_f64 v[208:209], -v[202:203], v[204:205], 1.0
	v_fmac_f64_e32 v[204:205], v[204:205], v[208:209]
	v_div_scale_f64 v[208:209], vcc, 1.0, v[200:201], 1.0
	v_mul_f64 v[210:211], v[208:209], v[204:205]
	v_fma_f64 v[202:203], -v[202:203], v[210:211], v[208:209]
	s_nop 1
	v_div_fmas_f64 v[202:203], v[202:203], v[204:205], v[210:211]
	v_div_fixup_f64 v[204:205], v[202:203], v[200:201], 1.0
	v_mul_f64 v[206:207], v[206:207], -v[204:205]
.LBB99_196:
	s_or_b64 exec, exec, s[2:3]
	ds_write2_b64 v194, v[204:205], v[206:207] offset1:1
.LBB99_197:
	s_or_b64 exec, exec, s[4:5]
	s_waitcnt lgkmcnt(0)
	s_barrier
	ds_read2_b64 v[200:203], v194 offset1:1
	v_cmp_lt_u32_e32 vcc, 21, v234
	s_waitcnt lgkmcnt(0)
	scratch_store_dwordx4 off, v[200:203], off offset:688 ; 16-byte Folded Spill
	s_and_saveexec_b64 s[2:3], vcc
	s_cbranch_execz .LBB99_199
; %bb.198:
	scratch_load_dwordx4 v[204:207], off, off ; 16-byte Folded Reload
	scratch_load_dwordx4 v[208:211], off, off offset:688 ; 16-byte Folded Reload
	v_mov_b64_e32 v[188:189], v[108:109]
	s_waitcnt vmcnt(0)
	v_mul_f64 v[200:201], v[210:211], v[206:207]
	v_mul_f64 v[206:207], v[208:209], v[206:207]
	v_fma_f64 v[200:201], v[208:209], v[204:205], -v[200:201]
	v_fmac_f64_e32 v[206:207], v[210:211], v[204:205]
	ds_read2_b64 v[202:205], v233 offset0:44 offset1:45
	s_waitcnt lgkmcnt(0)
	v_mul_f64 v[108:109], v[204:205], v[206:207]
	v_fma_f64 v[108:109], v[202:203], v[200:201], -v[108:109]
	v_mul_f64 v[202:203], v[202:203], v[206:207]
	v_fmac_f64_e32 v[202:203], v[204:205], v[200:201]
	v_add_f64 v[106:107], v[106:107], -v[202:203]
	ds_read2_b64 v[202:205], v233 offset0:46 offset1:47
	v_add_f64 v[104:105], v[104:105], -v[108:109]
	s_waitcnt lgkmcnt(0)
	v_mul_f64 v[108:109], v[204:205], v[206:207]
	v_fma_f64 v[108:109], v[202:203], v[200:201], -v[108:109]
	v_mul_f64 v[202:203], v[202:203], v[206:207]
	v_fmac_f64_e32 v[202:203], v[204:205], v[200:201]
	v_add_f64 v[102:103], v[102:103], -v[202:203]
	ds_read2_b64 v[202:205], v233 offset0:48 offset1:49
	v_add_f64 v[100:101], v[100:101], -v[108:109]
	s_waitcnt lgkmcnt(0)
	v_mul_f64 v[108:109], v[204:205], v[206:207]
	v_fma_f64 v[108:109], v[202:203], v[200:201], -v[108:109]
	v_mul_f64 v[202:203], v[202:203], v[206:207]
	v_fmac_f64_e32 v[202:203], v[204:205], v[200:201]
	v_add_f64 v[98:99], v[98:99], -v[202:203]
	ds_read2_b64 v[202:205], v233 offset0:50 offset1:51
	v_add_f64 v[96:97], v[96:97], -v[108:109]
	s_waitcnt lgkmcnt(0)
	v_mul_f64 v[108:109], v[204:205], v[206:207]
	v_fma_f64 v[108:109], v[202:203], v[200:201], -v[108:109]
	v_mul_f64 v[202:203], v[202:203], v[206:207]
	v_fmac_f64_e32 v[202:203], v[204:205], v[200:201]
	v_add_f64 v[94:95], v[94:95], -v[202:203]
	ds_read2_b64 v[202:205], v233 offset0:52 offset1:53
	v_add_f64 v[92:93], v[92:93], -v[108:109]
	s_waitcnt lgkmcnt(0)
	v_mul_f64 v[108:109], v[204:205], v[206:207]
	v_fma_f64 v[108:109], v[202:203], v[200:201], -v[108:109]
	v_mul_f64 v[202:203], v[202:203], v[206:207]
	v_fmac_f64_e32 v[202:203], v[204:205], v[200:201]
	v_add_f64 v[90:91], v[90:91], -v[202:203]
	ds_read2_b64 v[202:205], v233 offset0:54 offset1:55
	v_add_f64 v[88:89], v[88:89], -v[108:109]
	s_waitcnt lgkmcnt(0)
	v_mul_f64 v[108:109], v[204:205], v[206:207]
	v_fma_f64 v[108:109], v[202:203], v[200:201], -v[108:109]
	v_mul_f64 v[202:203], v[202:203], v[206:207]
	v_fmac_f64_e32 v[202:203], v[204:205], v[200:201]
	v_add_f64 v[86:87], v[86:87], -v[202:203]
	ds_read2_b64 v[202:205], v233 offset0:56 offset1:57
	v_add_f64 v[84:85], v[84:85], -v[108:109]
	s_waitcnt lgkmcnt(0)
	v_mul_f64 v[108:109], v[204:205], v[206:207]
	v_fma_f64 v[108:109], v[202:203], v[200:201], -v[108:109]
	v_mul_f64 v[202:203], v[202:203], v[206:207]
	v_fmac_f64_e32 v[202:203], v[204:205], v[200:201]
	v_add_f64 v[82:83], v[82:83], -v[202:203]
	ds_read2_b64 v[202:205], v233 offset0:58 offset1:59
	v_add_f64 v[80:81], v[80:81], -v[108:109]
	s_waitcnt lgkmcnt(0)
	v_mul_f64 v[108:109], v[204:205], v[206:207]
	v_fma_f64 v[108:109], v[202:203], v[200:201], -v[108:109]
	v_mul_f64 v[202:203], v[202:203], v[206:207]
	v_fmac_f64_e32 v[202:203], v[204:205], v[200:201]
	v_add_f64 v[78:79], v[78:79], -v[202:203]
	ds_read2_b64 v[202:205], v233 offset0:60 offset1:61
	v_add_f64 v[76:77], v[76:77], -v[108:109]
	s_waitcnt lgkmcnt(0)
	v_mul_f64 v[108:109], v[204:205], v[206:207]
	v_fma_f64 v[108:109], v[202:203], v[200:201], -v[108:109]
	v_mul_f64 v[202:203], v[202:203], v[206:207]
	v_fmac_f64_e32 v[202:203], v[204:205], v[200:201]
	v_add_f64 v[74:75], v[74:75], -v[202:203]
	ds_read2_b64 v[202:205], v233 offset0:62 offset1:63
	v_add_f64 v[72:73], v[72:73], -v[108:109]
	s_waitcnt lgkmcnt(0)
	v_mul_f64 v[108:109], v[204:205], v[206:207]
	v_fma_f64 v[108:109], v[202:203], v[200:201], -v[108:109]
	v_mul_f64 v[202:203], v[202:203], v[206:207]
	v_fmac_f64_e32 v[202:203], v[204:205], v[200:201]
	v_add_f64 v[70:71], v[70:71], -v[202:203]
	ds_read2_b64 v[202:205], v233 offset0:64 offset1:65
	v_add_f64 v[68:69], v[68:69], -v[108:109]
	s_waitcnt lgkmcnt(0)
	v_mul_f64 v[108:109], v[204:205], v[206:207]
	v_fma_f64 v[108:109], v[202:203], v[200:201], -v[108:109]
	v_mul_f64 v[202:203], v[202:203], v[206:207]
	v_fmac_f64_e32 v[202:203], v[204:205], v[200:201]
	v_add_f64 v[66:67], v[66:67], -v[202:203]
	ds_read2_b64 v[202:205], v233 offset0:66 offset1:67
	v_add_f64 v[64:65], v[64:65], -v[108:109]
	s_waitcnt lgkmcnt(0)
	v_mul_f64 v[108:109], v[204:205], v[206:207]
	v_fma_f64 v[108:109], v[202:203], v[200:201], -v[108:109]
	v_mul_f64 v[202:203], v[202:203], v[206:207]
	v_fmac_f64_e32 v[202:203], v[204:205], v[200:201]
	v_add_f64 v[62:63], v[62:63], -v[202:203]
	ds_read2_b64 v[202:205], v233 offset0:68 offset1:69
	v_add_f64 v[60:61], v[60:61], -v[108:109]
	s_waitcnt lgkmcnt(0)
	v_mul_f64 v[108:109], v[204:205], v[206:207]
	v_fma_f64 v[108:109], v[202:203], v[200:201], -v[108:109]
	v_mul_f64 v[202:203], v[202:203], v[206:207]
	v_fmac_f64_e32 v[202:203], v[204:205], v[200:201]
	v_add_f64 v[58:59], v[58:59], -v[202:203]
	ds_read2_b64 v[202:205], v233 offset0:70 offset1:71
	v_add_f64 v[56:57], v[56:57], -v[108:109]
	s_waitcnt lgkmcnt(0)
	v_mul_f64 v[108:109], v[204:205], v[206:207]
	v_fma_f64 v[108:109], v[202:203], v[200:201], -v[108:109]
	v_mul_f64 v[202:203], v[202:203], v[206:207]
	v_fmac_f64_e32 v[202:203], v[204:205], v[200:201]
	v_add_f64 v[54:55], v[54:55], -v[202:203]
	ds_read2_b64 v[202:205], v233 offset0:72 offset1:73
	v_add_f64 v[52:53], v[52:53], -v[108:109]
	s_waitcnt lgkmcnt(0)
	v_mul_f64 v[108:109], v[204:205], v[206:207]
	v_fma_f64 v[108:109], v[202:203], v[200:201], -v[108:109]
	v_mul_f64 v[202:203], v[202:203], v[206:207]
	v_fmac_f64_e32 v[202:203], v[204:205], v[200:201]
	v_add_f64 v[50:51], v[50:51], -v[202:203]
	ds_read2_b64 v[202:205], v233 offset0:74 offset1:75
	v_add_f64 v[48:49], v[48:49], -v[108:109]
	s_waitcnt lgkmcnt(0)
	v_mul_f64 v[108:109], v[204:205], v[206:207]
	v_fma_f64 v[108:109], v[202:203], v[200:201], -v[108:109]
	v_mul_f64 v[202:203], v[202:203], v[206:207]
	v_fmac_f64_e32 v[202:203], v[204:205], v[200:201]
	v_add_f64 v[46:47], v[46:47], -v[202:203]
	ds_read2_b64 v[202:205], v233 offset0:76 offset1:77
	v_add_f64 v[44:45], v[44:45], -v[108:109]
	s_waitcnt lgkmcnt(0)
	v_mul_f64 v[108:109], v[204:205], v[206:207]
	v_fma_f64 v[108:109], v[202:203], v[200:201], -v[108:109]
	v_mul_f64 v[202:203], v[202:203], v[206:207]
	v_fmac_f64_e32 v[202:203], v[204:205], v[200:201]
	v_add_f64 v[42:43], v[42:43], -v[202:203]
	ds_read2_b64 v[202:205], v233 offset0:78 offset1:79
	v_add_f64 v[40:41], v[40:41], -v[108:109]
	s_waitcnt lgkmcnt(0)
	v_mul_f64 v[108:109], v[204:205], v[206:207]
	v_fma_f64 v[108:109], v[202:203], v[200:201], -v[108:109]
	v_mul_f64 v[202:203], v[202:203], v[206:207]
	v_fmac_f64_e32 v[202:203], v[204:205], v[200:201]
	v_add_f64 v[38:39], v[38:39], -v[202:203]
	ds_read2_b64 v[202:205], v233 offset0:80 offset1:81
	v_add_f64 v[36:37], v[36:37], -v[108:109]
	s_waitcnt lgkmcnt(0)
	v_mul_f64 v[108:109], v[204:205], v[206:207]
	v_fma_f64 v[108:109], v[202:203], v[200:201], -v[108:109]
	v_mul_f64 v[202:203], v[202:203], v[206:207]
	v_fmac_f64_e32 v[202:203], v[204:205], v[200:201]
	v_add_f64 v[34:35], v[34:35], -v[202:203]
	ds_read2_b64 v[202:205], v233 offset0:82 offset1:83
	v_add_f64 v[32:33], v[32:33], -v[108:109]
	s_waitcnt lgkmcnt(0)
	v_mul_f64 v[108:109], v[204:205], v[206:207]
	v_fma_f64 v[108:109], v[202:203], v[200:201], -v[108:109]
	v_mul_f64 v[202:203], v[202:203], v[206:207]
	v_fmac_f64_e32 v[202:203], v[204:205], v[200:201]
	v_add_f64 v[30:31], v[30:31], -v[202:203]
	ds_read2_b64 v[202:205], v233 offset0:84 offset1:85
	v_add_f64 v[28:29], v[28:29], -v[108:109]
	s_waitcnt lgkmcnt(0)
	v_mul_f64 v[108:109], v[204:205], v[206:207]
	v_fma_f64 v[108:109], v[202:203], v[200:201], -v[108:109]
	v_mul_f64 v[202:203], v[202:203], v[206:207]
	v_fmac_f64_e32 v[202:203], v[204:205], v[200:201]
	v_add_f64 v[26:27], v[26:27], -v[202:203]
	ds_read2_b64 v[202:205], v233 offset0:86 offset1:87
	v_add_f64 v[24:25], v[24:25], -v[108:109]
	s_waitcnt lgkmcnt(0)
	v_mul_f64 v[108:109], v[204:205], v[206:207]
	v_fma_f64 v[108:109], v[202:203], v[200:201], -v[108:109]
	v_mul_f64 v[202:203], v[202:203], v[206:207]
	v_fmac_f64_e32 v[202:203], v[204:205], v[200:201]
	v_add_f64 v[22:23], v[22:23], -v[202:203]
	ds_read2_b64 v[202:205], v233 offset0:88 offset1:89
	v_add_f64 v[20:21], v[20:21], -v[108:109]
	s_waitcnt lgkmcnt(0)
	v_mul_f64 v[108:109], v[204:205], v[206:207]
	v_fma_f64 v[108:109], v[202:203], v[200:201], -v[108:109]
	v_mul_f64 v[202:203], v[202:203], v[206:207]
	v_fmac_f64_e32 v[202:203], v[204:205], v[200:201]
	v_add_f64 v[18:19], v[18:19], -v[202:203]
	ds_read2_b64 v[202:205], v233 offset0:90 offset1:91
	v_add_f64 v[16:17], v[16:17], -v[108:109]
	s_waitcnt lgkmcnt(0)
	v_mul_f64 v[108:109], v[204:205], v[206:207]
	v_fma_f64 v[108:109], v[202:203], v[200:201], -v[108:109]
	v_mul_f64 v[202:203], v[202:203], v[206:207]
	v_fmac_f64_e32 v[202:203], v[204:205], v[200:201]
	v_add_f64 v[14:15], v[14:15], -v[202:203]
	ds_read2_b64 v[202:205], v233 offset0:92 offset1:93
	v_add_f64 v[12:13], v[12:13], -v[108:109]
	s_waitcnt lgkmcnt(0)
	v_mul_f64 v[108:109], v[204:205], v[206:207]
	v_fma_f64 v[108:109], v[202:203], v[200:201], -v[108:109]
	v_mul_f64 v[202:203], v[202:203], v[206:207]
	v_fmac_f64_e32 v[202:203], v[204:205], v[200:201]
	v_add_f64 v[10:11], v[10:11], -v[202:203]
	ds_read2_b64 v[202:205], v233 offset0:94 offset1:95
	v_add_f64 v[8:9], v[8:9], -v[108:109]
	s_waitcnt lgkmcnt(0)
	v_mul_f64 v[108:109], v[204:205], v[206:207]
	v_fma_f64 v[108:109], v[202:203], v[200:201], -v[108:109]
	v_mul_f64 v[202:203], v[202:203], v[206:207]
	v_fmac_f64_e32 v[202:203], v[204:205], v[200:201]
	v_add_f64 v[6:7], v[6:7], -v[202:203]
	ds_read2_b64 v[202:205], v233 offset0:96 offset1:97
	v_add_f64 v[4:5], v[4:5], -v[108:109]
	s_waitcnt lgkmcnt(0)
	v_mul_f64 v[108:109], v[204:205], v[206:207]
	v_fma_f64 v[108:109], v[202:203], v[200:201], -v[108:109]
	v_mul_f64 v[202:203], v[202:203], v[206:207]
	v_fmac_f64_e32 v[202:203], v[204:205], v[200:201]
	v_add_f64 v[2:3], v[2:3], -v[202:203]
	ds_read2_b64 v[202:205], v233 offset0:98 offset1:99
	v_add_f64 v[0:1], v[0:1], -v[108:109]
	s_waitcnt lgkmcnt(0)
	v_mul_f64 v[108:109], v[204:205], v[206:207]
	v_fma_f64 v[108:109], v[202:203], v[200:201], -v[108:109]
	v_mul_f64 v[202:203], v[202:203], v[206:207]
	v_fmac_f64_e32 v[202:203], v[204:205], v[200:201]
	v_add_f64 v[196:197], v[196:197], -v[108:109]
	v_mov_b64_e32 v[108:109], v[188:189]
	v_add_f64 v[198:199], v[198:199], -v[202:203]
	v_mov_b64_e32 v[204:205], v[200:201]
	scratch_store_dwordx4 off, v[204:207], off ; 16-byte Folded Spill
.LBB99_199:
	s_or_b64 exec, exec, s[2:3]
	v_cmp_eq_u32_e32 vcc, 22, v234
	s_barrier
	s_and_saveexec_b64 s[4:5], vcc
	s_cbranch_execz .LBB99_206
; %bb.200:
	s_waitcnt vmcnt(49)
	ds_write2_b64 v194, v[104:105], v[106:107] offset1:1
	s_waitcnt vmcnt(48)
	ds_write2_b64 v233, v[100:101], v[102:103] offset0:46 offset1:47
	s_waitcnt vmcnt(47)
	ds_write2_b64 v233, v[96:97], v[98:99] offset0:48 offset1:49
	;; [unrolled: 2-line block ×27, first 2 shown]
	ds_read2_b64 v[200:203], v194 offset1:1
	s_waitcnt lgkmcnt(0)
	v_cmp_neq_f64_e32 vcc, 0, v[200:201]
	v_cmp_neq_f64_e64 s[2:3], 0, v[202:203]
	s_or_b64 s[2:3], vcc, s[2:3]
	s_and_b64 exec, exec, s[2:3]
	s_cbranch_execz .LBB99_206
; %bb.201:
	v_cmp_ngt_f64_e64 s[2:3], |v[200:201]|, |v[202:203]|
                                        ; implicit-def: $vgpr204_vgpr205
	s_and_saveexec_b64 s[10:11], s[2:3]
	s_xor_b64 s[2:3], exec, s[10:11]
                                        ; implicit-def: $vgpr206_vgpr207
	s_cbranch_execz .LBB99_203
; %bb.202:
	v_div_scale_f64 v[204:205], s[10:11], v[202:203], v[202:203], v[200:201]
	v_rcp_f64_e32 v[206:207], v[204:205]
	v_div_scale_f64 v[208:209], vcc, v[200:201], v[202:203], v[200:201]
	v_fma_f64 v[210:211], -v[204:205], v[206:207], 1.0
	v_fmac_f64_e32 v[206:207], v[206:207], v[210:211]
	v_fma_f64 v[210:211], -v[204:205], v[206:207], 1.0
	v_fmac_f64_e32 v[206:207], v[206:207], v[210:211]
	v_mul_f64 v[210:211], v[208:209], v[206:207]
	v_fma_f64 v[204:205], -v[204:205], v[210:211], v[208:209]
	v_div_fmas_f64 v[204:205], v[204:205], v[206:207], v[210:211]
	v_div_fixup_f64 v[204:205], v[204:205], v[202:203], v[200:201]
	v_fmac_f64_e32 v[202:203], v[200:201], v[204:205]
	v_div_scale_f64 v[200:201], s[10:11], v[202:203], v[202:203], 1.0
	v_rcp_f64_e32 v[206:207], v[200:201]
	s_nop 0
	v_fma_f64 v[208:209], -v[200:201], v[206:207], 1.0
	v_fmac_f64_e32 v[206:207], v[206:207], v[208:209]
	v_fma_f64 v[208:209], -v[200:201], v[206:207], 1.0
	v_fmac_f64_e32 v[206:207], v[206:207], v[208:209]
	v_div_scale_f64 v[208:209], vcc, 1.0, v[202:203], 1.0
	v_mul_f64 v[210:211], v[208:209], v[206:207]
	v_fma_f64 v[200:201], -v[200:201], v[210:211], v[208:209]
	s_nop 1
	v_div_fmas_f64 v[200:201], v[200:201], v[206:207], v[210:211]
	v_div_fixup_f64 v[206:207], v[200:201], v[202:203], 1.0
	v_mul_f64 v[204:205], v[204:205], v[206:207]
	v_xor_b32_e32 v207, 0x80000000, v207
                                        ; implicit-def: $vgpr200_vgpr201
.LBB99_203:
	s_andn2_saveexec_b64 s[2:3], s[2:3]
	s_cbranch_execz .LBB99_205
; %bb.204:
	v_div_scale_f64 v[204:205], s[10:11], v[200:201], v[200:201], v[202:203]
	v_rcp_f64_e32 v[206:207], v[204:205]
	v_div_scale_f64 v[208:209], vcc, v[202:203], v[200:201], v[202:203]
	v_fma_f64 v[210:211], -v[204:205], v[206:207], 1.0
	v_fmac_f64_e32 v[206:207], v[206:207], v[210:211]
	v_fma_f64 v[210:211], -v[204:205], v[206:207], 1.0
	v_fmac_f64_e32 v[206:207], v[206:207], v[210:211]
	v_mul_f64 v[210:211], v[208:209], v[206:207]
	v_fma_f64 v[204:205], -v[204:205], v[210:211], v[208:209]
	v_div_fmas_f64 v[204:205], v[204:205], v[206:207], v[210:211]
	v_div_fixup_f64 v[206:207], v[204:205], v[200:201], v[202:203]
	v_fmac_f64_e32 v[200:201], v[202:203], v[206:207]
	v_div_scale_f64 v[202:203], s[10:11], v[200:201], v[200:201], 1.0
	v_rcp_f64_e32 v[204:205], v[202:203]
	s_nop 0
	v_fma_f64 v[208:209], -v[202:203], v[204:205], 1.0
	v_fmac_f64_e32 v[204:205], v[204:205], v[208:209]
	v_fma_f64 v[208:209], -v[202:203], v[204:205], 1.0
	v_fmac_f64_e32 v[204:205], v[204:205], v[208:209]
	v_div_scale_f64 v[208:209], vcc, 1.0, v[200:201], 1.0
	v_mul_f64 v[210:211], v[208:209], v[204:205]
	v_fma_f64 v[202:203], -v[202:203], v[210:211], v[208:209]
	s_nop 1
	v_div_fmas_f64 v[202:203], v[202:203], v[204:205], v[210:211]
	v_div_fixup_f64 v[204:205], v[202:203], v[200:201], 1.0
	v_mul_f64 v[206:207], v[206:207], -v[204:205]
.LBB99_205:
	s_or_b64 exec, exec, s[2:3]
	ds_write2_b64 v194, v[204:205], v[206:207] offset1:1
.LBB99_206:
	s_or_b64 exec, exec, s[4:5]
	s_waitcnt lgkmcnt(0)
	s_barrier
	ds_read2_b64 v[200:203], v194 offset1:1
	v_cmp_lt_u32_e32 vcc, 22, v234
	s_waitcnt lgkmcnt(0)
	scratch_store_dwordx4 off, v[200:203], off offset:704 ; 16-byte Folded Spill
	s_and_saveexec_b64 s[2:3], vcc
	s_cbranch_execz .LBB99_208
; %bb.207:
	scratch_load_dwordx4 v[202:205], off, off offset:704 ; 16-byte Folded Reload
	s_waitcnt vmcnt(0)
	v_mul_f64 v[200:201], v[204:205], v[106:107]
	v_mul_f64 v[106:107], v[202:203], v[106:107]
	v_fma_f64 v[200:201], v[202:203], v[104:105], -v[200:201]
	v_fmac_f64_e32 v[106:107], v[204:205], v[104:105]
	ds_read2_b64 v[202:205], v233 offset0:46 offset1:47
	s_waitcnt lgkmcnt(0)
	v_mul_f64 v[104:105], v[204:205], v[106:107]
	v_fma_f64 v[104:105], v[202:203], v[200:201], -v[104:105]
	v_mul_f64 v[202:203], v[202:203], v[106:107]
	v_fmac_f64_e32 v[202:203], v[204:205], v[200:201]
	v_add_f64 v[102:103], v[102:103], -v[202:203]
	ds_read2_b64 v[202:205], v233 offset0:48 offset1:49
	v_add_f64 v[100:101], v[100:101], -v[104:105]
	s_waitcnt lgkmcnt(0)
	v_mul_f64 v[104:105], v[204:205], v[106:107]
	v_fma_f64 v[104:105], v[202:203], v[200:201], -v[104:105]
	v_mul_f64 v[202:203], v[202:203], v[106:107]
	v_fmac_f64_e32 v[202:203], v[204:205], v[200:201]
	v_add_f64 v[98:99], v[98:99], -v[202:203]
	ds_read2_b64 v[202:205], v233 offset0:50 offset1:51
	v_add_f64 v[96:97], v[96:97], -v[104:105]
	;; [unrolled: 8-line block ×26, first 2 shown]
	s_waitcnt lgkmcnt(0)
	v_mul_f64 v[104:105], v[204:205], v[106:107]
	v_fma_f64 v[104:105], v[202:203], v[200:201], -v[104:105]
	v_mul_f64 v[202:203], v[202:203], v[106:107]
	v_fmac_f64_e32 v[202:203], v[204:205], v[200:201]
	v_add_f64 v[196:197], v[196:197], -v[104:105]
	v_add_f64 v[198:199], v[198:199], -v[202:203]
	v_mov_b64_e32 v[104:105], v[200:201]
.LBB99_208:
	s_or_b64 exec, exec, s[2:3]
	v_cmp_eq_u32_e32 vcc, 23, v234
	s_barrier
	s_and_saveexec_b64 s[4:5], vcc
	s_cbranch_execz .LBB99_215
; %bb.209:
	s_waitcnt vmcnt(49)
	ds_write2_b64 v194, v[100:101], v[102:103] offset1:1
	s_waitcnt vmcnt(48)
	ds_write2_b64 v233, v[96:97], v[98:99] offset0:48 offset1:49
	s_waitcnt vmcnt(47)
	ds_write2_b64 v233, v[92:93], v[94:95] offset0:50 offset1:51
	;; [unrolled: 2-line block ×26, first 2 shown]
	ds_read2_b64 v[200:203], v194 offset1:1
	s_waitcnt lgkmcnt(0)
	v_cmp_neq_f64_e32 vcc, 0, v[200:201]
	v_cmp_neq_f64_e64 s[2:3], 0, v[202:203]
	s_or_b64 s[2:3], vcc, s[2:3]
	s_and_b64 exec, exec, s[2:3]
	s_cbranch_execz .LBB99_215
; %bb.210:
	v_cmp_ngt_f64_e64 s[2:3], |v[200:201]|, |v[202:203]|
                                        ; implicit-def: $vgpr204_vgpr205
	s_and_saveexec_b64 s[10:11], s[2:3]
	s_xor_b64 s[2:3], exec, s[10:11]
                                        ; implicit-def: $vgpr206_vgpr207
	s_cbranch_execz .LBB99_212
; %bb.211:
	v_div_scale_f64 v[204:205], s[10:11], v[202:203], v[202:203], v[200:201]
	v_rcp_f64_e32 v[206:207], v[204:205]
	v_div_scale_f64 v[208:209], vcc, v[200:201], v[202:203], v[200:201]
	v_fma_f64 v[210:211], -v[204:205], v[206:207], 1.0
	v_fmac_f64_e32 v[206:207], v[206:207], v[210:211]
	v_fma_f64 v[210:211], -v[204:205], v[206:207], 1.0
	v_fmac_f64_e32 v[206:207], v[206:207], v[210:211]
	v_mul_f64 v[210:211], v[208:209], v[206:207]
	v_fma_f64 v[204:205], -v[204:205], v[210:211], v[208:209]
	v_div_fmas_f64 v[204:205], v[204:205], v[206:207], v[210:211]
	v_div_fixup_f64 v[204:205], v[204:205], v[202:203], v[200:201]
	v_fmac_f64_e32 v[202:203], v[200:201], v[204:205]
	v_div_scale_f64 v[200:201], s[10:11], v[202:203], v[202:203], 1.0
	v_rcp_f64_e32 v[206:207], v[200:201]
	s_nop 0
	v_fma_f64 v[208:209], -v[200:201], v[206:207], 1.0
	v_fmac_f64_e32 v[206:207], v[206:207], v[208:209]
	v_fma_f64 v[208:209], -v[200:201], v[206:207], 1.0
	v_fmac_f64_e32 v[206:207], v[206:207], v[208:209]
	v_div_scale_f64 v[208:209], vcc, 1.0, v[202:203], 1.0
	v_mul_f64 v[210:211], v[208:209], v[206:207]
	v_fma_f64 v[200:201], -v[200:201], v[210:211], v[208:209]
	s_nop 1
	v_div_fmas_f64 v[200:201], v[200:201], v[206:207], v[210:211]
	v_div_fixup_f64 v[206:207], v[200:201], v[202:203], 1.0
	v_mul_f64 v[204:205], v[204:205], v[206:207]
	v_xor_b32_e32 v207, 0x80000000, v207
                                        ; implicit-def: $vgpr200_vgpr201
.LBB99_212:
	s_andn2_saveexec_b64 s[2:3], s[2:3]
	s_cbranch_execz .LBB99_214
; %bb.213:
	v_div_scale_f64 v[204:205], s[10:11], v[200:201], v[200:201], v[202:203]
	v_rcp_f64_e32 v[206:207], v[204:205]
	v_div_scale_f64 v[208:209], vcc, v[202:203], v[200:201], v[202:203]
	v_fma_f64 v[210:211], -v[204:205], v[206:207], 1.0
	v_fmac_f64_e32 v[206:207], v[206:207], v[210:211]
	v_fma_f64 v[210:211], -v[204:205], v[206:207], 1.0
	v_fmac_f64_e32 v[206:207], v[206:207], v[210:211]
	v_mul_f64 v[210:211], v[208:209], v[206:207]
	v_fma_f64 v[204:205], -v[204:205], v[210:211], v[208:209]
	v_div_fmas_f64 v[204:205], v[204:205], v[206:207], v[210:211]
	v_div_fixup_f64 v[206:207], v[204:205], v[200:201], v[202:203]
	v_fmac_f64_e32 v[200:201], v[202:203], v[206:207]
	v_div_scale_f64 v[202:203], s[10:11], v[200:201], v[200:201], 1.0
	v_rcp_f64_e32 v[204:205], v[202:203]
	s_nop 0
	v_fma_f64 v[208:209], -v[202:203], v[204:205], 1.0
	v_fmac_f64_e32 v[204:205], v[204:205], v[208:209]
	v_fma_f64 v[208:209], -v[202:203], v[204:205], 1.0
	v_fmac_f64_e32 v[204:205], v[204:205], v[208:209]
	v_div_scale_f64 v[208:209], vcc, 1.0, v[200:201], 1.0
	v_mul_f64 v[210:211], v[208:209], v[204:205]
	v_fma_f64 v[202:203], -v[202:203], v[210:211], v[208:209]
	s_nop 1
	v_div_fmas_f64 v[202:203], v[202:203], v[204:205], v[210:211]
	v_div_fixup_f64 v[204:205], v[202:203], v[200:201], 1.0
	v_mul_f64 v[206:207], v[206:207], -v[204:205]
.LBB99_214:
	s_or_b64 exec, exec, s[2:3]
	ds_write2_b64 v194, v[204:205], v[206:207] offset1:1
.LBB99_215:
	s_or_b64 exec, exec, s[4:5]
	s_waitcnt lgkmcnt(0)
	s_barrier
	ds_read2_b64 v[200:203], v194 offset1:1
	v_cmp_lt_u32_e32 vcc, 23, v234
	s_waitcnt lgkmcnt(0)
	scratch_store_dwordx4 off, v[200:203], off offset:720 ; 16-byte Folded Spill
	s_and_saveexec_b64 s[2:3], vcc
	s_cbranch_execz .LBB99_217
; %bb.216:
	scratch_load_dwordx4 v[202:205], off, off offset:720 ; 16-byte Folded Reload
	s_waitcnt vmcnt(0)
	v_mul_f64 v[200:201], v[204:205], v[102:103]
	v_mul_f64 v[102:103], v[202:203], v[102:103]
	v_fma_f64 v[200:201], v[202:203], v[100:101], -v[200:201]
	v_fmac_f64_e32 v[102:103], v[204:205], v[100:101]
	ds_read2_b64 v[202:205], v233 offset0:48 offset1:49
	s_waitcnt lgkmcnt(0)
	v_mul_f64 v[100:101], v[204:205], v[102:103]
	v_fma_f64 v[100:101], v[202:203], v[200:201], -v[100:101]
	v_mul_f64 v[202:203], v[202:203], v[102:103]
	v_fmac_f64_e32 v[202:203], v[204:205], v[200:201]
	v_add_f64 v[98:99], v[98:99], -v[202:203]
	ds_read2_b64 v[202:205], v233 offset0:50 offset1:51
	v_add_f64 v[96:97], v[96:97], -v[100:101]
	s_waitcnt lgkmcnt(0)
	v_mul_f64 v[100:101], v[204:205], v[102:103]
	v_fma_f64 v[100:101], v[202:203], v[200:201], -v[100:101]
	v_mul_f64 v[202:203], v[202:203], v[102:103]
	v_fmac_f64_e32 v[202:203], v[204:205], v[200:201]
	v_add_f64 v[94:95], v[94:95], -v[202:203]
	ds_read2_b64 v[202:205], v233 offset0:52 offset1:53
	v_add_f64 v[92:93], v[92:93], -v[100:101]
	;; [unrolled: 8-line block ×25, first 2 shown]
	s_waitcnt lgkmcnt(0)
	v_mul_f64 v[100:101], v[204:205], v[102:103]
	v_fma_f64 v[100:101], v[202:203], v[200:201], -v[100:101]
	v_mul_f64 v[202:203], v[202:203], v[102:103]
	v_fmac_f64_e32 v[202:203], v[204:205], v[200:201]
	v_add_f64 v[196:197], v[196:197], -v[100:101]
	v_add_f64 v[198:199], v[198:199], -v[202:203]
	v_mov_b64_e32 v[100:101], v[200:201]
.LBB99_217:
	s_or_b64 exec, exec, s[2:3]
	v_cmp_eq_u32_e32 vcc, 24, v234
	s_barrier
	s_and_saveexec_b64 s[4:5], vcc
	s_cbranch_execz .LBB99_224
; %bb.218:
	s_waitcnt vmcnt(49)
	ds_write2_b64 v194, v[96:97], v[98:99] offset1:1
	s_waitcnt vmcnt(48)
	ds_write2_b64 v233, v[92:93], v[94:95] offset0:50 offset1:51
	s_waitcnt vmcnt(47)
	ds_write2_b64 v233, v[88:89], v[90:91] offset0:52 offset1:53
	;; [unrolled: 2-line block ×25, first 2 shown]
	ds_read2_b64 v[200:203], v194 offset1:1
	s_waitcnt lgkmcnt(0)
	v_cmp_neq_f64_e32 vcc, 0, v[200:201]
	v_cmp_neq_f64_e64 s[2:3], 0, v[202:203]
	s_or_b64 s[2:3], vcc, s[2:3]
	s_and_b64 exec, exec, s[2:3]
	s_cbranch_execz .LBB99_224
; %bb.219:
	v_cmp_ngt_f64_e64 s[2:3], |v[200:201]|, |v[202:203]|
                                        ; implicit-def: $vgpr204_vgpr205
	s_and_saveexec_b64 s[10:11], s[2:3]
	s_xor_b64 s[2:3], exec, s[10:11]
                                        ; implicit-def: $vgpr206_vgpr207
	s_cbranch_execz .LBB99_221
; %bb.220:
	v_div_scale_f64 v[204:205], s[10:11], v[202:203], v[202:203], v[200:201]
	v_rcp_f64_e32 v[206:207], v[204:205]
	v_div_scale_f64 v[208:209], vcc, v[200:201], v[202:203], v[200:201]
	v_fma_f64 v[210:211], -v[204:205], v[206:207], 1.0
	v_fmac_f64_e32 v[206:207], v[206:207], v[210:211]
	v_fma_f64 v[210:211], -v[204:205], v[206:207], 1.0
	v_fmac_f64_e32 v[206:207], v[206:207], v[210:211]
	v_mul_f64 v[210:211], v[208:209], v[206:207]
	v_fma_f64 v[204:205], -v[204:205], v[210:211], v[208:209]
	v_div_fmas_f64 v[204:205], v[204:205], v[206:207], v[210:211]
	v_div_fixup_f64 v[204:205], v[204:205], v[202:203], v[200:201]
	v_fmac_f64_e32 v[202:203], v[200:201], v[204:205]
	v_div_scale_f64 v[200:201], s[10:11], v[202:203], v[202:203], 1.0
	v_rcp_f64_e32 v[206:207], v[200:201]
	s_nop 0
	v_fma_f64 v[208:209], -v[200:201], v[206:207], 1.0
	v_fmac_f64_e32 v[206:207], v[206:207], v[208:209]
	v_fma_f64 v[208:209], -v[200:201], v[206:207], 1.0
	v_fmac_f64_e32 v[206:207], v[206:207], v[208:209]
	v_div_scale_f64 v[208:209], vcc, 1.0, v[202:203], 1.0
	v_mul_f64 v[210:211], v[208:209], v[206:207]
	v_fma_f64 v[200:201], -v[200:201], v[210:211], v[208:209]
	s_nop 1
	v_div_fmas_f64 v[200:201], v[200:201], v[206:207], v[210:211]
	v_div_fixup_f64 v[206:207], v[200:201], v[202:203], 1.0
	v_mul_f64 v[204:205], v[204:205], v[206:207]
	v_xor_b32_e32 v207, 0x80000000, v207
                                        ; implicit-def: $vgpr200_vgpr201
.LBB99_221:
	s_andn2_saveexec_b64 s[2:3], s[2:3]
	s_cbranch_execz .LBB99_223
; %bb.222:
	v_div_scale_f64 v[204:205], s[10:11], v[200:201], v[200:201], v[202:203]
	v_rcp_f64_e32 v[206:207], v[204:205]
	v_div_scale_f64 v[208:209], vcc, v[202:203], v[200:201], v[202:203]
	v_fma_f64 v[210:211], -v[204:205], v[206:207], 1.0
	v_fmac_f64_e32 v[206:207], v[206:207], v[210:211]
	v_fma_f64 v[210:211], -v[204:205], v[206:207], 1.0
	v_fmac_f64_e32 v[206:207], v[206:207], v[210:211]
	v_mul_f64 v[210:211], v[208:209], v[206:207]
	v_fma_f64 v[204:205], -v[204:205], v[210:211], v[208:209]
	v_div_fmas_f64 v[204:205], v[204:205], v[206:207], v[210:211]
	v_div_fixup_f64 v[206:207], v[204:205], v[200:201], v[202:203]
	v_fmac_f64_e32 v[200:201], v[202:203], v[206:207]
	v_div_scale_f64 v[202:203], s[10:11], v[200:201], v[200:201], 1.0
	v_rcp_f64_e32 v[204:205], v[202:203]
	s_nop 0
	v_fma_f64 v[208:209], -v[202:203], v[204:205], 1.0
	v_fmac_f64_e32 v[204:205], v[204:205], v[208:209]
	v_fma_f64 v[208:209], -v[202:203], v[204:205], 1.0
	v_fmac_f64_e32 v[204:205], v[204:205], v[208:209]
	v_div_scale_f64 v[208:209], vcc, 1.0, v[200:201], 1.0
	v_mul_f64 v[210:211], v[208:209], v[204:205]
	v_fma_f64 v[202:203], -v[202:203], v[210:211], v[208:209]
	s_nop 1
	v_div_fmas_f64 v[202:203], v[202:203], v[204:205], v[210:211]
	v_div_fixup_f64 v[204:205], v[202:203], v[200:201], 1.0
	v_mul_f64 v[206:207], v[206:207], -v[204:205]
.LBB99_223:
	s_or_b64 exec, exec, s[2:3]
	ds_write2_b64 v194, v[204:205], v[206:207] offset1:1
.LBB99_224:
	s_or_b64 exec, exec, s[4:5]
	s_waitcnt lgkmcnt(0)
	s_barrier
	ds_read2_b64 v[200:203], v194 offset1:1
	v_cmp_lt_u32_e32 vcc, 24, v234
	s_waitcnt lgkmcnt(0)
	scratch_store_dwordx4 off, v[200:203], off offset:736 ; 16-byte Folded Spill
	s_and_saveexec_b64 s[2:3], vcc
	s_cbranch_execz .LBB99_226
; %bb.225:
	scratch_load_dwordx4 v[202:205], off, off offset:736 ; 16-byte Folded Reload
	s_waitcnt vmcnt(0)
	v_mul_f64 v[200:201], v[204:205], v[98:99]
	v_mul_f64 v[98:99], v[202:203], v[98:99]
	v_fma_f64 v[200:201], v[202:203], v[96:97], -v[200:201]
	v_fmac_f64_e32 v[98:99], v[204:205], v[96:97]
	ds_read2_b64 v[202:205], v233 offset0:50 offset1:51
	s_waitcnt lgkmcnt(0)
	v_mul_f64 v[96:97], v[204:205], v[98:99]
	v_fma_f64 v[96:97], v[202:203], v[200:201], -v[96:97]
	v_mul_f64 v[202:203], v[202:203], v[98:99]
	v_fmac_f64_e32 v[202:203], v[204:205], v[200:201]
	v_add_f64 v[94:95], v[94:95], -v[202:203]
	ds_read2_b64 v[202:205], v233 offset0:52 offset1:53
	v_add_f64 v[92:93], v[92:93], -v[96:97]
	s_waitcnt lgkmcnt(0)
	v_mul_f64 v[96:97], v[204:205], v[98:99]
	v_fma_f64 v[96:97], v[202:203], v[200:201], -v[96:97]
	v_mul_f64 v[202:203], v[202:203], v[98:99]
	v_fmac_f64_e32 v[202:203], v[204:205], v[200:201]
	v_add_f64 v[90:91], v[90:91], -v[202:203]
	ds_read2_b64 v[202:205], v233 offset0:54 offset1:55
	v_add_f64 v[88:89], v[88:89], -v[96:97]
	;; [unrolled: 8-line block ×24, first 2 shown]
	s_waitcnt lgkmcnt(0)
	v_mul_f64 v[96:97], v[204:205], v[98:99]
	v_fma_f64 v[96:97], v[202:203], v[200:201], -v[96:97]
	v_mul_f64 v[202:203], v[202:203], v[98:99]
	v_fmac_f64_e32 v[202:203], v[204:205], v[200:201]
	v_add_f64 v[196:197], v[196:197], -v[96:97]
	v_add_f64 v[198:199], v[198:199], -v[202:203]
	v_mov_b64_e32 v[96:97], v[200:201]
.LBB99_226:
	s_or_b64 exec, exec, s[2:3]
	v_cmp_eq_u32_e32 vcc, 25, v234
	s_barrier
	s_and_saveexec_b64 s[4:5], vcc
	s_cbranch_execz .LBB99_233
; %bb.227:
	s_waitcnt vmcnt(49)
	ds_write2_b64 v194, v[92:93], v[94:95] offset1:1
	s_waitcnt vmcnt(48)
	ds_write2_b64 v233, v[88:89], v[90:91] offset0:52 offset1:53
	s_waitcnt vmcnt(47)
	ds_write2_b64 v233, v[84:85], v[86:87] offset0:54 offset1:55
	;; [unrolled: 2-line block ×24, first 2 shown]
	ds_read2_b64 v[200:203], v194 offset1:1
	s_waitcnt lgkmcnt(0)
	v_cmp_neq_f64_e32 vcc, 0, v[200:201]
	v_cmp_neq_f64_e64 s[2:3], 0, v[202:203]
	s_or_b64 s[2:3], vcc, s[2:3]
	s_and_b64 exec, exec, s[2:3]
	s_cbranch_execz .LBB99_233
; %bb.228:
	v_cmp_ngt_f64_e64 s[2:3], |v[200:201]|, |v[202:203]|
                                        ; implicit-def: $vgpr204_vgpr205
	s_and_saveexec_b64 s[10:11], s[2:3]
	s_xor_b64 s[2:3], exec, s[10:11]
                                        ; implicit-def: $vgpr206_vgpr207
	s_cbranch_execz .LBB99_230
; %bb.229:
	v_div_scale_f64 v[204:205], s[10:11], v[202:203], v[202:203], v[200:201]
	v_rcp_f64_e32 v[206:207], v[204:205]
	v_div_scale_f64 v[208:209], vcc, v[200:201], v[202:203], v[200:201]
	v_fma_f64 v[210:211], -v[204:205], v[206:207], 1.0
	v_fmac_f64_e32 v[206:207], v[206:207], v[210:211]
	v_fma_f64 v[210:211], -v[204:205], v[206:207], 1.0
	v_fmac_f64_e32 v[206:207], v[206:207], v[210:211]
	v_mul_f64 v[210:211], v[208:209], v[206:207]
	v_fma_f64 v[204:205], -v[204:205], v[210:211], v[208:209]
	v_div_fmas_f64 v[204:205], v[204:205], v[206:207], v[210:211]
	v_div_fixup_f64 v[204:205], v[204:205], v[202:203], v[200:201]
	v_fmac_f64_e32 v[202:203], v[200:201], v[204:205]
	v_div_scale_f64 v[200:201], s[10:11], v[202:203], v[202:203], 1.0
	v_rcp_f64_e32 v[206:207], v[200:201]
	s_nop 0
	v_fma_f64 v[208:209], -v[200:201], v[206:207], 1.0
	v_fmac_f64_e32 v[206:207], v[206:207], v[208:209]
	v_fma_f64 v[208:209], -v[200:201], v[206:207], 1.0
	v_fmac_f64_e32 v[206:207], v[206:207], v[208:209]
	v_div_scale_f64 v[208:209], vcc, 1.0, v[202:203], 1.0
	v_mul_f64 v[210:211], v[208:209], v[206:207]
	v_fma_f64 v[200:201], -v[200:201], v[210:211], v[208:209]
	s_nop 1
	v_div_fmas_f64 v[200:201], v[200:201], v[206:207], v[210:211]
	v_div_fixup_f64 v[206:207], v[200:201], v[202:203], 1.0
	v_mul_f64 v[204:205], v[204:205], v[206:207]
	v_xor_b32_e32 v207, 0x80000000, v207
                                        ; implicit-def: $vgpr200_vgpr201
.LBB99_230:
	s_andn2_saveexec_b64 s[2:3], s[2:3]
	s_cbranch_execz .LBB99_232
; %bb.231:
	v_div_scale_f64 v[204:205], s[10:11], v[200:201], v[200:201], v[202:203]
	v_rcp_f64_e32 v[206:207], v[204:205]
	v_div_scale_f64 v[208:209], vcc, v[202:203], v[200:201], v[202:203]
	v_fma_f64 v[210:211], -v[204:205], v[206:207], 1.0
	v_fmac_f64_e32 v[206:207], v[206:207], v[210:211]
	v_fma_f64 v[210:211], -v[204:205], v[206:207], 1.0
	v_fmac_f64_e32 v[206:207], v[206:207], v[210:211]
	v_mul_f64 v[210:211], v[208:209], v[206:207]
	v_fma_f64 v[204:205], -v[204:205], v[210:211], v[208:209]
	v_div_fmas_f64 v[204:205], v[204:205], v[206:207], v[210:211]
	v_div_fixup_f64 v[206:207], v[204:205], v[200:201], v[202:203]
	v_fmac_f64_e32 v[200:201], v[202:203], v[206:207]
	v_div_scale_f64 v[202:203], s[10:11], v[200:201], v[200:201], 1.0
	v_rcp_f64_e32 v[204:205], v[202:203]
	s_nop 0
	v_fma_f64 v[208:209], -v[202:203], v[204:205], 1.0
	v_fmac_f64_e32 v[204:205], v[204:205], v[208:209]
	v_fma_f64 v[208:209], -v[202:203], v[204:205], 1.0
	v_fmac_f64_e32 v[204:205], v[204:205], v[208:209]
	v_div_scale_f64 v[208:209], vcc, 1.0, v[200:201], 1.0
	v_mul_f64 v[210:211], v[208:209], v[204:205]
	v_fma_f64 v[202:203], -v[202:203], v[210:211], v[208:209]
	s_nop 1
	v_div_fmas_f64 v[202:203], v[202:203], v[204:205], v[210:211]
	v_div_fixup_f64 v[204:205], v[202:203], v[200:201], 1.0
	v_mul_f64 v[206:207], v[206:207], -v[204:205]
.LBB99_232:
	s_or_b64 exec, exec, s[2:3]
	ds_write2_b64 v194, v[204:205], v[206:207] offset1:1
.LBB99_233:
	s_or_b64 exec, exec, s[4:5]
	s_waitcnt lgkmcnt(0)
	s_barrier
	ds_read2_b64 v[200:203], v194 offset1:1
	v_cmp_lt_u32_e32 vcc, 25, v234
	s_waitcnt lgkmcnt(0)
	scratch_store_dwordx4 off, v[200:203], off offset:752 ; 16-byte Folded Spill
	s_and_saveexec_b64 s[2:3], vcc
	s_cbranch_execz .LBB99_235
; %bb.234:
	scratch_load_dwordx4 v[202:205], off, off offset:752 ; 16-byte Folded Reload
	s_waitcnt vmcnt(0)
	v_mul_f64 v[200:201], v[204:205], v[94:95]
	v_mul_f64 v[94:95], v[202:203], v[94:95]
	v_fma_f64 v[200:201], v[202:203], v[92:93], -v[200:201]
	v_fmac_f64_e32 v[94:95], v[204:205], v[92:93]
	ds_read2_b64 v[202:205], v233 offset0:52 offset1:53
	s_waitcnt lgkmcnt(0)
	v_mul_f64 v[92:93], v[204:205], v[94:95]
	v_fma_f64 v[92:93], v[202:203], v[200:201], -v[92:93]
	v_mul_f64 v[202:203], v[202:203], v[94:95]
	v_fmac_f64_e32 v[202:203], v[204:205], v[200:201]
	v_add_f64 v[90:91], v[90:91], -v[202:203]
	ds_read2_b64 v[202:205], v233 offset0:54 offset1:55
	v_add_f64 v[88:89], v[88:89], -v[92:93]
	s_waitcnt lgkmcnt(0)
	v_mul_f64 v[92:93], v[204:205], v[94:95]
	v_fma_f64 v[92:93], v[202:203], v[200:201], -v[92:93]
	v_mul_f64 v[202:203], v[202:203], v[94:95]
	v_fmac_f64_e32 v[202:203], v[204:205], v[200:201]
	v_add_f64 v[86:87], v[86:87], -v[202:203]
	ds_read2_b64 v[202:205], v233 offset0:56 offset1:57
	v_add_f64 v[84:85], v[84:85], -v[92:93]
	;; [unrolled: 8-line block ×23, first 2 shown]
	s_waitcnt lgkmcnt(0)
	v_mul_f64 v[92:93], v[204:205], v[94:95]
	v_fma_f64 v[92:93], v[202:203], v[200:201], -v[92:93]
	v_mul_f64 v[202:203], v[202:203], v[94:95]
	v_fmac_f64_e32 v[202:203], v[204:205], v[200:201]
	v_add_f64 v[196:197], v[196:197], -v[92:93]
	v_add_f64 v[198:199], v[198:199], -v[202:203]
	v_mov_b64_e32 v[92:93], v[200:201]
.LBB99_235:
	s_or_b64 exec, exec, s[2:3]
	v_cmp_eq_u32_e32 vcc, 26, v234
	s_barrier
	s_and_saveexec_b64 s[4:5], vcc
	s_cbranch_execz .LBB99_242
; %bb.236:
	s_waitcnt vmcnt(49)
	ds_write2_b64 v194, v[88:89], v[90:91] offset1:1
	s_waitcnt vmcnt(48)
	ds_write2_b64 v233, v[84:85], v[86:87] offset0:54 offset1:55
	s_waitcnt vmcnt(47)
	ds_write2_b64 v233, v[80:81], v[82:83] offset0:56 offset1:57
	;; [unrolled: 2-line block ×23, first 2 shown]
	ds_read2_b64 v[200:203], v194 offset1:1
	s_waitcnt lgkmcnt(0)
	v_cmp_neq_f64_e32 vcc, 0, v[200:201]
	v_cmp_neq_f64_e64 s[2:3], 0, v[202:203]
	s_or_b64 s[2:3], vcc, s[2:3]
	s_and_b64 exec, exec, s[2:3]
	s_cbranch_execz .LBB99_242
; %bb.237:
	v_cmp_ngt_f64_e64 s[2:3], |v[200:201]|, |v[202:203]|
                                        ; implicit-def: $vgpr204_vgpr205
	s_and_saveexec_b64 s[10:11], s[2:3]
	s_xor_b64 s[2:3], exec, s[10:11]
                                        ; implicit-def: $vgpr206_vgpr207
	s_cbranch_execz .LBB99_239
; %bb.238:
	v_div_scale_f64 v[204:205], s[10:11], v[202:203], v[202:203], v[200:201]
	v_rcp_f64_e32 v[206:207], v[204:205]
	v_div_scale_f64 v[208:209], vcc, v[200:201], v[202:203], v[200:201]
	v_fma_f64 v[210:211], -v[204:205], v[206:207], 1.0
	v_fmac_f64_e32 v[206:207], v[206:207], v[210:211]
	v_fma_f64 v[210:211], -v[204:205], v[206:207], 1.0
	v_fmac_f64_e32 v[206:207], v[206:207], v[210:211]
	v_mul_f64 v[210:211], v[208:209], v[206:207]
	v_fma_f64 v[204:205], -v[204:205], v[210:211], v[208:209]
	v_div_fmas_f64 v[204:205], v[204:205], v[206:207], v[210:211]
	v_div_fixup_f64 v[204:205], v[204:205], v[202:203], v[200:201]
	v_fmac_f64_e32 v[202:203], v[200:201], v[204:205]
	v_div_scale_f64 v[200:201], s[10:11], v[202:203], v[202:203], 1.0
	v_rcp_f64_e32 v[206:207], v[200:201]
	s_nop 0
	v_fma_f64 v[208:209], -v[200:201], v[206:207], 1.0
	v_fmac_f64_e32 v[206:207], v[206:207], v[208:209]
	v_fma_f64 v[208:209], -v[200:201], v[206:207], 1.0
	v_fmac_f64_e32 v[206:207], v[206:207], v[208:209]
	v_div_scale_f64 v[208:209], vcc, 1.0, v[202:203], 1.0
	v_mul_f64 v[210:211], v[208:209], v[206:207]
	v_fma_f64 v[200:201], -v[200:201], v[210:211], v[208:209]
	s_nop 1
	v_div_fmas_f64 v[200:201], v[200:201], v[206:207], v[210:211]
	v_div_fixup_f64 v[206:207], v[200:201], v[202:203], 1.0
	v_mul_f64 v[204:205], v[204:205], v[206:207]
	v_xor_b32_e32 v207, 0x80000000, v207
                                        ; implicit-def: $vgpr200_vgpr201
.LBB99_239:
	s_andn2_saveexec_b64 s[2:3], s[2:3]
	s_cbranch_execz .LBB99_241
; %bb.240:
	v_div_scale_f64 v[204:205], s[10:11], v[200:201], v[200:201], v[202:203]
	v_rcp_f64_e32 v[206:207], v[204:205]
	v_div_scale_f64 v[208:209], vcc, v[202:203], v[200:201], v[202:203]
	v_fma_f64 v[210:211], -v[204:205], v[206:207], 1.0
	v_fmac_f64_e32 v[206:207], v[206:207], v[210:211]
	v_fma_f64 v[210:211], -v[204:205], v[206:207], 1.0
	v_fmac_f64_e32 v[206:207], v[206:207], v[210:211]
	v_mul_f64 v[210:211], v[208:209], v[206:207]
	v_fma_f64 v[204:205], -v[204:205], v[210:211], v[208:209]
	v_div_fmas_f64 v[204:205], v[204:205], v[206:207], v[210:211]
	v_div_fixup_f64 v[206:207], v[204:205], v[200:201], v[202:203]
	v_fmac_f64_e32 v[200:201], v[202:203], v[206:207]
	v_div_scale_f64 v[202:203], s[10:11], v[200:201], v[200:201], 1.0
	v_rcp_f64_e32 v[204:205], v[202:203]
	s_nop 0
	v_fma_f64 v[208:209], -v[202:203], v[204:205], 1.0
	v_fmac_f64_e32 v[204:205], v[204:205], v[208:209]
	v_fma_f64 v[208:209], -v[202:203], v[204:205], 1.0
	v_fmac_f64_e32 v[204:205], v[204:205], v[208:209]
	v_div_scale_f64 v[208:209], vcc, 1.0, v[200:201], 1.0
	v_mul_f64 v[210:211], v[208:209], v[204:205]
	v_fma_f64 v[202:203], -v[202:203], v[210:211], v[208:209]
	s_nop 1
	v_div_fmas_f64 v[202:203], v[202:203], v[204:205], v[210:211]
	v_div_fixup_f64 v[204:205], v[202:203], v[200:201], 1.0
	v_mul_f64 v[206:207], v[206:207], -v[204:205]
.LBB99_241:
	s_or_b64 exec, exec, s[2:3]
	ds_write2_b64 v194, v[204:205], v[206:207] offset1:1
.LBB99_242:
	s_or_b64 exec, exec, s[4:5]
	s_waitcnt lgkmcnt(0)
	s_barrier
	ds_read2_b64 v[200:203], v194 offset1:1
	v_cmp_lt_u32_e32 vcc, 26, v234
	s_waitcnt lgkmcnt(0)
	scratch_store_dwordx4 off, v[200:203], off offset:768 ; 16-byte Folded Spill
	s_and_saveexec_b64 s[2:3], vcc
	s_cbranch_execz .LBB99_244
; %bb.243:
	scratch_load_dwordx4 v[202:205], off, off offset:768 ; 16-byte Folded Reload
	s_waitcnt vmcnt(0)
	v_mul_f64 v[200:201], v[204:205], v[90:91]
	v_mul_f64 v[90:91], v[202:203], v[90:91]
	v_fma_f64 v[200:201], v[202:203], v[88:89], -v[200:201]
	v_fmac_f64_e32 v[90:91], v[204:205], v[88:89]
	ds_read2_b64 v[202:205], v233 offset0:54 offset1:55
	s_waitcnt lgkmcnt(0)
	v_mul_f64 v[88:89], v[204:205], v[90:91]
	v_fma_f64 v[88:89], v[202:203], v[200:201], -v[88:89]
	v_mul_f64 v[202:203], v[202:203], v[90:91]
	v_fmac_f64_e32 v[202:203], v[204:205], v[200:201]
	v_add_f64 v[86:87], v[86:87], -v[202:203]
	ds_read2_b64 v[202:205], v233 offset0:56 offset1:57
	v_add_f64 v[84:85], v[84:85], -v[88:89]
	s_waitcnt lgkmcnt(0)
	v_mul_f64 v[88:89], v[204:205], v[90:91]
	v_fma_f64 v[88:89], v[202:203], v[200:201], -v[88:89]
	v_mul_f64 v[202:203], v[202:203], v[90:91]
	v_fmac_f64_e32 v[202:203], v[204:205], v[200:201]
	v_add_f64 v[82:83], v[82:83], -v[202:203]
	ds_read2_b64 v[202:205], v233 offset0:58 offset1:59
	v_add_f64 v[80:81], v[80:81], -v[88:89]
	;; [unrolled: 8-line block ×22, first 2 shown]
	s_waitcnt lgkmcnt(0)
	v_mul_f64 v[88:89], v[204:205], v[90:91]
	v_fma_f64 v[88:89], v[202:203], v[200:201], -v[88:89]
	v_mul_f64 v[202:203], v[202:203], v[90:91]
	v_fmac_f64_e32 v[202:203], v[204:205], v[200:201]
	v_add_f64 v[196:197], v[196:197], -v[88:89]
	v_add_f64 v[198:199], v[198:199], -v[202:203]
	v_mov_b64_e32 v[88:89], v[200:201]
.LBB99_244:
	s_or_b64 exec, exec, s[2:3]
	v_cmp_eq_u32_e32 vcc, 27, v234
	s_barrier
	s_and_saveexec_b64 s[4:5], vcc
	s_cbranch_execz .LBB99_251
; %bb.245:
	s_waitcnt vmcnt(49)
	ds_write2_b64 v194, v[84:85], v[86:87] offset1:1
	s_waitcnt vmcnt(48)
	ds_write2_b64 v233, v[80:81], v[82:83] offset0:56 offset1:57
	s_waitcnt vmcnt(47)
	ds_write2_b64 v233, v[76:77], v[78:79] offset0:58 offset1:59
	;; [unrolled: 2-line block ×22, first 2 shown]
	ds_read2_b64 v[200:203], v194 offset1:1
	s_waitcnt lgkmcnt(0)
	v_cmp_neq_f64_e32 vcc, 0, v[200:201]
	v_cmp_neq_f64_e64 s[2:3], 0, v[202:203]
	s_or_b64 s[2:3], vcc, s[2:3]
	s_and_b64 exec, exec, s[2:3]
	s_cbranch_execz .LBB99_251
; %bb.246:
	v_cmp_ngt_f64_e64 s[2:3], |v[200:201]|, |v[202:203]|
                                        ; implicit-def: $vgpr204_vgpr205
	s_and_saveexec_b64 s[10:11], s[2:3]
	s_xor_b64 s[2:3], exec, s[10:11]
                                        ; implicit-def: $vgpr206_vgpr207
	s_cbranch_execz .LBB99_248
; %bb.247:
	v_div_scale_f64 v[204:205], s[10:11], v[202:203], v[202:203], v[200:201]
	v_rcp_f64_e32 v[206:207], v[204:205]
	v_div_scale_f64 v[208:209], vcc, v[200:201], v[202:203], v[200:201]
	v_fma_f64 v[210:211], -v[204:205], v[206:207], 1.0
	v_fmac_f64_e32 v[206:207], v[206:207], v[210:211]
	v_fma_f64 v[210:211], -v[204:205], v[206:207], 1.0
	v_fmac_f64_e32 v[206:207], v[206:207], v[210:211]
	v_mul_f64 v[210:211], v[208:209], v[206:207]
	v_fma_f64 v[204:205], -v[204:205], v[210:211], v[208:209]
	v_div_fmas_f64 v[204:205], v[204:205], v[206:207], v[210:211]
	v_div_fixup_f64 v[204:205], v[204:205], v[202:203], v[200:201]
	v_fmac_f64_e32 v[202:203], v[200:201], v[204:205]
	v_div_scale_f64 v[200:201], s[10:11], v[202:203], v[202:203], 1.0
	v_rcp_f64_e32 v[206:207], v[200:201]
	s_nop 0
	v_fma_f64 v[208:209], -v[200:201], v[206:207], 1.0
	v_fmac_f64_e32 v[206:207], v[206:207], v[208:209]
	v_fma_f64 v[208:209], -v[200:201], v[206:207], 1.0
	v_fmac_f64_e32 v[206:207], v[206:207], v[208:209]
	v_div_scale_f64 v[208:209], vcc, 1.0, v[202:203], 1.0
	v_mul_f64 v[210:211], v[208:209], v[206:207]
	v_fma_f64 v[200:201], -v[200:201], v[210:211], v[208:209]
	s_nop 1
	v_div_fmas_f64 v[200:201], v[200:201], v[206:207], v[210:211]
	v_div_fixup_f64 v[206:207], v[200:201], v[202:203], 1.0
	v_mul_f64 v[204:205], v[204:205], v[206:207]
	v_xor_b32_e32 v207, 0x80000000, v207
                                        ; implicit-def: $vgpr200_vgpr201
.LBB99_248:
	s_andn2_saveexec_b64 s[2:3], s[2:3]
	s_cbranch_execz .LBB99_250
; %bb.249:
	v_div_scale_f64 v[204:205], s[10:11], v[200:201], v[200:201], v[202:203]
	v_rcp_f64_e32 v[206:207], v[204:205]
	v_div_scale_f64 v[208:209], vcc, v[202:203], v[200:201], v[202:203]
	v_fma_f64 v[210:211], -v[204:205], v[206:207], 1.0
	v_fmac_f64_e32 v[206:207], v[206:207], v[210:211]
	v_fma_f64 v[210:211], -v[204:205], v[206:207], 1.0
	v_fmac_f64_e32 v[206:207], v[206:207], v[210:211]
	v_mul_f64 v[210:211], v[208:209], v[206:207]
	v_fma_f64 v[204:205], -v[204:205], v[210:211], v[208:209]
	v_div_fmas_f64 v[204:205], v[204:205], v[206:207], v[210:211]
	v_div_fixup_f64 v[206:207], v[204:205], v[200:201], v[202:203]
	v_fmac_f64_e32 v[200:201], v[202:203], v[206:207]
	v_div_scale_f64 v[202:203], s[10:11], v[200:201], v[200:201], 1.0
	v_rcp_f64_e32 v[204:205], v[202:203]
	s_nop 0
	v_fma_f64 v[208:209], -v[202:203], v[204:205], 1.0
	v_fmac_f64_e32 v[204:205], v[204:205], v[208:209]
	v_fma_f64 v[208:209], -v[202:203], v[204:205], 1.0
	v_fmac_f64_e32 v[204:205], v[204:205], v[208:209]
	v_div_scale_f64 v[208:209], vcc, 1.0, v[200:201], 1.0
	v_mul_f64 v[210:211], v[208:209], v[204:205]
	v_fma_f64 v[202:203], -v[202:203], v[210:211], v[208:209]
	s_nop 1
	v_div_fmas_f64 v[202:203], v[202:203], v[204:205], v[210:211]
	v_div_fixup_f64 v[204:205], v[202:203], v[200:201], 1.0
	v_mul_f64 v[206:207], v[206:207], -v[204:205]
.LBB99_250:
	s_or_b64 exec, exec, s[2:3]
	ds_write2_b64 v194, v[204:205], v[206:207] offset1:1
.LBB99_251:
	s_or_b64 exec, exec, s[4:5]
	s_waitcnt lgkmcnt(0)
	s_barrier
	ds_read2_b64 v[200:203], v194 offset1:1
	v_cmp_lt_u32_e32 vcc, 27, v234
	s_waitcnt lgkmcnt(0)
	scratch_store_dwordx4 off, v[200:203], off offset:784 ; 16-byte Folded Spill
	s_and_saveexec_b64 s[2:3], vcc
	s_cbranch_execz .LBB99_253
; %bb.252:
	scratch_load_dwordx4 v[202:205], off, off offset:784 ; 16-byte Folded Reload
	s_waitcnt vmcnt(0)
	v_mul_f64 v[200:201], v[204:205], v[86:87]
	v_mul_f64 v[86:87], v[202:203], v[86:87]
	v_fma_f64 v[200:201], v[202:203], v[84:85], -v[200:201]
	v_fmac_f64_e32 v[86:87], v[204:205], v[84:85]
	ds_read2_b64 v[202:205], v233 offset0:56 offset1:57
	s_waitcnt lgkmcnt(0)
	v_mul_f64 v[84:85], v[204:205], v[86:87]
	v_fma_f64 v[84:85], v[202:203], v[200:201], -v[84:85]
	v_mul_f64 v[202:203], v[202:203], v[86:87]
	v_fmac_f64_e32 v[202:203], v[204:205], v[200:201]
	v_add_f64 v[82:83], v[82:83], -v[202:203]
	ds_read2_b64 v[202:205], v233 offset0:58 offset1:59
	v_add_f64 v[80:81], v[80:81], -v[84:85]
	s_waitcnt lgkmcnt(0)
	v_mul_f64 v[84:85], v[204:205], v[86:87]
	v_fma_f64 v[84:85], v[202:203], v[200:201], -v[84:85]
	v_mul_f64 v[202:203], v[202:203], v[86:87]
	v_fmac_f64_e32 v[202:203], v[204:205], v[200:201]
	v_add_f64 v[78:79], v[78:79], -v[202:203]
	ds_read2_b64 v[202:205], v233 offset0:60 offset1:61
	v_add_f64 v[76:77], v[76:77], -v[84:85]
	;; [unrolled: 8-line block ×21, first 2 shown]
	s_waitcnt lgkmcnt(0)
	v_mul_f64 v[84:85], v[204:205], v[86:87]
	v_fma_f64 v[84:85], v[202:203], v[200:201], -v[84:85]
	v_mul_f64 v[202:203], v[202:203], v[86:87]
	v_fmac_f64_e32 v[202:203], v[204:205], v[200:201]
	v_add_f64 v[196:197], v[196:197], -v[84:85]
	v_add_f64 v[198:199], v[198:199], -v[202:203]
	v_mov_b64_e32 v[84:85], v[200:201]
.LBB99_253:
	s_or_b64 exec, exec, s[2:3]
	v_cmp_eq_u32_e32 vcc, 28, v234
	s_barrier
	s_and_saveexec_b64 s[4:5], vcc
	s_cbranch_execz .LBB99_260
; %bb.254:
	s_waitcnt vmcnt(49)
	ds_write2_b64 v194, v[80:81], v[82:83] offset1:1
	s_waitcnt vmcnt(48)
	ds_write2_b64 v233, v[76:77], v[78:79] offset0:58 offset1:59
	s_waitcnt vmcnt(47)
	ds_write2_b64 v233, v[72:73], v[74:75] offset0:60 offset1:61
	;; [unrolled: 2-line block ×21, first 2 shown]
	ds_read2_b64 v[200:203], v194 offset1:1
	s_waitcnt lgkmcnt(0)
	v_cmp_neq_f64_e32 vcc, 0, v[200:201]
	v_cmp_neq_f64_e64 s[2:3], 0, v[202:203]
	s_or_b64 s[2:3], vcc, s[2:3]
	s_and_b64 exec, exec, s[2:3]
	s_cbranch_execz .LBB99_260
; %bb.255:
	v_cmp_ngt_f64_e64 s[2:3], |v[200:201]|, |v[202:203]|
                                        ; implicit-def: $vgpr204_vgpr205
	s_and_saveexec_b64 s[10:11], s[2:3]
	s_xor_b64 s[2:3], exec, s[10:11]
                                        ; implicit-def: $vgpr206_vgpr207
	s_cbranch_execz .LBB99_257
; %bb.256:
	v_div_scale_f64 v[204:205], s[10:11], v[202:203], v[202:203], v[200:201]
	v_rcp_f64_e32 v[206:207], v[204:205]
	v_div_scale_f64 v[208:209], vcc, v[200:201], v[202:203], v[200:201]
	v_fma_f64 v[210:211], -v[204:205], v[206:207], 1.0
	v_fmac_f64_e32 v[206:207], v[206:207], v[210:211]
	v_fma_f64 v[210:211], -v[204:205], v[206:207], 1.0
	v_fmac_f64_e32 v[206:207], v[206:207], v[210:211]
	v_mul_f64 v[210:211], v[208:209], v[206:207]
	v_fma_f64 v[204:205], -v[204:205], v[210:211], v[208:209]
	v_div_fmas_f64 v[204:205], v[204:205], v[206:207], v[210:211]
	v_div_fixup_f64 v[204:205], v[204:205], v[202:203], v[200:201]
	v_fmac_f64_e32 v[202:203], v[200:201], v[204:205]
	v_div_scale_f64 v[200:201], s[10:11], v[202:203], v[202:203], 1.0
	v_rcp_f64_e32 v[206:207], v[200:201]
	s_nop 0
	v_fma_f64 v[208:209], -v[200:201], v[206:207], 1.0
	v_fmac_f64_e32 v[206:207], v[206:207], v[208:209]
	v_fma_f64 v[208:209], -v[200:201], v[206:207], 1.0
	v_fmac_f64_e32 v[206:207], v[206:207], v[208:209]
	v_div_scale_f64 v[208:209], vcc, 1.0, v[202:203], 1.0
	v_mul_f64 v[210:211], v[208:209], v[206:207]
	v_fma_f64 v[200:201], -v[200:201], v[210:211], v[208:209]
	s_nop 1
	v_div_fmas_f64 v[200:201], v[200:201], v[206:207], v[210:211]
	v_div_fixup_f64 v[206:207], v[200:201], v[202:203], 1.0
	v_mul_f64 v[204:205], v[204:205], v[206:207]
	v_xor_b32_e32 v207, 0x80000000, v207
                                        ; implicit-def: $vgpr200_vgpr201
.LBB99_257:
	s_andn2_saveexec_b64 s[2:3], s[2:3]
	s_cbranch_execz .LBB99_259
; %bb.258:
	v_div_scale_f64 v[204:205], s[10:11], v[200:201], v[200:201], v[202:203]
	v_rcp_f64_e32 v[206:207], v[204:205]
	v_div_scale_f64 v[208:209], vcc, v[202:203], v[200:201], v[202:203]
	v_fma_f64 v[210:211], -v[204:205], v[206:207], 1.0
	v_fmac_f64_e32 v[206:207], v[206:207], v[210:211]
	v_fma_f64 v[210:211], -v[204:205], v[206:207], 1.0
	v_fmac_f64_e32 v[206:207], v[206:207], v[210:211]
	v_mul_f64 v[210:211], v[208:209], v[206:207]
	v_fma_f64 v[204:205], -v[204:205], v[210:211], v[208:209]
	v_div_fmas_f64 v[204:205], v[204:205], v[206:207], v[210:211]
	v_div_fixup_f64 v[206:207], v[204:205], v[200:201], v[202:203]
	v_fmac_f64_e32 v[200:201], v[202:203], v[206:207]
	v_div_scale_f64 v[202:203], s[10:11], v[200:201], v[200:201], 1.0
	v_rcp_f64_e32 v[204:205], v[202:203]
	s_nop 0
	v_fma_f64 v[208:209], -v[202:203], v[204:205], 1.0
	v_fmac_f64_e32 v[204:205], v[204:205], v[208:209]
	v_fma_f64 v[208:209], -v[202:203], v[204:205], 1.0
	v_fmac_f64_e32 v[204:205], v[204:205], v[208:209]
	v_div_scale_f64 v[208:209], vcc, 1.0, v[200:201], 1.0
	v_mul_f64 v[210:211], v[208:209], v[204:205]
	v_fma_f64 v[202:203], -v[202:203], v[210:211], v[208:209]
	s_nop 1
	v_div_fmas_f64 v[202:203], v[202:203], v[204:205], v[210:211]
	v_div_fixup_f64 v[204:205], v[202:203], v[200:201], 1.0
	v_mul_f64 v[206:207], v[206:207], -v[204:205]
.LBB99_259:
	s_or_b64 exec, exec, s[2:3]
	ds_write2_b64 v194, v[204:205], v[206:207] offset1:1
.LBB99_260:
	s_or_b64 exec, exec, s[4:5]
	s_waitcnt lgkmcnt(0)
	s_barrier
	ds_read2_b64 v[200:203], v194 offset1:1
	v_cmp_lt_u32_e32 vcc, 28, v234
	s_waitcnt lgkmcnt(0)
	scratch_store_dwordx4 off, v[200:203], off offset:800 ; 16-byte Folded Spill
	s_and_saveexec_b64 s[2:3], vcc
	s_cbranch_execz .LBB99_262
; %bb.261:
	scratch_load_dwordx4 v[202:205], off, off offset:800 ; 16-byte Folded Reload
	s_waitcnt vmcnt(0)
	v_mul_f64 v[200:201], v[204:205], v[82:83]
	v_mul_f64 v[82:83], v[202:203], v[82:83]
	v_fma_f64 v[200:201], v[202:203], v[80:81], -v[200:201]
	v_fmac_f64_e32 v[82:83], v[204:205], v[80:81]
	ds_read2_b64 v[202:205], v233 offset0:58 offset1:59
	s_waitcnt lgkmcnt(0)
	v_mul_f64 v[80:81], v[204:205], v[82:83]
	v_fma_f64 v[80:81], v[202:203], v[200:201], -v[80:81]
	v_mul_f64 v[202:203], v[202:203], v[82:83]
	v_fmac_f64_e32 v[202:203], v[204:205], v[200:201]
	v_add_f64 v[78:79], v[78:79], -v[202:203]
	ds_read2_b64 v[202:205], v233 offset0:60 offset1:61
	v_add_f64 v[76:77], v[76:77], -v[80:81]
	s_waitcnt lgkmcnt(0)
	v_mul_f64 v[80:81], v[204:205], v[82:83]
	v_fma_f64 v[80:81], v[202:203], v[200:201], -v[80:81]
	v_mul_f64 v[202:203], v[202:203], v[82:83]
	v_fmac_f64_e32 v[202:203], v[204:205], v[200:201]
	v_add_f64 v[74:75], v[74:75], -v[202:203]
	ds_read2_b64 v[202:205], v233 offset0:62 offset1:63
	v_add_f64 v[72:73], v[72:73], -v[80:81]
	s_waitcnt lgkmcnt(0)
	v_mul_f64 v[80:81], v[204:205], v[82:83]
	v_fma_f64 v[80:81], v[202:203], v[200:201], -v[80:81]
	v_mul_f64 v[202:203], v[202:203], v[82:83]
	v_fmac_f64_e32 v[202:203], v[204:205], v[200:201]
	v_add_f64 v[70:71], v[70:71], -v[202:203]
	ds_read2_b64 v[202:205], v233 offset0:64 offset1:65
	v_add_f64 v[68:69], v[68:69], -v[80:81]
	s_waitcnt lgkmcnt(0)
	v_mul_f64 v[80:81], v[204:205], v[82:83]
	v_fma_f64 v[80:81], v[202:203], v[200:201], -v[80:81]
	v_mul_f64 v[202:203], v[202:203], v[82:83]
	v_fmac_f64_e32 v[202:203], v[204:205], v[200:201]
	v_add_f64 v[66:67], v[66:67], -v[202:203]
	ds_read2_b64 v[202:205], v233 offset0:66 offset1:67
	v_add_f64 v[64:65], v[64:65], -v[80:81]
	s_waitcnt lgkmcnt(0)
	v_mul_f64 v[80:81], v[204:205], v[82:83]
	v_fma_f64 v[80:81], v[202:203], v[200:201], -v[80:81]
	v_mul_f64 v[202:203], v[202:203], v[82:83]
	v_fmac_f64_e32 v[202:203], v[204:205], v[200:201]
	v_add_f64 v[62:63], v[62:63], -v[202:203]
	ds_read2_b64 v[202:205], v233 offset0:68 offset1:69
	v_add_f64 v[60:61], v[60:61], -v[80:81]
	s_waitcnt lgkmcnt(0)
	v_mul_f64 v[80:81], v[204:205], v[82:83]
	v_fma_f64 v[80:81], v[202:203], v[200:201], -v[80:81]
	v_mul_f64 v[202:203], v[202:203], v[82:83]
	v_fmac_f64_e32 v[202:203], v[204:205], v[200:201]
	v_add_f64 v[58:59], v[58:59], -v[202:203]
	ds_read2_b64 v[202:205], v233 offset0:70 offset1:71
	v_add_f64 v[56:57], v[56:57], -v[80:81]
	s_waitcnt lgkmcnt(0)
	v_mul_f64 v[80:81], v[204:205], v[82:83]
	v_fma_f64 v[80:81], v[202:203], v[200:201], -v[80:81]
	v_mul_f64 v[202:203], v[202:203], v[82:83]
	v_fmac_f64_e32 v[202:203], v[204:205], v[200:201]
	v_add_f64 v[54:55], v[54:55], -v[202:203]
	ds_read2_b64 v[202:205], v233 offset0:72 offset1:73
	v_add_f64 v[52:53], v[52:53], -v[80:81]
	s_waitcnt lgkmcnt(0)
	v_mul_f64 v[80:81], v[204:205], v[82:83]
	v_fma_f64 v[80:81], v[202:203], v[200:201], -v[80:81]
	v_mul_f64 v[202:203], v[202:203], v[82:83]
	v_fmac_f64_e32 v[202:203], v[204:205], v[200:201]
	v_add_f64 v[50:51], v[50:51], -v[202:203]
	ds_read2_b64 v[202:205], v233 offset0:74 offset1:75
	v_add_f64 v[48:49], v[48:49], -v[80:81]
	s_waitcnt lgkmcnt(0)
	v_mul_f64 v[80:81], v[204:205], v[82:83]
	v_fma_f64 v[80:81], v[202:203], v[200:201], -v[80:81]
	v_mul_f64 v[202:203], v[202:203], v[82:83]
	v_fmac_f64_e32 v[202:203], v[204:205], v[200:201]
	v_add_f64 v[46:47], v[46:47], -v[202:203]
	ds_read2_b64 v[202:205], v233 offset0:76 offset1:77
	v_add_f64 v[44:45], v[44:45], -v[80:81]
	s_waitcnt lgkmcnt(0)
	v_mul_f64 v[80:81], v[204:205], v[82:83]
	v_fma_f64 v[80:81], v[202:203], v[200:201], -v[80:81]
	v_mul_f64 v[202:203], v[202:203], v[82:83]
	v_fmac_f64_e32 v[202:203], v[204:205], v[200:201]
	v_add_f64 v[42:43], v[42:43], -v[202:203]
	ds_read2_b64 v[202:205], v233 offset0:78 offset1:79
	v_add_f64 v[40:41], v[40:41], -v[80:81]
	s_waitcnt lgkmcnt(0)
	v_mul_f64 v[80:81], v[204:205], v[82:83]
	v_fma_f64 v[80:81], v[202:203], v[200:201], -v[80:81]
	v_mul_f64 v[202:203], v[202:203], v[82:83]
	v_fmac_f64_e32 v[202:203], v[204:205], v[200:201]
	v_add_f64 v[38:39], v[38:39], -v[202:203]
	ds_read2_b64 v[202:205], v233 offset0:80 offset1:81
	v_add_f64 v[36:37], v[36:37], -v[80:81]
	s_waitcnt lgkmcnt(0)
	v_mul_f64 v[80:81], v[204:205], v[82:83]
	v_fma_f64 v[80:81], v[202:203], v[200:201], -v[80:81]
	v_mul_f64 v[202:203], v[202:203], v[82:83]
	v_fmac_f64_e32 v[202:203], v[204:205], v[200:201]
	v_add_f64 v[34:35], v[34:35], -v[202:203]
	ds_read2_b64 v[202:205], v233 offset0:82 offset1:83
	v_add_f64 v[32:33], v[32:33], -v[80:81]
	s_waitcnt lgkmcnt(0)
	v_mul_f64 v[80:81], v[204:205], v[82:83]
	v_fma_f64 v[80:81], v[202:203], v[200:201], -v[80:81]
	v_mul_f64 v[202:203], v[202:203], v[82:83]
	v_fmac_f64_e32 v[202:203], v[204:205], v[200:201]
	v_add_f64 v[30:31], v[30:31], -v[202:203]
	ds_read2_b64 v[202:205], v233 offset0:84 offset1:85
	v_add_f64 v[28:29], v[28:29], -v[80:81]
	s_waitcnt lgkmcnt(0)
	v_mul_f64 v[80:81], v[204:205], v[82:83]
	v_fma_f64 v[80:81], v[202:203], v[200:201], -v[80:81]
	v_mul_f64 v[202:203], v[202:203], v[82:83]
	v_fmac_f64_e32 v[202:203], v[204:205], v[200:201]
	v_add_f64 v[26:27], v[26:27], -v[202:203]
	ds_read2_b64 v[202:205], v233 offset0:86 offset1:87
	v_add_f64 v[24:25], v[24:25], -v[80:81]
	s_waitcnt lgkmcnt(0)
	v_mul_f64 v[80:81], v[204:205], v[82:83]
	v_fma_f64 v[80:81], v[202:203], v[200:201], -v[80:81]
	v_mul_f64 v[202:203], v[202:203], v[82:83]
	v_fmac_f64_e32 v[202:203], v[204:205], v[200:201]
	v_add_f64 v[22:23], v[22:23], -v[202:203]
	ds_read2_b64 v[202:205], v233 offset0:88 offset1:89
	v_add_f64 v[20:21], v[20:21], -v[80:81]
	s_waitcnt lgkmcnt(0)
	v_mul_f64 v[80:81], v[204:205], v[82:83]
	v_fma_f64 v[80:81], v[202:203], v[200:201], -v[80:81]
	v_mul_f64 v[202:203], v[202:203], v[82:83]
	v_fmac_f64_e32 v[202:203], v[204:205], v[200:201]
	v_add_f64 v[18:19], v[18:19], -v[202:203]
	ds_read2_b64 v[202:205], v233 offset0:90 offset1:91
	v_add_f64 v[16:17], v[16:17], -v[80:81]
	s_waitcnt lgkmcnt(0)
	v_mul_f64 v[80:81], v[204:205], v[82:83]
	v_fma_f64 v[80:81], v[202:203], v[200:201], -v[80:81]
	v_mul_f64 v[202:203], v[202:203], v[82:83]
	v_fmac_f64_e32 v[202:203], v[204:205], v[200:201]
	v_add_f64 v[14:15], v[14:15], -v[202:203]
	ds_read2_b64 v[202:205], v233 offset0:92 offset1:93
	v_add_f64 v[12:13], v[12:13], -v[80:81]
	s_waitcnt lgkmcnt(0)
	v_mul_f64 v[80:81], v[204:205], v[82:83]
	v_fma_f64 v[80:81], v[202:203], v[200:201], -v[80:81]
	v_mul_f64 v[202:203], v[202:203], v[82:83]
	v_fmac_f64_e32 v[202:203], v[204:205], v[200:201]
	v_add_f64 v[10:11], v[10:11], -v[202:203]
	ds_read2_b64 v[202:205], v233 offset0:94 offset1:95
	v_add_f64 v[8:9], v[8:9], -v[80:81]
	s_waitcnt lgkmcnt(0)
	v_mul_f64 v[80:81], v[204:205], v[82:83]
	v_fma_f64 v[80:81], v[202:203], v[200:201], -v[80:81]
	v_mul_f64 v[202:203], v[202:203], v[82:83]
	v_fmac_f64_e32 v[202:203], v[204:205], v[200:201]
	v_add_f64 v[6:7], v[6:7], -v[202:203]
	ds_read2_b64 v[202:205], v233 offset0:96 offset1:97
	v_add_f64 v[4:5], v[4:5], -v[80:81]
	s_waitcnt lgkmcnt(0)
	v_mul_f64 v[80:81], v[204:205], v[82:83]
	v_fma_f64 v[80:81], v[202:203], v[200:201], -v[80:81]
	v_mul_f64 v[202:203], v[202:203], v[82:83]
	v_fmac_f64_e32 v[202:203], v[204:205], v[200:201]
	v_add_f64 v[2:3], v[2:3], -v[202:203]
	ds_read2_b64 v[202:205], v233 offset0:98 offset1:99
	v_add_f64 v[0:1], v[0:1], -v[80:81]
	s_waitcnt lgkmcnt(0)
	v_mul_f64 v[80:81], v[204:205], v[82:83]
	v_fma_f64 v[80:81], v[202:203], v[200:201], -v[80:81]
	v_mul_f64 v[202:203], v[202:203], v[82:83]
	v_fmac_f64_e32 v[202:203], v[204:205], v[200:201]
	v_add_f64 v[196:197], v[196:197], -v[80:81]
	v_add_f64 v[198:199], v[198:199], -v[202:203]
	v_mov_b64_e32 v[80:81], v[200:201]
.LBB99_262:
	s_or_b64 exec, exec, s[2:3]
	v_cmp_eq_u32_e32 vcc, 29, v234
	s_barrier
	s_and_saveexec_b64 s[4:5], vcc
	s_cbranch_execz .LBB99_269
; %bb.263:
	s_waitcnt vmcnt(49)
	ds_write2_b64 v194, v[76:77], v[78:79] offset1:1
	s_waitcnt vmcnt(48)
	ds_write2_b64 v233, v[72:73], v[74:75] offset0:60 offset1:61
	s_waitcnt vmcnt(47)
	ds_write2_b64 v233, v[68:69], v[70:71] offset0:62 offset1:63
	;; [unrolled: 2-line block ×20, first 2 shown]
	ds_read2_b64 v[200:203], v194 offset1:1
	s_waitcnt lgkmcnt(0)
	v_cmp_neq_f64_e32 vcc, 0, v[200:201]
	v_cmp_neq_f64_e64 s[2:3], 0, v[202:203]
	s_or_b64 s[2:3], vcc, s[2:3]
	s_and_b64 exec, exec, s[2:3]
	s_cbranch_execz .LBB99_269
; %bb.264:
	v_cmp_ngt_f64_e64 s[2:3], |v[200:201]|, |v[202:203]|
                                        ; implicit-def: $vgpr204_vgpr205
	s_and_saveexec_b64 s[10:11], s[2:3]
	s_xor_b64 s[2:3], exec, s[10:11]
                                        ; implicit-def: $vgpr206_vgpr207
	s_cbranch_execz .LBB99_266
; %bb.265:
	v_div_scale_f64 v[204:205], s[10:11], v[202:203], v[202:203], v[200:201]
	v_rcp_f64_e32 v[206:207], v[204:205]
	v_div_scale_f64 v[208:209], vcc, v[200:201], v[202:203], v[200:201]
	v_fma_f64 v[210:211], -v[204:205], v[206:207], 1.0
	v_fmac_f64_e32 v[206:207], v[206:207], v[210:211]
	v_fma_f64 v[210:211], -v[204:205], v[206:207], 1.0
	v_fmac_f64_e32 v[206:207], v[206:207], v[210:211]
	v_mul_f64 v[210:211], v[208:209], v[206:207]
	v_fma_f64 v[204:205], -v[204:205], v[210:211], v[208:209]
	v_div_fmas_f64 v[204:205], v[204:205], v[206:207], v[210:211]
	v_div_fixup_f64 v[204:205], v[204:205], v[202:203], v[200:201]
	v_fmac_f64_e32 v[202:203], v[200:201], v[204:205]
	v_div_scale_f64 v[200:201], s[10:11], v[202:203], v[202:203], 1.0
	v_rcp_f64_e32 v[206:207], v[200:201]
	s_nop 0
	v_fma_f64 v[208:209], -v[200:201], v[206:207], 1.0
	v_fmac_f64_e32 v[206:207], v[206:207], v[208:209]
	v_fma_f64 v[208:209], -v[200:201], v[206:207], 1.0
	v_fmac_f64_e32 v[206:207], v[206:207], v[208:209]
	v_div_scale_f64 v[208:209], vcc, 1.0, v[202:203], 1.0
	v_mul_f64 v[210:211], v[208:209], v[206:207]
	v_fma_f64 v[200:201], -v[200:201], v[210:211], v[208:209]
	s_nop 1
	v_div_fmas_f64 v[200:201], v[200:201], v[206:207], v[210:211]
	v_div_fixup_f64 v[206:207], v[200:201], v[202:203], 1.0
	v_mul_f64 v[204:205], v[204:205], v[206:207]
	v_xor_b32_e32 v207, 0x80000000, v207
                                        ; implicit-def: $vgpr200_vgpr201
.LBB99_266:
	s_andn2_saveexec_b64 s[2:3], s[2:3]
	s_cbranch_execz .LBB99_268
; %bb.267:
	v_div_scale_f64 v[204:205], s[10:11], v[200:201], v[200:201], v[202:203]
	v_rcp_f64_e32 v[206:207], v[204:205]
	v_div_scale_f64 v[208:209], vcc, v[202:203], v[200:201], v[202:203]
	v_fma_f64 v[210:211], -v[204:205], v[206:207], 1.0
	v_fmac_f64_e32 v[206:207], v[206:207], v[210:211]
	v_fma_f64 v[210:211], -v[204:205], v[206:207], 1.0
	v_fmac_f64_e32 v[206:207], v[206:207], v[210:211]
	v_mul_f64 v[210:211], v[208:209], v[206:207]
	v_fma_f64 v[204:205], -v[204:205], v[210:211], v[208:209]
	v_div_fmas_f64 v[204:205], v[204:205], v[206:207], v[210:211]
	v_div_fixup_f64 v[206:207], v[204:205], v[200:201], v[202:203]
	v_fmac_f64_e32 v[200:201], v[202:203], v[206:207]
	v_div_scale_f64 v[202:203], s[10:11], v[200:201], v[200:201], 1.0
	v_rcp_f64_e32 v[204:205], v[202:203]
	s_nop 0
	v_fma_f64 v[208:209], -v[202:203], v[204:205], 1.0
	v_fmac_f64_e32 v[204:205], v[204:205], v[208:209]
	v_fma_f64 v[208:209], -v[202:203], v[204:205], 1.0
	v_fmac_f64_e32 v[204:205], v[204:205], v[208:209]
	v_div_scale_f64 v[208:209], vcc, 1.0, v[200:201], 1.0
	v_mul_f64 v[210:211], v[208:209], v[204:205]
	v_fma_f64 v[202:203], -v[202:203], v[210:211], v[208:209]
	s_nop 1
	v_div_fmas_f64 v[202:203], v[202:203], v[204:205], v[210:211]
	v_div_fixup_f64 v[204:205], v[202:203], v[200:201], 1.0
	v_mul_f64 v[206:207], v[206:207], -v[204:205]
.LBB99_268:
	s_or_b64 exec, exec, s[2:3]
	ds_write2_b64 v194, v[204:205], v[206:207] offset1:1
.LBB99_269:
	s_or_b64 exec, exec, s[4:5]
	s_waitcnt lgkmcnt(0)
	s_barrier
	ds_read2_b64 v[200:203], v194 offset1:1
	v_cmp_lt_u32_e32 vcc, 29, v234
	s_waitcnt lgkmcnt(0)
	scratch_store_dwordx4 off, v[200:203], off offset:816 ; 16-byte Folded Spill
	s_and_saveexec_b64 s[2:3], vcc
	s_cbranch_execz .LBB99_271
; %bb.270:
	scratch_load_dwordx4 v[202:205], off, off offset:816 ; 16-byte Folded Reload
	s_waitcnt vmcnt(0)
	v_mul_f64 v[200:201], v[204:205], v[78:79]
	v_mul_f64 v[78:79], v[202:203], v[78:79]
	v_fma_f64 v[200:201], v[202:203], v[76:77], -v[200:201]
	v_fmac_f64_e32 v[78:79], v[204:205], v[76:77]
	ds_read2_b64 v[202:205], v233 offset0:60 offset1:61
	s_waitcnt lgkmcnt(0)
	v_mul_f64 v[76:77], v[204:205], v[78:79]
	v_fma_f64 v[76:77], v[202:203], v[200:201], -v[76:77]
	v_mul_f64 v[202:203], v[202:203], v[78:79]
	v_fmac_f64_e32 v[202:203], v[204:205], v[200:201]
	v_add_f64 v[74:75], v[74:75], -v[202:203]
	ds_read2_b64 v[202:205], v233 offset0:62 offset1:63
	v_add_f64 v[72:73], v[72:73], -v[76:77]
	s_waitcnt lgkmcnt(0)
	v_mul_f64 v[76:77], v[204:205], v[78:79]
	v_fma_f64 v[76:77], v[202:203], v[200:201], -v[76:77]
	v_mul_f64 v[202:203], v[202:203], v[78:79]
	v_fmac_f64_e32 v[202:203], v[204:205], v[200:201]
	v_add_f64 v[70:71], v[70:71], -v[202:203]
	ds_read2_b64 v[202:205], v233 offset0:64 offset1:65
	v_add_f64 v[68:69], v[68:69], -v[76:77]
	;; [unrolled: 8-line block ×19, first 2 shown]
	s_waitcnt lgkmcnt(0)
	v_mul_f64 v[76:77], v[204:205], v[78:79]
	v_fma_f64 v[76:77], v[202:203], v[200:201], -v[76:77]
	v_mul_f64 v[202:203], v[202:203], v[78:79]
	v_fmac_f64_e32 v[202:203], v[204:205], v[200:201]
	v_add_f64 v[196:197], v[196:197], -v[76:77]
	v_add_f64 v[198:199], v[198:199], -v[202:203]
	v_mov_b64_e32 v[76:77], v[200:201]
.LBB99_271:
	s_or_b64 exec, exec, s[2:3]
	v_cmp_eq_u32_e32 vcc, 30, v234
	s_barrier
	s_and_saveexec_b64 s[4:5], vcc
	s_cbranch_execz .LBB99_278
; %bb.272:
	s_waitcnt vmcnt(49)
	ds_write2_b64 v194, v[72:73], v[74:75] offset1:1
	s_waitcnt vmcnt(48)
	ds_write2_b64 v233, v[68:69], v[70:71] offset0:62 offset1:63
	s_waitcnt vmcnt(47)
	ds_write2_b64 v233, v[64:65], v[66:67] offset0:64 offset1:65
	;; [unrolled: 2-line block ×19, first 2 shown]
	ds_read2_b64 v[200:203], v194 offset1:1
	s_waitcnt lgkmcnt(0)
	v_cmp_neq_f64_e32 vcc, 0, v[200:201]
	v_cmp_neq_f64_e64 s[2:3], 0, v[202:203]
	s_or_b64 s[2:3], vcc, s[2:3]
	s_and_b64 exec, exec, s[2:3]
	s_cbranch_execz .LBB99_278
; %bb.273:
	v_cmp_ngt_f64_e64 s[2:3], |v[200:201]|, |v[202:203]|
                                        ; implicit-def: $vgpr204_vgpr205
	s_and_saveexec_b64 s[10:11], s[2:3]
	s_xor_b64 s[2:3], exec, s[10:11]
                                        ; implicit-def: $vgpr206_vgpr207
	s_cbranch_execz .LBB99_275
; %bb.274:
	v_div_scale_f64 v[204:205], s[10:11], v[202:203], v[202:203], v[200:201]
	v_rcp_f64_e32 v[206:207], v[204:205]
	v_div_scale_f64 v[208:209], vcc, v[200:201], v[202:203], v[200:201]
	v_fma_f64 v[210:211], -v[204:205], v[206:207], 1.0
	v_fmac_f64_e32 v[206:207], v[206:207], v[210:211]
	v_fma_f64 v[210:211], -v[204:205], v[206:207], 1.0
	v_fmac_f64_e32 v[206:207], v[206:207], v[210:211]
	v_mul_f64 v[210:211], v[208:209], v[206:207]
	v_fma_f64 v[204:205], -v[204:205], v[210:211], v[208:209]
	v_div_fmas_f64 v[204:205], v[204:205], v[206:207], v[210:211]
	v_div_fixup_f64 v[204:205], v[204:205], v[202:203], v[200:201]
	v_fmac_f64_e32 v[202:203], v[200:201], v[204:205]
	v_div_scale_f64 v[200:201], s[10:11], v[202:203], v[202:203], 1.0
	v_rcp_f64_e32 v[206:207], v[200:201]
	s_nop 0
	v_fma_f64 v[208:209], -v[200:201], v[206:207], 1.0
	v_fmac_f64_e32 v[206:207], v[206:207], v[208:209]
	v_fma_f64 v[208:209], -v[200:201], v[206:207], 1.0
	v_fmac_f64_e32 v[206:207], v[206:207], v[208:209]
	v_div_scale_f64 v[208:209], vcc, 1.0, v[202:203], 1.0
	v_mul_f64 v[210:211], v[208:209], v[206:207]
	v_fma_f64 v[200:201], -v[200:201], v[210:211], v[208:209]
	s_nop 1
	v_div_fmas_f64 v[200:201], v[200:201], v[206:207], v[210:211]
	v_div_fixup_f64 v[206:207], v[200:201], v[202:203], 1.0
	v_mul_f64 v[204:205], v[204:205], v[206:207]
	v_xor_b32_e32 v207, 0x80000000, v207
                                        ; implicit-def: $vgpr200_vgpr201
.LBB99_275:
	s_andn2_saveexec_b64 s[2:3], s[2:3]
	s_cbranch_execz .LBB99_277
; %bb.276:
	v_div_scale_f64 v[204:205], s[10:11], v[200:201], v[200:201], v[202:203]
	v_rcp_f64_e32 v[206:207], v[204:205]
	v_div_scale_f64 v[208:209], vcc, v[202:203], v[200:201], v[202:203]
	v_fma_f64 v[210:211], -v[204:205], v[206:207], 1.0
	v_fmac_f64_e32 v[206:207], v[206:207], v[210:211]
	v_fma_f64 v[210:211], -v[204:205], v[206:207], 1.0
	v_fmac_f64_e32 v[206:207], v[206:207], v[210:211]
	v_mul_f64 v[210:211], v[208:209], v[206:207]
	v_fma_f64 v[204:205], -v[204:205], v[210:211], v[208:209]
	v_div_fmas_f64 v[204:205], v[204:205], v[206:207], v[210:211]
	v_div_fixup_f64 v[206:207], v[204:205], v[200:201], v[202:203]
	v_fmac_f64_e32 v[200:201], v[202:203], v[206:207]
	v_div_scale_f64 v[202:203], s[10:11], v[200:201], v[200:201], 1.0
	v_rcp_f64_e32 v[204:205], v[202:203]
	s_nop 0
	v_fma_f64 v[208:209], -v[202:203], v[204:205], 1.0
	v_fmac_f64_e32 v[204:205], v[204:205], v[208:209]
	v_fma_f64 v[208:209], -v[202:203], v[204:205], 1.0
	v_fmac_f64_e32 v[204:205], v[204:205], v[208:209]
	v_div_scale_f64 v[208:209], vcc, 1.0, v[200:201], 1.0
	v_mul_f64 v[210:211], v[208:209], v[204:205]
	v_fma_f64 v[202:203], -v[202:203], v[210:211], v[208:209]
	s_nop 1
	v_div_fmas_f64 v[202:203], v[202:203], v[204:205], v[210:211]
	v_div_fixup_f64 v[204:205], v[202:203], v[200:201], 1.0
	v_mul_f64 v[206:207], v[206:207], -v[204:205]
.LBB99_277:
	s_or_b64 exec, exec, s[2:3]
	ds_write2_b64 v194, v[204:205], v[206:207] offset1:1
.LBB99_278:
	s_or_b64 exec, exec, s[4:5]
	s_waitcnt lgkmcnt(0)
	s_barrier
	ds_read2_b64 v[200:203], v194 offset1:1
	v_cmp_lt_u32_e32 vcc, 30, v234
	s_waitcnt lgkmcnt(0)
	scratch_store_dwordx4 off, v[200:203], off offset:832 ; 16-byte Folded Spill
	s_and_saveexec_b64 s[2:3], vcc
	s_cbranch_execz .LBB99_280
; %bb.279:
	scratch_load_dwordx4 v[202:205], off, off offset:832 ; 16-byte Folded Reload
	s_waitcnt vmcnt(0)
	v_mul_f64 v[200:201], v[204:205], v[74:75]
	v_mul_f64 v[74:75], v[202:203], v[74:75]
	v_fma_f64 v[200:201], v[202:203], v[72:73], -v[200:201]
	v_fmac_f64_e32 v[74:75], v[204:205], v[72:73]
	ds_read2_b64 v[202:205], v233 offset0:62 offset1:63
	s_waitcnt lgkmcnt(0)
	v_mul_f64 v[72:73], v[204:205], v[74:75]
	v_fma_f64 v[72:73], v[202:203], v[200:201], -v[72:73]
	v_mul_f64 v[202:203], v[202:203], v[74:75]
	v_fmac_f64_e32 v[202:203], v[204:205], v[200:201]
	v_add_f64 v[70:71], v[70:71], -v[202:203]
	ds_read2_b64 v[202:205], v233 offset0:64 offset1:65
	v_add_f64 v[68:69], v[68:69], -v[72:73]
	s_waitcnt lgkmcnt(0)
	v_mul_f64 v[72:73], v[204:205], v[74:75]
	v_fma_f64 v[72:73], v[202:203], v[200:201], -v[72:73]
	v_mul_f64 v[202:203], v[202:203], v[74:75]
	v_fmac_f64_e32 v[202:203], v[204:205], v[200:201]
	v_add_f64 v[66:67], v[66:67], -v[202:203]
	ds_read2_b64 v[202:205], v233 offset0:66 offset1:67
	v_add_f64 v[64:65], v[64:65], -v[72:73]
	;; [unrolled: 8-line block ×18, first 2 shown]
	s_waitcnt lgkmcnt(0)
	v_mul_f64 v[72:73], v[204:205], v[74:75]
	v_fma_f64 v[72:73], v[202:203], v[200:201], -v[72:73]
	v_mul_f64 v[202:203], v[202:203], v[74:75]
	v_fmac_f64_e32 v[202:203], v[204:205], v[200:201]
	v_add_f64 v[196:197], v[196:197], -v[72:73]
	v_add_f64 v[198:199], v[198:199], -v[202:203]
	v_mov_b64_e32 v[72:73], v[200:201]
.LBB99_280:
	s_or_b64 exec, exec, s[2:3]
	v_cmp_eq_u32_e32 vcc, 31, v234
	s_barrier
	s_and_saveexec_b64 s[4:5], vcc
	s_cbranch_execz .LBB99_287
; %bb.281:
	s_waitcnt vmcnt(49)
	ds_write2_b64 v194, v[68:69], v[70:71] offset1:1
	s_waitcnt vmcnt(48)
	ds_write2_b64 v233, v[64:65], v[66:67] offset0:64 offset1:65
	s_waitcnt vmcnt(47)
	ds_write2_b64 v233, v[60:61], v[62:63] offset0:66 offset1:67
	;; [unrolled: 2-line block ×18, first 2 shown]
	ds_read2_b64 v[200:203], v194 offset1:1
	s_waitcnt lgkmcnt(0)
	v_cmp_neq_f64_e32 vcc, 0, v[200:201]
	v_cmp_neq_f64_e64 s[2:3], 0, v[202:203]
	s_or_b64 s[2:3], vcc, s[2:3]
	s_and_b64 exec, exec, s[2:3]
	s_cbranch_execz .LBB99_287
; %bb.282:
	v_cmp_ngt_f64_e64 s[2:3], |v[200:201]|, |v[202:203]|
                                        ; implicit-def: $vgpr204_vgpr205
	s_and_saveexec_b64 s[10:11], s[2:3]
	s_xor_b64 s[2:3], exec, s[10:11]
                                        ; implicit-def: $vgpr206_vgpr207
	s_cbranch_execz .LBB99_284
; %bb.283:
	v_div_scale_f64 v[204:205], s[10:11], v[202:203], v[202:203], v[200:201]
	v_rcp_f64_e32 v[206:207], v[204:205]
	v_div_scale_f64 v[208:209], vcc, v[200:201], v[202:203], v[200:201]
	v_fma_f64 v[210:211], -v[204:205], v[206:207], 1.0
	v_fmac_f64_e32 v[206:207], v[206:207], v[210:211]
	v_fma_f64 v[210:211], -v[204:205], v[206:207], 1.0
	v_fmac_f64_e32 v[206:207], v[206:207], v[210:211]
	v_mul_f64 v[210:211], v[208:209], v[206:207]
	v_fma_f64 v[204:205], -v[204:205], v[210:211], v[208:209]
	v_div_fmas_f64 v[204:205], v[204:205], v[206:207], v[210:211]
	v_div_fixup_f64 v[204:205], v[204:205], v[202:203], v[200:201]
	v_fmac_f64_e32 v[202:203], v[200:201], v[204:205]
	v_div_scale_f64 v[200:201], s[10:11], v[202:203], v[202:203], 1.0
	v_rcp_f64_e32 v[206:207], v[200:201]
	s_nop 0
	v_fma_f64 v[208:209], -v[200:201], v[206:207], 1.0
	v_fmac_f64_e32 v[206:207], v[206:207], v[208:209]
	v_fma_f64 v[208:209], -v[200:201], v[206:207], 1.0
	v_fmac_f64_e32 v[206:207], v[206:207], v[208:209]
	v_div_scale_f64 v[208:209], vcc, 1.0, v[202:203], 1.0
	v_mul_f64 v[210:211], v[208:209], v[206:207]
	v_fma_f64 v[200:201], -v[200:201], v[210:211], v[208:209]
	s_nop 1
	v_div_fmas_f64 v[200:201], v[200:201], v[206:207], v[210:211]
	v_div_fixup_f64 v[206:207], v[200:201], v[202:203], 1.0
	v_mul_f64 v[204:205], v[204:205], v[206:207]
	v_xor_b32_e32 v207, 0x80000000, v207
                                        ; implicit-def: $vgpr200_vgpr201
.LBB99_284:
	s_andn2_saveexec_b64 s[2:3], s[2:3]
	s_cbranch_execz .LBB99_286
; %bb.285:
	v_div_scale_f64 v[204:205], s[10:11], v[200:201], v[200:201], v[202:203]
	v_rcp_f64_e32 v[206:207], v[204:205]
	v_div_scale_f64 v[208:209], vcc, v[202:203], v[200:201], v[202:203]
	v_fma_f64 v[210:211], -v[204:205], v[206:207], 1.0
	v_fmac_f64_e32 v[206:207], v[206:207], v[210:211]
	v_fma_f64 v[210:211], -v[204:205], v[206:207], 1.0
	v_fmac_f64_e32 v[206:207], v[206:207], v[210:211]
	v_mul_f64 v[210:211], v[208:209], v[206:207]
	v_fma_f64 v[204:205], -v[204:205], v[210:211], v[208:209]
	v_div_fmas_f64 v[204:205], v[204:205], v[206:207], v[210:211]
	v_div_fixup_f64 v[206:207], v[204:205], v[200:201], v[202:203]
	v_fmac_f64_e32 v[200:201], v[202:203], v[206:207]
	v_div_scale_f64 v[202:203], s[10:11], v[200:201], v[200:201], 1.0
	v_rcp_f64_e32 v[204:205], v[202:203]
	s_nop 0
	v_fma_f64 v[208:209], -v[202:203], v[204:205], 1.0
	v_fmac_f64_e32 v[204:205], v[204:205], v[208:209]
	v_fma_f64 v[208:209], -v[202:203], v[204:205], 1.0
	v_fmac_f64_e32 v[204:205], v[204:205], v[208:209]
	v_div_scale_f64 v[208:209], vcc, 1.0, v[200:201], 1.0
	v_mul_f64 v[210:211], v[208:209], v[204:205]
	v_fma_f64 v[202:203], -v[202:203], v[210:211], v[208:209]
	s_nop 1
	v_div_fmas_f64 v[202:203], v[202:203], v[204:205], v[210:211]
	v_div_fixup_f64 v[204:205], v[202:203], v[200:201], 1.0
	v_mul_f64 v[206:207], v[206:207], -v[204:205]
.LBB99_286:
	s_or_b64 exec, exec, s[2:3]
	ds_write2_b64 v194, v[204:205], v[206:207] offset1:1
.LBB99_287:
	s_or_b64 exec, exec, s[4:5]
	s_waitcnt lgkmcnt(0)
	s_barrier
	ds_read2_b64 v[200:203], v194 offset1:1
	v_cmp_lt_u32_e32 vcc, 31, v234
	s_waitcnt lgkmcnt(0)
	scratch_store_dwordx4 off, v[200:203], off offset:848 ; 16-byte Folded Spill
	s_and_saveexec_b64 s[2:3], vcc
	s_cbranch_execz .LBB99_289
; %bb.288:
	scratch_load_dwordx4 v[202:205], off, off offset:848 ; 16-byte Folded Reload
	s_waitcnt vmcnt(0)
	v_mul_f64 v[200:201], v[204:205], v[70:71]
	v_mul_f64 v[70:71], v[202:203], v[70:71]
	v_fma_f64 v[200:201], v[202:203], v[68:69], -v[200:201]
	v_fmac_f64_e32 v[70:71], v[204:205], v[68:69]
	ds_read2_b64 v[202:205], v233 offset0:64 offset1:65
	s_waitcnt lgkmcnt(0)
	v_mul_f64 v[68:69], v[204:205], v[70:71]
	v_fma_f64 v[68:69], v[202:203], v[200:201], -v[68:69]
	v_mul_f64 v[202:203], v[202:203], v[70:71]
	v_fmac_f64_e32 v[202:203], v[204:205], v[200:201]
	v_add_f64 v[66:67], v[66:67], -v[202:203]
	ds_read2_b64 v[202:205], v233 offset0:66 offset1:67
	v_add_f64 v[64:65], v[64:65], -v[68:69]
	s_waitcnt lgkmcnt(0)
	v_mul_f64 v[68:69], v[204:205], v[70:71]
	v_fma_f64 v[68:69], v[202:203], v[200:201], -v[68:69]
	v_mul_f64 v[202:203], v[202:203], v[70:71]
	v_fmac_f64_e32 v[202:203], v[204:205], v[200:201]
	v_add_f64 v[62:63], v[62:63], -v[202:203]
	ds_read2_b64 v[202:205], v233 offset0:68 offset1:69
	v_add_f64 v[60:61], v[60:61], -v[68:69]
	;; [unrolled: 8-line block ×17, first 2 shown]
	s_waitcnt lgkmcnt(0)
	v_mul_f64 v[68:69], v[204:205], v[70:71]
	v_fma_f64 v[68:69], v[202:203], v[200:201], -v[68:69]
	v_mul_f64 v[202:203], v[202:203], v[70:71]
	v_fmac_f64_e32 v[202:203], v[204:205], v[200:201]
	v_add_f64 v[196:197], v[196:197], -v[68:69]
	v_add_f64 v[198:199], v[198:199], -v[202:203]
	v_mov_b64_e32 v[68:69], v[200:201]
.LBB99_289:
	s_or_b64 exec, exec, s[2:3]
	v_cmp_eq_u32_e32 vcc, 32, v234
	s_barrier
	s_and_saveexec_b64 s[4:5], vcc
	s_cbranch_execz .LBB99_296
; %bb.290:
	s_waitcnt vmcnt(49)
	ds_write2_b64 v194, v[64:65], v[66:67] offset1:1
	s_waitcnt vmcnt(48)
	ds_write2_b64 v233, v[60:61], v[62:63] offset0:66 offset1:67
	s_waitcnt vmcnt(47)
	ds_write2_b64 v233, v[56:57], v[58:59] offset0:68 offset1:69
	;; [unrolled: 2-line block ×17, first 2 shown]
	ds_read2_b64 v[200:203], v194 offset1:1
	s_waitcnt lgkmcnt(0)
	v_cmp_neq_f64_e32 vcc, 0, v[200:201]
	v_cmp_neq_f64_e64 s[2:3], 0, v[202:203]
	s_or_b64 s[2:3], vcc, s[2:3]
	s_and_b64 exec, exec, s[2:3]
	s_cbranch_execz .LBB99_296
; %bb.291:
	v_cmp_ngt_f64_e64 s[2:3], |v[200:201]|, |v[202:203]|
                                        ; implicit-def: $vgpr204_vgpr205
	s_and_saveexec_b64 s[10:11], s[2:3]
	s_xor_b64 s[2:3], exec, s[10:11]
                                        ; implicit-def: $vgpr206_vgpr207
	s_cbranch_execz .LBB99_293
; %bb.292:
	v_div_scale_f64 v[204:205], s[10:11], v[202:203], v[202:203], v[200:201]
	v_rcp_f64_e32 v[206:207], v[204:205]
	v_div_scale_f64 v[208:209], vcc, v[200:201], v[202:203], v[200:201]
	v_fma_f64 v[210:211], -v[204:205], v[206:207], 1.0
	v_fmac_f64_e32 v[206:207], v[206:207], v[210:211]
	v_fma_f64 v[210:211], -v[204:205], v[206:207], 1.0
	v_fmac_f64_e32 v[206:207], v[206:207], v[210:211]
	v_mul_f64 v[210:211], v[208:209], v[206:207]
	v_fma_f64 v[204:205], -v[204:205], v[210:211], v[208:209]
	v_div_fmas_f64 v[204:205], v[204:205], v[206:207], v[210:211]
	v_div_fixup_f64 v[204:205], v[204:205], v[202:203], v[200:201]
	v_fmac_f64_e32 v[202:203], v[200:201], v[204:205]
	v_div_scale_f64 v[200:201], s[10:11], v[202:203], v[202:203], 1.0
	v_rcp_f64_e32 v[206:207], v[200:201]
	s_nop 0
	v_fma_f64 v[208:209], -v[200:201], v[206:207], 1.0
	v_fmac_f64_e32 v[206:207], v[206:207], v[208:209]
	v_fma_f64 v[208:209], -v[200:201], v[206:207], 1.0
	v_fmac_f64_e32 v[206:207], v[206:207], v[208:209]
	v_div_scale_f64 v[208:209], vcc, 1.0, v[202:203], 1.0
	v_mul_f64 v[210:211], v[208:209], v[206:207]
	v_fma_f64 v[200:201], -v[200:201], v[210:211], v[208:209]
	s_nop 1
	v_div_fmas_f64 v[200:201], v[200:201], v[206:207], v[210:211]
	v_div_fixup_f64 v[206:207], v[200:201], v[202:203], 1.0
	v_mul_f64 v[204:205], v[204:205], v[206:207]
	v_xor_b32_e32 v207, 0x80000000, v207
                                        ; implicit-def: $vgpr200_vgpr201
.LBB99_293:
	s_andn2_saveexec_b64 s[2:3], s[2:3]
	s_cbranch_execz .LBB99_295
; %bb.294:
	v_div_scale_f64 v[204:205], s[10:11], v[200:201], v[200:201], v[202:203]
	v_rcp_f64_e32 v[206:207], v[204:205]
	v_div_scale_f64 v[208:209], vcc, v[202:203], v[200:201], v[202:203]
	v_fma_f64 v[210:211], -v[204:205], v[206:207], 1.0
	v_fmac_f64_e32 v[206:207], v[206:207], v[210:211]
	v_fma_f64 v[210:211], -v[204:205], v[206:207], 1.0
	v_fmac_f64_e32 v[206:207], v[206:207], v[210:211]
	v_mul_f64 v[210:211], v[208:209], v[206:207]
	v_fma_f64 v[204:205], -v[204:205], v[210:211], v[208:209]
	v_div_fmas_f64 v[204:205], v[204:205], v[206:207], v[210:211]
	v_div_fixup_f64 v[206:207], v[204:205], v[200:201], v[202:203]
	v_fmac_f64_e32 v[200:201], v[202:203], v[206:207]
	v_div_scale_f64 v[202:203], s[10:11], v[200:201], v[200:201], 1.0
	v_rcp_f64_e32 v[204:205], v[202:203]
	s_nop 0
	v_fma_f64 v[208:209], -v[202:203], v[204:205], 1.0
	v_fmac_f64_e32 v[204:205], v[204:205], v[208:209]
	v_fma_f64 v[208:209], -v[202:203], v[204:205], 1.0
	v_fmac_f64_e32 v[204:205], v[204:205], v[208:209]
	v_div_scale_f64 v[208:209], vcc, 1.0, v[200:201], 1.0
	v_mul_f64 v[210:211], v[208:209], v[204:205]
	v_fma_f64 v[202:203], -v[202:203], v[210:211], v[208:209]
	s_nop 1
	v_div_fmas_f64 v[202:203], v[202:203], v[204:205], v[210:211]
	v_div_fixup_f64 v[204:205], v[202:203], v[200:201], 1.0
	v_mul_f64 v[206:207], v[206:207], -v[204:205]
.LBB99_295:
	s_or_b64 exec, exec, s[2:3]
	ds_write2_b64 v194, v[204:205], v[206:207] offset1:1
.LBB99_296:
	s_or_b64 exec, exec, s[4:5]
	s_waitcnt lgkmcnt(0)
	s_barrier
	ds_read2_b64 v[200:203], v194 offset1:1
	v_cmp_lt_u32_e32 vcc, 32, v234
	s_waitcnt lgkmcnt(0)
	scratch_store_dwordx4 off, v[200:203], off offset:864 ; 16-byte Folded Spill
	s_and_saveexec_b64 s[2:3], vcc
	s_cbranch_execz .LBB99_298
; %bb.297:
	scratch_load_dwordx4 v[202:205], off, off offset:864 ; 16-byte Folded Reload
	s_waitcnt vmcnt(0)
	v_mul_f64 v[200:201], v[204:205], v[66:67]
	v_mul_f64 v[66:67], v[202:203], v[66:67]
	v_fma_f64 v[200:201], v[202:203], v[64:65], -v[200:201]
	v_fmac_f64_e32 v[66:67], v[204:205], v[64:65]
	ds_read2_b64 v[202:205], v233 offset0:66 offset1:67
	s_waitcnt lgkmcnt(0)
	v_mul_f64 v[64:65], v[204:205], v[66:67]
	v_fma_f64 v[64:65], v[202:203], v[200:201], -v[64:65]
	v_mul_f64 v[202:203], v[202:203], v[66:67]
	v_fmac_f64_e32 v[202:203], v[204:205], v[200:201]
	v_add_f64 v[62:63], v[62:63], -v[202:203]
	ds_read2_b64 v[202:205], v233 offset0:68 offset1:69
	v_add_f64 v[60:61], v[60:61], -v[64:65]
	s_waitcnt lgkmcnt(0)
	v_mul_f64 v[64:65], v[204:205], v[66:67]
	v_fma_f64 v[64:65], v[202:203], v[200:201], -v[64:65]
	v_mul_f64 v[202:203], v[202:203], v[66:67]
	v_fmac_f64_e32 v[202:203], v[204:205], v[200:201]
	v_add_f64 v[58:59], v[58:59], -v[202:203]
	ds_read2_b64 v[202:205], v233 offset0:70 offset1:71
	v_add_f64 v[56:57], v[56:57], -v[64:65]
	;; [unrolled: 8-line block ×16, first 2 shown]
	s_waitcnt lgkmcnt(0)
	v_mul_f64 v[64:65], v[204:205], v[66:67]
	v_fma_f64 v[64:65], v[202:203], v[200:201], -v[64:65]
	v_mul_f64 v[202:203], v[202:203], v[66:67]
	v_fmac_f64_e32 v[202:203], v[204:205], v[200:201]
	v_add_f64 v[196:197], v[196:197], -v[64:65]
	v_add_f64 v[198:199], v[198:199], -v[202:203]
	v_mov_b64_e32 v[64:65], v[200:201]
.LBB99_298:
	s_or_b64 exec, exec, s[2:3]
	v_cmp_eq_u32_e32 vcc, 33, v234
	s_barrier
	s_and_saveexec_b64 s[4:5], vcc
	s_cbranch_execz .LBB99_305
; %bb.299:
	s_waitcnt vmcnt(49)
	ds_write2_b64 v194, v[60:61], v[62:63] offset1:1
	s_waitcnt vmcnt(48)
	ds_write2_b64 v233, v[56:57], v[58:59] offset0:68 offset1:69
	s_waitcnt vmcnt(47)
	ds_write2_b64 v233, v[52:53], v[54:55] offset0:70 offset1:71
	;; [unrolled: 2-line block ×16, first 2 shown]
	ds_read2_b64 v[200:203], v194 offset1:1
	s_waitcnt lgkmcnt(0)
	v_cmp_neq_f64_e32 vcc, 0, v[200:201]
	v_cmp_neq_f64_e64 s[2:3], 0, v[202:203]
	s_or_b64 s[2:3], vcc, s[2:3]
	s_and_b64 exec, exec, s[2:3]
	s_cbranch_execz .LBB99_305
; %bb.300:
	v_cmp_ngt_f64_e64 s[2:3], |v[200:201]|, |v[202:203]|
                                        ; implicit-def: $vgpr204_vgpr205
	s_and_saveexec_b64 s[10:11], s[2:3]
	s_xor_b64 s[2:3], exec, s[10:11]
                                        ; implicit-def: $vgpr206_vgpr207
	s_cbranch_execz .LBB99_302
; %bb.301:
	v_div_scale_f64 v[204:205], s[10:11], v[202:203], v[202:203], v[200:201]
	v_rcp_f64_e32 v[206:207], v[204:205]
	v_div_scale_f64 v[208:209], vcc, v[200:201], v[202:203], v[200:201]
	v_fma_f64 v[210:211], -v[204:205], v[206:207], 1.0
	v_fmac_f64_e32 v[206:207], v[206:207], v[210:211]
	v_fma_f64 v[210:211], -v[204:205], v[206:207], 1.0
	v_fmac_f64_e32 v[206:207], v[206:207], v[210:211]
	v_mul_f64 v[210:211], v[208:209], v[206:207]
	v_fma_f64 v[204:205], -v[204:205], v[210:211], v[208:209]
	v_div_fmas_f64 v[204:205], v[204:205], v[206:207], v[210:211]
	v_div_fixup_f64 v[204:205], v[204:205], v[202:203], v[200:201]
	v_fmac_f64_e32 v[202:203], v[200:201], v[204:205]
	v_div_scale_f64 v[200:201], s[10:11], v[202:203], v[202:203], 1.0
	v_rcp_f64_e32 v[206:207], v[200:201]
	s_nop 0
	v_fma_f64 v[208:209], -v[200:201], v[206:207], 1.0
	v_fmac_f64_e32 v[206:207], v[206:207], v[208:209]
	v_fma_f64 v[208:209], -v[200:201], v[206:207], 1.0
	v_fmac_f64_e32 v[206:207], v[206:207], v[208:209]
	v_div_scale_f64 v[208:209], vcc, 1.0, v[202:203], 1.0
	v_mul_f64 v[210:211], v[208:209], v[206:207]
	v_fma_f64 v[200:201], -v[200:201], v[210:211], v[208:209]
	s_nop 1
	v_div_fmas_f64 v[200:201], v[200:201], v[206:207], v[210:211]
	v_div_fixup_f64 v[206:207], v[200:201], v[202:203], 1.0
	v_mul_f64 v[204:205], v[204:205], v[206:207]
	v_xor_b32_e32 v207, 0x80000000, v207
                                        ; implicit-def: $vgpr200_vgpr201
.LBB99_302:
	s_andn2_saveexec_b64 s[2:3], s[2:3]
	s_cbranch_execz .LBB99_304
; %bb.303:
	v_div_scale_f64 v[204:205], s[10:11], v[200:201], v[200:201], v[202:203]
	v_rcp_f64_e32 v[206:207], v[204:205]
	v_div_scale_f64 v[208:209], vcc, v[202:203], v[200:201], v[202:203]
	v_fma_f64 v[210:211], -v[204:205], v[206:207], 1.0
	v_fmac_f64_e32 v[206:207], v[206:207], v[210:211]
	v_fma_f64 v[210:211], -v[204:205], v[206:207], 1.0
	v_fmac_f64_e32 v[206:207], v[206:207], v[210:211]
	v_mul_f64 v[210:211], v[208:209], v[206:207]
	v_fma_f64 v[204:205], -v[204:205], v[210:211], v[208:209]
	v_div_fmas_f64 v[204:205], v[204:205], v[206:207], v[210:211]
	v_div_fixup_f64 v[206:207], v[204:205], v[200:201], v[202:203]
	v_fmac_f64_e32 v[200:201], v[202:203], v[206:207]
	v_div_scale_f64 v[202:203], s[10:11], v[200:201], v[200:201], 1.0
	v_rcp_f64_e32 v[204:205], v[202:203]
	s_nop 0
	v_fma_f64 v[208:209], -v[202:203], v[204:205], 1.0
	v_fmac_f64_e32 v[204:205], v[204:205], v[208:209]
	v_fma_f64 v[208:209], -v[202:203], v[204:205], 1.0
	v_fmac_f64_e32 v[204:205], v[204:205], v[208:209]
	v_div_scale_f64 v[208:209], vcc, 1.0, v[200:201], 1.0
	v_mul_f64 v[210:211], v[208:209], v[204:205]
	v_fma_f64 v[202:203], -v[202:203], v[210:211], v[208:209]
	s_nop 1
	v_div_fmas_f64 v[202:203], v[202:203], v[204:205], v[210:211]
	v_div_fixup_f64 v[204:205], v[202:203], v[200:201], 1.0
	v_mul_f64 v[206:207], v[206:207], -v[204:205]
.LBB99_304:
	s_or_b64 exec, exec, s[2:3]
	ds_write2_b64 v194, v[204:205], v[206:207] offset1:1
.LBB99_305:
	s_or_b64 exec, exec, s[4:5]
	s_waitcnt lgkmcnt(0)
	s_barrier
	ds_read2_b64 v[200:203], v194 offset1:1
	v_cmp_lt_u32_e32 vcc, 33, v234
	s_waitcnt lgkmcnt(0)
	scratch_store_dwordx4 off, v[200:203], off offset:880 ; 16-byte Folded Spill
	s_and_saveexec_b64 s[2:3], vcc
	s_cbranch_execz .LBB99_307
; %bb.306:
	scratch_load_dwordx4 v[202:205], off, off offset:880 ; 16-byte Folded Reload
	s_waitcnt vmcnt(0)
	v_mul_f64 v[200:201], v[202:203], v[62:63]
	v_mul_f64 v[62:63], v[204:205], v[62:63]
	v_fmac_f64_e32 v[200:201], v[204:205], v[60:61]
	v_fma_f64 v[60:61], v[202:203], v[60:61], -v[62:63]
	ds_read2_b64 v[202:205], v233 offset0:68 offset1:69
	s_waitcnt lgkmcnt(0)
	v_mul_f64 v[62:63], v[204:205], v[200:201]
	v_fma_f64 v[62:63], v[202:203], v[60:61], -v[62:63]
	v_mul_f64 v[202:203], v[202:203], v[200:201]
	v_fmac_f64_e32 v[202:203], v[204:205], v[60:61]
	v_add_f64 v[58:59], v[58:59], -v[202:203]
	ds_read2_b64 v[202:205], v233 offset0:70 offset1:71
	v_add_f64 v[56:57], v[56:57], -v[62:63]
	s_waitcnt lgkmcnt(0)
	v_mul_f64 v[62:63], v[204:205], v[200:201]
	v_fma_f64 v[62:63], v[202:203], v[60:61], -v[62:63]
	v_mul_f64 v[202:203], v[202:203], v[200:201]
	v_fmac_f64_e32 v[202:203], v[204:205], v[60:61]
	v_add_f64 v[54:55], v[54:55], -v[202:203]
	ds_read2_b64 v[202:205], v233 offset0:72 offset1:73
	v_add_f64 v[52:53], v[52:53], -v[62:63]
	;; [unrolled: 8-line block ×15, first 2 shown]
	s_waitcnt lgkmcnt(0)
	v_mul_f64 v[62:63], v[204:205], v[200:201]
	v_fma_f64 v[62:63], v[202:203], v[60:61], -v[62:63]
	v_mul_f64 v[202:203], v[202:203], v[200:201]
	v_fmac_f64_e32 v[202:203], v[204:205], v[60:61]
	v_add_f64 v[196:197], v[196:197], -v[62:63]
	v_add_f64 v[198:199], v[198:199], -v[202:203]
	v_mov_b64_e32 v[62:63], v[200:201]
.LBB99_307:
	s_or_b64 exec, exec, s[2:3]
	v_cmp_eq_u32_e32 vcc, 34, v234
	s_barrier
	s_and_saveexec_b64 s[4:5], vcc
	s_cbranch_execz .LBB99_314
; %bb.308:
	s_waitcnt vmcnt(49)
	ds_write2_b64 v194, v[56:57], v[58:59] offset1:1
	s_waitcnt vmcnt(48)
	ds_write2_b64 v233, v[52:53], v[54:55] offset0:70 offset1:71
	s_waitcnt vmcnt(47)
	ds_write2_b64 v233, v[48:49], v[50:51] offset0:72 offset1:73
	;; [unrolled: 2-line block ×15, first 2 shown]
	ds_read2_b64 v[200:203], v194 offset1:1
	s_waitcnt lgkmcnt(0)
	v_cmp_neq_f64_e32 vcc, 0, v[200:201]
	v_cmp_neq_f64_e64 s[2:3], 0, v[202:203]
	s_or_b64 s[2:3], vcc, s[2:3]
	s_and_b64 exec, exec, s[2:3]
	s_cbranch_execz .LBB99_314
; %bb.309:
	v_cmp_ngt_f64_e64 s[2:3], |v[200:201]|, |v[202:203]|
                                        ; implicit-def: $vgpr204_vgpr205
	s_and_saveexec_b64 s[10:11], s[2:3]
	s_xor_b64 s[2:3], exec, s[10:11]
                                        ; implicit-def: $vgpr206_vgpr207
	s_cbranch_execz .LBB99_311
; %bb.310:
	v_div_scale_f64 v[204:205], s[10:11], v[202:203], v[202:203], v[200:201]
	v_rcp_f64_e32 v[206:207], v[204:205]
	v_div_scale_f64 v[208:209], vcc, v[200:201], v[202:203], v[200:201]
	v_fma_f64 v[210:211], -v[204:205], v[206:207], 1.0
	v_fmac_f64_e32 v[206:207], v[206:207], v[210:211]
	v_fma_f64 v[210:211], -v[204:205], v[206:207], 1.0
	v_fmac_f64_e32 v[206:207], v[206:207], v[210:211]
	v_mul_f64 v[210:211], v[208:209], v[206:207]
	v_fma_f64 v[204:205], -v[204:205], v[210:211], v[208:209]
	v_div_fmas_f64 v[204:205], v[204:205], v[206:207], v[210:211]
	v_div_fixup_f64 v[204:205], v[204:205], v[202:203], v[200:201]
	v_fmac_f64_e32 v[202:203], v[200:201], v[204:205]
	v_div_scale_f64 v[200:201], s[10:11], v[202:203], v[202:203], 1.0
	v_rcp_f64_e32 v[206:207], v[200:201]
	s_nop 0
	v_fma_f64 v[208:209], -v[200:201], v[206:207], 1.0
	v_fmac_f64_e32 v[206:207], v[206:207], v[208:209]
	v_fma_f64 v[208:209], -v[200:201], v[206:207], 1.0
	v_fmac_f64_e32 v[206:207], v[206:207], v[208:209]
	v_div_scale_f64 v[208:209], vcc, 1.0, v[202:203], 1.0
	v_mul_f64 v[210:211], v[208:209], v[206:207]
	v_fma_f64 v[200:201], -v[200:201], v[210:211], v[208:209]
	s_nop 1
	v_div_fmas_f64 v[200:201], v[200:201], v[206:207], v[210:211]
	v_div_fixup_f64 v[206:207], v[200:201], v[202:203], 1.0
	v_mul_f64 v[204:205], v[204:205], v[206:207]
	v_xor_b32_e32 v207, 0x80000000, v207
                                        ; implicit-def: $vgpr200_vgpr201
.LBB99_311:
	s_andn2_saveexec_b64 s[2:3], s[2:3]
	s_cbranch_execz .LBB99_313
; %bb.312:
	v_div_scale_f64 v[204:205], s[10:11], v[200:201], v[200:201], v[202:203]
	v_rcp_f64_e32 v[206:207], v[204:205]
	v_div_scale_f64 v[208:209], vcc, v[202:203], v[200:201], v[202:203]
	v_fma_f64 v[210:211], -v[204:205], v[206:207], 1.0
	v_fmac_f64_e32 v[206:207], v[206:207], v[210:211]
	v_fma_f64 v[210:211], -v[204:205], v[206:207], 1.0
	v_fmac_f64_e32 v[206:207], v[206:207], v[210:211]
	v_mul_f64 v[210:211], v[208:209], v[206:207]
	v_fma_f64 v[204:205], -v[204:205], v[210:211], v[208:209]
	v_div_fmas_f64 v[204:205], v[204:205], v[206:207], v[210:211]
	v_div_fixup_f64 v[206:207], v[204:205], v[200:201], v[202:203]
	v_fmac_f64_e32 v[200:201], v[202:203], v[206:207]
	v_div_scale_f64 v[202:203], s[10:11], v[200:201], v[200:201], 1.0
	v_rcp_f64_e32 v[204:205], v[202:203]
	s_nop 0
	v_fma_f64 v[208:209], -v[202:203], v[204:205], 1.0
	v_fmac_f64_e32 v[204:205], v[204:205], v[208:209]
	v_fma_f64 v[208:209], -v[202:203], v[204:205], 1.0
	v_fmac_f64_e32 v[204:205], v[204:205], v[208:209]
	v_div_scale_f64 v[208:209], vcc, 1.0, v[200:201], 1.0
	v_mul_f64 v[210:211], v[208:209], v[204:205]
	v_fma_f64 v[202:203], -v[202:203], v[210:211], v[208:209]
	s_nop 1
	v_div_fmas_f64 v[202:203], v[202:203], v[204:205], v[210:211]
	v_div_fixup_f64 v[204:205], v[202:203], v[200:201], 1.0
	v_mul_f64 v[206:207], v[206:207], -v[204:205]
.LBB99_313:
	s_or_b64 exec, exec, s[2:3]
	ds_write2_b64 v194, v[204:205], v[206:207] offset1:1
.LBB99_314:
	s_or_b64 exec, exec, s[4:5]
	s_waitcnt lgkmcnt(0)
	s_barrier
	ds_read2_b64 v[200:203], v194 offset1:1
	v_cmp_lt_u32_e32 vcc, 34, v234
	s_waitcnt lgkmcnt(0)
	scratch_store_dwordx4 off, v[200:203], off offset:896 ; 16-byte Folded Spill
	s_and_saveexec_b64 s[2:3], vcc
	s_cbranch_execz .LBB99_316
; %bb.315:
	scratch_load_dwordx4 v[202:205], off, off offset:896 ; 16-byte Folded Reload
	s_waitcnt vmcnt(0)
	v_mul_f64 v[200:201], v[202:203], v[58:59]
	v_mul_f64 v[58:59], v[204:205], v[58:59]
	v_fmac_f64_e32 v[200:201], v[204:205], v[56:57]
	v_fma_f64 v[56:57], v[202:203], v[56:57], -v[58:59]
	ds_read2_b64 v[202:205], v233 offset0:70 offset1:71
	s_waitcnt lgkmcnt(0)
	v_mul_f64 v[58:59], v[204:205], v[200:201]
	v_fma_f64 v[58:59], v[202:203], v[56:57], -v[58:59]
	v_mul_f64 v[202:203], v[202:203], v[200:201]
	v_fmac_f64_e32 v[202:203], v[204:205], v[56:57]
	v_add_f64 v[54:55], v[54:55], -v[202:203]
	ds_read2_b64 v[202:205], v233 offset0:72 offset1:73
	v_add_f64 v[52:53], v[52:53], -v[58:59]
	s_waitcnt lgkmcnt(0)
	v_mul_f64 v[58:59], v[204:205], v[200:201]
	v_fma_f64 v[58:59], v[202:203], v[56:57], -v[58:59]
	v_mul_f64 v[202:203], v[202:203], v[200:201]
	v_fmac_f64_e32 v[202:203], v[204:205], v[56:57]
	v_add_f64 v[50:51], v[50:51], -v[202:203]
	ds_read2_b64 v[202:205], v233 offset0:74 offset1:75
	v_add_f64 v[48:49], v[48:49], -v[58:59]
	;; [unrolled: 8-line block ×14, first 2 shown]
	s_waitcnt lgkmcnt(0)
	v_mul_f64 v[58:59], v[204:205], v[200:201]
	v_fma_f64 v[58:59], v[202:203], v[56:57], -v[58:59]
	v_mul_f64 v[202:203], v[202:203], v[200:201]
	v_fmac_f64_e32 v[202:203], v[204:205], v[56:57]
	v_add_f64 v[196:197], v[196:197], -v[58:59]
	v_add_f64 v[198:199], v[198:199], -v[202:203]
	v_mov_b64_e32 v[58:59], v[200:201]
.LBB99_316:
	s_or_b64 exec, exec, s[2:3]
	v_cmp_eq_u32_e32 vcc, 35, v234
	s_waitcnt vmcnt(63) expcnt(7) lgkmcnt(15)
	s_barrier
	s_and_saveexec_b64 s[4:5], vcc
	s_cbranch_execz .LBB99_323
; %bb.317:
	s_waitcnt vmcnt(49)
	ds_write2_b64 v194, v[52:53], v[54:55] offset1:1
	s_waitcnt vmcnt(48)
	ds_write2_b64 v233, v[48:49], v[50:51] offset0:72 offset1:73
	s_waitcnt vmcnt(47)
	ds_write2_b64 v233, v[44:45], v[46:47] offset0:74 offset1:75
	;; [unrolled: 2-line block ×14, first 2 shown]
	ds_read2_b64 v[200:203], v194 offset1:1
	s_waitcnt lgkmcnt(0)
	v_cmp_neq_f64_e32 vcc, 0, v[200:201]
	v_cmp_neq_f64_e64 s[2:3], 0, v[202:203]
	s_or_b64 s[2:3], vcc, s[2:3]
	s_and_b64 exec, exec, s[2:3]
	s_cbranch_execz .LBB99_323
; %bb.318:
	v_cmp_ngt_f64_e64 s[2:3], |v[200:201]|, |v[202:203]|
                                        ; implicit-def: $vgpr204_vgpr205
	s_and_saveexec_b64 s[10:11], s[2:3]
	s_xor_b64 s[2:3], exec, s[10:11]
                                        ; implicit-def: $vgpr206_vgpr207
	s_cbranch_execz .LBB99_320
; %bb.319:
	v_div_scale_f64 v[204:205], s[10:11], v[202:203], v[202:203], v[200:201]
	v_rcp_f64_e32 v[206:207], v[204:205]
	v_div_scale_f64 v[208:209], vcc, v[200:201], v[202:203], v[200:201]
	v_fma_f64 v[210:211], -v[204:205], v[206:207], 1.0
	v_fmac_f64_e32 v[206:207], v[206:207], v[210:211]
	v_fma_f64 v[210:211], -v[204:205], v[206:207], 1.0
	v_fmac_f64_e32 v[206:207], v[206:207], v[210:211]
	v_mul_f64 v[210:211], v[208:209], v[206:207]
	v_fma_f64 v[204:205], -v[204:205], v[210:211], v[208:209]
	v_div_fmas_f64 v[204:205], v[204:205], v[206:207], v[210:211]
	v_div_fixup_f64 v[204:205], v[204:205], v[202:203], v[200:201]
	v_fmac_f64_e32 v[202:203], v[200:201], v[204:205]
	v_div_scale_f64 v[200:201], s[10:11], v[202:203], v[202:203], 1.0
	v_rcp_f64_e32 v[206:207], v[200:201]
	s_nop 0
	v_fma_f64 v[208:209], -v[200:201], v[206:207], 1.0
	v_fmac_f64_e32 v[206:207], v[206:207], v[208:209]
	v_fma_f64 v[208:209], -v[200:201], v[206:207], 1.0
	v_fmac_f64_e32 v[206:207], v[206:207], v[208:209]
	v_div_scale_f64 v[208:209], vcc, 1.0, v[202:203], 1.0
	v_mul_f64 v[210:211], v[208:209], v[206:207]
	v_fma_f64 v[200:201], -v[200:201], v[210:211], v[208:209]
	s_nop 1
	v_div_fmas_f64 v[200:201], v[200:201], v[206:207], v[210:211]
	v_div_fixup_f64 v[206:207], v[200:201], v[202:203], 1.0
	v_mul_f64 v[204:205], v[204:205], v[206:207]
	v_xor_b32_e32 v207, 0x80000000, v207
                                        ; implicit-def: $vgpr200_vgpr201
.LBB99_320:
	s_andn2_saveexec_b64 s[2:3], s[2:3]
	s_cbranch_execz .LBB99_322
; %bb.321:
	v_div_scale_f64 v[204:205], s[10:11], v[200:201], v[200:201], v[202:203]
	v_rcp_f64_e32 v[206:207], v[204:205]
	v_div_scale_f64 v[208:209], vcc, v[202:203], v[200:201], v[202:203]
	v_fma_f64 v[210:211], -v[204:205], v[206:207], 1.0
	v_fmac_f64_e32 v[206:207], v[206:207], v[210:211]
	v_fma_f64 v[210:211], -v[204:205], v[206:207], 1.0
	v_fmac_f64_e32 v[206:207], v[206:207], v[210:211]
	v_mul_f64 v[210:211], v[208:209], v[206:207]
	v_fma_f64 v[204:205], -v[204:205], v[210:211], v[208:209]
	v_div_fmas_f64 v[204:205], v[204:205], v[206:207], v[210:211]
	v_div_fixup_f64 v[206:207], v[204:205], v[200:201], v[202:203]
	v_fmac_f64_e32 v[200:201], v[202:203], v[206:207]
	v_div_scale_f64 v[202:203], s[10:11], v[200:201], v[200:201], 1.0
	v_rcp_f64_e32 v[204:205], v[202:203]
	s_nop 0
	v_fma_f64 v[208:209], -v[202:203], v[204:205], 1.0
	v_fmac_f64_e32 v[204:205], v[204:205], v[208:209]
	v_fma_f64 v[208:209], -v[202:203], v[204:205], 1.0
	v_fmac_f64_e32 v[204:205], v[204:205], v[208:209]
	v_div_scale_f64 v[208:209], vcc, 1.0, v[200:201], 1.0
	v_mul_f64 v[210:211], v[208:209], v[204:205]
	v_fma_f64 v[202:203], -v[202:203], v[210:211], v[208:209]
	s_nop 1
	v_div_fmas_f64 v[202:203], v[202:203], v[204:205], v[210:211]
	v_div_fixup_f64 v[204:205], v[202:203], v[200:201], 1.0
	v_mul_f64 v[206:207], v[206:207], -v[204:205]
.LBB99_322:
	s_or_b64 exec, exec, s[2:3]
	ds_write2_b64 v194, v[204:205], v[206:207] offset1:1
.LBB99_323:
	s_or_b64 exec, exec, s[4:5]
	s_waitcnt lgkmcnt(0)
	s_barrier
	ds_read2_b64 v[200:203], v194 offset1:1
	v_cmp_lt_u32_e32 vcc, 35, v234
	s_waitcnt lgkmcnt(0)
	scratch_store_dwordx4 off, v[200:203], off offset:912 ; 16-byte Folded Spill
	s_and_saveexec_b64 s[2:3], vcc
	s_cbranch_execz .LBB99_325
; %bb.324:
	scratch_load_dwordx4 v[202:205], off, off offset:912 ; 16-byte Folded Reload
	s_waitcnt vmcnt(0)
	v_mul_f64 v[200:201], v[202:203], v[54:55]
	v_mul_f64 v[54:55], v[204:205], v[54:55]
	v_fmac_f64_e32 v[200:201], v[204:205], v[52:53]
	v_fma_f64 v[52:53], v[202:203], v[52:53], -v[54:55]
	ds_read2_b64 v[202:205], v233 offset0:72 offset1:73
	s_waitcnt lgkmcnt(0)
	v_mul_f64 v[54:55], v[204:205], v[200:201]
	v_fma_f64 v[54:55], v[202:203], v[52:53], -v[54:55]
	v_mul_f64 v[202:203], v[202:203], v[200:201]
	v_fmac_f64_e32 v[202:203], v[204:205], v[52:53]
	v_add_f64 v[50:51], v[50:51], -v[202:203]
	ds_read2_b64 v[202:205], v233 offset0:74 offset1:75
	v_add_f64 v[48:49], v[48:49], -v[54:55]
	s_waitcnt lgkmcnt(0)
	v_mul_f64 v[54:55], v[204:205], v[200:201]
	v_fma_f64 v[54:55], v[202:203], v[52:53], -v[54:55]
	v_mul_f64 v[202:203], v[202:203], v[200:201]
	v_fmac_f64_e32 v[202:203], v[204:205], v[52:53]
	v_add_f64 v[46:47], v[46:47], -v[202:203]
	ds_read2_b64 v[202:205], v233 offset0:76 offset1:77
	v_add_f64 v[44:45], v[44:45], -v[54:55]
	;; [unrolled: 8-line block ×13, first 2 shown]
	s_waitcnt lgkmcnt(0)
	v_mul_f64 v[54:55], v[204:205], v[200:201]
	v_fma_f64 v[54:55], v[202:203], v[52:53], -v[54:55]
	v_mul_f64 v[202:203], v[202:203], v[200:201]
	v_fmac_f64_e32 v[202:203], v[204:205], v[52:53]
	v_add_f64 v[196:197], v[196:197], -v[54:55]
	v_add_f64 v[198:199], v[198:199], -v[202:203]
	v_mov_b64_e32 v[54:55], v[200:201]
.LBB99_325:
	s_or_b64 exec, exec, s[2:3]
	v_cmp_eq_u32_e32 vcc, 36, v234
	s_waitcnt vmcnt(63) expcnt(7) lgkmcnt(15)
	s_barrier
	s_and_saveexec_b64 s[4:5], vcc
	s_cbranch_execz .LBB99_332
; %bb.326:
	s_waitcnt vmcnt(49)
	ds_write2_b64 v194, v[48:49], v[50:51] offset1:1
	s_waitcnt vmcnt(48)
	ds_write2_b64 v233, v[44:45], v[46:47] offset0:74 offset1:75
	s_waitcnt vmcnt(47)
	ds_write2_b64 v233, v[40:41], v[42:43] offset0:76 offset1:77
	;; [unrolled: 2-line block ×13, first 2 shown]
	ds_read2_b64 v[200:203], v194 offset1:1
	s_waitcnt lgkmcnt(0)
	v_cmp_neq_f64_e32 vcc, 0, v[200:201]
	v_cmp_neq_f64_e64 s[2:3], 0, v[202:203]
	s_or_b64 s[2:3], vcc, s[2:3]
	s_and_b64 exec, exec, s[2:3]
	s_cbranch_execz .LBB99_332
; %bb.327:
	v_cmp_ngt_f64_e64 s[2:3], |v[200:201]|, |v[202:203]|
                                        ; implicit-def: $vgpr204_vgpr205
	s_and_saveexec_b64 s[10:11], s[2:3]
	s_xor_b64 s[2:3], exec, s[10:11]
                                        ; implicit-def: $vgpr206_vgpr207
	s_cbranch_execz .LBB99_329
; %bb.328:
	v_div_scale_f64 v[204:205], s[10:11], v[202:203], v[202:203], v[200:201]
	v_rcp_f64_e32 v[206:207], v[204:205]
	v_div_scale_f64 v[208:209], vcc, v[200:201], v[202:203], v[200:201]
	v_fma_f64 v[210:211], -v[204:205], v[206:207], 1.0
	v_fmac_f64_e32 v[206:207], v[206:207], v[210:211]
	v_fma_f64 v[210:211], -v[204:205], v[206:207], 1.0
	v_fmac_f64_e32 v[206:207], v[206:207], v[210:211]
	v_mul_f64 v[210:211], v[208:209], v[206:207]
	v_fma_f64 v[204:205], -v[204:205], v[210:211], v[208:209]
	v_div_fmas_f64 v[204:205], v[204:205], v[206:207], v[210:211]
	v_div_fixup_f64 v[204:205], v[204:205], v[202:203], v[200:201]
	v_fmac_f64_e32 v[202:203], v[200:201], v[204:205]
	v_div_scale_f64 v[200:201], s[10:11], v[202:203], v[202:203], 1.0
	v_rcp_f64_e32 v[206:207], v[200:201]
	s_nop 0
	v_fma_f64 v[208:209], -v[200:201], v[206:207], 1.0
	v_fmac_f64_e32 v[206:207], v[206:207], v[208:209]
	v_fma_f64 v[208:209], -v[200:201], v[206:207], 1.0
	v_fmac_f64_e32 v[206:207], v[206:207], v[208:209]
	v_div_scale_f64 v[208:209], vcc, 1.0, v[202:203], 1.0
	v_mul_f64 v[210:211], v[208:209], v[206:207]
	v_fma_f64 v[200:201], -v[200:201], v[210:211], v[208:209]
	s_nop 1
	v_div_fmas_f64 v[200:201], v[200:201], v[206:207], v[210:211]
	v_div_fixup_f64 v[206:207], v[200:201], v[202:203], 1.0
	v_mul_f64 v[204:205], v[204:205], v[206:207]
	v_xor_b32_e32 v207, 0x80000000, v207
                                        ; implicit-def: $vgpr200_vgpr201
.LBB99_329:
	s_andn2_saveexec_b64 s[2:3], s[2:3]
	s_cbranch_execz .LBB99_331
; %bb.330:
	v_div_scale_f64 v[204:205], s[10:11], v[200:201], v[200:201], v[202:203]
	v_rcp_f64_e32 v[206:207], v[204:205]
	v_div_scale_f64 v[208:209], vcc, v[202:203], v[200:201], v[202:203]
	v_fma_f64 v[210:211], -v[204:205], v[206:207], 1.0
	v_fmac_f64_e32 v[206:207], v[206:207], v[210:211]
	v_fma_f64 v[210:211], -v[204:205], v[206:207], 1.0
	v_fmac_f64_e32 v[206:207], v[206:207], v[210:211]
	v_mul_f64 v[210:211], v[208:209], v[206:207]
	v_fma_f64 v[204:205], -v[204:205], v[210:211], v[208:209]
	v_div_fmas_f64 v[204:205], v[204:205], v[206:207], v[210:211]
	v_div_fixup_f64 v[206:207], v[204:205], v[200:201], v[202:203]
	v_fmac_f64_e32 v[200:201], v[202:203], v[206:207]
	v_div_scale_f64 v[202:203], s[10:11], v[200:201], v[200:201], 1.0
	v_rcp_f64_e32 v[204:205], v[202:203]
	s_nop 0
	v_fma_f64 v[208:209], -v[202:203], v[204:205], 1.0
	v_fmac_f64_e32 v[204:205], v[204:205], v[208:209]
	v_fma_f64 v[208:209], -v[202:203], v[204:205], 1.0
	v_fmac_f64_e32 v[204:205], v[204:205], v[208:209]
	v_div_scale_f64 v[208:209], vcc, 1.0, v[200:201], 1.0
	v_mul_f64 v[210:211], v[208:209], v[204:205]
	v_fma_f64 v[202:203], -v[202:203], v[210:211], v[208:209]
	s_nop 1
	v_div_fmas_f64 v[202:203], v[202:203], v[204:205], v[210:211]
	v_div_fixup_f64 v[204:205], v[202:203], v[200:201], 1.0
	v_mul_f64 v[206:207], v[206:207], -v[204:205]
.LBB99_331:
	s_or_b64 exec, exec, s[2:3]
	ds_write2_b64 v194, v[204:205], v[206:207] offset1:1
.LBB99_332:
	s_or_b64 exec, exec, s[4:5]
	s_waitcnt lgkmcnt(0)
	s_barrier
	ds_read2_b64 v[200:203], v194 offset1:1
	v_cmp_lt_u32_e32 vcc, 36, v234
	s_waitcnt lgkmcnt(0)
	scratch_store_dwordx4 off, v[200:203], off offset:928 ; 16-byte Folded Spill
	s_and_saveexec_b64 s[2:3], vcc
	s_cbranch_execz .LBB99_334
; %bb.333:
	scratch_load_dwordx4 v[202:205], off, off offset:928 ; 16-byte Folded Reload
	s_waitcnt vmcnt(0)
	v_mul_f64 v[200:201], v[202:203], v[50:51]
	v_mul_f64 v[50:51], v[204:205], v[50:51]
	v_fmac_f64_e32 v[200:201], v[204:205], v[48:49]
	v_fma_f64 v[48:49], v[202:203], v[48:49], -v[50:51]
	ds_read2_b64 v[202:205], v233 offset0:74 offset1:75
	s_waitcnt lgkmcnt(0)
	v_mul_f64 v[50:51], v[204:205], v[200:201]
	v_fma_f64 v[50:51], v[202:203], v[48:49], -v[50:51]
	v_mul_f64 v[202:203], v[202:203], v[200:201]
	v_fmac_f64_e32 v[202:203], v[204:205], v[48:49]
	v_add_f64 v[46:47], v[46:47], -v[202:203]
	ds_read2_b64 v[202:205], v233 offset0:76 offset1:77
	v_add_f64 v[44:45], v[44:45], -v[50:51]
	s_waitcnt lgkmcnt(0)
	v_mul_f64 v[50:51], v[204:205], v[200:201]
	v_fma_f64 v[50:51], v[202:203], v[48:49], -v[50:51]
	v_mul_f64 v[202:203], v[202:203], v[200:201]
	v_fmac_f64_e32 v[202:203], v[204:205], v[48:49]
	v_add_f64 v[42:43], v[42:43], -v[202:203]
	ds_read2_b64 v[202:205], v233 offset0:78 offset1:79
	v_add_f64 v[40:41], v[40:41], -v[50:51]
	;; [unrolled: 8-line block ×12, first 2 shown]
	s_waitcnt lgkmcnt(0)
	v_mul_f64 v[50:51], v[204:205], v[200:201]
	v_fma_f64 v[50:51], v[202:203], v[48:49], -v[50:51]
	v_mul_f64 v[202:203], v[202:203], v[200:201]
	v_fmac_f64_e32 v[202:203], v[204:205], v[48:49]
	v_add_f64 v[196:197], v[196:197], -v[50:51]
	v_add_f64 v[198:199], v[198:199], -v[202:203]
	v_mov_b64_e32 v[50:51], v[200:201]
.LBB99_334:
	s_or_b64 exec, exec, s[2:3]
	v_cmp_eq_u32_e32 vcc, 37, v234
	s_waitcnt vmcnt(63) expcnt(7) lgkmcnt(15)
	s_barrier
	s_and_saveexec_b64 s[4:5], vcc
	s_cbranch_execz .LBB99_341
; %bb.335:
	s_waitcnt vmcnt(49)
	ds_write2_b64 v194, v[44:45], v[46:47] offset1:1
	s_waitcnt vmcnt(48)
	ds_write2_b64 v233, v[40:41], v[42:43] offset0:76 offset1:77
	s_waitcnt vmcnt(47)
	ds_write2_b64 v233, v[36:37], v[38:39] offset0:78 offset1:79
	;; [unrolled: 2-line block ×12, first 2 shown]
	ds_read2_b64 v[200:203], v194 offset1:1
	s_waitcnt lgkmcnt(0)
	v_cmp_neq_f64_e32 vcc, 0, v[200:201]
	v_cmp_neq_f64_e64 s[2:3], 0, v[202:203]
	s_or_b64 s[2:3], vcc, s[2:3]
	s_and_b64 exec, exec, s[2:3]
	s_cbranch_execz .LBB99_341
; %bb.336:
	v_cmp_ngt_f64_e64 s[2:3], |v[200:201]|, |v[202:203]|
                                        ; implicit-def: $vgpr204_vgpr205
	s_and_saveexec_b64 s[10:11], s[2:3]
	s_xor_b64 s[2:3], exec, s[10:11]
                                        ; implicit-def: $vgpr206_vgpr207
	s_cbranch_execz .LBB99_338
; %bb.337:
	v_div_scale_f64 v[204:205], s[10:11], v[202:203], v[202:203], v[200:201]
	v_rcp_f64_e32 v[206:207], v[204:205]
	v_div_scale_f64 v[208:209], vcc, v[200:201], v[202:203], v[200:201]
	v_fma_f64 v[210:211], -v[204:205], v[206:207], 1.0
	v_fmac_f64_e32 v[206:207], v[206:207], v[210:211]
	v_fma_f64 v[210:211], -v[204:205], v[206:207], 1.0
	v_fmac_f64_e32 v[206:207], v[206:207], v[210:211]
	v_mul_f64 v[210:211], v[208:209], v[206:207]
	v_fma_f64 v[204:205], -v[204:205], v[210:211], v[208:209]
	v_div_fmas_f64 v[204:205], v[204:205], v[206:207], v[210:211]
	v_div_fixup_f64 v[204:205], v[204:205], v[202:203], v[200:201]
	v_fmac_f64_e32 v[202:203], v[200:201], v[204:205]
	v_div_scale_f64 v[200:201], s[10:11], v[202:203], v[202:203], 1.0
	v_rcp_f64_e32 v[206:207], v[200:201]
	s_nop 0
	v_fma_f64 v[208:209], -v[200:201], v[206:207], 1.0
	v_fmac_f64_e32 v[206:207], v[206:207], v[208:209]
	v_fma_f64 v[208:209], -v[200:201], v[206:207], 1.0
	v_fmac_f64_e32 v[206:207], v[206:207], v[208:209]
	v_div_scale_f64 v[208:209], vcc, 1.0, v[202:203], 1.0
	v_mul_f64 v[210:211], v[208:209], v[206:207]
	v_fma_f64 v[200:201], -v[200:201], v[210:211], v[208:209]
	s_nop 1
	v_div_fmas_f64 v[200:201], v[200:201], v[206:207], v[210:211]
	v_div_fixup_f64 v[206:207], v[200:201], v[202:203], 1.0
	v_mul_f64 v[204:205], v[204:205], v[206:207]
	v_xor_b32_e32 v207, 0x80000000, v207
                                        ; implicit-def: $vgpr200_vgpr201
.LBB99_338:
	s_andn2_saveexec_b64 s[2:3], s[2:3]
	s_cbranch_execz .LBB99_340
; %bb.339:
	v_div_scale_f64 v[204:205], s[10:11], v[200:201], v[200:201], v[202:203]
	v_rcp_f64_e32 v[206:207], v[204:205]
	v_div_scale_f64 v[208:209], vcc, v[202:203], v[200:201], v[202:203]
	v_fma_f64 v[210:211], -v[204:205], v[206:207], 1.0
	v_fmac_f64_e32 v[206:207], v[206:207], v[210:211]
	v_fma_f64 v[210:211], -v[204:205], v[206:207], 1.0
	v_fmac_f64_e32 v[206:207], v[206:207], v[210:211]
	v_mul_f64 v[210:211], v[208:209], v[206:207]
	v_fma_f64 v[204:205], -v[204:205], v[210:211], v[208:209]
	v_div_fmas_f64 v[204:205], v[204:205], v[206:207], v[210:211]
	v_div_fixup_f64 v[206:207], v[204:205], v[200:201], v[202:203]
	v_fmac_f64_e32 v[200:201], v[202:203], v[206:207]
	v_div_scale_f64 v[202:203], s[10:11], v[200:201], v[200:201], 1.0
	v_rcp_f64_e32 v[204:205], v[202:203]
	s_nop 0
	v_fma_f64 v[208:209], -v[202:203], v[204:205], 1.0
	v_fmac_f64_e32 v[204:205], v[204:205], v[208:209]
	v_fma_f64 v[208:209], -v[202:203], v[204:205], 1.0
	v_fmac_f64_e32 v[204:205], v[204:205], v[208:209]
	v_div_scale_f64 v[208:209], vcc, 1.0, v[200:201], 1.0
	v_mul_f64 v[210:211], v[208:209], v[204:205]
	v_fma_f64 v[202:203], -v[202:203], v[210:211], v[208:209]
	s_nop 1
	v_div_fmas_f64 v[202:203], v[202:203], v[204:205], v[210:211]
	v_div_fixup_f64 v[204:205], v[202:203], v[200:201], 1.0
	v_mul_f64 v[206:207], v[206:207], -v[204:205]
.LBB99_340:
	s_or_b64 exec, exec, s[2:3]
	ds_write2_b64 v194, v[204:205], v[206:207] offset1:1
.LBB99_341:
	s_or_b64 exec, exec, s[4:5]
	s_waitcnt lgkmcnt(0)
	s_barrier
	ds_read2_b64 v[200:203], v194 offset1:1
	v_cmp_lt_u32_e32 vcc, 37, v234
	s_waitcnt lgkmcnt(0)
	scratch_store_dwordx4 off, v[200:203], off offset:944 ; 16-byte Folded Spill
	s_and_saveexec_b64 s[2:3], vcc
	s_cbranch_execz .LBB99_343
; %bb.342:
	scratch_load_dwordx4 v[202:205], off, off offset:944 ; 16-byte Folded Reload
	s_waitcnt vmcnt(0)
	v_mul_f64 v[200:201], v[202:203], v[46:47]
	v_mul_f64 v[46:47], v[204:205], v[46:47]
	v_fmac_f64_e32 v[200:201], v[204:205], v[44:45]
	v_fma_f64 v[44:45], v[202:203], v[44:45], -v[46:47]
	ds_read2_b64 v[202:205], v233 offset0:76 offset1:77
	s_waitcnt lgkmcnt(0)
	v_mul_f64 v[46:47], v[204:205], v[200:201]
	v_fma_f64 v[46:47], v[202:203], v[44:45], -v[46:47]
	v_mul_f64 v[202:203], v[202:203], v[200:201]
	v_fmac_f64_e32 v[202:203], v[204:205], v[44:45]
	v_add_f64 v[42:43], v[42:43], -v[202:203]
	ds_read2_b64 v[202:205], v233 offset0:78 offset1:79
	v_add_f64 v[40:41], v[40:41], -v[46:47]
	s_waitcnt lgkmcnt(0)
	v_mul_f64 v[46:47], v[204:205], v[200:201]
	v_fma_f64 v[46:47], v[202:203], v[44:45], -v[46:47]
	v_mul_f64 v[202:203], v[202:203], v[200:201]
	v_fmac_f64_e32 v[202:203], v[204:205], v[44:45]
	v_add_f64 v[38:39], v[38:39], -v[202:203]
	ds_read2_b64 v[202:205], v233 offset0:80 offset1:81
	v_add_f64 v[36:37], v[36:37], -v[46:47]
	;; [unrolled: 8-line block ×11, first 2 shown]
	s_waitcnt lgkmcnt(0)
	v_mul_f64 v[46:47], v[204:205], v[200:201]
	v_fma_f64 v[46:47], v[202:203], v[44:45], -v[46:47]
	v_mul_f64 v[202:203], v[202:203], v[200:201]
	v_fmac_f64_e32 v[202:203], v[204:205], v[44:45]
	v_add_f64 v[196:197], v[196:197], -v[46:47]
	v_add_f64 v[198:199], v[198:199], -v[202:203]
	v_mov_b64_e32 v[46:47], v[200:201]
.LBB99_343:
	s_or_b64 exec, exec, s[2:3]
	v_cmp_eq_u32_e32 vcc, 38, v234
	s_waitcnt vmcnt(63) expcnt(7) lgkmcnt(15)
	s_barrier
	s_and_saveexec_b64 s[4:5], vcc
	s_cbranch_execz .LBB99_350
; %bb.344:
	s_waitcnt vmcnt(49)
	ds_write2_b64 v194, v[40:41], v[42:43] offset1:1
	s_waitcnt vmcnt(48)
	ds_write2_b64 v233, v[36:37], v[38:39] offset0:78 offset1:79
	s_waitcnt vmcnt(47)
	ds_write2_b64 v233, v[32:33], v[34:35] offset0:80 offset1:81
	;; [unrolled: 2-line block ×11, first 2 shown]
	ds_read2_b64 v[200:203], v194 offset1:1
	s_waitcnt lgkmcnt(0)
	v_cmp_neq_f64_e32 vcc, 0, v[200:201]
	v_cmp_neq_f64_e64 s[2:3], 0, v[202:203]
	s_or_b64 s[2:3], vcc, s[2:3]
	s_and_b64 exec, exec, s[2:3]
	s_cbranch_execz .LBB99_350
; %bb.345:
	v_cmp_ngt_f64_e64 s[2:3], |v[200:201]|, |v[202:203]|
                                        ; implicit-def: $vgpr204_vgpr205
	s_and_saveexec_b64 s[10:11], s[2:3]
	s_xor_b64 s[2:3], exec, s[10:11]
                                        ; implicit-def: $vgpr206_vgpr207
	s_cbranch_execz .LBB99_347
; %bb.346:
	v_div_scale_f64 v[204:205], s[10:11], v[202:203], v[202:203], v[200:201]
	v_rcp_f64_e32 v[206:207], v[204:205]
	v_div_scale_f64 v[208:209], vcc, v[200:201], v[202:203], v[200:201]
	v_fma_f64 v[210:211], -v[204:205], v[206:207], 1.0
	v_fmac_f64_e32 v[206:207], v[206:207], v[210:211]
	v_fma_f64 v[210:211], -v[204:205], v[206:207], 1.0
	v_fmac_f64_e32 v[206:207], v[206:207], v[210:211]
	v_mul_f64 v[210:211], v[208:209], v[206:207]
	v_fma_f64 v[204:205], -v[204:205], v[210:211], v[208:209]
	v_div_fmas_f64 v[204:205], v[204:205], v[206:207], v[210:211]
	v_div_fixup_f64 v[204:205], v[204:205], v[202:203], v[200:201]
	v_fmac_f64_e32 v[202:203], v[200:201], v[204:205]
	v_div_scale_f64 v[200:201], s[10:11], v[202:203], v[202:203], 1.0
	v_rcp_f64_e32 v[206:207], v[200:201]
	s_nop 0
	v_fma_f64 v[208:209], -v[200:201], v[206:207], 1.0
	v_fmac_f64_e32 v[206:207], v[206:207], v[208:209]
	v_fma_f64 v[208:209], -v[200:201], v[206:207], 1.0
	v_fmac_f64_e32 v[206:207], v[206:207], v[208:209]
	v_div_scale_f64 v[208:209], vcc, 1.0, v[202:203], 1.0
	v_mul_f64 v[210:211], v[208:209], v[206:207]
	v_fma_f64 v[200:201], -v[200:201], v[210:211], v[208:209]
	s_nop 1
	v_div_fmas_f64 v[200:201], v[200:201], v[206:207], v[210:211]
	v_div_fixup_f64 v[206:207], v[200:201], v[202:203], 1.0
	v_mul_f64 v[204:205], v[204:205], v[206:207]
	v_xor_b32_e32 v207, 0x80000000, v207
                                        ; implicit-def: $vgpr200_vgpr201
.LBB99_347:
	s_andn2_saveexec_b64 s[2:3], s[2:3]
	s_cbranch_execz .LBB99_349
; %bb.348:
	v_div_scale_f64 v[204:205], s[10:11], v[200:201], v[200:201], v[202:203]
	v_rcp_f64_e32 v[206:207], v[204:205]
	v_div_scale_f64 v[208:209], vcc, v[202:203], v[200:201], v[202:203]
	v_fma_f64 v[210:211], -v[204:205], v[206:207], 1.0
	v_fmac_f64_e32 v[206:207], v[206:207], v[210:211]
	v_fma_f64 v[210:211], -v[204:205], v[206:207], 1.0
	v_fmac_f64_e32 v[206:207], v[206:207], v[210:211]
	v_mul_f64 v[210:211], v[208:209], v[206:207]
	v_fma_f64 v[204:205], -v[204:205], v[210:211], v[208:209]
	v_div_fmas_f64 v[204:205], v[204:205], v[206:207], v[210:211]
	v_div_fixup_f64 v[206:207], v[204:205], v[200:201], v[202:203]
	v_fmac_f64_e32 v[200:201], v[202:203], v[206:207]
	v_div_scale_f64 v[202:203], s[10:11], v[200:201], v[200:201], 1.0
	v_rcp_f64_e32 v[204:205], v[202:203]
	s_nop 0
	v_fma_f64 v[208:209], -v[202:203], v[204:205], 1.0
	v_fmac_f64_e32 v[204:205], v[204:205], v[208:209]
	v_fma_f64 v[208:209], -v[202:203], v[204:205], 1.0
	v_fmac_f64_e32 v[204:205], v[204:205], v[208:209]
	v_div_scale_f64 v[208:209], vcc, 1.0, v[200:201], 1.0
	v_mul_f64 v[210:211], v[208:209], v[204:205]
	v_fma_f64 v[202:203], -v[202:203], v[210:211], v[208:209]
	s_nop 1
	v_div_fmas_f64 v[202:203], v[202:203], v[204:205], v[210:211]
	v_div_fixup_f64 v[204:205], v[202:203], v[200:201], 1.0
	v_mul_f64 v[206:207], v[206:207], -v[204:205]
.LBB99_349:
	s_or_b64 exec, exec, s[2:3]
	ds_write2_b64 v194, v[204:205], v[206:207] offset1:1
.LBB99_350:
	s_or_b64 exec, exec, s[4:5]
	s_waitcnt lgkmcnt(0)
	s_barrier
	ds_read2_b64 v[200:203], v194 offset1:1
	v_cmp_lt_u32_e32 vcc, 38, v234
	s_waitcnt lgkmcnt(0)
	scratch_store_dwordx4 off, v[200:203], off offset:960 ; 16-byte Folded Spill
	s_and_saveexec_b64 s[2:3], vcc
	s_cbranch_execz .LBB99_352
; %bb.351:
	scratch_load_dwordx4 v[202:205], off, off offset:960 ; 16-byte Folded Reload
	s_waitcnt vmcnt(0)
	v_mul_f64 v[200:201], v[202:203], v[42:43]
	v_mul_f64 v[42:43], v[204:205], v[42:43]
	v_fmac_f64_e32 v[200:201], v[204:205], v[40:41]
	v_fma_f64 v[40:41], v[202:203], v[40:41], -v[42:43]
	ds_read2_b64 v[202:205], v233 offset0:78 offset1:79
	s_waitcnt lgkmcnt(0)
	v_mul_f64 v[42:43], v[204:205], v[200:201]
	v_fma_f64 v[42:43], v[202:203], v[40:41], -v[42:43]
	v_mul_f64 v[202:203], v[202:203], v[200:201]
	v_fmac_f64_e32 v[202:203], v[204:205], v[40:41]
	v_add_f64 v[38:39], v[38:39], -v[202:203]
	ds_read2_b64 v[202:205], v233 offset0:80 offset1:81
	v_add_f64 v[36:37], v[36:37], -v[42:43]
	s_waitcnt lgkmcnt(0)
	v_mul_f64 v[42:43], v[204:205], v[200:201]
	v_fma_f64 v[42:43], v[202:203], v[40:41], -v[42:43]
	v_mul_f64 v[202:203], v[202:203], v[200:201]
	v_fmac_f64_e32 v[202:203], v[204:205], v[40:41]
	v_add_f64 v[34:35], v[34:35], -v[202:203]
	ds_read2_b64 v[202:205], v233 offset0:82 offset1:83
	v_add_f64 v[32:33], v[32:33], -v[42:43]
	;; [unrolled: 8-line block ×10, first 2 shown]
	s_waitcnt lgkmcnt(0)
	v_mul_f64 v[42:43], v[204:205], v[200:201]
	v_fma_f64 v[42:43], v[202:203], v[40:41], -v[42:43]
	v_mul_f64 v[202:203], v[202:203], v[200:201]
	v_fmac_f64_e32 v[202:203], v[204:205], v[40:41]
	v_add_f64 v[196:197], v[196:197], -v[42:43]
	v_add_f64 v[198:199], v[198:199], -v[202:203]
	v_mov_b64_e32 v[42:43], v[200:201]
.LBB99_352:
	s_or_b64 exec, exec, s[2:3]
	v_cmp_eq_u32_e32 vcc, 39, v234
	s_waitcnt vmcnt(63) expcnt(7) lgkmcnt(15)
	s_barrier
	s_and_saveexec_b64 s[4:5], vcc
	s_cbranch_execz .LBB99_359
; %bb.353:
	s_waitcnt vmcnt(49)
	ds_write2_b64 v194, v[36:37], v[38:39] offset1:1
	s_waitcnt vmcnt(48)
	ds_write2_b64 v233, v[32:33], v[34:35] offset0:80 offset1:81
	s_waitcnt vmcnt(47)
	ds_write2_b64 v233, v[28:29], v[30:31] offset0:82 offset1:83
	;; [unrolled: 2-line block ×10, first 2 shown]
	ds_read2_b64 v[200:203], v194 offset1:1
	s_waitcnt lgkmcnt(0)
	v_cmp_neq_f64_e32 vcc, 0, v[200:201]
	v_cmp_neq_f64_e64 s[2:3], 0, v[202:203]
	s_or_b64 s[2:3], vcc, s[2:3]
	s_and_b64 exec, exec, s[2:3]
	s_cbranch_execz .LBB99_359
; %bb.354:
	v_cmp_ngt_f64_e64 s[2:3], |v[200:201]|, |v[202:203]|
                                        ; implicit-def: $vgpr204_vgpr205
	s_and_saveexec_b64 s[10:11], s[2:3]
	s_xor_b64 s[2:3], exec, s[10:11]
                                        ; implicit-def: $vgpr206_vgpr207
	s_cbranch_execz .LBB99_356
; %bb.355:
	v_div_scale_f64 v[204:205], s[10:11], v[202:203], v[202:203], v[200:201]
	v_rcp_f64_e32 v[206:207], v[204:205]
	v_div_scale_f64 v[208:209], vcc, v[200:201], v[202:203], v[200:201]
	v_fma_f64 v[210:211], -v[204:205], v[206:207], 1.0
	v_fmac_f64_e32 v[206:207], v[206:207], v[210:211]
	v_fma_f64 v[210:211], -v[204:205], v[206:207], 1.0
	v_fmac_f64_e32 v[206:207], v[206:207], v[210:211]
	v_mul_f64 v[210:211], v[208:209], v[206:207]
	v_fma_f64 v[204:205], -v[204:205], v[210:211], v[208:209]
	v_div_fmas_f64 v[204:205], v[204:205], v[206:207], v[210:211]
	v_div_fixup_f64 v[204:205], v[204:205], v[202:203], v[200:201]
	v_fmac_f64_e32 v[202:203], v[200:201], v[204:205]
	v_div_scale_f64 v[200:201], s[10:11], v[202:203], v[202:203], 1.0
	v_rcp_f64_e32 v[206:207], v[200:201]
	s_nop 0
	v_fma_f64 v[208:209], -v[200:201], v[206:207], 1.0
	v_fmac_f64_e32 v[206:207], v[206:207], v[208:209]
	v_fma_f64 v[208:209], -v[200:201], v[206:207], 1.0
	v_fmac_f64_e32 v[206:207], v[206:207], v[208:209]
	v_div_scale_f64 v[208:209], vcc, 1.0, v[202:203], 1.0
	v_mul_f64 v[210:211], v[208:209], v[206:207]
	v_fma_f64 v[200:201], -v[200:201], v[210:211], v[208:209]
	s_nop 1
	v_div_fmas_f64 v[200:201], v[200:201], v[206:207], v[210:211]
	v_div_fixup_f64 v[206:207], v[200:201], v[202:203], 1.0
	v_mul_f64 v[204:205], v[204:205], v[206:207]
	v_xor_b32_e32 v207, 0x80000000, v207
                                        ; implicit-def: $vgpr200_vgpr201
.LBB99_356:
	s_andn2_saveexec_b64 s[2:3], s[2:3]
	s_cbranch_execz .LBB99_358
; %bb.357:
	v_div_scale_f64 v[204:205], s[10:11], v[200:201], v[200:201], v[202:203]
	v_rcp_f64_e32 v[206:207], v[204:205]
	v_div_scale_f64 v[208:209], vcc, v[202:203], v[200:201], v[202:203]
	v_fma_f64 v[210:211], -v[204:205], v[206:207], 1.0
	v_fmac_f64_e32 v[206:207], v[206:207], v[210:211]
	v_fma_f64 v[210:211], -v[204:205], v[206:207], 1.0
	v_fmac_f64_e32 v[206:207], v[206:207], v[210:211]
	v_mul_f64 v[210:211], v[208:209], v[206:207]
	v_fma_f64 v[204:205], -v[204:205], v[210:211], v[208:209]
	v_div_fmas_f64 v[204:205], v[204:205], v[206:207], v[210:211]
	v_div_fixup_f64 v[206:207], v[204:205], v[200:201], v[202:203]
	v_fmac_f64_e32 v[200:201], v[202:203], v[206:207]
	v_div_scale_f64 v[202:203], s[10:11], v[200:201], v[200:201], 1.0
	v_rcp_f64_e32 v[204:205], v[202:203]
	s_nop 0
	v_fma_f64 v[208:209], -v[202:203], v[204:205], 1.0
	v_fmac_f64_e32 v[204:205], v[204:205], v[208:209]
	v_fma_f64 v[208:209], -v[202:203], v[204:205], 1.0
	v_fmac_f64_e32 v[204:205], v[204:205], v[208:209]
	v_div_scale_f64 v[208:209], vcc, 1.0, v[200:201], 1.0
	v_mul_f64 v[210:211], v[208:209], v[204:205]
	v_fma_f64 v[202:203], -v[202:203], v[210:211], v[208:209]
	s_nop 1
	v_div_fmas_f64 v[202:203], v[202:203], v[204:205], v[210:211]
	v_div_fixup_f64 v[204:205], v[202:203], v[200:201], 1.0
	v_mul_f64 v[206:207], v[206:207], -v[204:205]
.LBB99_358:
	s_or_b64 exec, exec, s[2:3]
	ds_write2_b64 v194, v[204:205], v[206:207] offset1:1
.LBB99_359:
	s_or_b64 exec, exec, s[4:5]
	s_waitcnt lgkmcnt(0)
	s_barrier
	ds_read2_b64 v[200:203], v194 offset1:1
	v_cmp_lt_u32_e32 vcc, 39, v234
	s_waitcnt lgkmcnt(0)
	scratch_store_dwordx4 off, v[200:203], off offset:976 ; 16-byte Folded Spill
	s_and_saveexec_b64 s[2:3], vcc
	s_cbranch_execz .LBB99_361
; %bb.360:
	scratch_load_dwordx4 v[202:205], off, off offset:976 ; 16-byte Folded Reload
	s_waitcnt vmcnt(0)
	v_mul_f64 v[200:201], v[202:203], v[38:39]
	v_mul_f64 v[38:39], v[204:205], v[38:39]
	v_fmac_f64_e32 v[200:201], v[204:205], v[36:37]
	v_fma_f64 v[36:37], v[202:203], v[36:37], -v[38:39]
	ds_read2_b64 v[202:205], v233 offset0:80 offset1:81
	s_waitcnt lgkmcnt(0)
	v_mul_f64 v[38:39], v[204:205], v[200:201]
	v_fma_f64 v[38:39], v[202:203], v[36:37], -v[38:39]
	v_mul_f64 v[202:203], v[202:203], v[200:201]
	v_fmac_f64_e32 v[202:203], v[204:205], v[36:37]
	v_add_f64 v[34:35], v[34:35], -v[202:203]
	ds_read2_b64 v[202:205], v233 offset0:82 offset1:83
	v_add_f64 v[32:33], v[32:33], -v[38:39]
	s_waitcnt lgkmcnt(0)
	v_mul_f64 v[38:39], v[204:205], v[200:201]
	v_fma_f64 v[38:39], v[202:203], v[36:37], -v[38:39]
	v_mul_f64 v[202:203], v[202:203], v[200:201]
	v_fmac_f64_e32 v[202:203], v[204:205], v[36:37]
	v_add_f64 v[30:31], v[30:31], -v[202:203]
	ds_read2_b64 v[202:205], v233 offset0:84 offset1:85
	v_add_f64 v[28:29], v[28:29], -v[38:39]
	;; [unrolled: 8-line block ×9, first 2 shown]
	s_waitcnt lgkmcnt(0)
	v_mul_f64 v[38:39], v[204:205], v[200:201]
	v_fma_f64 v[38:39], v[202:203], v[36:37], -v[38:39]
	v_mul_f64 v[202:203], v[202:203], v[200:201]
	v_fmac_f64_e32 v[202:203], v[204:205], v[36:37]
	v_add_f64 v[196:197], v[196:197], -v[38:39]
	v_add_f64 v[198:199], v[198:199], -v[202:203]
	v_mov_b64_e32 v[38:39], v[200:201]
.LBB99_361:
	s_or_b64 exec, exec, s[2:3]
	v_cmp_eq_u32_e32 vcc, 40, v234
	s_waitcnt vmcnt(63) expcnt(7) lgkmcnt(15)
	s_barrier
	s_and_saveexec_b64 s[4:5], vcc
	s_cbranch_execz .LBB99_368
; %bb.362:
	s_waitcnt vmcnt(49)
	ds_write2_b64 v194, v[32:33], v[34:35] offset1:1
	s_waitcnt vmcnt(48)
	ds_write2_b64 v233, v[28:29], v[30:31] offset0:82 offset1:83
	s_waitcnt vmcnt(47)
	ds_write2_b64 v233, v[24:25], v[26:27] offset0:84 offset1:85
	;; [unrolled: 2-line block ×9, first 2 shown]
	ds_read2_b64 v[200:203], v194 offset1:1
	s_waitcnt lgkmcnt(0)
	v_cmp_neq_f64_e32 vcc, 0, v[200:201]
	v_cmp_neq_f64_e64 s[2:3], 0, v[202:203]
	s_or_b64 s[2:3], vcc, s[2:3]
	s_and_b64 exec, exec, s[2:3]
	s_cbranch_execz .LBB99_368
; %bb.363:
	v_cmp_ngt_f64_e64 s[2:3], |v[200:201]|, |v[202:203]|
                                        ; implicit-def: $vgpr204_vgpr205
	s_and_saveexec_b64 s[10:11], s[2:3]
	s_xor_b64 s[2:3], exec, s[10:11]
                                        ; implicit-def: $vgpr206_vgpr207
	s_cbranch_execz .LBB99_365
; %bb.364:
	v_div_scale_f64 v[204:205], s[10:11], v[202:203], v[202:203], v[200:201]
	v_rcp_f64_e32 v[206:207], v[204:205]
	v_div_scale_f64 v[208:209], vcc, v[200:201], v[202:203], v[200:201]
	v_fma_f64 v[210:211], -v[204:205], v[206:207], 1.0
	v_fmac_f64_e32 v[206:207], v[206:207], v[210:211]
	v_fma_f64 v[210:211], -v[204:205], v[206:207], 1.0
	v_fmac_f64_e32 v[206:207], v[206:207], v[210:211]
	v_mul_f64 v[210:211], v[208:209], v[206:207]
	v_fma_f64 v[204:205], -v[204:205], v[210:211], v[208:209]
	v_div_fmas_f64 v[204:205], v[204:205], v[206:207], v[210:211]
	v_div_fixup_f64 v[204:205], v[204:205], v[202:203], v[200:201]
	v_fmac_f64_e32 v[202:203], v[200:201], v[204:205]
	v_div_scale_f64 v[200:201], s[10:11], v[202:203], v[202:203], 1.0
	v_rcp_f64_e32 v[206:207], v[200:201]
	s_nop 0
	v_fma_f64 v[208:209], -v[200:201], v[206:207], 1.0
	v_fmac_f64_e32 v[206:207], v[206:207], v[208:209]
	v_fma_f64 v[208:209], -v[200:201], v[206:207], 1.0
	v_fmac_f64_e32 v[206:207], v[206:207], v[208:209]
	v_div_scale_f64 v[208:209], vcc, 1.0, v[202:203], 1.0
	v_mul_f64 v[210:211], v[208:209], v[206:207]
	v_fma_f64 v[200:201], -v[200:201], v[210:211], v[208:209]
	s_nop 1
	v_div_fmas_f64 v[200:201], v[200:201], v[206:207], v[210:211]
	v_div_fixup_f64 v[206:207], v[200:201], v[202:203], 1.0
	v_mul_f64 v[204:205], v[204:205], v[206:207]
	v_xor_b32_e32 v207, 0x80000000, v207
                                        ; implicit-def: $vgpr200_vgpr201
.LBB99_365:
	s_andn2_saveexec_b64 s[2:3], s[2:3]
	s_cbranch_execz .LBB99_367
; %bb.366:
	v_div_scale_f64 v[204:205], s[10:11], v[200:201], v[200:201], v[202:203]
	v_rcp_f64_e32 v[206:207], v[204:205]
	v_div_scale_f64 v[208:209], vcc, v[202:203], v[200:201], v[202:203]
	v_fma_f64 v[210:211], -v[204:205], v[206:207], 1.0
	v_fmac_f64_e32 v[206:207], v[206:207], v[210:211]
	v_fma_f64 v[210:211], -v[204:205], v[206:207], 1.0
	v_fmac_f64_e32 v[206:207], v[206:207], v[210:211]
	v_mul_f64 v[210:211], v[208:209], v[206:207]
	v_fma_f64 v[204:205], -v[204:205], v[210:211], v[208:209]
	v_div_fmas_f64 v[204:205], v[204:205], v[206:207], v[210:211]
	v_div_fixup_f64 v[206:207], v[204:205], v[200:201], v[202:203]
	v_fmac_f64_e32 v[200:201], v[202:203], v[206:207]
	v_div_scale_f64 v[202:203], s[10:11], v[200:201], v[200:201], 1.0
	v_rcp_f64_e32 v[204:205], v[202:203]
	s_nop 0
	v_fma_f64 v[208:209], -v[202:203], v[204:205], 1.0
	v_fmac_f64_e32 v[204:205], v[204:205], v[208:209]
	v_fma_f64 v[208:209], -v[202:203], v[204:205], 1.0
	v_fmac_f64_e32 v[204:205], v[204:205], v[208:209]
	v_div_scale_f64 v[208:209], vcc, 1.0, v[200:201], 1.0
	v_mul_f64 v[210:211], v[208:209], v[204:205]
	v_fma_f64 v[202:203], -v[202:203], v[210:211], v[208:209]
	s_nop 1
	v_div_fmas_f64 v[202:203], v[202:203], v[204:205], v[210:211]
	v_div_fixup_f64 v[204:205], v[202:203], v[200:201], 1.0
	v_mul_f64 v[206:207], v[206:207], -v[204:205]
.LBB99_367:
	s_or_b64 exec, exec, s[2:3]
	ds_write2_b64 v194, v[204:205], v[206:207] offset1:1
.LBB99_368:
	s_or_b64 exec, exec, s[4:5]
	s_waitcnt lgkmcnt(0)
	s_barrier
	ds_read2_b64 v[200:203], v194 offset1:1
	v_cmp_lt_u32_e32 vcc, 40, v234
	s_waitcnt lgkmcnt(0)
	scratch_store_dwordx4 off, v[200:203], off offset:992 ; 16-byte Folded Spill
	s_and_saveexec_b64 s[2:3], vcc
	s_cbranch_execz .LBB99_370
; %bb.369:
	scratch_load_dwordx4 v[202:205], off, off offset:992 ; 16-byte Folded Reload
	s_waitcnt vmcnt(0)
	v_mul_f64 v[200:201], v[202:203], v[34:35]
	v_mul_f64 v[34:35], v[204:205], v[34:35]
	v_fmac_f64_e32 v[200:201], v[204:205], v[32:33]
	v_fma_f64 v[32:33], v[202:203], v[32:33], -v[34:35]
	ds_read2_b64 v[202:205], v233 offset0:82 offset1:83
	s_waitcnt lgkmcnt(0)
	v_mul_f64 v[34:35], v[204:205], v[200:201]
	v_fma_f64 v[34:35], v[202:203], v[32:33], -v[34:35]
	v_mul_f64 v[202:203], v[202:203], v[200:201]
	v_fmac_f64_e32 v[202:203], v[204:205], v[32:33]
	v_add_f64 v[30:31], v[30:31], -v[202:203]
	ds_read2_b64 v[202:205], v233 offset0:84 offset1:85
	v_add_f64 v[28:29], v[28:29], -v[34:35]
	s_waitcnt lgkmcnt(0)
	v_mul_f64 v[34:35], v[204:205], v[200:201]
	v_fma_f64 v[34:35], v[202:203], v[32:33], -v[34:35]
	v_mul_f64 v[202:203], v[202:203], v[200:201]
	v_fmac_f64_e32 v[202:203], v[204:205], v[32:33]
	v_add_f64 v[26:27], v[26:27], -v[202:203]
	ds_read2_b64 v[202:205], v233 offset0:86 offset1:87
	v_add_f64 v[24:25], v[24:25], -v[34:35]
	;; [unrolled: 8-line block ×8, first 2 shown]
	s_waitcnt lgkmcnt(0)
	v_mul_f64 v[34:35], v[204:205], v[200:201]
	v_fma_f64 v[34:35], v[202:203], v[32:33], -v[34:35]
	v_mul_f64 v[202:203], v[202:203], v[200:201]
	v_fmac_f64_e32 v[202:203], v[204:205], v[32:33]
	v_add_f64 v[196:197], v[196:197], -v[34:35]
	v_add_f64 v[198:199], v[198:199], -v[202:203]
	v_mov_b64_e32 v[34:35], v[200:201]
.LBB99_370:
	s_or_b64 exec, exec, s[2:3]
	v_cmp_eq_u32_e32 vcc, 41, v234
	s_waitcnt vmcnt(63) expcnt(7) lgkmcnt(15)
	s_barrier
	s_and_saveexec_b64 s[4:5], vcc
	s_cbranch_execz .LBB99_377
; %bb.371:
	s_waitcnt vmcnt(49)
	ds_write2_b64 v194, v[28:29], v[30:31] offset1:1
	s_waitcnt vmcnt(48)
	ds_write2_b64 v233, v[24:25], v[26:27] offset0:84 offset1:85
	s_waitcnt vmcnt(47)
	ds_write2_b64 v233, v[20:21], v[22:23] offset0:86 offset1:87
	;; [unrolled: 2-line block ×8, first 2 shown]
	ds_read2_b64 v[200:203], v194 offset1:1
	s_waitcnt lgkmcnt(0)
	v_cmp_neq_f64_e32 vcc, 0, v[200:201]
	v_cmp_neq_f64_e64 s[2:3], 0, v[202:203]
	s_or_b64 s[2:3], vcc, s[2:3]
	s_and_b64 exec, exec, s[2:3]
	s_cbranch_execz .LBB99_377
; %bb.372:
	v_cmp_ngt_f64_e64 s[2:3], |v[200:201]|, |v[202:203]|
                                        ; implicit-def: $vgpr204_vgpr205
	s_and_saveexec_b64 s[10:11], s[2:3]
	s_xor_b64 s[2:3], exec, s[10:11]
                                        ; implicit-def: $vgpr206_vgpr207
	s_cbranch_execz .LBB99_374
; %bb.373:
	v_div_scale_f64 v[204:205], s[10:11], v[202:203], v[202:203], v[200:201]
	v_rcp_f64_e32 v[206:207], v[204:205]
	v_div_scale_f64 v[208:209], vcc, v[200:201], v[202:203], v[200:201]
	v_fma_f64 v[210:211], -v[204:205], v[206:207], 1.0
	v_fmac_f64_e32 v[206:207], v[206:207], v[210:211]
	v_fma_f64 v[210:211], -v[204:205], v[206:207], 1.0
	v_fmac_f64_e32 v[206:207], v[206:207], v[210:211]
	v_mul_f64 v[210:211], v[208:209], v[206:207]
	v_fma_f64 v[204:205], -v[204:205], v[210:211], v[208:209]
	v_div_fmas_f64 v[204:205], v[204:205], v[206:207], v[210:211]
	v_div_fixup_f64 v[204:205], v[204:205], v[202:203], v[200:201]
	v_fmac_f64_e32 v[202:203], v[200:201], v[204:205]
	v_div_scale_f64 v[200:201], s[10:11], v[202:203], v[202:203], 1.0
	v_rcp_f64_e32 v[206:207], v[200:201]
	s_nop 0
	v_fma_f64 v[208:209], -v[200:201], v[206:207], 1.0
	v_fmac_f64_e32 v[206:207], v[206:207], v[208:209]
	v_fma_f64 v[208:209], -v[200:201], v[206:207], 1.0
	v_fmac_f64_e32 v[206:207], v[206:207], v[208:209]
	v_div_scale_f64 v[208:209], vcc, 1.0, v[202:203], 1.0
	v_mul_f64 v[210:211], v[208:209], v[206:207]
	v_fma_f64 v[200:201], -v[200:201], v[210:211], v[208:209]
	s_nop 1
	v_div_fmas_f64 v[200:201], v[200:201], v[206:207], v[210:211]
	v_div_fixup_f64 v[206:207], v[200:201], v[202:203], 1.0
	v_mul_f64 v[204:205], v[204:205], v[206:207]
	v_xor_b32_e32 v207, 0x80000000, v207
                                        ; implicit-def: $vgpr200_vgpr201
.LBB99_374:
	s_andn2_saveexec_b64 s[2:3], s[2:3]
	s_cbranch_execz .LBB99_376
; %bb.375:
	v_div_scale_f64 v[204:205], s[10:11], v[200:201], v[200:201], v[202:203]
	v_rcp_f64_e32 v[206:207], v[204:205]
	v_div_scale_f64 v[208:209], vcc, v[202:203], v[200:201], v[202:203]
	v_fma_f64 v[210:211], -v[204:205], v[206:207], 1.0
	v_fmac_f64_e32 v[206:207], v[206:207], v[210:211]
	v_fma_f64 v[210:211], -v[204:205], v[206:207], 1.0
	v_fmac_f64_e32 v[206:207], v[206:207], v[210:211]
	v_mul_f64 v[210:211], v[208:209], v[206:207]
	v_fma_f64 v[204:205], -v[204:205], v[210:211], v[208:209]
	v_div_fmas_f64 v[204:205], v[204:205], v[206:207], v[210:211]
	v_div_fixup_f64 v[206:207], v[204:205], v[200:201], v[202:203]
	v_fmac_f64_e32 v[200:201], v[202:203], v[206:207]
	v_div_scale_f64 v[202:203], s[10:11], v[200:201], v[200:201], 1.0
	v_rcp_f64_e32 v[204:205], v[202:203]
	s_nop 0
	v_fma_f64 v[208:209], -v[202:203], v[204:205], 1.0
	v_fmac_f64_e32 v[204:205], v[204:205], v[208:209]
	v_fma_f64 v[208:209], -v[202:203], v[204:205], 1.0
	v_fmac_f64_e32 v[204:205], v[204:205], v[208:209]
	v_div_scale_f64 v[208:209], vcc, 1.0, v[200:201], 1.0
	v_mul_f64 v[210:211], v[208:209], v[204:205]
	v_fma_f64 v[202:203], -v[202:203], v[210:211], v[208:209]
	s_nop 1
	v_div_fmas_f64 v[202:203], v[202:203], v[204:205], v[210:211]
	v_div_fixup_f64 v[204:205], v[202:203], v[200:201], 1.0
	v_mul_f64 v[206:207], v[206:207], -v[204:205]
.LBB99_376:
	s_or_b64 exec, exec, s[2:3]
	ds_write2_b64 v194, v[204:205], v[206:207] offset1:1
.LBB99_377:
	s_or_b64 exec, exec, s[4:5]
	s_waitcnt lgkmcnt(0)
	s_barrier
	ds_read2_b64 v[200:203], v194 offset1:1
	v_cmp_lt_u32_e32 vcc, 41, v234
	s_waitcnt lgkmcnt(0)
	scratch_store_dwordx4 off, v[200:203], off offset:1008 ; 16-byte Folded Spill
	s_and_saveexec_b64 s[2:3], vcc
	s_cbranch_execz .LBB99_379
; %bb.378:
	scratch_load_dwordx4 v[202:205], off, off offset:1008 ; 16-byte Folded Reload
	s_waitcnt vmcnt(0)
	v_mul_f64 v[200:201], v[202:203], v[30:31]
	v_mul_f64 v[30:31], v[204:205], v[30:31]
	v_fmac_f64_e32 v[200:201], v[204:205], v[28:29]
	v_fma_f64 v[28:29], v[202:203], v[28:29], -v[30:31]
	ds_read2_b64 v[202:205], v233 offset0:84 offset1:85
	s_waitcnt lgkmcnt(0)
	v_mul_f64 v[30:31], v[204:205], v[200:201]
	v_fma_f64 v[30:31], v[202:203], v[28:29], -v[30:31]
	v_mul_f64 v[202:203], v[202:203], v[200:201]
	v_fmac_f64_e32 v[202:203], v[204:205], v[28:29]
	v_add_f64 v[26:27], v[26:27], -v[202:203]
	ds_read2_b64 v[202:205], v233 offset0:86 offset1:87
	v_add_f64 v[24:25], v[24:25], -v[30:31]
	s_waitcnt lgkmcnt(0)
	v_mul_f64 v[30:31], v[204:205], v[200:201]
	v_fma_f64 v[30:31], v[202:203], v[28:29], -v[30:31]
	v_mul_f64 v[202:203], v[202:203], v[200:201]
	v_fmac_f64_e32 v[202:203], v[204:205], v[28:29]
	v_add_f64 v[22:23], v[22:23], -v[202:203]
	ds_read2_b64 v[202:205], v233 offset0:88 offset1:89
	v_add_f64 v[20:21], v[20:21], -v[30:31]
	;; [unrolled: 8-line block ×7, first 2 shown]
	s_waitcnt lgkmcnt(0)
	v_mul_f64 v[30:31], v[204:205], v[200:201]
	v_fma_f64 v[30:31], v[202:203], v[28:29], -v[30:31]
	v_mul_f64 v[202:203], v[202:203], v[200:201]
	v_fmac_f64_e32 v[202:203], v[204:205], v[28:29]
	v_add_f64 v[196:197], v[196:197], -v[30:31]
	v_add_f64 v[198:199], v[198:199], -v[202:203]
	v_mov_b64_e32 v[30:31], v[200:201]
.LBB99_379:
	s_or_b64 exec, exec, s[2:3]
	v_cmp_eq_u32_e32 vcc, 42, v234
	s_waitcnt vmcnt(63) expcnt(7) lgkmcnt(15)
	s_barrier
	s_and_saveexec_b64 s[4:5], vcc
	s_cbranch_execz .LBB99_386
; %bb.380:
	s_waitcnt vmcnt(49)
	ds_write2_b64 v194, v[24:25], v[26:27] offset1:1
	s_waitcnt vmcnt(48)
	ds_write2_b64 v233, v[20:21], v[22:23] offset0:86 offset1:87
	s_waitcnt vmcnt(47)
	ds_write2_b64 v233, v[16:17], v[18:19] offset0:88 offset1:89
	;; [unrolled: 2-line block ×7, first 2 shown]
	ds_read2_b64 v[200:203], v194 offset1:1
	s_waitcnt lgkmcnt(0)
	v_cmp_neq_f64_e32 vcc, 0, v[200:201]
	v_cmp_neq_f64_e64 s[2:3], 0, v[202:203]
	s_or_b64 s[2:3], vcc, s[2:3]
	s_and_b64 exec, exec, s[2:3]
	s_cbranch_execz .LBB99_386
; %bb.381:
	v_cmp_ngt_f64_e64 s[2:3], |v[200:201]|, |v[202:203]|
                                        ; implicit-def: $vgpr204_vgpr205
	s_and_saveexec_b64 s[10:11], s[2:3]
	s_xor_b64 s[2:3], exec, s[10:11]
                                        ; implicit-def: $vgpr206_vgpr207
	s_cbranch_execz .LBB99_383
; %bb.382:
	v_div_scale_f64 v[204:205], s[10:11], v[202:203], v[202:203], v[200:201]
	v_rcp_f64_e32 v[206:207], v[204:205]
	v_div_scale_f64 v[208:209], vcc, v[200:201], v[202:203], v[200:201]
	v_fma_f64 v[210:211], -v[204:205], v[206:207], 1.0
	v_fmac_f64_e32 v[206:207], v[206:207], v[210:211]
	v_fma_f64 v[210:211], -v[204:205], v[206:207], 1.0
	v_fmac_f64_e32 v[206:207], v[206:207], v[210:211]
	v_mul_f64 v[210:211], v[208:209], v[206:207]
	v_fma_f64 v[204:205], -v[204:205], v[210:211], v[208:209]
	v_div_fmas_f64 v[204:205], v[204:205], v[206:207], v[210:211]
	v_div_fixup_f64 v[204:205], v[204:205], v[202:203], v[200:201]
	v_fmac_f64_e32 v[202:203], v[200:201], v[204:205]
	v_div_scale_f64 v[200:201], s[10:11], v[202:203], v[202:203], 1.0
	v_rcp_f64_e32 v[206:207], v[200:201]
	s_nop 0
	v_fma_f64 v[208:209], -v[200:201], v[206:207], 1.0
	v_fmac_f64_e32 v[206:207], v[206:207], v[208:209]
	v_fma_f64 v[208:209], -v[200:201], v[206:207], 1.0
	v_fmac_f64_e32 v[206:207], v[206:207], v[208:209]
	v_div_scale_f64 v[208:209], vcc, 1.0, v[202:203], 1.0
	v_mul_f64 v[210:211], v[208:209], v[206:207]
	v_fma_f64 v[200:201], -v[200:201], v[210:211], v[208:209]
	s_nop 1
	v_div_fmas_f64 v[200:201], v[200:201], v[206:207], v[210:211]
	v_div_fixup_f64 v[206:207], v[200:201], v[202:203], 1.0
	v_mul_f64 v[204:205], v[204:205], v[206:207]
	v_xor_b32_e32 v207, 0x80000000, v207
                                        ; implicit-def: $vgpr200_vgpr201
.LBB99_383:
	s_andn2_saveexec_b64 s[2:3], s[2:3]
	s_cbranch_execz .LBB99_385
; %bb.384:
	v_div_scale_f64 v[204:205], s[10:11], v[200:201], v[200:201], v[202:203]
	v_rcp_f64_e32 v[206:207], v[204:205]
	v_div_scale_f64 v[208:209], vcc, v[202:203], v[200:201], v[202:203]
	v_fma_f64 v[210:211], -v[204:205], v[206:207], 1.0
	v_fmac_f64_e32 v[206:207], v[206:207], v[210:211]
	v_fma_f64 v[210:211], -v[204:205], v[206:207], 1.0
	v_fmac_f64_e32 v[206:207], v[206:207], v[210:211]
	v_mul_f64 v[210:211], v[208:209], v[206:207]
	v_fma_f64 v[204:205], -v[204:205], v[210:211], v[208:209]
	v_div_fmas_f64 v[204:205], v[204:205], v[206:207], v[210:211]
	v_div_fixup_f64 v[206:207], v[204:205], v[200:201], v[202:203]
	v_fmac_f64_e32 v[200:201], v[202:203], v[206:207]
	v_div_scale_f64 v[202:203], s[10:11], v[200:201], v[200:201], 1.0
	v_rcp_f64_e32 v[204:205], v[202:203]
	s_nop 0
	v_fma_f64 v[208:209], -v[202:203], v[204:205], 1.0
	v_fmac_f64_e32 v[204:205], v[204:205], v[208:209]
	v_fma_f64 v[208:209], -v[202:203], v[204:205], 1.0
	v_fmac_f64_e32 v[204:205], v[204:205], v[208:209]
	v_div_scale_f64 v[208:209], vcc, 1.0, v[200:201], 1.0
	v_mul_f64 v[210:211], v[208:209], v[204:205]
	v_fma_f64 v[202:203], -v[202:203], v[210:211], v[208:209]
	s_nop 1
	v_div_fmas_f64 v[202:203], v[202:203], v[204:205], v[210:211]
	v_div_fixup_f64 v[204:205], v[202:203], v[200:201], 1.0
	v_mul_f64 v[206:207], v[206:207], -v[204:205]
.LBB99_385:
	s_or_b64 exec, exec, s[2:3]
	ds_write2_b64 v194, v[204:205], v[206:207] offset1:1
.LBB99_386:
	s_or_b64 exec, exec, s[4:5]
	s_waitcnt lgkmcnt(0)
	s_barrier
	ds_read2_b64 v[200:203], v194 offset1:1
	v_cmp_lt_u32_e32 vcc, 42, v234
	s_and_saveexec_b64 s[2:3], vcc
	s_cbranch_execz .LBB99_388
; %bb.387:
	ds_read2_b64 v[206:209], v233 offset0:86 offset1:87
	s_waitcnt vmcnt(49) lgkmcnt(1)
	v_mul_f64 v[204:205], v[200:201], v[26:27]
	v_fmac_f64_e32 v[204:205], v[202:203], v[24:25]
	v_mul_f64 v[26:27], v[202:203], v[26:27]
	v_fma_f64 v[24:25], v[200:201], v[24:25], -v[26:27]
	s_waitcnt lgkmcnt(0)
	v_mul_f64 v[26:27], v[208:209], v[204:205]
	v_fma_f64 v[26:27], v[206:207], v[24:25], -v[26:27]
	v_mul_f64 v[206:207], v[206:207], v[204:205]
	v_fmac_f64_e32 v[206:207], v[208:209], v[24:25]
	s_waitcnt vmcnt(48)
	v_add_f64 v[22:23], v[22:23], -v[206:207]
	ds_read2_b64 v[206:209], v233 offset0:88 offset1:89
	v_add_f64 v[20:21], v[20:21], -v[26:27]
	s_waitcnt lgkmcnt(0)
	v_mul_f64 v[26:27], v[208:209], v[204:205]
	v_fma_f64 v[26:27], v[206:207], v[24:25], -v[26:27]
	v_mul_f64 v[206:207], v[206:207], v[204:205]
	v_fmac_f64_e32 v[206:207], v[208:209], v[24:25]
	s_waitcnt vmcnt(47)
	v_add_f64 v[18:19], v[18:19], -v[206:207]
	ds_read2_b64 v[206:209], v233 offset0:90 offset1:91
	v_add_f64 v[16:17], v[16:17], -v[26:27]
	;; [unrolled: 9-line block ×6, first 2 shown]
	s_waitcnt lgkmcnt(0)
	v_mul_f64 v[26:27], v[208:209], v[204:205]
	v_fma_f64 v[26:27], v[206:207], v[24:25], -v[26:27]
	v_mul_f64 v[206:207], v[206:207], v[204:205]
	v_fmac_f64_e32 v[206:207], v[208:209], v[24:25]
	s_waitcnt vmcnt(42)
	v_add_f64 v[196:197], v[196:197], -v[26:27]
	v_add_f64 v[198:199], v[198:199], -v[206:207]
	v_mov_b64_e32 v[26:27], v[204:205]
.LBB99_388:
	s_or_b64 exec, exec, s[2:3]
	v_cmp_eq_u32_e32 vcc, 43, v234
	s_waitcnt lgkmcnt(0)
	s_barrier
	s_and_saveexec_b64 s[4:5], vcc
	s_cbranch_execz .LBB99_395
; %bb.389:
	s_waitcnt vmcnt(48)
	ds_write2_b64 v194, v[20:21], v[22:23] offset1:1
	s_waitcnt vmcnt(47)
	ds_write2_b64 v233, v[16:17], v[18:19] offset0:88 offset1:89
	s_waitcnt vmcnt(46)
	ds_write2_b64 v233, v[12:13], v[14:15] offset0:90 offset1:91
	;; [unrolled: 2-line block ×6, first 2 shown]
	ds_read2_b64 v[204:207], v194 offset1:1
	s_waitcnt lgkmcnt(0)
	v_cmp_neq_f64_e32 vcc, 0, v[204:205]
	v_cmp_neq_f64_e64 s[2:3], 0, v[206:207]
	s_or_b64 s[2:3], vcc, s[2:3]
	s_and_b64 exec, exec, s[2:3]
	s_cbranch_execz .LBB99_395
; %bb.390:
	v_cmp_ngt_f64_e64 s[2:3], |v[204:205]|, |v[206:207]|
                                        ; implicit-def: $vgpr208_vgpr209
	s_and_saveexec_b64 s[10:11], s[2:3]
	s_xor_b64 s[2:3], exec, s[10:11]
                                        ; implicit-def: $vgpr210_vgpr211
	s_cbranch_execz .LBB99_392
; %bb.391:
	v_div_scale_f64 v[208:209], s[10:11], v[206:207], v[206:207], v[204:205]
	v_rcp_f64_e32 v[210:211], v[208:209]
	v_div_scale_f64 v[212:213], vcc, v[204:205], v[206:207], v[204:205]
	v_fma_f64 v[214:215], -v[208:209], v[210:211], 1.0
	v_fmac_f64_e32 v[210:211], v[210:211], v[214:215]
	v_fma_f64 v[214:215], -v[208:209], v[210:211], 1.0
	v_fmac_f64_e32 v[210:211], v[210:211], v[214:215]
	v_mul_f64 v[214:215], v[212:213], v[210:211]
	v_fma_f64 v[208:209], -v[208:209], v[214:215], v[212:213]
	v_div_fmas_f64 v[208:209], v[208:209], v[210:211], v[214:215]
	v_div_fixup_f64 v[208:209], v[208:209], v[206:207], v[204:205]
	v_fmac_f64_e32 v[206:207], v[204:205], v[208:209]
	v_div_scale_f64 v[204:205], s[10:11], v[206:207], v[206:207], 1.0
	v_rcp_f64_e32 v[210:211], v[204:205]
	s_nop 0
	v_fma_f64 v[212:213], -v[204:205], v[210:211], 1.0
	v_fmac_f64_e32 v[210:211], v[210:211], v[212:213]
	v_fma_f64 v[212:213], -v[204:205], v[210:211], 1.0
	v_fmac_f64_e32 v[210:211], v[210:211], v[212:213]
	v_div_scale_f64 v[212:213], vcc, 1.0, v[206:207], 1.0
	v_mul_f64 v[214:215], v[212:213], v[210:211]
	v_fma_f64 v[204:205], -v[204:205], v[214:215], v[212:213]
	s_nop 1
	v_div_fmas_f64 v[204:205], v[204:205], v[210:211], v[214:215]
	v_div_fixup_f64 v[210:211], v[204:205], v[206:207], 1.0
	v_mul_f64 v[208:209], v[208:209], v[210:211]
	v_xor_b32_e32 v211, 0x80000000, v211
                                        ; implicit-def: $vgpr204_vgpr205
.LBB99_392:
	s_andn2_saveexec_b64 s[2:3], s[2:3]
	s_cbranch_execz .LBB99_394
; %bb.393:
	v_div_scale_f64 v[208:209], s[10:11], v[204:205], v[204:205], v[206:207]
	v_rcp_f64_e32 v[210:211], v[208:209]
	v_div_scale_f64 v[212:213], vcc, v[206:207], v[204:205], v[206:207]
	v_fma_f64 v[214:215], -v[208:209], v[210:211], 1.0
	v_fmac_f64_e32 v[210:211], v[210:211], v[214:215]
	v_fma_f64 v[214:215], -v[208:209], v[210:211], 1.0
	v_fmac_f64_e32 v[210:211], v[210:211], v[214:215]
	v_mul_f64 v[214:215], v[212:213], v[210:211]
	v_fma_f64 v[208:209], -v[208:209], v[214:215], v[212:213]
	v_div_fmas_f64 v[208:209], v[208:209], v[210:211], v[214:215]
	v_div_fixup_f64 v[210:211], v[208:209], v[204:205], v[206:207]
	v_fmac_f64_e32 v[204:205], v[206:207], v[210:211]
	v_div_scale_f64 v[206:207], s[10:11], v[204:205], v[204:205], 1.0
	v_rcp_f64_e32 v[208:209], v[206:207]
	s_nop 0
	v_fma_f64 v[212:213], -v[206:207], v[208:209], 1.0
	v_fmac_f64_e32 v[208:209], v[208:209], v[212:213]
	v_fma_f64 v[212:213], -v[206:207], v[208:209], 1.0
	v_fmac_f64_e32 v[208:209], v[208:209], v[212:213]
	v_div_scale_f64 v[212:213], vcc, 1.0, v[204:205], 1.0
	v_mul_f64 v[214:215], v[212:213], v[208:209]
	v_fma_f64 v[206:207], -v[206:207], v[214:215], v[212:213]
	s_nop 1
	v_div_fmas_f64 v[206:207], v[206:207], v[208:209], v[214:215]
	v_div_fixup_f64 v[208:209], v[206:207], v[204:205], 1.0
	v_mul_f64 v[210:211], v[210:211], -v[208:209]
.LBB99_394:
	s_or_b64 exec, exec, s[2:3]
	ds_write2_b64 v194, v[208:209], v[210:211] offset1:1
.LBB99_395:
	s_or_b64 exec, exec, s[4:5]
	s_waitcnt lgkmcnt(0)
	s_barrier
	ds_read2_b64 v[204:207], v194 offset1:1
	v_cmp_lt_u32_e32 vcc, 43, v234
	s_and_saveexec_b64 s[2:3], vcc
	s_cbranch_execz .LBB99_397
; %bb.396:
	ds_read2_b64 v[208:211], v233 offset0:88 offset1:89
	s_waitcnt vmcnt(48) lgkmcnt(1)
	v_mul_f64 v[212:213], v[204:205], v[22:23]
	v_fmac_f64_e32 v[212:213], v[206:207], v[20:21]
	v_mul_f64 v[22:23], v[206:207], v[22:23]
	v_fma_f64 v[20:21], v[204:205], v[20:21], -v[22:23]
	s_waitcnt lgkmcnt(0)
	v_mul_f64 v[22:23], v[210:211], v[212:213]
	v_fma_f64 v[22:23], v[208:209], v[20:21], -v[22:23]
	v_mul_f64 v[208:209], v[208:209], v[212:213]
	v_fmac_f64_e32 v[208:209], v[210:211], v[20:21]
	s_waitcnt vmcnt(47)
	v_add_f64 v[18:19], v[18:19], -v[208:209]
	ds_read2_b64 v[208:211], v233 offset0:90 offset1:91
	v_add_f64 v[16:17], v[16:17], -v[22:23]
	s_waitcnt lgkmcnt(0)
	v_mul_f64 v[22:23], v[210:211], v[212:213]
	v_fma_f64 v[22:23], v[208:209], v[20:21], -v[22:23]
	v_mul_f64 v[208:209], v[208:209], v[212:213]
	v_fmac_f64_e32 v[208:209], v[210:211], v[20:21]
	s_waitcnt vmcnt(46)
	v_add_f64 v[14:15], v[14:15], -v[208:209]
	ds_read2_b64 v[208:211], v233 offset0:92 offset1:93
	v_add_f64 v[12:13], v[12:13], -v[22:23]
	;; [unrolled: 9-line block ×5, first 2 shown]
	s_waitcnt lgkmcnt(0)
	v_mul_f64 v[22:23], v[210:211], v[212:213]
	v_fma_f64 v[22:23], v[208:209], v[20:21], -v[22:23]
	v_mul_f64 v[208:209], v[208:209], v[212:213]
	v_fmac_f64_e32 v[208:209], v[210:211], v[20:21]
	s_waitcnt vmcnt(42)
	v_add_f64 v[196:197], v[196:197], -v[22:23]
	v_add_f64 v[198:199], v[198:199], -v[208:209]
	v_mov_b64_e32 v[22:23], v[212:213]
.LBB99_397:
	s_or_b64 exec, exec, s[2:3]
	v_cmp_eq_u32_e32 vcc, 44, v234
	s_waitcnt lgkmcnt(0)
	s_barrier
	s_and_saveexec_b64 s[4:5], vcc
	s_cbranch_execz .LBB99_404
; %bb.398:
	s_waitcnt vmcnt(47)
	ds_write2_b64 v194, v[16:17], v[18:19] offset1:1
	s_waitcnt vmcnt(46)
	ds_write2_b64 v233, v[12:13], v[14:15] offset0:90 offset1:91
	s_waitcnt vmcnt(45)
	ds_write2_b64 v233, v[8:9], v[10:11] offset0:92 offset1:93
	;; [unrolled: 2-line block ×5, first 2 shown]
	ds_read2_b64 v[208:211], v194 offset1:1
	s_waitcnt lgkmcnt(0)
	v_cmp_neq_f64_e32 vcc, 0, v[208:209]
	v_cmp_neq_f64_e64 s[2:3], 0, v[210:211]
	s_or_b64 s[2:3], vcc, s[2:3]
	s_and_b64 exec, exec, s[2:3]
	s_cbranch_execz .LBB99_404
; %bb.399:
	v_cmp_ngt_f64_e64 s[2:3], |v[208:209]|, |v[210:211]|
                                        ; implicit-def: $vgpr212_vgpr213
	s_and_saveexec_b64 s[10:11], s[2:3]
	s_xor_b64 s[2:3], exec, s[10:11]
                                        ; implicit-def: $vgpr214_vgpr215
	s_cbranch_execz .LBB99_401
; %bb.400:
	v_div_scale_f64 v[212:213], s[10:11], v[210:211], v[210:211], v[208:209]
	v_rcp_f64_e32 v[214:215], v[212:213]
	v_div_scale_f64 v[216:217], vcc, v[208:209], v[210:211], v[208:209]
	v_fma_f64 v[218:219], -v[212:213], v[214:215], 1.0
	v_fmac_f64_e32 v[214:215], v[214:215], v[218:219]
	v_fma_f64 v[218:219], -v[212:213], v[214:215], 1.0
	v_fmac_f64_e32 v[214:215], v[214:215], v[218:219]
	v_mul_f64 v[218:219], v[216:217], v[214:215]
	v_fma_f64 v[212:213], -v[212:213], v[218:219], v[216:217]
	v_div_fmas_f64 v[212:213], v[212:213], v[214:215], v[218:219]
	v_div_fixup_f64 v[212:213], v[212:213], v[210:211], v[208:209]
	v_fmac_f64_e32 v[210:211], v[208:209], v[212:213]
	v_div_scale_f64 v[208:209], s[10:11], v[210:211], v[210:211], 1.0
	v_rcp_f64_e32 v[214:215], v[208:209]
	s_nop 0
	v_fma_f64 v[216:217], -v[208:209], v[214:215], 1.0
	v_fmac_f64_e32 v[214:215], v[214:215], v[216:217]
	v_fma_f64 v[216:217], -v[208:209], v[214:215], 1.0
	v_fmac_f64_e32 v[214:215], v[214:215], v[216:217]
	v_div_scale_f64 v[216:217], vcc, 1.0, v[210:211], 1.0
	v_mul_f64 v[218:219], v[216:217], v[214:215]
	v_fma_f64 v[208:209], -v[208:209], v[218:219], v[216:217]
	s_nop 1
	v_div_fmas_f64 v[208:209], v[208:209], v[214:215], v[218:219]
	v_div_fixup_f64 v[214:215], v[208:209], v[210:211], 1.0
	v_mul_f64 v[212:213], v[212:213], v[214:215]
	v_xor_b32_e32 v215, 0x80000000, v215
                                        ; implicit-def: $vgpr208_vgpr209
.LBB99_401:
	s_andn2_saveexec_b64 s[2:3], s[2:3]
	s_cbranch_execz .LBB99_403
; %bb.402:
	v_div_scale_f64 v[212:213], s[10:11], v[208:209], v[208:209], v[210:211]
	v_rcp_f64_e32 v[214:215], v[212:213]
	v_div_scale_f64 v[216:217], vcc, v[210:211], v[208:209], v[210:211]
	v_fma_f64 v[218:219], -v[212:213], v[214:215], 1.0
	v_fmac_f64_e32 v[214:215], v[214:215], v[218:219]
	v_fma_f64 v[218:219], -v[212:213], v[214:215], 1.0
	v_fmac_f64_e32 v[214:215], v[214:215], v[218:219]
	v_mul_f64 v[218:219], v[216:217], v[214:215]
	v_fma_f64 v[212:213], -v[212:213], v[218:219], v[216:217]
	v_div_fmas_f64 v[212:213], v[212:213], v[214:215], v[218:219]
	v_div_fixup_f64 v[214:215], v[212:213], v[208:209], v[210:211]
	v_fmac_f64_e32 v[208:209], v[210:211], v[214:215]
	v_div_scale_f64 v[210:211], s[10:11], v[208:209], v[208:209], 1.0
	v_rcp_f64_e32 v[212:213], v[210:211]
	s_nop 0
	v_fma_f64 v[216:217], -v[210:211], v[212:213], 1.0
	v_fmac_f64_e32 v[212:213], v[212:213], v[216:217]
	v_fma_f64 v[216:217], -v[210:211], v[212:213], 1.0
	v_fmac_f64_e32 v[212:213], v[212:213], v[216:217]
	v_div_scale_f64 v[216:217], vcc, 1.0, v[208:209], 1.0
	v_mul_f64 v[218:219], v[216:217], v[212:213]
	v_fma_f64 v[210:211], -v[210:211], v[218:219], v[216:217]
	s_nop 1
	v_div_fmas_f64 v[210:211], v[210:211], v[212:213], v[218:219]
	v_div_fixup_f64 v[212:213], v[210:211], v[208:209], 1.0
	v_mul_f64 v[214:215], v[214:215], -v[212:213]
.LBB99_403:
	s_or_b64 exec, exec, s[2:3]
	ds_write2_b64 v194, v[212:213], v[214:215] offset1:1
.LBB99_404:
	s_or_b64 exec, exec, s[4:5]
	s_waitcnt lgkmcnt(0)
	s_barrier
	ds_read2_b64 v[208:211], v194 offset1:1
	v_cmp_lt_u32_e32 vcc, 44, v234
	s_and_saveexec_b64 s[2:3], vcc
	s_cbranch_execz .LBB99_406
; %bb.405:
	ds_read2_b64 v[212:215], v233 offset0:90 offset1:91
	s_waitcnt vmcnt(47) lgkmcnt(1)
	v_mul_f64 v[216:217], v[208:209], v[18:19]
	v_fmac_f64_e32 v[216:217], v[210:211], v[16:17]
	v_mul_f64 v[18:19], v[210:211], v[18:19]
	v_fma_f64 v[16:17], v[208:209], v[16:17], -v[18:19]
	s_waitcnt lgkmcnt(0)
	v_mul_f64 v[18:19], v[214:215], v[216:217]
	v_fma_f64 v[18:19], v[212:213], v[16:17], -v[18:19]
	v_mul_f64 v[212:213], v[212:213], v[216:217]
	v_fmac_f64_e32 v[212:213], v[214:215], v[16:17]
	s_waitcnt vmcnt(46)
	v_add_f64 v[14:15], v[14:15], -v[212:213]
	ds_read2_b64 v[212:215], v233 offset0:92 offset1:93
	v_add_f64 v[12:13], v[12:13], -v[18:19]
	s_waitcnt lgkmcnt(0)
	v_mul_f64 v[18:19], v[214:215], v[216:217]
	v_fma_f64 v[18:19], v[212:213], v[16:17], -v[18:19]
	v_mul_f64 v[212:213], v[212:213], v[216:217]
	v_fmac_f64_e32 v[212:213], v[214:215], v[16:17]
	s_waitcnt vmcnt(45)
	v_add_f64 v[10:11], v[10:11], -v[212:213]
	ds_read2_b64 v[212:215], v233 offset0:94 offset1:95
	v_add_f64 v[8:9], v[8:9], -v[18:19]
	;; [unrolled: 9-line block ×4, first 2 shown]
	s_waitcnt lgkmcnt(0)
	v_mul_f64 v[18:19], v[214:215], v[216:217]
	v_fma_f64 v[18:19], v[212:213], v[16:17], -v[18:19]
	v_mul_f64 v[212:213], v[212:213], v[216:217]
	v_fmac_f64_e32 v[212:213], v[214:215], v[16:17]
	s_waitcnt vmcnt(42)
	v_add_f64 v[196:197], v[196:197], -v[18:19]
	v_add_f64 v[198:199], v[198:199], -v[212:213]
	v_mov_b64_e32 v[18:19], v[216:217]
.LBB99_406:
	s_or_b64 exec, exec, s[2:3]
	v_cmp_eq_u32_e32 vcc, 45, v234
	s_waitcnt lgkmcnt(0)
	s_barrier
	s_and_saveexec_b64 s[4:5], vcc
	s_cbranch_execz .LBB99_413
; %bb.407:
	s_waitcnt vmcnt(46)
	ds_write2_b64 v194, v[12:13], v[14:15] offset1:1
	s_waitcnt vmcnt(45)
	ds_write2_b64 v233, v[8:9], v[10:11] offset0:92 offset1:93
	s_waitcnt vmcnt(44)
	ds_write2_b64 v233, v[4:5], v[6:7] offset0:94 offset1:95
	;; [unrolled: 2-line block ×4, first 2 shown]
	ds_read2_b64 v[212:215], v194 offset1:1
	s_waitcnt lgkmcnt(0)
	v_cmp_neq_f64_e32 vcc, 0, v[212:213]
	v_cmp_neq_f64_e64 s[2:3], 0, v[214:215]
	s_or_b64 s[2:3], vcc, s[2:3]
	s_and_b64 exec, exec, s[2:3]
	s_cbranch_execz .LBB99_413
; %bb.408:
	v_cmp_ngt_f64_e64 s[2:3], |v[212:213]|, |v[214:215]|
                                        ; implicit-def: $vgpr216_vgpr217
	s_and_saveexec_b64 s[10:11], s[2:3]
	s_xor_b64 s[2:3], exec, s[10:11]
                                        ; implicit-def: $vgpr218_vgpr219
	s_cbranch_execz .LBB99_410
; %bb.409:
	v_div_scale_f64 v[216:217], s[10:11], v[214:215], v[214:215], v[212:213]
	v_rcp_f64_e32 v[218:219], v[216:217]
	v_div_scale_f64 v[220:221], vcc, v[212:213], v[214:215], v[212:213]
	v_fma_f64 v[222:223], -v[216:217], v[218:219], 1.0
	v_fmac_f64_e32 v[218:219], v[218:219], v[222:223]
	v_fma_f64 v[222:223], -v[216:217], v[218:219], 1.0
	v_fmac_f64_e32 v[218:219], v[218:219], v[222:223]
	v_mul_f64 v[222:223], v[220:221], v[218:219]
	v_fma_f64 v[216:217], -v[216:217], v[222:223], v[220:221]
	v_div_fmas_f64 v[216:217], v[216:217], v[218:219], v[222:223]
	v_div_fixup_f64 v[216:217], v[216:217], v[214:215], v[212:213]
	v_fmac_f64_e32 v[214:215], v[212:213], v[216:217]
	v_div_scale_f64 v[212:213], s[10:11], v[214:215], v[214:215], 1.0
	v_rcp_f64_e32 v[218:219], v[212:213]
	s_nop 0
	v_fma_f64 v[220:221], -v[212:213], v[218:219], 1.0
	v_fmac_f64_e32 v[218:219], v[218:219], v[220:221]
	v_fma_f64 v[220:221], -v[212:213], v[218:219], 1.0
	v_fmac_f64_e32 v[218:219], v[218:219], v[220:221]
	v_div_scale_f64 v[220:221], vcc, 1.0, v[214:215], 1.0
	v_mul_f64 v[222:223], v[220:221], v[218:219]
	v_fma_f64 v[212:213], -v[212:213], v[222:223], v[220:221]
	s_nop 1
	v_div_fmas_f64 v[212:213], v[212:213], v[218:219], v[222:223]
	v_div_fixup_f64 v[218:219], v[212:213], v[214:215], 1.0
	v_mul_f64 v[216:217], v[216:217], v[218:219]
	v_xor_b32_e32 v219, 0x80000000, v219
                                        ; implicit-def: $vgpr212_vgpr213
.LBB99_410:
	s_andn2_saveexec_b64 s[2:3], s[2:3]
	s_cbranch_execz .LBB99_412
; %bb.411:
	v_div_scale_f64 v[216:217], s[10:11], v[212:213], v[212:213], v[214:215]
	v_rcp_f64_e32 v[218:219], v[216:217]
	v_div_scale_f64 v[220:221], vcc, v[214:215], v[212:213], v[214:215]
	v_fma_f64 v[222:223], -v[216:217], v[218:219], 1.0
	v_fmac_f64_e32 v[218:219], v[218:219], v[222:223]
	v_fma_f64 v[222:223], -v[216:217], v[218:219], 1.0
	v_fmac_f64_e32 v[218:219], v[218:219], v[222:223]
	v_mul_f64 v[222:223], v[220:221], v[218:219]
	v_fma_f64 v[216:217], -v[216:217], v[222:223], v[220:221]
	v_div_fmas_f64 v[216:217], v[216:217], v[218:219], v[222:223]
	v_div_fixup_f64 v[218:219], v[216:217], v[212:213], v[214:215]
	v_fmac_f64_e32 v[212:213], v[214:215], v[218:219]
	v_div_scale_f64 v[214:215], s[10:11], v[212:213], v[212:213], 1.0
	v_rcp_f64_e32 v[216:217], v[214:215]
	s_nop 0
	v_fma_f64 v[220:221], -v[214:215], v[216:217], 1.0
	v_fmac_f64_e32 v[216:217], v[216:217], v[220:221]
	v_fma_f64 v[220:221], -v[214:215], v[216:217], 1.0
	v_fmac_f64_e32 v[216:217], v[216:217], v[220:221]
	v_div_scale_f64 v[220:221], vcc, 1.0, v[212:213], 1.0
	v_mul_f64 v[222:223], v[220:221], v[216:217]
	v_fma_f64 v[214:215], -v[214:215], v[222:223], v[220:221]
	s_nop 1
	v_div_fmas_f64 v[214:215], v[214:215], v[216:217], v[222:223]
	v_div_fixup_f64 v[216:217], v[214:215], v[212:213], 1.0
	v_mul_f64 v[218:219], v[218:219], -v[216:217]
.LBB99_412:
	s_or_b64 exec, exec, s[2:3]
	ds_write2_b64 v194, v[216:217], v[218:219] offset1:1
.LBB99_413:
	s_or_b64 exec, exec, s[4:5]
	s_waitcnt lgkmcnt(0)
	s_barrier
	ds_read2_b64 v[212:215], v194 offset1:1
	v_cmp_lt_u32_e32 vcc, 45, v234
	s_and_saveexec_b64 s[2:3], vcc
	s_cbranch_execz .LBB99_415
; %bb.414:
	ds_read2_b64 v[216:219], v233 offset0:92 offset1:93
	s_waitcnt vmcnt(46) lgkmcnt(1)
	v_mul_f64 v[220:221], v[212:213], v[14:15]
	v_fmac_f64_e32 v[220:221], v[214:215], v[12:13]
	v_mul_f64 v[14:15], v[214:215], v[14:15]
	v_fma_f64 v[12:13], v[212:213], v[12:13], -v[14:15]
	s_waitcnt lgkmcnt(0)
	v_mul_f64 v[14:15], v[218:219], v[220:221]
	v_fma_f64 v[14:15], v[216:217], v[12:13], -v[14:15]
	v_mul_f64 v[216:217], v[216:217], v[220:221]
	v_fmac_f64_e32 v[216:217], v[218:219], v[12:13]
	s_waitcnt vmcnt(45)
	v_add_f64 v[10:11], v[10:11], -v[216:217]
	ds_read2_b64 v[216:219], v233 offset0:94 offset1:95
	v_add_f64 v[8:9], v[8:9], -v[14:15]
	s_waitcnt lgkmcnt(0)
	v_mul_f64 v[14:15], v[218:219], v[220:221]
	v_fma_f64 v[14:15], v[216:217], v[12:13], -v[14:15]
	v_mul_f64 v[216:217], v[216:217], v[220:221]
	v_fmac_f64_e32 v[216:217], v[218:219], v[12:13]
	s_waitcnt vmcnt(44)
	v_add_f64 v[6:7], v[6:7], -v[216:217]
	ds_read2_b64 v[216:219], v233 offset0:96 offset1:97
	v_add_f64 v[4:5], v[4:5], -v[14:15]
	;; [unrolled: 9-line block ×3, first 2 shown]
	s_waitcnt lgkmcnt(0)
	v_mul_f64 v[14:15], v[218:219], v[220:221]
	v_fma_f64 v[14:15], v[216:217], v[12:13], -v[14:15]
	v_mul_f64 v[216:217], v[216:217], v[220:221]
	v_fmac_f64_e32 v[216:217], v[218:219], v[12:13]
	s_waitcnt vmcnt(42)
	v_add_f64 v[196:197], v[196:197], -v[14:15]
	v_add_f64 v[198:199], v[198:199], -v[216:217]
	v_mov_b64_e32 v[14:15], v[220:221]
.LBB99_415:
	s_or_b64 exec, exec, s[2:3]
	v_cmp_eq_u32_e32 vcc, 46, v234
	s_waitcnt lgkmcnt(0)
	s_barrier
	s_and_saveexec_b64 s[4:5], vcc
	s_cbranch_execz .LBB99_422
; %bb.416:
	s_waitcnt vmcnt(45)
	ds_write2_b64 v194, v[8:9], v[10:11] offset1:1
	s_waitcnt vmcnt(44)
	ds_write2_b64 v233, v[4:5], v[6:7] offset0:94 offset1:95
	s_waitcnt vmcnt(43)
	ds_write2_b64 v233, v[0:1], v[2:3] offset0:96 offset1:97
	;; [unrolled: 2-line block ×3, first 2 shown]
	ds_read2_b64 v[216:219], v194 offset1:1
	s_waitcnt lgkmcnt(0)
	v_cmp_neq_f64_e32 vcc, 0, v[216:217]
	v_cmp_neq_f64_e64 s[2:3], 0, v[218:219]
	s_or_b64 s[2:3], vcc, s[2:3]
	s_and_b64 exec, exec, s[2:3]
	s_cbranch_execz .LBB99_422
; %bb.417:
	v_cmp_ngt_f64_e64 s[2:3], |v[216:217]|, |v[218:219]|
                                        ; implicit-def: $vgpr220_vgpr221
	s_and_saveexec_b64 s[10:11], s[2:3]
	s_xor_b64 s[2:3], exec, s[10:11]
                                        ; implicit-def: $vgpr222_vgpr223
	s_cbranch_execz .LBB99_419
; %bb.418:
	v_div_scale_f64 v[220:221], s[10:11], v[218:219], v[218:219], v[216:217]
	v_rcp_f64_e32 v[222:223], v[220:221]
	v_div_scale_f64 v[224:225], vcc, v[216:217], v[218:219], v[216:217]
	v_fma_f64 v[226:227], -v[220:221], v[222:223], 1.0
	v_fmac_f64_e32 v[222:223], v[222:223], v[226:227]
	v_fma_f64 v[226:227], -v[220:221], v[222:223], 1.0
	v_fmac_f64_e32 v[222:223], v[222:223], v[226:227]
	v_mul_f64 v[226:227], v[224:225], v[222:223]
	v_fma_f64 v[220:221], -v[220:221], v[226:227], v[224:225]
	v_div_fmas_f64 v[220:221], v[220:221], v[222:223], v[226:227]
	v_div_fixup_f64 v[220:221], v[220:221], v[218:219], v[216:217]
	v_fmac_f64_e32 v[218:219], v[216:217], v[220:221]
	v_div_scale_f64 v[216:217], s[10:11], v[218:219], v[218:219], 1.0
	v_rcp_f64_e32 v[222:223], v[216:217]
	s_nop 0
	v_fma_f64 v[224:225], -v[216:217], v[222:223], 1.0
	v_fmac_f64_e32 v[222:223], v[222:223], v[224:225]
	v_fma_f64 v[224:225], -v[216:217], v[222:223], 1.0
	v_fmac_f64_e32 v[222:223], v[222:223], v[224:225]
	v_div_scale_f64 v[224:225], vcc, 1.0, v[218:219], 1.0
	v_mul_f64 v[226:227], v[224:225], v[222:223]
	v_fma_f64 v[216:217], -v[216:217], v[226:227], v[224:225]
	s_nop 1
	v_div_fmas_f64 v[216:217], v[216:217], v[222:223], v[226:227]
	v_div_fixup_f64 v[222:223], v[216:217], v[218:219], 1.0
	v_mul_f64 v[220:221], v[220:221], v[222:223]
	v_xor_b32_e32 v223, 0x80000000, v223
                                        ; implicit-def: $vgpr216_vgpr217
.LBB99_419:
	s_andn2_saveexec_b64 s[2:3], s[2:3]
	s_cbranch_execz .LBB99_421
; %bb.420:
	v_div_scale_f64 v[220:221], s[10:11], v[216:217], v[216:217], v[218:219]
	v_rcp_f64_e32 v[222:223], v[220:221]
	v_div_scale_f64 v[224:225], vcc, v[218:219], v[216:217], v[218:219]
	v_fma_f64 v[226:227], -v[220:221], v[222:223], 1.0
	v_fmac_f64_e32 v[222:223], v[222:223], v[226:227]
	v_fma_f64 v[226:227], -v[220:221], v[222:223], 1.0
	v_fmac_f64_e32 v[222:223], v[222:223], v[226:227]
	v_mul_f64 v[226:227], v[224:225], v[222:223]
	v_fma_f64 v[220:221], -v[220:221], v[226:227], v[224:225]
	v_div_fmas_f64 v[220:221], v[220:221], v[222:223], v[226:227]
	v_div_fixup_f64 v[222:223], v[220:221], v[216:217], v[218:219]
	v_fmac_f64_e32 v[216:217], v[218:219], v[222:223]
	v_div_scale_f64 v[218:219], s[10:11], v[216:217], v[216:217], 1.0
	v_rcp_f64_e32 v[220:221], v[218:219]
	s_nop 0
	v_fma_f64 v[224:225], -v[218:219], v[220:221], 1.0
	v_fmac_f64_e32 v[220:221], v[220:221], v[224:225]
	v_fma_f64 v[224:225], -v[218:219], v[220:221], 1.0
	v_fmac_f64_e32 v[220:221], v[220:221], v[224:225]
	v_div_scale_f64 v[224:225], vcc, 1.0, v[216:217], 1.0
	v_mul_f64 v[226:227], v[224:225], v[220:221]
	v_fma_f64 v[218:219], -v[218:219], v[226:227], v[224:225]
	s_nop 1
	v_div_fmas_f64 v[218:219], v[218:219], v[220:221], v[226:227]
	v_div_fixup_f64 v[220:221], v[218:219], v[216:217], 1.0
	v_mul_f64 v[222:223], v[222:223], -v[220:221]
.LBB99_421:
	s_or_b64 exec, exec, s[2:3]
	ds_write2_b64 v194, v[220:221], v[222:223] offset1:1
.LBB99_422:
	s_or_b64 exec, exec, s[4:5]
	s_waitcnt lgkmcnt(0)
	s_barrier
	ds_read2_b64 v[216:219], v194 offset1:1
	v_cmp_lt_u32_e32 vcc, 46, v234
	s_and_saveexec_b64 s[2:3], vcc
	s_cbranch_execz .LBB99_424
; %bb.423:
	ds_read2_b64 v[220:223], v233 offset0:94 offset1:95
	s_waitcnt vmcnt(45) lgkmcnt(1)
	v_mul_f64 v[224:225], v[216:217], v[10:11]
	v_fmac_f64_e32 v[224:225], v[218:219], v[8:9]
	v_mul_f64 v[10:11], v[218:219], v[10:11]
	v_fma_f64 v[8:9], v[216:217], v[8:9], -v[10:11]
	s_waitcnt lgkmcnt(0)
	v_mul_f64 v[10:11], v[222:223], v[224:225]
	v_fma_f64 v[10:11], v[220:221], v[8:9], -v[10:11]
	v_mul_f64 v[220:221], v[220:221], v[224:225]
	v_fmac_f64_e32 v[220:221], v[222:223], v[8:9]
	s_waitcnt vmcnt(44)
	v_add_f64 v[6:7], v[6:7], -v[220:221]
	ds_read2_b64 v[220:223], v233 offset0:96 offset1:97
	v_add_f64 v[4:5], v[4:5], -v[10:11]
	s_waitcnt lgkmcnt(0)
	v_mul_f64 v[10:11], v[222:223], v[224:225]
	v_fma_f64 v[10:11], v[220:221], v[8:9], -v[10:11]
	v_mul_f64 v[220:221], v[220:221], v[224:225]
	v_fmac_f64_e32 v[220:221], v[222:223], v[8:9]
	s_waitcnt vmcnt(43)
	v_add_f64 v[2:3], v[2:3], -v[220:221]
	ds_read2_b64 v[220:223], v233 offset0:98 offset1:99
	v_add_f64 v[0:1], v[0:1], -v[10:11]
	s_waitcnt lgkmcnt(0)
	v_mul_f64 v[10:11], v[222:223], v[224:225]
	v_fma_f64 v[10:11], v[220:221], v[8:9], -v[10:11]
	v_mul_f64 v[220:221], v[220:221], v[224:225]
	v_fmac_f64_e32 v[220:221], v[222:223], v[8:9]
	s_waitcnt vmcnt(42)
	v_add_f64 v[196:197], v[196:197], -v[10:11]
	v_add_f64 v[198:199], v[198:199], -v[220:221]
	v_mov_b64_e32 v[10:11], v[224:225]
.LBB99_424:
	s_or_b64 exec, exec, s[2:3]
	v_cmp_eq_u32_e32 vcc, 47, v234
	s_waitcnt lgkmcnt(0)
	s_barrier
	s_and_saveexec_b64 s[4:5], vcc
	s_cbranch_execz .LBB99_431
; %bb.425:
	s_waitcnt vmcnt(44)
	ds_write2_b64 v194, v[4:5], v[6:7] offset1:1
	s_waitcnt vmcnt(43)
	ds_write2_b64 v233, v[0:1], v[2:3] offset0:96 offset1:97
	s_waitcnt vmcnt(42)
	ds_write2_b64 v233, v[196:197], v[198:199] offset0:98 offset1:99
	ds_read2_b64 v[220:223], v194 offset1:1
	s_waitcnt lgkmcnt(0)
	v_cmp_neq_f64_e32 vcc, 0, v[220:221]
	v_cmp_neq_f64_e64 s[2:3], 0, v[222:223]
	s_or_b64 s[2:3], vcc, s[2:3]
	s_and_b64 exec, exec, s[2:3]
	s_cbranch_execz .LBB99_431
; %bb.426:
	v_cmp_ngt_f64_e64 s[2:3], |v[220:221]|, |v[222:223]|
                                        ; implicit-def: $vgpr224_vgpr225
	s_and_saveexec_b64 s[10:11], s[2:3]
	s_xor_b64 s[2:3], exec, s[10:11]
                                        ; implicit-def: $vgpr226_vgpr227
	s_cbranch_execz .LBB99_428
; %bb.427:
	v_div_scale_f64 v[224:225], s[10:11], v[222:223], v[222:223], v[220:221]
	v_rcp_f64_e32 v[226:227], v[224:225]
	v_div_scale_f64 v[228:229], vcc, v[220:221], v[222:223], v[220:221]
	v_fma_f64 v[230:231], -v[224:225], v[226:227], 1.0
	v_fmac_f64_e32 v[226:227], v[226:227], v[230:231]
	v_fma_f64 v[230:231], -v[224:225], v[226:227], 1.0
	v_fmac_f64_e32 v[226:227], v[226:227], v[230:231]
	v_mul_f64 v[230:231], v[228:229], v[226:227]
	v_fma_f64 v[224:225], -v[224:225], v[230:231], v[228:229]
	v_div_fmas_f64 v[224:225], v[224:225], v[226:227], v[230:231]
	v_div_fixup_f64 v[224:225], v[224:225], v[222:223], v[220:221]
	v_fmac_f64_e32 v[222:223], v[220:221], v[224:225]
	v_div_scale_f64 v[220:221], s[10:11], v[222:223], v[222:223], 1.0
	v_rcp_f64_e32 v[226:227], v[220:221]
	s_nop 0
	v_fma_f64 v[228:229], -v[220:221], v[226:227], 1.0
	v_fmac_f64_e32 v[226:227], v[226:227], v[228:229]
	v_fma_f64 v[228:229], -v[220:221], v[226:227], 1.0
	v_fmac_f64_e32 v[226:227], v[226:227], v[228:229]
	v_div_scale_f64 v[228:229], vcc, 1.0, v[222:223], 1.0
	v_mul_f64 v[230:231], v[228:229], v[226:227]
	v_fma_f64 v[220:221], -v[220:221], v[230:231], v[228:229]
	s_nop 1
	v_div_fmas_f64 v[220:221], v[220:221], v[226:227], v[230:231]
	v_div_fixup_f64 v[226:227], v[220:221], v[222:223], 1.0
	v_mul_f64 v[224:225], v[224:225], v[226:227]
	v_xor_b32_e32 v227, 0x80000000, v227
                                        ; implicit-def: $vgpr220_vgpr221
.LBB99_428:
	s_andn2_saveexec_b64 s[2:3], s[2:3]
	s_cbranch_execz .LBB99_430
; %bb.429:
	v_div_scale_f64 v[224:225], s[10:11], v[220:221], v[220:221], v[222:223]
	v_rcp_f64_e32 v[226:227], v[224:225]
	v_div_scale_f64 v[228:229], vcc, v[222:223], v[220:221], v[222:223]
	v_fma_f64 v[230:231], -v[224:225], v[226:227], 1.0
	v_fmac_f64_e32 v[226:227], v[226:227], v[230:231]
	v_fma_f64 v[230:231], -v[224:225], v[226:227], 1.0
	v_fmac_f64_e32 v[226:227], v[226:227], v[230:231]
	v_mul_f64 v[230:231], v[228:229], v[226:227]
	v_fma_f64 v[224:225], -v[224:225], v[230:231], v[228:229]
	v_div_fmas_f64 v[224:225], v[224:225], v[226:227], v[230:231]
	v_div_fixup_f64 v[226:227], v[224:225], v[220:221], v[222:223]
	v_fmac_f64_e32 v[220:221], v[222:223], v[226:227]
	v_div_scale_f64 v[222:223], s[10:11], v[220:221], v[220:221], 1.0
	v_rcp_f64_e32 v[224:225], v[222:223]
	s_nop 0
	v_fma_f64 v[228:229], -v[222:223], v[224:225], 1.0
	v_fmac_f64_e32 v[224:225], v[224:225], v[228:229]
	v_fma_f64 v[228:229], -v[222:223], v[224:225], 1.0
	v_fmac_f64_e32 v[224:225], v[224:225], v[228:229]
	v_div_scale_f64 v[228:229], vcc, 1.0, v[220:221], 1.0
	v_mul_f64 v[230:231], v[228:229], v[224:225]
	v_fma_f64 v[222:223], -v[222:223], v[230:231], v[228:229]
	s_nop 1
	v_div_fmas_f64 v[222:223], v[222:223], v[224:225], v[230:231]
	v_div_fixup_f64 v[224:225], v[222:223], v[220:221], 1.0
	v_mul_f64 v[226:227], v[226:227], -v[224:225]
.LBB99_430:
	s_or_b64 exec, exec, s[2:3]
	ds_write2_b64 v194, v[224:225], v[226:227] offset1:1
.LBB99_431:
	s_or_b64 exec, exec, s[4:5]
	s_waitcnt lgkmcnt(0)
	s_barrier
	ds_read2_b64 v[220:223], v194 offset1:1
	v_cmp_lt_u32_e32 vcc, 47, v234
	s_and_saveexec_b64 s[2:3], vcc
	s_cbranch_execz .LBB99_433
; %bb.432:
	ds_read2_b64 v[224:227], v233 offset0:96 offset1:97
	s_waitcnt vmcnt(44) lgkmcnt(1)
	v_mul_f64 v[228:229], v[220:221], v[6:7]
	v_fmac_f64_e32 v[228:229], v[222:223], v[4:5]
	v_mul_f64 v[6:7], v[222:223], v[6:7]
	v_fma_f64 v[4:5], v[220:221], v[4:5], -v[6:7]
	s_waitcnt lgkmcnt(0)
	v_mul_f64 v[6:7], v[226:227], v[228:229]
	v_fma_f64 v[6:7], v[224:225], v[4:5], -v[6:7]
	v_mul_f64 v[224:225], v[224:225], v[228:229]
	v_fmac_f64_e32 v[224:225], v[226:227], v[4:5]
	s_waitcnt vmcnt(43)
	v_add_f64 v[2:3], v[2:3], -v[224:225]
	ds_read2_b64 v[224:227], v233 offset0:98 offset1:99
	v_add_f64 v[0:1], v[0:1], -v[6:7]
	s_waitcnt lgkmcnt(0)
	v_mul_f64 v[6:7], v[226:227], v[228:229]
	v_fma_f64 v[6:7], v[224:225], v[4:5], -v[6:7]
	v_mul_f64 v[224:225], v[224:225], v[228:229]
	v_fmac_f64_e32 v[224:225], v[226:227], v[4:5]
	s_waitcnt vmcnt(42)
	v_add_f64 v[196:197], v[196:197], -v[6:7]
	v_add_f64 v[198:199], v[198:199], -v[224:225]
	v_mov_b64_e32 v[6:7], v[228:229]
.LBB99_433:
	s_or_b64 exec, exec, s[2:3]
	v_cmp_eq_u32_e32 vcc, 48, v234
	s_waitcnt lgkmcnt(0)
	s_barrier
	s_and_saveexec_b64 s[4:5], vcc
	s_cbranch_execz .LBB99_440
; %bb.434:
	s_waitcnt vmcnt(43)
	ds_write2_b64 v194, v[0:1], v[2:3] offset1:1
	s_waitcnt vmcnt(42)
	ds_write2_b64 v233, v[196:197], v[198:199] offset0:98 offset1:99
	ds_read2_b64 v[224:227], v194 offset1:1
	s_waitcnt lgkmcnt(0)
	v_cmp_neq_f64_e32 vcc, 0, v[224:225]
	v_cmp_neq_f64_e64 s[2:3], 0, v[226:227]
	s_or_b64 s[2:3], vcc, s[2:3]
	s_and_b64 exec, exec, s[2:3]
	s_cbranch_execz .LBB99_440
; %bb.435:
	v_cmp_ngt_f64_e64 s[2:3], |v[224:225]|, |v[226:227]|
                                        ; implicit-def: $vgpr228_vgpr229
	s_and_saveexec_b64 s[10:11], s[2:3]
	s_xor_b64 s[2:3], exec, s[10:11]
                                        ; implicit-def: $vgpr230_vgpr231
	s_cbranch_execz .LBB99_437
; %bb.436:
	v_div_scale_f64 v[228:229], s[10:11], v[226:227], v[226:227], v[224:225]
	v_rcp_f64_e32 v[230:231], v[228:229]
	v_mov_b64_e32 v[188:189], v[238:239]
	v_div_scale_f64 v[236:237], vcc, v[224:225], v[226:227], v[224:225]
	v_fma_f64 v[238:239], -v[228:229], v[230:231], 1.0
	v_fmac_f64_e32 v[230:231], v[230:231], v[238:239]
	v_fma_f64 v[238:239], -v[228:229], v[230:231], 1.0
	v_fmac_f64_e32 v[230:231], v[230:231], v[238:239]
	v_mul_f64 v[238:239], v[236:237], v[230:231]
	v_fma_f64 v[228:229], -v[228:229], v[238:239], v[236:237]
	v_div_fmas_f64 v[228:229], v[228:229], v[230:231], v[238:239]
	v_div_fixup_f64 v[228:229], v[228:229], v[226:227], v[224:225]
	v_fmac_f64_e32 v[226:227], v[224:225], v[228:229]
	v_div_scale_f64 v[224:225], s[10:11], v[226:227], v[226:227], 1.0
	v_rcp_f64_e32 v[230:231], v[224:225]
	s_nop 0
	v_fma_f64 v[236:237], -v[224:225], v[230:231], 1.0
	v_fmac_f64_e32 v[230:231], v[230:231], v[236:237]
	v_fma_f64 v[236:237], -v[224:225], v[230:231], 1.0
	v_fmac_f64_e32 v[230:231], v[230:231], v[236:237]
	v_div_scale_f64 v[236:237], vcc, 1.0, v[226:227], 1.0
	v_mul_f64 v[238:239], v[236:237], v[230:231]
	v_fma_f64 v[224:225], -v[224:225], v[238:239], v[236:237]
	s_nop 1
	v_div_fmas_f64 v[224:225], v[224:225], v[230:231], v[238:239]
	v_div_fixup_f64 v[230:231], v[224:225], v[226:227], 1.0
	v_mov_b64_e32 v[238:239], v[188:189]
	v_mul_f64 v[228:229], v[228:229], v[230:231]
	v_xor_b32_e32 v231, 0x80000000, v231
                                        ; implicit-def: $vgpr224_vgpr225
.LBB99_437:
	s_andn2_saveexec_b64 s[2:3], s[2:3]
	s_cbranch_execz .LBB99_439
; %bb.438:
	v_div_scale_f64 v[228:229], s[10:11], v[224:225], v[224:225], v[226:227]
	v_rcp_f64_e32 v[230:231], v[228:229]
	v_mov_b64_e32 v[188:189], v[238:239]
	v_div_scale_f64 v[236:237], vcc, v[226:227], v[224:225], v[226:227]
	v_fma_f64 v[238:239], -v[228:229], v[230:231], 1.0
	v_fmac_f64_e32 v[230:231], v[230:231], v[238:239]
	v_fma_f64 v[238:239], -v[228:229], v[230:231], 1.0
	v_fmac_f64_e32 v[230:231], v[230:231], v[238:239]
	v_mul_f64 v[238:239], v[236:237], v[230:231]
	v_fma_f64 v[228:229], -v[228:229], v[238:239], v[236:237]
	v_div_fmas_f64 v[228:229], v[228:229], v[230:231], v[238:239]
	v_div_fixup_f64 v[230:231], v[228:229], v[224:225], v[226:227]
	v_fmac_f64_e32 v[224:225], v[226:227], v[230:231]
	v_div_scale_f64 v[226:227], s[10:11], v[224:225], v[224:225], 1.0
	v_rcp_f64_e32 v[228:229], v[226:227]
	s_nop 0
	v_fma_f64 v[236:237], -v[226:227], v[228:229], 1.0
	v_fmac_f64_e32 v[228:229], v[228:229], v[236:237]
	v_fma_f64 v[236:237], -v[226:227], v[228:229], 1.0
	v_fmac_f64_e32 v[228:229], v[228:229], v[236:237]
	v_div_scale_f64 v[236:237], vcc, 1.0, v[224:225], 1.0
	v_mul_f64 v[238:239], v[236:237], v[228:229]
	v_fma_f64 v[226:227], -v[226:227], v[238:239], v[236:237]
	s_nop 1
	v_div_fmas_f64 v[226:227], v[226:227], v[228:229], v[238:239]
	v_div_fixup_f64 v[228:229], v[226:227], v[224:225], 1.0
	v_mov_b64_e32 v[238:239], v[188:189]
	v_mul_f64 v[230:231], v[230:231], -v[228:229]
.LBB99_439:
	s_or_b64 exec, exec, s[2:3]
	ds_write2_b64 v194, v[228:229], v[230:231] offset1:1
.LBB99_440:
	s_or_b64 exec, exec, s[4:5]
	s_waitcnt lgkmcnt(0)
	s_barrier
	ds_read2_b64 v[224:227], v194 offset1:1
	v_cmp_lt_u32_e32 vcc, 48, v234
	s_and_saveexec_b64 s[2:3], vcc
	s_cbranch_execz .LBB99_442
; %bb.441:
	ds_read2_b64 v[228:231], v233 offset0:98 offset1:99
	s_waitcnt vmcnt(43) lgkmcnt(1)
	v_mul_f64 v[236:237], v[224:225], v[2:3]
	v_mul_f64 v[2:3], v[226:227], v[2:3]
	v_fmac_f64_e32 v[236:237], v[226:227], v[0:1]
	v_fma_f64 v[0:1], v[224:225], v[0:1], -v[2:3]
	s_waitcnt lgkmcnt(0)
	v_mul_f64 v[2:3], v[230:231], v[236:237]
	v_fma_f64 v[2:3], v[228:229], v[0:1], -v[2:3]
	v_mul_f64 v[228:229], v[228:229], v[236:237]
	v_fmac_f64_e32 v[228:229], v[230:231], v[0:1]
	s_waitcnt vmcnt(42)
	v_add_f64 v[196:197], v[196:197], -v[2:3]
	v_add_f64 v[198:199], v[198:199], -v[228:229]
	v_mov_b64_e32 v[2:3], v[236:237]
.LBB99_442:
	s_or_b64 exec, exec, s[2:3]
	v_cmp_eq_u32_e32 vcc, 49, v234
	s_waitcnt lgkmcnt(0)
	s_barrier
	s_and_saveexec_b64 s[4:5], vcc
	s_cbranch_execz .LBB99_449
; %bb.443:
	s_waitcnt vmcnt(42)
	v_cmp_neq_f64_e32 vcc, 0, v[196:197]
	v_cmp_neq_f64_e64 s[2:3], 0, v[198:199]
	s_or_b64 s[2:3], vcc, s[2:3]
	ds_write2_b64 v194, v[196:197], v[198:199] offset1:1
	s_and_b64 exec, exec, s[2:3]
	s_cbranch_execz .LBB99_449
; %bb.444:
	v_cmp_ngt_f64_e64 s[2:3], |v[196:197]|, |v[198:199]|
                                        ; implicit-def: $vgpr228_vgpr229
	s_and_saveexec_b64 s[10:11], s[2:3]
	s_xor_b64 s[2:3], exec, s[10:11]
                                        ; implicit-def: $vgpr230_vgpr231
	s_cbranch_execz .LBB99_446
; %bb.445:
	v_mov_b32_e32 v188, v234
	v_mov_b64_e32 v[234:235], v[38:39]
	v_mov_b64_e32 v[232:233], v[36:37]
	;; [unrolled: 1-line block ×27, first 2 shown]
	v_div_scale_f64 v[228:229], s[10:11], v[198:199], v[198:199], v[196:197]
	v_mov_b64_e32 v[86:87], v[202:203]
	v_mov_b64_e32 v[202:203], v[90:91]
	v_rcp_f64_e32 v[230:231], v[228:229]
	v_mov_b64_e32 v[200:201], v[88:89]
	v_mov_b64_e32 v[88:89], v[92:93]
	;; [unrolled: 1-line block ×57, first 2 shown]
	v_fma_f64 v[238:239], -v[228:229], v[230:231], 1.0
	v_fmac_f64_e32 v[230:231], v[230:231], v[238:239]
	v_fma_f64 v[238:239], -v[228:229], v[230:231], 1.0
	v_div_scale_f64 v[236:237], vcc, v[196:197], v[198:199], v[196:197]
	v_fmac_f64_e32 v[230:231], v[230:231], v[238:239]
	v_mul_f64 v[238:239], v[236:237], v[230:231]
	v_fma_f64 v[228:229], -v[228:229], v[238:239], v[236:237]
	s_nop 0
	v_div_fmas_f64 v[228:229], v[228:229], v[230:231], v[238:239]
	v_div_fixup_f64 v[228:229], v[228:229], v[198:199], v[196:197]
	v_fma_f64 v[230:231], v[196:197], v[228:229], v[198:199]
	v_div_scale_f64 v[236:237], s[10:11], v[230:231], v[230:231], 1.0
	v_rcp_f64_e32 v[238:239], v[236:237]
	v_mov_b64_e32 v[192:193], v[240:241]
	v_mov_b32_e32 v189, v194
	v_mov_b64_e32 v[194:195], v[242:243]
	v_fma_f64 v[240:241], -v[236:237], v[238:239], 1.0
	v_fmac_f64_e32 v[238:239], v[238:239], v[240:241]
	v_fma_f64 v[240:241], -v[236:237], v[238:239], 1.0
	v_fmac_f64_e32 v[238:239], v[238:239], v[240:241]
	v_div_scale_f64 v[240:241], vcc, 1.0, v[230:231], 1.0
	v_mul_f64 v[242:243], v[240:241], v[238:239]
	v_fma_f64 v[236:237], -v[236:237], v[242:243], v[240:241]
	v_mov_b64_e32 v[240:241], v[192:193]
	s_nop 0
	v_div_fmas_f64 v[236:237], v[236:237], v[238:239], v[242:243]
	v_mov_b64_e32 v[238:239], v[190:191]
	v_mov_b64_e32 v[190:191], v[184:185]
	;; [unrolled: 1-line block ×85, first 2 shown]
	v_div_fixup_f64 v[230:231], v[236:237], v[230:231], 1.0
	v_mov_b64_e32 v[38:39], v[234:235]
	v_mov_b32_e32 v234, v188
	v_mov_b64_e32 v[242:243], v[194:195]
	v_mov_b32_e32 v194, v189
	v_mul_f64 v[228:229], v[228:229], v[230:231]
	v_xor_b32_e32 v231, 0x80000000, v231
.LBB99_446:
	s_andn2_saveexec_b64 s[2:3], s[2:3]
	s_cbranch_execz .LBB99_448
; %bb.447:
	v_mov_b32_e32 v188, v234
	v_mov_b64_e32 v[234:235], v[38:39]
	v_mov_b64_e32 v[232:233], v[36:37]
	;; [unrolled: 1-line block ×27, first 2 shown]
	v_div_scale_f64 v[228:229], s[10:11], v[196:197], v[196:197], v[198:199]
	v_mov_b64_e32 v[86:87], v[202:203]
	v_mov_b64_e32 v[202:203], v[90:91]
	v_rcp_f64_e32 v[230:231], v[228:229]
	v_mov_b64_e32 v[200:201], v[88:89]
	v_mov_b64_e32 v[88:89], v[92:93]
	;; [unrolled: 1-line block ×57, first 2 shown]
	v_fma_f64 v[238:239], -v[228:229], v[230:231], 1.0
	v_fmac_f64_e32 v[230:231], v[230:231], v[238:239]
	v_fma_f64 v[238:239], -v[228:229], v[230:231], 1.0
	v_div_scale_f64 v[236:237], vcc, v[198:199], v[196:197], v[198:199]
	v_fmac_f64_e32 v[230:231], v[230:231], v[238:239]
	v_mul_f64 v[238:239], v[236:237], v[230:231]
	v_fma_f64 v[228:229], -v[228:229], v[238:239], v[236:237]
	s_nop 0
	v_div_fmas_f64 v[228:229], v[228:229], v[230:231], v[238:239]
	v_div_fixup_f64 v[230:231], v[228:229], v[196:197], v[198:199]
	v_fma_f64 v[228:229], v[198:199], v[230:231], v[196:197]
	v_div_scale_f64 v[236:237], s[10:11], v[228:229], v[228:229], 1.0
	v_rcp_f64_e32 v[238:239], v[236:237]
	v_mov_b64_e32 v[192:193], v[240:241]
	v_mov_b32_e32 v189, v194
	v_mov_b64_e32 v[194:195], v[242:243]
	v_fma_f64 v[240:241], -v[236:237], v[238:239], 1.0
	v_fmac_f64_e32 v[238:239], v[238:239], v[240:241]
	v_fma_f64 v[240:241], -v[236:237], v[238:239], 1.0
	v_fmac_f64_e32 v[238:239], v[238:239], v[240:241]
	v_div_scale_f64 v[240:241], vcc, 1.0, v[228:229], 1.0
	v_mul_f64 v[242:243], v[240:241], v[238:239]
	v_fma_f64 v[236:237], -v[236:237], v[242:243], v[240:241]
	v_mov_b64_e32 v[240:241], v[192:193]
	s_nop 0
	v_div_fmas_f64 v[236:237], v[236:237], v[238:239], v[242:243]
	v_mov_b64_e32 v[238:239], v[190:191]
	v_mov_b64_e32 v[190:191], v[184:185]
	;; [unrolled: 1-line block ×85, first 2 shown]
	v_div_fixup_f64 v[228:229], v[236:237], v[228:229], 1.0
	v_mov_b64_e32 v[38:39], v[234:235]
	v_mov_b32_e32 v234, v188
	v_mov_b64_e32 v[242:243], v[194:195]
	v_mov_b32_e32 v194, v189
	v_mul_f64 v[230:231], v[230:231], -v[228:229]
.LBB99_448:
	s_or_b64 exec, exec, s[2:3]
	ds_write2_b64 v194, v[228:229], v[230:231] offset1:1
.LBB99_449:
	s_or_b64 exec, exec, s[4:5]
	s_waitcnt lgkmcnt(0)
	s_barrier
	ds_read2_b64 v[228:231], v194 offset1:1
	s_waitcnt lgkmcnt(0)
	s_barrier
	s_and_saveexec_b64 s[2:3], s[0:1]
	s_cbranch_execz .LBB99_452
; %bb.450:
	v_mov_b64_e32 v[192:193], v[200:201]
	v_mov_b64_e32 v[194:195], v[202:203]
	scratch_load_dwordx4 v[200:203], off, off offset:352 ; 16-byte Folded Reload
	v_mov_b32_e32 v233, s7
	s_waitcnt vmcnt(0)
	v_cmp_eq_f64_e32 vcc, 0, v[200:201]
	v_cmp_eq_f64_e64 s[0:1], 0, v[202:203]
	scratch_load_dwordx4 v[200:203], off, off offset:368 ; 16-byte Folded Reload
	s_and_b64 s[4:5], vcc, s[0:1]
	v_cndmask_b32_e64 v232, 0, 1, s[4:5]
	s_waitcnt vmcnt(0)
	v_cmp_neq_f64_e32 vcc, 0, v[200:201]
	v_cmp_neq_f64_e64 s[0:1], 0, v[202:203]
	scratch_load_dwordx4 v[200:203], off, off offset:384 ; 16-byte Folded Reload
	s_or_b64 s[0:1], vcc, s[0:1]
	s_or_b64 vcc, s[0:1], s[4:5]
	v_cndmask_b32_e32 v232, 2, v232, vcc
	s_waitcnt vmcnt(0)
	v_cmp_eq_f64_e32 vcc, 0, v[200:201]
	v_cmp_eq_f64_e64 s[0:1], 0, v[202:203]
	scratch_load_dwordx4 v[200:203], off, off offset:400 ; 16-byte Folded Reload
	s_and_b64 s[0:1], vcc, s[0:1]
	v_cmp_eq_u32_e32 vcc, 0, v232
	s_and_b64 s[0:1], s[0:1], vcc
	v_cndmask_b32_e64 v232, v232, 3, s[0:1]
	s_waitcnt vmcnt(0)
	v_cmp_eq_f64_e32 vcc, 0, v[200:201]
	v_cmp_eq_f64_e64 s[0:1], 0, v[202:203]
	scratch_load_dwordx4 v[200:203], off, off offset:416 ; 16-byte Folded Reload
	s_and_b64 s[0:1], vcc, s[0:1]
	v_cmp_eq_u32_e32 vcc, 0, v232
	s_and_b64 s[0:1], s[0:1], vcc
	v_cndmask_b32_e64 v232, v232, 4, s[0:1]
	;; [unrolled: 8-line block ×34, first 2 shown]
	v_mov_b32_e32 v232, s6
	v_lshl_add_u64 v[232:233], v[178:179], 2, v[232:233]
	global_load_dword v236, v[232:233], off
	s_waitcnt vmcnt(1)
	v_cmp_eq_f64_e32 vcc, 0, v[200:201]
	v_cmp_eq_f64_e64 s[0:1], 0, v[202:203]
	scratch_load_dwordx4 v[200:203], off, off offset:944 ; 16-byte Folded Reload
	s_and_b64 s[0:1], vcc, s[0:1]
	v_cmp_eq_u32_e32 vcc, 0, v235
	s_and_b64 s[0:1], s[0:1], vcc
	v_cndmask_b32_e64 v235, v235, 37, s[0:1]
	s_waitcnt vmcnt(0)
	v_cmp_eq_f64_e32 vcc, 0, v[200:201]
	v_cmp_eq_f64_e64 s[0:1], 0, v[202:203]
	scratch_load_dwordx4 v[200:203], off, off offset:960 ; 16-byte Folded Reload
	s_and_b64 s[0:1], vcc, s[0:1]
	v_cmp_eq_u32_e32 vcc, 0, v235
	s_and_b64 s[0:1], s[0:1], vcc
	v_cndmask_b32_e64 v235, v235, 38, s[0:1]
	;; [unrolled: 8-line block ×5, first 2 shown]
	s_waitcnt vmcnt(0)
	v_cmp_eq_f64_e32 vcc, 0, v[200:201]
	v_cmp_eq_f64_e64 s[0:1], 0, v[202:203]
	s_and_b64 s[0:1], vcc, s[0:1]
	v_cmp_eq_u32_e32 vcc, 0, v235
	s_and_b64 s[0:1], s[0:1], vcc
	v_cndmask_b32_e64 v235, v235, 42, s[0:1]
	v_cmp_eq_f64_e32 vcc, 0, v[192:193]
	v_cmp_eq_f64_e64 s[0:1], 0, v[194:195]
	s_and_b64 s[0:1], vcc, s[0:1]
	v_cmp_eq_u32_e32 vcc, 0, v235
	s_and_b64 s[0:1], s[0:1], vcc
	v_cndmask_b32_e64 v200, v235, 43, s[0:1]
	;; [unrolled: 6-line block ×9, first 2 shown]
	v_cmp_eq_u32_e32 vcc, 0, v236
	v_cmp_ne_u32_e64 s[0:1], 0, v200
	s_and_b64 s[0:1], vcc, s[0:1]
	s_and_b64 exec, exec, s[0:1]
	s_cbranch_execz .LBB99_452
; %bb.451:
	v_add_u32_e32 v200, s9, v200
	global_store_dword v[232:233], v200, off
.LBB99_452:
	s_or_b64 exec, exec, s[2:3]
	s_waitcnt vmcnt(42)
	v_mul_f64 v[200:201], v[230:231], v[198:199]
	v_mul_f64 v[202:203], v[228:229], v[198:199]
	v_cmp_lt_u32_e32 vcc, 49, v234
	v_fma_f64 v[200:201], v[228:229], v[196:197], -v[200:201]
	v_fmac_f64_e32 v[202:203], v[230:231], v[196:197]
	v_cndmask_b32_e32 v199, v199, v203, vcc
	v_cndmask_b32_e32 v198, v198, v202, vcc
	;; [unrolled: 1-line block ×4, first 2 shown]
	scratch_load_dwordx4 v[200:203], off, off offset:336 ; 16-byte Folded Reload
	s_waitcnt vmcnt(0)
	global_store_dwordx4 v[240:241], v[200:203], off
	scratch_load_dwordx4 v[200:203], off, off offset:320 ; 16-byte Folded Reload
	s_waitcnt vmcnt(0)
	global_store_dwordx4 v[108:109], v[200:203], off
	scratch_load_dwordx4 v[200:203], off, off offset:304 ; 16-byte Folded Reload
	s_nop 0
	scratch_load_dwordx2 v[108:109], off, off offset:1024 ; 8-byte Folded Reload
	scratch_load_dwordx4 v[192:195], off, off offset:288 ; 16-byte Folded Reload
	s_waitcnt vmcnt(1)
	global_store_dwordx4 v[108:109], v[200:203], off
	s_waitcnt vmcnt(1)
	global_store_dwordx4 v[242:243], v[192:195], off
	scratch_load_dwordx4 v[192:195], off, off offset:272 ; 16-byte Folded Reload
	s_waitcnt vmcnt(0)
	global_store_dwordx4 v[190:191], v[192:195], off
	scratch_load_dwordx4 v[188:191], off, off offset:256 ; 16-byte Folded Reload
	;; [unrolled: 3-line block ×17, first 2 shown]
	s_waitcnt vmcnt(0)
	global_store_dwordx4 v[160:161], v[162:165], off
	scratch_load_dwordx4 v[160:163], off, off ; 16-byte Folded Reload
	s_waitcnt vmcnt(0)
	global_store_dwordx4 v[250:251], v[160:163], off
	global_store_dwordx4 v[248:249], v[104:107], off
	;; [unrolled: 1-line block ×29, first 2 shown]
.LBB99_453:
	s_endpgm
	.section	.rodata,"a",@progbits
	.p2align	6, 0x0
	.amdhsa_kernel _ZN9rocsolver6v33100L23getf2_npvt_small_kernelILi50E19rocblas_complex_numIdEiiPS3_EEvT1_T3_lS5_lPT2_S5_S5_
		.amdhsa_group_segment_fixed_size 0
		.amdhsa_private_segment_fixed_size 1036
		.amdhsa_kernarg_size 312
		.amdhsa_user_sgpr_count 2
		.amdhsa_user_sgpr_dispatch_ptr 0
		.amdhsa_user_sgpr_queue_ptr 0
		.amdhsa_user_sgpr_kernarg_segment_ptr 1
		.amdhsa_user_sgpr_dispatch_id 0
		.amdhsa_user_sgpr_kernarg_preload_length 0
		.amdhsa_user_sgpr_kernarg_preload_offset 0
		.amdhsa_user_sgpr_private_segment_size 0
		.amdhsa_uses_dynamic_stack 0
		.amdhsa_enable_private_segment 1
		.amdhsa_system_sgpr_workgroup_id_x 1
		.amdhsa_system_sgpr_workgroup_id_y 1
		.amdhsa_system_sgpr_workgroup_id_z 0
		.amdhsa_system_sgpr_workgroup_info 0
		.amdhsa_system_vgpr_workitem_id 1
		.amdhsa_next_free_vgpr 256
		.amdhsa_next_free_sgpr 16
		.amdhsa_accum_offset 256
		.amdhsa_reserve_vcc 1
		.amdhsa_float_round_mode_32 0
		.amdhsa_float_round_mode_16_64 0
		.amdhsa_float_denorm_mode_32 3
		.amdhsa_float_denorm_mode_16_64 3
		.amdhsa_dx10_clamp 1
		.amdhsa_ieee_mode 1
		.amdhsa_fp16_overflow 0
		.amdhsa_tg_split 0
		.amdhsa_exception_fp_ieee_invalid_op 0
		.amdhsa_exception_fp_denorm_src 0
		.amdhsa_exception_fp_ieee_div_zero 0
		.amdhsa_exception_fp_ieee_overflow 0
		.amdhsa_exception_fp_ieee_underflow 0
		.amdhsa_exception_fp_ieee_inexact 0
		.amdhsa_exception_int_div_zero 0
	.end_amdhsa_kernel
	.section	.text._ZN9rocsolver6v33100L23getf2_npvt_small_kernelILi50E19rocblas_complex_numIdEiiPS3_EEvT1_T3_lS5_lPT2_S5_S5_,"axG",@progbits,_ZN9rocsolver6v33100L23getf2_npvt_small_kernelILi50E19rocblas_complex_numIdEiiPS3_EEvT1_T3_lS5_lPT2_S5_S5_,comdat
.Lfunc_end99:
	.size	_ZN9rocsolver6v33100L23getf2_npvt_small_kernelILi50E19rocblas_complex_numIdEiiPS3_EEvT1_T3_lS5_lPT2_S5_S5_, .Lfunc_end99-_ZN9rocsolver6v33100L23getf2_npvt_small_kernelILi50E19rocblas_complex_numIdEiiPS3_EEvT1_T3_lS5_lPT2_S5_S5_
                                        ; -- End function
	.set _ZN9rocsolver6v33100L23getf2_npvt_small_kernelILi50E19rocblas_complex_numIdEiiPS3_EEvT1_T3_lS5_lPT2_S5_S5_.num_vgpr, 256
	.set _ZN9rocsolver6v33100L23getf2_npvt_small_kernelILi50E19rocblas_complex_numIdEiiPS3_EEvT1_T3_lS5_lPT2_S5_S5_.num_agpr, 0
	.set _ZN9rocsolver6v33100L23getf2_npvt_small_kernelILi50E19rocblas_complex_numIdEiiPS3_EEvT1_T3_lS5_lPT2_S5_S5_.numbered_sgpr, 16
	.set _ZN9rocsolver6v33100L23getf2_npvt_small_kernelILi50E19rocblas_complex_numIdEiiPS3_EEvT1_T3_lS5_lPT2_S5_S5_.num_named_barrier, 0
	.set _ZN9rocsolver6v33100L23getf2_npvt_small_kernelILi50E19rocblas_complex_numIdEiiPS3_EEvT1_T3_lS5_lPT2_S5_S5_.private_seg_size, 1036
	.set _ZN9rocsolver6v33100L23getf2_npvt_small_kernelILi50E19rocblas_complex_numIdEiiPS3_EEvT1_T3_lS5_lPT2_S5_S5_.uses_vcc, 1
	.set _ZN9rocsolver6v33100L23getf2_npvt_small_kernelILi50E19rocblas_complex_numIdEiiPS3_EEvT1_T3_lS5_lPT2_S5_S5_.uses_flat_scratch, 0
	.set _ZN9rocsolver6v33100L23getf2_npvt_small_kernelILi50E19rocblas_complex_numIdEiiPS3_EEvT1_T3_lS5_lPT2_S5_S5_.has_dyn_sized_stack, 0
	.set _ZN9rocsolver6v33100L23getf2_npvt_small_kernelILi50E19rocblas_complex_numIdEiiPS3_EEvT1_T3_lS5_lPT2_S5_S5_.has_recursion, 0
	.set _ZN9rocsolver6v33100L23getf2_npvt_small_kernelILi50E19rocblas_complex_numIdEiiPS3_EEvT1_T3_lS5_lPT2_S5_S5_.has_indirect_call, 0
	.section	.AMDGPU.csdata,"",@progbits
; Kernel info:
; codeLenInByte = 121364
; TotalNumSgprs: 22
; NumVgprs: 256
; NumAgprs: 0
; TotalNumVgprs: 256
; ScratchSize: 1036
; MemoryBound: 1
; FloatMode: 240
; IeeeMode: 1
; LDSByteSize: 0 bytes/workgroup (compile time only)
; SGPRBlocks: 2
; VGPRBlocks: 31
; NumSGPRsForWavesPerEU: 22
; NumVGPRsForWavesPerEU: 256
; AccumOffset: 256
; Occupancy: 2
; WaveLimiterHint : 0
; COMPUTE_PGM_RSRC2:SCRATCH_EN: 1
; COMPUTE_PGM_RSRC2:USER_SGPR: 2
; COMPUTE_PGM_RSRC2:TRAP_HANDLER: 0
; COMPUTE_PGM_RSRC2:TGID_X_EN: 1
; COMPUTE_PGM_RSRC2:TGID_Y_EN: 1
; COMPUTE_PGM_RSRC2:TGID_Z_EN: 0
; COMPUTE_PGM_RSRC2:TIDIG_COMP_CNT: 1
; COMPUTE_PGM_RSRC3_GFX90A:ACCUM_OFFSET: 63
; COMPUTE_PGM_RSRC3_GFX90A:TG_SPLIT: 0
	.section	.text._ZN9rocsolver6v33100L18getf2_small_kernelILi51E19rocblas_complex_numIdEiiPS3_EEvT1_T3_lS5_lPS5_llPT2_S5_S5_S7_l,"axG",@progbits,_ZN9rocsolver6v33100L18getf2_small_kernelILi51E19rocblas_complex_numIdEiiPS3_EEvT1_T3_lS5_lPS5_llPT2_S5_S5_S7_l,comdat
	.globl	_ZN9rocsolver6v33100L18getf2_small_kernelILi51E19rocblas_complex_numIdEiiPS3_EEvT1_T3_lS5_lPS5_llPT2_S5_S5_S7_l ; -- Begin function _ZN9rocsolver6v33100L18getf2_small_kernelILi51E19rocblas_complex_numIdEiiPS3_EEvT1_T3_lS5_lPS5_llPT2_S5_S5_S7_l
	.p2align	8
	.type	_ZN9rocsolver6v33100L18getf2_small_kernelILi51E19rocblas_complex_numIdEiiPS3_EEvT1_T3_lS5_lPS5_llPT2_S5_S5_S7_l,@function
_ZN9rocsolver6v33100L18getf2_small_kernelILi51E19rocblas_complex_numIdEiiPS3_EEvT1_T3_lS5_lPS5_llPT2_S5_S5_S7_l: ; @_ZN9rocsolver6v33100L18getf2_small_kernelILi51E19rocblas_complex_numIdEiiPS3_EEvT1_T3_lS5_lPS5_llPT2_S5_S5_S7_l
; %bb.0:
	s_load_dword s2, s[0:1], 0x6c
	s_load_dwordx2 s[12:13], s[0:1], 0x48
	v_bfe_u32 v204, v0, 10, 10
	s_waitcnt lgkmcnt(0)
	s_lshr_b32 s2, s2, 16
	s_mul_i32 s3, s3, s2
	v_add_u32_e32 v210, s3, v204
	v_cmp_gt_i32_e32 vcc, s12, v210
	s_and_saveexec_b64 s[2:3], vcc
	s_cbranch_execnz .LBB100_1
; %bb.1073:
	s_getpc_b64 s[24:25]
.Lpost_getpc1:
	s_add_u32 s24, s24, (.LBB100_1072-.Lpost_getpc1)&4294967295
	s_addc_u32 s25, s25, (.LBB100_1072-.Lpost_getpc1)>>32
	s_setpc_b64 s[24:25]
.LBB100_1:
	s_load_dwordx4 s[4:7], s[0:1], 0x50
	v_ashrrev_i32_e32 v211, 31, v210
	v_mov_b64_e32 v[212:213], 0
	s_waitcnt lgkmcnt(0)
	s_cmp_eq_u64 s[4:5], 0
	s_cselect_b64 s[14:15], -1, 0
	s_and_b64 vcc, exec, s[14:15]
	s_cbranch_vccnz .LBB100_3
; %bb.2:
	v_mul_lo_u32 v1, s7, v210
	v_mul_lo_u32 v4, s6, v211
	v_mad_u64_u32 v[2:3], s[2:3], s6, v210, 0
	v_add3_u32 v3, v3, v4, v1
	v_lshl_add_u64 v[212:213], v[2:3], 2, s[4:5]
.LBB100_3:
	s_load_dwordx4 s[16:19], s[0:1], 0x8
	s_load_dwordx8 s[4:11], s[0:1], 0x20
	s_load_dword s2, s[0:1], 0x18
	s_load_dword s20, s[0:1], 0x0
	v_and_b32_e32 v219, 0x3ff, v0
	s_waitcnt lgkmcnt(0)
	v_mov_b32_e32 v2, s16
	v_mul_lo_u32 v1, s5, v210
	v_mul_lo_u32 v6, s4, v211
	v_mad_u64_u32 v[4:5], s[4:5], s4, v210, 0
	v_mov_b32_e32 v3, s17
	v_add3_u32 v5, v5, v6, v1
	v_lshl_add_u64 v[2:3], v[4:5], 4, v[2:3]
	s_add_i32 s12, s2, s2
	v_lshl_add_u64 v[208:209], s[18:19], 4, v[2:3]
	v_add_u32_e32 v2, s12, v219
	v_add_u32_e32 v4, s2, v2
	;; [unrolled: 1-line block ×3, first 2 shown]
	v_lshlrev_b32_e32 v214, 4, v219
	v_mov_b32_e32 v215, 0
	v_add_u32_e32 v8, s2, v6
	v_lshl_add_u64 v[0:1], v[208:209], 0, v[214:215]
	s_ashr_i32 s3, s2, 31
	v_ashrrev_i32_e32 v9, 31, v8
	v_add_u32_e32 v12, s2, v8
	v_lshl_add_u64 v[10:11], s[2:3], 4, v[0:1]
	global_load_dwordx4 v[136:139], v[0:1], off
	global_load_dwordx4 v[132:135], v[10:11], off
	v_lshl_add_u64 v[0:1], v[8:9], 4, v[208:209]
	v_ashrrev_i32_e32 v13, 31, v12
	v_add_u32_e32 v8, s2, v12
	v_lshl_add_u64 v[10:11], v[12:13], 4, v[208:209]
	v_add_u32_e32 v12, s2, v8
	v_add_u32_e32 v14, s2, v12
	;; [unrolled: 1-line block ×15, first 2 shown]
	v_ashrrev_i32_e32 v41, 31, v40
	v_lshl_add_u64 v[42:43], v[40:41], 4, v[208:209]
	v_add_u32_e32 v40, s2, v40
	v_ashrrev_i32_e32 v41, 31, v40
	v_lshl_add_u64 v[44:45], v[40:41], 4, v[208:209]
	v_add_u32_e32 v40, s2, v40
	;; [unrolled: 3-line block ×27, first 2 shown]
	v_ashrrev_i32_e32 v41, 31, v40
	v_ashrrev_i32_e32 v3, 31, v2
	;; [unrolled: 1-line block ×19, first 2 shown]
	v_lshl_add_u64 v[242:243], v[40:41], 4, v[208:209]
	v_add_u32_e32 v40, s2, v40
	v_lshl_add_u64 v[2:3], v[2:3], 4, v[208:209]
	v_lshl_add_u64 v[4:5], v[4:5], 4, v[208:209]
	;; [unrolled: 1-line block ×18, first 2 shown]
	v_ashrrev_i32_e32 v41, 31, v40
	v_lshl_add_u64 v[244:245], v[40:41], 4, v[208:209]
	global_load_dwordx4 v[196:199], v[2:3], off
	global_load_dwordx4 v[192:195], v[4:5], off
	;; [unrolled: 1-line block ×3, first 2 shown]
                                        ; kill: killed $vgpr2_vgpr3
                                        ; kill: killed $vgpr4_vgpr5
                                        ; kill: killed $vgpr6_vgpr7
	global_load_dwordx4 v[184:187], v[0:1], off
	global_load_dwordx4 v[180:183], v[10:11], off
	;; [unrolled: 1-line block ×28, first 2 shown]
	s_nop 0
	global_load_dwordx4 v[64:67], v[64:65], off
	s_nop 0
	global_load_dwordx4 v[60:63], v[200:201], off
	global_load_dwordx4 v[56:59], v[202:203], off
	;; [unrolled: 1-line block ×17, first 2 shown]
	s_load_dwordx2 s[4:5], s[0:1], 0x40
	s_max_i32 s0, s20, 51
	v_mul_lo_u32 v217, s0, v204
	v_lshl_add_u32 v216, v217, 4, 0
	v_add_u32_e32 v204, v216, v214
	s_waitcnt vmcnt(50)
	ds_write2_b64 v204, v[136:137], v[138:139] offset1:1
	s_waitcnt lgkmcnt(0)
	s_barrier
	ds_read2_b64 v[204:207], v216 offset1:1
	s_cmp_lt_i32 s20, 2
	v_lshlrev_b32_e32 v220, 4, v217
	s_cbranch_scc1 .LBB100_6
; %bb.4:
	v_add3_u32 v214, v220, 0, 16
	s_mov_b32 s16, 1
	v_mov_b32_e32 v215, 0
.LBB100_5:                              ; =>This Inner Loop Header: Depth=1
	ds_read2_b64 v[222:225], v214 offset1:1
	s_waitcnt lgkmcnt(1)
	v_xor_b32_e32 v217, 0x80000000, v205
	v_xor_b32_e32 v218, 0x80000000, v207
	v_cmp_gt_f64_e32 vcc, 0, v[206:207]
	v_cmp_gt_f64_e64 s[0:1], 0, v[204:205]
	v_mov_b32_e32 v226, v204
	v_mov_b32_e32 v228, v206
	v_cndmask_b32_e64 v227, v205, v217, s[0:1]
	v_cndmask_b32_e32 v229, v207, v218, vcc
	s_waitcnt lgkmcnt(0)
	v_xor_b32_e32 v217, 0x80000000, v223
	v_xor_b32_e32 v218, 0x80000000, v225
	v_cmp_gt_f64_e32 vcc, 0, v[224:225]
	v_cmp_gt_f64_e64 s[0:1], 0, v[222:223]
	v_add_f64 v[226:227], v[226:227], v[228:229]
	v_mov_b32_e32 v228, v222
	v_mov_b32_e32 v230, v224
	v_cndmask_b32_e64 v229, v223, v217, s[0:1]
	v_cndmask_b32_e32 v231, v225, v218, vcc
	v_add_f64 v[228:229], v[228:229], v[230:231]
	v_mov_b32_e32 v221, s16
	s_add_i32 s16, s16, 1
	v_cmp_lt_f64_e32 vcc, v[226:227], v[228:229]
	v_add_u32_e32 v214, 16, v214
	s_cmp_eq_u32 s20, s16
	v_cndmask_b32_e32 v205, v205, v223, vcc
	v_cndmask_b32_e32 v204, v204, v222, vcc
	;; [unrolled: 1-line block ×5, first 2 shown]
	s_cbranch_scc0 .LBB100_5
.LBB100_6:
	s_waitcnt lgkmcnt(0)
	v_cmp_neq_f64_e32 vcc, 0, v[204:205]
	v_cmp_neq_f64_e64 s[0:1], 0, v[206:207]
	s_or_b64 s[16:17], vcc, s[0:1]
	v_mov_b32_e32 v218, 1
	v_mov_b32_e32 v221, 1
	s_and_saveexec_b64 s[0:1], s[16:17]
	s_cbranch_execz .LBB100_12
; %bb.7:
	v_cmp_ngt_f64_e64 s[16:17], |v[204:205]|, |v[206:207]|
	s_and_saveexec_b64 s[18:19], s[16:17]
	s_xor_b64 s[16:17], exec, s[18:19]
	s_cbranch_execz .LBB100_9
; %bb.8:
	v_div_scale_f64 v[222:223], s[18:19], v[206:207], v[206:207], v[204:205]
	v_rcp_f64_e32 v[224:225], v[222:223]
	v_div_scale_f64 v[226:227], vcc, v[204:205], v[206:207], v[204:205]
	v_fma_f64 v[228:229], -v[222:223], v[224:225], 1.0
	v_fmac_f64_e32 v[224:225], v[224:225], v[228:229]
	v_fma_f64 v[228:229], -v[222:223], v[224:225], 1.0
	v_fmac_f64_e32 v[224:225], v[224:225], v[228:229]
	v_mul_f64 v[228:229], v[226:227], v[224:225]
	v_fma_f64 v[222:223], -v[222:223], v[228:229], v[226:227]
	v_div_fmas_f64 v[222:223], v[222:223], v[224:225], v[228:229]
	v_div_fixup_f64 v[222:223], v[222:223], v[206:207], v[204:205]
	v_fmac_f64_e32 v[206:207], v[204:205], v[222:223]
	v_div_scale_f64 v[204:205], s[18:19], v[206:207], v[206:207], 1.0
	v_rcp_f64_e32 v[224:225], v[204:205]
	s_nop 0
	v_fma_f64 v[226:227], -v[204:205], v[224:225], 1.0
	v_fmac_f64_e32 v[224:225], v[224:225], v[226:227]
	v_fma_f64 v[226:227], -v[204:205], v[224:225], 1.0
	v_fmac_f64_e32 v[224:225], v[224:225], v[226:227]
	v_div_scale_f64 v[226:227], vcc, 1.0, v[206:207], 1.0
	v_mul_f64 v[228:229], v[226:227], v[224:225]
	v_fma_f64 v[204:205], -v[204:205], v[228:229], v[226:227]
	s_nop 1
	v_div_fmas_f64 v[204:205], v[204:205], v[224:225], v[228:229]
	v_div_fixup_f64 v[206:207], v[204:205], v[206:207], 1.0
	v_mul_f64 v[204:205], v[222:223], v[206:207]
	v_xor_b32_e32 v207, 0x80000000, v207
.LBB100_9:
	s_andn2_saveexec_b64 s[16:17], s[16:17]
	s_cbranch_execz .LBB100_11
; %bb.10:
	v_div_scale_f64 v[222:223], s[18:19], v[204:205], v[204:205], v[206:207]
	v_rcp_f64_e32 v[224:225], v[222:223]
	v_div_scale_f64 v[226:227], vcc, v[206:207], v[204:205], v[206:207]
	v_fma_f64 v[228:229], -v[222:223], v[224:225], 1.0
	v_fmac_f64_e32 v[224:225], v[224:225], v[228:229]
	v_fma_f64 v[228:229], -v[222:223], v[224:225], 1.0
	v_fmac_f64_e32 v[224:225], v[224:225], v[228:229]
	v_mul_f64 v[228:229], v[226:227], v[224:225]
	v_fma_f64 v[222:223], -v[222:223], v[228:229], v[226:227]
	v_div_fmas_f64 v[222:223], v[222:223], v[224:225], v[228:229]
	v_div_fixup_f64 v[222:223], v[222:223], v[204:205], v[206:207]
	v_fmac_f64_e32 v[204:205], v[206:207], v[222:223]
	v_div_scale_f64 v[206:207], s[18:19], v[204:205], v[204:205], 1.0
	v_rcp_f64_e32 v[224:225], v[206:207]
	s_nop 0
	v_fma_f64 v[226:227], -v[206:207], v[224:225], 1.0
	v_fmac_f64_e32 v[224:225], v[224:225], v[226:227]
	v_fma_f64 v[226:227], -v[206:207], v[224:225], 1.0
	v_fmac_f64_e32 v[224:225], v[224:225], v[226:227]
	v_div_scale_f64 v[226:227], vcc, 1.0, v[204:205], 1.0
	v_mul_f64 v[228:229], v[226:227], v[224:225]
	v_fma_f64 v[206:207], -v[206:207], v[228:229], v[226:227]
	s_nop 1
	v_div_fmas_f64 v[206:207], v[206:207], v[224:225], v[228:229]
	v_div_fixup_f64 v[204:205], v[206:207], v[204:205], 1.0
	v_mul_f64 v[206:207], v[222:223], -v[204:205]
.LBB100_11:
	s_or_b64 exec, exec, s[16:17]
	v_mov_b32_e32 v221, 0
	v_mov_b32_e32 v218, 2
.LBB100_12:
	s_or_b64 exec, exec, s[0:1]
	v_cmp_ne_u32_e32 vcc, v219, v215
	s_and_saveexec_b64 s[0:1], vcc
	s_xor_b64 s[0:1], exec, s[0:1]
	s_cbranch_execz .LBB100_18
; %bb.13:
	v_cmp_eq_u32_e32 vcc, 0, v219
	s_and_saveexec_b64 s[16:17], vcc
	s_cbranch_execz .LBB100_17
; %bb.14:
	v_cmp_ne_u32_e32 vcc, 0, v215
	s_xor_b64 s[18:19], s[14:15], -1
	s_and_b64 s[22:23], s[18:19], vcc
	s_and_saveexec_b64 s[18:19], s[22:23]
	s_cbranch_execz .LBB100_16
; %bb.15:
	v_ashrrev_i32_e32 v223, 31, v215
	v_mov_b32_e32 v222, v215
	v_lshl_add_u64 v[222:223], v[222:223], 2, v[212:213]
	global_load_dword v214, v[222:223], off
	global_load_dword v217, v[212:213], off
	s_waitcnt vmcnt(1)
	global_store_dword v[212:213], v214, off
	s_waitcnt vmcnt(1)
	global_store_dword v[222:223], v217, off
.LBB100_16:
	s_or_b64 exec, exec, s[18:19]
	v_mov_b32_e32 v219, v215
.LBB100_17:
	s_or_b64 exec, exec, s[16:17]
.LBB100_18:
	s_or_saveexec_b64 s[0:1], s[0:1]
	v_mov_b32_e32 v217, v219
	s_xor_b64 exec, exec, s[0:1]
	s_cbranch_execz .LBB100_20
; %bb.19:
	v_mov_b32_e32 v217, 0
	s_waitcnt vmcnt(49)
	ds_write2_b64 v216, v[132:133], v[134:135] offset0:2 offset1:3
	s_waitcnt vmcnt(48)
	ds_write2_b64 v216, v[196:197], v[198:199] offset0:4 offset1:5
	;; [unrolled: 2-line block ×50, first 2 shown]
.LBB100_20:
	s_or_b64 exec, exec, s[0:1]
	v_cmp_lt_i32_e32 vcc, 0, v217
	s_waitcnt lgkmcnt(0)
	s_barrier
	s_and_saveexec_b64 s[0:1], vcc
	s_cbranch_execz .LBB100_22
; %bb.21:
	ds_read2_b64 v[222:225], v216 offset0:2 offset1:3
	v_mul_f64 v[214:215], v[206:207], v[138:139]
	v_mul_f64 v[138:139], v[204:205], v[138:139]
	v_fma_f64 v[214:215], v[204:205], v[136:137], -v[214:215]
	v_fmac_f64_e32 v[138:139], v[206:207], v[136:137]
	ds_read2_b64 v[204:207], v216 offset0:4 offset1:5
	s_waitcnt lgkmcnt(1)
	v_mul_f64 v[136:137], v[224:225], v[138:139]
	v_fma_f64 v[136:137], v[222:223], v[214:215], -v[136:137]
	v_mul_f64 v[222:223], v[222:223], v[138:139]
	v_fmac_f64_e32 v[222:223], v[224:225], v[214:215]
	s_waitcnt vmcnt(49)
	v_add_f64 v[132:133], v[132:133], -v[136:137]
	s_waitcnt lgkmcnt(0)
	v_mul_f64 v[136:137], v[206:207], v[138:139]
	v_add_f64 v[134:135], v[134:135], -v[222:223]
	v_fma_f64 v[136:137], v[204:205], v[214:215], -v[136:137]
	v_mul_f64 v[204:205], v[204:205], v[138:139]
	ds_read2_b64 v[222:225], v216 offset0:6 offset1:7
	v_fmac_f64_e32 v[204:205], v[206:207], v[214:215]
	s_waitcnt vmcnt(48)
	v_add_f64 v[198:199], v[198:199], -v[204:205]
	ds_read2_b64 v[204:207], v216 offset0:8 offset1:9
	v_add_f64 v[196:197], v[196:197], -v[136:137]
	s_waitcnt lgkmcnt(1)
	v_mul_f64 v[136:137], v[224:225], v[138:139]
	v_fma_f64 v[136:137], v[222:223], v[214:215], -v[136:137]
	v_mul_f64 v[222:223], v[222:223], v[138:139]
	v_fmac_f64_e32 v[222:223], v[224:225], v[214:215]
	s_waitcnt vmcnt(47)
	v_add_f64 v[192:193], v[192:193], -v[136:137]
	s_waitcnt lgkmcnt(0)
	v_mul_f64 v[136:137], v[206:207], v[138:139]
	v_add_f64 v[194:195], v[194:195], -v[222:223]
	v_fma_f64 v[136:137], v[204:205], v[214:215], -v[136:137]
	v_mul_f64 v[204:205], v[204:205], v[138:139]
	ds_read2_b64 v[222:225], v216 offset0:10 offset1:11
	v_fmac_f64_e32 v[204:205], v[206:207], v[214:215]
	s_waitcnt vmcnt(46)
	v_add_f64 v[190:191], v[190:191], -v[204:205]
	ds_read2_b64 v[204:207], v216 offset0:12 offset1:13
	v_add_f64 v[188:189], v[188:189], -v[136:137]
	s_waitcnt lgkmcnt(1)
	v_mul_f64 v[136:137], v[224:225], v[138:139]
	v_fma_f64 v[136:137], v[222:223], v[214:215], -v[136:137]
	v_mul_f64 v[222:223], v[222:223], v[138:139]
	v_fmac_f64_e32 v[222:223], v[224:225], v[214:215]
	s_waitcnt vmcnt(45)
	v_add_f64 v[184:185], v[184:185], -v[136:137]
	s_waitcnt lgkmcnt(0)
	v_mul_f64 v[136:137], v[206:207], v[138:139]
	v_add_f64 v[186:187], v[186:187], -v[222:223]
	v_fma_f64 v[136:137], v[204:205], v[214:215], -v[136:137]
	v_mul_f64 v[204:205], v[204:205], v[138:139]
	ds_read2_b64 v[222:225], v216 offset0:14 offset1:15
	v_fmac_f64_e32 v[204:205], v[206:207], v[214:215]
	s_waitcnt vmcnt(44)
	v_add_f64 v[182:183], v[182:183], -v[204:205]
	ds_read2_b64 v[204:207], v216 offset0:16 offset1:17
	v_add_f64 v[180:181], v[180:181], -v[136:137]
	s_waitcnt lgkmcnt(1)
	v_mul_f64 v[136:137], v[224:225], v[138:139]
	v_fma_f64 v[136:137], v[222:223], v[214:215], -v[136:137]
	v_mul_f64 v[222:223], v[222:223], v[138:139]
	v_fmac_f64_e32 v[222:223], v[224:225], v[214:215]
	s_waitcnt vmcnt(43)
	v_add_f64 v[176:177], v[176:177], -v[136:137]
	s_waitcnt lgkmcnt(0)
	v_mul_f64 v[136:137], v[206:207], v[138:139]
	v_add_f64 v[178:179], v[178:179], -v[222:223]
	v_fma_f64 v[136:137], v[204:205], v[214:215], -v[136:137]
	v_mul_f64 v[204:205], v[204:205], v[138:139]
	ds_read2_b64 v[222:225], v216 offset0:18 offset1:19
	v_fmac_f64_e32 v[204:205], v[206:207], v[214:215]
	s_waitcnt vmcnt(42)
	v_add_f64 v[174:175], v[174:175], -v[204:205]
	ds_read2_b64 v[204:207], v216 offset0:20 offset1:21
	v_add_f64 v[172:173], v[172:173], -v[136:137]
	s_waitcnt lgkmcnt(1)
	v_mul_f64 v[136:137], v[224:225], v[138:139]
	v_fma_f64 v[136:137], v[222:223], v[214:215], -v[136:137]
	v_mul_f64 v[222:223], v[222:223], v[138:139]
	v_fmac_f64_e32 v[222:223], v[224:225], v[214:215]
	s_waitcnt vmcnt(41)
	v_add_f64 v[168:169], v[168:169], -v[136:137]
	s_waitcnt lgkmcnt(0)
	v_mul_f64 v[136:137], v[206:207], v[138:139]
	v_add_f64 v[170:171], v[170:171], -v[222:223]
	v_fma_f64 v[136:137], v[204:205], v[214:215], -v[136:137]
	v_mul_f64 v[204:205], v[204:205], v[138:139]
	ds_read2_b64 v[222:225], v216 offset0:22 offset1:23
	v_fmac_f64_e32 v[204:205], v[206:207], v[214:215]
	s_waitcnt vmcnt(40)
	v_add_f64 v[166:167], v[166:167], -v[204:205]
	ds_read2_b64 v[204:207], v216 offset0:24 offset1:25
	v_add_f64 v[164:165], v[164:165], -v[136:137]
	s_waitcnt lgkmcnt(1)
	v_mul_f64 v[136:137], v[224:225], v[138:139]
	v_fma_f64 v[136:137], v[222:223], v[214:215], -v[136:137]
	v_mul_f64 v[222:223], v[222:223], v[138:139]
	v_fmac_f64_e32 v[222:223], v[224:225], v[214:215]
	s_waitcnt vmcnt(39)
	v_add_f64 v[160:161], v[160:161], -v[136:137]
	s_waitcnt lgkmcnt(0)
	v_mul_f64 v[136:137], v[206:207], v[138:139]
	v_add_f64 v[162:163], v[162:163], -v[222:223]
	v_fma_f64 v[136:137], v[204:205], v[214:215], -v[136:137]
	v_mul_f64 v[204:205], v[204:205], v[138:139]
	ds_read2_b64 v[222:225], v216 offset0:26 offset1:27
	v_fmac_f64_e32 v[204:205], v[206:207], v[214:215]
	s_waitcnt vmcnt(38)
	v_add_f64 v[158:159], v[158:159], -v[204:205]
	ds_read2_b64 v[204:207], v216 offset0:28 offset1:29
	v_add_f64 v[156:157], v[156:157], -v[136:137]
	s_waitcnt lgkmcnt(1)
	v_mul_f64 v[136:137], v[224:225], v[138:139]
	v_fma_f64 v[136:137], v[222:223], v[214:215], -v[136:137]
	v_mul_f64 v[222:223], v[222:223], v[138:139]
	v_fmac_f64_e32 v[222:223], v[224:225], v[214:215]
	s_waitcnt vmcnt(37)
	v_add_f64 v[152:153], v[152:153], -v[136:137]
	s_waitcnt lgkmcnt(0)
	v_mul_f64 v[136:137], v[206:207], v[138:139]
	v_add_f64 v[154:155], v[154:155], -v[222:223]
	v_fma_f64 v[136:137], v[204:205], v[214:215], -v[136:137]
	v_mul_f64 v[204:205], v[204:205], v[138:139]
	ds_read2_b64 v[222:225], v216 offset0:30 offset1:31
	v_fmac_f64_e32 v[204:205], v[206:207], v[214:215]
	s_waitcnt vmcnt(36)
	v_add_f64 v[150:151], v[150:151], -v[204:205]
	ds_read2_b64 v[204:207], v216 offset0:32 offset1:33
	v_add_f64 v[148:149], v[148:149], -v[136:137]
	s_waitcnt lgkmcnt(1)
	v_mul_f64 v[136:137], v[224:225], v[138:139]
	v_fma_f64 v[136:137], v[222:223], v[214:215], -v[136:137]
	v_mul_f64 v[222:223], v[222:223], v[138:139]
	v_fmac_f64_e32 v[222:223], v[224:225], v[214:215]
	s_waitcnt vmcnt(35)
	v_add_f64 v[144:145], v[144:145], -v[136:137]
	s_waitcnt lgkmcnt(0)
	v_mul_f64 v[136:137], v[206:207], v[138:139]
	v_add_f64 v[146:147], v[146:147], -v[222:223]
	v_fma_f64 v[136:137], v[204:205], v[214:215], -v[136:137]
	v_mul_f64 v[204:205], v[204:205], v[138:139]
	ds_read2_b64 v[222:225], v216 offset0:34 offset1:35
	v_fmac_f64_e32 v[204:205], v[206:207], v[214:215]
	s_waitcnt vmcnt(34)
	v_add_f64 v[142:143], v[142:143], -v[204:205]
	ds_read2_b64 v[204:207], v216 offset0:36 offset1:37
	v_add_f64 v[140:141], v[140:141], -v[136:137]
	s_waitcnt lgkmcnt(1)
	v_mul_f64 v[136:137], v[224:225], v[138:139]
	v_fma_f64 v[136:137], v[222:223], v[214:215], -v[136:137]
	v_mul_f64 v[222:223], v[222:223], v[138:139]
	v_fmac_f64_e32 v[222:223], v[224:225], v[214:215]
	s_waitcnt vmcnt(33)
	v_add_f64 v[128:129], v[128:129], -v[136:137]
	s_waitcnt lgkmcnt(0)
	v_mul_f64 v[136:137], v[206:207], v[138:139]
	v_add_f64 v[130:131], v[130:131], -v[222:223]
	v_fma_f64 v[136:137], v[204:205], v[214:215], -v[136:137]
	v_mul_f64 v[204:205], v[204:205], v[138:139]
	ds_read2_b64 v[222:225], v216 offset0:38 offset1:39
	v_fmac_f64_e32 v[204:205], v[206:207], v[214:215]
	s_waitcnt vmcnt(32)
	v_add_f64 v[126:127], v[126:127], -v[204:205]
	ds_read2_b64 v[204:207], v216 offset0:40 offset1:41
	v_add_f64 v[124:125], v[124:125], -v[136:137]
	s_waitcnt lgkmcnt(1)
	v_mul_f64 v[136:137], v[224:225], v[138:139]
	v_fma_f64 v[136:137], v[222:223], v[214:215], -v[136:137]
	v_mul_f64 v[222:223], v[222:223], v[138:139]
	v_fmac_f64_e32 v[222:223], v[224:225], v[214:215]
	s_waitcnt vmcnt(31)
	v_add_f64 v[120:121], v[120:121], -v[136:137]
	s_waitcnt lgkmcnt(0)
	v_mul_f64 v[136:137], v[206:207], v[138:139]
	v_add_f64 v[122:123], v[122:123], -v[222:223]
	v_fma_f64 v[136:137], v[204:205], v[214:215], -v[136:137]
	v_mul_f64 v[204:205], v[204:205], v[138:139]
	ds_read2_b64 v[222:225], v216 offset0:42 offset1:43
	v_fmac_f64_e32 v[204:205], v[206:207], v[214:215]
	s_waitcnt vmcnt(30)
	v_add_f64 v[118:119], v[118:119], -v[204:205]
	ds_read2_b64 v[204:207], v216 offset0:44 offset1:45
	v_add_f64 v[116:117], v[116:117], -v[136:137]
	s_waitcnt lgkmcnt(1)
	v_mul_f64 v[136:137], v[224:225], v[138:139]
	v_fma_f64 v[136:137], v[222:223], v[214:215], -v[136:137]
	v_mul_f64 v[222:223], v[222:223], v[138:139]
	v_fmac_f64_e32 v[222:223], v[224:225], v[214:215]
	s_waitcnt vmcnt(29)
	v_add_f64 v[112:113], v[112:113], -v[136:137]
	s_waitcnt lgkmcnt(0)
	v_mul_f64 v[136:137], v[206:207], v[138:139]
	v_add_f64 v[114:115], v[114:115], -v[222:223]
	v_fma_f64 v[136:137], v[204:205], v[214:215], -v[136:137]
	v_mul_f64 v[204:205], v[204:205], v[138:139]
	ds_read2_b64 v[222:225], v216 offset0:46 offset1:47
	v_fmac_f64_e32 v[204:205], v[206:207], v[214:215]
	s_waitcnt vmcnt(28)
	v_add_f64 v[110:111], v[110:111], -v[204:205]
	ds_read2_b64 v[204:207], v216 offset0:48 offset1:49
	v_add_f64 v[108:109], v[108:109], -v[136:137]
	s_waitcnt lgkmcnt(1)
	v_mul_f64 v[136:137], v[224:225], v[138:139]
	v_fma_f64 v[136:137], v[222:223], v[214:215], -v[136:137]
	v_mul_f64 v[222:223], v[222:223], v[138:139]
	v_fmac_f64_e32 v[222:223], v[224:225], v[214:215]
	s_waitcnt vmcnt(27)
	v_add_f64 v[104:105], v[104:105], -v[136:137]
	s_waitcnt lgkmcnt(0)
	v_mul_f64 v[136:137], v[206:207], v[138:139]
	v_add_f64 v[106:107], v[106:107], -v[222:223]
	v_fma_f64 v[136:137], v[204:205], v[214:215], -v[136:137]
	v_mul_f64 v[204:205], v[204:205], v[138:139]
	ds_read2_b64 v[222:225], v216 offset0:50 offset1:51
	v_fmac_f64_e32 v[204:205], v[206:207], v[214:215]
	s_waitcnt vmcnt(26)
	v_add_f64 v[102:103], v[102:103], -v[204:205]
	ds_read2_b64 v[204:207], v216 offset0:52 offset1:53
	v_add_f64 v[100:101], v[100:101], -v[136:137]
	s_waitcnt lgkmcnt(1)
	v_mul_f64 v[136:137], v[224:225], v[138:139]
	v_fma_f64 v[136:137], v[222:223], v[214:215], -v[136:137]
	v_mul_f64 v[222:223], v[222:223], v[138:139]
	v_fmac_f64_e32 v[222:223], v[224:225], v[214:215]
	s_waitcnt vmcnt(25)
	v_add_f64 v[96:97], v[96:97], -v[136:137]
	s_waitcnt lgkmcnt(0)
	v_mul_f64 v[136:137], v[206:207], v[138:139]
	v_add_f64 v[98:99], v[98:99], -v[222:223]
	v_fma_f64 v[136:137], v[204:205], v[214:215], -v[136:137]
	v_mul_f64 v[204:205], v[204:205], v[138:139]
	ds_read2_b64 v[222:225], v216 offset0:54 offset1:55
	v_fmac_f64_e32 v[204:205], v[206:207], v[214:215]
	s_waitcnt vmcnt(24)
	v_add_f64 v[94:95], v[94:95], -v[204:205]
	ds_read2_b64 v[204:207], v216 offset0:56 offset1:57
	v_add_f64 v[92:93], v[92:93], -v[136:137]
	s_waitcnt lgkmcnt(1)
	v_mul_f64 v[136:137], v[224:225], v[138:139]
	v_fma_f64 v[136:137], v[222:223], v[214:215], -v[136:137]
	v_mul_f64 v[222:223], v[222:223], v[138:139]
	v_fmac_f64_e32 v[222:223], v[224:225], v[214:215]
	s_waitcnt vmcnt(23)
	v_add_f64 v[88:89], v[88:89], -v[136:137]
	s_waitcnt lgkmcnt(0)
	v_mul_f64 v[136:137], v[206:207], v[138:139]
	v_add_f64 v[90:91], v[90:91], -v[222:223]
	v_fma_f64 v[136:137], v[204:205], v[214:215], -v[136:137]
	v_mul_f64 v[204:205], v[204:205], v[138:139]
	ds_read2_b64 v[222:225], v216 offset0:58 offset1:59
	v_fmac_f64_e32 v[204:205], v[206:207], v[214:215]
	s_waitcnt vmcnt(22)
	v_add_f64 v[86:87], v[86:87], -v[204:205]
	ds_read2_b64 v[204:207], v216 offset0:60 offset1:61
	v_add_f64 v[84:85], v[84:85], -v[136:137]
	s_waitcnt lgkmcnt(1)
	v_mul_f64 v[136:137], v[224:225], v[138:139]
	v_fma_f64 v[136:137], v[222:223], v[214:215], -v[136:137]
	v_mul_f64 v[222:223], v[222:223], v[138:139]
	v_fmac_f64_e32 v[222:223], v[224:225], v[214:215]
	s_waitcnt vmcnt(21)
	v_add_f64 v[80:81], v[80:81], -v[136:137]
	s_waitcnt lgkmcnt(0)
	v_mul_f64 v[136:137], v[206:207], v[138:139]
	v_add_f64 v[82:83], v[82:83], -v[222:223]
	v_fma_f64 v[136:137], v[204:205], v[214:215], -v[136:137]
	v_mul_f64 v[204:205], v[204:205], v[138:139]
	ds_read2_b64 v[222:225], v216 offset0:62 offset1:63
	v_fmac_f64_e32 v[204:205], v[206:207], v[214:215]
	s_waitcnt vmcnt(20)
	v_add_f64 v[78:79], v[78:79], -v[204:205]
	ds_read2_b64 v[204:207], v216 offset0:64 offset1:65
	v_add_f64 v[76:77], v[76:77], -v[136:137]
	s_waitcnt lgkmcnt(1)
	v_mul_f64 v[136:137], v[224:225], v[138:139]
	v_fma_f64 v[136:137], v[222:223], v[214:215], -v[136:137]
	v_mul_f64 v[222:223], v[222:223], v[138:139]
	v_fmac_f64_e32 v[222:223], v[224:225], v[214:215]
	s_waitcnt vmcnt(19)
	v_add_f64 v[72:73], v[72:73], -v[136:137]
	s_waitcnt lgkmcnt(0)
	v_mul_f64 v[136:137], v[206:207], v[138:139]
	v_add_f64 v[74:75], v[74:75], -v[222:223]
	v_fma_f64 v[136:137], v[204:205], v[214:215], -v[136:137]
	v_mul_f64 v[204:205], v[204:205], v[138:139]
	ds_read2_b64 v[222:225], v216 offset0:66 offset1:67
	v_fmac_f64_e32 v[204:205], v[206:207], v[214:215]
	s_waitcnt vmcnt(18)
	v_add_f64 v[70:71], v[70:71], -v[204:205]
	ds_read2_b64 v[204:207], v216 offset0:68 offset1:69
	v_add_f64 v[68:69], v[68:69], -v[136:137]
	s_waitcnt lgkmcnt(1)
	v_mul_f64 v[136:137], v[224:225], v[138:139]
	v_fma_f64 v[136:137], v[222:223], v[214:215], -v[136:137]
	v_mul_f64 v[222:223], v[222:223], v[138:139]
	v_fmac_f64_e32 v[222:223], v[224:225], v[214:215]
	s_waitcnt vmcnt(17)
	v_add_f64 v[64:65], v[64:65], -v[136:137]
	s_waitcnt lgkmcnt(0)
	v_mul_f64 v[136:137], v[206:207], v[138:139]
	v_add_f64 v[66:67], v[66:67], -v[222:223]
	v_fma_f64 v[136:137], v[204:205], v[214:215], -v[136:137]
	v_mul_f64 v[204:205], v[204:205], v[138:139]
	ds_read2_b64 v[222:225], v216 offset0:70 offset1:71
	v_fmac_f64_e32 v[204:205], v[206:207], v[214:215]
	s_waitcnt vmcnt(16)
	v_add_f64 v[62:63], v[62:63], -v[204:205]
	ds_read2_b64 v[204:207], v216 offset0:72 offset1:73
	v_add_f64 v[60:61], v[60:61], -v[136:137]
	s_waitcnt lgkmcnt(1)
	v_mul_f64 v[136:137], v[224:225], v[138:139]
	v_fma_f64 v[136:137], v[222:223], v[214:215], -v[136:137]
	v_mul_f64 v[222:223], v[222:223], v[138:139]
	v_fmac_f64_e32 v[222:223], v[224:225], v[214:215]
	s_waitcnt vmcnt(15)
	v_add_f64 v[56:57], v[56:57], -v[136:137]
	s_waitcnt lgkmcnt(0)
	v_mul_f64 v[136:137], v[206:207], v[138:139]
	v_add_f64 v[58:59], v[58:59], -v[222:223]
	v_fma_f64 v[136:137], v[204:205], v[214:215], -v[136:137]
	v_mul_f64 v[204:205], v[204:205], v[138:139]
	ds_read2_b64 v[222:225], v216 offset0:74 offset1:75
	v_fmac_f64_e32 v[204:205], v[206:207], v[214:215]
	s_waitcnt vmcnt(14)
	v_add_f64 v[54:55], v[54:55], -v[204:205]
	ds_read2_b64 v[204:207], v216 offset0:76 offset1:77
	v_add_f64 v[52:53], v[52:53], -v[136:137]
	s_waitcnt lgkmcnt(1)
	v_mul_f64 v[136:137], v[224:225], v[138:139]
	v_fma_f64 v[136:137], v[222:223], v[214:215], -v[136:137]
	v_mul_f64 v[222:223], v[222:223], v[138:139]
	v_fmac_f64_e32 v[222:223], v[224:225], v[214:215]
	s_waitcnt vmcnt(13)
	v_add_f64 v[48:49], v[48:49], -v[136:137]
	s_waitcnt lgkmcnt(0)
	v_mul_f64 v[136:137], v[206:207], v[138:139]
	v_add_f64 v[50:51], v[50:51], -v[222:223]
	v_fma_f64 v[136:137], v[204:205], v[214:215], -v[136:137]
	v_mul_f64 v[204:205], v[204:205], v[138:139]
	ds_read2_b64 v[222:225], v216 offset0:78 offset1:79
	v_fmac_f64_e32 v[204:205], v[206:207], v[214:215]
	s_waitcnt vmcnt(12)
	v_add_f64 v[46:47], v[46:47], -v[204:205]
	ds_read2_b64 v[204:207], v216 offset0:80 offset1:81
	v_add_f64 v[44:45], v[44:45], -v[136:137]
	s_waitcnt lgkmcnt(1)
	v_mul_f64 v[136:137], v[224:225], v[138:139]
	v_fma_f64 v[136:137], v[222:223], v[214:215], -v[136:137]
	v_mul_f64 v[222:223], v[222:223], v[138:139]
	v_fmac_f64_e32 v[222:223], v[224:225], v[214:215]
	s_waitcnt vmcnt(11)
	v_add_f64 v[40:41], v[40:41], -v[136:137]
	s_waitcnt lgkmcnt(0)
	v_mul_f64 v[136:137], v[206:207], v[138:139]
	v_add_f64 v[42:43], v[42:43], -v[222:223]
	v_fma_f64 v[136:137], v[204:205], v[214:215], -v[136:137]
	v_mul_f64 v[204:205], v[204:205], v[138:139]
	ds_read2_b64 v[222:225], v216 offset0:82 offset1:83
	v_fmac_f64_e32 v[204:205], v[206:207], v[214:215]
	s_waitcnt vmcnt(10)
	v_add_f64 v[38:39], v[38:39], -v[204:205]
	ds_read2_b64 v[204:207], v216 offset0:84 offset1:85
	v_add_f64 v[36:37], v[36:37], -v[136:137]
	s_waitcnt lgkmcnt(1)
	v_mul_f64 v[136:137], v[224:225], v[138:139]
	v_fma_f64 v[136:137], v[222:223], v[214:215], -v[136:137]
	v_mul_f64 v[222:223], v[222:223], v[138:139]
	v_fmac_f64_e32 v[222:223], v[224:225], v[214:215]
	s_waitcnt vmcnt(9)
	v_add_f64 v[32:33], v[32:33], -v[136:137]
	s_waitcnt lgkmcnt(0)
	v_mul_f64 v[136:137], v[206:207], v[138:139]
	v_add_f64 v[34:35], v[34:35], -v[222:223]
	v_fma_f64 v[136:137], v[204:205], v[214:215], -v[136:137]
	v_mul_f64 v[204:205], v[204:205], v[138:139]
	ds_read2_b64 v[222:225], v216 offset0:86 offset1:87
	v_fmac_f64_e32 v[204:205], v[206:207], v[214:215]
	s_waitcnt vmcnt(8)
	v_add_f64 v[30:31], v[30:31], -v[204:205]
	ds_read2_b64 v[204:207], v216 offset0:88 offset1:89
	v_add_f64 v[28:29], v[28:29], -v[136:137]
	s_waitcnt lgkmcnt(1)
	v_mul_f64 v[136:137], v[224:225], v[138:139]
	v_fma_f64 v[136:137], v[222:223], v[214:215], -v[136:137]
	v_mul_f64 v[222:223], v[222:223], v[138:139]
	v_fmac_f64_e32 v[222:223], v[224:225], v[214:215]
	s_waitcnt vmcnt(7)
	v_add_f64 v[24:25], v[24:25], -v[136:137]
	s_waitcnt lgkmcnt(0)
	v_mul_f64 v[136:137], v[206:207], v[138:139]
	v_add_f64 v[26:27], v[26:27], -v[222:223]
	v_fma_f64 v[136:137], v[204:205], v[214:215], -v[136:137]
	v_mul_f64 v[204:205], v[204:205], v[138:139]
	ds_read2_b64 v[222:225], v216 offset0:90 offset1:91
	v_fmac_f64_e32 v[204:205], v[206:207], v[214:215]
	s_waitcnt vmcnt(6)
	v_add_f64 v[22:23], v[22:23], -v[204:205]
	ds_read2_b64 v[204:207], v216 offset0:92 offset1:93
	v_add_f64 v[20:21], v[20:21], -v[136:137]
	s_waitcnt lgkmcnt(1)
	v_mul_f64 v[136:137], v[224:225], v[138:139]
	v_fma_f64 v[136:137], v[222:223], v[214:215], -v[136:137]
	v_mul_f64 v[222:223], v[222:223], v[138:139]
	v_fmac_f64_e32 v[222:223], v[224:225], v[214:215]
	s_waitcnt vmcnt(5)
	v_add_f64 v[16:17], v[16:17], -v[136:137]
	s_waitcnt lgkmcnt(0)
	v_mul_f64 v[136:137], v[206:207], v[138:139]
	v_add_f64 v[18:19], v[18:19], -v[222:223]
	v_fma_f64 v[136:137], v[204:205], v[214:215], -v[136:137]
	v_mul_f64 v[204:205], v[204:205], v[138:139]
	ds_read2_b64 v[222:225], v216 offset0:94 offset1:95
	v_fmac_f64_e32 v[204:205], v[206:207], v[214:215]
	s_waitcnt vmcnt(4)
	v_add_f64 v[14:15], v[14:15], -v[204:205]
	ds_read2_b64 v[204:207], v216 offset0:96 offset1:97
	v_add_f64 v[12:13], v[12:13], -v[136:137]
	s_waitcnt lgkmcnt(1)
	v_mul_f64 v[136:137], v[224:225], v[138:139]
	v_fma_f64 v[136:137], v[222:223], v[214:215], -v[136:137]
	v_mul_f64 v[222:223], v[222:223], v[138:139]
	v_fmac_f64_e32 v[222:223], v[224:225], v[214:215]
	s_waitcnt vmcnt(3)
	v_add_f64 v[8:9], v[8:9], -v[136:137]
	s_waitcnt lgkmcnt(0)
	v_mul_f64 v[136:137], v[206:207], v[138:139]
	v_add_f64 v[10:11], v[10:11], -v[222:223]
	v_fma_f64 v[136:137], v[204:205], v[214:215], -v[136:137]
	v_mul_f64 v[204:205], v[204:205], v[138:139]
	ds_read2_b64 v[222:225], v216 offset0:98 offset1:99
	v_fmac_f64_e32 v[204:205], v[206:207], v[214:215]
	s_waitcnt vmcnt(2)
	v_add_f64 v[6:7], v[6:7], -v[204:205]
	ds_read2_b64 v[204:207], v216 offset0:100 offset1:101
	v_add_f64 v[4:5], v[4:5], -v[136:137]
	s_waitcnt lgkmcnt(1)
	v_mul_f64 v[136:137], v[224:225], v[138:139]
	v_fma_f64 v[136:137], v[222:223], v[214:215], -v[136:137]
	s_waitcnt vmcnt(1)
	v_add_f64 v[0:1], v[0:1], -v[136:137]
	s_waitcnt lgkmcnt(0)
	v_mul_f64 v[136:137], v[206:207], v[138:139]
	v_mul_f64 v[222:223], v[222:223], v[138:139]
	v_fma_f64 v[136:137], v[204:205], v[214:215], -v[136:137]
	v_mul_f64 v[204:205], v[204:205], v[138:139]
	v_fmac_f64_e32 v[222:223], v[224:225], v[214:215]
	v_fmac_f64_e32 v[204:205], v[206:207], v[214:215]
	v_add_f64 v[2:3], v[2:3], -v[222:223]
	s_waitcnt vmcnt(0)
	v_add_f64 v[200:201], v[200:201], -v[136:137]
	v_add_f64 v[202:203], v[202:203], -v[204:205]
	v_mov_b64_e32 v[136:137], v[214:215]
.LBB100_22:
	s_or_b64 exec, exec, s[0:1]
	v_lshl_add_u32 v204, v217, 4, v216
	s_barrier
	s_waitcnt vmcnt(49)
	ds_write2_b64 v204, v[132:133], v[134:135] offset1:1
	s_waitcnt lgkmcnt(0)
	s_barrier
	ds_read2_b64 v[204:207], v216 offset0:2 offset1:3
	s_cmp_lt_i32 s20, 3
	v_mov_b32_e32 v214, 1
	s_cbranch_scc1 .LBB100_25
; %bb.23:
	v_add3_u32 v215, v220, 0, 32
	s_mov_b32 s16, 2
	v_mov_b32_e32 v214, 1
.LBB100_24:                             ; =>This Inner Loop Header: Depth=1
	ds_read2_b64 v[222:225], v215 offset1:1
	s_waitcnt lgkmcnt(1)
	v_xor_b32_e32 v227, 0x80000000, v205
	v_xor_b32_e32 v229, 0x80000000, v207
	v_cmp_gt_f64_e32 vcc, 0, v[206:207]
	v_cmp_gt_f64_e64 s[0:1], 0, v[204:205]
	v_mov_b32_e32 v226, v204
	v_mov_b32_e32 v228, v206
	v_cndmask_b32_e64 v227, v205, v227, s[0:1]
	v_cndmask_b32_e32 v229, v207, v229, vcc
	v_add_f64 v[226:227], v[226:227], v[228:229]
	s_waitcnt lgkmcnt(0)
	v_xor_b32_e32 v229, 0x80000000, v223
	v_xor_b32_e32 v231, 0x80000000, v225
	v_cmp_gt_f64_e32 vcc, 0, v[224:225]
	v_cmp_gt_f64_e64 s[0:1], 0, v[222:223]
	v_mov_b32_e32 v228, v222
	v_mov_b32_e32 v230, v224
	v_cndmask_b32_e64 v229, v223, v229, s[0:1]
	v_cndmask_b32_e32 v231, v225, v231, vcc
	v_add_f64 v[228:229], v[228:229], v[230:231]
	v_mov_b32_e32 v232, s16
	s_add_i32 s16, s16, 1
	v_cmp_lt_f64_e32 vcc, v[226:227], v[228:229]
	v_add_u32_e32 v215, 16, v215
	s_cmp_lg_u32 s20, s16
	v_cndmask_b32_e32 v205, v205, v223, vcc
	v_cndmask_b32_e32 v204, v204, v222, vcc
	;; [unrolled: 1-line block ×5, first 2 shown]
	s_cbranch_scc1 .LBB100_24
.LBB100_25:
	s_waitcnt lgkmcnt(0)
	v_cmp_neq_f64_e32 vcc, 0, v[204:205]
	v_cmp_neq_f64_e64 s[0:1], 0, v[206:207]
	s_or_b64 s[16:17], vcc, s[0:1]
	s_and_saveexec_b64 s[0:1], s[16:17]
	s_cbranch_execz .LBB100_31
; %bb.26:
	v_cmp_ngt_f64_e64 s[16:17], |v[204:205]|, |v[206:207]|
	s_and_saveexec_b64 s[18:19], s[16:17]
	s_xor_b64 s[16:17], exec, s[18:19]
	s_cbranch_execz .LBB100_28
; %bb.27:
	v_div_scale_f64 v[222:223], s[18:19], v[206:207], v[206:207], v[204:205]
	v_rcp_f64_e32 v[224:225], v[222:223]
	v_div_scale_f64 v[226:227], vcc, v[204:205], v[206:207], v[204:205]
	v_fma_f64 v[228:229], -v[222:223], v[224:225], 1.0
	v_fmac_f64_e32 v[224:225], v[224:225], v[228:229]
	v_fma_f64 v[228:229], -v[222:223], v[224:225], 1.0
	v_fmac_f64_e32 v[224:225], v[224:225], v[228:229]
	v_mul_f64 v[228:229], v[226:227], v[224:225]
	v_fma_f64 v[222:223], -v[222:223], v[228:229], v[226:227]
	v_div_fmas_f64 v[222:223], v[222:223], v[224:225], v[228:229]
	v_div_fixup_f64 v[222:223], v[222:223], v[206:207], v[204:205]
	v_fmac_f64_e32 v[206:207], v[204:205], v[222:223]
	v_div_scale_f64 v[204:205], s[18:19], v[206:207], v[206:207], 1.0
	v_rcp_f64_e32 v[224:225], v[204:205]
	s_nop 0
	v_fma_f64 v[226:227], -v[204:205], v[224:225], 1.0
	v_fmac_f64_e32 v[224:225], v[224:225], v[226:227]
	v_fma_f64 v[226:227], -v[204:205], v[224:225], 1.0
	v_fmac_f64_e32 v[224:225], v[224:225], v[226:227]
	v_div_scale_f64 v[226:227], vcc, 1.0, v[206:207], 1.0
	v_mul_f64 v[228:229], v[226:227], v[224:225]
	v_fma_f64 v[204:205], -v[204:205], v[228:229], v[226:227]
	s_nop 1
	v_div_fmas_f64 v[204:205], v[204:205], v[224:225], v[228:229]
	v_div_fixup_f64 v[206:207], v[204:205], v[206:207], 1.0
	v_mul_f64 v[204:205], v[222:223], v[206:207]
	v_xor_b32_e32 v207, 0x80000000, v207
.LBB100_28:
	s_andn2_saveexec_b64 s[16:17], s[16:17]
	s_cbranch_execz .LBB100_30
; %bb.29:
	v_div_scale_f64 v[222:223], s[18:19], v[204:205], v[204:205], v[206:207]
	v_rcp_f64_e32 v[224:225], v[222:223]
	v_div_scale_f64 v[226:227], vcc, v[206:207], v[204:205], v[206:207]
	v_fma_f64 v[228:229], -v[222:223], v[224:225], 1.0
	v_fmac_f64_e32 v[224:225], v[224:225], v[228:229]
	v_fma_f64 v[228:229], -v[222:223], v[224:225], 1.0
	v_fmac_f64_e32 v[224:225], v[224:225], v[228:229]
	v_mul_f64 v[228:229], v[226:227], v[224:225]
	v_fma_f64 v[222:223], -v[222:223], v[228:229], v[226:227]
	v_div_fmas_f64 v[222:223], v[222:223], v[224:225], v[228:229]
	v_div_fixup_f64 v[222:223], v[222:223], v[204:205], v[206:207]
	v_fmac_f64_e32 v[204:205], v[206:207], v[222:223]
	v_div_scale_f64 v[206:207], s[18:19], v[204:205], v[204:205], 1.0
	v_rcp_f64_e32 v[224:225], v[206:207]
	s_nop 0
	v_fma_f64 v[226:227], -v[206:207], v[224:225], 1.0
	v_fmac_f64_e32 v[224:225], v[224:225], v[226:227]
	v_fma_f64 v[226:227], -v[206:207], v[224:225], 1.0
	v_fmac_f64_e32 v[224:225], v[224:225], v[226:227]
	v_div_scale_f64 v[226:227], vcc, 1.0, v[204:205], 1.0
	v_mul_f64 v[228:229], v[226:227], v[224:225]
	v_fma_f64 v[206:207], -v[206:207], v[228:229], v[226:227]
	s_nop 1
	v_div_fmas_f64 v[206:207], v[206:207], v[224:225], v[228:229]
	v_div_fixup_f64 v[204:205], v[206:207], v[204:205], 1.0
	v_mul_f64 v[206:207], v[222:223], -v[204:205]
.LBB100_30:
	s_or_b64 exec, exec, s[16:17]
	v_mov_b32_e32 v218, v221
.LBB100_31:
	s_or_b64 exec, exec, s[0:1]
	v_cmp_ne_u32_e32 vcc, v217, v214
	s_and_saveexec_b64 s[0:1], vcc
	s_xor_b64 s[0:1], exec, s[0:1]
	s_cbranch_execz .LBB100_37
; %bb.32:
	v_cmp_eq_u32_e32 vcc, 1, v217
	s_and_saveexec_b64 s[16:17], vcc
	s_cbranch_execz .LBB100_36
; %bb.33:
	v_cmp_ne_u32_e32 vcc, 1, v214
	s_xor_b64 s[18:19], s[14:15], -1
	s_and_b64 s[22:23], s[18:19], vcc
	s_and_saveexec_b64 s[18:19], s[22:23]
	s_cbranch_execz .LBB100_35
; %bb.34:
	v_ashrrev_i32_e32 v215, 31, v214
	v_lshl_add_u64 v[222:223], v[214:215], 2, v[212:213]
	global_load_dword v215, v[222:223], off
	global_load_dword v217, v[212:213], off offset:4
	s_waitcnt vmcnt(1)
	global_store_dword v[212:213], v215, off offset:4
	s_waitcnt vmcnt(1)
	global_store_dword v[222:223], v217, off
.LBB100_35:
	s_or_b64 exec, exec, s[18:19]
	v_mov_b32_e32 v217, v214
	v_mov_b32_e32 v219, v214
.LBB100_36:
	s_or_b64 exec, exec, s[16:17]
.LBB100_37:
	s_andn2_saveexec_b64 s[0:1], s[0:1]
	s_cbranch_execz .LBB100_39
; %bb.38:
	v_mov_b32_e32 v217, 1
	s_waitcnt vmcnt(48)
	ds_write2_b64 v216, v[196:197], v[198:199] offset0:4 offset1:5
	s_waitcnt vmcnt(47)
	ds_write2_b64 v216, v[192:193], v[194:195] offset0:6 offset1:7
	;; [unrolled: 2-line block ×49, first 2 shown]
.LBB100_39:
	s_or_b64 exec, exec, s[0:1]
	v_cmp_lt_i32_e32 vcc, 1, v217
	s_waitcnt lgkmcnt(0)
	s_barrier
	s_and_saveexec_b64 s[0:1], vcc
	s_cbranch_execz .LBB100_41
; %bb.40:
	ds_read2_b64 v[222:225], v216 offset0:4 offset1:5
	v_mul_f64 v[214:215], v[206:207], v[134:135]
	v_mul_f64 v[134:135], v[204:205], v[134:135]
	v_fmac_f64_e32 v[134:135], v[206:207], v[132:133]
	v_fma_f64 v[214:215], v[204:205], v[132:133], -v[214:215]
	ds_read2_b64 v[204:207], v216 offset0:6 offset1:7
	s_waitcnt lgkmcnt(1)
	v_mul_f64 v[132:133], v[224:225], v[134:135]
	v_fma_f64 v[132:133], v[222:223], v[214:215], -v[132:133]
	v_mul_f64 v[222:223], v[222:223], v[134:135]
	v_fmac_f64_e32 v[222:223], v[224:225], v[214:215]
	s_waitcnt vmcnt(48)
	v_add_f64 v[198:199], v[198:199], -v[222:223]
	ds_read2_b64 v[222:225], v216 offset0:8 offset1:9
	v_add_f64 v[196:197], v[196:197], -v[132:133]
	s_waitcnt lgkmcnt(1)
	v_mul_f64 v[132:133], v[206:207], v[134:135]
	v_fma_f64 v[132:133], v[204:205], v[214:215], -v[132:133]
	v_mul_f64 v[204:205], v[204:205], v[134:135]
	v_fmac_f64_e32 v[204:205], v[206:207], v[214:215]
	s_waitcnt vmcnt(47)
	v_add_f64 v[192:193], v[192:193], -v[132:133]
	v_add_f64 v[194:195], v[194:195], -v[204:205]
	ds_read2_b64 v[204:207], v216 offset0:10 offset1:11
	s_waitcnt lgkmcnt(1)
	v_mul_f64 v[132:133], v[224:225], v[134:135]
	v_fma_f64 v[132:133], v[222:223], v[214:215], -v[132:133]
	v_mul_f64 v[222:223], v[222:223], v[134:135]
	v_fmac_f64_e32 v[222:223], v[224:225], v[214:215]
	s_waitcnt vmcnt(46)
	v_add_f64 v[190:191], v[190:191], -v[222:223]
	ds_read2_b64 v[222:225], v216 offset0:12 offset1:13
	v_add_f64 v[188:189], v[188:189], -v[132:133]
	s_waitcnt lgkmcnt(1)
	v_mul_f64 v[132:133], v[206:207], v[134:135]
	v_fma_f64 v[132:133], v[204:205], v[214:215], -v[132:133]
	v_mul_f64 v[204:205], v[204:205], v[134:135]
	v_fmac_f64_e32 v[204:205], v[206:207], v[214:215]
	s_waitcnt vmcnt(45)
	v_add_f64 v[184:185], v[184:185], -v[132:133]
	v_add_f64 v[186:187], v[186:187], -v[204:205]
	;; [unrolled: 18-line block ×24, first 2 shown]
	s_waitcnt lgkmcnt(0)
	v_mul_f64 v[132:133], v[224:225], v[134:135]
	v_mul_f64 v[204:205], v[222:223], v[134:135]
	v_fma_f64 v[132:133], v[222:223], v[214:215], -v[132:133]
	v_fmac_f64_e32 v[204:205], v[224:225], v[214:215]
	s_waitcnt vmcnt(0)
	v_add_f64 v[200:201], v[200:201], -v[132:133]
	v_add_f64 v[202:203], v[202:203], -v[204:205]
	v_mov_b64_e32 v[132:133], v[214:215]
.LBB100_41:
	s_or_b64 exec, exec, s[0:1]
	v_lshl_add_u32 v204, v217, 4, v216
	s_barrier
	s_waitcnt vmcnt(48)
	ds_write2_b64 v204, v[196:197], v[198:199] offset1:1
	s_waitcnt lgkmcnt(0)
	s_barrier
	ds_read2_b64 v[204:207], v216 offset0:4 offset1:5
	s_cmp_lt_i32 s20, 4
	v_mov_b32_e32 v214, 2
	s_cbranch_scc1 .LBB100_44
; %bb.42:
	v_add3_u32 v215, v220, 0, 48
	s_mov_b32 s16, 3
	v_mov_b32_e32 v214, 2
.LBB100_43:                             ; =>This Inner Loop Header: Depth=1
	ds_read2_b64 v[222:225], v215 offset1:1
	s_waitcnt lgkmcnt(1)
	v_xor_b32_e32 v221, 0x80000000, v205
	v_xor_b32_e32 v229, 0x80000000, v207
	v_cmp_gt_f64_e32 vcc, 0, v[206:207]
	v_cmp_gt_f64_e64 s[0:1], 0, v[204:205]
	v_mov_b32_e32 v226, v204
	v_mov_b32_e32 v228, v206
	v_cndmask_b32_e64 v227, v205, v221, s[0:1]
	v_cndmask_b32_e32 v229, v207, v229, vcc
	s_waitcnt lgkmcnt(0)
	v_xor_b32_e32 v221, 0x80000000, v223
	v_xor_b32_e32 v231, 0x80000000, v225
	v_cmp_gt_f64_e32 vcc, 0, v[224:225]
	v_cmp_gt_f64_e64 s[0:1], 0, v[222:223]
	v_add_f64 v[226:227], v[226:227], v[228:229]
	v_mov_b32_e32 v228, v222
	v_mov_b32_e32 v230, v224
	v_cndmask_b32_e64 v229, v223, v221, s[0:1]
	v_cndmask_b32_e32 v231, v225, v231, vcc
	v_add_f64 v[228:229], v[228:229], v[230:231]
	v_mov_b32_e32 v232, s16
	s_add_i32 s16, s16, 1
	v_cmp_lt_f64_e32 vcc, v[226:227], v[228:229]
	v_add_u32_e32 v215, 16, v215
	s_cmp_lg_u32 s20, s16
	v_cndmask_b32_e32 v205, v205, v223, vcc
	v_cndmask_b32_e32 v204, v204, v222, vcc
	;; [unrolled: 1-line block ×5, first 2 shown]
	s_cbranch_scc1 .LBB100_43
.LBB100_44:
	s_waitcnt lgkmcnt(0)
	v_cmp_eq_f64_e32 vcc, 0, v[204:205]
	v_cmp_eq_f64_e64 s[0:1], 0, v[206:207]
	s_and_b64 s[0:1], vcc, s[0:1]
	s_and_saveexec_b64 s[16:17], s[0:1]
	s_xor_b64 s[0:1], exec, s[16:17]
; %bb.45:
	v_cmp_ne_u32_e32 vcc, 0, v218
	s_nop 1
	v_cndmask_b32_e32 v218, 3, v218, vcc
; %bb.46:
	s_andn2_saveexec_b64 s[0:1], s[0:1]
	s_cbranch_execz .LBB100_52
; %bb.47:
	v_cmp_ngt_f64_e64 s[16:17], |v[204:205]|, |v[206:207]|
	s_and_saveexec_b64 s[18:19], s[16:17]
	s_xor_b64 s[16:17], exec, s[18:19]
	s_cbranch_execz .LBB100_49
; %bb.48:
	v_div_scale_f64 v[222:223], s[18:19], v[206:207], v[206:207], v[204:205]
	v_rcp_f64_e32 v[224:225], v[222:223]
	v_div_scale_f64 v[226:227], vcc, v[204:205], v[206:207], v[204:205]
	v_fma_f64 v[228:229], -v[222:223], v[224:225], 1.0
	v_fmac_f64_e32 v[224:225], v[224:225], v[228:229]
	v_fma_f64 v[228:229], -v[222:223], v[224:225], 1.0
	v_fmac_f64_e32 v[224:225], v[224:225], v[228:229]
	v_mul_f64 v[228:229], v[226:227], v[224:225]
	v_fma_f64 v[222:223], -v[222:223], v[228:229], v[226:227]
	v_div_fmas_f64 v[222:223], v[222:223], v[224:225], v[228:229]
	v_div_fixup_f64 v[222:223], v[222:223], v[206:207], v[204:205]
	v_fmac_f64_e32 v[206:207], v[204:205], v[222:223]
	v_div_scale_f64 v[204:205], s[18:19], v[206:207], v[206:207], 1.0
	v_rcp_f64_e32 v[224:225], v[204:205]
	s_nop 0
	v_fma_f64 v[226:227], -v[204:205], v[224:225], 1.0
	v_fmac_f64_e32 v[224:225], v[224:225], v[226:227]
	v_fma_f64 v[226:227], -v[204:205], v[224:225], 1.0
	v_fmac_f64_e32 v[224:225], v[224:225], v[226:227]
	v_div_scale_f64 v[226:227], vcc, 1.0, v[206:207], 1.0
	v_mul_f64 v[228:229], v[226:227], v[224:225]
	v_fma_f64 v[204:205], -v[204:205], v[228:229], v[226:227]
	s_nop 1
	v_div_fmas_f64 v[204:205], v[204:205], v[224:225], v[228:229]
	v_div_fixup_f64 v[206:207], v[204:205], v[206:207], 1.0
	v_mul_f64 v[204:205], v[222:223], v[206:207]
	v_xor_b32_e32 v207, 0x80000000, v207
.LBB100_49:
	s_andn2_saveexec_b64 s[16:17], s[16:17]
	s_cbranch_execz .LBB100_51
; %bb.50:
	v_div_scale_f64 v[222:223], s[18:19], v[204:205], v[204:205], v[206:207]
	v_rcp_f64_e32 v[224:225], v[222:223]
	v_div_scale_f64 v[226:227], vcc, v[206:207], v[204:205], v[206:207]
	v_fma_f64 v[228:229], -v[222:223], v[224:225], 1.0
	v_fmac_f64_e32 v[224:225], v[224:225], v[228:229]
	v_fma_f64 v[228:229], -v[222:223], v[224:225], 1.0
	v_fmac_f64_e32 v[224:225], v[224:225], v[228:229]
	v_mul_f64 v[228:229], v[226:227], v[224:225]
	v_fma_f64 v[222:223], -v[222:223], v[228:229], v[226:227]
	v_div_fmas_f64 v[222:223], v[222:223], v[224:225], v[228:229]
	v_div_fixup_f64 v[222:223], v[222:223], v[204:205], v[206:207]
	v_fmac_f64_e32 v[204:205], v[206:207], v[222:223]
	v_div_scale_f64 v[206:207], s[18:19], v[204:205], v[204:205], 1.0
	v_rcp_f64_e32 v[224:225], v[206:207]
	s_nop 0
	v_fma_f64 v[226:227], -v[206:207], v[224:225], 1.0
	v_fmac_f64_e32 v[224:225], v[224:225], v[226:227]
	v_fma_f64 v[226:227], -v[206:207], v[224:225], 1.0
	v_fmac_f64_e32 v[224:225], v[224:225], v[226:227]
	v_div_scale_f64 v[226:227], vcc, 1.0, v[204:205], 1.0
	v_mul_f64 v[228:229], v[226:227], v[224:225]
	v_fma_f64 v[206:207], -v[206:207], v[228:229], v[226:227]
	s_nop 1
	v_div_fmas_f64 v[206:207], v[206:207], v[224:225], v[228:229]
	v_div_fixup_f64 v[204:205], v[206:207], v[204:205], 1.0
	v_mul_f64 v[206:207], v[222:223], -v[204:205]
.LBB100_51:
	s_or_b64 exec, exec, s[16:17]
.LBB100_52:
	s_or_b64 exec, exec, s[0:1]
	v_cmp_ne_u32_e32 vcc, v217, v214
	s_and_saveexec_b64 s[0:1], vcc
	s_xor_b64 s[0:1], exec, s[0:1]
	s_cbranch_execz .LBB100_58
; %bb.53:
	v_cmp_eq_u32_e32 vcc, 2, v217
	s_and_saveexec_b64 s[16:17], vcc
	s_cbranch_execz .LBB100_57
; %bb.54:
	v_cmp_ne_u32_e32 vcc, 2, v214
	s_xor_b64 s[18:19], s[14:15], -1
	s_and_b64 s[22:23], s[18:19], vcc
	s_and_saveexec_b64 s[18:19], s[22:23]
	s_cbranch_execz .LBB100_56
; %bb.55:
	v_ashrrev_i32_e32 v215, 31, v214
	v_lshl_add_u64 v[222:223], v[214:215], 2, v[212:213]
	global_load_dword v215, v[222:223], off
	global_load_dword v217, v[212:213], off offset:8
	s_waitcnt vmcnt(1)
	global_store_dword v[212:213], v215, off offset:8
	s_waitcnt vmcnt(1)
	global_store_dword v[222:223], v217, off
.LBB100_56:
	s_or_b64 exec, exec, s[18:19]
	v_mov_b32_e32 v217, v214
	v_mov_b32_e32 v219, v214
.LBB100_57:
	s_or_b64 exec, exec, s[16:17]
.LBB100_58:
	s_andn2_saveexec_b64 s[0:1], s[0:1]
	s_cbranch_execz .LBB100_60
; %bb.59:
	v_mov_b32_e32 v217, 2
	s_waitcnt vmcnt(47)
	ds_write2_b64 v216, v[192:193], v[194:195] offset0:6 offset1:7
	s_waitcnt vmcnt(46)
	ds_write2_b64 v216, v[188:189], v[190:191] offset0:8 offset1:9
	;; [unrolled: 2-line block ×48, first 2 shown]
.LBB100_60:
	s_or_b64 exec, exec, s[0:1]
	v_cmp_lt_i32_e32 vcc, 2, v217
	s_waitcnt lgkmcnt(0)
	s_barrier
	s_and_saveexec_b64 s[0:1], vcc
	s_cbranch_execz .LBB100_62
; %bb.61:
	ds_read2_b64 v[222:225], v216 offset0:6 offset1:7
	v_mul_f64 v[214:215], v[206:207], v[198:199]
	v_mul_f64 v[198:199], v[204:205], v[198:199]
	v_fma_f64 v[214:215], v[204:205], v[196:197], -v[214:215]
	v_fmac_f64_e32 v[198:199], v[206:207], v[196:197]
	ds_read2_b64 v[204:207], v216 offset0:8 offset1:9
	s_waitcnt lgkmcnt(1)
	v_mul_f64 v[196:197], v[224:225], v[198:199]
	v_fma_f64 v[196:197], v[222:223], v[214:215], -v[196:197]
	v_mul_f64 v[222:223], v[222:223], v[198:199]
	v_fmac_f64_e32 v[222:223], v[224:225], v[214:215]
	s_waitcnt vmcnt(47)
	v_add_f64 v[192:193], v[192:193], -v[196:197]
	s_waitcnt lgkmcnt(0)
	v_mul_f64 v[196:197], v[206:207], v[198:199]
	v_add_f64 v[194:195], v[194:195], -v[222:223]
	v_fma_f64 v[196:197], v[204:205], v[214:215], -v[196:197]
	v_mul_f64 v[204:205], v[204:205], v[198:199]
	ds_read2_b64 v[222:225], v216 offset0:10 offset1:11
	v_fmac_f64_e32 v[204:205], v[206:207], v[214:215]
	s_waitcnt vmcnt(46)
	v_add_f64 v[190:191], v[190:191], -v[204:205]
	ds_read2_b64 v[204:207], v216 offset0:12 offset1:13
	v_add_f64 v[188:189], v[188:189], -v[196:197]
	s_waitcnt lgkmcnt(1)
	v_mul_f64 v[196:197], v[224:225], v[198:199]
	v_fma_f64 v[196:197], v[222:223], v[214:215], -v[196:197]
	v_mul_f64 v[222:223], v[222:223], v[198:199]
	v_fmac_f64_e32 v[222:223], v[224:225], v[214:215]
	s_waitcnt vmcnt(45)
	v_add_f64 v[184:185], v[184:185], -v[196:197]
	s_waitcnt lgkmcnt(0)
	v_mul_f64 v[196:197], v[206:207], v[198:199]
	v_add_f64 v[186:187], v[186:187], -v[222:223]
	v_fma_f64 v[196:197], v[204:205], v[214:215], -v[196:197]
	v_mul_f64 v[204:205], v[204:205], v[198:199]
	ds_read2_b64 v[222:225], v216 offset0:14 offset1:15
	v_fmac_f64_e32 v[204:205], v[206:207], v[214:215]
	s_waitcnt vmcnt(44)
	v_add_f64 v[182:183], v[182:183], -v[204:205]
	ds_read2_b64 v[204:207], v216 offset0:16 offset1:17
	v_add_f64 v[180:181], v[180:181], -v[196:197]
	;; [unrolled: 18-line block ×23, first 2 shown]
	s_waitcnt lgkmcnt(1)
	v_mul_f64 v[196:197], v[224:225], v[198:199]
	v_fma_f64 v[196:197], v[222:223], v[214:215], -v[196:197]
	s_waitcnt vmcnt(1)
	v_add_f64 v[0:1], v[0:1], -v[196:197]
	s_waitcnt lgkmcnt(0)
	v_mul_f64 v[196:197], v[206:207], v[198:199]
	v_mul_f64 v[222:223], v[222:223], v[198:199]
	v_fma_f64 v[196:197], v[204:205], v[214:215], -v[196:197]
	v_mul_f64 v[204:205], v[204:205], v[198:199]
	v_fmac_f64_e32 v[222:223], v[224:225], v[214:215]
	v_fmac_f64_e32 v[204:205], v[206:207], v[214:215]
	v_add_f64 v[2:3], v[2:3], -v[222:223]
	s_waitcnt vmcnt(0)
	v_add_f64 v[200:201], v[200:201], -v[196:197]
	v_add_f64 v[202:203], v[202:203], -v[204:205]
	v_mov_b64_e32 v[196:197], v[214:215]
.LBB100_62:
	s_or_b64 exec, exec, s[0:1]
	v_lshl_add_u32 v204, v217, 4, v216
	s_barrier
	s_waitcnt vmcnt(47)
	ds_write2_b64 v204, v[192:193], v[194:195] offset1:1
	s_waitcnt lgkmcnt(0)
	s_barrier
	ds_read2_b64 v[204:207], v216 offset0:6 offset1:7
	s_mov_b32 s16, 4
	s_cmp_lt_i32 s20, 5
	v_mov_b32_e32 v214, 3
	s_cbranch_scc1 .LBB100_65
; %bb.63:
	v_add3_u32 v215, v220, 0, 64
	v_mov_b32_e32 v214, 3
.LBB100_64:                             ; =>This Inner Loop Header: Depth=1
	ds_read2_b64 v[220:223], v215 offset1:1
	s_waitcnt lgkmcnt(1)
	v_xor_b32_e32 v225, 0x80000000, v205
	v_xor_b32_e32 v227, 0x80000000, v207
	v_cmp_gt_f64_e32 vcc, 0, v[206:207]
	v_cmp_gt_f64_e64 s[0:1], 0, v[204:205]
	v_mov_b32_e32 v224, v204
	v_mov_b32_e32 v226, v206
	v_cndmask_b32_e64 v225, v205, v225, s[0:1]
	v_cndmask_b32_e32 v227, v207, v227, vcc
	v_add_f64 v[224:225], v[224:225], v[226:227]
	s_waitcnt lgkmcnt(0)
	v_xor_b32_e32 v227, 0x80000000, v221
	v_xor_b32_e32 v229, 0x80000000, v223
	v_cmp_gt_f64_e32 vcc, 0, v[222:223]
	v_cmp_gt_f64_e64 s[0:1], 0, v[220:221]
	v_mov_b32_e32 v226, v220
	v_mov_b32_e32 v228, v222
	v_cndmask_b32_e64 v227, v221, v227, s[0:1]
	v_cndmask_b32_e32 v229, v223, v229, vcc
	v_add_f64 v[226:227], v[226:227], v[228:229]
	v_mov_b32_e32 v230, s16
	s_add_i32 s16, s16, 1
	v_cmp_lt_f64_e32 vcc, v[224:225], v[226:227]
	v_add_u32_e32 v215, 16, v215
	s_cmp_lg_u32 s20, s16
	v_cndmask_b32_e32 v205, v205, v221, vcc
	v_cndmask_b32_e32 v204, v204, v220, vcc
	;; [unrolled: 1-line block ×5, first 2 shown]
	s_cbranch_scc1 .LBB100_64
.LBB100_65:
	s_waitcnt lgkmcnt(0)
	v_cmp_eq_f64_e32 vcc, 0, v[204:205]
	v_cmp_eq_f64_e64 s[0:1], 0, v[206:207]
	s_and_b64 s[0:1], vcc, s[0:1]
	s_and_saveexec_b64 s[16:17], s[0:1]
	s_xor_b64 s[0:1], exec, s[16:17]
; %bb.66:
	v_cmp_ne_u32_e32 vcc, 0, v218
	s_nop 1
	v_cndmask_b32_e32 v218, 4, v218, vcc
; %bb.67:
	s_andn2_saveexec_b64 s[0:1], s[0:1]
	s_cbranch_execz .LBB100_73
; %bb.68:
	v_cmp_ngt_f64_e64 s[16:17], |v[204:205]|, |v[206:207]|
	s_and_saveexec_b64 s[18:19], s[16:17]
	s_xor_b64 s[16:17], exec, s[18:19]
	s_cbranch_execz .LBB100_70
; %bb.69:
	v_div_scale_f64 v[220:221], s[18:19], v[206:207], v[206:207], v[204:205]
	v_rcp_f64_e32 v[222:223], v[220:221]
	v_div_scale_f64 v[224:225], vcc, v[204:205], v[206:207], v[204:205]
	v_fma_f64 v[226:227], -v[220:221], v[222:223], 1.0
	v_fmac_f64_e32 v[222:223], v[222:223], v[226:227]
	v_fma_f64 v[226:227], -v[220:221], v[222:223], 1.0
	v_fmac_f64_e32 v[222:223], v[222:223], v[226:227]
	v_mul_f64 v[226:227], v[224:225], v[222:223]
	v_fma_f64 v[220:221], -v[220:221], v[226:227], v[224:225]
	v_div_fmas_f64 v[220:221], v[220:221], v[222:223], v[226:227]
	v_div_fixup_f64 v[220:221], v[220:221], v[206:207], v[204:205]
	v_fmac_f64_e32 v[206:207], v[204:205], v[220:221]
	v_div_scale_f64 v[204:205], s[18:19], v[206:207], v[206:207], 1.0
	v_rcp_f64_e32 v[222:223], v[204:205]
	s_nop 0
	v_fma_f64 v[224:225], -v[204:205], v[222:223], 1.0
	v_fmac_f64_e32 v[222:223], v[222:223], v[224:225]
	v_fma_f64 v[224:225], -v[204:205], v[222:223], 1.0
	v_fmac_f64_e32 v[222:223], v[222:223], v[224:225]
	v_div_scale_f64 v[224:225], vcc, 1.0, v[206:207], 1.0
	v_mul_f64 v[226:227], v[224:225], v[222:223]
	v_fma_f64 v[204:205], -v[204:205], v[226:227], v[224:225]
	s_nop 1
	v_div_fmas_f64 v[204:205], v[204:205], v[222:223], v[226:227]
	v_div_fixup_f64 v[206:207], v[204:205], v[206:207], 1.0
	v_mul_f64 v[204:205], v[220:221], v[206:207]
	v_xor_b32_e32 v207, 0x80000000, v207
.LBB100_70:
	s_andn2_saveexec_b64 s[16:17], s[16:17]
	s_cbranch_execz .LBB100_72
; %bb.71:
	v_div_scale_f64 v[220:221], s[18:19], v[204:205], v[204:205], v[206:207]
	v_rcp_f64_e32 v[222:223], v[220:221]
	v_div_scale_f64 v[224:225], vcc, v[206:207], v[204:205], v[206:207]
	v_fma_f64 v[226:227], -v[220:221], v[222:223], 1.0
	v_fmac_f64_e32 v[222:223], v[222:223], v[226:227]
	v_fma_f64 v[226:227], -v[220:221], v[222:223], 1.0
	v_fmac_f64_e32 v[222:223], v[222:223], v[226:227]
	v_mul_f64 v[226:227], v[224:225], v[222:223]
	v_fma_f64 v[220:221], -v[220:221], v[226:227], v[224:225]
	v_div_fmas_f64 v[220:221], v[220:221], v[222:223], v[226:227]
	v_div_fixup_f64 v[220:221], v[220:221], v[204:205], v[206:207]
	v_fmac_f64_e32 v[204:205], v[206:207], v[220:221]
	v_div_scale_f64 v[206:207], s[18:19], v[204:205], v[204:205], 1.0
	v_rcp_f64_e32 v[222:223], v[206:207]
	s_nop 0
	v_fma_f64 v[224:225], -v[206:207], v[222:223], 1.0
	v_fmac_f64_e32 v[222:223], v[222:223], v[224:225]
	v_fma_f64 v[224:225], -v[206:207], v[222:223], 1.0
	v_fmac_f64_e32 v[222:223], v[222:223], v[224:225]
	v_div_scale_f64 v[224:225], vcc, 1.0, v[204:205], 1.0
	v_mul_f64 v[226:227], v[224:225], v[222:223]
	v_fma_f64 v[206:207], -v[206:207], v[226:227], v[224:225]
	s_nop 1
	v_div_fmas_f64 v[206:207], v[206:207], v[222:223], v[226:227]
	v_div_fixup_f64 v[204:205], v[206:207], v[204:205], 1.0
	v_mul_f64 v[206:207], v[220:221], -v[204:205]
.LBB100_72:
	s_or_b64 exec, exec, s[16:17]
.LBB100_73:
	s_or_b64 exec, exec, s[0:1]
	v_cmp_ne_u32_e32 vcc, v217, v214
	s_and_saveexec_b64 s[0:1], vcc
	s_xor_b64 s[0:1], exec, s[0:1]
	s_cbranch_execz .LBB100_79
; %bb.74:
	v_cmp_eq_u32_e32 vcc, 3, v217
	s_and_saveexec_b64 s[16:17], vcc
	s_cbranch_execz .LBB100_78
; %bb.75:
	v_cmp_ne_u32_e32 vcc, 3, v214
	s_xor_b64 s[18:19], s[14:15], -1
	s_and_b64 s[22:23], s[18:19], vcc
	s_and_saveexec_b64 s[18:19], s[22:23]
	s_cbranch_execz .LBB100_77
; %bb.76:
	v_ashrrev_i32_e32 v215, 31, v214
	v_lshl_add_u64 v[220:221], v[214:215], 2, v[212:213]
	global_load_dword v215, v[220:221], off
	global_load_dword v217, v[212:213], off offset:12
	s_waitcnt vmcnt(1)
	global_store_dword v[212:213], v215, off offset:12
	s_waitcnt vmcnt(1)
	global_store_dword v[220:221], v217, off
.LBB100_77:
	s_or_b64 exec, exec, s[18:19]
	v_mov_b32_e32 v217, v214
	v_mov_b32_e32 v219, v214
.LBB100_78:
	s_or_b64 exec, exec, s[16:17]
.LBB100_79:
	s_andn2_saveexec_b64 s[0:1], s[0:1]
	s_cbranch_execz .LBB100_81
; %bb.80:
	v_mov_b32_e32 v217, 3
	s_waitcnt vmcnt(46)
	ds_write2_b64 v216, v[188:189], v[190:191] offset0:8 offset1:9
	s_waitcnt vmcnt(45)
	ds_write2_b64 v216, v[184:185], v[186:187] offset0:10 offset1:11
	;; [unrolled: 2-line block ×47, first 2 shown]
.LBB100_81:
	s_or_b64 exec, exec, s[0:1]
	v_cmp_lt_i32_e32 vcc, 3, v217
	s_waitcnt lgkmcnt(0)
	s_barrier
	s_and_saveexec_b64 s[0:1], vcc
	s_cbranch_execz .LBB100_83
; %bb.82:
	ds_read2_b64 v[220:223], v216 offset0:8 offset1:9
	v_mul_f64 v[214:215], v[206:207], v[194:195]
	v_mul_f64 v[194:195], v[204:205], v[194:195]
	v_fmac_f64_e32 v[194:195], v[206:207], v[192:193]
	v_fma_f64 v[214:215], v[204:205], v[192:193], -v[214:215]
	ds_read2_b64 v[204:207], v216 offset0:10 offset1:11
	s_waitcnt lgkmcnt(1)
	v_mul_f64 v[192:193], v[222:223], v[194:195]
	v_fma_f64 v[192:193], v[220:221], v[214:215], -v[192:193]
	v_mul_f64 v[220:221], v[220:221], v[194:195]
	v_fmac_f64_e32 v[220:221], v[222:223], v[214:215]
	s_waitcnt vmcnt(46)
	v_add_f64 v[190:191], v[190:191], -v[220:221]
	ds_read2_b64 v[220:223], v216 offset0:12 offset1:13
	v_add_f64 v[188:189], v[188:189], -v[192:193]
	s_waitcnt lgkmcnt(1)
	v_mul_f64 v[192:193], v[206:207], v[194:195]
	v_fma_f64 v[192:193], v[204:205], v[214:215], -v[192:193]
	v_mul_f64 v[204:205], v[204:205], v[194:195]
	v_fmac_f64_e32 v[204:205], v[206:207], v[214:215]
	s_waitcnt vmcnt(45)
	v_add_f64 v[184:185], v[184:185], -v[192:193]
	v_add_f64 v[186:187], v[186:187], -v[204:205]
	ds_read2_b64 v[204:207], v216 offset0:14 offset1:15
	s_waitcnt lgkmcnt(1)
	v_mul_f64 v[192:193], v[222:223], v[194:195]
	v_fma_f64 v[192:193], v[220:221], v[214:215], -v[192:193]
	v_mul_f64 v[220:221], v[220:221], v[194:195]
	v_fmac_f64_e32 v[220:221], v[222:223], v[214:215]
	s_waitcnt vmcnt(44)
	v_add_f64 v[182:183], v[182:183], -v[220:221]
	ds_read2_b64 v[220:223], v216 offset0:16 offset1:17
	v_add_f64 v[180:181], v[180:181], -v[192:193]
	s_waitcnt lgkmcnt(1)
	v_mul_f64 v[192:193], v[206:207], v[194:195]
	v_fma_f64 v[192:193], v[204:205], v[214:215], -v[192:193]
	v_mul_f64 v[204:205], v[204:205], v[194:195]
	v_fmac_f64_e32 v[204:205], v[206:207], v[214:215]
	s_waitcnt vmcnt(43)
	v_add_f64 v[176:177], v[176:177], -v[192:193]
	v_add_f64 v[178:179], v[178:179], -v[204:205]
	;; [unrolled: 18-line block ×23, first 2 shown]
	s_waitcnt lgkmcnt(0)
	v_mul_f64 v[192:193], v[222:223], v[194:195]
	v_mul_f64 v[204:205], v[220:221], v[194:195]
	v_fma_f64 v[192:193], v[220:221], v[214:215], -v[192:193]
	v_fmac_f64_e32 v[204:205], v[222:223], v[214:215]
	s_waitcnt vmcnt(0)
	v_add_f64 v[200:201], v[200:201], -v[192:193]
	v_add_f64 v[202:203], v[202:203], -v[204:205]
	v_mov_b64_e32 v[192:193], v[214:215]
.LBB100_83:
	s_or_b64 exec, exec, s[0:1]
	v_lshl_add_u32 v204, v217, 4, v216
	s_barrier
	s_waitcnt vmcnt(46)
	ds_write2_b64 v204, v[188:189], v[190:191] offset1:1
	s_waitcnt lgkmcnt(0)
	s_barrier
	ds_read2_b64 v[204:207], v216 offset0:8 offset1:9
	s_cmp_lt_i32 s20, 6
	v_mov_b32_e32 v214, 4
	s_cbranch_scc1 .LBB100_86
; %bb.84:
	v_mov_b32_e32 v214, 4
	v_add_u32_e32 v215, 0x50, v216
	s_mov_b32 s16, 5
.LBB100_85:                             ; =>This Inner Loop Header: Depth=1
	ds_read2_b64 v[220:223], v215 offset1:1
	s_waitcnt lgkmcnt(1)
	v_xor_b32_e32 v225, 0x80000000, v205
	v_xor_b32_e32 v227, 0x80000000, v207
	v_cmp_gt_f64_e32 vcc, 0, v[206:207]
	v_cmp_gt_f64_e64 s[0:1], 0, v[204:205]
	v_mov_b32_e32 v224, v204
	v_mov_b32_e32 v226, v206
	v_cndmask_b32_e64 v225, v205, v225, s[0:1]
	v_cndmask_b32_e32 v227, v207, v227, vcc
	v_add_f64 v[224:225], v[224:225], v[226:227]
	s_waitcnt lgkmcnt(0)
	v_xor_b32_e32 v227, 0x80000000, v221
	v_xor_b32_e32 v229, 0x80000000, v223
	v_cmp_gt_f64_e32 vcc, 0, v[222:223]
	v_cmp_gt_f64_e64 s[0:1], 0, v[220:221]
	v_mov_b32_e32 v226, v220
	v_mov_b32_e32 v228, v222
	v_cndmask_b32_e64 v227, v221, v227, s[0:1]
	v_cndmask_b32_e32 v229, v223, v229, vcc
	v_add_f64 v[226:227], v[226:227], v[228:229]
	v_mov_b32_e32 v230, s16
	s_add_i32 s16, s16, 1
	v_cmp_lt_f64_e32 vcc, v[224:225], v[226:227]
	v_add_u32_e32 v215, 16, v215
	s_cmp_lg_u32 s20, s16
	v_cndmask_b32_e32 v205, v205, v221, vcc
	v_cndmask_b32_e32 v204, v204, v220, vcc
	;; [unrolled: 1-line block ×5, first 2 shown]
	s_cbranch_scc1 .LBB100_85
.LBB100_86:
	s_waitcnt lgkmcnt(0)
	v_cmp_eq_f64_e32 vcc, 0, v[204:205]
	v_cmp_eq_f64_e64 s[0:1], 0, v[206:207]
	s_and_b64 s[0:1], vcc, s[0:1]
	s_and_saveexec_b64 s[16:17], s[0:1]
	s_xor_b64 s[0:1], exec, s[16:17]
; %bb.87:
	v_cmp_ne_u32_e32 vcc, 0, v218
	s_nop 1
	v_cndmask_b32_e32 v218, 5, v218, vcc
; %bb.88:
	s_andn2_saveexec_b64 s[0:1], s[0:1]
	s_cbranch_execz .LBB100_94
; %bb.89:
	v_cmp_ngt_f64_e64 s[16:17], |v[204:205]|, |v[206:207]|
	s_and_saveexec_b64 s[18:19], s[16:17]
	s_xor_b64 s[16:17], exec, s[18:19]
	s_cbranch_execz .LBB100_91
; %bb.90:
	v_div_scale_f64 v[220:221], s[18:19], v[206:207], v[206:207], v[204:205]
	v_rcp_f64_e32 v[222:223], v[220:221]
	v_div_scale_f64 v[224:225], vcc, v[204:205], v[206:207], v[204:205]
	v_fma_f64 v[226:227], -v[220:221], v[222:223], 1.0
	v_fmac_f64_e32 v[222:223], v[222:223], v[226:227]
	v_fma_f64 v[226:227], -v[220:221], v[222:223], 1.0
	v_fmac_f64_e32 v[222:223], v[222:223], v[226:227]
	v_mul_f64 v[226:227], v[224:225], v[222:223]
	v_fma_f64 v[220:221], -v[220:221], v[226:227], v[224:225]
	v_div_fmas_f64 v[220:221], v[220:221], v[222:223], v[226:227]
	v_div_fixup_f64 v[220:221], v[220:221], v[206:207], v[204:205]
	v_fmac_f64_e32 v[206:207], v[204:205], v[220:221]
	v_div_scale_f64 v[204:205], s[18:19], v[206:207], v[206:207], 1.0
	v_rcp_f64_e32 v[222:223], v[204:205]
	s_nop 0
	v_fma_f64 v[224:225], -v[204:205], v[222:223], 1.0
	v_fmac_f64_e32 v[222:223], v[222:223], v[224:225]
	v_fma_f64 v[224:225], -v[204:205], v[222:223], 1.0
	v_fmac_f64_e32 v[222:223], v[222:223], v[224:225]
	v_div_scale_f64 v[224:225], vcc, 1.0, v[206:207], 1.0
	v_mul_f64 v[226:227], v[224:225], v[222:223]
	v_fma_f64 v[204:205], -v[204:205], v[226:227], v[224:225]
	s_nop 1
	v_div_fmas_f64 v[204:205], v[204:205], v[222:223], v[226:227]
	v_div_fixup_f64 v[206:207], v[204:205], v[206:207], 1.0
	v_mul_f64 v[204:205], v[220:221], v[206:207]
	v_xor_b32_e32 v207, 0x80000000, v207
.LBB100_91:
	s_andn2_saveexec_b64 s[16:17], s[16:17]
	s_cbranch_execz .LBB100_93
; %bb.92:
	v_div_scale_f64 v[220:221], s[18:19], v[204:205], v[204:205], v[206:207]
	v_rcp_f64_e32 v[222:223], v[220:221]
	v_div_scale_f64 v[224:225], vcc, v[206:207], v[204:205], v[206:207]
	v_fma_f64 v[226:227], -v[220:221], v[222:223], 1.0
	v_fmac_f64_e32 v[222:223], v[222:223], v[226:227]
	v_fma_f64 v[226:227], -v[220:221], v[222:223], 1.0
	v_fmac_f64_e32 v[222:223], v[222:223], v[226:227]
	v_mul_f64 v[226:227], v[224:225], v[222:223]
	v_fma_f64 v[220:221], -v[220:221], v[226:227], v[224:225]
	v_div_fmas_f64 v[220:221], v[220:221], v[222:223], v[226:227]
	v_div_fixup_f64 v[220:221], v[220:221], v[204:205], v[206:207]
	v_fmac_f64_e32 v[204:205], v[206:207], v[220:221]
	v_div_scale_f64 v[206:207], s[18:19], v[204:205], v[204:205], 1.0
	v_rcp_f64_e32 v[222:223], v[206:207]
	s_nop 0
	v_fma_f64 v[224:225], -v[206:207], v[222:223], 1.0
	v_fmac_f64_e32 v[222:223], v[222:223], v[224:225]
	v_fma_f64 v[224:225], -v[206:207], v[222:223], 1.0
	v_fmac_f64_e32 v[222:223], v[222:223], v[224:225]
	v_div_scale_f64 v[224:225], vcc, 1.0, v[204:205], 1.0
	v_mul_f64 v[226:227], v[224:225], v[222:223]
	v_fma_f64 v[206:207], -v[206:207], v[226:227], v[224:225]
	s_nop 1
	v_div_fmas_f64 v[206:207], v[206:207], v[222:223], v[226:227]
	v_div_fixup_f64 v[204:205], v[206:207], v[204:205], 1.0
	v_mul_f64 v[206:207], v[220:221], -v[204:205]
.LBB100_93:
	s_or_b64 exec, exec, s[16:17]
.LBB100_94:
	s_or_b64 exec, exec, s[0:1]
	v_cmp_ne_u32_e32 vcc, v217, v214
	s_and_saveexec_b64 s[0:1], vcc
	s_xor_b64 s[0:1], exec, s[0:1]
	s_cbranch_execz .LBB100_100
; %bb.95:
	v_cmp_eq_u32_e32 vcc, 4, v217
	s_and_saveexec_b64 s[16:17], vcc
	s_cbranch_execz .LBB100_99
; %bb.96:
	v_cmp_ne_u32_e32 vcc, 4, v214
	s_xor_b64 s[18:19], s[14:15], -1
	s_and_b64 s[22:23], s[18:19], vcc
	s_and_saveexec_b64 s[18:19], s[22:23]
	s_cbranch_execz .LBB100_98
; %bb.97:
	v_ashrrev_i32_e32 v215, 31, v214
	v_lshl_add_u64 v[220:221], v[214:215], 2, v[212:213]
	global_load_dword v215, v[220:221], off
	global_load_dword v217, v[212:213], off offset:16
	s_waitcnt vmcnt(1)
	global_store_dword v[212:213], v215, off offset:16
	s_waitcnt vmcnt(1)
	global_store_dword v[220:221], v217, off
.LBB100_98:
	s_or_b64 exec, exec, s[18:19]
	v_mov_b32_e32 v217, v214
	v_mov_b32_e32 v219, v214
.LBB100_99:
	s_or_b64 exec, exec, s[16:17]
.LBB100_100:
	s_andn2_saveexec_b64 s[0:1], s[0:1]
	s_cbranch_execz .LBB100_102
; %bb.101:
	v_mov_b32_e32 v217, 4
	s_waitcnt vmcnt(45)
	ds_write2_b64 v216, v[184:185], v[186:187] offset0:10 offset1:11
	s_waitcnt vmcnt(44)
	ds_write2_b64 v216, v[180:181], v[182:183] offset0:12 offset1:13
	;; [unrolled: 2-line block ×46, first 2 shown]
.LBB100_102:
	s_or_b64 exec, exec, s[0:1]
	v_cmp_lt_i32_e32 vcc, 4, v217
	s_waitcnt lgkmcnt(0)
	s_barrier
	s_and_saveexec_b64 s[0:1], vcc
	s_cbranch_execz .LBB100_104
; %bb.103:
	ds_read2_b64 v[220:223], v216 offset0:10 offset1:11
	v_mul_f64 v[214:215], v[206:207], v[190:191]
	v_mul_f64 v[190:191], v[204:205], v[190:191]
	v_fma_f64 v[214:215], v[204:205], v[188:189], -v[214:215]
	v_fmac_f64_e32 v[190:191], v[206:207], v[188:189]
	ds_read2_b64 v[204:207], v216 offset0:12 offset1:13
	s_waitcnt lgkmcnt(1)
	v_mul_f64 v[188:189], v[222:223], v[190:191]
	v_fma_f64 v[188:189], v[220:221], v[214:215], -v[188:189]
	v_mul_f64 v[220:221], v[220:221], v[190:191]
	v_fmac_f64_e32 v[220:221], v[222:223], v[214:215]
	s_waitcnt vmcnt(45)
	v_add_f64 v[184:185], v[184:185], -v[188:189]
	s_waitcnt lgkmcnt(0)
	v_mul_f64 v[188:189], v[206:207], v[190:191]
	v_add_f64 v[186:187], v[186:187], -v[220:221]
	v_fma_f64 v[188:189], v[204:205], v[214:215], -v[188:189]
	v_mul_f64 v[204:205], v[204:205], v[190:191]
	ds_read2_b64 v[220:223], v216 offset0:14 offset1:15
	v_fmac_f64_e32 v[204:205], v[206:207], v[214:215]
	s_waitcnt vmcnt(44)
	v_add_f64 v[182:183], v[182:183], -v[204:205]
	ds_read2_b64 v[204:207], v216 offset0:16 offset1:17
	v_add_f64 v[180:181], v[180:181], -v[188:189]
	s_waitcnt lgkmcnt(1)
	v_mul_f64 v[188:189], v[222:223], v[190:191]
	v_fma_f64 v[188:189], v[220:221], v[214:215], -v[188:189]
	v_mul_f64 v[220:221], v[220:221], v[190:191]
	v_fmac_f64_e32 v[220:221], v[222:223], v[214:215]
	s_waitcnt vmcnt(43)
	v_add_f64 v[176:177], v[176:177], -v[188:189]
	s_waitcnt lgkmcnt(0)
	v_mul_f64 v[188:189], v[206:207], v[190:191]
	v_add_f64 v[178:179], v[178:179], -v[220:221]
	v_fma_f64 v[188:189], v[204:205], v[214:215], -v[188:189]
	v_mul_f64 v[204:205], v[204:205], v[190:191]
	ds_read2_b64 v[220:223], v216 offset0:18 offset1:19
	v_fmac_f64_e32 v[204:205], v[206:207], v[214:215]
	s_waitcnt vmcnt(42)
	v_add_f64 v[174:175], v[174:175], -v[204:205]
	ds_read2_b64 v[204:207], v216 offset0:20 offset1:21
	v_add_f64 v[172:173], v[172:173], -v[188:189]
	;; [unrolled: 18-line block ×22, first 2 shown]
	s_waitcnt lgkmcnt(1)
	v_mul_f64 v[188:189], v[222:223], v[190:191]
	v_fma_f64 v[188:189], v[220:221], v[214:215], -v[188:189]
	s_waitcnt vmcnt(1)
	v_add_f64 v[0:1], v[0:1], -v[188:189]
	s_waitcnt lgkmcnt(0)
	v_mul_f64 v[188:189], v[206:207], v[190:191]
	v_mul_f64 v[220:221], v[220:221], v[190:191]
	v_fma_f64 v[188:189], v[204:205], v[214:215], -v[188:189]
	v_mul_f64 v[204:205], v[204:205], v[190:191]
	v_fmac_f64_e32 v[220:221], v[222:223], v[214:215]
	v_fmac_f64_e32 v[204:205], v[206:207], v[214:215]
	v_add_f64 v[2:3], v[2:3], -v[220:221]
	s_waitcnt vmcnt(0)
	v_add_f64 v[200:201], v[200:201], -v[188:189]
	v_add_f64 v[202:203], v[202:203], -v[204:205]
	v_mov_b64_e32 v[188:189], v[214:215]
.LBB100_104:
	s_or_b64 exec, exec, s[0:1]
	v_lshl_add_u32 v204, v217, 4, v216
	s_barrier
	s_waitcnt vmcnt(45)
	ds_write2_b64 v204, v[184:185], v[186:187] offset1:1
	s_waitcnt lgkmcnt(0)
	s_barrier
	ds_read2_b64 v[204:207], v216 offset0:10 offset1:11
	s_cmp_lt_i32 s20, 7
	v_mov_b32_e32 v214, 5
	s_cbranch_scc1 .LBB100_107
; %bb.105:
	v_add_u32_e32 v215, 0x60, v216
	s_mov_b32 s16, 6
	v_mov_b32_e32 v214, 5
.LBB100_106:                            ; =>This Inner Loop Header: Depth=1
	ds_read2_b64 v[220:223], v215 offset1:1
	s_waitcnt lgkmcnt(1)
	v_xor_b32_e32 v225, 0x80000000, v205
	v_xor_b32_e32 v227, 0x80000000, v207
	v_cmp_gt_f64_e32 vcc, 0, v[206:207]
	v_cmp_gt_f64_e64 s[0:1], 0, v[204:205]
	v_mov_b32_e32 v224, v204
	v_mov_b32_e32 v226, v206
	v_cndmask_b32_e64 v225, v205, v225, s[0:1]
	v_cndmask_b32_e32 v227, v207, v227, vcc
	v_add_f64 v[224:225], v[224:225], v[226:227]
	s_waitcnt lgkmcnt(0)
	v_xor_b32_e32 v227, 0x80000000, v221
	v_xor_b32_e32 v229, 0x80000000, v223
	v_cmp_gt_f64_e32 vcc, 0, v[222:223]
	v_cmp_gt_f64_e64 s[0:1], 0, v[220:221]
	v_mov_b32_e32 v226, v220
	v_mov_b32_e32 v228, v222
	v_cndmask_b32_e64 v227, v221, v227, s[0:1]
	v_cndmask_b32_e32 v229, v223, v229, vcc
	v_add_f64 v[226:227], v[226:227], v[228:229]
	v_mov_b32_e32 v230, s16
	s_add_i32 s16, s16, 1
	v_cmp_lt_f64_e32 vcc, v[224:225], v[226:227]
	v_add_u32_e32 v215, 16, v215
	s_cmp_lg_u32 s20, s16
	v_cndmask_b32_e32 v205, v205, v221, vcc
	v_cndmask_b32_e32 v204, v204, v220, vcc
	;; [unrolled: 1-line block ×5, first 2 shown]
	s_cbranch_scc1 .LBB100_106
.LBB100_107:
	s_waitcnt lgkmcnt(0)
	v_cmp_eq_f64_e32 vcc, 0, v[204:205]
	v_cmp_eq_f64_e64 s[0:1], 0, v[206:207]
	s_and_b64 s[0:1], vcc, s[0:1]
	s_and_saveexec_b64 s[16:17], s[0:1]
	s_xor_b64 s[0:1], exec, s[16:17]
; %bb.108:
	v_cmp_ne_u32_e32 vcc, 0, v218
	s_nop 1
	v_cndmask_b32_e32 v218, 6, v218, vcc
; %bb.109:
	s_andn2_saveexec_b64 s[0:1], s[0:1]
	s_cbranch_execz .LBB100_115
; %bb.110:
	v_cmp_ngt_f64_e64 s[16:17], |v[204:205]|, |v[206:207]|
	s_and_saveexec_b64 s[18:19], s[16:17]
	s_xor_b64 s[16:17], exec, s[18:19]
	s_cbranch_execz .LBB100_112
; %bb.111:
	v_div_scale_f64 v[220:221], s[18:19], v[206:207], v[206:207], v[204:205]
	v_rcp_f64_e32 v[222:223], v[220:221]
	v_div_scale_f64 v[224:225], vcc, v[204:205], v[206:207], v[204:205]
	v_fma_f64 v[226:227], -v[220:221], v[222:223], 1.0
	v_fmac_f64_e32 v[222:223], v[222:223], v[226:227]
	v_fma_f64 v[226:227], -v[220:221], v[222:223], 1.0
	v_fmac_f64_e32 v[222:223], v[222:223], v[226:227]
	v_mul_f64 v[226:227], v[224:225], v[222:223]
	v_fma_f64 v[220:221], -v[220:221], v[226:227], v[224:225]
	v_div_fmas_f64 v[220:221], v[220:221], v[222:223], v[226:227]
	v_div_fixup_f64 v[220:221], v[220:221], v[206:207], v[204:205]
	v_fmac_f64_e32 v[206:207], v[204:205], v[220:221]
	v_div_scale_f64 v[204:205], s[18:19], v[206:207], v[206:207], 1.0
	v_rcp_f64_e32 v[222:223], v[204:205]
	s_nop 0
	v_fma_f64 v[224:225], -v[204:205], v[222:223], 1.0
	v_fmac_f64_e32 v[222:223], v[222:223], v[224:225]
	v_fma_f64 v[224:225], -v[204:205], v[222:223], 1.0
	v_fmac_f64_e32 v[222:223], v[222:223], v[224:225]
	v_div_scale_f64 v[224:225], vcc, 1.0, v[206:207], 1.0
	v_mul_f64 v[226:227], v[224:225], v[222:223]
	v_fma_f64 v[204:205], -v[204:205], v[226:227], v[224:225]
	s_nop 1
	v_div_fmas_f64 v[204:205], v[204:205], v[222:223], v[226:227]
	v_div_fixup_f64 v[206:207], v[204:205], v[206:207], 1.0
	v_mul_f64 v[204:205], v[220:221], v[206:207]
	v_xor_b32_e32 v207, 0x80000000, v207
.LBB100_112:
	s_andn2_saveexec_b64 s[16:17], s[16:17]
	s_cbranch_execz .LBB100_114
; %bb.113:
	v_div_scale_f64 v[220:221], s[18:19], v[204:205], v[204:205], v[206:207]
	v_rcp_f64_e32 v[222:223], v[220:221]
	v_div_scale_f64 v[224:225], vcc, v[206:207], v[204:205], v[206:207]
	v_fma_f64 v[226:227], -v[220:221], v[222:223], 1.0
	v_fmac_f64_e32 v[222:223], v[222:223], v[226:227]
	v_fma_f64 v[226:227], -v[220:221], v[222:223], 1.0
	v_fmac_f64_e32 v[222:223], v[222:223], v[226:227]
	v_mul_f64 v[226:227], v[224:225], v[222:223]
	v_fma_f64 v[220:221], -v[220:221], v[226:227], v[224:225]
	v_div_fmas_f64 v[220:221], v[220:221], v[222:223], v[226:227]
	v_div_fixup_f64 v[220:221], v[220:221], v[204:205], v[206:207]
	v_fmac_f64_e32 v[204:205], v[206:207], v[220:221]
	v_div_scale_f64 v[206:207], s[18:19], v[204:205], v[204:205], 1.0
	v_rcp_f64_e32 v[222:223], v[206:207]
	s_nop 0
	v_fma_f64 v[224:225], -v[206:207], v[222:223], 1.0
	v_fmac_f64_e32 v[222:223], v[222:223], v[224:225]
	v_fma_f64 v[224:225], -v[206:207], v[222:223], 1.0
	v_fmac_f64_e32 v[222:223], v[222:223], v[224:225]
	v_div_scale_f64 v[224:225], vcc, 1.0, v[204:205], 1.0
	v_mul_f64 v[226:227], v[224:225], v[222:223]
	v_fma_f64 v[206:207], -v[206:207], v[226:227], v[224:225]
	s_nop 1
	v_div_fmas_f64 v[206:207], v[206:207], v[222:223], v[226:227]
	v_div_fixup_f64 v[204:205], v[206:207], v[204:205], 1.0
	v_mul_f64 v[206:207], v[220:221], -v[204:205]
.LBB100_114:
	s_or_b64 exec, exec, s[16:17]
.LBB100_115:
	s_or_b64 exec, exec, s[0:1]
	v_cmp_ne_u32_e32 vcc, v217, v214
	s_and_saveexec_b64 s[0:1], vcc
	s_xor_b64 s[0:1], exec, s[0:1]
	s_cbranch_execz .LBB100_121
; %bb.116:
	v_cmp_eq_u32_e32 vcc, 5, v217
	s_and_saveexec_b64 s[16:17], vcc
	s_cbranch_execz .LBB100_120
; %bb.117:
	v_cmp_ne_u32_e32 vcc, 5, v214
	s_xor_b64 s[18:19], s[14:15], -1
	s_and_b64 s[22:23], s[18:19], vcc
	s_and_saveexec_b64 s[18:19], s[22:23]
	s_cbranch_execz .LBB100_119
; %bb.118:
	v_ashrrev_i32_e32 v215, 31, v214
	v_lshl_add_u64 v[220:221], v[214:215], 2, v[212:213]
	global_load_dword v215, v[220:221], off
	global_load_dword v217, v[212:213], off offset:20
	s_waitcnt vmcnt(1)
	global_store_dword v[212:213], v215, off offset:20
	s_waitcnt vmcnt(1)
	global_store_dword v[220:221], v217, off
.LBB100_119:
	s_or_b64 exec, exec, s[18:19]
	v_mov_b32_e32 v217, v214
	v_mov_b32_e32 v219, v214
.LBB100_120:
	s_or_b64 exec, exec, s[16:17]
.LBB100_121:
	s_andn2_saveexec_b64 s[0:1], s[0:1]
	s_cbranch_execz .LBB100_123
; %bb.122:
	v_mov_b32_e32 v217, 5
	s_waitcnt vmcnt(44)
	ds_write2_b64 v216, v[180:181], v[182:183] offset0:12 offset1:13
	s_waitcnt vmcnt(43)
	ds_write2_b64 v216, v[176:177], v[178:179] offset0:14 offset1:15
	;; [unrolled: 2-line block ×45, first 2 shown]
.LBB100_123:
	s_or_b64 exec, exec, s[0:1]
	v_cmp_lt_i32_e32 vcc, 5, v217
	s_waitcnt lgkmcnt(0)
	s_barrier
	s_and_saveexec_b64 s[0:1], vcc
	s_cbranch_execz .LBB100_125
; %bb.124:
	ds_read2_b64 v[220:223], v216 offset0:12 offset1:13
	v_mul_f64 v[214:215], v[206:207], v[186:187]
	v_mul_f64 v[186:187], v[204:205], v[186:187]
	v_fmac_f64_e32 v[186:187], v[206:207], v[184:185]
	v_fma_f64 v[214:215], v[204:205], v[184:185], -v[214:215]
	ds_read2_b64 v[204:207], v216 offset0:14 offset1:15
	s_waitcnt lgkmcnt(1)
	v_mul_f64 v[184:185], v[222:223], v[186:187]
	v_fma_f64 v[184:185], v[220:221], v[214:215], -v[184:185]
	v_mul_f64 v[220:221], v[220:221], v[186:187]
	v_fmac_f64_e32 v[220:221], v[222:223], v[214:215]
	s_waitcnt vmcnt(44)
	v_add_f64 v[182:183], v[182:183], -v[220:221]
	ds_read2_b64 v[220:223], v216 offset0:16 offset1:17
	v_add_f64 v[180:181], v[180:181], -v[184:185]
	s_waitcnt lgkmcnt(1)
	v_mul_f64 v[184:185], v[206:207], v[186:187]
	v_fma_f64 v[184:185], v[204:205], v[214:215], -v[184:185]
	v_mul_f64 v[204:205], v[204:205], v[186:187]
	v_fmac_f64_e32 v[204:205], v[206:207], v[214:215]
	s_waitcnt vmcnt(43)
	v_add_f64 v[176:177], v[176:177], -v[184:185]
	v_add_f64 v[178:179], v[178:179], -v[204:205]
	ds_read2_b64 v[204:207], v216 offset0:18 offset1:19
	s_waitcnt lgkmcnt(1)
	v_mul_f64 v[184:185], v[222:223], v[186:187]
	v_fma_f64 v[184:185], v[220:221], v[214:215], -v[184:185]
	v_mul_f64 v[220:221], v[220:221], v[186:187]
	v_fmac_f64_e32 v[220:221], v[222:223], v[214:215]
	s_waitcnt vmcnt(42)
	v_add_f64 v[174:175], v[174:175], -v[220:221]
	ds_read2_b64 v[220:223], v216 offset0:20 offset1:21
	v_add_f64 v[172:173], v[172:173], -v[184:185]
	s_waitcnt lgkmcnt(1)
	v_mul_f64 v[184:185], v[206:207], v[186:187]
	v_fma_f64 v[184:185], v[204:205], v[214:215], -v[184:185]
	v_mul_f64 v[204:205], v[204:205], v[186:187]
	v_fmac_f64_e32 v[204:205], v[206:207], v[214:215]
	s_waitcnt vmcnt(41)
	v_add_f64 v[168:169], v[168:169], -v[184:185]
	v_add_f64 v[170:171], v[170:171], -v[204:205]
	;; [unrolled: 18-line block ×22, first 2 shown]
	s_waitcnt lgkmcnt(0)
	v_mul_f64 v[184:185], v[222:223], v[186:187]
	v_mul_f64 v[204:205], v[220:221], v[186:187]
	v_fma_f64 v[184:185], v[220:221], v[214:215], -v[184:185]
	v_fmac_f64_e32 v[204:205], v[222:223], v[214:215]
	s_waitcnt vmcnt(0)
	v_add_f64 v[200:201], v[200:201], -v[184:185]
	v_add_f64 v[202:203], v[202:203], -v[204:205]
	v_mov_b64_e32 v[184:185], v[214:215]
.LBB100_125:
	s_or_b64 exec, exec, s[0:1]
	v_lshl_add_u32 v204, v217, 4, v216
	s_barrier
	s_waitcnt vmcnt(44)
	ds_write2_b64 v204, v[180:181], v[182:183] offset1:1
	s_waitcnt lgkmcnt(0)
	s_barrier
	ds_read2_b64 v[204:207], v216 offset0:12 offset1:13
	s_cmp_lt_i32 s20, 8
	v_mov_b32_e32 v214, 6
	s_cbranch_scc1 .LBB100_128
; %bb.126:
	v_add_u32_e32 v215, 0x70, v216
	s_mov_b32 s16, 7
	v_mov_b32_e32 v214, 6
.LBB100_127:                            ; =>This Inner Loop Header: Depth=1
	ds_read2_b64 v[220:223], v215 offset1:1
	s_waitcnt lgkmcnt(1)
	v_xor_b32_e32 v225, 0x80000000, v205
	v_xor_b32_e32 v227, 0x80000000, v207
	v_cmp_gt_f64_e32 vcc, 0, v[206:207]
	v_cmp_gt_f64_e64 s[0:1], 0, v[204:205]
	v_mov_b32_e32 v224, v204
	v_mov_b32_e32 v226, v206
	v_cndmask_b32_e64 v225, v205, v225, s[0:1]
	v_cndmask_b32_e32 v227, v207, v227, vcc
	v_add_f64 v[224:225], v[224:225], v[226:227]
	s_waitcnt lgkmcnt(0)
	v_xor_b32_e32 v227, 0x80000000, v221
	v_xor_b32_e32 v229, 0x80000000, v223
	v_cmp_gt_f64_e32 vcc, 0, v[222:223]
	v_cmp_gt_f64_e64 s[0:1], 0, v[220:221]
	v_mov_b32_e32 v226, v220
	v_mov_b32_e32 v228, v222
	v_cndmask_b32_e64 v227, v221, v227, s[0:1]
	v_cndmask_b32_e32 v229, v223, v229, vcc
	v_add_f64 v[226:227], v[226:227], v[228:229]
	v_mov_b32_e32 v230, s16
	s_add_i32 s16, s16, 1
	v_cmp_lt_f64_e32 vcc, v[224:225], v[226:227]
	v_add_u32_e32 v215, 16, v215
	s_cmp_lg_u32 s20, s16
	v_cndmask_b32_e32 v205, v205, v221, vcc
	v_cndmask_b32_e32 v204, v204, v220, vcc
	;; [unrolled: 1-line block ×5, first 2 shown]
	s_cbranch_scc1 .LBB100_127
.LBB100_128:
	s_waitcnt lgkmcnt(0)
	v_cmp_eq_f64_e32 vcc, 0, v[204:205]
	v_cmp_eq_f64_e64 s[0:1], 0, v[206:207]
	s_and_b64 s[0:1], vcc, s[0:1]
	s_and_saveexec_b64 s[16:17], s[0:1]
	s_xor_b64 s[0:1], exec, s[16:17]
; %bb.129:
	v_cmp_ne_u32_e32 vcc, 0, v218
	s_nop 1
	v_cndmask_b32_e32 v218, 7, v218, vcc
; %bb.130:
	s_andn2_saveexec_b64 s[0:1], s[0:1]
	s_cbranch_execz .LBB100_136
; %bb.131:
	v_cmp_ngt_f64_e64 s[16:17], |v[204:205]|, |v[206:207]|
	s_and_saveexec_b64 s[18:19], s[16:17]
	s_xor_b64 s[16:17], exec, s[18:19]
	s_cbranch_execz .LBB100_133
; %bb.132:
	v_div_scale_f64 v[220:221], s[18:19], v[206:207], v[206:207], v[204:205]
	v_rcp_f64_e32 v[222:223], v[220:221]
	v_div_scale_f64 v[224:225], vcc, v[204:205], v[206:207], v[204:205]
	v_fma_f64 v[226:227], -v[220:221], v[222:223], 1.0
	v_fmac_f64_e32 v[222:223], v[222:223], v[226:227]
	v_fma_f64 v[226:227], -v[220:221], v[222:223], 1.0
	v_fmac_f64_e32 v[222:223], v[222:223], v[226:227]
	v_mul_f64 v[226:227], v[224:225], v[222:223]
	v_fma_f64 v[220:221], -v[220:221], v[226:227], v[224:225]
	v_div_fmas_f64 v[220:221], v[220:221], v[222:223], v[226:227]
	v_div_fixup_f64 v[220:221], v[220:221], v[206:207], v[204:205]
	v_fmac_f64_e32 v[206:207], v[204:205], v[220:221]
	v_div_scale_f64 v[204:205], s[18:19], v[206:207], v[206:207], 1.0
	v_rcp_f64_e32 v[222:223], v[204:205]
	s_nop 0
	v_fma_f64 v[224:225], -v[204:205], v[222:223], 1.0
	v_fmac_f64_e32 v[222:223], v[222:223], v[224:225]
	v_fma_f64 v[224:225], -v[204:205], v[222:223], 1.0
	v_fmac_f64_e32 v[222:223], v[222:223], v[224:225]
	v_div_scale_f64 v[224:225], vcc, 1.0, v[206:207], 1.0
	v_mul_f64 v[226:227], v[224:225], v[222:223]
	v_fma_f64 v[204:205], -v[204:205], v[226:227], v[224:225]
	s_nop 1
	v_div_fmas_f64 v[204:205], v[204:205], v[222:223], v[226:227]
	v_div_fixup_f64 v[206:207], v[204:205], v[206:207], 1.0
	v_mul_f64 v[204:205], v[220:221], v[206:207]
	v_xor_b32_e32 v207, 0x80000000, v207
.LBB100_133:
	s_andn2_saveexec_b64 s[16:17], s[16:17]
	s_cbranch_execz .LBB100_135
; %bb.134:
	v_div_scale_f64 v[220:221], s[18:19], v[204:205], v[204:205], v[206:207]
	v_rcp_f64_e32 v[222:223], v[220:221]
	v_div_scale_f64 v[224:225], vcc, v[206:207], v[204:205], v[206:207]
	v_fma_f64 v[226:227], -v[220:221], v[222:223], 1.0
	v_fmac_f64_e32 v[222:223], v[222:223], v[226:227]
	v_fma_f64 v[226:227], -v[220:221], v[222:223], 1.0
	v_fmac_f64_e32 v[222:223], v[222:223], v[226:227]
	v_mul_f64 v[226:227], v[224:225], v[222:223]
	v_fma_f64 v[220:221], -v[220:221], v[226:227], v[224:225]
	v_div_fmas_f64 v[220:221], v[220:221], v[222:223], v[226:227]
	v_div_fixup_f64 v[220:221], v[220:221], v[204:205], v[206:207]
	v_fmac_f64_e32 v[204:205], v[206:207], v[220:221]
	v_div_scale_f64 v[206:207], s[18:19], v[204:205], v[204:205], 1.0
	v_rcp_f64_e32 v[222:223], v[206:207]
	s_nop 0
	v_fma_f64 v[224:225], -v[206:207], v[222:223], 1.0
	v_fmac_f64_e32 v[222:223], v[222:223], v[224:225]
	v_fma_f64 v[224:225], -v[206:207], v[222:223], 1.0
	v_fmac_f64_e32 v[222:223], v[222:223], v[224:225]
	v_div_scale_f64 v[224:225], vcc, 1.0, v[204:205], 1.0
	v_mul_f64 v[226:227], v[224:225], v[222:223]
	v_fma_f64 v[206:207], -v[206:207], v[226:227], v[224:225]
	s_nop 1
	v_div_fmas_f64 v[206:207], v[206:207], v[222:223], v[226:227]
	v_div_fixup_f64 v[204:205], v[206:207], v[204:205], 1.0
	v_mul_f64 v[206:207], v[220:221], -v[204:205]
.LBB100_135:
	s_or_b64 exec, exec, s[16:17]
.LBB100_136:
	s_or_b64 exec, exec, s[0:1]
	v_cmp_ne_u32_e32 vcc, v217, v214
	s_and_saveexec_b64 s[0:1], vcc
	s_xor_b64 s[0:1], exec, s[0:1]
	s_cbranch_execz .LBB100_142
; %bb.137:
	v_cmp_eq_u32_e32 vcc, 6, v217
	s_and_saveexec_b64 s[16:17], vcc
	s_cbranch_execz .LBB100_141
; %bb.138:
	v_cmp_ne_u32_e32 vcc, 6, v214
	s_xor_b64 s[18:19], s[14:15], -1
	s_and_b64 s[22:23], s[18:19], vcc
	s_and_saveexec_b64 s[18:19], s[22:23]
	s_cbranch_execz .LBB100_140
; %bb.139:
	v_ashrrev_i32_e32 v215, 31, v214
	v_lshl_add_u64 v[220:221], v[214:215], 2, v[212:213]
	global_load_dword v215, v[220:221], off
	global_load_dword v217, v[212:213], off offset:24
	s_waitcnt vmcnt(1)
	global_store_dword v[212:213], v215, off offset:24
	s_waitcnt vmcnt(1)
	global_store_dword v[220:221], v217, off
.LBB100_140:
	s_or_b64 exec, exec, s[18:19]
	v_mov_b32_e32 v217, v214
	v_mov_b32_e32 v219, v214
.LBB100_141:
	s_or_b64 exec, exec, s[16:17]
.LBB100_142:
	s_andn2_saveexec_b64 s[0:1], s[0:1]
	s_cbranch_execz .LBB100_144
; %bb.143:
	v_mov_b32_e32 v217, 6
	s_waitcnt vmcnt(43)
	ds_write2_b64 v216, v[176:177], v[178:179] offset0:14 offset1:15
	s_waitcnt vmcnt(42)
	ds_write2_b64 v216, v[172:173], v[174:175] offset0:16 offset1:17
	;; [unrolled: 2-line block ×44, first 2 shown]
.LBB100_144:
	s_or_b64 exec, exec, s[0:1]
	v_cmp_lt_i32_e32 vcc, 6, v217
	s_waitcnt lgkmcnt(0)
	s_barrier
	s_and_saveexec_b64 s[0:1], vcc
	s_cbranch_execz .LBB100_146
; %bb.145:
	ds_read2_b64 v[220:223], v216 offset0:14 offset1:15
	v_mul_f64 v[214:215], v[206:207], v[182:183]
	v_mul_f64 v[182:183], v[204:205], v[182:183]
	v_fma_f64 v[214:215], v[204:205], v[180:181], -v[214:215]
	v_fmac_f64_e32 v[182:183], v[206:207], v[180:181]
	ds_read2_b64 v[204:207], v216 offset0:16 offset1:17
	s_waitcnt lgkmcnt(1)
	v_mul_f64 v[180:181], v[222:223], v[182:183]
	v_fma_f64 v[180:181], v[220:221], v[214:215], -v[180:181]
	v_mul_f64 v[220:221], v[220:221], v[182:183]
	v_fmac_f64_e32 v[220:221], v[222:223], v[214:215]
	s_waitcnt vmcnt(43)
	v_add_f64 v[176:177], v[176:177], -v[180:181]
	s_waitcnt lgkmcnt(0)
	v_mul_f64 v[180:181], v[206:207], v[182:183]
	v_add_f64 v[178:179], v[178:179], -v[220:221]
	v_fma_f64 v[180:181], v[204:205], v[214:215], -v[180:181]
	v_mul_f64 v[204:205], v[204:205], v[182:183]
	ds_read2_b64 v[220:223], v216 offset0:18 offset1:19
	v_fmac_f64_e32 v[204:205], v[206:207], v[214:215]
	s_waitcnt vmcnt(42)
	v_add_f64 v[174:175], v[174:175], -v[204:205]
	ds_read2_b64 v[204:207], v216 offset0:20 offset1:21
	v_add_f64 v[172:173], v[172:173], -v[180:181]
	s_waitcnt lgkmcnt(1)
	v_mul_f64 v[180:181], v[222:223], v[182:183]
	v_fma_f64 v[180:181], v[220:221], v[214:215], -v[180:181]
	v_mul_f64 v[220:221], v[220:221], v[182:183]
	v_fmac_f64_e32 v[220:221], v[222:223], v[214:215]
	s_waitcnt vmcnt(41)
	v_add_f64 v[168:169], v[168:169], -v[180:181]
	s_waitcnt lgkmcnt(0)
	v_mul_f64 v[180:181], v[206:207], v[182:183]
	v_add_f64 v[170:171], v[170:171], -v[220:221]
	v_fma_f64 v[180:181], v[204:205], v[214:215], -v[180:181]
	v_mul_f64 v[204:205], v[204:205], v[182:183]
	ds_read2_b64 v[220:223], v216 offset0:22 offset1:23
	v_fmac_f64_e32 v[204:205], v[206:207], v[214:215]
	s_waitcnt vmcnt(40)
	v_add_f64 v[166:167], v[166:167], -v[204:205]
	ds_read2_b64 v[204:207], v216 offset0:24 offset1:25
	v_add_f64 v[164:165], v[164:165], -v[180:181]
	s_waitcnt lgkmcnt(1)
	v_mul_f64 v[180:181], v[222:223], v[182:183]
	v_fma_f64 v[180:181], v[220:221], v[214:215], -v[180:181]
	v_mul_f64 v[220:221], v[220:221], v[182:183]
	v_fmac_f64_e32 v[220:221], v[222:223], v[214:215]
	s_waitcnt vmcnt(39)
	v_add_f64 v[160:161], v[160:161], -v[180:181]
	s_waitcnt lgkmcnt(0)
	v_mul_f64 v[180:181], v[206:207], v[182:183]
	v_add_f64 v[162:163], v[162:163], -v[220:221]
	v_fma_f64 v[180:181], v[204:205], v[214:215], -v[180:181]
	v_mul_f64 v[204:205], v[204:205], v[182:183]
	ds_read2_b64 v[220:223], v216 offset0:26 offset1:27
	v_fmac_f64_e32 v[204:205], v[206:207], v[214:215]
	s_waitcnt vmcnt(38)
	v_add_f64 v[158:159], v[158:159], -v[204:205]
	ds_read2_b64 v[204:207], v216 offset0:28 offset1:29
	v_add_f64 v[156:157], v[156:157], -v[180:181]
	s_waitcnt lgkmcnt(1)
	v_mul_f64 v[180:181], v[222:223], v[182:183]
	v_fma_f64 v[180:181], v[220:221], v[214:215], -v[180:181]
	v_mul_f64 v[220:221], v[220:221], v[182:183]
	v_fmac_f64_e32 v[220:221], v[222:223], v[214:215]
	s_waitcnt vmcnt(37)
	v_add_f64 v[152:153], v[152:153], -v[180:181]
	s_waitcnt lgkmcnt(0)
	v_mul_f64 v[180:181], v[206:207], v[182:183]
	v_add_f64 v[154:155], v[154:155], -v[220:221]
	v_fma_f64 v[180:181], v[204:205], v[214:215], -v[180:181]
	v_mul_f64 v[204:205], v[204:205], v[182:183]
	ds_read2_b64 v[220:223], v216 offset0:30 offset1:31
	v_fmac_f64_e32 v[204:205], v[206:207], v[214:215]
	s_waitcnt vmcnt(36)
	v_add_f64 v[150:151], v[150:151], -v[204:205]
	ds_read2_b64 v[204:207], v216 offset0:32 offset1:33
	v_add_f64 v[148:149], v[148:149], -v[180:181]
	s_waitcnt lgkmcnt(1)
	v_mul_f64 v[180:181], v[222:223], v[182:183]
	v_fma_f64 v[180:181], v[220:221], v[214:215], -v[180:181]
	v_mul_f64 v[220:221], v[220:221], v[182:183]
	v_fmac_f64_e32 v[220:221], v[222:223], v[214:215]
	s_waitcnt vmcnt(35)
	v_add_f64 v[144:145], v[144:145], -v[180:181]
	s_waitcnt lgkmcnt(0)
	v_mul_f64 v[180:181], v[206:207], v[182:183]
	v_add_f64 v[146:147], v[146:147], -v[220:221]
	v_fma_f64 v[180:181], v[204:205], v[214:215], -v[180:181]
	v_mul_f64 v[204:205], v[204:205], v[182:183]
	ds_read2_b64 v[220:223], v216 offset0:34 offset1:35
	v_fmac_f64_e32 v[204:205], v[206:207], v[214:215]
	s_waitcnt vmcnt(34)
	v_add_f64 v[142:143], v[142:143], -v[204:205]
	ds_read2_b64 v[204:207], v216 offset0:36 offset1:37
	v_add_f64 v[140:141], v[140:141], -v[180:181]
	s_waitcnt lgkmcnt(1)
	v_mul_f64 v[180:181], v[222:223], v[182:183]
	v_fma_f64 v[180:181], v[220:221], v[214:215], -v[180:181]
	v_mul_f64 v[220:221], v[220:221], v[182:183]
	v_fmac_f64_e32 v[220:221], v[222:223], v[214:215]
	s_waitcnt vmcnt(33)
	v_add_f64 v[128:129], v[128:129], -v[180:181]
	s_waitcnt lgkmcnt(0)
	v_mul_f64 v[180:181], v[206:207], v[182:183]
	v_add_f64 v[130:131], v[130:131], -v[220:221]
	v_fma_f64 v[180:181], v[204:205], v[214:215], -v[180:181]
	v_mul_f64 v[204:205], v[204:205], v[182:183]
	ds_read2_b64 v[220:223], v216 offset0:38 offset1:39
	v_fmac_f64_e32 v[204:205], v[206:207], v[214:215]
	s_waitcnt vmcnt(32)
	v_add_f64 v[126:127], v[126:127], -v[204:205]
	ds_read2_b64 v[204:207], v216 offset0:40 offset1:41
	v_add_f64 v[124:125], v[124:125], -v[180:181]
	s_waitcnt lgkmcnt(1)
	v_mul_f64 v[180:181], v[222:223], v[182:183]
	v_fma_f64 v[180:181], v[220:221], v[214:215], -v[180:181]
	v_mul_f64 v[220:221], v[220:221], v[182:183]
	v_fmac_f64_e32 v[220:221], v[222:223], v[214:215]
	s_waitcnt vmcnt(31)
	v_add_f64 v[120:121], v[120:121], -v[180:181]
	s_waitcnt lgkmcnt(0)
	v_mul_f64 v[180:181], v[206:207], v[182:183]
	v_add_f64 v[122:123], v[122:123], -v[220:221]
	v_fma_f64 v[180:181], v[204:205], v[214:215], -v[180:181]
	v_mul_f64 v[204:205], v[204:205], v[182:183]
	ds_read2_b64 v[220:223], v216 offset0:42 offset1:43
	v_fmac_f64_e32 v[204:205], v[206:207], v[214:215]
	s_waitcnt vmcnt(30)
	v_add_f64 v[118:119], v[118:119], -v[204:205]
	ds_read2_b64 v[204:207], v216 offset0:44 offset1:45
	v_add_f64 v[116:117], v[116:117], -v[180:181]
	s_waitcnt lgkmcnt(1)
	v_mul_f64 v[180:181], v[222:223], v[182:183]
	v_fma_f64 v[180:181], v[220:221], v[214:215], -v[180:181]
	v_mul_f64 v[220:221], v[220:221], v[182:183]
	v_fmac_f64_e32 v[220:221], v[222:223], v[214:215]
	s_waitcnt vmcnt(29)
	v_add_f64 v[112:113], v[112:113], -v[180:181]
	s_waitcnt lgkmcnt(0)
	v_mul_f64 v[180:181], v[206:207], v[182:183]
	v_add_f64 v[114:115], v[114:115], -v[220:221]
	v_fma_f64 v[180:181], v[204:205], v[214:215], -v[180:181]
	v_mul_f64 v[204:205], v[204:205], v[182:183]
	ds_read2_b64 v[220:223], v216 offset0:46 offset1:47
	v_fmac_f64_e32 v[204:205], v[206:207], v[214:215]
	s_waitcnt vmcnt(28)
	v_add_f64 v[110:111], v[110:111], -v[204:205]
	ds_read2_b64 v[204:207], v216 offset0:48 offset1:49
	v_add_f64 v[108:109], v[108:109], -v[180:181]
	s_waitcnt lgkmcnt(1)
	v_mul_f64 v[180:181], v[222:223], v[182:183]
	v_fma_f64 v[180:181], v[220:221], v[214:215], -v[180:181]
	v_mul_f64 v[220:221], v[220:221], v[182:183]
	v_fmac_f64_e32 v[220:221], v[222:223], v[214:215]
	s_waitcnt vmcnt(27)
	v_add_f64 v[104:105], v[104:105], -v[180:181]
	s_waitcnt lgkmcnt(0)
	v_mul_f64 v[180:181], v[206:207], v[182:183]
	v_add_f64 v[106:107], v[106:107], -v[220:221]
	v_fma_f64 v[180:181], v[204:205], v[214:215], -v[180:181]
	v_mul_f64 v[204:205], v[204:205], v[182:183]
	ds_read2_b64 v[220:223], v216 offset0:50 offset1:51
	v_fmac_f64_e32 v[204:205], v[206:207], v[214:215]
	s_waitcnt vmcnt(26)
	v_add_f64 v[102:103], v[102:103], -v[204:205]
	ds_read2_b64 v[204:207], v216 offset0:52 offset1:53
	v_add_f64 v[100:101], v[100:101], -v[180:181]
	s_waitcnt lgkmcnt(1)
	v_mul_f64 v[180:181], v[222:223], v[182:183]
	v_fma_f64 v[180:181], v[220:221], v[214:215], -v[180:181]
	v_mul_f64 v[220:221], v[220:221], v[182:183]
	v_fmac_f64_e32 v[220:221], v[222:223], v[214:215]
	s_waitcnt vmcnt(25)
	v_add_f64 v[96:97], v[96:97], -v[180:181]
	s_waitcnt lgkmcnt(0)
	v_mul_f64 v[180:181], v[206:207], v[182:183]
	v_add_f64 v[98:99], v[98:99], -v[220:221]
	v_fma_f64 v[180:181], v[204:205], v[214:215], -v[180:181]
	v_mul_f64 v[204:205], v[204:205], v[182:183]
	ds_read2_b64 v[220:223], v216 offset0:54 offset1:55
	v_fmac_f64_e32 v[204:205], v[206:207], v[214:215]
	s_waitcnt vmcnt(24)
	v_add_f64 v[94:95], v[94:95], -v[204:205]
	ds_read2_b64 v[204:207], v216 offset0:56 offset1:57
	v_add_f64 v[92:93], v[92:93], -v[180:181]
	s_waitcnt lgkmcnt(1)
	v_mul_f64 v[180:181], v[222:223], v[182:183]
	v_fma_f64 v[180:181], v[220:221], v[214:215], -v[180:181]
	v_mul_f64 v[220:221], v[220:221], v[182:183]
	v_fmac_f64_e32 v[220:221], v[222:223], v[214:215]
	s_waitcnt vmcnt(23)
	v_add_f64 v[88:89], v[88:89], -v[180:181]
	s_waitcnt lgkmcnt(0)
	v_mul_f64 v[180:181], v[206:207], v[182:183]
	v_add_f64 v[90:91], v[90:91], -v[220:221]
	v_fma_f64 v[180:181], v[204:205], v[214:215], -v[180:181]
	v_mul_f64 v[204:205], v[204:205], v[182:183]
	ds_read2_b64 v[220:223], v216 offset0:58 offset1:59
	v_fmac_f64_e32 v[204:205], v[206:207], v[214:215]
	s_waitcnt vmcnt(22)
	v_add_f64 v[86:87], v[86:87], -v[204:205]
	ds_read2_b64 v[204:207], v216 offset0:60 offset1:61
	v_add_f64 v[84:85], v[84:85], -v[180:181]
	s_waitcnt lgkmcnt(1)
	v_mul_f64 v[180:181], v[222:223], v[182:183]
	v_fma_f64 v[180:181], v[220:221], v[214:215], -v[180:181]
	v_mul_f64 v[220:221], v[220:221], v[182:183]
	v_fmac_f64_e32 v[220:221], v[222:223], v[214:215]
	s_waitcnt vmcnt(21)
	v_add_f64 v[80:81], v[80:81], -v[180:181]
	s_waitcnt lgkmcnt(0)
	v_mul_f64 v[180:181], v[206:207], v[182:183]
	v_add_f64 v[82:83], v[82:83], -v[220:221]
	v_fma_f64 v[180:181], v[204:205], v[214:215], -v[180:181]
	v_mul_f64 v[204:205], v[204:205], v[182:183]
	ds_read2_b64 v[220:223], v216 offset0:62 offset1:63
	v_fmac_f64_e32 v[204:205], v[206:207], v[214:215]
	s_waitcnt vmcnt(20)
	v_add_f64 v[78:79], v[78:79], -v[204:205]
	ds_read2_b64 v[204:207], v216 offset0:64 offset1:65
	v_add_f64 v[76:77], v[76:77], -v[180:181]
	s_waitcnt lgkmcnt(1)
	v_mul_f64 v[180:181], v[222:223], v[182:183]
	v_fma_f64 v[180:181], v[220:221], v[214:215], -v[180:181]
	v_mul_f64 v[220:221], v[220:221], v[182:183]
	v_fmac_f64_e32 v[220:221], v[222:223], v[214:215]
	s_waitcnt vmcnt(19)
	v_add_f64 v[72:73], v[72:73], -v[180:181]
	s_waitcnt lgkmcnt(0)
	v_mul_f64 v[180:181], v[206:207], v[182:183]
	v_add_f64 v[74:75], v[74:75], -v[220:221]
	v_fma_f64 v[180:181], v[204:205], v[214:215], -v[180:181]
	v_mul_f64 v[204:205], v[204:205], v[182:183]
	ds_read2_b64 v[220:223], v216 offset0:66 offset1:67
	v_fmac_f64_e32 v[204:205], v[206:207], v[214:215]
	s_waitcnt vmcnt(18)
	v_add_f64 v[70:71], v[70:71], -v[204:205]
	ds_read2_b64 v[204:207], v216 offset0:68 offset1:69
	v_add_f64 v[68:69], v[68:69], -v[180:181]
	s_waitcnt lgkmcnt(1)
	v_mul_f64 v[180:181], v[222:223], v[182:183]
	v_fma_f64 v[180:181], v[220:221], v[214:215], -v[180:181]
	v_mul_f64 v[220:221], v[220:221], v[182:183]
	v_fmac_f64_e32 v[220:221], v[222:223], v[214:215]
	s_waitcnt vmcnt(17)
	v_add_f64 v[64:65], v[64:65], -v[180:181]
	s_waitcnt lgkmcnt(0)
	v_mul_f64 v[180:181], v[206:207], v[182:183]
	v_add_f64 v[66:67], v[66:67], -v[220:221]
	v_fma_f64 v[180:181], v[204:205], v[214:215], -v[180:181]
	v_mul_f64 v[204:205], v[204:205], v[182:183]
	ds_read2_b64 v[220:223], v216 offset0:70 offset1:71
	v_fmac_f64_e32 v[204:205], v[206:207], v[214:215]
	s_waitcnt vmcnt(16)
	v_add_f64 v[62:63], v[62:63], -v[204:205]
	ds_read2_b64 v[204:207], v216 offset0:72 offset1:73
	v_add_f64 v[60:61], v[60:61], -v[180:181]
	s_waitcnt lgkmcnt(1)
	v_mul_f64 v[180:181], v[222:223], v[182:183]
	v_fma_f64 v[180:181], v[220:221], v[214:215], -v[180:181]
	v_mul_f64 v[220:221], v[220:221], v[182:183]
	v_fmac_f64_e32 v[220:221], v[222:223], v[214:215]
	s_waitcnt vmcnt(15)
	v_add_f64 v[56:57], v[56:57], -v[180:181]
	s_waitcnt lgkmcnt(0)
	v_mul_f64 v[180:181], v[206:207], v[182:183]
	v_add_f64 v[58:59], v[58:59], -v[220:221]
	v_fma_f64 v[180:181], v[204:205], v[214:215], -v[180:181]
	v_mul_f64 v[204:205], v[204:205], v[182:183]
	ds_read2_b64 v[220:223], v216 offset0:74 offset1:75
	v_fmac_f64_e32 v[204:205], v[206:207], v[214:215]
	s_waitcnt vmcnt(14)
	v_add_f64 v[54:55], v[54:55], -v[204:205]
	ds_read2_b64 v[204:207], v216 offset0:76 offset1:77
	v_add_f64 v[52:53], v[52:53], -v[180:181]
	s_waitcnt lgkmcnt(1)
	v_mul_f64 v[180:181], v[222:223], v[182:183]
	v_fma_f64 v[180:181], v[220:221], v[214:215], -v[180:181]
	v_mul_f64 v[220:221], v[220:221], v[182:183]
	v_fmac_f64_e32 v[220:221], v[222:223], v[214:215]
	s_waitcnt vmcnt(13)
	v_add_f64 v[48:49], v[48:49], -v[180:181]
	s_waitcnt lgkmcnt(0)
	v_mul_f64 v[180:181], v[206:207], v[182:183]
	v_add_f64 v[50:51], v[50:51], -v[220:221]
	v_fma_f64 v[180:181], v[204:205], v[214:215], -v[180:181]
	v_mul_f64 v[204:205], v[204:205], v[182:183]
	ds_read2_b64 v[220:223], v216 offset0:78 offset1:79
	v_fmac_f64_e32 v[204:205], v[206:207], v[214:215]
	s_waitcnt vmcnt(12)
	v_add_f64 v[46:47], v[46:47], -v[204:205]
	ds_read2_b64 v[204:207], v216 offset0:80 offset1:81
	v_add_f64 v[44:45], v[44:45], -v[180:181]
	s_waitcnt lgkmcnt(1)
	v_mul_f64 v[180:181], v[222:223], v[182:183]
	v_fma_f64 v[180:181], v[220:221], v[214:215], -v[180:181]
	v_mul_f64 v[220:221], v[220:221], v[182:183]
	v_fmac_f64_e32 v[220:221], v[222:223], v[214:215]
	s_waitcnt vmcnt(11)
	v_add_f64 v[40:41], v[40:41], -v[180:181]
	s_waitcnt lgkmcnt(0)
	v_mul_f64 v[180:181], v[206:207], v[182:183]
	v_add_f64 v[42:43], v[42:43], -v[220:221]
	v_fma_f64 v[180:181], v[204:205], v[214:215], -v[180:181]
	v_mul_f64 v[204:205], v[204:205], v[182:183]
	ds_read2_b64 v[220:223], v216 offset0:82 offset1:83
	v_fmac_f64_e32 v[204:205], v[206:207], v[214:215]
	s_waitcnt vmcnt(10)
	v_add_f64 v[38:39], v[38:39], -v[204:205]
	ds_read2_b64 v[204:207], v216 offset0:84 offset1:85
	v_add_f64 v[36:37], v[36:37], -v[180:181]
	s_waitcnt lgkmcnt(1)
	v_mul_f64 v[180:181], v[222:223], v[182:183]
	v_fma_f64 v[180:181], v[220:221], v[214:215], -v[180:181]
	v_mul_f64 v[220:221], v[220:221], v[182:183]
	v_fmac_f64_e32 v[220:221], v[222:223], v[214:215]
	s_waitcnt vmcnt(9)
	v_add_f64 v[32:33], v[32:33], -v[180:181]
	s_waitcnt lgkmcnt(0)
	v_mul_f64 v[180:181], v[206:207], v[182:183]
	v_add_f64 v[34:35], v[34:35], -v[220:221]
	v_fma_f64 v[180:181], v[204:205], v[214:215], -v[180:181]
	v_mul_f64 v[204:205], v[204:205], v[182:183]
	ds_read2_b64 v[220:223], v216 offset0:86 offset1:87
	v_fmac_f64_e32 v[204:205], v[206:207], v[214:215]
	s_waitcnt vmcnt(8)
	v_add_f64 v[30:31], v[30:31], -v[204:205]
	ds_read2_b64 v[204:207], v216 offset0:88 offset1:89
	v_add_f64 v[28:29], v[28:29], -v[180:181]
	s_waitcnt lgkmcnt(1)
	v_mul_f64 v[180:181], v[222:223], v[182:183]
	v_fma_f64 v[180:181], v[220:221], v[214:215], -v[180:181]
	v_mul_f64 v[220:221], v[220:221], v[182:183]
	v_fmac_f64_e32 v[220:221], v[222:223], v[214:215]
	s_waitcnt vmcnt(7)
	v_add_f64 v[24:25], v[24:25], -v[180:181]
	s_waitcnt lgkmcnt(0)
	v_mul_f64 v[180:181], v[206:207], v[182:183]
	v_add_f64 v[26:27], v[26:27], -v[220:221]
	v_fma_f64 v[180:181], v[204:205], v[214:215], -v[180:181]
	v_mul_f64 v[204:205], v[204:205], v[182:183]
	ds_read2_b64 v[220:223], v216 offset0:90 offset1:91
	v_fmac_f64_e32 v[204:205], v[206:207], v[214:215]
	s_waitcnt vmcnt(6)
	v_add_f64 v[22:23], v[22:23], -v[204:205]
	ds_read2_b64 v[204:207], v216 offset0:92 offset1:93
	v_add_f64 v[20:21], v[20:21], -v[180:181]
	s_waitcnt lgkmcnt(1)
	v_mul_f64 v[180:181], v[222:223], v[182:183]
	v_fma_f64 v[180:181], v[220:221], v[214:215], -v[180:181]
	v_mul_f64 v[220:221], v[220:221], v[182:183]
	v_fmac_f64_e32 v[220:221], v[222:223], v[214:215]
	s_waitcnt vmcnt(5)
	v_add_f64 v[16:17], v[16:17], -v[180:181]
	s_waitcnt lgkmcnt(0)
	v_mul_f64 v[180:181], v[206:207], v[182:183]
	v_add_f64 v[18:19], v[18:19], -v[220:221]
	v_fma_f64 v[180:181], v[204:205], v[214:215], -v[180:181]
	v_mul_f64 v[204:205], v[204:205], v[182:183]
	ds_read2_b64 v[220:223], v216 offset0:94 offset1:95
	v_fmac_f64_e32 v[204:205], v[206:207], v[214:215]
	s_waitcnt vmcnt(4)
	v_add_f64 v[14:15], v[14:15], -v[204:205]
	ds_read2_b64 v[204:207], v216 offset0:96 offset1:97
	v_add_f64 v[12:13], v[12:13], -v[180:181]
	s_waitcnt lgkmcnt(1)
	v_mul_f64 v[180:181], v[222:223], v[182:183]
	v_fma_f64 v[180:181], v[220:221], v[214:215], -v[180:181]
	v_mul_f64 v[220:221], v[220:221], v[182:183]
	v_fmac_f64_e32 v[220:221], v[222:223], v[214:215]
	s_waitcnt vmcnt(3)
	v_add_f64 v[8:9], v[8:9], -v[180:181]
	s_waitcnt lgkmcnt(0)
	v_mul_f64 v[180:181], v[206:207], v[182:183]
	v_add_f64 v[10:11], v[10:11], -v[220:221]
	v_fma_f64 v[180:181], v[204:205], v[214:215], -v[180:181]
	v_mul_f64 v[204:205], v[204:205], v[182:183]
	ds_read2_b64 v[220:223], v216 offset0:98 offset1:99
	v_fmac_f64_e32 v[204:205], v[206:207], v[214:215]
	s_waitcnt vmcnt(2)
	v_add_f64 v[6:7], v[6:7], -v[204:205]
	ds_read2_b64 v[204:207], v216 offset0:100 offset1:101
	v_add_f64 v[4:5], v[4:5], -v[180:181]
	s_waitcnt lgkmcnt(1)
	v_mul_f64 v[180:181], v[222:223], v[182:183]
	v_fma_f64 v[180:181], v[220:221], v[214:215], -v[180:181]
	s_waitcnt vmcnt(1)
	v_add_f64 v[0:1], v[0:1], -v[180:181]
	s_waitcnt lgkmcnt(0)
	v_mul_f64 v[180:181], v[206:207], v[182:183]
	v_mul_f64 v[220:221], v[220:221], v[182:183]
	v_fma_f64 v[180:181], v[204:205], v[214:215], -v[180:181]
	v_mul_f64 v[204:205], v[204:205], v[182:183]
	v_fmac_f64_e32 v[220:221], v[222:223], v[214:215]
	v_fmac_f64_e32 v[204:205], v[206:207], v[214:215]
	v_add_f64 v[2:3], v[2:3], -v[220:221]
	s_waitcnt vmcnt(0)
	v_add_f64 v[200:201], v[200:201], -v[180:181]
	v_add_f64 v[202:203], v[202:203], -v[204:205]
	v_mov_b64_e32 v[180:181], v[214:215]
.LBB100_146:
	s_or_b64 exec, exec, s[0:1]
	v_lshl_add_u32 v204, v217, 4, v216
	s_barrier
	s_waitcnt vmcnt(43)
	ds_write2_b64 v204, v[176:177], v[178:179] offset1:1
	s_waitcnt lgkmcnt(0)
	s_barrier
	ds_read2_b64 v[204:207], v216 offset0:14 offset1:15
	s_cmp_lt_i32 s20, 9
	v_mov_b32_e32 v214, 7
	s_cbranch_scc1 .LBB100_149
; %bb.147:
	v_add_u32_e32 v215, 0x80, v216
	s_mov_b32 s16, 8
	v_mov_b32_e32 v214, 7
.LBB100_148:                            ; =>This Inner Loop Header: Depth=1
	ds_read2_b64 v[220:223], v215 offset1:1
	s_waitcnt lgkmcnt(1)
	v_xor_b32_e32 v225, 0x80000000, v205
	v_xor_b32_e32 v227, 0x80000000, v207
	v_cmp_gt_f64_e32 vcc, 0, v[206:207]
	v_cmp_gt_f64_e64 s[0:1], 0, v[204:205]
	v_mov_b32_e32 v224, v204
	v_mov_b32_e32 v226, v206
	v_cndmask_b32_e64 v225, v205, v225, s[0:1]
	v_cndmask_b32_e32 v227, v207, v227, vcc
	v_add_f64 v[224:225], v[224:225], v[226:227]
	s_waitcnt lgkmcnt(0)
	v_xor_b32_e32 v227, 0x80000000, v221
	v_xor_b32_e32 v229, 0x80000000, v223
	v_cmp_gt_f64_e32 vcc, 0, v[222:223]
	v_cmp_gt_f64_e64 s[0:1], 0, v[220:221]
	v_mov_b32_e32 v226, v220
	v_mov_b32_e32 v228, v222
	v_cndmask_b32_e64 v227, v221, v227, s[0:1]
	v_cndmask_b32_e32 v229, v223, v229, vcc
	v_add_f64 v[226:227], v[226:227], v[228:229]
	v_mov_b32_e32 v230, s16
	s_add_i32 s16, s16, 1
	v_cmp_lt_f64_e32 vcc, v[224:225], v[226:227]
	v_add_u32_e32 v215, 16, v215
	s_cmp_lg_u32 s20, s16
	v_cndmask_b32_e32 v205, v205, v221, vcc
	v_cndmask_b32_e32 v204, v204, v220, vcc
	;; [unrolled: 1-line block ×5, first 2 shown]
	s_cbranch_scc1 .LBB100_148
.LBB100_149:
	s_waitcnt lgkmcnt(0)
	v_cmp_eq_f64_e32 vcc, 0, v[204:205]
	v_cmp_eq_f64_e64 s[0:1], 0, v[206:207]
	s_and_b64 s[0:1], vcc, s[0:1]
	s_and_saveexec_b64 s[16:17], s[0:1]
	s_xor_b64 s[0:1], exec, s[16:17]
; %bb.150:
	v_cmp_ne_u32_e32 vcc, 0, v218
	s_nop 1
	v_cndmask_b32_e32 v218, 8, v218, vcc
; %bb.151:
	s_andn2_saveexec_b64 s[0:1], s[0:1]
	s_cbranch_execz .LBB100_157
; %bb.152:
	v_cmp_ngt_f64_e64 s[16:17], |v[204:205]|, |v[206:207]|
	s_and_saveexec_b64 s[18:19], s[16:17]
	s_xor_b64 s[16:17], exec, s[18:19]
	s_cbranch_execz .LBB100_154
; %bb.153:
	v_div_scale_f64 v[220:221], s[18:19], v[206:207], v[206:207], v[204:205]
	v_rcp_f64_e32 v[222:223], v[220:221]
	v_div_scale_f64 v[224:225], vcc, v[204:205], v[206:207], v[204:205]
	v_fma_f64 v[226:227], -v[220:221], v[222:223], 1.0
	v_fmac_f64_e32 v[222:223], v[222:223], v[226:227]
	v_fma_f64 v[226:227], -v[220:221], v[222:223], 1.0
	v_fmac_f64_e32 v[222:223], v[222:223], v[226:227]
	v_mul_f64 v[226:227], v[224:225], v[222:223]
	v_fma_f64 v[220:221], -v[220:221], v[226:227], v[224:225]
	v_div_fmas_f64 v[220:221], v[220:221], v[222:223], v[226:227]
	v_div_fixup_f64 v[220:221], v[220:221], v[206:207], v[204:205]
	v_fmac_f64_e32 v[206:207], v[204:205], v[220:221]
	v_div_scale_f64 v[204:205], s[18:19], v[206:207], v[206:207], 1.0
	v_rcp_f64_e32 v[222:223], v[204:205]
	s_nop 0
	v_fma_f64 v[224:225], -v[204:205], v[222:223], 1.0
	v_fmac_f64_e32 v[222:223], v[222:223], v[224:225]
	v_fma_f64 v[224:225], -v[204:205], v[222:223], 1.0
	v_fmac_f64_e32 v[222:223], v[222:223], v[224:225]
	v_div_scale_f64 v[224:225], vcc, 1.0, v[206:207], 1.0
	v_mul_f64 v[226:227], v[224:225], v[222:223]
	v_fma_f64 v[204:205], -v[204:205], v[226:227], v[224:225]
	s_nop 1
	v_div_fmas_f64 v[204:205], v[204:205], v[222:223], v[226:227]
	v_div_fixup_f64 v[206:207], v[204:205], v[206:207], 1.0
	v_mul_f64 v[204:205], v[220:221], v[206:207]
	v_xor_b32_e32 v207, 0x80000000, v207
.LBB100_154:
	s_andn2_saveexec_b64 s[16:17], s[16:17]
	s_cbranch_execz .LBB100_156
; %bb.155:
	v_div_scale_f64 v[220:221], s[18:19], v[204:205], v[204:205], v[206:207]
	v_rcp_f64_e32 v[222:223], v[220:221]
	v_div_scale_f64 v[224:225], vcc, v[206:207], v[204:205], v[206:207]
	v_fma_f64 v[226:227], -v[220:221], v[222:223], 1.0
	v_fmac_f64_e32 v[222:223], v[222:223], v[226:227]
	v_fma_f64 v[226:227], -v[220:221], v[222:223], 1.0
	v_fmac_f64_e32 v[222:223], v[222:223], v[226:227]
	v_mul_f64 v[226:227], v[224:225], v[222:223]
	v_fma_f64 v[220:221], -v[220:221], v[226:227], v[224:225]
	v_div_fmas_f64 v[220:221], v[220:221], v[222:223], v[226:227]
	v_div_fixup_f64 v[220:221], v[220:221], v[204:205], v[206:207]
	v_fmac_f64_e32 v[204:205], v[206:207], v[220:221]
	v_div_scale_f64 v[206:207], s[18:19], v[204:205], v[204:205], 1.0
	v_rcp_f64_e32 v[222:223], v[206:207]
	s_nop 0
	v_fma_f64 v[224:225], -v[206:207], v[222:223], 1.0
	v_fmac_f64_e32 v[222:223], v[222:223], v[224:225]
	v_fma_f64 v[224:225], -v[206:207], v[222:223], 1.0
	v_fmac_f64_e32 v[222:223], v[222:223], v[224:225]
	v_div_scale_f64 v[224:225], vcc, 1.0, v[204:205], 1.0
	v_mul_f64 v[226:227], v[224:225], v[222:223]
	v_fma_f64 v[206:207], -v[206:207], v[226:227], v[224:225]
	s_nop 1
	v_div_fmas_f64 v[206:207], v[206:207], v[222:223], v[226:227]
	v_div_fixup_f64 v[204:205], v[206:207], v[204:205], 1.0
	v_mul_f64 v[206:207], v[220:221], -v[204:205]
.LBB100_156:
	s_or_b64 exec, exec, s[16:17]
.LBB100_157:
	s_or_b64 exec, exec, s[0:1]
	v_cmp_ne_u32_e32 vcc, v217, v214
	s_and_saveexec_b64 s[0:1], vcc
	s_xor_b64 s[0:1], exec, s[0:1]
	s_cbranch_execz .LBB100_163
; %bb.158:
	v_cmp_eq_u32_e32 vcc, 7, v217
	s_and_saveexec_b64 s[16:17], vcc
	s_cbranch_execz .LBB100_162
; %bb.159:
	v_cmp_ne_u32_e32 vcc, 7, v214
	s_xor_b64 s[18:19], s[14:15], -1
	s_and_b64 s[22:23], s[18:19], vcc
	s_and_saveexec_b64 s[18:19], s[22:23]
	s_cbranch_execz .LBB100_161
; %bb.160:
	v_ashrrev_i32_e32 v215, 31, v214
	v_lshl_add_u64 v[220:221], v[214:215], 2, v[212:213]
	global_load_dword v215, v[220:221], off
	global_load_dword v217, v[212:213], off offset:28
	s_waitcnt vmcnt(1)
	global_store_dword v[212:213], v215, off offset:28
	s_waitcnt vmcnt(1)
	global_store_dword v[220:221], v217, off
.LBB100_161:
	s_or_b64 exec, exec, s[18:19]
	v_mov_b32_e32 v217, v214
	v_mov_b32_e32 v219, v214
.LBB100_162:
	s_or_b64 exec, exec, s[16:17]
.LBB100_163:
	s_andn2_saveexec_b64 s[0:1], s[0:1]
	s_cbranch_execz .LBB100_165
; %bb.164:
	v_mov_b32_e32 v217, 7
	s_waitcnt vmcnt(42)
	ds_write2_b64 v216, v[172:173], v[174:175] offset0:16 offset1:17
	s_waitcnt vmcnt(41)
	ds_write2_b64 v216, v[168:169], v[170:171] offset0:18 offset1:19
	;; [unrolled: 2-line block ×43, first 2 shown]
.LBB100_165:
	s_or_b64 exec, exec, s[0:1]
	v_cmp_lt_i32_e32 vcc, 7, v217
	s_waitcnt lgkmcnt(0)
	s_barrier
	s_and_saveexec_b64 s[0:1], vcc
	s_cbranch_execz .LBB100_167
; %bb.166:
	ds_read2_b64 v[220:223], v216 offset0:16 offset1:17
	v_mul_f64 v[214:215], v[206:207], v[178:179]
	v_mul_f64 v[178:179], v[204:205], v[178:179]
	v_fmac_f64_e32 v[178:179], v[206:207], v[176:177]
	v_fma_f64 v[214:215], v[204:205], v[176:177], -v[214:215]
	ds_read2_b64 v[204:207], v216 offset0:18 offset1:19
	s_waitcnt lgkmcnt(1)
	v_mul_f64 v[176:177], v[222:223], v[178:179]
	v_fma_f64 v[176:177], v[220:221], v[214:215], -v[176:177]
	v_mul_f64 v[220:221], v[220:221], v[178:179]
	v_fmac_f64_e32 v[220:221], v[222:223], v[214:215]
	s_waitcnt vmcnt(42)
	v_add_f64 v[174:175], v[174:175], -v[220:221]
	ds_read2_b64 v[220:223], v216 offset0:20 offset1:21
	v_add_f64 v[172:173], v[172:173], -v[176:177]
	s_waitcnt lgkmcnt(1)
	v_mul_f64 v[176:177], v[206:207], v[178:179]
	v_fma_f64 v[176:177], v[204:205], v[214:215], -v[176:177]
	v_mul_f64 v[204:205], v[204:205], v[178:179]
	v_fmac_f64_e32 v[204:205], v[206:207], v[214:215]
	s_waitcnt vmcnt(41)
	v_add_f64 v[168:169], v[168:169], -v[176:177]
	v_add_f64 v[170:171], v[170:171], -v[204:205]
	ds_read2_b64 v[204:207], v216 offset0:22 offset1:23
	s_waitcnt lgkmcnt(1)
	v_mul_f64 v[176:177], v[222:223], v[178:179]
	v_fma_f64 v[176:177], v[220:221], v[214:215], -v[176:177]
	v_mul_f64 v[220:221], v[220:221], v[178:179]
	v_fmac_f64_e32 v[220:221], v[222:223], v[214:215]
	s_waitcnt vmcnt(40)
	v_add_f64 v[166:167], v[166:167], -v[220:221]
	ds_read2_b64 v[220:223], v216 offset0:24 offset1:25
	v_add_f64 v[164:165], v[164:165], -v[176:177]
	s_waitcnt lgkmcnt(1)
	v_mul_f64 v[176:177], v[206:207], v[178:179]
	v_fma_f64 v[176:177], v[204:205], v[214:215], -v[176:177]
	v_mul_f64 v[204:205], v[204:205], v[178:179]
	v_fmac_f64_e32 v[204:205], v[206:207], v[214:215]
	s_waitcnt vmcnt(39)
	v_add_f64 v[160:161], v[160:161], -v[176:177]
	v_add_f64 v[162:163], v[162:163], -v[204:205]
	ds_read2_b64 v[204:207], v216 offset0:26 offset1:27
	s_waitcnt lgkmcnt(1)
	v_mul_f64 v[176:177], v[222:223], v[178:179]
	v_fma_f64 v[176:177], v[220:221], v[214:215], -v[176:177]
	v_mul_f64 v[220:221], v[220:221], v[178:179]
	v_fmac_f64_e32 v[220:221], v[222:223], v[214:215]
	s_waitcnt vmcnt(38)
	v_add_f64 v[158:159], v[158:159], -v[220:221]
	ds_read2_b64 v[220:223], v216 offset0:28 offset1:29
	v_add_f64 v[156:157], v[156:157], -v[176:177]
	s_waitcnt lgkmcnt(1)
	v_mul_f64 v[176:177], v[206:207], v[178:179]
	v_fma_f64 v[176:177], v[204:205], v[214:215], -v[176:177]
	v_mul_f64 v[204:205], v[204:205], v[178:179]
	v_fmac_f64_e32 v[204:205], v[206:207], v[214:215]
	s_waitcnt vmcnt(37)
	v_add_f64 v[152:153], v[152:153], -v[176:177]
	v_add_f64 v[154:155], v[154:155], -v[204:205]
	ds_read2_b64 v[204:207], v216 offset0:30 offset1:31
	s_waitcnt lgkmcnt(1)
	v_mul_f64 v[176:177], v[222:223], v[178:179]
	v_fma_f64 v[176:177], v[220:221], v[214:215], -v[176:177]
	v_mul_f64 v[220:221], v[220:221], v[178:179]
	v_fmac_f64_e32 v[220:221], v[222:223], v[214:215]
	s_waitcnt vmcnt(36)
	v_add_f64 v[150:151], v[150:151], -v[220:221]
	ds_read2_b64 v[220:223], v216 offset0:32 offset1:33
	v_add_f64 v[148:149], v[148:149], -v[176:177]
	s_waitcnt lgkmcnt(1)
	v_mul_f64 v[176:177], v[206:207], v[178:179]
	v_fma_f64 v[176:177], v[204:205], v[214:215], -v[176:177]
	v_mul_f64 v[204:205], v[204:205], v[178:179]
	v_fmac_f64_e32 v[204:205], v[206:207], v[214:215]
	s_waitcnt vmcnt(35)
	v_add_f64 v[144:145], v[144:145], -v[176:177]
	v_add_f64 v[146:147], v[146:147], -v[204:205]
	ds_read2_b64 v[204:207], v216 offset0:34 offset1:35
	s_waitcnt lgkmcnt(1)
	v_mul_f64 v[176:177], v[222:223], v[178:179]
	v_fma_f64 v[176:177], v[220:221], v[214:215], -v[176:177]
	v_mul_f64 v[220:221], v[220:221], v[178:179]
	v_fmac_f64_e32 v[220:221], v[222:223], v[214:215]
	s_waitcnt vmcnt(34)
	v_add_f64 v[142:143], v[142:143], -v[220:221]
	ds_read2_b64 v[220:223], v216 offset0:36 offset1:37
	v_add_f64 v[140:141], v[140:141], -v[176:177]
	s_waitcnt lgkmcnt(1)
	v_mul_f64 v[176:177], v[206:207], v[178:179]
	v_fma_f64 v[176:177], v[204:205], v[214:215], -v[176:177]
	v_mul_f64 v[204:205], v[204:205], v[178:179]
	v_fmac_f64_e32 v[204:205], v[206:207], v[214:215]
	s_waitcnt vmcnt(33)
	v_add_f64 v[128:129], v[128:129], -v[176:177]
	v_add_f64 v[130:131], v[130:131], -v[204:205]
	ds_read2_b64 v[204:207], v216 offset0:38 offset1:39
	s_waitcnt lgkmcnt(1)
	v_mul_f64 v[176:177], v[222:223], v[178:179]
	v_fma_f64 v[176:177], v[220:221], v[214:215], -v[176:177]
	v_mul_f64 v[220:221], v[220:221], v[178:179]
	v_fmac_f64_e32 v[220:221], v[222:223], v[214:215]
	s_waitcnt vmcnt(32)
	v_add_f64 v[126:127], v[126:127], -v[220:221]
	ds_read2_b64 v[220:223], v216 offset0:40 offset1:41
	v_add_f64 v[124:125], v[124:125], -v[176:177]
	s_waitcnt lgkmcnt(1)
	v_mul_f64 v[176:177], v[206:207], v[178:179]
	v_fma_f64 v[176:177], v[204:205], v[214:215], -v[176:177]
	v_mul_f64 v[204:205], v[204:205], v[178:179]
	v_fmac_f64_e32 v[204:205], v[206:207], v[214:215]
	s_waitcnt vmcnt(31)
	v_add_f64 v[120:121], v[120:121], -v[176:177]
	v_add_f64 v[122:123], v[122:123], -v[204:205]
	ds_read2_b64 v[204:207], v216 offset0:42 offset1:43
	s_waitcnt lgkmcnt(1)
	v_mul_f64 v[176:177], v[222:223], v[178:179]
	v_fma_f64 v[176:177], v[220:221], v[214:215], -v[176:177]
	v_mul_f64 v[220:221], v[220:221], v[178:179]
	v_fmac_f64_e32 v[220:221], v[222:223], v[214:215]
	s_waitcnt vmcnt(30)
	v_add_f64 v[118:119], v[118:119], -v[220:221]
	ds_read2_b64 v[220:223], v216 offset0:44 offset1:45
	v_add_f64 v[116:117], v[116:117], -v[176:177]
	s_waitcnt lgkmcnt(1)
	v_mul_f64 v[176:177], v[206:207], v[178:179]
	v_fma_f64 v[176:177], v[204:205], v[214:215], -v[176:177]
	v_mul_f64 v[204:205], v[204:205], v[178:179]
	v_fmac_f64_e32 v[204:205], v[206:207], v[214:215]
	s_waitcnt vmcnt(29)
	v_add_f64 v[112:113], v[112:113], -v[176:177]
	v_add_f64 v[114:115], v[114:115], -v[204:205]
	ds_read2_b64 v[204:207], v216 offset0:46 offset1:47
	s_waitcnt lgkmcnt(1)
	v_mul_f64 v[176:177], v[222:223], v[178:179]
	v_fma_f64 v[176:177], v[220:221], v[214:215], -v[176:177]
	v_mul_f64 v[220:221], v[220:221], v[178:179]
	v_fmac_f64_e32 v[220:221], v[222:223], v[214:215]
	s_waitcnt vmcnt(28)
	v_add_f64 v[110:111], v[110:111], -v[220:221]
	ds_read2_b64 v[220:223], v216 offset0:48 offset1:49
	v_add_f64 v[108:109], v[108:109], -v[176:177]
	s_waitcnt lgkmcnt(1)
	v_mul_f64 v[176:177], v[206:207], v[178:179]
	v_fma_f64 v[176:177], v[204:205], v[214:215], -v[176:177]
	v_mul_f64 v[204:205], v[204:205], v[178:179]
	v_fmac_f64_e32 v[204:205], v[206:207], v[214:215]
	s_waitcnt vmcnt(27)
	v_add_f64 v[104:105], v[104:105], -v[176:177]
	v_add_f64 v[106:107], v[106:107], -v[204:205]
	ds_read2_b64 v[204:207], v216 offset0:50 offset1:51
	s_waitcnt lgkmcnt(1)
	v_mul_f64 v[176:177], v[222:223], v[178:179]
	v_fma_f64 v[176:177], v[220:221], v[214:215], -v[176:177]
	v_mul_f64 v[220:221], v[220:221], v[178:179]
	v_fmac_f64_e32 v[220:221], v[222:223], v[214:215]
	s_waitcnt vmcnt(26)
	v_add_f64 v[102:103], v[102:103], -v[220:221]
	ds_read2_b64 v[220:223], v216 offset0:52 offset1:53
	v_add_f64 v[100:101], v[100:101], -v[176:177]
	s_waitcnt lgkmcnt(1)
	v_mul_f64 v[176:177], v[206:207], v[178:179]
	v_fma_f64 v[176:177], v[204:205], v[214:215], -v[176:177]
	v_mul_f64 v[204:205], v[204:205], v[178:179]
	v_fmac_f64_e32 v[204:205], v[206:207], v[214:215]
	s_waitcnt vmcnt(25)
	v_add_f64 v[96:97], v[96:97], -v[176:177]
	v_add_f64 v[98:99], v[98:99], -v[204:205]
	ds_read2_b64 v[204:207], v216 offset0:54 offset1:55
	s_waitcnt lgkmcnt(1)
	v_mul_f64 v[176:177], v[222:223], v[178:179]
	v_fma_f64 v[176:177], v[220:221], v[214:215], -v[176:177]
	v_mul_f64 v[220:221], v[220:221], v[178:179]
	v_fmac_f64_e32 v[220:221], v[222:223], v[214:215]
	s_waitcnt vmcnt(24)
	v_add_f64 v[94:95], v[94:95], -v[220:221]
	ds_read2_b64 v[220:223], v216 offset0:56 offset1:57
	v_add_f64 v[92:93], v[92:93], -v[176:177]
	s_waitcnt lgkmcnt(1)
	v_mul_f64 v[176:177], v[206:207], v[178:179]
	v_fma_f64 v[176:177], v[204:205], v[214:215], -v[176:177]
	v_mul_f64 v[204:205], v[204:205], v[178:179]
	v_fmac_f64_e32 v[204:205], v[206:207], v[214:215]
	s_waitcnt vmcnt(23)
	v_add_f64 v[88:89], v[88:89], -v[176:177]
	v_add_f64 v[90:91], v[90:91], -v[204:205]
	ds_read2_b64 v[204:207], v216 offset0:58 offset1:59
	s_waitcnt lgkmcnt(1)
	v_mul_f64 v[176:177], v[222:223], v[178:179]
	v_fma_f64 v[176:177], v[220:221], v[214:215], -v[176:177]
	v_mul_f64 v[220:221], v[220:221], v[178:179]
	v_fmac_f64_e32 v[220:221], v[222:223], v[214:215]
	s_waitcnt vmcnt(22)
	v_add_f64 v[86:87], v[86:87], -v[220:221]
	ds_read2_b64 v[220:223], v216 offset0:60 offset1:61
	v_add_f64 v[84:85], v[84:85], -v[176:177]
	s_waitcnt lgkmcnt(1)
	v_mul_f64 v[176:177], v[206:207], v[178:179]
	v_fma_f64 v[176:177], v[204:205], v[214:215], -v[176:177]
	v_mul_f64 v[204:205], v[204:205], v[178:179]
	v_fmac_f64_e32 v[204:205], v[206:207], v[214:215]
	s_waitcnt vmcnt(21)
	v_add_f64 v[80:81], v[80:81], -v[176:177]
	v_add_f64 v[82:83], v[82:83], -v[204:205]
	ds_read2_b64 v[204:207], v216 offset0:62 offset1:63
	s_waitcnt lgkmcnt(1)
	v_mul_f64 v[176:177], v[222:223], v[178:179]
	v_fma_f64 v[176:177], v[220:221], v[214:215], -v[176:177]
	v_mul_f64 v[220:221], v[220:221], v[178:179]
	v_fmac_f64_e32 v[220:221], v[222:223], v[214:215]
	s_waitcnt vmcnt(20)
	v_add_f64 v[78:79], v[78:79], -v[220:221]
	ds_read2_b64 v[220:223], v216 offset0:64 offset1:65
	v_add_f64 v[76:77], v[76:77], -v[176:177]
	s_waitcnt lgkmcnt(1)
	v_mul_f64 v[176:177], v[206:207], v[178:179]
	v_fma_f64 v[176:177], v[204:205], v[214:215], -v[176:177]
	v_mul_f64 v[204:205], v[204:205], v[178:179]
	v_fmac_f64_e32 v[204:205], v[206:207], v[214:215]
	s_waitcnt vmcnt(19)
	v_add_f64 v[72:73], v[72:73], -v[176:177]
	v_add_f64 v[74:75], v[74:75], -v[204:205]
	ds_read2_b64 v[204:207], v216 offset0:66 offset1:67
	s_waitcnt lgkmcnt(1)
	v_mul_f64 v[176:177], v[222:223], v[178:179]
	v_fma_f64 v[176:177], v[220:221], v[214:215], -v[176:177]
	v_mul_f64 v[220:221], v[220:221], v[178:179]
	v_fmac_f64_e32 v[220:221], v[222:223], v[214:215]
	s_waitcnt vmcnt(18)
	v_add_f64 v[70:71], v[70:71], -v[220:221]
	ds_read2_b64 v[220:223], v216 offset0:68 offset1:69
	v_add_f64 v[68:69], v[68:69], -v[176:177]
	s_waitcnt lgkmcnt(1)
	v_mul_f64 v[176:177], v[206:207], v[178:179]
	v_fma_f64 v[176:177], v[204:205], v[214:215], -v[176:177]
	v_mul_f64 v[204:205], v[204:205], v[178:179]
	v_fmac_f64_e32 v[204:205], v[206:207], v[214:215]
	s_waitcnt vmcnt(17)
	v_add_f64 v[64:65], v[64:65], -v[176:177]
	v_add_f64 v[66:67], v[66:67], -v[204:205]
	ds_read2_b64 v[204:207], v216 offset0:70 offset1:71
	s_waitcnt lgkmcnt(1)
	v_mul_f64 v[176:177], v[222:223], v[178:179]
	v_fma_f64 v[176:177], v[220:221], v[214:215], -v[176:177]
	v_mul_f64 v[220:221], v[220:221], v[178:179]
	v_fmac_f64_e32 v[220:221], v[222:223], v[214:215]
	s_waitcnt vmcnt(16)
	v_add_f64 v[62:63], v[62:63], -v[220:221]
	ds_read2_b64 v[220:223], v216 offset0:72 offset1:73
	v_add_f64 v[60:61], v[60:61], -v[176:177]
	s_waitcnt lgkmcnt(1)
	v_mul_f64 v[176:177], v[206:207], v[178:179]
	v_fma_f64 v[176:177], v[204:205], v[214:215], -v[176:177]
	v_mul_f64 v[204:205], v[204:205], v[178:179]
	v_fmac_f64_e32 v[204:205], v[206:207], v[214:215]
	s_waitcnt vmcnt(15)
	v_add_f64 v[56:57], v[56:57], -v[176:177]
	v_add_f64 v[58:59], v[58:59], -v[204:205]
	ds_read2_b64 v[204:207], v216 offset0:74 offset1:75
	s_waitcnt lgkmcnt(1)
	v_mul_f64 v[176:177], v[222:223], v[178:179]
	v_fma_f64 v[176:177], v[220:221], v[214:215], -v[176:177]
	v_mul_f64 v[220:221], v[220:221], v[178:179]
	v_fmac_f64_e32 v[220:221], v[222:223], v[214:215]
	s_waitcnt vmcnt(14)
	v_add_f64 v[54:55], v[54:55], -v[220:221]
	ds_read2_b64 v[220:223], v216 offset0:76 offset1:77
	v_add_f64 v[52:53], v[52:53], -v[176:177]
	s_waitcnt lgkmcnt(1)
	v_mul_f64 v[176:177], v[206:207], v[178:179]
	v_fma_f64 v[176:177], v[204:205], v[214:215], -v[176:177]
	v_mul_f64 v[204:205], v[204:205], v[178:179]
	v_fmac_f64_e32 v[204:205], v[206:207], v[214:215]
	s_waitcnt vmcnt(13)
	v_add_f64 v[48:49], v[48:49], -v[176:177]
	v_add_f64 v[50:51], v[50:51], -v[204:205]
	ds_read2_b64 v[204:207], v216 offset0:78 offset1:79
	s_waitcnt lgkmcnt(1)
	v_mul_f64 v[176:177], v[222:223], v[178:179]
	v_fma_f64 v[176:177], v[220:221], v[214:215], -v[176:177]
	v_mul_f64 v[220:221], v[220:221], v[178:179]
	v_fmac_f64_e32 v[220:221], v[222:223], v[214:215]
	s_waitcnt vmcnt(12)
	v_add_f64 v[46:47], v[46:47], -v[220:221]
	ds_read2_b64 v[220:223], v216 offset0:80 offset1:81
	v_add_f64 v[44:45], v[44:45], -v[176:177]
	s_waitcnt lgkmcnt(1)
	v_mul_f64 v[176:177], v[206:207], v[178:179]
	v_fma_f64 v[176:177], v[204:205], v[214:215], -v[176:177]
	v_mul_f64 v[204:205], v[204:205], v[178:179]
	v_fmac_f64_e32 v[204:205], v[206:207], v[214:215]
	s_waitcnt vmcnt(11)
	v_add_f64 v[40:41], v[40:41], -v[176:177]
	v_add_f64 v[42:43], v[42:43], -v[204:205]
	ds_read2_b64 v[204:207], v216 offset0:82 offset1:83
	s_waitcnt lgkmcnt(1)
	v_mul_f64 v[176:177], v[222:223], v[178:179]
	v_fma_f64 v[176:177], v[220:221], v[214:215], -v[176:177]
	v_mul_f64 v[220:221], v[220:221], v[178:179]
	v_fmac_f64_e32 v[220:221], v[222:223], v[214:215]
	s_waitcnt vmcnt(10)
	v_add_f64 v[38:39], v[38:39], -v[220:221]
	ds_read2_b64 v[220:223], v216 offset0:84 offset1:85
	v_add_f64 v[36:37], v[36:37], -v[176:177]
	s_waitcnt lgkmcnt(1)
	v_mul_f64 v[176:177], v[206:207], v[178:179]
	v_fma_f64 v[176:177], v[204:205], v[214:215], -v[176:177]
	v_mul_f64 v[204:205], v[204:205], v[178:179]
	v_fmac_f64_e32 v[204:205], v[206:207], v[214:215]
	s_waitcnt vmcnt(9)
	v_add_f64 v[32:33], v[32:33], -v[176:177]
	v_add_f64 v[34:35], v[34:35], -v[204:205]
	ds_read2_b64 v[204:207], v216 offset0:86 offset1:87
	s_waitcnt lgkmcnt(1)
	v_mul_f64 v[176:177], v[222:223], v[178:179]
	v_fma_f64 v[176:177], v[220:221], v[214:215], -v[176:177]
	v_mul_f64 v[220:221], v[220:221], v[178:179]
	v_fmac_f64_e32 v[220:221], v[222:223], v[214:215]
	s_waitcnt vmcnt(8)
	v_add_f64 v[30:31], v[30:31], -v[220:221]
	ds_read2_b64 v[220:223], v216 offset0:88 offset1:89
	v_add_f64 v[28:29], v[28:29], -v[176:177]
	s_waitcnt lgkmcnt(1)
	v_mul_f64 v[176:177], v[206:207], v[178:179]
	v_fma_f64 v[176:177], v[204:205], v[214:215], -v[176:177]
	v_mul_f64 v[204:205], v[204:205], v[178:179]
	v_fmac_f64_e32 v[204:205], v[206:207], v[214:215]
	s_waitcnt vmcnt(7)
	v_add_f64 v[24:25], v[24:25], -v[176:177]
	v_add_f64 v[26:27], v[26:27], -v[204:205]
	ds_read2_b64 v[204:207], v216 offset0:90 offset1:91
	s_waitcnt lgkmcnt(1)
	v_mul_f64 v[176:177], v[222:223], v[178:179]
	v_fma_f64 v[176:177], v[220:221], v[214:215], -v[176:177]
	v_mul_f64 v[220:221], v[220:221], v[178:179]
	v_fmac_f64_e32 v[220:221], v[222:223], v[214:215]
	s_waitcnt vmcnt(6)
	v_add_f64 v[22:23], v[22:23], -v[220:221]
	ds_read2_b64 v[220:223], v216 offset0:92 offset1:93
	v_add_f64 v[20:21], v[20:21], -v[176:177]
	s_waitcnt lgkmcnt(1)
	v_mul_f64 v[176:177], v[206:207], v[178:179]
	v_fma_f64 v[176:177], v[204:205], v[214:215], -v[176:177]
	v_mul_f64 v[204:205], v[204:205], v[178:179]
	v_fmac_f64_e32 v[204:205], v[206:207], v[214:215]
	s_waitcnt vmcnt(5)
	v_add_f64 v[16:17], v[16:17], -v[176:177]
	v_add_f64 v[18:19], v[18:19], -v[204:205]
	ds_read2_b64 v[204:207], v216 offset0:94 offset1:95
	s_waitcnt lgkmcnt(1)
	v_mul_f64 v[176:177], v[222:223], v[178:179]
	v_fma_f64 v[176:177], v[220:221], v[214:215], -v[176:177]
	v_mul_f64 v[220:221], v[220:221], v[178:179]
	v_fmac_f64_e32 v[220:221], v[222:223], v[214:215]
	s_waitcnt vmcnt(4)
	v_add_f64 v[14:15], v[14:15], -v[220:221]
	ds_read2_b64 v[220:223], v216 offset0:96 offset1:97
	v_add_f64 v[12:13], v[12:13], -v[176:177]
	s_waitcnt lgkmcnt(1)
	v_mul_f64 v[176:177], v[206:207], v[178:179]
	v_fma_f64 v[176:177], v[204:205], v[214:215], -v[176:177]
	v_mul_f64 v[204:205], v[204:205], v[178:179]
	v_fmac_f64_e32 v[204:205], v[206:207], v[214:215]
	s_waitcnt vmcnt(3)
	v_add_f64 v[8:9], v[8:9], -v[176:177]
	v_add_f64 v[10:11], v[10:11], -v[204:205]
	ds_read2_b64 v[204:207], v216 offset0:98 offset1:99
	s_waitcnt lgkmcnt(1)
	v_mul_f64 v[176:177], v[222:223], v[178:179]
	v_fma_f64 v[176:177], v[220:221], v[214:215], -v[176:177]
	v_mul_f64 v[220:221], v[220:221], v[178:179]
	v_fmac_f64_e32 v[220:221], v[222:223], v[214:215]
	s_waitcnt vmcnt(2)
	v_add_f64 v[6:7], v[6:7], -v[220:221]
	ds_read2_b64 v[220:223], v216 offset0:100 offset1:101
	v_add_f64 v[4:5], v[4:5], -v[176:177]
	s_waitcnt lgkmcnt(1)
	v_mul_f64 v[176:177], v[206:207], v[178:179]
	v_fma_f64 v[176:177], v[204:205], v[214:215], -v[176:177]
	v_mul_f64 v[204:205], v[204:205], v[178:179]
	v_fmac_f64_e32 v[204:205], v[206:207], v[214:215]
	s_waitcnt vmcnt(1)
	v_add_f64 v[0:1], v[0:1], -v[176:177]
	v_add_f64 v[2:3], v[2:3], -v[204:205]
	s_waitcnt lgkmcnt(0)
	v_mul_f64 v[176:177], v[222:223], v[178:179]
	v_mul_f64 v[204:205], v[220:221], v[178:179]
	v_fma_f64 v[176:177], v[220:221], v[214:215], -v[176:177]
	v_fmac_f64_e32 v[204:205], v[222:223], v[214:215]
	s_waitcnt vmcnt(0)
	v_add_f64 v[200:201], v[200:201], -v[176:177]
	v_add_f64 v[202:203], v[202:203], -v[204:205]
	v_mov_b64_e32 v[176:177], v[214:215]
.LBB100_167:
	s_or_b64 exec, exec, s[0:1]
	v_lshl_add_u32 v204, v217, 4, v216
	s_barrier
	s_waitcnt vmcnt(42)
	ds_write2_b64 v204, v[172:173], v[174:175] offset1:1
	s_waitcnt lgkmcnt(0)
	s_barrier
	ds_read2_b64 v[204:207], v216 offset0:16 offset1:17
	s_cmp_lt_i32 s20, 10
	v_mov_b32_e32 v214, 8
	s_cbranch_scc1 .LBB100_170
; %bb.168:
	v_add_u32_e32 v215, 0x90, v216
	s_mov_b32 s16, 9
	v_mov_b32_e32 v214, 8
.LBB100_169:                            ; =>This Inner Loop Header: Depth=1
	ds_read2_b64 v[220:223], v215 offset1:1
	s_waitcnt lgkmcnt(1)
	v_xor_b32_e32 v225, 0x80000000, v205
	v_xor_b32_e32 v227, 0x80000000, v207
	v_cmp_gt_f64_e32 vcc, 0, v[206:207]
	v_cmp_gt_f64_e64 s[0:1], 0, v[204:205]
	v_mov_b32_e32 v224, v204
	v_mov_b32_e32 v226, v206
	v_cndmask_b32_e64 v225, v205, v225, s[0:1]
	v_cndmask_b32_e32 v227, v207, v227, vcc
	v_add_f64 v[224:225], v[224:225], v[226:227]
	s_waitcnt lgkmcnt(0)
	v_xor_b32_e32 v227, 0x80000000, v221
	v_xor_b32_e32 v229, 0x80000000, v223
	v_cmp_gt_f64_e32 vcc, 0, v[222:223]
	v_cmp_gt_f64_e64 s[0:1], 0, v[220:221]
	v_mov_b32_e32 v226, v220
	v_mov_b32_e32 v228, v222
	v_cndmask_b32_e64 v227, v221, v227, s[0:1]
	v_cndmask_b32_e32 v229, v223, v229, vcc
	v_add_f64 v[226:227], v[226:227], v[228:229]
	v_mov_b32_e32 v230, s16
	s_add_i32 s16, s16, 1
	v_cmp_lt_f64_e32 vcc, v[224:225], v[226:227]
	v_add_u32_e32 v215, 16, v215
	s_cmp_lg_u32 s20, s16
	v_cndmask_b32_e32 v205, v205, v221, vcc
	v_cndmask_b32_e32 v204, v204, v220, vcc
	;; [unrolled: 1-line block ×5, first 2 shown]
	s_cbranch_scc1 .LBB100_169
.LBB100_170:
	s_waitcnt lgkmcnt(0)
	v_cmp_eq_f64_e32 vcc, 0, v[204:205]
	v_cmp_eq_f64_e64 s[0:1], 0, v[206:207]
	s_and_b64 s[0:1], vcc, s[0:1]
	s_and_saveexec_b64 s[16:17], s[0:1]
	s_xor_b64 s[0:1], exec, s[16:17]
; %bb.171:
	v_cmp_ne_u32_e32 vcc, 0, v218
	s_nop 1
	v_cndmask_b32_e32 v218, 9, v218, vcc
; %bb.172:
	s_andn2_saveexec_b64 s[0:1], s[0:1]
	s_cbranch_execz .LBB100_178
; %bb.173:
	v_cmp_ngt_f64_e64 s[16:17], |v[204:205]|, |v[206:207]|
	s_and_saveexec_b64 s[18:19], s[16:17]
	s_xor_b64 s[16:17], exec, s[18:19]
	s_cbranch_execz .LBB100_175
; %bb.174:
	v_div_scale_f64 v[220:221], s[18:19], v[206:207], v[206:207], v[204:205]
	v_rcp_f64_e32 v[222:223], v[220:221]
	v_div_scale_f64 v[224:225], vcc, v[204:205], v[206:207], v[204:205]
	v_fma_f64 v[226:227], -v[220:221], v[222:223], 1.0
	v_fmac_f64_e32 v[222:223], v[222:223], v[226:227]
	v_fma_f64 v[226:227], -v[220:221], v[222:223], 1.0
	v_fmac_f64_e32 v[222:223], v[222:223], v[226:227]
	v_mul_f64 v[226:227], v[224:225], v[222:223]
	v_fma_f64 v[220:221], -v[220:221], v[226:227], v[224:225]
	v_div_fmas_f64 v[220:221], v[220:221], v[222:223], v[226:227]
	v_div_fixup_f64 v[220:221], v[220:221], v[206:207], v[204:205]
	v_fmac_f64_e32 v[206:207], v[204:205], v[220:221]
	v_div_scale_f64 v[204:205], s[18:19], v[206:207], v[206:207], 1.0
	v_rcp_f64_e32 v[222:223], v[204:205]
	s_nop 0
	v_fma_f64 v[224:225], -v[204:205], v[222:223], 1.0
	v_fmac_f64_e32 v[222:223], v[222:223], v[224:225]
	v_fma_f64 v[224:225], -v[204:205], v[222:223], 1.0
	v_fmac_f64_e32 v[222:223], v[222:223], v[224:225]
	v_div_scale_f64 v[224:225], vcc, 1.0, v[206:207], 1.0
	v_mul_f64 v[226:227], v[224:225], v[222:223]
	v_fma_f64 v[204:205], -v[204:205], v[226:227], v[224:225]
	s_nop 1
	v_div_fmas_f64 v[204:205], v[204:205], v[222:223], v[226:227]
	v_div_fixup_f64 v[206:207], v[204:205], v[206:207], 1.0
	v_mul_f64 v[204:205], v[220:221], v[206:207]
	v_xor_b32_e32 v207, 0x80000000, v207
.LBB100_175:
	s_andn2_saveexec_b64 s[16:17], s[16:17]
	s_cbranch_execz .LBB100_177
; %bb.176:
	v_div_scale_f64 v[220:221], s[18:19], v[204:205], v[204:205], v[206:207]
	v_rcp_f64_e32 v[222:223], v[220:221]
	v_div_scale_f64 v[224:225], vcc, v[206:207], v[204:205], v[206:207]
	v_fma_f64 v[226:227], -v[220:221], v[222:223], 1.0
	v_fmac_f64_e32 v[222:223], v[222:223], v[226:227]
	v_fma_f64 v[226:227], -v[220:221], v[222:223], 1.0
	v_fmac_f64_e32 v[222:223], v[222:223], v[226:227]
	v_mul_f64 v[226:227], v[224:225], v[222:223]
	v_fma_f64 v[220:221], -v[220:221], v[226:227], v[224:225]
	v_div_fmas_f64 v[220:221], v[220:221], v[222:223], v[226:227]
	v_div_fixup_f64 v[220:221], v[220:221], v[204:205], v[206:207]
	v_fmac_f64_e32 v[204:205], v[206:207], v[220:221]
	v_div_scale_f64 v[206:207], s[18:19], v[204:205], v[204:205], 1.0
	v_rcp_f64_e32 v[222:223], v[206:207]
	s_nop 0
	v_fma_f64 v[224:225], -v[206:207], v[222:223], 1.0
	v_fmac_f64_e32 v[222:223], v[222:223], v[224:225]
	v_fma_f64 v[224:225], -v[206:207], v[222:223], 1.0
	v_fmac_f64_e32 v[222:223], v[222:223], v[224:225]
	v_div_scale_f64 v[224:225], vcc, 1.0, v[204:205], 1.0
	v_mul_f64 v[226:227], v[224:225], v[222:223]
	v_fma_f64 v[206:207], -v[206:207], v[226:227], v[224:225]
	s_nop 1
	v_div_fmas_f64 v[206:207], v[206:207], v[222:223], v[226:227]
	v_div_fixup_f64 v[204:205], v[206:207], v[204:205], 1.0
	v_mul_f64 v[206:207], v[220:221], -v[204:205]
.LBB100_177:
	s_or_b64 exec, exec, s[16:17]
.LBB100_178:
	s_or_b64 exec, exec, s[0:1]
	v_cmp_ne_u32_e32 vcc, v217, v214
	s_and_saveexec_b64 s[0:1], vcc
	s_xor_b64 s[0:1], exec, s[0:1]
	s_cbranch_execz .LBB100_184
; %bb.179:
	v_cmp_eq_u32_e32 vcc, 8, v217
	s_and_saveexec_b64 s[16:17], vcc
	s_cbranch_execz .LBB100_183
; %bb.180:
	v_cmp_ne_u32_e32 vcc, 8, v214
	s_xor_b64 s[18:19], s[14:15], -1
	s_and_b64 s[22:23], s[18:19], vcc
	s_and_saveexec_b64 s[18:19], s[22:23]
	s_cbranch_execz .LBB100_182
; %bb.181:
	v_ashrrev_i32_e32 v215, 31, v214
	v_lshl_add_u64 v[220:221], v[214:215], 2, v[212:213]
	global_load_dword v215, v[220:221], off
	global_load_dword v217, v[212:213], off offset:32
	s_waitcnt vmcnt(1)
	global_store_dword v[212:213], v215, off offset:32
	s_waitcnt vmcnt(1)
	global_store_dword v[220:221], v217, off
.LBB100_182:
	s_or_b64 exec, exec, s[18:19]
	v_mov_b32_e32 v217, v214
	v_mov_b32_e32 v219, v214
.LBB100_183:
	s_or_b64 exec, exec, s[16:17]
.LBB100_184:
	s_andn2_saveexec_b64 s[0:1], s[0:1]
	s_cbranch_execz .LBB100_186
; %bb.185:
	v_mov_b32_e32 v217, 8
	s_waitcnt vmcnt(41)
	ds_write2_b64 v216, v[168:169], v[170:171] offset0:18 offset1:19
	s_waitcnt vmcnt(40)
	ds_write2_b64 v216, v[164:165], v[166:167] offset0:20 offset1:21
	;; [unrolled: 2-line block ×42, first 2 shown]
.LBB100_186:
	s_or_b64 exec, exec, s[0:1]
	v_cmp_lt_i32_e32 vcc, 8, v217
	s_waitcnt lgkmcnt(0)
	s_barrier
	s_and_saveexec_b64 s[0:1], vcc
	s_cbranch_execz .LBB100_188
; %bb.187:
	ds_read2_b64 v[220:223], v216 offset0:18 offset1:19
	v_mul_f64 v[214:215], v[206:207], v[174:175]
	v_mul_f64 v[174:175], v[204:205], v[174:175]
	v_fma_f64 v[214:215], v[204:205], v[172:173], -v[214:215]
	v_fmac_f64_e32 v[174:175], v[206:207], v[172:173]
	ds_read2_b64 v[204:207], v216 offset0:20 offset1:21
	s_waitcnt lgkmcnt(1)
	v_mul_f64 v[172:173], v[222:223], v[174:175]
	v_fma_f64 v[172:173], v[220:221], v[214:215], -v[172:173]
	v_mul_f64 v[220:221], v[220:221], v[174:175]
	v_fmac_f64_e32 v[220:221], v[222:223], v[214:215]
	s_waitcnt vmcnt(41)
	v_add_f64 v[168:169], v[168:169], -v[172:173]
	s_waitcnt lgkmcnt(0)
	v_mul_f64 v[172:173], v[206:207], v[174:175]
	v_add_f64 v[170:171], v[170:171], -v[220:221]
	v_fma_f64 v[172:173], v[204:205], v[214:215], -v[172:173]
	v_mul_f64 v[204:205], v[204:205], v[174:175]
	ds_read2_b64 v[220:223], v216 offset0:22 offset1:23
	v_fmac_f64_e32 v[204:205], v[206:207], v[214:215]
	s_waitcnt vmcnt(40)
	v_add_f64 v[166:167], v[166:167], -v[204:205]
	ds_read2_b64 v[204:207], v216 offset0:24 offset1:25
	v_add_f64 v[164:165], v[164:165], -v[172:173]
	s_waitcnt lgkmcnt(1)
	v_mul_f64 v[172:173], v[222:223], v[174:175]
	v_fma_f64 v[172:173], v[220:221], v[214:215], -v[172:173]
	v_mul_f64 v[220:221], v[220:221], v[174:175]
	v_fmac_f64_e32 v[220:221], v[222:223], v[214:215]
	s_waitcnt vmcnt(39)
	v_add_f64 v[160:161], v[160:161], -v[172:173]
	s_waitcnt lgkmcnt(0)
	v_mul_f64 v[172:173], v[206:207], v[174:175]
	v_add_f64 v[162:163], v[162:163], -v[220:221]
	v_fma_f64 v[172:173], v[204:205], v[214:215], -v[172:173]
	v_mul_f64 v[204:205], v[204:205], v[174:175]
	ds_read2_b64 v[220:223], v216 offset0:26 offset1:27
	v_fmac_f64_e32 v[204:205], v[206:207], v[214:215]
	s_waitcnt vmcnt(38)
	v_add_f64 v[158:159], v[158:159], -v[204:205]
	ds_read2_b64 v[204:207], v216 offset0:28 offset1:29
	v_add_f64 v[156:157], v[156:157], -v[172:173]
	;; [unrolled: 18-line block ×20, first 2 shown]
	s_waitcnt lgkmcnt(1)
	v_mul_f64 v[172:173], v[222:223], v[174:175]
	v_fma_f64 v[172:173], v[220:221], v[214:215], -v[172:173]
	s_waitcnt vmcnt(1)
	v_add_f64 v[0:1], v[0:1], -v[172:173]
	s_waitcnt lgkmcnt(0)
	v_mul_f64 v[172:173], v[206:207], v[174:175]
	v_mul_f64 v[220:221], v[220:221], v[174:175]
	v_fma_f64 v[172:173], v[204:205], v[214:215], -v[172:173]
	v_mul_f64 v[204:205], v[204:205], v[174:175]
	v_fmac_f64_e32 v[220:221], v[222:223], v[214:215]
	v_fmac_f64_e32 v[204:205], v[206:207], v[214:215]
	v_add_f64 v[2:3], v[2:3], -v[220:221]
	s_waitcnt vmcnt(0)
	v_add_f64 v[200:201], v[200:201], -v[172:173]
	v_add_f64 v[202:203], v[202:203], -v[204:205]
	v_mov_b64_e32 v[172:173], v[214:215]
.LBB100_188:
	s_or_b64 exec, exec, s[0:1]
	v_lshl_add_u32 v204, v217, 4, v216
	s_barrier
	s_waitcnt vmcnt(41)
	ds_write2_b64 v204, v[168:169], v[170:171] offset1:1
	s_waitcnt lgkmcnt(0)
	s_barrier
	ds_read2_b64 v[204:207], v216 offset0:18 offset1:19
	s_cmp_lt_i32 s20, 11
	v_mov_b32_e32 v214, 9
	s_cbranch_scc1 .LBB100_191
; %bb.189:
	v_add_u32_e32 v215, 0xa0, v216
	s_mov_b32 s16, 10
	v_mov_b32_e32 v214, 9
.LBB100_190:                            ; =>This Inner Loop Header: Depth=1
	ds_read2_b64 v[220:223], v215 offset1:1
	s_waitcnt lgkmcnt(1)
	v_xor_b32_e32 v225, 0x80000000, v205
	v_xor_b32_e32 v227, 0x80000000, v207
	v_cmp_gt_f64_e32 vcc, 0, v[206:207]
	v_cmp_gt_f64_e64 s[0:1], 0, v[204:205]
	v_mov_b32_e32 v224, v204
	v_mov_b32_e32 v226, v206
	v_cndmask_b32_e64 v225, v205, v225, s[0:1]
	v_cndmask_b32_e32 v227, v207, v227, vcc
	v_add_f64 v[224:225], v[224:225], v[226:227]
	s_waitcnt lgkmcnt(0)
	v_xor_b32_e32 v227, 0x80000000, v221
	v_xor_b32_e32 v229, 0x80000000, v223
	v_cmp_gt_f64_e32 vcc, 0, v[222:223]
	v_cmp_gt_f64_e64 s[0:1], 0, v[220:221]
	v_mov_b32_e32 v226, v220
	v_mov_b32_e32 v228, v222
	v_cndmask_b32_e64 v227, v221, v227, s[0:1]
	v_cndmask_b32_e32 v229, v223, v229, vcc
	v_add_f64 v[226:227], v[226:227], v[228:229]
	v_mov_b32_e32 v230, s16
	s_add_i32 s16, s16, 1
	v_cmp_lt_f64_e32 vcc, v[224:225], v[226:227]
	v_add_u32_e32 v215, 16, v215
	s_cmp_lg_u32 s20, s16
	v_cndmask_b32_e32 v205, v205, v221, vcc
	v_cndmask_b32_e32 v204, v204, v220, vcc
	;; [unrolled: 1-line block ×5, first 2 shown]
	s_cbranch_scc1 .LBB100_190
.LBB100_191:
	s_waitcnt lgkmcnt(0)
	v_cmp_eq_f64_e32 vcc, 0, v[204:205]
	v_cmp_eq_f64_e64 s[0:1], 0, v[206:207]
	s_and_b64 s[0:1], vcc, s[0:1]
	s_and_saveexec_b64 s[16:17], s[0:1]
	s_xor_b64 s[0:1], exec, s[16:17]
; %bb.192:
	v_cmp_ne_u32_e32 vcc, 0, v218
	s_nop 1
	v_cndmask_b32_e32 v218, 10, v218, vcc
; %bb.193:
	s_andn2_saveexec_b64 s[0:1], s[0:1]
	s_cbranch_execz .LBB100_199
; %bb.194:
	v_cmp_ngt_f64_e64 s[16:17], |v[204:205]|, |v[206:207]|
	s_and_saveexec_b64 s[18:19], s[16:17]
	s_xor_b64 s[16:17], exec, s[18:19]
	s_cbranch_execz .LBB100_196
; %bb.195:
	v_div_scale_f64 v[220:221], s[18:19], v[206:207], v[206:207], v[204:205]
	v_rcp_f64_e32 v[222:223], v[220:221]
	v_div_scale_f64 v[224:225], vcc, v[204:205], v[206:207], v[204:205]
	v_fma_f64 v[226:227], -v[220:221], v[222:223], 1.0
	v_fmac_f64_e32 v[222:223], v[222:223], v[226:227]
	v_fma_f64 v[226:227], -v[220:221], v[222:223], 1.0
	v_fmac_f64_e32 v[222:223], v[222:223], v[226:227]
	v_mul_f64 v[226:227], v[224:225], v[222:223]
	v_fma_f64 v[220:221], -v[220:221], v[226:227], v[224:225]
	v_div_fmas_f64 v[220:221], v[220:221], v[222:223], v[226:227]
	v_div_fixup_f64 v[220:221], v[220:221], v[206:207], v[204:205]
	v_fmac_f64_e32 v[206:207], v[204:205], v[220:221]
	v_div_scale_f64 v[204:205], s[18:19], v[206:207], v[206:207], 1.0
	v_rcp_f64_e32 v[222:223], v[204:205]
	s_nop 0
	v_fma_f64 v[224:225], -v[204:205], v[222:223], 1.0
	v_fmac_f64_e32 v[222:223], v[222:223], v[224:225]
	v_fma_f64 v[224:225], -v[204:205], v[222:223], 1.0
	v_fmac_f64_e32 v[222:223], v[222:223], v[224:225]
	v_div_scale_f64 v[224:225], vcc, 1.0, v[206:207], 1.0
	v_mul_f64 v[226:227], v[224:225], v[222:223]
	v_fma_f64 v[204:205], -v[204:205], v[226:227], v[224:225]
	s_nop 1
	v_div_fmas_f64 v[204:205], v[204:205], v[222:223], v[226:227]
	v_div_fixup_f64 v[206:207], v[204:205], v[206:207], 1.0
	v_mul_f64 v[204:205], v[220:221], v[206:207]
	v_xor_b32_e32 v207, 0x80000000, v207
.LBB100_196:
	s_andn2_saveexec_b64 s[16:17], s[16:17]
	s_cbranch_execz .LBB100_198
; %bb.197:
	v_div_scale_f64 v[220:221], s[18:19], v[204:205], v[204:205], v[206:207]
	v_rcp_f64_e32 v[222:223], v[220:221]
	v_div_scale_f64 v[224:225], vcc, v[206:207], v[204:205], v[206:207]
	v_fma_f64 v[226:227], -v[220:221], v[222:223], 1.0
	v_fmac_f64_e32 v[222:223], v[222:223], v[226:227]
	v_fma_f64 v[226:227], -v[220:221], v[222:223], 1.0
	v_fmac_f64_e32 v[222:223], v[222:223], v[226:227]
	v_mul_f64 v[226:227], v[224:225], v[222:223]
	v_fma_f64 v[220:221], -v[220:221], v[226:227], v[224:225]
	v_div_fmas_f64 v[220:221], v[220:221], v[222:223], v[226:227]
	v_div_fixup_f64 v[220:221], v[220:221], v[204:205], v[206:207]
	v_fmac_f64_e32 v[204:205], v[206:207], v[220:221]
	v_div_scale_f64 v[206:207], s[18:19], v[204:205], v[204:205], 1.0
	v_rcp_f64_e32 v[222:223], v[206:207]
	s_nop 0
	v_fma_f64 v[224:225], -v[206:207], v[222:223], 1.0
	v_fmac_f64_e32 v[222:223], v[222:223], v[224:225]
	v_fma_f64 v[224:225], -v[206:207], v[222:223], 1.0
	v_fmac_f64_e32 v[222:223], v[222:223], v[224:225]
	v_div_scale_f64 v[224:225], vcc, 1.0, v[204:205], 1.0
	v_mul_f64 v[226:227], v[224:225], v[222:223]
	v_fma_f64 v[206:207], -v[206:207], v[226:227], v[224:225]
	s_nop 1
	v_div_fmas_f64 v[206:207], v[206:207], v[222:223], v[226:227]
	v_div_fixup_f64 v[204:205], v[206:207], v[204:205], 1.0
	v_mul_f64 v[206:207], v[220:221], -v[204:205]
.LBB100_198:
	s_or_b64 exec, exec, s[16:17]
.LBB100_199:
	s_or_b64 exec, exec, s[0:1]
	v_cmp_ne_u32_e32 vcc, v217, v214
	s_and_saveexec_b64 s[0:1], vcc
	s_xor_b64 s[0:1], exec, s[0:1]
	s_cbranch_execz .LBB100_205
; %bb.200:
	v_cmp_eq_u32_e32 vcc, 9, v217
	s_and_saveexec_b64 s[16:17], vcc
	s_cbranch_execz .LBB100_204
; %bb.201:
	v_cmp_ne_u32_e32 vcc, 9, v214
	s_xor_b64 s[18:19], s[14:15], -1
	s_and_b64 s[22:23], s[18:19], vcc
	s_and_saveexec_b64 s[18:19], s[22:23]
	s_cbranch_execz .LBB100_203
; %bb.202:
	v_ashrrev_i32_e32 v215, 31, v214
	v_lshl_add_u64 v[220:221], v[214:215], 2, v[212:213]
	global_load_dword v215, v[220:221], off
	global_load_dword v217, v[212:213], off offset:36
	s_waitcnt vmcnt(1)
	global_store_dword v[212:213], v215, off offset:36
	s_waitcnt vmcnt(1)
	global_store_dword v[220:221], v217, off
.LBB100_203:
	s_or_b64 exec, exec, s[18:19]
	v_mov_b32_e32 v217, v214
	v_mov_b32_e32 v219, v214
.LBB100_204:
	s_or_b64 exec, exec, s[16:17]
.LBB100_205:
	s_andn2_saveexec_b64 s[0:1], s[0:1]
	s_cbranch_execz .LBB100_207
; %bb.206:
	v_mov_b32_e32 v217, 9
	s_waitcnt vmcnt(40)
	ds_write2_b64 v216, v[164:165], v[166:167] offset0:20 offset1:21
	s_waitcnt vmcnt(39)
	ds_write2_b64 v216, v[160:161], v[162:163] offset0:22 offset1:23
	;; [unrolled: 2-line block ×41, first 2 shown]
.LBB100_207:
	s_or_b64 exec, exec, s[0:1]
	v_cmp_lt_i32_e32 vcc, 9, v217
	s_waitcnt lgkmcnt(0)
	s_barrier
	s_and_saveexec_b64 s[0:1], vcc
	s_cbranch_execz .LBB100_209
; %bb.208:
	ds_read2_b64 v[220:223], v216 offset0:20 offset1:21
	v_mul_f64 v[214:215], v[206:207], v[170:171]
	v_mul_f64 v[170:171], v[204:205], v[170:171]
	v_fmac_f64_e32 v[170:171], v[206:207], v[168:169]
	v_fma_f64 v[214:215], v[204:205], v[168:169], -v[214:215]
	ds_read2_b64 v[204:207], v216 offset0:22 offset1:23
	s_waitcnt lgkmcnt(1)
	v_mul_f64 v[168:169], v[222:223], v[170:171]
	v_fma_f64 v[168:169], v[220:221], v[214:215], -v[168:169]
	v_mul_f64 v[220:221], v[220:221], v[170:171]
	v_fmac_f64_e32 v[220:221], v[222:223], v[214:215]
	s_waitcnt vmcnt(40)
	v_add_f64 v[166:167], v[166:167], -v[220:221]
	ds_read2_b64 v[220:223], v216 offset0:24 offset1:25
	v_add_f64 v[164:165], v[164:165], -v[168:169]
	s_waitcnt lgkmcnt(1)
	v_mul_f64 v[168:169], v[206:207], v[170:171]
	v_fma_f64 v[168:169], v[204:205], v[214:215], -v[168:169]
	v_mul_f64 v[204:205], v[204:205], v[170:171]
	v_fmac_f64_e32 v[204:205], v[206:207], v[214:215]
	s_waitcnt vmcnt(39)
	v_add_f64 v[160:161], v[160:161], -v[168:169]
	v_add_f64 v[162:163], v[162:163], -v[204:205]
	ds_read2_b64 v[204:207], v216 offset0:26 offset1:27
	s_waitcnt lgkmcnt(1)
	v_mul_f64 v[168:169], v[222:223], v[170:171]
	v_fma_f64 v[168:169], v[220:221], v[214:215], -v[168:169]
	v_mul_f64 v[220:221], v[220:221], v[170:171]
	v_fmac_f64_e32 v[220:221], v[222:223], v[214:215]
	s_waitcnt vmcnt(38)
	v_add_f64 v[158:159], v[158:159], -v[220:221]
	ds_read2_b64 v[220:223], v216 offset0:28 offset1:29
	v_add_f64 v[156:157], v[156:157], -v[168:169]
	s_waitcnt lgkmcnt(1)
	v_mul_f64 v[168:169], v[206:207], v[170:171]
	v_fma_f64 v[168:169], v[204:205], v[214:215], -v[168:169]
	v_mul_f64 v[204:205], v[204:205], v[170:171]
	v_fmac_f64_e32 v[204:205], v[206:207], v[214:215]
	s_waitcnt vmcnt(37)
	v_add_f64 v[152:153], v[152:153], -v[168:169]
	v_add_f64 v[154:155], v[154:155], -v[204:205]
	;; [unrolled: 18-line block ×20, first 2 shown]
	s_waitcnt lgkmcnt(0)
	v_mul_f64 v[168:169], v[222:223], v[170:171]
	v_mul_f64 v[204:205], v[220:221], v[170:171]
	v_fma_f64 v[168:169], v[220:221], v[214:215], -v[168:169]
	v_fmac_f64_e32 v[204:205], v[222:223], v[214:215]
	s_waitcnt vmcnt(0)
	v_add_f64 v[200:201], v[200:201], -v[168:169]
	v_add_f64 v[202:203], v[202:203], -v[204:205]
	v_mov_b64_e32 v[168:169], v[214:215]
.LBB100_209:
	s_or_b64 exec, exec, s[0:1]
	v_lshl_add_u32 v204, v217, 4, v216
	s_barrier
	s_waitcnt vmcnt(40)
	ds_write2_b64 v204, v[164:165], v[166:167] offset1:1
	s_waitcnt lgkmcnt(0)
	s_barrier
	ds_read2_b64 v[204:207], v216 offset0:20 offset1:21
	s_cmp_lt_i32 s20, 12
	v_mov_b32_e32 v214, 10
	s_cbranch_scc1 .LBB100_212
; %bb.210:
	v_add_u32_e32 v215, 0xb0, v216
	s_mov_b32 s16, 11
	v_mov_b32_e32 v214, 10
.LBB100_211:                            ; =>This Inner Loop Header: Depth=1
	ds_read2_b64 v[220:223], v215 offset1:1
	s_waitcnt lgkmcnt(1)
	v_xor_b32_e32 v225, 0x80000000, v205
	v_xor_b32_e32 v227, 0x80000000, v207
	v_cmp_gt_f64_e32 vcc, 0, v[206:207]
	v_cmp_gt_f64_e64 s[0:1], 0, v[204:205]
	v_mov_b32_e32 v224, v204
	v_mov_b32_e32 v226, v206
	v_cndmask_b32_e64 v225, v205, v225, s[0:1]
	v_cndmask_b32_e32 v227, v207, v227, vcc
	v_add_f64 v[224:225], v[224:225], v[226:227]
	s_waitcnt lgkmcnt(0)
	v_xor_b32_e32 v227, 0x80000000, v221
	v_xor_b32_e32 v229, 0x80000000, v223
	v_cmp_gt_f64_e32 vcc, 0, v[222:223]
	v_cmp_gt_f64_e64 s[0:1], 0, v[220:221]
	v_mov_b32_e32 v226, v220
	v_mov_b32_e32 v228, v222
	v_cndmask_b32_e64 v227, v221, v227, s[0:1]
	v_cndmask_b32_e32 v229, v223, v229, vcc
	v_add_f64 v[226:227], v[226:227], v[228:229]
	v_mov_b32_e32 v230, s16
	s_add_i32 s16, s16, 1
	v_cmp_lt_f64_e32 vcc, v[224:225], v[226:227]
	v_add_u32_e32 v215, 16, v215
	s_cmp_lg_u32 s20, s16
	v_cndmask_b32_e32 v205, v205, v221, vcc
	v_cndmask_b32_e32 v204, v204, v220, vcc
	;; [unrolled: 1-line block ×5, first 2 shown]
	s_cbranch_scc1 .LBB100_211
.LBB100_212:
	s_waitcnt lgkmcnt(0)
	v_cmp_eq_f64_e32 vcc, 0, v[204:205]
	v_cmp_eq_f64_e64 s[0:1], 0, v[206:207]
	s_and_b64 s[0:1], vcc, s[0:1]
	s_and_saveexec_b64 s[16:17], s[0:1]
	s_xor_b64 s[0:1], exec, s[16:17]
; %bb.213:
	v_cmp_ne_u32_e32 vcc, 0, v218
	s_nop 1
	v_cndmask_b32_e32 v218, 11, v218, vcc
; %bb.214:
	s_andn2_saveexec_b64 s[0:1], s[0:1]
	s_cbranch_execz .LBB100_220
; %bb.215:
	v_cmp_ngt_f64_e64 s[16:17], |v[204:205]|, |v[206:207]|
	s_and_saveexec_b64 s[18:19], s[16:17]
	s_xor_b64 s[16:17], exec, s[18:19]
	s_cbranch_execz .LBB100_217
; %bb.216:
	v_div_scale_f64 v[220:221], s[18:19], v[206:207], v[206:207], v[204:205]
	v_rcp_f64_e32 v[222:223], v[220:221]
	v_div_scale_f64 v[224:225], vcc, v[204:205], v[206:207], v[204:205]
	v_fma_f64 v[226:227], -v[220:221], v[222:223], 1.0
	v_fmac_f64_e32 v[222:223], v[222:223], v[226:227]
	v_fma_f64 v[226:227], -v[220:221], v[222:223], 1.0
	v_fmac_f64_e32 v[222:223], v[222:223], v[226:227]
	v_mul_f64 v[226:227], v[224:225], v[222:223]
	v_fma_f64 v[220:221], -v[220:221], v[226:227], v[224:225]
	v_div_fmas_f64 v[220:221], v[220:221], v[222:223], v[226:227]
	v_div_fixup_f64 v[220:221], v[220:221], v[206:207], v[204:205]
	v_fmac_f64_e32 v[206:207], v[204:205], v[220:221]
	v_div_scale_f64 v[204:205], s[18:19], v[206:207], v[206:207], 1.0
	v_rcp_f64_e32 v[222:223], v[204:205]
	s_nop 0
	v_fma_f64 v[224:225], -v[204:205], v[222:223], 1.0
	v_fmac_f64_e32 v[222:223], v[222:223], v[224:225]
	v_fma_f64 v[224:225], -v[204:205], v[222:223], 1.0
	v_fmac_f64_e32 v[222:223], v[222:223], v[224:225]
	v_div_scale_f64 v[224:225], vcc, 1.0, v[206:207], 1.0
	v_mul_f64 v[226:227], v[224:225], v[222:223]
	v_fma_f64 v[204:205], -v[204:205], v[226:227], v[224:225]
	s_nop 1
	v_div_fmas_f64 v[204:205], v[204:205], v[222:223], v[226:227]
	v_div_fixup_f64 v[206:207], v[204:205], v[206:207], 1.0
	v_mul_f64 v[204:205], v[220:221], v[206:207]
	v_xor_b32_e32 v207, 0x80000000, v207
.LBB100_217:
	s_andn2_saveexec_b64 s[16:17], s[16:17]
	s_cbranch_execz .LBB100_219
; %bb.218:
	v_div_scale_f64 v[220:221], s[18:19], v[204:205], v[204:205], v[206:207]
	v_rcp_f64_e32 v[222:223], v[220:221]
	v_div_scale_f64 v[224:225], vcc, v[206:207], v[204:205], v[206:207]
	v_fma_f64 v[226:227], -v[220:221], v[222:223], 1.0
	v_fmac_f64_e32 v[222:223], v[222:223], v[226:227]
	v_fma_f64 v[226:227], -v[220:221], v[222:223], 1.0
	v_fmac_f64_e32 v[222:223], v[222:223], v[226:227]
	v_mul_f64 v[226:227], v[224:225], v[222:223]
	v_fma_f64 v[220:221], -v[220:221], v[226:227], v[224:225]
	v_div_fmas_f64 v[220:221], v[220:221], v[222:223], v[226:227]
	v_div_fixup_f64 v[220:221], v[220:221], v[204:205], v[206:207]
	v_fmac_f64_e32 v[204:205], v[206:207], v[220:221]
	v_div_scale_f64 v[206:207], s[18:19], v[204:205], v[204:205], 1.0
	v_rcp_f64_e32 v[222:223], v[206:207]
	s_nop 0
	v_fma_f64 v[224:225], -v[206:207], v[222:223], 1.0
	v_fmac_f64_e32 v[222:223], v[222:223], v[224:225]
	v_fma_f64 v[224:225], -v[206:207], v[222:223], 1.0
	v_fmac_f64_e32 v[222:223], v[222:223], v[224:225]
	v_div_scale_f64 v[224:225], vcc, 1.0, v[204:205], 1.0
	v_mul_f64 v[226:227], v[224:225], v[222:223]
	v_fma_f64 v[206:207], -v[206:207], v[226:227], v[224:225]
	s_nop 1
	v_div_fmas_f64 v[206:207], v[206:207], v[222:223], v[226:227]
	v_div_fixup_f64 v[204:205], v[206:207], v[204:205], 1.0
	v_mul_f64 v[206:207], v[220:221], -v[204:205]
.LBB100_219:
	s_or_b64 exec, exec, s[16:17]
.LBB100_220:
	s_or_b64 exec, exec, s[0:1]
	v_cmp_ne_u32_e32 vcc, v217, v214
	s_and_saveexec_b64 s[0:1], vcc
	s_xor_b64 s[0:1], exec, s[0:1]
	s_cbranch_execz .LBB100_226
; %bb.221:
	v_cmp_eq_u32_e32 vcc, 10, v217
	s_and_saveexec_b64 s[16:17], vcc
	s_cbranch_execz .LBB100_225
; %bb.222:
	v_cmp_ne_u32_e32 vcc, 10, v214
	s_xor_b64 s[18:19], s[14:15], -1
	s_and_b64 s[22:23], s[18:19], vcc
	s_and_saveexec_b64 s[18:19], s[22:23]
	s_cbranch_execz .LBB100_224
; %bb.223:
	v_ashrrev_i32_e32 v215, 31, v214
	v_lshl_add_u64 v[220:221], v[214:215], 2, v[212:213]
	global_load_dword v215, v[220:221], off
	global_load_dword v217, v[212:213], off offset:40
	s_waitcnt vmcnt(1)
	global_store_dword v[212:213], v215, off offset:40
	s_waitcnt vmcnt(1)
	global_store_dword v[220:221], v217, off
.LBB100_224:
	s_or_b64 exec, exec, s[18:19]
	v_mov_b32_e32 v217, v214
	v_mov_b32_e32 v219, v214
.LBB100_225:
	s_or_b64 exec, exec, s[16:17]
.LBB100_226:
	s_andn2_saveexec_b64 s[0:1], s[0:1]
	s_cbranch_execz .LBB100_228
; %bb.227:
	v_mov_b32_e32 v217, 10
	s_waitcnt vmcnt(39)
	ds_write2_b64 v216, v[160:161], v[162:163] offset0:22 offset1:23
	s_waitcnt vmcnt(38)
	ds_write2_b64 v216, v[156:157], v[158:159] offset0:24 offset1:25
	;; [unrolled: 2-line block ×40, first 2 shown]
.LBB100_228:
	s_or_b64 exec, exec, s[0:1]
	v_cmp_lt_i32_e32 vcc, 10, v217
	s_waitcnt lgkmcnt(0)
	s_barrier
	s_and_saveexec_b64 s[0:1], vcc
	s_cbranch_execz .LBB100_230
; %bb.229:
	ds_read2_b64 v[220:223], v216 offset0:22 offset1:23
	v_mul_f64 v[214:215], v[206:207], v[166:167]
	v_mul_f64 v[166:167], v[204:205], v[166:167]
	v_fma_f64 v[214:215], v[204:205], v[164:165], -v[214:215]
	v_fmac_f64_e32 v[166:167], v[206:207], v[164:165]
	ds_read2_b64 v[204:207], v216 offset0:24 offset1:25
	s_waitcnt lgkmcnt(1)
	v_mul_f64 v[164:165], v[222:223], v[166:167]
	v_fma_f64 v[164:165], v[220:221], v[214:215], -v[164:165]
	v_mul_f64 v[220:221], v[220:221], v[166:167]
	v_fmac_f64_e32 v[220:221], v[222:223], v[214:215]
	s_waitcnt vmcnt(39)
	v_add_f64 v[160:161], v[160:161], -v[164:165]
	s_waitcnt lgkmcnt(0)
	v_mul_f64 v[164:165], v[206:207], v[166:167]
	v_add_f64 v[162:163], v[162:163], -v[220:221]
	v_fma_f64 v[164:165], v[204:205], v[214:215], -v[164:165]
	v_mul_f64 v[204:205], v[204:205], v[166:167]
	ds_read2_b64 v[220:223], v216 offset0:26 offset1:27
	v_fmac_f64_e32 v[204:205], v[206:207], v[214:215]
	s_waitcnt vmcnt(38)
	v_add_f64 v[158:159], v[158:159], -v[204:205]
	ds_read2_b64 v[204:207], v216 offset0:28 offset1:29
	v_add_f64 v[156:157], v[156:157], -v[164:165]
	s_waitcnt lgkmcnt(1)
	v_mul_f64 v[164:165], v[222:223], v[166:167]
	v_fma_f64 v[164:165], v[220:221], v[214:215], -v[164:165]
	v_mul_f64 v[220:221], v[220:221], v[166:167]
	v_fmac_f64_e32 v[220:221], v[222:223], v[214:215]
	s_waitcnt vmcnt(37)
	v_add_f64 v[152:153], v[152:153], -v[164:165]
	s_waitcnt lgkmcnt(0)
	v_mul_f64 v[164:165], v[206:207], v[166:167]
	v_add_f64 v[154:155], v[154:155], -v[220:221]
	v_fma_f64 v[164:165], v[204:205], v[214:215], -v[164:165]
	v_mul_f64 v[204:205], v[204:205], v[166:167]
	ds_read2_b64 v[220:223], v216 offset0:30 offset1:31
	v_fmac_f64_e32 v[204:205], v[206:207], v[214:215]
	s_waitcnt vmcnt(36)
	v_add_f64 v[150:151], v[150:151], -v[204:205]
	ds_read2_b64 v[204:207], v216 offset0:32 offset1:33
	v_add_f64 v[148:149], v[148:149], -v[164:165]
	s_waitcnt lgkmcnt(1)
	v_mul_f64 v[164:165], v[222:223], v[166:167]
	v_fma_f64 v[164:165], v[220:221], v[214:215], -v[164:165]
	v_mul_f64 v[220:221], v[220:221], v[166:167]
	v_fmac_f64_e32 v[220:221], v[222:223], v[214:215]
	s_waitcnt vmcnt(35)
	v_add_f64 v[144:145], v[144:145], -v[164:165]
	s_waitcnt lgkmcnt(0)
	v_mul_f64 v[164:165], v[206:207], v[166:167]
	v_add_f64 v[146:147], v[146:147], -v[220:221]
	v_fma_f64 v[164:165], v[204:205], v[214:215], -v[164:165]
	v_mul_f64 v[204:205], v[204:205], v[166:167]
	ds_read2_b64 v[220:223], v216 offset0:34 offset1:35
	v_fmac_f64_e32 v[204:205], v[206:207], v[214:215]
	s_waitcnt vmcnt(34)
	v_add_f64 v[142:143], v[142:143], -v[204:205]
	ds_read2_b64 v[204:207], v216 offset0:36 offset1:37
	v_add_f64 v[140:141], v[140:141], -v[164:165]
	s_waitcnt lgkmcnt(1)
	v_mul_f64 v[164:165], v[222:223], v[166:167]
	v_fma_f64 v[164:165], v[220:221], v[214:215], -v[164:165]
	v_mul_f64 v[220:221], v[220:221], v[166:167]
	v_fmac_f64_e32 v[220:221], v[222:223], v[214:215]
	s_waitcnt vmcnt(33)
	v_add_f64 v[128:129], v[128:129], -v[164:165]
	s_waitcnt lgkmcnt(0)
	v_mul_f64 v[164:165], v[206:207], v[166:167]
	v_add_f64 v[130:131], v[130:131], -v[220:221]
	v_fma_f64 v[164:165], v[204:205], v[214:215], -v[164:165]
	v_mul_f64 v[204:205], v[204:205], v[166:167]
	ds_read2_b64 v[220:223], v216 offset0:38 offset1:39
	v_fmac_f64_e32 v[204:205], v[206:207], v[214:215]
	s_waitcnt vmcnt(32)
	v_add_f64 v[126:127], v[126:127], -v[204:205]
	ds_read2_b64 v[204:207], v216 offset0:40 offset1:41
	v_add_f64 v[124:125], v[124:125], -v[164:165]
	s_waitcnt lgkmcnt(1)
	v_mul_f64 v[164:165], v[222:223], v[166:167]
	v_fma_f64 v[164:165], v[220:221], v[214:215], -v[164:165]
	v_mul_f64 v[220:221], v[220:221], v[166:167]
	v_fmac_f64_e32 v[220:221], v[222:223], v[214:215]
	s_waitcnt vmcnt(31)
	v_add_f64 v[120:121], v[120:121], -v[164:165]
	s_waitcnt lgkmcnt(0)
	v_mul_f64 v[164:165], v[206:207], v[166:167]
	v_add_f64 v[122:123], v[122:123], -v[220:221]
	v_fma_f64 v[164:165], v[204:205], v[214:215], -v[164:165]
	v_mul_f64 v[204:205], v[204:205], v[166:167]
	ds_read2_b64 v[220:223], v216 offset0:42 offset1:43
	v_fmac_f64_e32 v[204:205], v[206:207], v[214:215]
	s_waitcnt vmcnt(30)
	v_add_f64 v[118:119], v[118:119], -v[204:205]
	ds_read2_b64 v[204:207], v216 offset0:44 offset1:45
	v_add_f64 v[116:117], v[116:117], -v[164:165]
	s_waitcnt lgkmcnt(1)
	v_mul_f64 v[164:165], v[222:223], v[166:167]
	v_fma_f64 v[164:165], v[220:221], v[214:215], -v[164:165]
	v_mul_f64 v[220:221], v[220:221], v[166:167]
	v_fmac_f64_e32 v[220:221], v[222:223], v[214:215]
	s_waitcnt vmcnt(29)
	v_add_f64 v[112:113], v[112:113], -v[164:165]
	s_waitcnt lgkmcnt(0)
	v_mul_f64 v[164:165], v[206:207], v[166:167]
	v_add_f64 v[114:115], v[114:115], -v[220:221]
	v_fma_f64 v[164:165], v[204:205], v[214:215], -v[164:165]
	v_mul_f64 v[204:205], v[204:205], v[166:167]
	ds_read2_b64 v[220:223], v216 offset0:46 offset1:47
	v_fmac_f64_e32 v[204:205], v[206:207], v[214:215]
	s_waitcnt vmcnt(28)
	v_add_f64 v[110:111], v[110:111], -v[204:205]
	ds_read2_b64 v[204:207], v216 offset0:48 offset1:49
	v_add_f64 v[108:109], v[108:109], -v[164:165]
	s_waitcnt lgkmcnt(1)
	v_mul_f64 v[164:165], v[222:223], v[166:167]
	v_fma_f64 v[164:165], v[220:221], v[214:215], -v[164:165]
	v_mul_f64 v[220:221], v[220:221], v[166:167]
	v_fmac_f64_e32 v[220:221], v[222:223], v[214:215]
	s_waitcnt vmcnt(27)
	v_add_f64 v[104:105], v[104:105], -v[164:165]
	s_waitcnt lgkmcnt(0)
	v_mul_f64 v[164:165], v[206:207], v[166:167]
	v_add_f64 v[106:107], v[106:107], -v[220:221]
	v_fma_f64 v[164:165], v[204:205], v[214:215], -v[164:165]
	v_mul_f64 v[204:205], v[204:205], v[166:167]
	ds_read2_b64 v[220:223], v216 offset0:50 offset1:51
	v_fmac_f64_e32 v[204:205], v[206:207], v[214:215]
	s_waitcnt vmcnt(26)
	v_add_f64 v[102:103], v[102:103], -v[204:205]
	ds_read2_b64 v[204:207], v216 offset0:52 offset1:53
	v_add_f64 v[100:101], v[100:101], -v[164:165]
	s_waitcnt lgkmcnt(1)
	v_mul_f64 v[164:165], v[222:223], v[166:167]
	v_fma_f64 v[164:165], v[220:221], v[214:215], -v[164:165]
	v_mul_f64 v[220:221], v[220:221], v[166:167]
	v_fmac_f64_e32 v[220:221], v[222:223], v[214:215]
	s_waitcnt vmcnt(25)
	v_add_f64 v[96:97], v[96:97], -v[164:165]
	s_waitcnt lgkmcnt(0)
	v_mul_f64 v[164:165], v[206:207], v[166:167]
	v_add_f64 v[98:99], v[98:99], -v[220:221]
	v_fma_f64 v[164:165], v[204:205], v[214:215], -v[164:165]
	v_mul_f64 v[204:205], v[204:205], v[166:167]
	ds_read2_b64 v[220:223], v216 offset0:54 offset1:55
	v_fmac_f64_e32 v[204:205], v[206:207], v[214:215]
	s_waitcnt vmcnt(24)
	v_add_f64 v[94:95], v[94:95], -v[204:205]
	ds_read2_b64 v[204:207], v216 offset0:56 offset1:57
	v_add_f64 v[92:93], v[92:93], -v[164:165]
	s_waitcnt lgkmcnt(1)
	v_mul_f64 v[164:165], v[222:223], v[166:167]
	v_fma_f64 v[164:165], v[220:221], v[214:215], -v[164:165]
	v_mul_f64 v[220:221], v[220:221], v[166:167]
	v_fmac_f64_e32 v[220:221], v[222:223], v[214:215]
	s_waitcnt vmcnt(23)
	v_add_f64 v[88:89], v[88:89], -v[164:165]
	s_waitcnt lgkmcnt(0)
	v_mul_f64 v[164:165], v[206:207], v[166:167]
	v_add_f64 v[90:91], v[90:91], -v[220:221]
	v_fma_f64 v[164:165], v[204:205], v[214:215], -v[164:165]
	v_mul_f64 v[204:205], v[204:205], v[166:167]
	ds_read2_b64 v[220:223], v216 offset0:58 offset1:59
	v_fmac_f64_e32 v[204:205], v[206:207], v[214:215]
	s_waitcnt vmcnt(22)
	v_add_f64 v[86:87], v[86:87], -v[204:205]
	ds_read2_b64 v[204:207], v216 offset0:60 offset1:61
	v_add_f64 v[84:85], v[84:85], -v[164:165]
	s_waitcnt lgkmcnt(1)
	v_mul_f64 v[164:165], v[222:223], v[166:167]
	v_fma_f64 v[164:165], v[220:221], v[214:215], -v[164:165]
	v_mul_f64 v[220:221], v[220:221], v[166:167]
	v_fmac_f64_e32 v[220:221], v[222:223], v[214:215]
	s_waitcnt vmcnt(21)
	v_add_f64 v[80:81], v[80:81], -v[164:165]
	s_waitcnt lgkmcnt(0)
	v_mul_f64 v[164:165], v[206:207], v[166:167]
	v_add_f64 v[82:83], v[82:83], -v[220:221]
	v_fma_f64 v[164:165], v[204:205], v[214:215], -v[164:165]
	v_mul_f64 v[204:205], v[204:205], v[166:167]
	ds_read2_b64 v[220:223], v216 offset0:62 offset1:63
	v_fmac_f64_e32 v[204:205], v[206:207], v[214:215]
	s_waitcnt vmcnt(20)
	v_add_f64 v[78:79], v[78:79], -v[204:205]
	ds_read2_b64 v[204:207], v216 offset0:64 offset1:65
	v_add_f64 v[76:77], v[76:77], -v[164:165]
	s_waitcnt lgkmcnt(1)
	v_mul_f64 v[164:165], v[222:223], v[166:167]
	v_fma_f64 v[164:165], v[220:221], v[214:215], -v[164:165]
	v_mul_f64 v[220:221], v[220:221], v[166:167]
	v_fmac_f64_e32 v[220:221], v[222:223], v[214:215]
	s_waitcnt vmcnt(19)
	v_add_f64 v[72:73], v[72:73], -v[164:165]
	s_waitcnt lgkmcnt(0)
	v_mul_f64 v[164:165], v[206:207], v[166:167]
	v_add_f64 v[74:75], v[74:75], -v[220:221]
	v_fma_f64 v[164:165], v[204:205], v[214:215], -v[164:165]
	v_mul_f64 v[204:205], v[204:205], v[166:167]
	ds_read2_b64 v[220:223], v216 offset0:66 offset1:67
	v_fmac_f64_e32 v[204:205], v[206:207], v[214:215]
	s_waitcnt vmcnt(18)
	v_add_f64 v[70:71], v[70:71], -v[204:205]
	ds_read2_b64 v[204:207], v216 offset0:68 offset1:69
	v_add_f64 v[68:69], v[68:69], -v[164:165]
	s_waitcnt lgkmcnt(1)
	v_mul_f64 v[164:165], v[222:223], v[166:167]
	v_fma_f64 v[164:165], v[220:221], v[214:215], -v[164:165]
	v_mul_f64 v[220:221], v[220:221], v[166:167]
	v_fmac_f64_e32 v[220:221], v[222:223], v[214:215]
	s_waitcnt vmcnt(17)
	v_add_f64 v[64:65], v[64:65], -v[164:165]
	s_waitcnt lgkmcnt(0)
	v_mul_f64 v[164:165], v[206:207], v[166:167]
	v_add_f64 v[66:67], v[66:67], -v[220:221]
	v_fma_f64 v[164:165], v[204:205], v[214:215], -v[164:165]
	v_mul_f64 v[204:205], v[204:205], v[166:167]
	ds_read2_b64 v[220:223], v216 offset0:70 offset1:71
	v_fmac_f64_e32 v[204:205], v[206:207], v[214:215]
	s_waitcnt vmcnt(16)
	v_add_f64 v[62:63], v[62:63], -v[204:205]
	ds_read2_b64 v[204:207], v216 offset0:72 offset1:73
	v_add_f64 v[60:61], v[60:61], -v[164:165]
	s_waitcnt lgkmcnt(1)
	v_mul_f64 v[164:165], v[222:223], v[166:167]
	v_fma_f64 v[164:165], v[220:221], v[214:215], -v[164:165]
	v_mul_f64 v[220:221], v[220:221], v[166:167]
	v_fmac_f64_e32 v[220:221], v[222:223], v[214:215]
	s_waitcnt vmcnt(15)
	v_add_f64 v[56:57], v[56:57], -v[164:165]
	s_waitcnt lgkmcnt(0)
	v_mul_f64 v[164:165], v[206:207], v[166:167]
	v_add_f64 v[58:59], v[58:59], -v[220:221]
	v_fma_f64 v[164:165], v[204:205], v[214:215], -v[164:165]
	v_mul_f64 v[204:205], v[204:205], v[166:167]
	ds_read2_b64 v[220:223], v216 offset0:74 offset1:75
	v_fmac_f64_e32 v[204:205], v[206:207], v[214:215]
	s_waitcnt vmcnt(14)
	v_add_f64 v[54:55], v[54:55], -v[204:205]
	ds_read2_b64 v[204:207], v216 offset0:76 offset1:77
	v_add_f64 v[52:53], v[52:53], -v[164:165]
	s_waitcnt lgkmcnt(1)
	v_mul_f64 v[164:165], v[222:223], v[166:167]
	v_fma_f64 v[164:165], v[220:221], v[214:215], -v[164:165]
	v_mul_f64 v[220:221], v[220:221], v[166:167]
	v_fmac_f64_e32 v[220:221], v[222:223], v[214:215]
	s_waitcnt vmcnt(13)
	v_add_f64 v[48:49], v[48:49], -v[164:165]
	s_waitcnt lgkmcnt(0)
	v_mul_f64 v[164:165], v[206:207], v[166:167]
	v_add_f64 v[50:51], v[50:51], -v[220:221]
	v_fma_f64 v[164:165], v[204:205], v[214:215], -v[164:165]
	v_mul_f64 v[204:205], v[204:205], v[166:167]
	ds_read2_b64 v[220:223], v216 offset0:78 offset1:79
	v_fmac_f64_e32 v[204:205], v[206:207], v[214:215]
	s_waitcnt vmcnt(12)
	v_add_f64 v[46:47], v[46:47], -v[204:205]
	ds_read2_b64 v[204:207], v216 offset0:80 offset1:81
	v_add_f64 v[44:45], v[44:45], -v[164:165]
	s_waitcnt lgkmcnt(1)
	v_mul_f64 v[164:165], v[222:223], v[166:167]
	v_fma_f64 v[164:165], v[220:221], v[214:215], -v[164:165]
	v_mul_f64 v[220:221], v[220:221], v[166:167]
	v_fmac_f64_e32 v[220:221], v[222:223], v[214:215]
	s_waitcnt vmcnt(11)
	v_add_f64 v[40:41], v[40:41], -v[164:165]
	s_waitcnt lgkmcnt(0)
	v_mul_f64 v[164:165], v[206:207], v[166:167]
	v_add_f64 v[42:43], v[42:43], -v[220:221]
	v_fma_f64 v[164:165], v[204:205], v[214:215], -v[164:165]
	v_mul_f64 v[204:205], v[204:205], v[166:167]
	ds_read2_b64 v[220:223], v216 offset0:82 offset1:83
	v_fmac_f64_e32 v[204:205], v[206:207], v[214:215]
	s_waitcnt vmcnt(10)
	v_add_f64 v[38:39], v[38:39], -v[204:205]
	ds_read2_b64 v[204:207], v216 offset0:84 offset1:85
	v_add_f64 v[36:37], v[36:37], -v[164:165]
	s_waitcnt lgkmcnt(1)
	v_mul_f64 v[164:165], v[222:223], v[166:167]
	v_fma_f64 v[164:165], v[220:221], v[214:215], -v[164:165]
	v_mul_f64 v[220:221], v[220:221], v[166:167]
	v_fmac_f64_e32 v[220:221], v[222:223], v[214:215]
	s_waitcnt vmcnt(9)
	v_add_f64 v[32:33], v[32:33], -v[164:165]
	s_waitcnt lgkmcnt(0)
	v_mul_f64 v[164:165], v[206:207], v[166:167]
	v_add_f64 v[34:35], v[34:35], -v[220:221]
	v_fma_f64 v[164:165], v[204:205], v[214:215], -v[164:165]
	v_mul_f64 v[204:205], v[204:205], v[166:167]
	ds_read2_b64 v[220:223], v216 offset0:86 offset1:87
	v_fmac_f64_e32 v[204:205], v[206:207], v[214:215]
	s_waitcnt vmcnt(8)
	v_add_f64 v[30:31], v[30:31], -v[204:205]
	ds_read2_b64 v[204:207], v216 offset0:88 offset1:89
	v_add_f64 v[28:29], v[28:29], -v[164:165]
	s_waitcnt lgkmcnt(1)
	v_mul_f64 v[164:165], v[222:223], v[166:167]
	v_fma_f64 v[164:165], v[220:221], v[214:215], -v[164:165]
	v_mul_f64 v[220:221], v[220:221], v[166:167]
	v_fmac_f64_e32 v[220:221], v[222:223], v[214:215]
	s_waitcnt vmcnt(7)
	v_add_f64 v[24:25], v[24:25], -v[164:165]
	s_waitcnt lgkmcnt(0)
	v_mul_f64 v[164:165], v[206:207], v[166:167]
	v_add_f64 v[26:27], v[26:27], -v[220:221]
	v_fma_f64 v[164:165], v[204:205], v[214:215], -v[164:165]
	v_mul_f64 v[204:205], v[204:205], v[166:167]
	ds_read2_b64 v[220:223], v216 offset0:90 offset1:91
	v_fmac_f64_e32 v[204:205], v[206:207], v[214:215]
	s_waitcnt vmcnt(6)
	v_add_f64 v[22:23], v[22:23], -v[204:205]
	ds_read2_b64 v[204:207], v216 offset0:92 offset1:93
	v_add_f64 v[20:21], v[20:21], -v[164:165]
	s_waitcnt lgkmcnt(1)
	v_mul_f64 v[164:165], v[222:223], v[166:167]
	v_fma_f64 v[164:165], v[220:221], v[214:215], -v[164:165]
	v_mul_f64 v[220:221], v[220:221], v[166:167]
	v_fmac_f64_e32 v[220:221], v[222:223], v[214:215]
	s_waitcnt vmcnt(5)
	v_add_f64 v[16:17], v[16:17], -v[164:165]
	s_waitcnt lgkmcnt(0)
	v_mul_f64 v[164:165], v[206:207], v[166:167]
	v_add_f64 v[18:19], v[18:19], -v[220:221]
	v_fma_f64 v[164:165], v[204:205], v[214:215], -v[164:165]
	v_mul_f64 v[204:205], v[204:205], v[166:167]
	ds_read2_b64 v[220:223], v216 offset0:94 offset1:95
	v_fmac_f64_e32 v[204:205], v[206:207], v[214:215]
	s_waitcnt vmcnt(4)
	v_add_f64 v[14:15], v[14:15], -v[204:205]
	ds_read2_b64 v[204:207], v216 offset0:96 offset1:97
	v_add_f64 v[12:13], v[12:13], -v[164:165]
	s_waitcnt lgkmcnt(1)
	v_mul_f64 v[164:165], v[222:223], v[166:167]
	v_fma_f64 v[164:165], v[220:221], v[214:215], -v[164:165]
	v_mul_f64 v[220:221], v[220:221], v[166:167]
	v_fmac_f64_e32 v[220:221], v[222:223], v[214:215]
	s_waitcnt vmcnt(3)
	v_add_f64 v[8:9], v[8:9], -v[164:165]
	s_waitcnt lgkmcnt(0)
	v_mul_f64 v[164:165], v[206:207], v[166:167]
	v_add_f64 v[10:11], v[10:11], -v[220:221]
	v_fma_f64 v[164:165], v[204:205], v[214:215], -v[164:165]
	v_mul_f64 v[204:205], v[204:205], v[166:167]
	ds_read2_b64 v[220:223], v216 offset0:98 offset1:99
	v_fmac_f64_e32 v[204:205], v[206:207], v[214:215]
	s_waitcnt vmcnt(2)
	v_add_f64 v[6:7], v[6:7], -v[204:205]
	ds_read2_b64 v[204:207], v216 offset0:100 offset1:101
	v_add_f64 v[4:5], v[4:5], -v[164:165]
	s_waitcnt lgkmcnt(1)
	v_mul_f64 v[164:165], v[222:223], v[166:167]
	v_fma_f64 v[164:165], v[220:221], v[214:215], -v[164:165]
	s_waitcnt vmcnt(1)
	v_add_f64 v[0:1], v[0:1], -v[164:165]
	s_waitcnt lgkmcnt(0)
	v_mul_f64 v[164:165], v[206:207], v[166:167]
	v_mul_f64 v[220:221], v[220:221], v[166:167]
	v_fma_f64 v[164:165], v[204:205], v[214:215], -v[164:165]
	v_mul_f64 v[204:205], v[204:205], v[166:167]
	v_fmac_f64_e32 v[220:221], v[222:223], v[214:215]
	v_fmac_f64_e32 v[204:205], v[206:207], v[214:215]
	v_add_f64 v[2:3], v[2:3], -v[220:221]
	s_waitcnt vmcnt(0)
	v_add_f64 v[200:201], v[200:201], -v[164:165]
	v_add_f64 v[202:203], v[202:203], -v[204:205]
	v_mov_b64_e32 v[164:165], v[214:215]
.LBB100_230:
	s_or_b64 exec, exec, s[0:1]
	v_lshl_add_u32 v204, v217, 4, v216
	s_barrier
	s_waitcnt vmcnt(39)
	ds_write2_b64 v204, v[160:161], v[162:163] offset1:1
	s_waitcnt lgkmcnt(0)
	s_barrier
	ds_read2_b64 v[204:207], v216 offset0:22 offset1:23
	s_cmp_lt_i32 s20, 13
	v_mov_b32_e32 v214, 11
	s_cbranch_scc1 .LBB100_233
; %bb.231:
	v_add_u32_e32 v215, 0xc0, v216
	s_mov_b32 s16, 12
	v_mov_b32_e32 v214, 11
.LBB100_232:                            ; =>This Inner Loop Header: Depth=1
	ds_read2_b64 v[220:223], v215 offset1:1
	s_waitcnt lgkmcnt(1)
	v_xor_b32_e32 v225, 0x80000000, v205
	v_xor_b32_e32 v227, 0x80000000, v207
	v_cmp_gt_f64_e32 vcc, 0, v[206:207]
	v_cmp_gt_f64_e64 s[0:1], 0, v[204:205]
	v_mov_b32_e32 v224, v204
	v_mov_b32_e32 v226, v206
	v_cndmask_b32_e64 v225, v205, v225, s[0:1]
	v_cndmask_b32_e32 v227, v207, v227, vcc
	v_add_f64 v[224:225], v[224:225], v[226:227]
	s_waitcnt lgkmcnt(0)
	v_xor_b32_e32 v227, 0x80000000, v221
	v_xor_b32_e32 v229, 0x80000000, v223
	v_cmp_gt_f64_e32 vcc, 0, v[222:223]
	v_cmp_gt_f64_e64 s[0:1], 0, v[220:221]
	v_mov_b32_e32 v226, v220
	v_mov_b32_e32 v228, v222
	v_cndmask_b32_e64 v227, v221, v227, s[0:1]
	v_cndmask_b32_e32 v229, v223, v229, vcc
	v_add_f64 v[226:227], v[226:227], v[228:229]
	v_mov_b32_e32 v230, s16
	s_add_i32 s16, s16, 1
	v_cmp_lt_f64_e32 vcc, v[224:225], v[226:227]
	v_add_u32_e32 v215, 16, v215
	s_cmp_lg_u32 s20, s16
	v_cndmask_b32_e32 v205, v205, v221, vcc
	v_cndmask_b32_e32 v204, v204, v220, vcc
	;; [unrolled: 1-line block ×5, first 2 shown]
	s_cbranch_scc1 .LBB100_232
.LBB100_233:
	s_waitcnt lgkmcnt(0)
	v_cmp_eq_f64_e32 vcc, 0, v[204:205]
	v_cmp_eq_f64_e64 s[0:1], 0, v[206:207]
	s_and_b64 s[0:1], vcc, s[0:1]
	s_and_saveexec_b64 s[16:17], s[0:1]
	s_xor_b64 s[0:1], exec, s[16:17]
; %bb.234:
	v_cmp_ne_u32_e32 vcc, 0, v218
	s_nop 1
	v_cndmask_b32_e32 v218, 12, v218, vcc
; %bb.235:
	s_andn2_saveexec_b64 s[0:1], s[0:1]
	s_cbranch_execz .LBB100_241
; %bb.236:
	v_cmp_ngt_f64_e64 s[16:17], |v[204:205]|, |v[206:207]|
	s_and_saveexec_b64 s[18:19], s[16:17]
	s_xor_b64 s[16:17], exec, s[18:19]
	s_cbranch_execz .LBB100_238
; %bb.237:
	v_div_scale_f64 v[220:221], s[18:19], v[206:207], v[206:207], v[204:205]
	v_rcp_f64_e32 v[222:223], v[220:221]
	v_div_scale_f64 v[224:225], vcc, v[204:205], v[206:207], v[204:205]
	v_fma_f64 v[226:227], -v[220:221], v[222:223], 1.0
	v_fmac_f64_e32 v[222:223], v[222:223], v[226:227]
	v_fma_f64 v[226:227], -v[220:221], v[222:223], 1.0
	v_fmac_f64_e32 v[222:223], v[222:223], v[226:227]
	v_mul_f64 v[226:227], v[224:225], v[222:223]
	v_fma_f64 v[220:221], -v[220:221], v[226:227], v[224:225]
	v_div_fmas_f64 v[220:221], v[220:221], v[222:223], v[226:227]
	v_div_fixup_f64 v[220:221], v[220:221], v[206:207], v[204:205]
	v_fmac_f64_e32 v[206:207], v[204:205], v[220:221]
	v_div_scale_f64 v[204:205], s[18:19], v[206:207], v[206:207], 1.0
	v_rcp_f64_e32 v[222:223], v[204:205]
	s_nop 0
	v_fma_f64 v[224:225], -v[204:205], v[222:223], 1.0
	v_fmac_f64_e32 v[222:223], v[222:223], v[224:225]
	v_fma_f64 v[224:225], -v[204:205], v[222:223], 1.0
	v_fmac_f64_e32 v[222:223], v[222:223], v[224:225]
	v_div_scale_f64 v[224:225], vcc, 1.0, v[206:207], 1.0
	v_mul_f64 v[226:227], v[224:225], v[222:223]
	v_fma_f64 v[204:205], -v[204:205], v[226:227], v[224:225]
	s_nop 1
	v_div_fmas_f64 v[204:205], v[204:205], v[222:223], v[226:227]
	v_div_fixup_f64 v[206:207], v[204:205], v[206:207], 1.0
	v_mul_f64 v[204:205], v[220:221], v[206:207]
	v_xor_b32_e32 v207, 0x80000000, v207
.LBB100_238:
	s_andn2_saveexec_b64 s[16:17], s[16:17]
	s_cbranch_execz .LBB100_240
; %bb.239:
	v_div_scale_f64 v[220:221], s[18:19], v[204:205], v[204:205], v[206:207]
	v_rcp_f64_e32 v[222:223], v[220:221]
	v_div_scale_f64 v[224:225], vcc, v[206:207], v[204:205], v[206:207]
	v_fma_f64 v[226:227], -v[220:221], v[222:223], 1.0
	v_fmac_f64_e32 v[222:223], v[222:223], v[226:227]
	v_fma_f64 v[226:227], -v[220:221], v[222:223], 1.0
	v_fmac_f64_e32 v[222:223], v[222:223], v[226:227]
	v_mul_f64 v[226:227], v[224:225], v[222:223]
	v_fma_f64 v[220:221], -v[220:221], v[226:227], v[224:225]
	v_div_fmas_f64 v[220:221], v[220:221], v[222:223], v[226:227]
	v_div_fixup_f64 v[220:221], v[220:221], v[204:205], v[206:207]
	v_fmac_f64_e32 v[204:205], v[206:207], v[220:221]
	v_div_scale_f64 v[206:207], s[18:19], v[204:205], v[204:205], 1.0
	v_rcp_f64_e32 v[222:223], v[206:207]
	s_nop 0
	v_fma_f64 v[224:225], -v[206:207], v[222:223], 1.0
	v_fmac_f64_e32 v[222:223], v[222:223], v[224:225]
	v_fma_f64 v[224:225], -v[206:207], v[222:223], 1.0
	v_fmac_f64_e32 v[222:223], v[222:223], v[224:225]
	v_div_scale_f64 v[224:225], vcc, 1.0, v[204:205], 1.0
	v_mul_f64 v[226:227], v[224:225], v[222:223]
	v_fma_f64 v[206:207], -v[206:207], v[226:227], v[224:225]
	s_nop 1
	v_div_fmas_f64 v[206:207], v[206:207], v[222:223], v[226:227]
	v_div_fixup_f64 v[204:205], v[206:207], v[204:205], 1.0
	v_mul_f64 v[206:207], v[220:221], -v[204:205]
.LBB100_240:
	s_or_b64 exec, exec, s[16:17]
.LBB100_241:
	s_or_b64 exec, exec, s[0:1]
	v_cmp_ne_u32_e32 vcc, v217, v214
	s_and_saveexec_b64 s[0:1], vcc
	s_xor_b64 s[0:1], exec, s[0:1]
	s_cbranch_execz .LBB100_247
; %bb.242:
	v_cmp_eq_u32_e32 vcc, 11, v217
	s_and_saveexec_b64 s[16:17], vcc
	s_cbranch_execz .LBB100_246
; %bb.243:
	v_cmp_ne_u32_e32 vcc, 11, v214
	s_xor_b64 s[18:19], s[14:15], -1
	s_and_b64 s[22:23], s[18:19], vcc
	s_and_saveexec_b64 s[18:19], s[22:23]
	s_cbranch_execz .LBB100_245
; %bb.244:
	v_ashrrev_i32_e32 v215, 31, v214
	v_lshl_add_u64 v[220:221], v[214:215], 2, v[212:213]
	global_load_dword v215, v[220:221], off
	global_load_dword v217, v[212:213], off offset:44
	s_waitcnt vmcnt(1)
	global_store_dword v[212:213], v215, off offset:44
	s_waitcnt vmcnt(1)
	global_store_dword v[220:221], v217, off
.LBB100_245:
	s_or_b64 exec, exec, s[18:19]
	v_mov_b32_e32 v217, v214
	v_mov_b32_e32 v219, v214
.LBB100_246:
	s_or_b64 exec, exec, s[16:17]
.LBB100_247:
	s_andn2_saveexec_b64 s[0:1], s[0:1]
	s_cbranch_execz .LBB100_249
; %bb.248:
	v_mov_b32_e32 v217, 11
	s_waitcnt vmcnt(38)
	ds_write2_b64 v216, v[156:157], v[158:159] offset0:24 offset1:25
	s_waitcnt vmcnt(37)
	ds_write2_b64 v216, v[152:153], v[154:155] offset0:26 offset1:27
	;; [unrolled: 2-line block ×39, first 2 shown]
.LBB100_249:
	s_or_b64 exec, exec, s[0:1]
	v_cmp_lt_i32_e32 vcc, 11, v217
	s_waitcnt lgkmcnt(0)
	s_barrier
	s_and_saveexec_b64 s[0:1], vcc
	s_cbranch_execz .LBB100_251
; %bb.250:
	ds_read2_b64 v[220:223], v216 offset0:24 offset1:25
	v_mul_f64 v[214:215], v[206:207], v[162:163]
	v_mul_f64 v[162:163], v[204:205], v[162:163]
	v_fmac_f64_e32 v[162:163], v[206:207], v[160:161]
	v_fma_f64 v[214:215], v[204:205], v[160:161], -v[214:215]
	ds_read2_b64 v[204:207], v216 offset0:26 offset1:27
	s_waitcnt lgkmcnt(1)
	v_mul_f64 v[160:161], v[222:223], v[162:163]
	v_fma_f64 v[160:161], v[220:221], v[214:215], -v[160:161]
	v_mul_f64 v[220:221], v[220:221], v[162:163]
	v_fmac_f64_e32 v[220:221], v[222:223], v[214:215]
	s_waitcnt vmcnt(38)
	v_add_f64 v[158:159], v[158:159], -v[220:221]
	ds_read2_b64 v[220:223], v216 offset0:28 offset1:29
	v_add_f64 v[156:157], v[156:157], -v[160:161]
	s_waitcnt lgkmcnt(1)
	v_mul_f64 v[160:161], v[206:207], v[162:163]
	v_fma_f64 v[160:161], v[204:205], v[214:215], -v[160:161]
	v_mul_f64 v[204:205], v[204:205], v[162:163]
	v_fmac_f64_e32 v[204:205], v[206:207], v[214:215]
	s_waitcnt vmcnt(37)
	v_add_f64 v[152:153], v[152:153], -v[160:161]
	v_add_f64 v[154:155], v[154:155], -v[204:205]
	ds_read2_b64 v[204:207], v216 offset0:30 offset1:31
	s_waitcnt lgkmcnt(1)
	v_mul_f64 v[160:161], v[222:223], v[162:163]
	v_fma_f64 v[160:161], v[220:221], v[214:215], -v[160:161]
	v_mul_f64 v[220:221], v[220:221], v[162:163]
	v_fmac_f64_e32 v[220:221], v[222:223], v[214:215]
	s_waitcnt vmcnt(36)
	v_add_f64 v[150:151], v[150:151], -v[220:221]
	ds_read2_b64 v[220:223], v216 offset0:32 offset1:33
	v_add_f64 v[148:149], v[148:149], -v[160:161]
	s_waitcnt lgkmcnt(1)
	v_mul_f64 v[160:161], v[206:207], v[162:163]
	v_fma_f64 v[160:161], v[204:205], v[214:215], -v[160:161]
	v_mul_f64 v[204:205], v[204:205], v[162:163]
	v_fmac_f64_e32 v[204:205], v[206:207], v[214:215]
	s_waitcnt vmcnt(35)
	v_add_f64 v[144:145], v[144:145], -v[160:161]
	v_add_f64 v[146:147], v[146:147], -v[204:205]
	;; [unrolled: 18-line block ×19, first 2 shown]
	s_waitcnt lgkmcnt(0)
	v_mul_f64 v[160:161], v[222:223], v[162:163]
	v_mul_f64 v[204:205], v[220:221], v[162:163]
	v_fma_f64 v[160:161], v[220:221], v[214:215], -v[160:161]
	v_fmac_f64_e32 v[204:205], v[222:223], v[214:215]
	s_waitcnt vmcnt(0)
	v_add_f64 v[200:201], v[200:201], -v[160:161]
	v_add_f64 v[202:203], v[202:203], -v[204:205]
	v_mov_b64_e32 v[160:161], v[214:215]
.LBB100_251:
	s_or_b64 exec, exec, s[0:1]
	v_lshl_add_u32 v204, v217, 4, v216
	s_barrier
	s_waitcnt vmcnt(38)
	ds_write2_b64 v204, v[156:157], v[158:159] offset1:1
	s_waitcnt lgkmcnt(0)
	s_barrier
	ds_read2_b64 v[204:207], v216 offset0:24 offset1:25
	s_cmp_lt_i32 s20, 14
	v_mov_b32_e32 v214, 12
	s_cbranch_scc1 .LBB100_254
; %bb.252:
	v_add_u32_e32 v215, 0xd0, v216
	s_mov_b32 s16, 13
	v_mov_b32_e32 v214, 12
.LBB100_253:                            ; =>This Inner Loop Header: Depth=1
	ds_read2_b64 v[220:223], v215 offset1:1
	s_waitcnt lgkmcnt(1)
	v_xor_b32_e32 v225, 0x80000000, v205
	v_xor_b32_e32 v227, 0x80000000, v207
	v_cmp_gt_f64_e32 vcc, 0, v[206:207]
	v_cmp_gt_f64_e64 s[0:1], 0, v[204:205]
	v_mov_b32_e32 v224, v204
	v_mov_b32_e32 v226, v206
	v_cndmask_b32_e64 v225, v205, v225, s[0:1]
	v_cndmask_b32_e32 v227, v207, v227, vcc
	v_add_f64 v[224:225], v[224:225], v[226:227]
	s_waitcnt lgkmcnt(0)
	v_xor_b32_e32 v227, 0x80000000, v221
	v_xor_b32_e32 v229, 0x80000000, v223
	v_cmp_gt_f64_e32 vcc, 0, v[222:223]
	v_cmp_gt_f64_e64 s[0:1], 0, v[220:221]
	v_mov_b32_e32 v226, v220
	v_mov_b32_e32 v228, v222
	v_cndmask_b32_e64 v227, v221, v227, s[0:1]
	v_cndmask_b32_e32 v229, v223, v229, vcc
	v_add_f64 v[226:227], v[226:227], v[228:229]
	v_mov_b32_e32 v230, s16
	s_add_i32 s16, s16, 1
	v_cmp_lt_f64_e32 vcc, v[224:225], v[226:227]
	v_add_u32_e32 v215, 16, v215
	s_cmp_lg_u32 s20, s16
	v_cndmask_b32_e32 v205, v205, v221, vcc
	v_cndmask_b32_e32 v204, v204, v220, vcc
	;; [unrolled: 1-line block ×5, first 2 shown]
	s_cbranch_scc1 .LBB100_253
.LBB100_254:
	s_waitcnt lgkmcnt(0)
	v_cmp_eq_f64_e32 vcc, 0, v[204:205]
	v_cmp_eq_f64_e64 s[0:1], 0, v[206:207]
	s_and_b64 s[0:1], vcc, s[0:1]
	s_and_saveexec_b64 s[16:17], s[0:1]
	s_xor_b64 s[0:1], exec, s[16:17]
; %bb.255:
	v_cmp_ne_u32_e32 vcc, 0, v218
	s_nop 1
	v_cndmask_b32_e32 v218, 13, v218, vcc
; %bb.256:
	s_andn2_saveexec_b64 s[0:1], s[0:1]
	s_cbranch_execz .LBB100_262
; %bb.257:
	v_cmp_ngt_f64_e64 s[16:17], |v[204:205]|, |v[206:207]|
	s_and_saveexec_b64 s[18:19], s[16:17]
	s_xor_b64 s[16:17], exec, s[18:19]
	s_cbranch_execz .LBB100_259
; %bb.258:
	v_div_scale_f64 v[220:221], s[18:19], v[206:207], v[206:207], v[204:205]
	v_rcp_f64_e32 v[222:223], v[220:221]
	v_div_scale_f64 v[224:225], vcc, v[204:205], v[206:207], v[204:205]
	v_fma_f64 v[226:227], -v[220:221], v[222:223], 1.0
	v_fmac_f64_e32 v[222:223], v[222:223], v[226:227]
	v_fma_f64 v[226:227], -v[220:221], v[222:223], 1.0
	v_fmac_f64_e32 v[222:223], v[222:223], v[226:227]
	v_mul_f64 v[226:227], v[224:225], v[222:223]
	v_fma_f64 v[220:221], -v[220:221], v[226:227], v[224:225]
	v_div_fmas_f64 v[220:221], v[220:221], v[222:223], v[226:227]
	v_div_fixup_f64 v[220:221], v[220:221], v[206:207], v[204:205]
	v_fmac_f64_e32 v[206:207], v[204:205], v[220:221]
	v_div_scale_f64 v[204:205], s[18:19], v[206:207], v[206:207], 1.0
	v_rcp_f64_e32 v[222:223], v[204:205]
	s_nop 0
	v_fma_f64 v[224:225], -v[204:205], v[222:223], 1.0
	v_fmac_f64_e32 v[222:223], v[222:223], v[224:225]
	v_fma_f64 v[224:225], -v[204:205], v[222:223], 1.0
	v_fmac_f64_e32 v[222:223], v[222:223], v[224:225]
	v_div_scale_f64 v[224:225], vcc, 1.0, v[206:207], 1.0
	v_mul_f64 v[226:227], v[224:225], v[222:223]
	v_fma_f64 v[204:205], -v[204:205], v[226:227], v[224:225]
	s_nop 1
	v_div_fmas_f64 v[204:205], v[204:205], v[222:223], v[226:227]
	v_div_fixup_f64 v[206:207], v[204:205], v[206:207], 1.0
	v_mul_f64 v[204:205], v[220:221], v[206:207]
	v_xor_b32_e32 v207, 0x80000000, v207
.LBB100_259:
	s_andn2_saveexec_b64 s[16:17], s[16:17]
	s_cbranch_execz .LBB100_261
; %bb.260:
	v_div_scale_f64 v[220:221], s[18:19], v[204:205], v[204:205], v[206:207]
	v_rcp_f64_e32 v[222:223], v[220:221]
	v_div_scale_f64 v[224:225], vcc, v[206:207], v[204:205], v[206:207]
	v_fma_f64 v[226:227], -v[220:221], v[222:223], 1.0
	v_fmac_f64_e32 v[222:223], v[222:223], v[226:227]
	v_fma_f64 v[226:227], -v[220:221], v[222:223], 1.0
	v_fmac_f64_e32 v[222:223], v[222:223], v[226:227]
	v_mul_f64 v[226:227], v[224:225], v[222:223]
	v_fma_f64 v[220:221], -v[220:221], v[226:227], v[224:225]
	v_div_fmas_f64 v[220:221], v[220:221], v[222:223], v[226:227]
	v_div_fixup_f64 v[220:221], v[220:221], v[204:205], v[206:207]
	v_fmac_f64_e32 v[204:205], v[206:207], v[220:221]
	v_div_scale_f64 v[206:207], s[18:19], v[204:205], v[204:205], 1.0
	v_rcp_f64_e32 v[222:223], v[206:207]
	s_nop 0
	v_fma_f64 v[224:225], -v[206:207], v[222:223], 1.0
	v_fmac_f64_e32 v[222:223], v[222:223], v[224:225]
	v_fma_f64 v[224:225], -v[206:207], v[222:223], 1.0
	v_fmac_f64_e32 v[222:223], v[222:223], v[224:225]
	v_div_scale_f64 v[224:225], vcc, 1.0, v[204:205], 1.0
	v_mul_f64 v[226:227], v[224:225], v[222:223]
	v_fma_f64 v[206:207], -v[206:207], v[226:227], v[224:225]
	s_nop 1
	v_div_fmas_f64 v[206:207], v[206:207], v[222:223], v[226:227]
	v_div_fixup_f64 v[204:205], v[206:207], v[204:205], 1.0
	v_mul_f64 v[206:207], v[220:221], -v[204:205]
.LBB100_261:
	s_or_b64 exec, exec, s[16:17]
.LBB100_262:
	s_or_b64 exec, exec, s[0:1]
	v_cmp_ne_u32_e32 vcc, v217, v214
	s_and_saveexec_b64 s[0:1], vcc
	s_xor_b64 s[0:1], exec, s[0:1]
	s_cbranch_execz .LBB100_268
; %bb.263:
	v_cmp_eq_u32_e32 vcc, 12, v217
	s_and_saveexec_b64 s[16:17], vcc
	s_cbranch_execz .LBB100_267
; %bb.264:
	v_cmp_ne_u32_e32 vcc, 12, v214
	s_xor_b64 s[18:19], s[14:15], -1
	s_and_b64 s[22:23], s[18:19], vcc
	s_and_saveexec_b64 s[18:19], s[22:23]
	s_cbranch_execz .LBB100_266
; %bb.265:
	v_ashrrev_i32_e32 v215, 31, v214
	v_lshl_add_u64 v[220:221], v[214:215], 2, v[212:213]
	global_load_dword v215, v[220:221], off
	global_load_dword v217, v[212:213], off offset:48
	s_waitcnt vmcnt(1)
	global_store_dword v[212:213], v215, off offset:48
	s_waitcnt vmcnt(1)
	global_store_dword v[220:221], v217, off
.LBB100_266:
	s_or_b64 exec, exec, s[18:19]
	v_mov_b32_e32 v217, v214
	v_mov_b32_e32 v219, v214
.LBB100_267:
	s_or_b64 exec, exec, s[16:17]
.LBB100_268:
	s_andn2_saveexec_b64 s[0:1], s[0:1]
	s_cbranch_execz .LBB100_270
; %bb.269:
	v_mov_b32_e32 v217, 12
	s_waitcnt vmcnt(37)
	ds_write2_b64 v216, v[152:153], v[154:155] offset0:26 offset1:27
	s_waitcnt vmcnt(36)
	ds_write2_b64 v216, v[148:149], v[150:151] offset0:28 offset1:29
	;; [unrolled: 2-line block ×38, first 2 shown]
.LBB100_270:
	s_or_b64 exec, exec, s[0:1]
	v_cmp_lt_i32_e32 vcc, 12, v217
	s_waitcnt lgkmcnt(0)
	s_barrier
	s_and_saveexec_b64 s[0:1], vcc
	s_cbranch_execz .LBB100_272
; %bb.271:
	ds_read2_b64 v[220:223], v216 offset0:26 offset1:27
	v_mul_f64 v[214:215], v[206:207], v[158:159]
	v_mul_f64 v[158:159], v[204:205], v[158:159]
	v_fma_f64 v[214:215], v[204:205], v[156:157], -v[214:215]
	v_fmac_f64_e32 v[158:159], v[206:207], v[156:157]
	ds_read2_b64 v[204:207], v216 offset0:28 offset1:29
	s_waitcnt lgkmcnt(1)
	v_mul_f64 v[156:157], v[222:223], v[158:159]
	v_fma_f64 v[156:157], v[220:221], v[214:215], -v[156:157]
	v_mul_f64 v[220:221], v[220:221], v[158:159]
	v_fmac_f64_e32 v[220:221], v[222:223], v[214:215]
	s_waitcnt vmcnt(37)
	v_add_f64 v[152:153], v[152:153], -v[156:157]
	s_waitcnt lgkmcnt(0)
	v_mul_f64 v[156:157], v[206:207], v[158:159]
	v_add_f64 v[154:155], v[154:155], -v[220:221]
	v_fma_f64 v[156:157], v[204:205], v[214:215], -v[156:157]
	v_mul_f64 v[204:205], v[204:205], v[158:159]
	ds_read2_b64 v[220:223], v216 offset0:30 offset1:31
	v_fmac_f64_e32 v[204:205], v[206:207], v[214:215]
	s_waitcnt vmcnt(36)
	v_add_f64 v[150:151], v[150:151], -v[204:205]
	ds_read2_b64 v[204:207], v216 offset0:32 offset1:33
	v_add_f64 v[148:149], v[148:149], -v[156:157]
	s_waitcnt lgkmcnt(1)
	v_mul_f64 v[156:157], v[222:223], v[158:159]
	v_fma_f64 v[156:157], v[220:221], v[214:215], -v[156:157]
	v_mul_f64 v[220:221], v[220:221], v[158:159]
	v_fmac_f64_e32 v[220:221], v[222:223], v[214:215]
	s_waitcnt vmcnt(35)
	v_add_f64 v[144:145], v[144:145], -v[156:157]
	s_waitcnt lgkmcnt(0)
	v_mul_f64 v[156:157], v[206:207], v[158:159]
	v_add_f64 v[146:147], v[146:147], -v[220:221]
	v_fma_f64 v[156:157], v[204:205], v[214:215], -v[156:157]
	v_mul_f64 v[204:205], v[204:205], v[158:159]
	ds_read2_b64 v[220:223], v216 offset0:34 offset1:35
	v_fmac_f64_e32 v[204:205], v[206:207], v[214:215]
	s_waitcnt vmcnt(34)
	v_add_f64 v[142:143], v[142:143], -v[204:205]
	ds_read2_b64 v[204:207], v216 offset0:36 offset1:37
	v_add_f64 v[140:141], v[140:141], -v[156:157]
	;; [unrolled: 18-line block ×18, first 2 shown]
	s_waitcnt lgkmcnt(1)
	v_mul_f64 v[156:157], v[222:223], v[158:159]
	v_fma_f64 v[156:157], v[220:221], v[214:215], -v[156:157]
	s_waitcnt vmcnt(1)
	v_add_f64 v[0:1], v[0:1], -v[156:157]
	s_waitcnt lgkmcnt(0)
	v_mul_f64 v[156:157], v[206:207], v[158:159]
	v_mul_f64 v[220:221], v[220:221], v[158:159]
	v_fma_f64 v[156:157], v[204:205], v[214:215], -v[156:157]
	v_mul_f64 v[204:205], v[204:205], v[158:159]
	v_fmac_f64_e32 v[220:221], v[222:223], v[214:215]
	v_fmac_f64_e32 v[204:205], v[206:207], v[214:215]
	v_add_f64 v[2:3], v[2:3], -v[220:221]
	s_waitcnt vmcnt(0)
	v_add_f64 v[200:201], v[200:201], -v[156:157]
	v_add_f64 v[202:203], v[202:203], -v[204:205]
	v_mov_b64_e32 v[156:157], v[214:215]
.LBB100_272:
	s_or_b64 exec, exec, s[0:1]
	v_lshl_add_u32 v204, v217, 4, v216
	s_barrier
	s_waitcnt vmcnt(37)
	ds_write2_b64 v204, v[152:153], v[154:155] offset1:1
	s_waitcnt lgkmcnt(0)
	s_barrier
	ds_read2_b64 v[204:207], v216 offset0:26 offset1:27
	s_cmp_lt_i32 s20, 15
	v_mov_b32_e32 v214, 13
	s_cbranch_scc1 .LBB100_275
; %bb.273:
	v_add_u32_e32 v215, 0xe0, v216
	s_mov_b32 s16, 14
	v_mov_b32_e32 v214, 13
.LBB100_274:                            ; =>This Inner Loop Header: Depth=1
	ds_read2_b64 v[220:223], v215 offset1:1
	s_waitcnt lgkmcnt(1)
	v_xor_b32_e32 v225, 0x80000000, v205
	v_xor_b32_e32 v227, 0x80000000, v207
	v_cmp_gt_f64_e32 vcc, 0, v[206:207]
	v_cmp_gt_f64_e64 s[0:1], 0, v[204:205]
	v_mov_b32_e32 v224, v204
	v_mov_b32_e32 v226, v206
	v_cndmask_b32_e64 v225, v205, v225, s[0:1]
	v_cndmask_b32_e32 v227, v207, v227, vcc
	v_add_f64 v[224:225], v[224:225], v[226:227]
	s_waitcnt lgkmcnt(0)
	v_xor_b32_e32 v227, 0x80000000, v221
	v_xor_b32_e32 v229, 0x80000000, v223
	v_cmp_gt_f64_e32 vcc, 0, v[222:223]
	v_cmp_gt_f64_e64 s[0:1], 0, v[220:221]
	v_mov_b32_e32 v226, v220
	v_mov_b32_e32 v228, v222
	v_cndmask_b32_e64 v227, v221, v227, s[0:1]
	v_cndmask_b32_e32 v229, v223, v229, vcc
	v_add_f64 v[226:227], v[226:227], v[228:229]
	v_mov_b32_e32 v230, s16
	s_add_i32 s16, s16, 1
	v_cmp_lt_f64_e32 vcc, v[224:225], v[226:227]
	v_add_u32_e32 v215, 16, v215
	s_cmp_lg_u32 s20, s16
	v_cndmask_b32_e32 v205, v205, v221, vcc
	v_cndmask_b32_e32 v204, v204, v220, vcc
	;; [unrolled: 1-line block ×5, first 2 shown]
	s_cbranch_scc1 .LBB100_274
.LBB100_275:
	s_waitcnt lgkmcnt(0)
	v_cmp_eq_f64_e32 vcc, 0, v[204:205]
	v_cmp_eq_f64_e64 s[0:1], 0, v[206:207]
	s_and_b64 s[0:1], vcc, s[0:1]
	s_and_saveexec_b64 s[16:17], s[0:1]
	s_xor_b64 s[0:1], exec, s[16:17]
; %bb.276:
	v_cmp_ne_u32_e32 vcc, 0, v218
	s_nop 1
	v_cndmask_b32_e32 v218, 14, v218, vcc
; %bb.277:
	s_andn2_saveexec_b64 s[0:1], s[0:1]
	s_cbranch_execz .LBB100_283
; %bb.278:
	v_cmp_ngt_f64_e64 s[16:17], |v[204:205]|, |v[206:207]|
	s_and_saveexec_b64 s[18:19], s[16:17]
	s_xor_b64 s[16:17], exec, s[18:19]
	s_cbranch_execz .LBB100_280
; %bb.279:
	v_div_scale_f64 v[220:221], s[18:19], v[206:207], v[206:207], v[204:205]
	v_rcp_f64_e32 v[222:223], v[220:221]
	v_div_scale_f64 v[224:225], vcc, v[204:205], v[206:207], v[204:205]
	v_fma_f64 v[226:227], -v[220:221], v[222:223], 1.0
	v_fmac_f64_e32 v[222:223], v[222:223], v[226:227]
	v_fma_f64 v[226:227], -v[220:221], v[222:223], 1.0
	v_fmac_f64_e32 v[222:223], v[222:223], v[226:227]
	v_mul_f64 v[226:227], v[224:225], v[222:223]
	v_fma_f64 v[220:221], -v[220:221], v[226:227], v[224:225]
	v_div_fmas_f64 v[220:221], v[220:221], v[222:223], v[226:227]
	v_div_fixup_f64 v[220:221], v[220:221], v[206:207], v[204:205]
	v_fmac_f64_e32 v[206:207], v[204:205], v[220:221]
	v_div_scale_f64 v[204:205], s[18:19], v[206:207], v[206:207], 1.0
	v_rcp_f64_e32 v[222:223], v[204:205]
	s_nop 0
	v_fma_f64 v[224:225], -v[204:205], v[222:223], 1.0
	v_fmac_f64_e32 v[222:223], v[222:223], v[224:225]
	v_fma_f64 v[224:225], -v[204:205], v[222:223], 1.0
	v_fmac_f64_e32 v[222:223], v[222:223], v[224:225]
	v_div_scale_f64 v[224:225], vcc, 1.0, v[206:207], 1.0
	v_mul_f64 v[226:227], v[224:225], v[222:223]
	v_fma_f64 v[204:205], -v[204:205], v[226:227], v[224:225]
	s_nop 1
	v_div_fmas_f64 v[204:205], v[204:205], v[222:223], v[226:227]
	v_div_fixup_f64 v[206:207], v[204:205], v[206:207], 1.0
	v_mul_f64 v[204:205], v[220:221], v[206:207]
	v_xor_b32_e32 v207, 0x80000000, v207
.LBB100_280:
	s_andn2_saveexec_b64 s[16:17], s[16:17]
	s_cbranch_execz .LBB100_282
; %bb.281:
	v_div_scale_f64 v[220:221], s[18:19], v[204:205], v[204:205], v[206:207]
	v_rcp_f64_e32 v[222:223], v[220:221]
	v_div_scale_f64 v[224:225], vcc, v[206:207], v[204:205], v[206:207]
	v_fma_f64 v[226:227], -v[220:221], v[222:223], 1.0
	v_fmac_f64_e32 v[222:223], v[222:223], v[226:227]
	v_fma_f64 v[226:227], -v[220:221], v[222:223], 1.0
	v_fmac_f64_e32 v[222:223], v[222:223], v[226:227]
	v_mul_f64 v[226:227], v[224:225], v[222:223]
	v_fma_f64 v[220:221], -v[220:221], v[226:227], v[224:225]
	v_div_fmas_f64 v[220:221], v[220:221], v[222:223], v[226:227]
	v_div_fixup_f64 v[220:221], v[220:221], v[204:205], v[206:207]
	v_fmac_f64_e32 v[204:205], v[206:207], v[220:221]
	v_div_scale_f64 v[206:207], s[18:19], v[204:205], v[204:205], 1.0
	v_rcp_f64_e32 v[222:223], v[206:207]
	s_nop 0
	v_fma_f64 v[224:225], -v[206:207], v[222:223], 1.0
	v_fmac_f64_e32 v[222:223], v[222:223], v[224:225]
	v_fma_f64 v[224:225], -v[206:207], v[222:223], 1.0
	v_fmac_f64_e32 v[222:223], v[222:223], v[224:225]
	v_div_scale_f64 v[224:225], vcc, 1.0, v[204:205], 1.0
	v_mul_f64 v[226:227], v[224:225], v[222:223]
	v_fma_f64 v[206:207], -v[206:207], v[226:227], v[224:225]
	s_nop 1
	v_div_fmas_f64 v[206:207], v[206:207], v[222:223], v[226:227]
	v_div_fixup_f64 v[204:205], v[206:207], v[204:205], 1.0
	v_mul_f64 v[206:207], v[220:221], -v[204:205]
.LBB100_282:
	s_or_b64 exec, exec, s[16:17]
.LBB100_283:
	s_or_b64 exec, exec, s[0:1]
	v_cmp_ne_u32_e32 vcc, v217, v214
	s_and_saveexec_b64 s[0:1], vcc
	s_xor_b64 s[0:1], exec, s[0:1]
	s_cbranch_execz .LBB100_289
; %bb.284:
	v_cmp_eq_u32_e32 vcc, 13, v217
	s_and_saveexec_b64 s[16:17], vcc
	s_cbranch_execz .LBB100_288
; %bb.285:
	v_cmp_ne_u32_e32 vcc, 13, v214
	s_xor_b64 s[18:19], s[14:15], -1
	s_and_b64 s[22:23], s[18:19], vcc
	s_and_saveexec_b64 s[18:19], s[22:23]
	s_cbranch_execz .LBB100_287
; %bb.286:
	v_ashrrev_i32_e32 v215, 31, v214
	v_lshl_add_u64 v[220:221], v[214:215], 2, v[212:213]
	global_load_dword v215, v[220:221], off
	global_load_dword v217, v[212:213], off offset:52
	s_waitcnt vmcnt(1)
	global_store_dword v[212:213], v215, off offset:52
	s_waitcnt vmcnt(1)
	global_store_dword v[220:221], v217, off
.LBB100_287:
	s_or_b64 exec, exec, s[18:19]
	v_mov_b32_e32 v217, v214
	v_mov_b32_e32 v219, v214
.LBB100_288:
	s_or_b64 exec, exec, s[16:17]
.LBB100_289:
	s_andn2_saveexec_b64 s[0:1], s[0:1]
	s_cbranch_execz .LBB100_291
; %bb.290:
	v_mov_b32_e32 v217, 13
	s_waitcnt vmcnt(36)
	ds_write2_b64 v216, v[148:149], v[150:151] offset0:28 offset1:29
	s_waitcnt vmcnt(35)
	ds_write2_b64 v216, v[144:145], v[146:147] offset0:30 offset1:31
	s_waitcnt vmcnt(34)
	ds_write2_b64 v216, v[140:141], v[142:143] offset0:32 offset1:33
	s_waitcnt vmcnt(33)
	ds_write2_b64 v216, v[128:129], v[130:131] offset0:34 offset1:35
	s_waitcnt vmcnt(32)
	ds_write2_b64 v216, v[124:125], v[126:127] offset0:36 offset1:37
	s_waitcnt vmcnt(31)
	ds_write2_b64 v216, v[120:121], v[122:123] offset0:38 offset1:39
	s_waitcnt vmcnt(30)
	ds_write2_b64 v216, v[116:117], v[118:119] offset0:40 offset1:41
	s_waitcnt vmcnt(29)
	ds_write2_b64 v216, v[112:113], v[114:115] offset0:42 offset1:43
	s_waitcnt vmcnt(28)
	ds_write2_b64 v216, v[108:109], v[110:111] offset0:44 offset1:45
	s_waitcnt vmcnt(27)
	ds_write2_b64 v216, v[104:105], v[106:107] offset0:46 offset1:47
	s_waitcnt vmcnt(26)
	ds_write2_b64 v216, v[100:101], v[102:103] offset0:48 offset1:49
	s_waitcnt vmcnt(25)
	ds_write2_b64 v216, v[96:97], v[98:99] offset0:50 offset1:51
	s_waitcnt vmcnt(24)
	ds_write2_b64 v216, v[92:93], v[94:95] offset0:52 offset1:53
	s_waitcnt vmcnt(23)
	ds_write2_b64 v216, v[88:89], v[90:91] offset0:54 offset1:55
	s_waitcnt vmcnt(22)
	ds_write2_b64 v216, v[84:85], v[86:87] offset0:56 offset1:57
	s_waitcnt vmcnt(21)
	ds_write2_b64 v216, v[80:81], v[82:83] offset0:58 offset1:59
	s_waitcnt vmcnt(20)
	ds_write2_b64 v216, v[76:77], v[78:79] offset0:60 offset1:61
	s_waitcnt vmcnt(19)
	ds_write2_b64 v216, v[72:73], v[74:75] offset0:62 offset1:63
	s_waitcnt vmcnt(18)
	ds_write2_b64 v216, v[68:69], v[70:71] offset0:64 offset1:65
	s_waitcnt vmcnt(17)
	ds_write2_b64 v216, v[64:65], v[66:67] offset0:66 offset1:67
	s_waitcnt vmcnt(16)
	ds_write2_b64 v216, v[60:61], v[62:63] offset0:68 offset1:69
	s_waitcnt vmcnt(15)
	ds_write2_b64 v216, v[56:57], v[58:59] offset0:70 offset1:71
	s_waitcnt vmcnt(14)
	ds_write2_b64 v216, v[52:53], v[54:55] offset0:72 offset1:73
	s_waitcnt vmcnt(13)
	ds_write2_b64 v216, v[48:49], v[50:51] offset0:74 offset1:75
	s_waitcnt vmcnt(12)
	ds_write2_b64 v216, v[44:45], v[46:47] offset0:76 offset1:77
	s_waitcnt vmcnt(11)
	ds_write2_b64 v216, v[40:41], v[42:43] offset0:78 offset1:79
	s_waitcnt vmcnt(10)
	ds_write2_b64 v216, v[36:37], v[38:39] offset0:80 offset1:81
	s_waitcnt vmcnt(9)
	ds_write2_b64 v216, v[32:33], v[34:35] offset0:82 offset1:83
	s_waitcnt vmcnt(8)
	ds_write2_b64 v216, v[28:29], v[30:31] offset0:84 offset1:85
	s_waitcnt vmcnt(7)
	ds_write2_b64 v216, v[24:25], v[26:27] offset0:86 offset1:87
	s_waitcnt vmcnt(6)
	ds_write2_b64 v216, v[20:21], v[22:23] offset0:88 offset1:89
	s_waitcnt vmcnt(5)
	ds_write2_b64 v216, v[16:17], v[18:19] offset0:90 offset1:91
	s_waitcnt vmcnt(4)
	ds_write2_b64 v216, v[12:13], v[14:15] offset0:92 offset1:93
	s_waitcnt vmcnt(3)
	ds_write2_b64 v216, v[8:9], v[10:11] offset0:94 offset1:95
	s_waitcnt vmcnt(2)
	ds_write2_b64 v216, v[4:5], v[6:7] offset0:96 offset1:97
	s_waitcnt vmcnt(1)
	ds_write2_b64 v216, v[0:1], v[2:3] offset0:98 offset1:99
	s_waitcnt vmcnt(0)
	ds_write2_b64 v216, v[200:201], v[202:203] offset0:100 offset1:101
.LBB100_291:
	s_or_b64 exec, exec, s[0:1]
	v_cmp_lt_i32_e32 vcc, 13, v217
	s_waitcnt lgkmcnt(0)
	s_barrier
	s_and_saveexec_b64 s[0:1], vcc
	s_cbranch_execz .LBB100_293
; %bb.292:
	ds_read2_b64 v[220:223], v216 offset0:28 offset1:29
	v_mul_f64 v[214:215], v[206:207], v[154:155]
	v_mul_f64 v[154:155], v[204:205], v[154:155]
	v_fmac_f64_e32 v[154:155], v[206:207], v[152:153]
	v_fma_f64 v[214:215], v[204:205], v[152:153], -v[214:215]
	ds_read2_b64 v[204:207], v216 offset0:30 offset1:31
	s_waitcnt lgkmcnt(1)
	v_mul_f64 v[152:153], v[222:223], v[154:155]
	v_fma_f64 v[152:153], v[220:221], v[214:215], -v[152:153]
	v_mul_f64 v[220:221], v[220:221], v[154:155]
	v_fmac_f64_e32 v[220:221], v[222:223], v[214:215]
	s_waitcnt vmcnt(36)
	v_add_f64 v[150:151], v[150:151], -v[220:221]
	ds_read2_b64 v[220:223], v216 offset0:32 offset1:33
	v_add_f64 v[148:149], v[148:149], -v[152:153]
	s_waitcnt lgkmcnt(1)
	v_mul_f64 v[152:153], v[206:207], v[154:155]
	v_fma_f64 v[152:153], v[204:205], v[214:215], -v[152:153]
	v_mul_f64 v[204:205], v[204:205], v[154:155]
	v_fmac_f64_e32 v[204:205], v[206:207], v[214:215]
	s_waitcnt vmcnt(35)
	v_add_f64 v[144:145], v[144:145], -v[152:153]
	v_add_f64 v[146:147], v[146:147], -v[204:205]
	ds_read2_b64 v[204:207], v216 offset0:34 offset1:35
	s_waitcnt lgkmcnt(1)
	v_mul_f64 v[152:153], v[222:223], v[154:155]
	v_fma_f64 v[152:153], v[220:221], v[214:215], -v[152:153]
	v_mul_f64 v[220:221], v[220:221], v[154:155]
	v_fmac_f64_e32 v[220:221], v[222:223], v[214:215]
	s_waitcnt vmcnt(34)
	v_add_f64 v[142:143], v[142:143], -v[220:221]
	ds_read2_b64 v[220:223], v216 offset0:36 offset1:37
	v_add_f64 v[140:141], v[140:141], -v[152:153]
	s_waitcnt lgkmcnt(1)
	v_mul_f64 v[152:153], v[206:207], v[154:155]
	v_fma_f64 v[152:153], v[204:205], v[214:215], -v[152:153]
	v_mul_f64 v[204:205], v[204:205], v[154:155]
	v_fmac_f64_e32 v[204:205], v[206:207], v[214:215]
	s_waitcnt vmcnt(33)
	v_add_f64 v[128:129], v[128:129], -v[152:153]
	v_add_f64 v[130:131], v[130:131], -v[204:205]
	;; [unrolled: 18-line block ×18, first 2 shown]
	s_waitcnt lgkmcnt(0)
	v_mul_f64 v[152:153], v[222:223], v[154:155]
	v_mul_f64 v[204:205], v[220:221], v[154:155]
	v_fma_f64 v[152:153], v[220:221], v[214:215], -v[152:153]
	v_fmac_f64_e32 v[204:205], v[222:223], v[214:215]
	s_waitcnt vmcnt(0)
	v_add_f64 v[200:201], v[200:201], -v[152:153]
	v_add_f64 v[202:203], v[202:203], -v[204:205]
	v_mov_b64_e32 v[152:153], v[214:215]
.LBB100_293:
	s_or_b64 exec, exec, s[0:1]
	v_lshl_add_u32 v204, v217, 4, v216
	s_barrier
	s_waitcnt vmcnt(36)
	ds_write2_b64 v204, v[148:149], v[150:151] offset1:1
	s_waitcnt lgkmcnt(0)
	s_barrier
	ds_read2_b64 v[204:207], v216 offset0:28 offset1:29
	s_cmp_lt_i32 s20, 16
	v_mov_b32_e32 v214, 14
	s_cbranch_scc1 .LBB100_296
; %bb.294:
	v_add_u32_e32 v215, 0xf0, v216
	s_mov_b32 s16, 15
	v_mov_b32_e32 v214, 14
.LBB100_295:                            ; =>This Inner Loop Header: Depth=1
	ds_read2_b64 v[220:223], v215 offset1:1
	s_waitcnt lgkmcnt(1)
	v_xor_b32_e32 v225, 0x80000000, v205
	v_xor_b32_e32 v227, 0x80000000, v207
	v_cmp_gt_f64_e32 vcc, 0, v[206:207]
	v_cmp_gt_f64_e64 s[0:1], 0, v[204:205]
	v_mov_b32_e32 v224, v204
	v_mov_b32_e32 v226, v206
	v_cndmask_b32_e64 v225, v205, v225, s[0:1]
	v_cndmask_b32_e32 v227, v207, v227, vcc
	v_add_f64 v[224:225], v[224:225], v[226:227]
	s_waitcnt lgkmcnt(0)
	v_xor_b32_e32 v227, 0x80000000, v221
	v_xor_b32_e32 v229, 0x80000000, v223
	v_cmp_gt_f64_e32 vcc, 0, v[222:223]
	v_cmp_gt_f64_e64 s[0:1], 0, v[220:221]
	v_mov_b32_e32 v226, v220
	v_mov_b32_e32 v228, v222
	v_cndmask_b32_e64 v227, v221, v227, s[0:1]
	v_cndmask_b32_e32 v229, v223, v229, vcc
	v_add_f64 v[226:227], v[226:227], v[228:229]
	v_mov_b32_e32 v230, s16
	s_add_i32 s16, s16, 1
	v_cmp_lt_f64_e32 vcc, v[224:225], v[226:227]
	v_add_u32_e32 v215, 16, v215
	s_cmp_lg_u32 s20, s16
	v_cndmask_b32_e32 v205, v205, v221, vcc
	v_cndmask_b32_e32 v204, v204, v220, vcc
	;; [unrolled: 1-line block ×5, first 2 shown]
	s_cbranch_scc1 .LBB100_295
.LBB100_296:
	s_waitcnt lgkmcnt(0)
	v_cmp_eq_f64_e32 vcc, 0, v[204:205]
	v_cmp_eq_f64_e64 s[0:1], 0, v[206:207]
	s_and_b64 s[0:1], vcc, s[0:1]
	s_and_saveexec_b64 s[16:17], s[0:1]
	s_xor_b64 s[0:1], exec, s[16:17]
; %bb.297:
	v_cmp_ne_u32_e32 vcc, 0, v218
	s_nop 1
	v_cndmask_b32_e32 v218, 15, v218, vcc
; %bb.298:
	s_andn2_saveexec_b64 s[0:1], s[0:1]
	s_cbranch_execz .LBB100_304
; %bb.299:
	v_cmp_ngt_f64_e64 s[16:17], |v[204:205]|, |v[206:207]|
	s_and_saveexec_b64 s[18:19], s[16:17]
	s_xor_b64 s[16:17], exec, s[18:19]
	s_cbranch_execz .LBB100_301
; %bb.300:
	v_div_scale_f64 v[220:221], s[18:19], v[206:207], v[206:207], v[204:205]
	v_rcp_f64_e32 v[222:223], v[220:221]
	v_div_scale_f64 v[224:225], vcc, v[204:205], v[206:207], v[204:205]
	v_fma_f64 v[226:227], -v[220:221], v[222:223], 1.0
	v_fmac_f64_e32 v[222:223], v[222:223], v[226:227]
	v_fma_f64 v[226:227], -v[220:221], v[222:223], 1.0
	v_fmac_f64_e32 v[222:223], v[222:223], v[226:227]
	v_mul_f64 v[226:227], v[224:225], v[222:223]
	v_fma_f64 v[220:221], -v[220:221], v[226:227], v[224:225]
	v_div_fmas_f64 v[220:221], v[220:221], v[222:223], v[226:227]
	v_div_fixup_f64 v[220:221], v[220:221], v[206:207], v[204:205]
	v_fmac_f64_e32 v[206:207], v[204:205], v[220:221]
	v_div_scale_f64 v[204:205], s[18:19], v[206:207], v[206:207], 1.0
	v_rcp_f64_e32 v[222:223], v[204:205]
	s_nop 0
	v_fma_f64 v[224:225], -v[204:205], v[222:223], 1.0
	v_fmac_f64_e32 v[222:223], v[222:223], v[224:225]
	v_fma_f64 v[224:225], -v[204:205], v[222:223], 1.0
	v_fmac_f64_e32 v[222:223], v[222:223], v[224:225]
	v_div_scale_f64 v[224:225], vcc, 1.0, v[206:207], 1.0
	v_mul_f64 v[226:227], v[224:225], v[222:223]
	v_fma_f64 v[204:205], -v[204:205], v[226:227], v[224:225]
	s_nop 1
	v_div_fmas_f64 v[204:205], v[204:205], v[222:223], v[226:227]
	v_div_fixup_f64 v[206:207], v[204:205], v[206:207], 1.0
	v_mul_f64 v[204:205], v[220:221], v[206:207]
	v_xor_b32_e32 v207, 0x80000000, v207
.LBB100_301:
	s_andn2_saveexec_b64 s[16:17], s[16:17]
	s_cbranch_execz .LBB100_303
; %bb.302:
	v_div_scale_f64 v[220:221], s[18:19], v[204:205], v[204:205], v[206:207]
	v_rcp_f64_e32 v[222:223], v[220:221]
	v_div_scale_f64 v[224:225], vcc, v[206:207], v[204:205], v[206:207]
	v_fma_f64 v[226:227], -v[220:221], v[222:223], 1.0
	v_fmac_f64_e32 v[222:223], v[222:223], v[226:227]
	v_fma_f64 v[226:227], -v[220:221], v[222:223], 1.0
	v_fmac_f64_e32 v[222:223], v[222:223], v[226:227]
	v_mul_f64 v[226:227], v[224:225], v[222:223]
	v_fma_f64 v[220:221], -v[220:221], v[226:227], v[224:225]
	v_div_fmas_f64 v[220:221], v[220:221], v[222:223], v[226:227]
	v_div_fixup_f64 v[220:221], v[220:221], v[204:205], v[206:207]
	v_fmac_f64_e32 v[204:205], v[206:207], v[220:221]
	v_div_scale_f64 v[206:207], s[18:19], v[204:205], v[204:205], 1.0
	v_rcp_f64_e32 v[222:223], v[206:207]
	s_nop 0
	v_fma_f64 v[224:225], -v[206:207], v[222:223], 1.0
	v_fmac_f64_e32 v[222:223], v[222:223], v[224:225]
	v_fma_f64 v[224:225], -v[206:207], v[222:223], 1.0
	v_fmac_f64_e32 v[222:223], v[222:223], v[224:225]
	v_div_scale_f64 v[224:225], vcc, 1.0, v[204:205], 1.0
	v_mul_f64 v[226:227], v[224:225], v[222:223]
	v_fma_f64 v[206:207], -v[206:207], v[226:227], v[224:225]
	s_nop 1
	v_div_fmas_f64 v[206:207], v[206:207], v[222:223], v[226:227]
	v_div_fixup_f64 v[204:205], v[206:207], v[204:205], 1.0
	v_mul_f64 v[206:207], v[220:221], -v[204:205]
.LBB100_303:
	s_or_b64 exec, exec, s[16:17]
.LBB100_304:
	s_or_b64 exec, exec, s[0:1]
	v_cmp_ne_u32_e32 vcc, v217, v214
	s_and_saveexec_b64 s[0:1], vcc
	s_xor_b64 s[0:1], exec, s[0:1]
	s_cbranch_execz .LBB100_310
; %bb.305:
	v_cmp_eq_u32_e32 vcc, 14, v217
	s_and_saveexec_b64 s[16:17], vcc
	s_cbranch_execz .LBB100_309
; %bb.306:
	v_cmp_ne_u32_e32 vcc, 14, v214
	s_xor_b64 s[18:19], s[14:15], -1
	s_and_b64 s[22:23], s[18:19], vcc
	s_and_saveexec_b64 s[18:19], s[22:23]
	s_cbranch_execz .LBB100_308
; %bb.307:
	v_ashrrev_i32_e32 v215, 31, v214
	v_lshl_add_u64 v[220:221], v[214:215], 2, v[212:213]
	global_load_dword v215, v[220:221], off
	global_load_dword v217, v[212:213], off offset:56
	s_waitcnt vmcnt(1)
	global_store_dword v[212:213], v215, off offset:56
	s_waitcnt vmcnt(1)
	global_store_dword v[220:221], v217, off
.LBB100_308:
	s_or_b64 exec, exec, s[18:19]
	v_mov_b32_e32 v217, v214
	v_mov_b32_e32 v219, v214
.LBB100_309:
	s_or_b64 exec, exec, s[16:17]
.LBB100_310:
	s_andn2_saveexec_b64 s[0:1], s[0:1]
	s_cbranch_execz .LBB100_312
; %bb.311:
	v_mov_b32_e32 v217, 14
	s_waitcnt vmcnt(35)
	ds_write2_b64 v216, v[144:145], v[146:147] offset0:30 offset1:31
	s_waitcnt vmcnt(34)
	ds_write2_b64 v216, v[140:141], v[142:143] offset0:32 offset1:33
	;; [unrolled: 2-line block ×36, first 2 shown]
.LBB100_312:
	s_or_b64 exec, exec, s[0:1]
	v_cmp_lt_i32_e32 vcc, 14, v217
	s_waitcnt lgkmcnt(0)
	s_barrier
	s_and_saveexec_b64 s[0:1], vcc
	s_cbranch_execz .LBB100_314
; %bb.313:
	ds_read2_b64 v[220:223], v216 offset0:30 offset1:31
	v_mul_f64 v[214:215], v[206:207], v[150:151]
	v_mul_f64 v[150:151], v[204:205], v[150:151]
	v_fma_f64 v[214:215], v[204:205], v[148:149], -v[214:215]
	v_fmac_f64_e32 v[150:151], v[206:207], v[148:149]
	ds_read2_b64 v[204:207], v216 offset0:32 offset1:33
	s_waitcnt lgkmcnt(1)
	v_mul_f64 v[148:149], v[222:223], v[150:151]
	v_fma_f64 v[148:149], v[220:221], v[214:215], -v[148:149]
	v_mul_f64 v[220:221], v[220:221], v[150:151]
	v_fmac_f64_e32 v[220:221], v[222:223], v[214:215]
	s_waitcnt vmcnt(35)
	v_add_f64 v[144:145], v[144:145], -v[148:149]
	s_waitcnt lgkmcnt(0)
	v_mul_f64 v[148:149], v[206:207], v[150:151]
	v_add_f64 v[146:147], v[146:147], -v[220:221]
	v_fma_f64 v[148:149], v[204:205], v[214:215], -v[148:149]
	v_mul_f64 v[204:205], v[204:205], v[150:151]
	ds_read2_b64 v[220:223], v216 offset0:34 offset1:35
	v_fmac_f64_e32 v[204:205], v[206:207], v[214:215]
	s_waitcnt vmcnt(34)
	v_add_f64 v[142:143], v[142:143], -v[204:205]
	ds_read2_b64 v[204:207], v216 offset0:36 offset1:37
	v_add_f64 v[140:141], v[140:141], -v[148:149]
	s_waitcnt lgkmcnt(1)
	v_mul_f64 v[148:149], v[222:223], v[150:151]
	v_fma_f64 v[148:149], v[220:221], v[214:215], -v[148:149]
	v_mul_f64 v[220:221], v[220:221], v[150:151]
	v_fmac_f64_e32 v[220:221], v[222:223], v[214:215]
	s_waitcnt vmcnt(33)
	v_add_f64 v[128:129], v[128:129], -v[148:149]
	s_waitcnt lgkmcnt(0)
	v_mul_f64 v[148:149], v[206:207], v[150:151]
	v_add_f64 v[130:131], v[130:131], -v[220:221]
	v_fma_f64 v[148:149], v[204:205], v[214:215], -v[148:149]
	v_mul_f64 v[204:205], v[204:205], v[150:151]
	ds_read2_b64 v[220:223], v216 offset0:38 offset1:39
	v_fmac_f64_e32 v[204:205], v[206:207], v[214:215]
	s_waitcnt vmcnt(32)
	v_add_f64 v[126:127], v[126:127], -v[204:205]
	ds_read2_b64 v[204:207], v216 offset0:40 offset1:41
	v_add_f64 v[124:125], v[124:125], -v[148:149]
	;; [unrolled: 18-line block ×17, first 2 shown]
	s_waitcnt lgkmcnt(1)
	v_mul_f64 v[148:149], v[222:223], v[150:151]
	v_fma_f64 v[148:149], v[220:221], v[214:215], -v[148:149]
	s_waitcnt vmcnt(1)
	v_add_f64 v[0:1], v[0:1], -v[148:149]
	s_waitcnt lgkmcnt(0)
	v_mul_f64 v[148:149], v[206:207], v[150:151]
	v_mul_f64 v[220:221], v[220:221], v[150:151]
	v_fma_f64 v[148:149], v[204:205], v[214:215], -v[148:149]
	v_mul_f64 v[204:205], v[204:205], v[150:151]
	v_fmac_f64_e32 v[220:221], v[222:223], v[214:215]
	v_fmac_f64_e32 v[204:205], v[206:207], v[214:215]
	v_add_f64 v[2:3], v[2:3], -v[220:221]
	s_waitcnt vmcnt(0)
	v_add_f64 v[200:201], v[200:201], -v[148:149]
	v_add_f64 v[202:203], v[202:203], -v[204:205]
	v_mov_b64_e32 v[148:149], v[214:215]
.LBB100_314:
	s_or_b64 exec, exec, s[0:1]
	v_lshl_add_u32 v204, v217, 4, v216
	s_barrier
	s_waitcnt vmcnt(35)
	ds_write2_b64 v204, v[144:145], v[146:147] offset1:1
	s_waitcnt lgkmcnt(0)
	s_barrier
	ds_read2_b64 v[204:207], v216 offset0:30 offset1:31
	s_cmp_lt_i32 s20, 17
	v_mov_b32_e32 v214, 15
	s_cbranch_scc1 .LBB100_317
; %bb.315:
	v_add_u32_e32 v215, 0x100, v216
	s_mov_b32 s16, 16
	v_mov_b32_e32 v214, 15
.LBB100_316:                            ; =>This Inner Loop Header: Depth=1
	ds_read2_b64 v[220:223], v215 offset1:1
	s_waitcnt lgkmcnt(1)
	v_xor_b32_e32 v225, 0x80000000, v205
	v_xor_b32_e32 v227, 0x80000000, v207
	v_cmp_gt_f64_e32 vcc, 0, v[206:207]
	v_cmp_gt_f64_e64 s[0:1], 0, v[204:205]
	v_mov_b32_e32 v224, v204
	v_mov_b32_e32 v226, v206
	v_cndmask_b32_e64 v225, v205, v225, s[0:1]
	v_cndmask_b32_e32 v227, v207, v227, vcc
	v_add_f64 v[224:225], v[224:225], v[226:227]
	s_waitcnt lgkmcnt(0)
	v_xor_b32_e32 v227, 0x80000000, v221
	v_xor_b32_e32 v229, 0x80000000, v223
	v_cmp_gt_f64_e32 vcc, 0, v[222:223]
	v_cmp_gt_f64_e64 s[0:1], 0, v[220:221]
	v_mov_b32_e32 v226, v220
	v_mov_b32_e32 v228, v222
	v_cndmask_b32_e64 v227, v221, v227, s[0:1]
	v_cndmask_b32_e32 v229, v223, v229, vcc
	v_add_f64 v[226:227], v[226:227], v[228:229]
	v_mov_b32_e32 v230, s16
	s_add_i32 s16, s16, 1
	v_cmp_lt_f64_e32 vcc, v[224:225], v[226:227]
	v_add_u32_e32 v215, 16, v215
	s_cmp_lg_u32 s20, s16
	v_cndmask_b32_e32 v205, v205, v221, vcc
	v_cndmask_b32_e32 v204, v204, v220, vcc
	v_cndmask_b32_e32 v207, v207, v223, vcc
	v_cndmask_b32_e32 v206, v206, v222, vcc
	v_cndmask_b32_e32 v214, v214, v230, vcc
	s_cbranch_scc1 .LBB100_316
.LBB100_317:
	s_waitcnt lgkmcnt(0)
	v_cmp_eq_f64_e32 vcc, 0, v[204:205]
	v_cmp_eq_f64_e64 s[0:1], 0, v[206:207]
	s_and_b64 s[0:1], vcc, s[0:1]
	s_and_saveexec_b64 s[16:17], s[0:1]
	s_xor_b64 s[0:1], exec, s[16:17]
; %bb.318:
	v_cmp_ne_u32_e32 vcc, 0, v218
	s_nop 1
	v_cndmask_b32_e32 v218, 16, v218, vcc
; %bb.319:
	s_andn2_saveexec_b64 s[0:1], s[0:1]
	s_cbranch_execz .LBB100_325
; %bb.320:
	v_cmp_ngt_f64_e64 s[16:17], |v[204:205]|, |v[206:207]|
	s_and_saveexec_b64 s[18:19], s[16:17]
	s_xor_b64 s[16:17], exec, s[18:19]
	s_cbranch_execz .LBB100_322
; %bb.321:
	v_div_scale_f64 v[220:221], s[18:19], v[206:207], v[206:207], v[204:205]
	v_rcp_f64_e32 v[222:223], v[220:221]
	v_div_scale_f64 v[224:225], vcc, v[204:205], v[206:207], v[204:205]
	v_fma_f64 v[226:227], -v[220:221], v[222:223], 1.0
	v_fmac_f64_e32 v[222:223], v[222:223], v[226:227]
	v_fma_f64 v[226:227], -v[220:221], v[222:223], 1.0
	v_fmac_f64_e32 v[222:223], v[222:223], v[226:227]
	v_mul_f64 v[226:227], v[224:225], v[222:223]
	v_fma_f64 v[220:221], -v[220:221], v[226:227], v[224:225]
	v_div_fmas_f64 v[220:221], v[220:221], v[222:223], v[226:227]
	v_div_fixup_f64 v[220:221], v[220:221], v[206:207], v[204:205]
	v_fmac_f64_e32 v[206:207], v[204:205], v[220:221]
	v_div_scale_f64 v[204:205], s[18:19], v[206:207], v[206:207], 1.0
	v_rcp_f64_e32 v[222:223], v[204:205]
	s_nop 0
	v_fma_f64 v[224:225], -v[204:205], v[222:223], 1.0
	v_fmac_f64_e32 v[222:223], v[222:223], v[224:225]
	v_fma_f64 v[224:225], -v[204:205], v[222:223], 1.0
	v_fmac_f64_e32 v[222:223], v[222:223], v[224:225]
	v_div_scale_f64 v[224:225], vcc, 1.0, v[206:207], 1.0
	v_mul_f64 v[226:227], v[224:225], v[222:223]
	v_fma_f64 v[204:205], -v[204:205], v[226:227], v[224:225]
	s_nop 1
	v_div_fmas_f64 v[204:205], v[204:205], v[222:223], v[226:227]
	v_div_fixup_f64 v[206:207], v[204:205], v[206:207], 1.0
	v_mul_f64 v[204:205], v[220:221], v[206:207]
	v_xor_b32_e32 v207, 0x80000000, v207
.LBB100_322:
	s_andn2_saveexec_b64 s[16:17], s[16:17]
	s_cbranch_execz .LBB100_324
; %bb.323:
	v_div_scale_f64 v[220:221], s[18:19], v[204:205], v[204:205], v[206:207]
	v_rcp_f64_e32 v[222:223], v[220:221]
	v_div_scale_f64 v[224:225], vcc, v[206:207], v[204:205], v[206:207]
	v_fma_f64 v[226:227], -v[220:221], v[222:223], 1.0
	v_fmac_f64_e32 v[222:223], v[222:223], v[226:227]
	v_fma_f64 v[226:227], -v[220:221], v[222:223], 1.0
	v_fmac_f64_e32 v[222:223], v[222:223], v[226:227]
	v_mul_f64 v[226:227], v[224:225], v[222:223]
	v_fma_f64 v[220:221], -v[220:221], v[226:227], v[224:225]
	v_div_fmas_f64 v[220:221], v[220:221], v[222:223], v[226:227]
	v_div_fixup_f64 v[220:221], v[220:221], v[204:205], v[206:207]
	v_fmac_f64_e32 v[204:205], v[206:207], v[220:221]
	v_div_scale_f64 v[206:207], s[18:19], v[204:205], v[204:205], 1.0
	v_rcp_f64_e32 v[222:223], v[206:207]
	s_nop 0
	v_fma_f64 v[224:225], -v[206:207], v[222:223], 1.0
	v_fmac_f64_e32 v[222:223], v[222:223], v[224:225]
	v_fma_f64 v[224:225], -v[206:207], v[222:223], 1.0
	v_fmac_f64_e32 v[222:223], v[222:223], v[224:225]
	v_div_scale_f64 v[224:225], vcc, 1.0, v[204:205], 1.0
	v_mul_f64 v[226:227], v[224:225], v[222:223]
	v_fma_f64 v[206:207], -v[206:207], v[226:227], v[224:225]
	s_nop 1
	v_div_fmas_f64 v[206:207], v[206:207], v[222:223], v[226:227]
	v_div_fixup_f64 v[204:205], v[206:207], v[204:205], 1.0
	v_mul_f64 v[206:207], v[220:221], -v[204:205]
.LBB100_324:
	s_or_b64 exec, exec, s[16:17]
.LBB100_325:
	s_or_b64 exec, exec, s[0:1]
	v_cmp_ne_u32_e32 vcc, v217, v214
	s_and_saveexec_b64 s[0:1], vcc
	s_xor_b64 s[0:1], exec, s[0:1]
	s_cbranch_execz .LBB100_331
; %bb.326:
	v_cmp_eq_u32_e32 vcc, 15, v217
	s_and_saveexec_b64 s[16:17], vcc
	s_cbranch_execz .LBB100_330
; %bb.327:
	v_cmp_ne_u32_e32 vcc, 15, v214
	s_xor_b64 s[18:19], s[14:15], -1
	s_and_b64 s[22:23], s[18:19], vcc
	s_and_saveexec_b64 s[18:19], s[22:23]
	s_cbranch_execz .LBB100_329
; %bb.328:
	v_ashrrev_i32_e32 v215, 31, v214
	v_lshl_add_u64 v[220:221], v[214:215], 2, v[212:213]
	global_load_dword v215, v[220:221], off
	global_load_dword v217, v[212:213], off offset:60
	s_waitcnt vmcnt(1)
	global_store_dword v[212:213], v215, off offset:60
	s_waitcnt vmcnt(1)
	global_store_dword v[220:221], v217, off
.LBB100_329:
	s_or_b64 exec, exec, s[18:19]
	v_mov_b32_e32 v217, v214
	v_mov_b32_e32 v219, v214
.LBB100_330:
	s_or_b64 exec, exec, s[16:17]
.LBB100_331:
	s_andn2_saveexec_b64 s[0:1], s[0:1]
	s_cbranch_execz .LBB100_333
; %bb.332:
	v_mov_b32_e32 v217, 15
	s_waitcnt vmcnt(34)
	ds_write2_b64 v216, v[140:141], v[142:143] offset0:32 offset1:33
	s_waitcnt vmcnt(33)
	ds_write2_b64 v216, v[128:129], v[130:131] offset0:34 offset1:35
	;; [unrolled: 2-line block ×35, first 2 shown]
.LBB100_333:
	s_or_b64 exec, exec, s[0:1]
	v_cmp_lt_i32_e32 vcc, 15, v217
	s_waitcnt lgkmcnt(0)
	s_barrier
	s_and_saveexec_b64 s[0:1], vcc
	s_cbranch_execz .LBB100_335
; %bb.334:
	ds_read2_b64 v[220:223], v216 offset0:32 offset1:33
	v_mul_f64 v[214:215], v[206:207], v[146:147]
	v_mul_f64 v[146:147], v[204:205], v[146:147]
	v_fmac_f64_e32 v[146:147], v[206:207], v[144:145]
	v_fma_f64 v[214:215], v[204:205], v[144:145], -v[214:215]
	ds_read2_b64 v[204:207], v216 offset0:34 offset1:35
	s_waitcnt lgkmcnt(1)
	v_mul_f64 v[144:145], v[222:223], v[146:147]
	v_fma_f64 v[144:145], v[220:221], v[214:215], -v[144:145]
	v_mul_f64 v[220:221], v[220:221], v[146:147]
	v_fmac_f64_e32 v[220:221], v[222:223], v[214:215]
	s_waitcnt vmcnt(34)
	v_add_f64 v[142:143], v[142:143], -v[220:221]
	ds_read2_b64 v[220:223], v216 offset0:36 offset1:37
	v_add_f64 v[140:141], v[140:141], -v[144:145]
	s_waitcnt lgkmcnt(1)
	v_mul_f64 v[144:145], v[206:207], v[146:147]
	v_fma_f64 v[144:145], v[204:205], v[214:215], -v[144:145]
	v_mul_f64 v[204:205], v[204:205], v[146:147]
	v_fmac_f64_e32 v[204:205], v[206:207], v[214:215]
	s_waitcnt vmcnt(33)
	v_add_f64 v[128:129], v[128:129], -v[144:145]
	v_add_f64 v[130:131], v[130:131], -v[204:205]
	ds_read2_b64 v[204:207], v216 offset0:38 offset1:39
	s_waitcnt lgkmcnt(1)
	v_mul_f64 v[144:145], v[222:223], v[146:147]
	v_fma_f64 v[144:145], v[220:221], v[214:215], -v[144:145]
	v_mul_f64 v[220:221], v[220:221], v[146:147]
	v_fmac_f64_e32 v[220:221], v[222:223], v[214:215]
	s_waitcnt vmcnt(32)
	v_add_f64 v[126:127], v[126:127], -v[220:221]
	ds_read2_b64 v[220:223], v216 offset0:40 offset1:41
	v_add_f64 v[124:125], v[124:125], -v[144:145]
	s_waitcnt lgkmcnt(1)
	v_mul_f64 v[144:145], v[206:207], v[146:147]
	v_fma_f64 v[144:145], v[204:205], v[214:215], -v[144:145]
	v_mul_f64 v[204:205], v[204:205], v[146:147]
	v_fmac_f64_e32 v[204:205], v[206:207], v[214:215]
	s_waitcnt vmcnt(31)
	v_add_f64 v[120:121], v[120:121], -v[144:145]
	v_add_f64 v[122:123], v[122:123], -v[204:205]
	;; [unrolled: 18-line block ×17, first 2 shown]
	s_waitcnt lgkmcnt(0)
	v_mul_f64 v[144:145], v[222:223], v[146:147]
	v_mul_f64 v[204:205], v[220:221], v[146:147]
	v_fma_f64 v[144:145], v[220:221], v[214:215], -v[144:145]
	v_fmac_f64_e32 v[204:205], v[222:223], v[214:215]
	s_waitcnt vmcnt(0)
	v_add_f64 v[200:201], v[200:201], -v[144:145]
	v_add_f64 v[202:203], v[202:203], -v[204:205]
	v_mov_b64_e32 v[144:145], v[214:215]
.LBB100_335:
	s_or_b64 exec, exec, s[0:1]
	v_lshl_add_u32 v204, v217, 4, v216
	s_barrier
	s_waitcnt vmcnt(34)
	ds_write2_b64 v204, v[140:141], v[142:143] offset1:1
	s_waitcnt lgkmcnt(0)
	s_barrier
	ds_read2_b64 v[204:207], v216 offset0:32 offset1:33
	s_cmp_lt_i32 s20, 18
	v_mov_b32_e32 v214, 16
	s_cbranch_scc1 .LBB100_338
; %bb.336:
	v_add_u32_e32 v215, 0x110, v216
	s_mov_b32 s16, 17
	v_mov_b32_e32 v214, 16
.LBB100_337:                            ; =>This Inner Loop Header: Depth=1
	ds_read2_b64 v[220:223], v215 offset1:1
	s_waitcnt lgkmcnt(1)
	v_xor_b32_e32 v225, 0x80000000, v205
	v_xor_b32_e32 v227, 0x80000000, v207
	v_cmp_gt_f64_e32 vcc, 0, v[206:207]
	v_cmp_gt_f64_e64 s[0:1], 0, v[204:205]
	v_mov_b32_e32 v224, v204
	v_mov_b32_e32 v226, v206
	v_cndmask_b32_e64 v225, v205, v225, s[0:1]
	v_cndmask_b32_e32 v227, v207, v227, vcc
	v_add_f64 v[224:225], v[224:225], v[226:227]
	s_waitcnt lgkmcnt(0)
	v_xor_b32_e32 v227, 0x80000000, v221
	v_xor_b32_e32 v229, 0x80000000, v223
	v_cmp_gt_f64_e32 vcc, 0, v[222:223]
	v_cmp_gt_f64_e64 s[0:1], 0, v[220:221]
	v_mov_b32_e32 v226, v220
	v_mov_b32_e32 v228, v222
	v_cndmask_b32_e64 v227, v221, v227, s[0:1]
	v_cndmask_b32_e32 v229, v223, v229, vcc
	v_add_f64 v[226:227], v[226:227], v[228:229]
	v_mov_b32_e32 v230, s16
	s_add_i32 s16, s16, 1
	v_cmp_lt_f64_e32 vcc, v[224:225], v[226:227]
	v_add_u32_e32 v215, 16, v215
	s_cmp_lg_u32 s20, s16
	v_cndmask_b32_e32 v205, v205, v221, vcc
	v_cndmask_b32_e32 v204, v204, v220, vcc
	;; [unrolled: 1-line block ×5, first 2 shown]
	s_cbranch_scc1 .LBB100_337
.LBB100_338:
	s_waitcnt lgkmcnt(0)
	v_cmp_eq_f64_e32 vcc, 0, v[204:205]
	v_cmp_eq_f64_e64 s[0:1], 0, v[206:207]
	s_and_b64 s[0:1], vcc, s[0:1]
	s_and_saveexec_b64 s[16:17], s[0:1]
	s_xor_b64 s[0:1], exec, s[16:17]
; %bb.339:
	v_cmp_ne_u32_e32 vcc, 0, v218
	s_nop 1
	v_cndmask_b32_e32 v218, 17, v218, vcc
; %bb.340:
	s_andn2_saveexec_b64 s[0:1], s[0:1]
	s_cbranch_execz .LBB100_346
; %bb.341:
	v_cmp_ngt_f64_e64 s[16:17], |v[204:205]|, |v[206:207]|
	s_and_saveexec_b64 s[18:19], s[16:17]
	s_xor_b64 s[16:17], exec, s[18:19]
	s_cbranch_execz .LBB100_343
; %bb.342:
	v_div_scale_f64 v[220:221], s[18:19], v[206:207], v[206:207], v[204:205]
	v_rcp_f64_e32 v[222:223], v[220:221]
	v_div_scale_f64 v[224:225], vcc, v[204:205], v[206:207], v[204:205]
	v_fma_f64 v[226:227], -v[220:221], v[222:223], 1.0
	v_fmac_f64_e32 v[222:223], v[222:223], v[226:227]
	v_fma_f64 v[226:227], -v[220:221], v[222:223], 1.0
	v_fmac_f64_e32 v[222:223], v[222:223], v[226:227]
	v_mul_f64 v[226:227], v[224:225], v[222:223]
	v_fma_f64 v[220:221], -v[220:221], v[226:227], v[224:225]
	v_div_fmas_f64 v[220:221], v[220:221], v[222:223], v[226:227]
	v_div_fixup_f64 v[220:221], v[220:221], v[206:207], v[204:205]
	v_fmac_f64_e32 v[206:207], v[204:205], v[220:221]
	v_div_scale_f64 v[204:205], s[18:19], v[206:207], v[206:207], 1.0
	v_rcp_f64_e32 v[222:223], v[204:205]
	s_nop 0
	v_fma_f64 v[224:225], -v[204:205], v[222:223], 1.0
	v_fmac_f64_e32 v[222:223], v[222:223], v[224:225]
	v_fma_f64 v[224:225], -v[204:205], v[222:223], 1.0
	v_fmac_f64_e32 v[222:223], v[222:223], v[224:225]
	v_div_scale_f64 v[224:225], vcc, 1.0, v[206:207], 1.0
	v_mul_f64 v[226:227], v[224:225], v[222:223]
	v_fma_f64 v[204:205], -v[204:205], v[226:227], v[224:225]
	s_nop 1
	v_div_fmas_f64 v[204:205], v[204:205], v[222:223], v[226:227]
	v_div_fixup_f64 v[206:207], v[204:205], v[206:207], 1.0
	v_mul_f64 v[204:205], v[220:221], v[206:207]
	v_xor_b32_e32 v207, 0x80000000, v207
.LBB100_343:
	s_andn2_saveexec_b64 s[16:17], s[16:17]
	s_cbranch_execz .LBB100_345
; %bb.344:
	v_div_scale_f64 v[220:221], s[18:19], v[204:205], v[204:205], v[206:207]
	v_rcp_f64_e32 v[222:223], v[220:221]
	v_div_scale_f64 v[224:225], vcc, v[206:207], v[204:205], v[206:207]
	v_fma_f64 v[226:227], -v[220:221], v[222:223], 1.0
	v_fmac_f64_e32 v[222:223], v[222:223], v[226:227]
	v_fma_f64 v[226:227], -v[220:221], v[222:223], 1.0
	v_fmac_f64_e32 v[222:223], v[222:223], v[226:227]
	v_mul_f64 v[226:227], v[224:225], v[222:223]
	v_fma_f64 v[220:221], -v[220:221], v[226:227], v[224:225]
	v_div_fmas_f64 v[220:221], v[220:221], v[222:223], v[226:227]
	v_div_fixup_f64 v[220:221], v[220:221], v[204:205], v[206:207]
	v_fmac_f64_e32 v[204:205], v[206:207], v[220:221]
	v_div_scale_f64 v[206:207], s[18:19], v[204:205], v[204:205], 1.0
	v_rcp_f64_e32 v[222:223], v[206:207]
	s_nop 0
	v_fma_f64 v[224:225], -v[206:207], v[222:223], 1.0
	v_fmac_f64_e32 v[222:223], v[222:223], v[224:225]
	v_fma_f64 v[224:225], -v[206:207], v[222:223], 1.0
	v_fmac_f64_e32 v[222:223], v[222:223], v[224:225]
	v_div_scale_f64 v[224:225], vcc, 1.0, v[204:205], 1.0
	v_mul_f64 v[226:227], v[224:225], v[222:223]
	v_fma_f64 v[206:207], -v[206:207], v[226:227], v[224:225]
	s_nop 1
	v_div_fmas_f64 v[206:207], v[206:207], v[222:223], v[226:227]
	v_div_fixup_f64 v[204:205], v[206:207], v[204:205], 1.0
	v_mul_f64 v[206:207], v[220:221], -v[204:205]
.LBB100_345:
	s_or_b64 exec, exec, s[16:17]
.LBB100_346:
	s_or_b64 exec, exec, s[0:1]
	v_cmp_ne_u32_e32 vcc, v217, v214
	s_and_saveexec_b64 s[0:1], vcc
	s_xor_b64 s[0:1], exec, s[0:1]
	s_cbranch_execz .LBB100_352
; %bb.347:
	v_cmp_eq_u32_e32 vcc, 16, v217
	s_and_saveexec_b64 s[16:17], vcc
	s_cbranch_execz .LBB100_351
; %bb.348:
	v_cmp_ne_u32_e32 vcc, 16, v214
	s_xor_b64 s[18:19], s[14:15], -1
	s_and_b64 s[22:23], s[18:19], vcc
	s_and_saveexec_b64 s[18:19], s[22:23]
	s_cbranch_execz .LBB100_350
; %bb.349:
	v_ashrrev_i32_e32 v215, 31, v214
	v_lshl_add_u64 v[220:221], v[214:215], 2, v[212:213]
	global_load_dword v215, v[220:221], off
	global_load_dword v217, v[212:213], off offset:64
	s_waitcnt vmcnt(1)
	global_store_dword v[212:213], v215, off offset:64
	s_waitcnt vmcnt(1)
	global_store_dword v[220:221], v217, off
.LBB100_350:
	s_or_b64 exec, exec, s[18:19]
	v_mov_b32_e32 v217, v214
	v_mov_b32_e32 v219, v214
.LBB100_351:
	s_or_b64 exec, exec, s[16:17]
.LBB100_352:
	s_andn2_saveexec_b64 s[0:1], s[0:1]
	s_cbranch_execz .LBB100_354
; %bb.353:
	v_mov_b32_e32 v217, 16
	s_waitcnt vmcnt(33)
	ds_write2_b64 v216, v[128:129], v[130:131] offset0:34 offset1:35
	s_waitcnt vmcnt(32)
	ds_write2_b64 v216, v[124:125], v[126:127] offset0:36 offset1:37
	;; [unrolled: 2-line block ×34, first 2 shown]
.LBB100_354:
	s_or_b64 exec, exec, s[0:1]
	v_cmp_lt_i32_e32 vcc, 16, v217
	s_waitcnt lgkmcnt(0)
	s_barrier
	s_and_saveexec_b64 s[0:1], vcc
	s_cbranch_execz .LBB100_356
; %bb.355:
	ds_read2_b64 v[220:223], v216 offset0:34 offset1:35
	v_mul_f64 v[214:215], v[206:207], v[142:143]
	v_mul_f64 v[142:143], v[204:205], v[142:143]
	v_fma_f64 v[214:215], v[204:205], v[140:141], -v[214:215]
	v_fmac_f64_e32 v[142:143], v[206:207], v[140:141]
	ds_read2_b64 v[204:207], v216 offset0:36 offset1:37
	s_waitcnt lgkmcnt(1)
	v_mul_f64 v[140:141], v[222:223], v[142:143]
	v_fma_f64 v[140:141], v[220:221], v[214:215], -v[140:141]
	v_mul_f64 v[220:221], v[220:221], v[142:143]
	v_fmac_f64_e32 v[220:221], v[222:223], v[214:215]
	s_waitcnt vmcnt(33)
	v_add_f64 v[128:129], v[128:129], -v[140:141]
	s_waitcnt lgkmcnt(0)
	v_mul_f64 v[140:141], v[206:207], v[142:143]
	v_add_f64 v[130:131], v[130:131], -v[220:221]
	v_fma_f64 v[140:141], v[204:205], v[214:215], -v[140:141]
	v_mul_f64 v[204:205], v[204:205], v[142:143]
	ds_read2_b64 v[220:223], v216 offset0:38 offset1:39
	v_fmac_f64_e32 v[204:205], v[206:207], v[214:215]
	s_waitcnt vmcnt(32)
	v_add_f64 v[126:127], v[126:127], -v[204:205]
	ds_read2_b64 v[204:207], v216 offset0:40 offset1:41
	v_add_f64 v[124:125], v[124:125], -v[140:141]
	s_waitcnt lgkmcnt(1)
	v_mul_f64 v[140:141], v[222:223], v[142:143]
	v_fma_f64 v[140:141], v[220:221], v[214:215], -v[140:141]
	v_mul_f64 v[220:221], v[220:221], v[142:143]
	v_fmac_f64_e32 v[220:221], v[222:223], v[214:215]
	s_waitcnt vmcnt(31)
	v_add_f64 v[120:121], v[120:121], -v[140:141]
	s_waitcnt lgkmcnt(0)
	v_mul_f64 v[140:141], v[206:207], v[142:143]
	v_add_f64 v[122:123], v[122:123], -v[220:221]
	v_fma_f64 v[140:141], v[204:205], v[214:215], -v[140:141]
	v_mul_f64 v[204:205], v[204:205], v[142:143]
	ds_read2_b64 v[220:223], v216 offset0:42 offset1:43
	v_fmac_f64_e32 v[204:205], v[206:207], v[214:215]
	s_waitcnt vmcnt(30)
	v_add_f64 v[118:119], v[118:119], -v[204:205]
	ds_read2_b64 v[204:207], v216 offset0:44 offset1:45
	v_add_f64 v[116:117], v[116:117], -v[140:141]
	;; [unrolled: 18-line block ×16, first 2 shown]
	s_waitcnt lgkmcnt(1)
	v_mul_f64 v[140:141], v[222:223], v[142:143]
	v_fma_f64 v[140:141], v[220:221], v[214:215], -v[140:141]
	s_waitcnt vmcnt(1)
	v_add_f64 v[0:1], v[0:1], -v[140:141]
	s_waitcnt lgkmcnt(0)
	v_mul_f64 v[140:141], v[206:207], v[142:143]
	v_mul_f64 v[220:221], v[220:221], v[142:143]
	v_fma_f64 v[140:141], v[204:205], v[214:215], -v[140:141]
	v_mul_f64 v[204:205], v[204:205], v[142:143]
	v_fmac_f64_e32 v[220:221], v[222:223], v[214:215]
	v_fmac_f64_e32 v[204:205], v[206:207], v[214:215]
	v_add_f64 v[2:3], v[2:3], -v[220:221]
	s_waitcnt vmcnt(0)
	v_add_f64 v[200:201], v[200:201], -v[140:141]
	v_add_f64 v[202:203], v[202:203], -v[204:205]
	v_mov_b64_e32 v[140:141], v[214:215]
.LBB100_356:
	s_or_b64 exec, exec, s[0:1]
	v_lshl_add_u32 v204, v217, 4, v216
	s_barrier
	s_waitcnt vmcnt(33)
	ds_write2_b64 v204, v[128:129], v[130:131] offset1:1
	s_waitcnt lgkmcnt(0)
	s_barrier
	ds_read2_b64 v[204:207], v216 offset0:34 offset1:35
	s_cmp_lt_i32 s20, 19
	v_mov_b32_e32 v214, 17
	s_cbranch_scc1 .LBB100_359
; %bb.357:
	v_add_u32_e32 v215, 0x120, v216
	s_mov_b32 s16, 18
	v_mov_b32_e32 v214, 17
.LBB100_358:                            ; =>This Inner Loop Header: Depth=1
	ds_read2_b64 v[220:223], v215 offset1:1
	s_waitcnt lgkmcnt(1)
	v_xor_b32_e32 v225, 0x80000000, v205
	v_xor_b32_e32 v227, 0x80000000, v207
	v_cmp_gt_f64_e32 vcc, 0, v[206:207]
	v_cmp_gt_f64_e64 s[0:1], 0, v[204:205]
	v_mov_b32_e32 v224, v204
	v_mov_b32_e32 v226, v206
	v_cndmask_b32_e64 v225, v205, v225, s[0:1]
	v_cndmask_b32_e32 v227, v207, v227, vcc
	v_add_f64 v[224:225], v[224:225], v[226:227]
	s_waitcnt lgkmcnt(0)
	v_xor_b32_e32 v227, 0x80000000, v221
	v_xor_b32_e32 v229, 0x80000000, v223
	v_cmp_gt_f64_e32 vcc, 0, v[222:223]
	v_cmp_gt_f64_e64 s[0:1], 0, v[220:221]
	v_mov_b32_e32 v226, v220
	v_mov_b32_e32 v228, v222
	v_cndmask_b32_e64 v227, v221, v227, s[0:1]
	v_cndmask_b32_e32 v229, v223, v229, vcc
	v_add_f64 v[226:227], v[226:227], v[228:229]
	v_mov_b32_e32 v230, s16
	s_add_i32 s16, s16, 1
	v_cmp_lt_f64_e32 vcc, v[224:225], v[226:227]
	v_add_u32_e32 v215, 16, v215
	s_cmp_lg_u32 s20, s16
	v_cndmask_b32_e32 v205, v205, v221, vcc
	v_cndmask_b32_e32 v204, v204, v220, vcc
	v_cndmask_b32_e32 v207, v207, v223, vcc
	v_cndmask_b32_e32 v206, v206, v222, vcc
	v_cndmask_b32_e32 v214, v214, v230, vcc
	s_cbranch_scc1 .LBB100_358
.LBB100_359:
	s_waitcnt lgkmcnt(0)
	v_cmp_eq_f64_e32 vcc, 0, v[204:205]
	v_cmp_eq_f64_e64 s[0:1], 0, v[206:207]
	s_and_b64 s[0:1], vcc, s[0:1]
	s_and_saveexec_b64 s[16:17], s[0:1]
	s_xor_b64 s[0:1], exec, s[16:17]
; %bb.360:
	v_cmp_ne_u32_e32 vcc, 0, v218
	s_nop 1
	v_cndmask_b32_e32 v218, 18, v218, vcc
; %bb.361:
	s_andn2_saveexec_b64 s[0:1], s[0:1]
	s_cbranch_execz .LBB100_367
; %bb.362:
	v_cmp_ngt_f64_e64 s[16:17], |v[204:205]|, |v[206:207]|
	s_and_saveexec_b64 s[18:19], s[16:17]
	s_xor_b64 s[16:17], exec, s[18:19]
	s_cbranch_execz .LBB100_364
; %bb.363:
	v_div_scale_f64 v[220:221], s[18:19], v[206:207], v[206:207], v[204:205]
	v_rcp_f64_e32 v[222:223], v[220:221]
	v_div_scale_f64 v[224:225], vcc, v[204:205], v[206:207], v[204:205]
	v_fma_f64 v[226:227], -v[220:221], v[222:223], 1.0
	v_fmac_f64_e32 v[222:223], v[222:223], v[226:227]
	v_fma_f64 v[226:227], -v[220:221], v[222:223], 1.0
	v_fmac_f64_e32 v[222:223], v[222:223], v[226:227]
	v_mul_f64 v[226:227], v[224:225], v[222:223]
	v_fma_f64 v[220:221], -v[220:221], v[226:227], v[224:225]
	v_div_fmas_f64 v[220:221], v[220:221], v[222:223], v[226:227]
	v_div_fixup_f64 v[220:221], v[220:221], v[206:207], v[204:205]
	v_fmac_f64_e32 v[206:207], v[204:205], v[220:221]
	v_div_scale_f64 v[204:205], s[18:19], v[206:207], v[206:207], 1.0
	v_rcp_f64_e32 v[222:223], v[204:205]
	s_nop 0
	v_fma_f64 v[224:225], -v[204:205], v[222:223], 1.0
	v_fmac_f64_e32 v[222:223], v[222:223], v[224:225]
	v_fma_f64 v[224:225], -v[204:205], v[222:223], 1.0
	v_fmac_f64_e32 v[222:223], v[222:223], v[224:225]
	v_div_scale_f64 v[224:225], vcc, 1.0, v[206:207], 1.0
	v_mul_f64 v[226:227], v[224:225], v[222:223]
	v_fma_f64 v[204:205], -v[204:205], v[226:227], v[224:225]
	s_nop 1
	v_div_fmas_f64 v[204:205], v[204:205], v[222:223], v[226:227]
	v_div_fixup_f64 v[206:207], v[204:205], v[206:207], 1.0
	v_mul_f64 v[204:205], v[220:221], v[206:207]
	v_xor_b32_e32 v207, 0x80000000, v207
.LBB100_364:
	s_andn2_saveexec_b64 s[16:17], s[16:17]
	s_cbranch_execz .LBB100_366
; %bb.365:
	v_div_scale_f64 v[220:221], s[18:19], v[204:205], v[204:205], v[206:207]
	v_rcp_f64_e32 v[222:223], v[220:221]
	v_div_scale_f64 v[224:225], vcc, v[206:207], v[204:205], v[206:207]
	v_fma_f64 v[226:227], -v[220:221], v[222:223], 1.0
	v_fmac_f64_e32 v[222:223], v[222:223], v[226:227]
	v_fma_f64 v[226:227], -v[220:221], v[222:223], 1.0
	v_fmac_f64_e32 v[222:223], v[222:223], v[226:227]
	v_mul_f64 v[226:227], v[224:225], v[222:223]
	v_fma_f64 v[220:221], -v[220:221], v[226:227], v[224:225]
	v_div_fmas_f64 v[220:221], v[220:221], v[222:223], v[226:227]
	v_div_fixup_f64 v[220:221], v[220:221], v[204:205], v[206:207]
	v_fmac_f64_e32 v[204:205], v[206:207], v[220:221]
	v_div_scale_f64 v[206:207], s[18:19], v[204:205], v[204:205], 1.0
	v_rcp_f64_e32 v[222:223], v[206:207]
	s_nop 0
	v_fma_f64 v[224:225], -v[206:207], v[222:223], 1.0
	v_fmac_f64_e32 v[222:223], v[222:223], v[224:225]
	v_fma_f64 v[224:225], -v[206:207], v[222:223], 1.0
	v_fmac_f64_e32 v[222:223], v[222:223], v[224:225]
	v_div_scale_f64 v[224:225], vcc, 1.0, v[204:205], 1.0
	v_mul_f64 v[226:227], v[224:225], v[222:223]
	v_fma_f64 v[206:207], -v[206:207], v[226:227], v[224:225]
	s_nop 1
	v_div_fmas_f64 v[206:207], v[206:207], v[222:223], v[226:227]
	v_div_fixup_f64 v[204:205], v[206:207], v[204:205], 1.0
	v_mul_f64 v[206:207], v[220:221], -v[204:205]
.LBB100_366:
	s_or_b64 exec, exec, s[16:17]
.LBB100_367:
	s_or_b64 exec, exec, s[0:1]
	v_cmp_ne_u32_e32 vcc, v217, v214
	s_and_saveexec_b64 s[0:1], vcc
	s_xor_b64 s[0:1], exec, s[0:1]
	s_cbranch_execz .LBB100_373
; %bb.368:
	v_cmp_eq_u32_e32 vcc, 17, v217
	s_and_saveexec_b64 s[16:17], vcc
	s_cbranch_execz .LBB100_372
; %bb.369:
	v_cmp_ne_u32_e32 vcc, 17, v214
	s_xor_b64 s[18:19], s[14:15], -1
	s_and_b64 s[22:23], s[18:19], vcc
	s_and_saveexec_b64 s[18:19], s[22:23]
	s_cbranch_execz .LBB100_371
; %bb.370:
	v_ashrrev_i32_e32 v215, 31, v214
	v_lshl_add_u64 v[220:221], v[214:215], 2, v[212:213]
	global_load_dword v215, v[220:221], off
	global_load_dword v217, v[212:213], off offset:68
	s_waitcnt vmcnt(1)
	global_store_dword v[212:213], v215, off offset:68
	s_waitcnt vmcnt(1)
	global_store_dword v[220:221], v217, off
.LBB100_371:
	s_or_b64 exec, exec, s[18:19]
	v_mov_b32_e32 v217, v214
	v_mov_b32_e32 v219, v214
.LBB100_372:
	s_or_b64 exec, exec, s[16:17]
.LBB100_373:
	s_andn2_saveexec_b64 s[0:1], s[0:1]
	s_cbranch_execz .LBB100_375
; %bb.374:
	v_mov_b32_e32 v217, 17
	s_waitcnt vmcnt(32)
	ds_write2_b64 v216, v[124:125], v[126:127] offset0:36 offset1:37
	s_waitcnt vmcnt(31)
	ds_write2_b64 v216, v[120:121], v[122:123] offset0:38 offset1:39
	s_waitcnt vmcnt(30)
	ds_write2_b64 v216, v[116:117], v[118:119] offset0:40 offset1:41
	s_waitcnt vmcnt(29)
	ds_write2_b64 v216, v[112:113], v[114:115] offset0:42 offset1:43
	s_waitcnt vmcnt(28)
	ds_write2_b64 v216, v[108:109], v[110:111] offset0:44 offset1:45
	s_waitcnt vmcnt(27)
	ds_write2_b64 v216, v[104:105], v[106:107] offset0:46 offset1:47
	s_waitcnt vmcnt(26)
	ds_write2_b64 v216, v[100:101], v[102:103] offset0:48 offset1:49
	s_waitcnt vmcnt(25)
	ds_write2_b64 v216, v[96:97], v[98:99] offset0:50 offset1:51
	s_waitcnt vmcnt(24)
	ds_write2_b64 v216, v[92:93], v[94:95] offset0:52 offset1:53
	s_waitcnt vmcnt(23)
	ds_write2_b64 v216, v[88:89], v[90:91] offset0:54 offset1:55
	s_waitcnt vmcnt(22)
	ds_write2_b64 v216, v[84:85], v[86:87] offset0:56 offset1:57
	s_waitcnt vmcnt(21)
	ds_write2_b64 v216, v[80:81], v[82:83] offset0:58 offset1:59
	s_waitcnt vmcnt(20)
	ds_write2_b64 v216, v[76:77], v[78:79] offset0:60 offset1:61
	s_waitcnt vmcnt(19)
	ds_write2_b64 v216, v[72:73], v[74:75] offset0:62 offset1:63
	s_waitcnt vmcnt(18)
	ds_write2_b64 v216, v[68:69], v[70:71] offset0:64 offset1:65
	s_waitcnt vmcnt(17)
	ds_write2_b64 v216, v[64:65], v[66:67] offset0:66 offset1:67
	s_waitcnt vmcnt(16)
	ds_write2_b64 v216, v[60:61], v[62:63] offset0:68 offset1:69
	s_waitcnt vmcnt(15)
	ds_write2_b64 v216, v[56:57], v[58:59] offset0:70 offset1:71
	s_waitcnt vmcnt(14)
	ds_write2_b64 v216, v[52:53], v[54:55] offset0:72 offset1:73
	s_waitcnt vmcnt(13)
	ds_write2_b64 v216, v[48:49], v[50:51] offset0:74 offset1:75
	s_waitcnt vmcnt(12)
	ds_write2_b64 v216, v[44:45], v[46:47] offset0:76 offset1:77
	s_waitcnt vmcnt(11)
	ds_write2_b64 v216, v[40:41], v[42:43] offset0:78 offset1:79
	s_waitcnt vmcnt(10)
	ds_write2_b64 v216, v[36:37], v[38:39] offset0:80 offset1:81
	s_waitcnt vmcnt(9)
	ds_write2_b64 v216, v[32:33], v[34:35] offset0:82 offset1:83
	s_waitcnt vmcnt(8)
	ds_write2_b64 v216, v[28:29], v[30:31] offset0:84 offset1:85
	s_waitcnt vmcnt(7)
	ds_write2_b64 v216, v[24:25], v[26:27] offset0:86 offset1:87
	s_waitcnt vmcnt(6)
	ds_write2_b64 v216, v[20:21], v[22:23] offset0:88 offset1:89
	s_waitcnt vmcnt(5)
	ds_write2_b64 v216, v[16:17], v[18:19] offset0:90 offset1:91
	s_waitcnt vmcnt(4)
	ds_write2_b64 v216, v[12:13], v[14:15] offset0:92 offset1:93
	s_waitcnt vmcnt(3)
	ds_write2_b64 v216, v[8:9], v[10:11] offset0:94 offset1:95
	s_waitcnt vmcnt(2)
	ds_write2_b64 v216, v[4:5], v[6:7] offset0:96 offset1:97
	s_waitcnt vmcnt(1)
	ds_write2_b64 v216, v[0:1], v[2:3] offset0:98 offset1:99
	s_waitcnt vmcnt(0)
	ds_write2_b64 v216, v[200:201], v[202:203] offset0:100 offset1:101
.LBB100_375:
	s_or_b64 exec, exec, s[0:1]
	v_cmp_lt_i32_e32 vcc, 17, v217
	s_waitcnt lgkmcnt(0)
	s_barrier
	s_and_saveexec_b64 s[0:1], vcc
	s_cbranch_execz .LBB100_377
; %bb.376:
	ds_read2_b64 v[220:223], v216 offset0:36 offset1:37
	v_mul_f64 v[214:215], v[206:207], v[130:131]
	v_mul_f64 v[130:131], v[204:205], v[130:131]
	v_fmac_f64_e32 v[130:131], v[206:207], v[128:129]
	v_fma_f64 v[214:215], v[204:205], v[128:129], -v[214:215]
	ds_read2_b64 v[204:207], v216 offset0:38 offset1:39
	s_waitcnt lgkmcnt(1)
	v_mul_f64 v[128:129], v[222:223], v[130:131]
	v_fma_f64 v[128:129], v[220:221], v[214:215], -v[128:129]
	v_mul_f64 v[220:221], v[220:221], v[130:131]
	v_fmac_f64_e32 v[220:221], v[222:223], v[214:215]
	s_waitcnt vmcnt(32)
	v_add_f64 v[126:127], v[126:127], -v[220:221]
	ds_read2_b64 v[220:223], v216 offset0:40 offset1:41
	v_add_f64 v[124:125], v[124:125], -v[128:129]
	s_waitcnt lgkmcnt(1)
	v_mul_f64 v[128:129], v[206:207], v[130:131]
	v_fma_f64 v[128:129], v[204:205], v[214:215], -v[128:129]
	v_mul_f64 v[204:205], v[204:205], v[130:131]
	v_fmac_f64_e32 v[204:205], v[206:207], v[214:215]
	s_waitcnt vmcnt(31)
	v_add_f64 v[120:121], v[120:121], -v[128:129]
	v_add_f64 v[122:123], v[122:123], -v[204:205]
	ds_read2_b64 v[204:207], v216 offset0:42 offset1:43
	s_waitcnt lgkmcnt(1)
	v_mul_f64 v[128:129], v[222:223], v[130:131]
	v_fma_f64 v[128:129], v[220:221], v[214:215], -v[128:129]
	v_mul_f64 v[220:221], v[220:221], v[130:131]
	v_fmac_f64_e32 v[220:221], v[222:223], v[214:215]
	s_waitcnt vmcnt(30)
	v_add_f64 v[118:119], v[118:119], -v[220:221]
	ds_read2_b64 v[220:223], v216 offset0:44 offset1:45
	v_add_f64 v[116:117], v[116:117], -v[128:129]
	s_waitcnt lgkmcnt(1)
	v_mul_f64 v[128:129], v[206:207], v[130:131]
	v_fma_f64 v[128:129], v[204:205], v[214:215], -v[128:129]
	v_mul_f64 v[204:205], v[204:205], v[130:131]
	v_fmac_f64_e32 v[204:205], v[206:207], v[214:215]
	s_waitcnt vmcnt(29)
	v_add_f64 v[112:113], v[112:113], -v[128:129]
	v_add_f64 v[114:115], v[114:115], -v[204:205]
	;; [unrolled: 18-line block ×16, first 2 shown]
	s_waitcnt lgkmcnt(0)
	v_mul_f64 v[128:129], v[222:223], v[130:131]
	v_mul_f64 v[204:205], v[220:221], v[130:131]
	v_fma_f64 v[128:129], v[220:221], v[214:215], -v[128:129]
	v_fmac_f64_e32 v[204:205], v[222:223], v[214:215]
	s_waitcnt vmcnt(0)
	v_add_f64 v[200:201], v[200:201], -v[128:129]
	v_add_f64 v[202:203], v[202:203], -v[204:205]
	v_mov_b64_e32 v[128:129], v[214:215]
.LBB100_377:
	s_or_b64 exec, exec, s[0:1]
	v_lshl_add_u32 v204, v217, 4, v216
	s_barrier
	s_waitcnt vmcnt(32)
	ds_write2_b64 v204, v[124:125], v[126:127] offset1:1
	s_waitcnt lgkmcnt(0)
	s_barrier
	ds_read2_b64 v[204:207], v216 offset0:36 offset1:37
	s_cmp_lt_i32 s20, 20
	v_mov_b32_e32 v214, 18
	s_cbranch_scc1 .LBB100_380
; %bb.378:
	v_add_u32_e32 v215, 0x130, v216
	s_mov_b32 s16, 19
	v_mov_b32_e32 v214, 18
.LBB100_379:                            ; =>This Inner Loop Header: Depth=1
	ds_read2_b64 v[220:223], v215 offset1:1
	s_waitcnt lgkmcnt(1)
	v_xor_b32_e32 v225, 0x80000000, v205
	v_xor_b32_e32 v227, 0x80000000, v207
	v_cmp_gt_f64_e32 vcc, 0, v[206:207]
	v_cmp_gt_f64_e64 s[0:1], 0, v[204:205]
	v_mov_b32_e32 v224, v204
	v_mov_b32_e32 v226, v206
	v_cndmask_b32_e64 v225, v205, v225, s[0:1]
	v_cndmask_b32_e32 v227, v207, v227, vcc
	v_add_f64 v[224:225], v[224:225], v[226:227]
	s_waitcnt lgkmcnt(0)
	v_xor_b32_e32 v227, 0x80000000, v221
	v_xor_b32_e32 v229, 0x80000000, v223
	v_cmp_gt_f64_e32 vcc, 0, v[222:223]
	v_cmp_gt_f64_e64 s[0:1], 0, v[220:221]
	v_mov_b32_e32 v226, v220
	v_mov_b32_e32 v228, v222
	v_cndmask_b32_e64 v227, v221, v227, s[0:1]
	v_cndmask_b32_e32 v229, v223, v229, vcc
	v_add_f64 v[226:227], v[226:227], v[228:229]
	v_mov_b32_e32 v230, s16
	s_add_i32 s16, s16, 1
	v_cmp_lt_f64_e32 vcc, v[224:225], v[226:227]
	v_add_u32_e32 v215, 16, v215
	s_cmp_lg_u32 s20, s16
	v_cndmask_b32_e32 v205, v205, v221, vcc
	v_cndmask_b32_e32 v204, v204, v220, vcc
	v_cndmask_b32_e32 v207, v207, v223, vcc
	v_cndmask_b32_e32 v206, v206, v222, vcc
	v_cndmask_b32_e32 v214, v214, v230, vcc
	s_cbranch_scc1 .LBB100_379
.LBB100_380:
	s_waitcnt lgkmcnt(0)
	v_cmp_eq_f64_e32 vcc, 0, v[204:205]
	v_cmp_eq_f64_e64 s[0:1], 0, v[206:207]
	s_and_b64 s[0:1], vcc, s[0:1]
	s_and_saveexec_b64 s[16:17], s[0:1]
	s_xor_b64 s[0:1], exec, s[16:17]
; %bb.381:
	v_cmp_ne_u32_e32 vcc, 0, v218
	s_nop 1
	v_cndmask_b32_e32 v218, 19, v218, vcc
; %bb.382:
	s_andn2_saveexec_b64 s[0:1], s[0:1]
	s_cbranch_execz .LBB100_388
; %bb.383:
	v_cmp_ngt_f64_e64 s[16:17], |v[204:205]|, |v[206:207]|
	s_and_saveexec_b64 s[18:19], s[16:17]
	s_xor_b64 s[16:17], exec, s[18:19]
	s_cbranch_execz .LBB100_385
; %bb.384:
	v_div_scale_f64 v[220:221], s[18:19], v[206:207], v[206:207], v[204:205]
	v_rcp_f64_e32 v[222:223], v[220:221]
	v_div_scale_f64 v[224:225], vcc, v[204:205], v[206:207], v[204:205]
	v_fma_f64 v[226:227], -v[220:221], v[222:223], 1.0
	v_fmac_f64_e32 v[222:223], v[222:223], v[226:227]
	v_fma_f64 v[226:227], -v[220:221], v[222:223], 1.0
	v_fmac_f64_e32 v[222:223], v[222:223], v[226:227]
	v_mul_f64 v[226:227], v[224:225], v[222:223]
	v_fma_f64 v[220:221], -v[220:221], v[226:227], v[224:225]
	v_div_fmas_f64 v[220:221], v[220:221], v[222:223], v[226:227]
	v_div_fixup_f64 v[220:221], v[220:221], v[206:207], v[204:205]
	v_fmac_f64_e32 v[206:207], v[204:205], v[220:221]
	v_div_scale_f64 v[204:205], s[18:19], v[206:207], v[206:207], 1.0
	v_rcp_f64_e32 v[222:223], v[204:205]
	s_nop 0
	v_fma_f64 v[224:225], -v[204:205], v[222:223], 1.0
	v_fmac_f64_e32 v[222:223], v[222:223], v[224:225]
	v_fma_f64 v[224:225], -v[204:205], v[222:223], 1.0
	v_fmac_f64_e32 v[222:223], v[222:223], v[224:225]
	v_div_scale_f64 v[224:225], vcc, 1.0, v[206:207], 1.0
	v_mul_f64 v[226:227], v[224:225], v[222:223]
	v_fma_f64 v[204:205], -v[204:205], v[226:227], v[224:225]
	s_nop 1
	v_div_fmas_f64 v[204:205], v[204:205], v[222:223], v[226:227]
	v_div_fixup_f64 v[206:207], v[204:205], v[206:207], 1.0
	v_mul_f64 v[204:205], v[220:221], v[206:207]
	v_xor_b32_e32 v207, 0x80000000, v207
.LBB100_385:
	s_andn2_saveexec_b64 s[16:17], s[16:17]
	s_cbranch_execz .LBB100_387
; %bb.386:
	v_div_scale_f64 v[220:221], s[18:19], v[204:205], v[204:205], v[206:207]
	v_rcp_f64_e32 v[222:223], v[220:221]
	v_div_scale_f64 v[224:225], vcc, v[206:207], v[204:205], v[206:207]
	v_fma_f64 v[226:227], -v[220:221], v[222:223], 1.0
	v_fmac_f64_e32 v[222:223], v[222:223], v[226:227]
	v_fma_f64 v[226:227], -v[220:221], v[222:223], 1.0
	v_fmac_f64_e32 v[222:223], v[222:223], v[226:227]
	v_mul_f64 v[226:227], v[224:225], v[222:223]
	v_fma_f64 v[220:221], -v[220:221], v[226:227], v[224:225]
	v_div_fmas_f64 v[220:221], v[220:221], v[222:223], v[226:227]
	v_div_fixup_f64 v[220:221], v[220:221], v[204:205], v[206:207]
	v_fmac_f64_e32 v[204:205], v[206:207], v[220:221]
	v_div_scale_f64 v[206:207], s[18:19], v[204:205], v[204:205], 1.0
	v_rcp_f64_e32 v[222:223], v[206:207]
	s_nop 0
	v_fma_f64 v[224:225], -v[206:207], v[222:223], 1.0
	v_fmac_f64_e32 v[222:223], v[222:223], v[224:225]
	v_fma_f64 v[224:225], -v[206:207], v[222:223], 1.0
	v_fmac_f64_e32 v[222:223], v[222:223], v[224:225]
	v_div_scale_f64 v[224:225], vcc, 1.0, v[204:205], 1.0
	v_mul_f64 v[226:227], v[224:225], v[222:223]
	v_fma_f64 v[206:207], -v[206:207], v[226:227], v[224:225]
	s_nop 1
	v_div_fmas_f64 v[206:207], v[206:207], v[222:223], v[226:227]
	v_div_fixup_f64 v[204:205], v[206:207], v[204:205], 1.0
	v_mul_f64 v[206:207], v[220:221], -v[204:205]
.LBB100_387:
	s_or_b64 exec, exec, s[16:17]
.LBB100_388:
	s_or_b64 exec, exec, s[0:1]
	v_cmp_ne_u32_e32 vcc, v217, v214
	s_and_saveexec_b64 s[0:1], vcc
	s_xor_b64 s[0:1], exec, s[0:1]
	s_cbranch_execz .LBB100_394
; %bb.389:
	v_cmp_eq_u32_e32 vcc, 18, v217
	s_and_saveexec_b64 s[16:17], vcc
	s_cbranch_execz .LBB100_393
; %bb.390:
	v_cmp_ne_u32_e32 vcc, 18, v214
	s_xor_b64 s[18:19], s[14:15], -1
	s_and_b64 s[22:23], s[18:19], vcc
	s_and_saveexec_b64 s[18:19], s[22:23]
	s_cbranch_execz .LBB100_392
; %bb.391:
	v_ashrrev_i32_e32 v215, 31, v214
	v_lshl_add_u64 v[220:221], v[214:215], 2, v[212:213]
	global_load_dword v215, v[220:221], off
	global_load_dword v217, v[212:213], off offset:72
	s_waitcnt vmcnt(1)
	global_store_dword v[212:213], v215, off offset:72
	s_waitcnt vmcnt(1)
	global_store_dword v[220:221], v217, off
.LBB100_392:
	s_or_b64 exec, exec, s[18:19]
	v_mov_b32_e32 v217, v214
	v_mov_b32_e32 v219, v214
.LBB100_393:
	s_or_b64 exec, exec, s[16:17]
.LBB100_394:
	s_andn2_saveexec_b64 s[0:1], s[0:1]
	s_cbranch_execz .LBB100_396
; %bb.395:
	v_mov_b32_e32 v217, 18
	s_waitcnt vmcnt(31)
	ds_write2_b64 v216, v[120:121], v[122:123] offset0:38 offset1:39
	s_waitcnt vmcnt(30)
	ds_write2_b64 v216, v[116:117], v[118:119] offset0:40 offset1:41
	;; [unrolled: 2-line block ×32, first 2 shown]
.LBB100_396:
	s_or_b64 exec, exec, s[0:1]
	v_cmp_lt_i32_e32 vcc, 18, v217
	s_waitcnt lgkmcnt(0)
	s_barrier
	s_and_saveexec_b64 s[0:1], vcc
	s_cbranch_execz .LBB100_398
; %bb.397:
	ds_read2_b64 v[220:223], v216 offset0:38 offset1:39
	v_mul_f64 v[214:215], v[206:207], v[126:127]
	v_mul_f64 v[126:127], v[204:205], v[126:127]
	v_fma_f64 v[214:215], v[204:205], v[124:125], -v[214:215]
	v_fmac_f64_e32 v[126:127], v[206:207], v[124:125]
	ds_read2_b64 v[204:207], v216 offset0:40 offset1:41
	s_waitcnt lgkmcnt(1)
	v_mul_f64 v[124:125], v[222:223], v[126:127]
	v_fma_f64 v[124:125], v[220:221], v[214:215], -v[124:125]
	v_mul_f64 v[220:221], v[220:221], v[126:127]
	v_fmac_f64_e32 v[220:221], v[222:223], v[214:215]
	s_waitcnt vmcnt(31)
	v_add_f64 v[120:121], v[120:121], -v[124:125]
	s_waitcnt lgkmcnt(0)
	v_mul_f64 v[124:125], v[206:207], v[126:127]
	v_add_f64 v[122:123], v[122:123], -v[220:221]
	v_fma_f64 v[124:125], v[204:205], v[214:215], -v[124:125]
	v_mul_f64 v[204:205], v[204:205], v[126:127]
	ds_read2_b64 v[220:223], v216 offset0:42 offset1:43
	v_fmac_f64_e32 v[204:205], v[206:207], v[214:215]
	s_waitcnt vmcnt(30)
	v_add_f64 v[118:119], v[118:119], -v[204:205]
	ds_read2_b64 v[204:207], v216 offset0:44 offset1:45
	v_add_f64 v[116:117], v[116:117], -v[124:125]
	s_waitcnt lgkmcnt(1)
	v_mul_f64 v[124:125], v[222:223], v[126:127]
	v_fma_f64 v[124:125], v[220:221], v[214:215], -v[124:125]
	v_mul_f64 v[220:221], v[220:221], v[126:127]
	v_fmac_f64_e32 v[220:221], v[222:223], v[214:215]
	s_waitcnt vmcnt(29)
	v_add_f64 v[112:113], v[112:113], -v[124:125]
	s_waitcnt lgkmcnt(0)
	v_mul_f64 v[124:125], v[206:207], v[126:127]
	v_add_f64 v[114:115], v[114:115], -v[220:221]
	v_fma_f64 v[124:125], v[204:205], v[214:215], -v[124:125]
	v_mul_f64 v[204:205], v[204:205], v[126:127]
	ds_read2_b64 v[220:223], v216 offset0:46 offset1:47
	v_fmac_f64_e32 v[204:205], v[206:207], v[214:215]
	s_waitcnt vmcnt(28)
	v_add_f64 v[110:111], v[110:111], -v[204:205]
	ds_read2_b64 v[204:207], v216 offset0:48 offset1:49
	v_add_f64 v[108:109], v[108:109], -v[124:125]
	;; [unrolled: 18-line block ×15, first 2 shown]
	s_waitcnt lgkmcnt(1)
	v_mul_f64 v[124:125], v[222:223], v[126:127]
	v_fma_f64 v[124:125], v[220:221], v[214:215], -v[124:125]
	s_waitcnt vmcnt(1)
	v_add_f64 v[0:1], v[0:1], -v[124:125]
	s_waitcnt lgkmcnt(0)
	v_mul_f64 v[124:125], v[206:207], v[126:127]
	v_mul_f64 v[220:221], v[220:221], v[126:127]
	v_fma_f64 v[124:125], v[204:205], v[214:215], -v[124:125]
	v_mul_f64 v[204:205], v[204:205], v[126:127]
	v_fmac_f64_e32 v[220:221], v[222:223], v[214:215]
	v_fmac_f64_e32 v[204:205], v[206:207], v[214:215]
	v_add_f64 v[2:3], v[2:3], -v[220:221]
	s_waitcnt vmcnt(0)
	v_add_f64 v[200:201], v[200:201], -v[124:125]
	v_add_f64 v[202:203], v[202:203], -v[204:205]
	v_mov_b64_e32 v[124:125], v[214:215]
.LBB100_398:
	s_or_b64 exec, exec, s[0:1]
	v_lshl_add_u32 v204, v217, 4, v216
	s_barrier
	s_waitcnt vmcnt(31)
	ds_write2_b64 v204, v[120:121], v[122:123] offset1:1
	s_waitcnt lgkmcnt(0)
	s_barrier
	ds_read2_b64 v[204:207], v216 offset0:38 offset1:39
	s_cmp_lt_i32 s20, 21
	v_mov_b32_e32 v214, 19
	s_cbranch_scc1 .LBB100_401
; %bb.399:
	v_add_u32_e32 v215, 0x140, v216
	s_mov_b32 s16, 20
	v_mov_b32_e32 v214, 19
.LBB100_400:                            ; =>This Inner Loop Header: Depth=1
	ds_read2_b64 v[220:223], v215 offset1:1
	s_waitcnt lgkmcnt(1)
	v_xor_b32_e32 v225, 0x80000000, v205
	v_xor_b32_e32 v227, 0x80000000, v207
	v_cmp_gt_f64_e32 vcc, 0, v[206:207]
	v_cmp_gt_f64_e64 s[0:1], 0, v[204:205]
	v_mov_b32_e32 v224, v204
	v_mov_b32_e32 v226, v206
	v_cndmask_b32_e64 v225, v205, v225, s[0:1]
	v_cndmask_b32_e32 v227, v207, v227, vcc
	v_add_f64 v[224:225], v[224:225], v[226:227]
	s_waitcnt lgkmcnt(0)
	v_xor_b32_e32 v227, 0x80000000, v221
	v_xor_b32_e32 v229, 0x80000000, v223
	v_cmp_gt_f64_e32 vcc, 0, v[222:223]
	v_cmp_gt_f64_e64 s[0:1], 0, v[220:221]
	v_mov_b32_e32 v226, v220
	v_mov_b32_e32 v228, v222
	v_cndmask_b32_e64 v227, v221, v227, s[0:1]
	v_cndmask_b32_e32 v229, v223, v229, vcc
	v_add_f64 v[226:227], v[226:227], v[228:229]
	v_mov_b32_e32 v230, s16
	s_add_i32 s16, s16, 1
	v_cmp_lt_f64_e32 vcc, v[224:225], v[226:227]
	v_add_u32_e32 v215, 16, v215
	s_cmp_lg_u32 s20, s16
	v_cndmask_b32_e32 v205, v205, v221, vcc
	v_cndmask_b32_e32 v204, v204, v220, vcc
	;; [unrolled: 1-line block ×5, first 2 shown]
	s_cbranch_scc1 .LBB100_400
.LBB100_401:
	s_waitcnt lgkmcnt(0)
	v_cmp_eq_f64_e32 vcc, 0, v[204:205]
	v_cmp_eq_f64_e64 s[0:1], 0, v[206:207]
	s_and_b64 s[0:1], vcc, s[0:1]
	s_and_saveexec_b64 s[16:17], s[0:1]
	s_xor_b64 s[0:1], exec, s[16:17]
; %bb.402:
	v_cmp_ne_u32_e32 vcc, 0, v218
	s_nop 1
	v_cndmask_b32_e32 v218, 20, v218, vcc
; %bb.403:
	s_andn2_saveexec_b64 s[0:1], s[0:1]
	s_cbranch_execz .LBB100_409
; %bb.404:
	v_cmp_ngt_f64_e64 s[16:17], |v[204:205]|, |v[206:207]|
	s_and_saveexec_b64 s[18:19], s[16:17]
	s_xor_b64 s[16:17], exec, s[18:19]
	s_cbranch_execz .LBB100_406
; %bb.405:
	v_div_scale_f64 v[220:221], s[18:19], v[206:207], v[206:207], v[204:205]
	v_rcp_f64_e32 v[222:223], v[220:221]
	v_div_scale_f64 v[224:225], vcc, v[204:205], v[206:207], v[204:205]
	v_fma_f64 v[226:227], -v[220:221], v[222:223], 1.0
	v_fmac_f64_e32 v[222:223], v[222:223], v[226:227]
	v_fma_f64 v[226:227], -v[220:221], v[222:223], 1.0
	v_fmac_f64_e32 v[222:223], v[222:223], v[226:227]
	v_mul_f64 v[226:227], v[224:225], v[222:223]
	v_fma_f64 v[220:221], -v[220:221], v[226:227], v[224:225]
	v_div_fmas_f64 v[220:221], v[220:221], v[222:223], v[226:227]
	v_div_fixup_f64 v[220:221], v[220:221], v[206:207], v[204:205]
	v_fmac_f64_e32 v[206:207], v[204:205], v[220:221]
	v_div_scale_f64 v[204:205], s[18:19], v[206:207], v[206:207], 1.0
	v_rcp_f64_e32 v[222:223], v[204:205]
	s_nop 0
	v_fma_f64 v[224:225], -v[204:205], v[222:223], 1.0
	v_fmac_f64_e32 v[222:223], v[222:223], v[224:225]
	v_fma_f64 v[224:225], -v[204:205], v[222:223], 1.0
	v_fmac_f64_e32 v[222:223], v[222:223], v[224:225]
	v_div_scale_f64 v[224:225], vcc, 1.0, v[206:207], 1.0
	v_mul_f64 v[226:227], v[224:225], v[222:223]
	v_fma_f64 v[204:205], -v[204:205], v[226:227], v[224:225]
	s_nop 1
	v_div_fmas_f64 v[204:205], v[204:205], v[222:223], v[226:227]
	v_div_fixup_f64 v[206:207], v[204:205], v[206:207], 1.0
	v_mul_f64 v[204:205], v[220:221], v[206:207]
	v_xor_b32_e32 v207, 0x80000000, v207
.LBB100_406:
	s_andn2_saveexec_b64 s[16:17], s[16:17]
	s_cbranch_execz .LBB100_408
; %bb.407:
	v_div_scale_f64 v[220:221], s[18:19], v[204:205], v[204:205], v[206:207]
	v_rcp_f64_e32 v[222:223], v[220:221]
	v_div_scale_f64 v[224:225], vcc, v[206:207], v[204:205], v[206:207]
	v_fma_f64 v[226:227], -v[220:221], v[222:223], 1.0
	v_fmac_f64_e32 v[222:223], v[222:223], v[226:227]
	v_fma_f64 v[226:227], -v[220:221], v[222:223], 1.0
	v_fmac_f64_e32 v[222:223], v[222:223], v[226:227]
	v_mul_f64 v[226:227], v[224:225], v[222:223]
	v_fma_f64 v[220:221], -v[220:221], v[226:227], v[224:225]
	v_div_fmas_f64 v[220:221], v[220:221], v[222:223], v[226:227]
	v_div_fixup_f64 v[220:221], v[220:221], v[204:205], v[206:207]
	v_fmac_f64_e32 v[204:205], v[206:207], v[220:221]
	v_div_scale_f64 v[206:207], s[18:19], v[204:205], v[204:205], 1.0
	v_rcp_f64_e32 v[222:223], v[206:207]
	s_nop 0
	v_fma_f64 v[224:225], -v[206:207], v[222:223], 1.0
	v_fmac_f64_e32 v[222:223], v[222:223], v[224:225]
	v_fma_f64 v[224:225], -v[206:207], v[222:223], 1.0
	v_fmac_f64_e32 v[222:223], v[222:223], v[224:225]
	v_div_scale_f64 v[224:225], vcc, 1.0, v[204:205], 1.0
	v_mul_f64 v[226:227], v[224:225], v[222:223]
	v_fma_f64 v[206:207], -v[206:207], v[226:227], v[224:225]
	s_nop 1
	v_div_fmas_f64 v[206:207], v[206:207], v[222:223], v[226:227]
	v_div_fixup_f64 v[204:205], v[206:207], v[204:205], 1.0
	v_mul_f64 v[206:207], v[220:221], -v[204:205]
.LBB100_408:
	s_or_b64 exec, exec, s[16:17]
.LBB100_409:
	s_or_b64 exec, exec, s[0:1]
	v_cmp_ne_u32_e32 vcc, v217, v214
	s_and_saveexec_b64 s[0:1], vcc
	s_xor_b64 s[0:1], exec, s[0:1]
	s_cbranch_execz .LBB100_415
; %bb.410:
	v_cmp_eq_u32_e32 vcc, 19, v217
	s_and_saveexec_b64 s[16:17], vcc
	s_cbranch_execz .LBB100_414
; %bb.411:
	v_cmp_ne_u32_e32 vcc, 19, v214
	s_xor_b64 s[18:19], s[14:15], -1
	s_and_b64 s[22:23], s[18:19], vcc
	s_and_saveexec_b64 s[18:19], s[22:23]
	s_cbranch_execz .LBB100_413
; %bb.412:
	v_ashrrev_i32_e32 v215, 31, v214
	v_lshl_add_u64 v[220:221], v[214:215], 2, v[212:213]
	global_load_dword v215, v[220:221], off
	global_load_dword v217, v[212:213], off offset:76
	s_waitcnt vmcnt(1)
	global_store_dword v[212:213], v215, off offset:76
	s_waitcnt vmcnt(1)
	global_store_dword v[220:221], v217, off
.LBB100_413:
	s_or_b64 exec, exec, s[18:19]
	v_mov_b32_e32 v217, v214
	v_mov_b32_e32 v219, v214
.LBB100_414:
	s_or_b64 exec, exec, s[16:17]
.LBB100_415:
	s_andn2_saveexec_b64 s[0:1], s[0:1]
	s_cbranch_execz .LBB100_417
; %bb.416:
	v_mov_b32_e32 v217, 19
	s_waitcnt vmcnt(30)
	ds_write2_b64 v216, v[116:117], v[118:119] offset0:40 offset1:41
	s_waitcnt vmcnt(29)
	ds_write2_b64 v216, v[112:113], v[114:115] offset0:42 offset1:43
	;; [unrolled: 2-line block ×31, first 2 shown]
.LBB100_417:
	s_or_b64 exec, exec, s[0:1]
	v_cmp_lt_i32_e32 vcc, 19, v217
	s_waitcnt lgkmcnt(0)
	s_barrier
	s_and_saveexec_b64 s[0:1], vcc
	s_cbranch_execz .LBB100_419
; %bb.418:
	ds_read2_b64 v[220:223], v216 offset0:40 offset1:41
	v_mul_f64 v[214:215], v[206:207], v[122:123]
	v_mul_f64 v[122:123], v[204:205], v[122:123]
	v_fmac_f64_e32 v[122:123], v[206:207], v[120:121]
	v_fma_f64 v[214:215], v[204:205], v[120:121], -v[214:215]
	ds_read2_b64 v[204:207], v216 offset0:42 offset1:43
	s_waitcnt lgkmcnt(1)
	v_mul_f64 v[120:121], v[222:223], v[122:123]
	v_fma_f64 v[120:121], v[220:221], v[214:215], -v[120:121]
	v_mul_f64 v[220:221], v[220:221], v[122:123]
	v_fmac_f64_e32 v[220:221], v[222:223], v[214:215]
	s_waitcnt vmcnt(30)
	v_add_f64 v[118:119], v[118:119], -v[220:221]
	ds_read2_b64 v[220:223], v216 offset0:44 offset1:45
	v_add_f64 v[116:117], v[116:117], -v[120:121]
	s_waitcnt lgkmcnt(1)
	v_mul_f64 v[120:121], v[206:207], v[122:123]
	v_fma_f64 v[120:121], v[204:205], v[214:215], -v[120:121]
	v_mul_f64 v[204:205], v[204:205], v[122:123]
	v_fmac_f64_e32 v[204:205], v[206:207], v[214:215]
	s_waitcnt vmcnt(29)
	v_add_f64 v[112:113], v[112:113], -v[120:121]
	v_add_f64 v[114:115], v[114:115], -v[204:205]
	ds_read2_b64 v[204:207], v216 offset0:46 offset1:47
	s_waitcnt lgkmcnt(1)
	v_mul_f64 v[120:121], v[222:223], v[122:123]
	v_fma_f64 v[120:121], v[220:221], v[214:215], -v[120:121]
	v_mul_f64 v[220:221], v[220:221], v[122:123]
	v_fmac_f64_e32 v[220:221], v[222:223], v[214:215]
	s_waitcnt vmcnt(28)
	v_add_f64 v[110:111], v[110:111], -v[220:221]
	ds_read2_b64 v[220:223], v216 offset0:48 offset1:49
	v_add_f64 v[108:109], v[108:109], -v[120:121]
	s_waitcnt lgkmcnt(1)
	v_mul_f64 v[120:121], v[206:207], v[122:123]
	v_fma_f64 v[120:121], v[204:205], v[214:215], -v[120:121]
	v_mul_f64 v[204:205], v[204:205], v[122:123]
	v_fmac_f64_e32 v[204:205], v[206:207], v[214:215]
	s_waitcnt vmcnt(27)
	v_add_f64 v[104:105], v[104:105], -v[120:121]
	v_add_f64 v[106:107], v[106:107], -v[204:205]
	;; [unrolled: 18-line block ×15, first 2 shown]
	s_waitcnt lgkmcnt(0)
	v_mul_f64 v[120:121], v[222:223], v[122:123]
	v_mul_f64 v[204:205], v[220:221], v[122:123]
	v_fma_f64 v[120:121], v[220:221], v[214:215], -v[120:121]
	v_fmac_f64_e32 v[204:205], v[222:223], v[214:215]
	s_waitcnt vmcnt(0)
	v_add_f64 v[200:201], v[200:201], -v[120:121]
	v_add_f64 v[202:203], v[202:203], -v[204:205]
	v_mov_b64_e32 v[120:121], v[214:215]
.LBB100_419:
	s_or_b64 exec, exec, s[0:1]
	v_lshl_add_u32 v204, v217, 4, v216
	s_barrier
	s_waitcnt vmcnt(30)
	ds_write2_b64 v204, v[116:117], v[118:119] offset1:1
	s_waitcnt lgkmcnt(0)
	s_barrier
	ds_read2_b64 v[204:207], v216 offset0:40 offset1:41
	s_cmp_lt_i32 s20, 22
	v_mov_b32_e32 v214, 20
	s_cbranch_scc1 .LBB100_422
; %bb.420:
	v_add_u32_e32 v215, 0x150, v216
	s_mov_b32 s16, 21
	v_mov_b32_e32 v214, 20
.LBB100_421:                            ; =>This Inner Loop Header: Depth=1
	ds_read2_b64 v[220:223], v215 offset1:1
	s_waitcnt lgkmcnt(1)
	v_xor_b32_e32 v225, 0x80000000, v205
	v_xor_b32_e32 v227, 0x80000000, v207
	v_cmp_gt_f64_e32 vcc, 0, v[206:207]
	v_cmp_gt_f64_e64 s[0:1], 0, v[204:205]
	v_mov_b32_e32 v224, v204
	v_mov_b32_e32 v226, v206
	v_cndmask_b32_e64 v225, v205, v225, s[0:1]
	v_cndmask_b32_e32 v227, v207, v227, vcc
	v_add_f64 v[224:225], v[224:225], v[226:227]
	s_waitcnt lgkmcnt(0)
	v_xor_b32_e32 v227, 0x80000000, v221
	v_xor_b32_e32 v229, 0x80000000, v223
	v_cmp_gt_f64_e32 vcc, 0, v[222:223]
	v_cmp_gt_f64_e64 s[0:1], 0, v[220:221]
	v_mov_b32_e32 v226, v220
	v_mov_b32_e32 v228, v222
	v_cndmask_b32_e64 v227, v221, v227, s[0:1]
	v_cndmask_b32_e32 v229, v223, v229, vcc
	v_add_f64 v[226:227], v[226:227], v[228:229]
	v_mov_b32_e32 v230, s16
	s_add_i32 s16, s16, 1
	v_cmp_lt_f64_e32 vcc, v[224:225], v[226:227]
	v_add_u32_e32 v215, 16, v215
	s_cmp_lg_u32 s20, s16
	v_cndmask_b32_e32 v205, v205, v221, vcc
	v_cndmask_b32_e32 v204, v204, v220, vcc
	;; [unrolled: 1-line block ×5, first 2 shown]
	s_cbranch_scc1 .LBB100_421
.LBB100_422:
	s_waitcnt lgkmcnt(0)
	v_cmp_eq_f64_e32 vcc, 0, v[204:205]
	v_cmp_eq_f64_e64 s[0:1], 0, v[206:207]
	s_and_b64 s[0:1], vcc, s[0:1]
	s_and_saveexec_b64 s[16:17], s[0:1]
	s_xor_b64 s[0:1], exec, s[16:17]
; %bb.423:
	v_cmp_ne_u32_e32 vcc, 0, v218
	s_nop 1
	v_cndmask_b32_e32 v218, 21, v218, vcc
; %bb.424:
	s_andn2_saveexec_b64 s[0:1], s[0:1]
	s_cbranch_execz .LBB100_430
; %bb.425:
	v_cmp_ngt_f64_e64 s[16:17], |v[204:205]|, |v[206:207]|
	s_and_saveexec_b64 s[18:19], s[16:17]
	s_xor_b64 s[16:17], exec, s[18:19]
	s_cbranch_execz .LBB100_427
; %bb.426:
	v_div_scale_f64 v[220:221], s[18:19], v[206:207], v[206:207], v[204:205]
	v_rcp_f64_e32 v[222:223], v[220:221]
	v_div_scale_f64 v[224:225], vcc, v[204:205], v[206:207], v[204:205]
	v_fma_f64 v[226:227], -v[220:221], v[222:223], 1.0
	v_fmac_f64_e32 v[222:223], v[222:223], v[226:227]
	v_fma_f64 v[226:227], -v[220:221], v[222:223], 1.0
	v_fmac_f64_e32 v[222:223], v[222:223], v[226:227]
	v_mul_f64 v[226:227], v[224:225], v[222:223]
	v_fma_f64 v[220:221], -v[220:221], v[226:227], v[224:225]
	v_div_fmas_f64 v[220:221], v[220:221], v[222:223], v[226:227]
	v_div_fixup_f64 v[220:221], v[220:221], v[206:207], v[204:205]
	v_fmac_f64_e32 v[206:207], v[204:205], v[220:221]
	v_div_scale_f64 v[204:205], s[18:19], v[206:207], v[206:207], 1.0
	v_rcp_f64_e32 v[222:223], v[204:205]
	s_nop 0
	v_fma_f64 v[224:225], -v[204:205], v[222:223], 1.0
	v_fmac_f64_e32 v[222:223], v[222:223], v[224:225]
	v_fma_f64 v[224:225], -v[204:205], v[222:223], 1.0
	v_fmac_f64_e32 v[222:223], v[222:223], v[224:225]
	v_div_scale_f64 v[224:225], vcc, 1.0, v[206:207], 1.0
	v_mul_f64 v[226:227], v[224:225], v[222:223]
	v_fma_f64 v[204:205], -v[204:205], v[226:227], v[224:225]
	s_nop 1
	v_div_fmas_f64 v[204:205], v[204:205], v[222:223], v[226:227]
	v_div_fixup_f64 v[206:207], v[204:205], v[206:207], 1.0
	v_mul_f64 v[204:205], v[220:221], v[206:207]
	v_xor_b32_e32 v207, 0x80000000, v207
.LBB100_427:
	s_andn2_saveexec_b64 s[16:17], s[16:17]
	s_cbranch_execz .LBB100_429
; %bb.428:
	v_div_scale_f64 v[220:221], s[18:19], v[204:205], v[204:205], v[206:207]
	v_rcp_f64_e32 v[222:223], v[220:221]
	v_div_scale_f64 v[224:225], vcc, v[206:207], v[204:205], v[206:207]
	v_fma_f64 v[226:227], -v[220:221], v[222:223], 1.0
	v_fmac_f64_e32 v[222:223], v[222:223], v[226:227]
	v_fma_f64 v[226:227], -v[220:221], v[222:223], 1.0
	v_fmac_f64_e32 v[222:223], v[222:223], v[226:227]
	v_mul_f64 v[226:227], v[224:225], v[222:223]
	v_fma_f64 v[220:221], -v[220:221], v[226:227], v[224:225]
	v_div_fmas_f64 v[220:221], v[220:221], v[222:223], v[226:227]
	v_div_fixup_f64 v[220:221], v[220:221], v[204:205], v[206:207]
	v_fmac_f64_e32 v[204:205], v[206:207], v[220:221]
	v_div_scale_f64 v[206:207], s[18:19], v[204:205], v[204:205], 1.0
	v_rcp_f64_e32 v[222:223], v[206:207]
	s_nop 0
	v_fma_f64 v[224:225], -v[206:207], v[222:223], 1.0
	v_fmac_f64_e32 v[222:223], v[222:223], v[224:225]
	v_fma_f64 v[224:225], -v[206:207], v[222:223], 1.0
	v_fmac_f64_e32 v[222:223], v[222:223], v[224:225]
	v_div_scale_f64 v[224:225], vcc, 1.0, v[204:205], 1.0
	v_mul_f64 v[226:227], v[224:225], v[222:223]
	v_fma_f64 v[206:207], -v[206:207], v[226:227], v[224:225]
	s_nop 1
	v_div_fmas_f64 v[206:207], v[206:207], v[222:223], v[226:227]
	v_div_fixup_f64 v[204:205], v[206:207], v[204:205], 1.0
	v_mul_f64 v[206:207], v[220:221], -v[204:205]
.LBB100_429:
	s_or_b64 exec, exec, s[16:17]
.LBB100_430:
	s_or_b64 exec, exec, s[0:1]
	v_cmp_ne_u32_e32 vcc, v217, v214
	s_and_saveexec_b64 s[0:1], vcc
	s_xor_b64 s[0:1], exec, s[0:1]
	s_cbranch_execz .LBB100_436
; %bb.431:
	v_cmp_eq_u32_e32 vcc, 20, v217
	s_and_saveexec_b64 s[16:17], vcc
	s_cbranch_execz .LBB100_435
; %bb.432:
	v_cmp_ne_u32_e32 vcc, 20, v214
	s_xor_b64 s[18:19], s[14:15], -1
	s_and_b64 s[22:23], s[18:19], vcc
	s_and_saveexec_b64 s[18:19], s[22:23]
	s_cbranch_execz .LBB100_434
; %bb.433:
	v_ashrrev_i32_e32 v215, 31, v214
	v_lshl_add_u64 v[220:221], v[214:215], 2, v[212:213]
	global_load_dword v215, v[220:221], off
	global_load_dword v217, v[212:213], off offset:80
	s_waitcnt vmcnt(1)
	global_store_dword v[212:213], v215, off offset:80
	s_waitcnt vmcnt(1)
	global_store_dword v[220:221], v217, off
.LBB100_434:
	s_or_b64 exec, exec, s[18:19]
	v_mov_b32_e32 v217, v214
	v_mov_b32_e32 v219, v214
.LBB100_435:
	s_or_b64 exec, exec, s[16:17]
.LBB100_436:
	s_andn2_saveexec_b64 s[0:1], s[0:1]
	s_cbranch_execz .LBB100_438
; %bb.437:
	v_mov_b32_e32 v217, 20
	s_waitcnt vmcnt(29)
	ds_write2_b64 v216, v[112:113], v[114:115] offset0:42 offset1:43
	s_waitcnt vmcnt(28)
	ds_write2_b64 v216, v[108:109], v[110:111] offset0:44 offset1:45
	;; [unrolled: 2-line block ×30, first 2 shown]
.LBB100_438:
	s_or_b64 exec, exec, s[0:1]
	v_cmp_lt_i32_e32 vcc, 20, v217
	s_waitcnt lgkmcnt(0)
	s_barrier
	s_and_saveexec_b64 s[0:1], vcc
	s_cbranch_execz .LBB100_440
; %bb.439:
	ds_read2_b64 v[220:223], v216 offset0:42 offset1:43
	v_mul_f64 v[214:215], v[206:207], v[118:119]
	v_mul_f64 v[118:119], v[204:205], v[118:119]
	v_fma_f64 v[214:215], v[204:205], v[116:117], -v[214:215]
	v_fmac_f64_e32 v[118:119], v[206:207], v[116:117]
	ds_read2_b64 v[204:207], v216 offset0:44 offset1:45
	s_waitcnt lgkmcnt(1)
	v_mul_f64 v[116:117], v[222:223], v[118:119]
	v_fma_f64 v[116:117], v[220:221], v[214:215], -v[116:117]
	v_mul_f64 v[220:221], v[220:221], v[118:119]
	v_fmac_f64_e32 v[220:221], v[222:223], v[214:215]
	s_waitcnt vmcnt(29)
	v_add_f64 v[112:113], v[112:113], -v[116:117]
	s_waitcnt lgkmcnt(0)
	v_mul_f64 v[116:117], v[206:207], v[118:119]
	v_add_f64 v[114:115], v[114:115], -v[220:221]
	v_fma_f64 v[116:117], v[204:205], v[214:215], -v[116:117]
	v_mul_f64 v[204:205], v[204:205], v[118:119]
	ds_read2_b64 v[220:223], v216 offset0:46 offset1:47
	v_fmac_f64_e32 v[204:205], v[206:207], v[214:215]
	s_waitcnt vmcnt(28)
	v_add_f64 v[110:111], v[110:111], -v[204:205]
	ds_read2_b64 v[204:207], v216 offset0:48 offset1:49
	v_add_f64 v[108:109], v[108:109], -v[116:117]
	s_waitcnt lgkmcnt(1)
	v_mul_f64 v[116:117], v[222:223], v[118:119]
	v_fma_f64 v[116:117], v[220:221], v[214:215], -v[116:117]
	v_mul_f64 v[220:221], v[220:221], v[118:119]
	v_fmac_f64_e32 v[220:221], v[222:223], v[214:215]
	s_waitcnt vmcnt(27)
	v_add_f64 v[104:105], v[104:105], -v[116:117]
	s_waitcnt lgkmcnt(0)
	v_mul_f64 v[116:117], v[206:207], v[118:119]
	v_add_f64 v[106:107], v[106:107], -v[220:221]
	v_fma_f64 v[116:117], v[204:205], v[214:215], -v[116:117]
	v_mul_f64 v[204:205], v[204:205], v[118:119]
	ds_read2_b64 v[220:223], v216 offset0:50 offset1:51
	v_fmac_f64_e32 v[204:205], v[206:207], v[214:215]
	s_waitcnt vmcnt(26)
	v_add_f64 v[102:103], v[102:103], -v[204:205]
	ds_read2_b64 v[204:207], v216 offset0:52 offset1:53
	v_add_f64 v[100:101], v[100:101], -v[116:117]
	;; [unrolled: 18-line block ×14, first 2 shown]
	s_waitcnt lgkmcnt(1)
	v_mul_f64 v[116:117], v[222:223], v[118:119]
	v_fma_f64 v[116:117], v[220:221], v[214:215], -v[116:117]
	s_waitcnt vmcnt(1)
	v_add_f64 v[0:1], v[0:1], -v[116:117]
	s_waitcnt lgkmcnt(0)
	v_mul_f64 v[116:117], v[206:207], v[118:119]
	v_mul_f64 v[220:221], v[220:221], v[118:119]
	v_fma_f64 v[116:117], v[204:205], v[214:215], -v[116:117]
	v_mul_f64 v[204:205], v[204:205], v[118:119]
	v_fmac_f64_e32 v[220:221], v[222:223], v[214:215]
	v_fmac_f64_e32 v[204:205], v[206:207], v[214:215]
	v_add_f64 v[2:3], v[2:3], -v[220:221]
	s_waitcnt vmcnt(0)
	v_add_f64 v[200:201], v[200:201], -v[116:117]
	v_add_f64 v[202:203], v[202:203], -v[204:205]
	v_mov_b64_e32 v[116:117], v[214:215]
.LBB100_440:
	s_or_b64 exec, exec, s[0:1]
	v_lshl_add_u32 v204, v217, 4, v216
	s_barrier
	s_waitcnt vmcnt(29)
	ds_write2_b64 v204, v[112:113], v[114:115] offset1:1
	s_waitcnt lgkmcnt(0)
	s_barrier
	ds_read2_b64 v[204:207], v216 offset0:42 offset1:43
	s_cmp_lt_i32 s20, 23
	v_mov_b32_e32 v214, 21
	s_cbranch_scc1 .LBB100_443
; %bb.441:
	v_add_u32_e32 v215, 0x160, v216
	s_mov_b32 s16, 22
	v_mov_b32_e32 v214, 21
.LBB100_442:                            ; =>This Inner Loop Header: Depth=1
	ds_read2_b64 v[220:223], v215 offset1:1
	s_waitcnt lgkmcnt(1)
	v_xor_b32_e32 v225, 0x80000000, v205
	v_xor_b32_e32 v227, 0x80000000, v207
	v_cmp_gt_f64_e32 vcc, 0, v[206:207]
	v_cmp_gt_f64_e64 s[0:1], 0, v[204:205]
	v_mov_b32_e32 v224, v204
	v_mov_b32_e32 v226, v206
	v_cndmask_b32_e64 v225, v205, v225, s[0:1]
	v_cndmask_b32_e32 v227, v207, v227, vcc
	v_add_f64 v[224:225], v[224:225], v[226:227]
	s_waitcnt lgkmcnt(0)
	v_xor_b32_e32 v227, 0x80000000, v221
	v_xor_b32_e32 v229, 0x80000000, v223
	v_cmp_gt_f64_e32 vcc, 0, v[222:223]
	v_cmp_gt_f64_e64 s[0:1], 0, v[220:221]
	v_mov_b32_e32 v226, v220
	v_mov_b32_e32 v228, v222
	v_cndmask_b32_e64 v227, v221, v227, s[0:1]
	v_cndmask_b32_e32 v229, v223, v229, vcc
	v_add_f64 v[226:227], v[226:227], v[228:229]
	v_mov_b32_e32 v230, s16
	s_add_i32 s16, s16, 1
	v_cmp_lt_f64_e32 vcc, v[224:225], v[226:227]
	v_add_u32_e32 v215, 16, v215
	s_cmp_lg_u32 s20, s16
	v_cndmask_b32_e32 v205, v205, v221, vcc
	v_cndmask_b32_e32 v204, v204, v220, vcc
	;; [unrolled: 1-line block ×5, first 2 shown]
	s_cbranch_scc1 .LBB100_442
.LBB100_443:
	s_waitcnt lgkmcnt(0)
	v_cmp_eq_f64_e32 vcc, 0, v[204:205]
	v_cmp_eq_f64_e64 s[0:1], 0, v[206:207]
	s_and_b64 s[0:1], vcc, s[0:1]
	s_and_saveexec_b64 s[16:17], s[0:1]
	s_xor_b64 s[0:1], exec, s[16:17]
; %bb.444:
	v_cmp_ne_u32_e32 vcc, 0, v218
	s_nop 1
	v_cndmask_b32_e32 v218, 22, v218, vcc
; %bb.445:
	s_andn2_saveexec_b64 s[0:1], s[0:1]
	s_cbranch_execz .LBB100_451
; %bb.446:
	v_cmp_ngt_f64_e64 s[16:17], |v[204:205]|, |v[206:207]|
	s_and_saveexec_b64 s[18:19], s[16:17]
	s_xor_b64 s[16:17], exec, s[18:19]
	s_cbranch_execz .LBB100_448
; %bb.447:
	v_div_scale_f64 v[220:221], s[18:19], v[206:207], v[206:207], v[204:205]
	v_rcp_f64_e32 v[222:223], v[220:221]
	v_div_scale_f64 v[224:225], vcc, v[204:205], v[206:207], v[204:205]
	v_fma_f64 v[226:227], -v[220:221], v[222:223], 1.0
	v_fmac_f64_e32 v[222:223], v[222:223], v[226:227]
	v_fma_f64 v[226:227], -v[220:221], v[222:223], 1.0
	v_fmac_f64_e32 v[222:223], v[222:223], v[226:227]
	v_mul_f64 v[226:227], v[224:225], v[222:223]
	v_fma_f64 v[220:221], -v[220:221], v[226:227], v[224:225]
	v_div_fmas_f64 v[220:221], v[220:221], v[222:223], v[226:227]
	v_div_fixup_f64 v[220:221], v[220:221], v[206:207], v[204:205]
	v_fmac_f64_e32 v[206:207], v[204:205], v[220:221]
	v_div_scale_f64 v[204:205], s[18:19], v[206:207], v[206:207], 1.0
	v_rcp_f64_e32 v[222:223], v[204:205]
	s_nop 0
	v_fma_f64 v[224:225], -v[204:205], v[222:223], 1.0
	v_fmac_f64_e32 v[222:223], v[222:223], v[224:225]
	v_fma_f64 v[224:225], -v[204:205], v[222:223], 1.0
	v_fmac_f64_e32 v[222:223], v[222:223], v[224:225]
	v_div_scale_f64 v[224:225], vcc, 1.0, v[206:207], 1.0
	v_mul_f64 v[226:227], v[224:225], v[222:223]
	v_fma_f64 v[204:205], -v[204:205], v[226:227], v[224:225]
	s_nop 1
	v_div_fmas_f64 v[204:205], v[204:205], v[222:223], v[226:227]
	v_div_fixup_f64 v[206:207], v[204:205], v[206:207], 1.0
	v_mul_f64 v[204:205], v[220:221], v[206:207]
	v_xor_b32_e32 v207, 0x80000000, v207
.LBB100_448:
	s_andn2_saveexec_b64 s[16:17], s[16:17]
	s_cbranch_execz .LBB100_450
; %bb.449:
	v_div_scale_f64 v[220:221], s[18:19], v[204:205], v[204:205], v[206:207]
	v_rcp_f64_e32 v[222:223], v[220:221]
	v_div_scale_f64 v[224:225], vcc, v[206:207], v[204:205], v[206:207]
	v_fma_f64 v[226:227], -v[220:221], v[222:223], 1.0
	v_fmac_f64_e32 v[222:223], v[222:223], v[226:227]
	v_fma_f64 v[226:227], -v[220:221], v[222:223], 1.0
	v_fmac_f64_e32 v[222:223], v[222:223], v[226:227]
	v_mul_f64 v[226:227], v[224:225], v[222:223]
	v_fma_f64 v[220:221], -v[220:221], v[226:227], v[224:225]
	v_div_fmas_f64 v[220:221], v[220:221], v[222:223], v[226:227]
	v_div_fixup_f64 v[220:221], v[220:221], v[204:205], v[206:207]
	v_fmac_f64_e32 v[204:205], v[206:207], v[220:221]
	v_div_scale_f64 v[206:207], s[18:19], v[204:205], v[204:205], 1.0
	v_rcp_f64_e32 v[222:223], v[206:207]
	s_nop 0
	v_fma_f64 v[224:225], -v[206:207], v[222:223], 1.0
	v_fmac_f64_e32 v[222:223], v[222:223], v[224:225]
	v_fma_f64 v[224:225], -v[206:207], v[222:223], 1.0
	v_fmac_f64_e32 v[222:223], v[222:223], v[224:225]
	v_div_scale_f64 v[224:225], vcc, 1.0, v[204:205], 1.0
	v_mul_f64 v[226:227], v[224:225], v[222:223]
	v_fma_f64 v[206:207], -v[206:207], v[226:227], v[224:225]
	s_nop 1
	v_div_fmas_f64 v[206:207], v[206:207], v[222:223], v[226:227]
	v_div_fixup_f64 v[204:205], v[206:207], v[204:205], 1.0
	v_mul_f64 v[206:207], v[220:221], -v[204:205]
.LBB100_450:
	s_or_b64 exec, exec, s[16:17]
.LBB100_451:
	s_or_b64 exec, exec, s[0:1]
	v_cmp_ne_u32_e32 vcc, v217, v214
	s_and_saveexec_b64 s[0:1], vcc
	s_xor_b64 s[0:1], exec, s[0:1]
	s_cbranch_execz .LBB100_457
; %bb.452:
	v_cmp_eq_u32_e32 vcc, 21, v217
	s_and_saveexec_b64 s[16:17], vcc
	s_cbranch_execz .LBB100_456
; %bb.453:
	v_cmp_ne_u32_e32 vcc, 21, v214
	s_xor_b64 s[18:19], s[14:15], -1
	s_and_b64 s[22:23], s[18:19], vcc
	s_and_saveexec_b64 s[18:19], s[22:23]
	s_cbranch_execz .LBB100_455
; %bb.454:
	v_ashrrev_i32_e32 v215, 31, v214
	v_lshl_add_u64 v[220:221], v[214:215], 2, v[212:213]
	global_load_dword v215, v[220:221], off
	global_load_dword v217, v[212:213], off offset:84
	s_waitcnt vmcnt(1)
	global_store_dword v[212:213], v215, off offset:84
	s_waitcnt vmcnt(1)
	global_store_dword v[220:221], v217, off
.LBB100_455:
	s_or_b64 exec, exec, s[18:19]
	v_mov_b32_e32 v217, v214
	v_mov_b32_e32 v219, v214
.LBB100_456:
	s_or_b64 exec, exec, s[16:17]
.LBB100_457:
	s_andn2_saveexec_b64 s[0:1], s[0:1]
	s_cbranch_execz .LBB100_459
; %bb.458:
	v_mov_b32_e32 v217, 21
	s_waitcnt vmcnt(28)
	ds_write2_b64 v216, v[108:109], v[110:111] offset0:44 offset1:45
	s_waitcnt vmcnt(27)
	ds_write2_b64 v216, v[104:105], v[106:107] offset0:46 offset1:47
	;; [unrolled: 2-line block ×29, first 2 shown]
.LBB100_459:
	s_or_b64 exec, exec, s[0:1]
	v_cmp_lt_i32_e32 vcc, 21, v217
	s_waitcnt lgkmcnt(0)
	s_barrier
	s_and_saveexec_b64 s[0:1], vcc
	s_cbranch_execz .LBB100_461
; %bb.460:
	ds_read2_b64 v[220:223], v216 offset0:44 offset1:45
	v_mul_f64 v[214:215], v[206:207], v[114:115]
	v_mul_f64 v[114:115], v[204:205], v[114:115]
	v_fmac_f64_e32 v[114:115], v[206:207], v[112:113]
	v_fma_f64 v[214:215], v[204:205], v[112:113], -v[214:215]
	ds_read2_b64 v[204:207], v216 offset0:46 offset1:47
	s_waitcnt lgkmcnt(1)
	v_mul_f64 v[112:113], v[222:223], v[114:115]
	v_fma_f64 v[112:113], v[220:221], v[214:215], -v[112:113]
	v_mul_f64 v[220:221], v[220:221], v[114:115]
	v_fmac_f64_e32 v[220:221], v[222:223], v[214:215]
	s_waitcnt vmcnt(28)
	v_add_f64 v[110:111], v[110:111], -v[220:221]
	ds_read2_b64 v[220:223], v216 offset0:48 offset1:49
	v_add_f64 v[108:109], v[108:109], -v[112:113]
	s_waitcnt lgkmcnt(1)
	v_mul_f64 v[112:113], v[206:207], v[114:115]
	v_fma_f64 v[112:113], v[204:205], v[214:215], -v[112:113]
	v_mul_f64 v[204:205], v[204:205], v[114:115]
	v_fmac_f64_e32 v[204:205], v[206:207], v[214:215]
	s_waitcnt vmcnt(27)
	v_add_f64 v[104:105], v[104:105], -v[112:113]
	v_add_f64 v[106:107], v[106:107], -v[204:205]
	ds_read2_b64 v[204:207], v216 offset0:50 offset1:51
	s_waitcnt lgkmcnt(1)
	v_mul_f64 v[112:113], v[222:223], v[114:115]
	v_fma_f64 v[112:113], v[220:221], v[214:215], -v[112:113]
	v_mul_f64 v[220:221], v[220:221], v[114:115]
	v_fmac_f64_e32 v[220:221], v[222:223], v[214:215]
	s_waitcnt vmcnt(26)
	v_add_f64 v[102:103], v[102:103], -v[220:221]
	ds_read2_b64 v[220:223], v216 offset0:52 offset1:53
	v_add_f64 v[100:101], v[100:101], -v[112:113]
	s_waitcnt lgkmcnt(1)
	v_mul_f64 v[112:113], v[206:207], v[114:115]
	v_fma_f64 v[112:113], v[204:205], v[214:215], -v[112:113]
	v_mul_f64 v[204:205], v[204:205], v[114:115]
	v_fmac_f64_e32 v[204:205], v[206:207], v[214:215]
	s_waitcnt vmcnt(25)
	v_add_f64 v[96:97], v[96:97], -v[112:113]
	v_add_f64 v[98:99], v[98:99], -v[204:205]
	;; [unrolled: 18-line block ×14, first 2 shown]
	s_waitcnt lgkmcnt(0)
	v_mul_f64 v[112:113], v[222:223], v[114:115]
	v_mul_f64 v[204:205], v[220:221], v[114:115]
	v_fma_f64 v[112:113], v[220:221], v[214:215], -v[112:113]
	v_fmac_f64_e32 v[204:205], v[222:223], v[214:215]
	s_waitcnt vmcnt(0)
	v_add_f64 v[200:201], v[200:201], -v[112:113]
	v_add_f64 v[202:203], v[202:203], -v[204:205]
	v_mov_b64_e32 v[112:113], v[214:215]
.LBB100_461:
	s_or_b64 exec, exec, s[0:1]
	v_lshl_add_u32 v204, v217, 4, v216
	s_barrier
	s_waitcnt vmcnt(28)
	ds_write2_b64 v204, v[108:109], v[110:111] offset1:1
	s_waitcnt lgkmcnt(0)
	s_barrier
	ds_read2_b64 v[204:207], v216 offset0:44 offset1:45
	s_cmp_lt_i32 s20, 24
	v_mov_b32_e32 v214, 22
	s_cbranch_scc1 .LBB100_464
; %bb.462:
	v_add_u32_e32 v215, 0x170, v216
	s_mov_b32 s16, 23
	v_mov_b32_e32 v214, 22
.LBB100_463:                            ; =>This Inner Loop Header: Depth=1
	ds_read2_b64 v[220:223], v215 offset1:1
	s_waitcnt lgkmcnt(1)
	v_xor_b32_e32 v225, 0x80000000, v205
	v_xor_b32_e32 v227, 0x80000000, v207
	v_cmp_gt_f64_e32 vcc, 0, v[206:207]
	v_cmp_gt_f64_e64 s[0:1], 0, v[204:205]
	v_mov_b32_e32 v224, v204
	v_mov_b32_e32 v226, v206
	v_cndmask_b32_e64 v225, v205, v225, s[0:1]
	v_cndmask_b32_e32 v227, v207, v227, vcc
	v_add_f64 v[224:225], v[224:225], v[226:227]
	s_waitcnt lgkmcnt(0)
	v_xor_b32_e32 v227, 0x80000000, v221
	v_xor_b32_e32 v229, 0x80000000, v223
	v_cmp_gt_f64_e32 vcc, 0, v[222:223]
	v_cmp_gt_f64_e64 s[0:1], 0, v[220:221]
	v_mov_b32_e32 v226, v220
	v_mov_b32_e32 v228, v222
	v_cndmask_b32_e64 v227, v221, v227, s[0:1]
	v_cndmask_b32_e32 v229, v223, v229, vcc
	v_add_f64 v[226:227], v[226:227], v[228:229]
	v_mov_b32_e32 v230, s16
	s_add_i32 s16, s16, 1
	v_cmp_lt_f64_e32 vcc, v[224:225], v[226:227]
	v_add_u32_e32 v215, 16, v215
	s_cmp_lg_u32 s20, s16
	v_cndmask_b32_e32 v205, v205, v221, vcc
	v_cndmask_b32_e32 v204, v204, v220, vcc
	;; [unrolled: 1-line block ×5, first 2 shown]
	s_cbranch_scc1 .LBB100_463
.LBB100_464:
	s_waitcnt lgkmcnt(0)
	v_cmp_eq_f64_e32 vcc, 0, v[204:205]
	v_cmp_eq_f64_e64 s[0:1], 0, v[206:207]
	s_and_b64 s[0:1], vcc, s[0:1]
	s_and_saveexec_b64 s[16:17], s[0:1]
	s_xor_b64 s[0:1], exec, s[16:17]
; %bb.465:
	v_cmp_ne_u32_e32 vcc, 0, v218
	s_nop 1
	v_cndmask_b32_e32 v218, 23, v218, vcc
; %bb.466:
	s_andn2_saveexec_b64 s[0:1], s[0:1]
	s_cbranch_execz .LBB100_472
; %bb.467:
	v_cmp_ngt_f64_e64 s[16:17], |v[204:205]|, |v[206:207]|
	s_and_saveexec_b64 s[18:19], s[16:17]
	s_xor_b64 s[16:17], exec, s[18:19]
	s_cbranch_execz .LBB100_469
; %bb.468:
	v_div_scale_f64 v[220:221], s[18:19], v[206:207], v[206:207], v[204:205]
	v_rcp_f64_e32 v[222:223], v[220:221]
	v_div_scale_f64 v[224:225], vcc, v[204:205], v[206:207], v[204:205]
	v_fma_f64 v[226:227], -v[220:221], v[222:223], 1.0
	v_fmac_f64_e32 v[222:223], v[222:223], v[226:227]
	v_fma_f64 v[226:227], -v[220:221], v[222:223], 1.0
	v_fmac_f64_e32 v[222:223], v[222:223], v[226:227]
	v_mul_f64 v[226:227], v[224:225], v[222:223]
	v_fma_f64 v[220:221], -v[220:221], v[226:227], v[224:225]
	v_div_fmas_f64 v[220:221], v[220:221], v[222:223], v[226:227]
	v_div_fixup_f64 v[220:221], v[220:221], v[206:207], v[204:205]
	v_fmac_f64_e32 v[206:207], v[204:205], v[220:221]
	v_div_scale_f64 v[204:205], s[18:19], v[206:207], v[206:207], 1.0
	v_rcp_f64_e32 v[222:223], v[204:205]
	s_nop 0
	v_fma_f64 v[224:225], -v[204:205], v[222:223], 1.0
	v_fmac_f64_e32 v[222:223], v[222:223], v[224:225]
	v_fma_f64 v[224:225], -v[204:205], v[222:223], 1.0
	v_fmac_f64_e32 v[222:223], v[222:223], v[224:225]
	v_div_scale_f64 v[224:225], vcc, 1.0, v[206:207], 1.0
	v_mul_f64 v[226:227], v[224:225], v[222:223]
	v_fma_f64 v[204:205], -v[204:205], v[226:227], v[224:225]
	s_nop 1
	v_div_fmas_f64 v[204:205], v[204:205], v[222:223], v[226:227]
	v_div_fixup_f64 v[206:207], v[204:205], v[206:207], 1.0
	v_mul_f64 v[204:205], v[220:221], v[206:207]
	v_xor_b32_e32 v207, 0x80000000, v207
.LBB100_469:
	s_andn2_saveexec_b64 s[16:17], s[16:17]
	s_cbranch_execz .LBB100_471
; %bb.470:
	v_div_scale_f64 v[220:221], s[18:19], v[204:205], v[204:205], v[206:207]
	v_rcp_f64_e32 v[222:223], v[220:221]
	v_div_scale_f64 v[224:225], vcc, v[206:207], v[204:205], v[206:207]
	v_fma_f64 v[226:227], -v[220:221], v[222:223], 1.0
	v_fmac_f64_e32 v[222:223], v[222:223], v[226:227]
	v_fma_f64 v[226:227], -v[220:221], v[222:223], 1.0
	v_fmac_f64_e32 v[222:223], v[222:223], v[226:227]
	v_mul_f64 v[226:227], v[224:225], v[222:223]
	v_fma_f64 v[220:221], -v[220:221], v[226:227], v[224:225]
	v_div_fmas_f64 v[220:221], v[220:221], v[222:223], v[226:227]
	v_div_fixup_f64 v[220:221], v[220:221], v[204:205], v[206:207]
	v_fmac_f64_e32 v[204:205], v[206:207], v[220:221]
	v_div_scale_f64 v[206:207], s[18:19], v[204:205], v[204:205], 1.0
	v_rcp_f64_e32 v[222:223], v[206:207]
	s_nop 0
	v_fma_f64 v[224:225], -v[206:207], v[222:223], 1.0
	v_fmac_f64_e32 v[222:223], v[222:223], v[224:225]
	v_fma_f64 v[224:225], -v[206:207], v[222:223], 1.0
	v_fmac_f64_e32 v[222:223], v[222:223], v[224:225]
	v_div_scale_f64 v[224:225], vcc, 1.0, v[204:205], 1.0
	v_mul_f64 v[226:227], v[224:225], v[222:223]
	v_fma_f64 v[206:207], -v[206:207], v[226:227], v[224:225]
	s_nop 1
	v_div_fmas_f64 v[206:207], v[206:207], v[222:223], v[226:227]
	v_div_fixup_f64 v[204:205], v[206:207], v[204:205], 1.0
	v_mul_f64 v[206:207], v[220:221], -v[204:205]
.LBB100_471:
	s_or_b64 exec, exec, s[16:17]
.LBB100_472:
	s_or_b64 exec, exec, s[0:1]
	v_cmp_ne_u32_e32 vcc, v217, v214
	s_and_saveexec_b64 s[0:1], vcc
	s_xor_b64 s[0:1], exec, s[0:1]
	s_cbranch_execz .LBB100_478
; %bb.473:
	v_cmp_eq_u32_e32 vcc, 22, v217
	s_and_saveexec_b64 s[16:17], vcc
	s_cbranch_execz .LBB100_477
; %bb.474:
	v_cmp_ne_u32_e32 vcc, 22, v214
	s_xor_b64 s[18:19], s[14:15], -1
	s_and_b64 s[22:23], s[18:19], vcc
	s_and_saveexec_b64 s[18:19], s[22:23]
	s_cbranch_execz .LBB100_476
; %bb.475:
	v_ashrrev_i32_e32 v215, 31, v214
	v_lshl_add_u64 v[220:221], v[214:215], 2, v[212:213]
	global_load_dword v215, v[220:221], off
	global_load_dword v217, v[212:213], off offset:88
	s_waitcnt vmcnt(1)
	global_store_dword v[212:213], v215, off offset:88
	s_waitcnt vmcnt(1)
	global_store_dword v[220:221], v217, off
.LBB100_476:
	s_or_b64 exec, exec, s[18:19]
	v_mov_b32_e32 v217, v214
	v_mov_b32_e32 v219, v214
.LBB100_477:
	s_or_b64 exec, exec, s[16:17]
.LBB100_478:
	s_andn2_saveexec_b64 s[0:1], s[0:1]
	s_cbranch_execz .LBB100_480
; %bb.479:
	v_mov_b32_e32 v217, 22
	s_waitcnt vmcnt(27)
	ds_write2_b64 v216, v[104:105], v[106:107] offset0:46 offset1:47
	s_waitcnt vmcnt(26)
	ds_write2_b64 v216, v[100:101], v[102:103] offset0:48 offset1:49
	;; [unrolled: 2-line block ×28, first 2 shown]
.LBB100_480:
	s_or_b64 exec, exec, s[0:1]
	v_cmp_lt_i32_e32 vcc, 22, v217
	s_waitcnt lgkmcnt(0)
	s_barrier
	s_and_saveexec_b64 s[0:1], vcc
	s_cbranch_execz .LBB100_482
; %bb.481:
	ds_read2_b64 v[220:223], v216 offset0:46 offset1:47
	v_mul_f64 v[214:215], v[206:207], v[110:111]
	v_mul_f64 v[110:111], v[204:205], v[110:111]
	v_fma_f64 v[214:215], v[204:205], v[108:109], -v[214:215]
	v_fmac_f64_e32 v[110:111], v[206:207], v[108:109]
	ds_read2_b64 v[204:207], v216 offset0:48 offset1:49
	s_waitcnt lgkmcnt(1)
	v_mul_f64 v[108:109], v[222:223], v[110:111]
	v_fma_f64 v[108:109], v[220:221], v[214:215], -v[108:109]
	v_mul_f64 v[220:221], v[220:221], v[110:111]
	v_fmac_f64_e32 v[220:221], v[222:223], v[214:215]
	s_waitcnt vmcnt(27)
	v_add_f64 v[104:105], v[104:105], -v[108:109]
	s_waitcnt lgkmcnt(0)
	v_mul_f64 v[108:109], v[206:207], v[110:111]
	v_add_f64 v[106:107], v[106:107], -v[220:221]
	v_fma_f64 v[108:109], v[204:205], v[214:215], -v[108:109]
	v_mul_f64 v[204:205], v[204:205], v[110:111]
	ds_read2_b64 v[220:223], v216 offset0:50 offset1:51
	v_fmac_f64_e32 v[204:205], v[206:207], v[214:215]
	s_waitcnt vmcnt(26)
	v_add_f64 v[102:103], v[102:103], -v[204:205]
	ds_read2_b64 v[204:207], v216 offset0:52 offset1:53
	v_add_f64 v[100:101], v[100:101], -v[108:109]
	s_waitcnt lgkmcnt(1)
	v_mul_f64 v[108:109], v[222:223], v[110:111]
	v_fma_f64 v[108:109], v[220:221], v[214:215], -v[108:109]
	v_mul_f64 v[220:221], v[220:221], v[110:111]
	v_fmac_f64_e32 v[220:221], v[222:223], v[214:215]
	s_waitcnt vmcnt(25)
	v_add_f64 v[96:97], v[96:97], -v[108:109]
	s_waitcnt lgkmcnt(0)
	v_mul_f64 v[108:109], v[206:207], v[110:111]
	v_add_f64 v[98:99], v[98:99], -v[220:221]
	v_fma_f64 v[108:109], v[204:205], v[214:215], -v[108:109]
	v_mul_f64 v[204:205], v[204:205], v[110:111]
	ds_read2_b64 v[220:223], v216 offset0:54 offset1:55
	v_fmac_f64_e32 v[204:205], v[206:207], v[214:215]
	s_waitcnt vmcnt(24)
	v_add_f64 v[94:95], v[94:95], -v[204:205]
	ds_read2_b64 v[204:207], v216 offset0:56 offset1:57
	v_add_f64 v[92:93], v[92:93], -v[108:109]
	;; [unrolled: 18-line block ×13, first 2 shown]
	s_waitcnt lgkmcnt(1)
	v_mul_f64 v[108:109], v[222:223], v[110:111]
	v_fma_f64 v[108:109], v[220:221], v[214:215], -v[108:109]
	s_waitcnt vmcnt(1)
	v_add_f64 v[0:1], v[0:1], -v[108:109]
	s_waitcnt lgkmcnt(0)
	v_mul_f64 v[108:109], v[206:207], v[110:111]
	v_mul_f64 v[220:221], v[220:221], v[110:111]
	v_fma_f64 v[108:109], v[204:205], v[214:215], -v[108:109]
	v_mul_f64 v[204:205], v[204:205], v[110:111]
	v_fmac_f64_e32 v[220:221], v[222:223], v[214:215]
	v_fmac_f64_e32 v[204:205], v[206:207], v[214:215]
	v_add_f64 v[2:3], v[2:3], -v[220:221]
	s_waitcnt vmcnt(0)
	v_add_f64 v[200:201], v[200:201], -v[108:109]
	v_add_f64 v[202:203], v[202:203], -v[204:205]
	v_mov_b64_e32 v[108:109], v[214:215]
.LBB100_482:
	s_or_b64 exec, exec, s[0:1]
	v_lshl_add_u32 v204, v217, 4, v216
	s_barrier
	s_waitcnt vmcnt(27)
	ds_write2_b64 v204, v[104:105], v[106:107] offset1:1
	s_waitcnt lgkmcnt(0)
	s_barrier
	ds_read2_b64 v[204:207], v216 offset0:46 offset1:47
	s_cmp_lt_i32 s20, 25
	v_mov_b32_e32 v214, 23
	s_cbranch_scc1 .LBB100_485
; %bb.483:
	v_add_u32_e32 v215, 0x180, v216
	s_mov_b32 s16, 24
	v_mov_b32_e32 v214, 23
.LBB100_484:                            ; =>This Inner Loop Header: Depth=1
	ds_read2_b64 v[220:223], v215 offset1:1
	s_waitcnt lgkmcnt(1)
	v_xor_b32_e32 v225, 0x80000000, v205
	v_xor_b32_e32 v227, 0x80000000, v207
	v_cmp_gt_f64_e32 vcc, 0, v[206:207]
	v_cmp_gt_f64_e64 s[0:1], 0, v[204:205]
	v_mov_b32_e32 v224, v204
	v_mov_b32_e32 v226, v206
	v_cndmask_b32_e64 v225, v205, v225, s[0:1]
	v_cndmask_b32_e32 v227, v207, v227, vcc
	v_add_f64 v[224:225], v[224:225], v[226:227]
	s_waitcnt lgkmcnt(0)
	v_xor_b32_e32 v227, 0x80000000, v221
	v_xor_b32_e32 v229, 0x80000000, v223
	v_cmp_gt_f64_e32 vcc, 0, v[222:223]
	v_cmp_gt_f64_e64 s[0:1], 0, v[220:221]
	v_mov_b32_e32 v226, v220
	v_mov_b32_e32 v228, v222
	v_cndmask_b32_e64 v227, v221, v227, s[0:1]
	v_cndmask_b32_e32 v229, v223, v229, vcc
	v_add_f64 v[226:227], v[226:227], v[228:229]
	v_mov_b32_e32 v230, s16
	s_add_i32 s16, s16, 1
	v_cmp_lt_f64_e32 vcc, v[224:225], v[226:227]
	v_add_u32_e32 v215, 16, v215
	s_cmp_lg_u32 s20, s16
	v_cndmask_b32_e32 v205, v205, v221, vcc
	v_cndmask_b32_e32 v204, v204, v220, vcc
	;; [unrolled: 1-line block ×5, first 2 shown]
	s_cbranch_scc1 .LBB100_484
.LBB100_485:
	s_waitcnt lgkmcnt(0)
	v_cmp_eq_f64_e32 vcc, 0, v[204:205]
	v_cmp_eq_f64_e64 s[0:1], 0, v[206:207]
	s_and_b64 s[0:1], vcc, s[0:1]
	s_and_saveexec_b64 s[16:17], s[0:1]
	s_xor_b64 s[0:1], exec, s[16:17]
; %bb.486:
	v_cmp_ne_u32_e32 vcc, 0, v218
	s_nop 1
	v_cndmask_b32_e32 v218, 24, v218, vcc
; %bb.487:
	s_andn2_saveexec_b64 s[0:1], s[0:1]
	s_cbranch_execz .LBB100_493
; %bb.488:
	v_cmp_ngt_f64_e64 s[16:17], |v[204:205]|, |v[206:207]|
	s_and_saveexec_b64 s[18:19], s[16:17]
	s_xor_b64 s[16:17], exec, s[18:19]
	s_cbranch_execz .LBB100_490
; %bb.489:
	v_div_scale_f64 v[220:221], s[18:19], v[206:207], v[206:207], v[204:205]
	v_rcp_f64_e32 v[222:223], v[220:221]
	v_div_scale_f64 v[224:225], vcc, v[204:205], v[206:207], v[204:205]
	v_fma_f64 v[226:227], -v[220:221], v[222:223], 1.0
	v_fmac_f64_e32 v[222:223], v[222:223], v[226:227]
	v_fma_f64 v[226:227], -v[220:221], v[222:223], 1.0
	v_fmac_f64_e32 v[222:223], v[222:223], v[226:227]
	v_mul_f64 v[226:227], v[224:225], v[222:223]
	v_fma_f64 v[220:221], -v[220:221], v[226:227], v[224:225]
	v_div_fmas_f64 v[220:221], v[220:221], v[222:223], v[226:227]
	v_div_fixup_f64 v[220:221], v[220:221], v[206:207], v[204:205]
	v_fmac_f64_e32 v[206:207], v[204:205], v[220:221]
	v_div_scale_f64 v[204:205], s[18:19], v[206:207], v[206:207], 1.0
	v_rcp_f64_e32 v[222:223], v[204:205]
	s_nop 0
	v_fma_f64 v[224:225], -v[204:205], v[222:223], 1.0
	v_fmac_f64_e32 v[222:223], v[222:223], v[224:225]
	v_fma_f64 v[224:225], -v[204:205], v[222:223], 1.0
	v_fmac_f64_e32 v[222:223], v[222:223], v[224:225]
	v_div_scale_f64 v[224:225], vcc, 1.0, v[206:207], 1.0
	v_mul_f64 v[226:227], v[224:225], v[222:223]
	v_fma_f64 v[204:205], -v[204:205], v[226:227], v[224:225]
	s_nop 1
	v_div_fmas_f64 v[204:205], v[204:205], v[222:223], v[226:227]
	v_div_fixup_f64 v[206:207], v[204:205], v[206:207], 1.0
	v_mul_f64 v[204:205], v[220:221], v[206:207]
	v_xor_b32_e32 v207, 0x80000000, v207
.LBB100_490:
	s_andn2_saveexec_b64 s[16:17], s[16:17]
	s_cbranch_execz .LBB100_492
; %bb.491:
	v_div_scale_f64 v[220:221], s[18:19], v[204:205], v[204:205], v[206:207]
	v_rcp_f64_e32 v[222:223], v[220:221]
	v_div_scale_f64 v[224:225], vcc, v[206:207], v[204:205], v[206:207]
	v_fma_f64 v[226:227], -v[220:221], v[222:223], 1.0
	v_fmac_f64_e32 v[222:223], v[222:223], v[226:227]
	v_fma_f64 v[226:227], -v[220:221], v[222:223], 1.0
	v_fmac_f64_e32 v[222:223], v[222:223], v[226:227]
	v_mul_f64 v[226:227], v[224:225], v[222:223]
	v_fma_f64 v[220:221], -v[220:221], v[226:227], v[224:225]
	v_div_fmas_f64 v[220:221], v[220:221], v[222:223], v[226:227]
	v_div_fixup_f64 v[220:221], v[220:221], v[204:205], v[206:207]
	v_fmac_f64_e32 v[204:205], v[206:207], v[220:221]
	v_div_scale_f64 v[206:207], s[18:19], v[204:205], v[204:205], 1.0
	v_rcp_f64_e32 v[222:223], v[206:207]
	s_nop 0
	v_fma_f64 v[224:225], -v[206:207], v[222:223], 1.0
	v_fmac_f64_e32 v[222:223], v[222:223], v[224:225]
	v_fma_f64 v[224:225], -v[206:207], v[222:223], 1.0
	v_fmac_f64_e32 v[222:223], v[222:223], v[224:225]
	v_div_scale_f64 v[224:225], vcc, 1.0, v[204:205], 1.0
	v_mul_f64 v[226:227], v[224:225], v[222:223]
	v_fma_f64 v[206:207], -v[206:207], v[226:227], v[224:225]
	s_nop 1
	v_div_fmas_f64 v[206:207], v[206:207], v[222:223], v[226:227]
	v_div_fixup_f64 v[204:205], v[206:207], v[204:205], 1.0
	v_mul_f64 v[206:207], v[220:221], -v[204:205]
.LBB100_492:
	s_or_b64 exec, exec, s[16:17]
.LBB100_493:
	s_or_b64 exec, exec, s[0:1]
	v_cmp_ne_u32_e32 vcc, v217, v214
	s_and_saveexec_b64 s[0:1], vcc
	s_xor_b64 s[0:1], exec, s[0:1]
	s_cbranch_execz .LBB100_499
; %bb.494:
	v_cmp_eq_u32_e32 vcc, 23, v217
	s_and_saveexec_b64 s[16:17], vcc
	s_cbranch_execz .LBB100_498
; %bb.495:
	v_cmp_ne_u32_e32 vcc, 23, v214
	s_xor_b64 s[18:19], s[14:15], -1
	s_and_b64 s[22:23], s[18:19], vcc
	s_and_saveexec_b64 s[18:19], s[22:23]
	s_cbranch_execz .LBB100_497
; %bb.496:
	v_ashrrev_i32_e32 v215, 31, v214
	v_lshl_add_u64 v[220:221], v[214:215], 2, v[212:213]
	global_load_dword v215, v[220:221], off
	global_load_dword v217, v[212:213], off offset:92
	s_waitcnt vmcnt(1)
	global_store_dword v[212:213], v215, off offset:92
	s_waitcnt vmcnt(1)
	global_store_dword v[220:221], v217, off
.LBB100_497:
	s_or_b64 exec, exec, s[18:19]
	v_mov_b32_e32 v217, v214
	v_mov_b32_e32 v219, v214
.LBB100_498:
	s_or_b64 exec, exec, s[16:17]
.LBB100_499:
	s_andn2_saveexec_b64 s[0:1], s[0:1]
	s_cbranch_execz .LBB100_501
; %bb.500:
	v_mov_b32_e32 v217, 23
	s_waitcnt vmcnt(26)
	ds_write2_b64 v216, v[100:101], v[102:103] offset0:48 offset1:49
	s_waitcnt vmcnt(25)
	ds_write2_b64 v216, v[96:97], v[98:99] offset0:50 offset1:51
	;; [unrolled: 2-line block ×27, first 2 shown]
.LBB100_501:
	s_or_b64 exec, exec, s[0:1]
	v_cmp_lt_i32_e32 vcc, 23, v217
	s_waitcnt lgkmcnt(0)
	s_barrier
	s_and_saveexec_b64 s[0:1], vcc
	s_cbranch_execz .LBB100_503
; %bb.502:
	ds_read2_b64 v[220:223], v216 offset0:48 offset1:49
	v_mul_f64 v[214:215], v[206:207], v[106:107]
	v_mul_f64 v[106:107], v[204:205], v[106:107]
	v_fmac_f64_e32 v[106:107], v[206:207], v[104:105]
	v_fma_f64 v[214:215], v[204:205], v[104:105], -v[214:215]
	ds_read2_b64 v[204:207], v216 offset0:50 offset1:51
	s_waitcnt lgkmcnt(1)
	v_mul_f64 v[104:105], v[222:223], v[106:107]
	v_fma_f64 v[104:105], v[220:221], v[214:215], -v[104:105]
	v_mul_f64 v[220:221], v[220:221], v[106:107]
	v_fmac_f64_e32 v[220:221], v[222:223], v[214:215]
	s_waitcnt vmcnt(26)
	v_add_f64 v[102:103], v[102:103], -v[220:221]
	ds_read2_b64 v[220:223], v216 offset0:52 offset1:53
	v_add_f64 v[100:101], v[100:101], -v[104:105]
	s_waitcnt lgkmcnt(1)
	v_mul_f64 v[104:105], v[206:207], v[106:107]
	v_fma_f64 v[104:105], v[204:205], v[214:215], -v[104:105]
	v_mul_f64 v[204:205], v[204:205], v[106:107]
	v_fmac_f64_e32 v[204:205], v[206:207], v[214:215]
	s_waitcnt vmcnt(25)
	v_add_f64 v[96:97], v[96:97], -v[104:105]
	v_add_f64 v[98:99], v[98:99], -v[204:205]
	ds_read2_b64 v[204:207], v216 offset0:54 offset1:55
	s_waitcnt lgkmcnt(1)
	v_mul_f64 v[104:105], v[222:223], v[106:107]
	v_fma_f64 v[104:105], v[220:221], v[214:215], -v[104:105]
	v_mul_f64 v[220:221], v[220:221], v[106:107]
	v_fmac_f64_e32 v[220:221], v[222:223], v[214:215]
	s_waitcnt vmcnt(24)
	v_add_f64 v[94:95], v[94:95], -v[220:221]
	ds_read2_b64 v[220:223], v216 offset0:56 offset1:57
	v_add_f64 v[92:93], v[92:93], -v[104:105]
	s_waitcnt lgkmcnt(1)
	v_mul_f64 v[104:105], v[206:207], v[106:107]
	v_fma_f64 v[104:105], v[204:205], v[214:215], -v[104:105]
	v_mul_f64 v[204:205], v[204:205], v[106:107]
	v_fmac_f64_e32 v[204:205], v[206:207], v[214:215]
	s_waitcnt vmcnt(23)
	v_add_f64 v[88:89], v[88:89], -v[104:105]
	v_add_f64 v[90:91], v[90:91], -v[204:205]
	;; [unrolled: 18-line block ×13, first 2 shown]
	s_waitcnt lgkmcnt(0)
	v_mul_f64 v[104:105], v[222:223], v[106:107]
	v_mul_f64 v[204:205], v[220:221], v[106:107]
	v_fma_f64 v[104:105], v[220:221], v[214:215], -v[104:105]
	v_fmac_f64_e32 v[204:205], v[222:223], v[214:215]
	s_waitcnt vmcnt(0)
	v_add_f64 v[200:201], v[200:201], -v[104:105]
	v_add_f64 v[202:203], v[202:203], -v[204:205]
	v_mov_b64_e32 v[104:105], v[214:215]
.LBB100_503:
	s_or_b64 exec, exec, s[0:1]
	v_lshl_add_u32 v204, v217, 4, v216
	s_barrier
	s_waitcnt vmcnt(26)
	ds_write2_b64 v204, v[100:101], v[102:103] offset1:1
	s_waitcnt lgkmcnt(0)
	s_barrier
	ds_read2_b64 v[204:207], v216 offset0:48 offset1:49
	s_cmp_lt_i32 s20, 26
	v_mov_b32_e32 v214, 24
	s_cbranch_scc1 .LBB100_506
; %bb.504:
	v_add_u32_e32 v215, 0x190, v216
	s_mov_b32 s16, 25
	v_mov_b32_e32 v214, 24
.LBB100_505:                            ; =>This Inner Loop Header: Depth=1
	ds_read2_b64 v[220:223], v215 offset1:1
	s_waitcnt lgkmcnt(1)
	v_xor_b32_e32 v225, 0x80000000, v205
	v_xor_b32_e32 v227, 0x80000000, v207
	v_cmp_gt_f64_e32 vcc, 0, v[206:207]
	v_cmp_gt_f64_e64 s[0:1], 0, v[204:205]
	v_mov_b32_e32 v224, v204
	v_mov_b32_e32 v226, v206
	v_cndmask_b32_e64 v225, v205, v225, s[0:1]
	v_cndmask_b32_e32 v227, v207, v227, vcc
	v_add_f64 v[224:225], v[224:225], v[226:227]
	s_waitcnt lgkmcnt(0)
	v_xor_b32_e32 v227, 0x80000000, v221
	v_xor_b32_e32 v229, 0x80000000, v223
	v_cmp_gt_f64_e32 vcc, 0, v[222:223]
	v_cmp_gt_f64_e64 s[0:1], 0, v[220:221]
	v_mov_b32_e32 v226, v220
	v_mov_b32_e32 v228, v222
	v_cndmask_b32_e64 v227, v221, v227, s[0:1]
	v_cndmask_b32_e32 v229, v223, v229, vcc
	v_add_f64 v[226:227], v[226:227], v[228:229]
	v_mov_b32_e32 v230, s16
	s_add_i32 s16, s16, 1
	v_cmp_lt_f64_e32 vcc, v[224:225], v[226:227]
	v_add_u32_e32 v215, 16, v215
	s_cmp_lg_u32 s20, s16
	v_cndmask_b32_e32 v205, v205, v221, vcc
	v_cndmask_b32_e32 v204, v204, v220, vcc
	;; [unrolled: 1-line block ×5, first 2 shown]
	s_cbranch_scc1 .LBB100_505
.LBB100_506:
	s_waitcnt lgkmcnt(0)
	v_cmp_eq_f64_e32 vcc, 0, v[204:205]
	v_cmp_eq_f64_e64 s[0:1], 0, v[206:207]
	s_and_b64 s[0:1], vcc, s[0:1]
	s_and_saveexec_b64 s[16:17], s[0:1]
	s_xor_b64 s[0:1], exec, s[16:17]
; %bb.507:
	v_cmp_ne_u32_e32 vcc, 0, v218
	s_nop 1
	v_cndmask_b32_e32 v218, 25, v218, vcc
; %bb.508:
	s_andn2_saveexec_b64 s[0:1], s[0:1]
	s_cbranch_execz .LBB100_514
; %bb.509:
	v_cmp_ngt_f64_e64 s[16:17], |v[204:205]|, |v[206:207]|
	s_and_saveexec_b64 s[18:19], s[16:17]
	s_xor_b64 s[16:17], exec, s[18:19]
	s_cbranch_execz .LBB100_511
; %bb.510:
	v_div_scale_f64 v[220:221], s[18:19], v[206:207], v[206:207], v[204:205]
	v_rcp_f64_e32 v[222:223], v[220:221]
	v_div_scale_f64 v[224:225], vcc, v[204:205], v[206:207], v[204:205]
	v_fma_f64 v[226:227], -v[220:221], v[222:223], 1.0
	v_fmac_f64_e32 v[222:223], v[222:223], v[226:227]
	v_fma_f64 v[226:227], -v[220:221], v[222:223], 1.0
	v_fmac_f64_e32 v[222:223], v[222:223], v[226:227]
	v_mul_f64 v[226:227], v[224:225], v[222:223]
	v_fma_f64 v[220:221], -v[220:221], v[226:227], v[224:225]
	v_div_fmas_f64 v[220:221], v[220:221], v[222:223], v[226:227]
	v_div_fixup_f64 v[220:221], v[220:221], v[206:207], v[204:205]
	v_fmac_f64_e32 v[206:207], v[204:205], v[220:221]
	v_div_scale_f64 v[204:205], s[18:19], v[206:207], v[206:207], 1.0
	v_rcp_f64_e32 v[222:223], v[204:205]
	s_nop 0
	v_fma_f64 v[224:225], -v[204:205], v[222:223], 1.0
	v_fmac_f64_e32 v[222:223], v[222:223], v[224:225]
	v_fma_f64 v[224:225], -v[204:205], v[222:223], 1.0
	v_fmac_f64_e32 v[222:223], v[222:223], v[224:225]
	v_div_scale_f64 v[224:225], vcc, 1.0, v[206:207], 1.0
	v_mul_f64 v[226:227], v[224:225], v[222:223]
	v_fma_f64 v[204:205], -v[204:205], v[226:227], v[224:225]
	s_nop 1
	v_div_fmas_f64 v[204:205], v[204:205], v[222:223], v[226:227]
	v_div_fixup_f64 v[206:207], v[204:205], v[206:207], 1.0
	v_mul_f64 v[204:205], v[220:221], v[206:207]
	v_xor_b32_e32 v207, 0x80000000, v207
.LBB100_511:
	s_andn2_saveexec_b64 s[16:17], s[16:17]
	s_cbranch_execz .LBB100_513
; %bb.512:
	v_div_scale_f64 v[220:221], s[18:19], v[204:205], v[204:205], v[206:207]
	v_rcp_f64_e32 v[222:223], v[220:221]
	v_div_scale_f64 v[224:225], vcc, v[206:207], v[204:205], v[206:207]
	v_fma_f64 v[226:227], -v[220:221], v[222:223], 1.0
	v_fmac_f64_e32 v[222:223], v[222:223], v[226:227]
	v_fma_f64 v[226:227], -v[220:221], v[222:223], 1.0
	v_fmac_f64_e32 v[222:223], v[222:223], v[226:227]
	v_mul_f64 v[226:227], v[224:225], v[222:223]
	v_fma_f64 v[220:221], -v[220:221], v[226:227], v[224:225]
	v_div_fmas_f64 v[220:221], v[220:221], v[222:223], v[226:227]
	v_div_fixup_f64 v[220:221], v[220:221], v[204:205], v[206:207]
	v_fmac_f64_e32 v[204:205], v[206:207], v[220:221]
	v_div_scale_f64 v[206:207], s[18:19], v[204:205], v[204:205], 1.0
	v_rcp_f64_e32 v[222:223], v[206:207]
	s_nop 0
	v_fma_f64 v[224:225], -v[206:207], v[222:223], 1.0
	v_fmac_f64_e32 v[222:223], v[222:223], v[224:225]
	v_fma_f64 v[224:225], -v[206:207], v[222:223], 1.0
	v_fmac_f64_e32 v[222:223], v[222:223], v[224:225]
	v_div_scale_f64 v[224:225], vcc, 1.0, v[204:205], 1.0
	v_mul_f64 v[226:227], v[224:225], v[222:223]
	v_fma_f64 v[206:207], -v[206:207], v[226:227], v[224:225]
	s_nop 1
	v_div_fmas_f64 v[206:207], v[206:207], v[222:223], v[226:227]
	v_div_fixup_f64 v[204:205], v[206:207], v[204:205], 1.0
	v_mul_f64 v[206:207], v[220:221], -v[204:205]
.LBB100_513:
	s_or_b64 exec, exec, s[16:17]
.LBB100_514:
	s_or_b64 exec, exec, s[0:1]
	v_cmp_ne_u32_e32 vcc, v217, v214
	s_and_saveexec_b64 s[0:1], vcc
	s_xor_b64 s[0:1], exec, s[0:1]
	s_cbranch_execz .LBB100_520
; %bb.515:
	v_cmp_eq_u32_e32 vcc, 24, v217
	s_and_saveexec_b64 s[16:17], vcc
	s_cbranch_execz .LBB100_519
; %bb.516:
	v_cmp_ne_u32_e32 vcc, 24, v214
	s_xor_b64 s[18:19], s[14:15], -1
	s_and_b64 s[22:23], s[18:19], vcc
	s_and_saveexec_b64 s[18:19], s[22:23]
	s_cbranch_execz .LBB100_518
; %bb.517:
	v_ashrrev_i32_e32 v215, 31, v214
	v_lshl_add_u64 v[220:221], v[214:215], 2, v[212:213]
	global_load_dword v215, v[220:221], off
	global_load_dword v217, v[212:213], off offset:96
	s_waitcnt vmcnt(1)
	global_store_dword v[212:213], v215, off offset:96
	s_waitcnt vmcnt(1)
	global_store_dword v[220:221], v217, off
.LBB100_518:
	s_or_b64 exec, exec, s[18:19]
	v_mov_b32_e32 v217, v214
	v_mov_b32_e32 v219, v214
.LBB100_519:
	s_or_b64 exec, exec, s[16:17]
.LBB100_520:
	s_andn2_saveexec_b64 s[0:1], s[0:1]
	s_cbranch_execz .LBB100_522
; %bb.521:
	v_mov_b32_e32 v217, 24
	s_waitcnt vmcnt(25)
	ds_write2_b64 v216, v[96:97], v[98:99] offset0:50 offset1:51
	s_waitcnt vmcnt(24)
	ds_write2_b64 v216, v[92:93], v[94:95] offset0:52 offset1:53
	;; [unrolled: 2-line block ×26, first 2 shown]
.LBB100_522:
	s_or_b64 exec, exec, s[0:1]
	v_cmp_lt_i32_e32 vcc, 24, v217
	s_waitcnt lgkmcnt(0)
	s_barrier
	s_and_saveexec_b64 s[0:1], vcc
	s_cbranch_execz .LBB100_524
; %bb.523:
	ds_read2_b64 v[220:223], v216 offset0:50 offset1:51
	v_mul_f64 v[214:215], v[206:207], v[102:103]
	v_mul_f64 v[102:103], v[204:205], v[102:103]
	v_fma_f64 v[214:215], v[204:205], v[100:101], -v[214:215]
	v_fmac_f64_e32 v[102:103], v[206:207], v[100:101]
	ds_read2_b64 v[204:207], v216 offset0:52 offset1:53
	s_waitcnt lgkmcnt(1)
	v_mul_f64 v[100:101], v[222:223], v[102:103]
	v_fma_f64 v[100:101], v[220:221], v[214:215], -v[100:101]
	v_mul_f64 v[220:221], v[220:221], v[102:103]
	v_fmac_f64_e32 v[220:221], v[222:223], v[214:215]
	s_waitcnt vmcnt(25)
	v_add_f64 v[96:97], v[96:97], -v[100:101]
	s_waitcnt lgkmcnt(0)
	v_mul_f64 v[100:101], v[206:207], v[102:103]
	v_add_f64 v[98:99], v[98:99], -v[220:221]
	v_fma_f64 v[100:101], v[204:205], v[214:215], -v[100:101]
	v_mul_f64 v[204:205], v[204:205], v[102:103]
	ds_read2_b64 v[220:223], v216 offset0:54 offset1:55
	v_fmac_f64_e32 v[204:205], v[206:207], v[214:215]
	s_waitcnt vmcnt(24)
	v_add_f64 v[94:95], v[94:95], -v[204:205]
	ds_read2_b64 v[204:207], v216 offset0:56 offset1:57
	v_add_f64 v[92:93], v[92:93], -v[100:101]
	s_waitcnt lgkmcnt(1)
	v_mul_f64 v[100:101], v[222:223], v[102:103]
	v_fma_f64 v[100:101], v[220:221], v[214:215], -v[100:101]
	v_mul_f64 v[220:221], v[220:221], v[102:103]
	v_fmac_f64_e32 v[220:221], v[222:223], v[214:215]
	s_waitcnt vmcnt(23)
	v_add_f64 v[88:89], v[88:89], -v[100:101]
	s_waitcnt lgkmcnt(0)
	v_mul_f64 v[100:101], v[206:207], v[102:103]
	v_add_f64 v[90:91], v[90:91], -v[220:221]
	v_fma_f64 v[100:101], v[204:205], v[214:215], -v[100:101]
	v_mul_f64 v[204:205], v[204:205], v[102:103]
	ds_read2_b64 v[220:223], v216 offset0:58 offset1:59
	v_fmac_f64_e32 v[204:205], v[206:207], v[214:215]
	s_waitcnt vmcnt(22)
	v_add_f64 v[86:87], v[86:87], -v[204:205]
	ds_read2_b64 v[204:207], v216 offset0:60 offset1:61
	v_add_f64 v[84:85], v[84:85], -v[100:101]
	;; [unrolled: 18-line block ×12, first 2 shown]
	s_waitcnt lgkmcnt(1)
	v_mul_f64 v[100:101], v[222:223], v[102:103]
	v_fma_f64 v[100:101], v[220:221], v[214:215], -v[100:101]
	s_waitcnt vmcnt(1)
	v_add_f64 v[0:1], v[0:1], -v[100:101]
	s_waitcnt lgkmcnt(0)
	v_mul_f64 v[100:101], v[206:207], v[102:103]
	v_mul_f64 v[220:221], v[220:221], v[102:103]
	v_fma_f64 v[100:101], v[204:205], v[214:215], -v[100:101]
	v_mul_f64 v[204:205], v[204:205], v[102:103]
	v_fmac_f64_e32 v[220:221], v[222:223], v[214:215]
	v_fmac_f64_e32 v[204:205], v[206:207], v[214:215]
	v_add_f64 v[2:3], v[2:3], -v[220:221]
	s_waitcnt vmcnt(0)
	v_add_f64 v[200:201], v[200:201], -v[100:101]
	v_add_f64 v[202:203], v[202:203], -v[204:205]
	v_mov_b64_e32 v[100:101], v[214:215]
.LBB100_524:
	s_or_b64 exec, exec, s[0:1]
	v_lshl_add_u32 v204, v217, 4, v216
	s_barrier
	s_waitcnt vmcnt(25)
	ds_write2_b64 v204, v[96:97], v[98:99] offset1:1
	s_waitcnt lgkmcnt(0)
	s_barrier
	ds_read2_b64 v[204:207], v216 offset0:50 offset1:51
	s_cmp_lt_i32 s20, 27
	v_mov_b32_e32 v214, 25
	s_cbranch_scc1 .LBB100_527
; %bb.525:
	v_add_u32_e32 v215, 0x1a0, v216
	s_mov_b32 s16, 26
	v_mov_b32_e32 v214, 25
.LBB100_526:                            ; =>This Inner Loop Header: Depth=1
	ds_read2_b64 v[220:223], v215 offset1:1
	s_waitcnt lgkmcnt(1)
	v_xor_b32_e32 v225, 0x80000000, v205
	v_xor_b32_e32 v227, 0x80000000, v207
	v_cmp_gt_f64_e32 vcc, 0, v[206:207]
	v_cmp_gt_f64_e64 s[0:1], 0, v[204:205]
	v_mov_b32_e32 v224, v204
	v_mov_b32_e32 v226, v206
	v_cndmask_b32_e64 v225, v205, v225, s[0:1]
	v_cndmask_b32_e32 v227, v207, v227, vcc
	v_add_f64 v[224:225], v[224:225], v[226:227]
	s_waitcnt lgkmcnt(0)
	v_xor_b32_e32 v227, 0x80000000, v221
	v_xor_b32_e32 v229, 0x80000000, v223
	v_cmp_gt_f64_e32 vcc, 0, v[222:223]
	v_cmp_gt_f64_e64 s[0:1], 0, v[220:221]
	v_mov_b32_e32 v226, v220
	v_mov_b32_e32 v228, v222
	v_cndmask_b32_e64 v227, v221, v227, s[0:1]
	v_cndmask_b32_e32 v229, v223, v229, vcc
	v_add_f64 v[226:227], v[226:227], v[228:229]
	v_mov_b32_e32 v230, s16
	s_add_i32 s16, s16, 1
	v_cmp_lt_f64_e32 vcc, v[224:225], v[226:227]
	v_add_u32_e32 v215, 16, v215
	s_cmp_lg_u32 s20, s16
	v_cndmask_b32_e32 v205, v205, v221, vcc
	v_cndmask_b32_e32 v204, v204, v220, vcc
	;; [unrolled: 1-line block ×5, first 2 shown]
	s_cbranch_scc1 .LBB100_526
.LBB100_527:
	s_waitcnt lgkmcnt(0)
	v_cmp_eq_f64_e32 vcc, 0, v[204:205]
	v_cmp_eq_f64_e64 s[0:1], 0, v[206:207]
	s_and_b64 s[0:1], vcc, s[0:1]
	s_and_saveexec_b64 s[16:17], s[0:1]
	s_xor_b64 s[0:1], exec, s[16:17]
; %bb.528:
	v_cmp_ne_u32_e32 vcc, 0, v218
	s_nop 1
	v_cndmask_b32_e32 v218, 26, v218, vcc
; %bb.529:
	s_andn2_saveexec_b64 s[0:1], s[0:1]
	s_cbranch_execz .LBB100_535
; %bb.530:
	v_cmp_ngt_f64_e64 s[16:17], |v[204:205]|, |v[206:207]|
	s_and_saveexec_b64 s[18:19], s[16:17]
	s_xor_b64 s[16:17], exec, s[18:19]
	s_cbranch_execz .LBB100_532
; %bb.531:
	v_div_scale_f64 v[220:221], s[18:19], v[206:207], v[206:207], v[204:205]
	v_rcp_f64_e32 v[222:223], v[220:221]
	v_div_scale_f64 v[224:225], vcc, v[204:205], v[206:207], v[204:205]
	v_fma_f64 v[226:227], -v[220:221], v[222:223], 1.0
	v_fmac_f64_e32 v[222:223], v[222:223], v[226:227]
	v_fma_f64 v[226:227], -v[220:221], v[222:223], 1.0
	v_fmac_f64_e32 v[222:223], v[222:223], v[226:227]
	v_mul_f64 v[226:227], v[224:225], v[222:223]
	v_fma_f64 v[220:221], -v[220:221], v[226:227], v[224:225]
	v_div_fmas_f64 v[220:221], v[220:221], v[222:223], v[226:227]
	v_div_fixup_f64 v[220:221], v[220:221], v[206:207], v[204:205]
	v_fmac_f64_e32 v[206:207], v[204:205], v[220:221]
	v_div_scale_f64 v[204:205], s[18:19], v[206:207], v[206:207], 1.0
	v_rcp_f64_e32 v[222:223], v[204:205]
	s_nop 0
	v_fma_f64 v[224:225], -v[204:205], v[222:223], 1.0
	v_fmac_f64_e32 v[222:223], v[222:223], v[224:225]
	v_fma_f64 v[224:225], -v[204:205], v[222:223], 1.0
	v_fmac_f64_e32 v[222:223], v[222:223], v[224:225]
	v_div_scale_f64 v[224:225], vcc, 1.0, v[206:207], 1.0
	v_mul_f64 v[226:227], v[224:225], v[222:223]
	v_fma_f64 v[204:205], -v[204:205], v[226:227], v[224:225]
	s_nop 1
	v_div_fmas_f64 v[204:205], v[204:205], v[222:223], v[226:227]
	v_div_fixup_f64 v[206:207], v[204:205], v[206:207], 1.0
	v_mul_f64 v[204:205], v[220:221], v[206:207]
	v_xor_b32_e32 v207, 0x80000000, v207
.LBB100_532:
	s_andn2_saveexec_b64 s[16:17], s[16:17]
	s_cbranch_execz .LBB100_534
; %bb.533:
	v_div_scale_f64 v[220:221], s[18:19], v[204:205], v[204:205], v[206:207]
	v_rcp_f64_e32 v[222:223], v[220:221]
	v_div_scale_f64 v[224:225], vcc, v[206:207], v[204:205], v[206:207]
	v_fma_f64 v[226:227], -v[220:221], v[222:223], 1.0
	v_fmac_f64_e32 v[222:223], v[222:223], v[226:227]
	v_fma_f64 v[226:227], -v[220:221], v[222:223], 1.0
	v_fmac_f64_e32 v[222:223], v[222:223], v[226:227]
	v_mul_f64 v[226:227], v[224:225], v[222:223]
	v_fma_f64 v[220:221], -v[220:221], v[226:227], v[224:225]
	v_div_fmas_f64 v[220:221], v[220:221], v[222:223], v[226:227]
	v_div_fixup_f64 v[220:221], v[220:221], v[204:205], v[206:207]
	v_fmac_f64_e32 v[204:205], v[206:207], v[220:221]
	v_div_scale_f64 v[206:207], s[18:19], v[204:205], v[204:205], 1.0
	v_rcp_f64_e32 v[222:223], v[206:207]
	s_nop 0
	v_fma_f64 v[224:225], -v[206:207], v[222:223], 1.0
	v_fmac_f64_e32 v[222:223], v[222:223], v[224:225]
	v_fma_f64 v[224:225], -v[206:207], v[222:223], 1.0
	v_fmac_f64_e32 v[222:223], v[222:223], v[224:225]
	v_div_scale_f64 v[224:225], vcc, 1.0, v[204:205], 1.0
	v_mul_f64 v[226:227], v[224:225], v[222:223]
	v_fma_f64 v[206:207], -v[206:207], v[226:227], v[224:225]
	s_nop 1
	v_div_fmas_f64 v[206:207], v[206:207], v[222:223], v[226:227]
	v_div_fixup_f64 v[204:205], v[206:207], v[204:205], 1.0
	v_mul_f64 v[206:207], v[220:221], -v[204:205]
.LBB100_534:
	s_or_b64 exec, exec, s[16:17]
.LBB100_535:
	s_or_b64 exec, exec, s[0:1]
	v_cmp_ne_u32_e32 vcc, v217, v214
	s_and_saveexec_b64 s[0:1], vcc
	s_xor_b64 s[0:1], exec, s[0:1]
	s_cbranch_execz .LBB100_541
; %bb.536:
	v_cmp_eq_u32_e32 vcc, 25, v217
	s_and_saveexec_b64 s[16:17], vcc
	s_cbranch_execz .LBB100_540
; %bb.537:
	v_cmp_ne_u32_e32 vcc, 25, v214
	s_xor_b64 s[18:19], s[14:15], -1
	s_and_b64 s[22:23], s[18:19], vcc
	s_and_saveexec_b64 s[18:19], s[22:23]
	s_cbranch_execz .LBB100_539
; %bb.538:
	v_ashrrev_i32_e32 v215, 31, v214
	v_lshl_add_u64 v[220:221], v[214:215], 2, v[212:213]
	global_load_dword v215, v[220:221], off
	global_load_dword v217, v[212:213], off offset:100
	s_waitcnt vmcnt(1)
	global_store_dword v[212:213], v215, off offset:100
	s_waitcnt vmcnt(1)
	global_store_dword v[220:221], v217, off
.LBB100_539:
	s_or_b64 exec, exec, s[18:19]
	v_mov_b32_e32 v217, v214
	v_mov_b32_e32 v219, v214
.LBB100_540:
	s_or_b64 exec, exec, s[16:17]
.LBB100_541:
	s_andn2_saveexec_b64 s[0:1], s[0:1]
	s_cbranch_execz .LBB100_543
; %bb.542:
	v_mov_b32_e32 v217, 25
	s_waitcnt vmcnt(24)
	ds_write2_b64 v216, v[92:93], v[94:95] offset0:52 offset1:53
	s_waitcnt vmcnt(23)
	ds_write2_b64 v216, v[88:89], v[90:91] offset0:54 offset1:55
	;; [unrolled: 2-line block ×25, first 2 shown]
.LBB100_543:
	s_or_b64 exec, exec, s[0:1]
	v_cmp_lt_i32_e32 vcc, 25, v217
	s_waitcnt lgkmcnt(0)
	s_barrier
	s_and_saveexec_b64 s[0:1], vcc
	s_cbranch_execz .LBB100_545
; %bb.544:
	ds_read2_b64 v[220:223], v216 offset0:52 offset1:53
	v_mul_f64 v[214:215], v[206:207], v[98:99]
	v_mul_f64 v[98:99], v[204:205], v[98:99]
	v_fmac_f64_e32 v[98:99], v[206:207], v[96:97]
	v_fma_f64 v[214:215], v[204:205], v[96:97], -v[214:215]
	ds_read2_b64 v[204:207], v216 offset0:54 offset1:55
	s_waitcnt lgkmcnt(1)
	v_mul_f64 v[96:97], v[222:223], v[98:99]
	v_fma_f64 v[96:97], v[220:221], v[214:215], -v[96:97]
	v_mul_f64 v[220:221], v[220:221], v[98:99]
	v_fmac_f64_e32 v[220:221], v[222:223], v[214:215]
	s_waitcnt vmcnt(24)
	v_add_f64 v[94:95], v[94:95], -v[220:221]
	ds_read2_b64 v[220:223], v216 offset0:56 offset1:57
	v_add_f64 v[92:93], v[92:93], -v[96:97]
	s_waitcnt lgkmcnt(1)
	v_mul_f64 v[96:97], v[206:207], v[98:99]
	v_fma_f64 v[96:97], v[204:205], v[214:215], -v[96:97]
	v_mul_f64 v[204:205], v[204:205], v[98:99]
	v_fmac_f64_e32 v[204:205], v[206:207], v[214:215]
	s_waitcnt vmcnt(23)
	v_add_f64 v[88:89], v[88:89], -v[96:97]
	v_add_f64 v[90:91], v[90:91], -v[204:205]
	ds_read2_b64 v[204:207], v216 offset0:58 offset1:59
	s_waitcnt lgkmcnt(1)
	v_mul_f64 v[96:97], v[222:223], v[98:99]
	v_fma_f64 v[96:97], v[220:221], v[214:215], -v[96:97]
	v_mul_f64 v[220:221], v[220:221], v[98:99]
	v_fmac_f64_e32 v[220:221], v[222:223], v[214:215]
	s_waitcnt vmcnt(22)
	v_add_f64 v[86:87], v[86:87], -v[220:221]
	ds_read2_b64 v[220:223], v216 offset0:60 offset1:61
	v_add_f64 v[84:85], v[84:85], -v[96:97]
	s_waitcnt lgkmcnt(1)
	v_mul_f64 v[96:97], v[206:207], v[98:99]
	v_fma_f64 v[96:97], v[204:205], v[214:215], -v[96:97]
	v_mul_f64 v[204:205], v[204:205], v[98:99]
	v_fmac_f64_e32 v[204:205], v[206:207], v[214:215]
	s_waitcnt vmcnt(21)
	v_add_f64 v[80:81], v[80:81], -v[96:97]
	v_add_f64 v[82:83], v[82:83], -v[204:205]
	;; [unrolled: 18-line block ×12, first 2 shown]
	s_waitcnt lgkmcnt(0)
	v_mul_f64 v[96:97], v[222:223], v[98:99]
	v_mul_f64 v[204:205], v[220:221], v[98:99]
	v_fma_f64 v[96:97], v[220:221], v[214:215], -v[96:97]
	v_fmac_f64_e32 v[204:205], v[222:223], v[214:215]
	s_waitcnt vmcnt(0)
	v_add_f64 v[200:201], v[200:201], -v[96:97]
	v_add_f64 v[202:203], v[202:203], -v[204:205]
	v_mov_b64_e32 v[96:97], v[214:215]
.LBB100_545:
	s_or_b64 exec, exec, s[0:1]
	v_lshl_add_u32 v204, v217, 4, v216
	s_barrier
	s_waitcnt vmcnt(24)
	ds_write2_b64 v204, v[92:93], v[94:95] offset1:1
	s_waitcnt lgkmcnt(0)
	s_barrier
	ds_read2_b64 v[204:207], v216 offset0:52 offset1:53
	s_cmp_lt_i32 s20, 28
	v_mov_b32_e32 v214, 26
	s_cbranch_scc1 .LBB100_548
; %bb.546:
	v_add_u32_e32 v215, 0x1b0, v216
	s_mov_b32 s16, 27
	v_mov_b32_e32 v214, 26
.LBB100_547:                            ; =>This Inner Loop Header: Depth=1
	ds_read2_b64 v[220:223], v215 offset1:1
	s_waitcnt lgkmcnt(1)
	v_xor_b32_e32 v225, 0x80000000, v205
	v_xor_b32_e32 v227, 0x80000000, v207
	v_cmp_gt_f64_e32 vcc, 0, v[206:207]
	v_cmp_gt_f64_e64 s[0:1], 0, v[204:205]
	v_mov_b32_e32 v224, v204
	v_mov_b32_e32 v226, v206
	v_cndmask_b32_e64 v225, v205, v225, s[0:1]
	v_cndmask_b32_e32 v227, v207, v227, vcc
	v_add_f64 v[224:225], v[224:225], v[226:227]
	s_waitcnt lgkmcnt(0)
	v_xor_b32_e32 v227, 0x80000000, v221
	v_xor_b32_e32 v229, 0x80000000, v223
	v_cmp_gt_f64_e32 vcc, 0, v[222:223]
	v_cmp_gt_f64_e64 s[0:1], 0, v[220:221]
	v_mov_b32_e32 v226, v220
	v_mov_b32_e32 v228, v222
	v_cndmask_b32_e64 v227, v221, v227, s[0:1]
	v_cndmask_b32_e32 v229, v223, v229, vcc
	v_add_f64 v[226:227], v[226:227], v[228:229]
	v_mov_b32_e32 v230, s16
	s_add_i32 s16, s16, 1
	v_cmp_lt_f64_e32 vcc, v[224:225], v[226:227]
	v_add_u32_e32 v215, 16, v215
	s_cmp_lg_u32 s20, s16
	v_cndmask_b32_e32 v205, v205, v221, vcc
	v_cndmask_b32_e32 v204, v204, v220, vcc
	;; [unrolled: 1-line block ×5, first 2 shown]
	s_cbranch_scc1 .LBB100_547
.LBB100_548:
	s_waitcnt lgkmcnt(0)
	v_cmp_eq_f64_e32 vcc, 0, v[204:205]
	v_cmp_eq_f64_e64 s[0:1], 0, v[206:207]
	s_and_b64 s[0:1], vcc, s[0:1]
	s_and_saveexec_b64 s[16:17], s[0:1]
	s_xor_b64 s[0:1], exec, s[16:17]
; %bb.549:
	v_cmp_ne_u32_e32 vcc, 0, v218
	s_nop 1
	v_cndmask_b32_e32 v218, 27, v218, vcc
; %bb.550:
	s_andn2_saveexec_b64 s[0:1], s[0:1]
	s_cbranch_execz .LBB100_556
; %bb.551:
	v_cmp_ngt_f64_e64 s[16:17], |v[204:205]|, |v[206:207]|
	s_and_saveexec_b64 s[18:19], s[16:17]
	s_xor_b64 s[16:17], exec, s[18:19]
	s_cbranch_execz .LBB100_553
; %bb.552:
	v_div_scale_f64 v[220:221], s[18:19], v[206:207], v[206:207], v[204:205]
	v_rcp_f64_e32 v[222:223], v[220:221]
	v_div_scale_f64 v[224:225], vcc, v[204:205], v[206:207], v[204:205]
	v_fma_f64 v[226:227], -v[220:221], v[222:223], 1.0
	v_fmac_f64_e32 v[222:223], v[222:223], v[226:227]
	v_fma_f64 v[226:227], -v[220:221], v[222:223], 1.0
	v_fmac_f64_e32 v[222:223], v[222:223], v[226:227]
	v_mul_f64 v[226:227], v[224:225], v[222:223]
	v_fma_f64 v[220:221], -v[220:221], v[226:227], v[224:225]
	v_div_fmas_f64 v[220:221], v[220:221], v[222:223], v[226:227]
	v_div_fixup_f64 v[220:221], v[220:221], v[206:207], v[204:205]
	v_fmac_f64_e32 v[206:207], v[204:205], v[220:221]
	v_div_scale_f64 v[204:205], s[18:19], v[206:207], v[206:207], 1.0
	v_rcp_f64_e32 v[222:223], v[204:205]
	s_nop 0
	v_fma_f64 v[224:225], -v[204:205], v[222:223], 1.0
	v_fmac_f64_e32 v[222:223], v[222:223], v[224:225]
	v_fma_f64 v[224:225], -v[204:205], v[222:223], 1.0
	v_fmac_f64_e32 v[222:223], v[222:223], v[224:225]
	v_div_scale_f64 v[224:225], vcc, 1.0, v[206:207], 1.0
	v_mul_f64 v[226:227], v[224:225], v[222:223]
	v_fma_f64 v[204:205], -v[204:205], v[226:227], v[224:225]
	s_nop 1
	v_div_fmas_f64 v[204:205], v[204:205], v[222:223], v[226:227]
	v_div_fixup_f64 v[206:207], v[204:205], v[206:207], 1.0
	v_mul_f64 v[204:205], v[220:221], v[206:207]
	v_xor_b32_e32 v207, 0x80000000, v207
.LBB100_553:
	s_andn2_saveexec_b64 s[16:17], s[16:17]
	s_cbranch_execz .LBB100_555
; %bb.554:
	v_div_scale_f64 v[220:221], s[18:19], v[204:205], v[204:205], v[206:207]
	v_rcp_f64_e32 v[222:223], v[220:221]
	v_div_scale_f64 v[224:225], vcc, v[206:207], v[204:205], v[206:207]
	v_fma_f64 v[226:227], -v[220:221], v[222:223], 1.0
	v_fmac_f64_e32 v[222:223], v[222:223], v[226:227]
	v_fma_f64 v[226:227], -v[220:221], v[222:223], 1.0
	v_fmac_f64_e32 v[222:223], v[222:223], v[226:227]
	v_mul_f64 v[226:227], v[224:225], v[222:223]
	v_fma_f64 v[220:221], -v[220:221], v[226:227], v[224:225]
	v_div_fmas_f64 v[220:221], v[220:221], v[222:223], v[226:227]
	v_div_fixup_f64 v[220:221], v[220:221], v[204:205], v[206:207]
	v_fmac_f64_e32 v[204:205], v[206:207], v[220:221]
	v_div_scale_f64 v[206:207], s[18:19], v[204:205], v[204:205], 1.0
	v_rcp_f64_e32 v[222:223], v[206:207]
	s_nop 0
	v_fma_f64 v[224:225], -v[206:207], v[222:223], 1.0
	v_fmac_f64_e32 v[222:223], v[222:223], v[224:225]
	v_fma_f64 v[224:225], -v[206:207], v[222:223], 1.0
	v_fmac_f64_e32 v[222:223], v[222:223], v[224:225]
	v_div_scale_f64 v[224:225], vcc, 1.0, v[204:205], 1.0
	v_mul_f64 v[226:227], v[224:225], v[222:223]
	v_fma_f64 v[206:207], -v[206:207], v[226:227], v[224:225]
	s_nop 1
	v_div_fmas_f64 v[206:207], v[206:207], v[222:223], v[226:227]
	v_div_fixup_f64 v[204:205], v[206:207], v[204:205], 1.0
	v_mul_f64 v[206:207], v[220:221], -v[204:205]
.LBB100_555:
	s_or_b64 exec, exec, s[16:17]
.LBB100_556:
	s_or_b64 exec, exec, s[0:1]
	v_cmp_ne_u32_e32 vcc, v217, v214
	s_and_saveexec_b64 s[0:1], vcc
	s_xor_b64 s[0:1], exec, s[0:1]
	s_cbranch_execz .LBB100_562
; %bb.557:
	v_cmp_eq_u32_e32 vcc, 26, v217
	s_and_saveexec_b64 s[16:17], vcc
	s_cbranch_execz .LBB100_561
; %bb.558:
	v_cmp_ne_u32_e32 vcc, 26, v214
	s_xor_b64 s[18:19], s[14:15], -1
	s_and_b64 s[22:23], s[18:19], vcc
	s_and_saveexec_b64 s[18:19], s[22:23]
	s_cbranch_execz .LBB100_560
; %bb.559:
	v_ashrrev_i32_e32 v215, 31, v214
	v_lshl_add_u64 v[220:221], v[214:215], 2, v[212:213]
	global_load_dword v215, v[220:221], off
	global_load_dword v217, v[212:213], off offset:104
	s_waitcnt vmcnt(1)
	global_store_dword v[212:213], v215, off offset:104
	s_waitcnt vmcnt(1)
	global_store_dword v[220:221], v217, off
.LBB100_560:
	s_or_b64 exec, exec, s[18:19]
	v_mov_b32_e32 v217, v214
	v_mov_b32_e32 v219, v214
.LBB100_561:
	s_or_b64 exec, exec, s[16:17]
.LBB100_562:
	s_andn2_saveexec_b64 s[0:1], s[0:1]
	s_cbranch_execz .LBB100_564
; %bb.563:
	v_mov_b32_e32 v217, 26
	s_waitcnt vmcnt(23)
	ds_write2_b64 v216, v[88:89], v[90:91] offset0:54 offset1:55
	s_waitcnt vmcnt(22)
	ds_write2_b64 v216, v[84:85], v[86:87] offset0:56 offset1:57
	;; [unrolled: 2-line block ×24, first 2 shown]
.LBB100_564:
	s_or_b64 exec, exec, s[0:1]
	v_cmp_lt_i32_e32 vcc, 26, v217
	s_waitcnt lgkmcnt(0)
	s_barrier
	s_and_saveexec_b64 s[0:1], vcc
	s_cbranch_execz .LBB100_566
; %bb.565:
	ds_read2_b64 v[220:223], v216 offset0:54 offset1:55
	v_mul_f64 v[214:215], v[206:207], v[94:95]
	v_mul_f64 v[94:95], v[204:205], v[94:95]
	v_fma_f64 v[214:215], v[204:205], v[92:93], -v[214:215]
	v_fmac_f64_e32 v[94:95], v[206:207], v[92:93]
	ds_read2_b64 v[204:207], v216 offset0:56 offset1:57
	s_waitcnt lgkmcnt(1)
	v_mul_f64 v[92:93], v[222:223], v[94:95]
	v_fma_f64 v[92:93], v[220:221], v[214:215], -v[92:93]
	v_mul_f64 v[220:221], v[220:221], v[94:95]
	v_fmac_f64_e32 v[220:221], v[222:223], v[214:215]
	s_waitcnt vmcnt(23)
	v_add_f64 v[88:89], v[88:89], -v[92:93]
	s_waitcnt lgkmcnt(0)
	v_mul_f64 v[92:93], v[206:207], v[94:95]
	v_add_f64 v[90:91], v[90:91], -v[220:221]
	v_fma_f64 v[92:93], v[204:205], v[214:215], -v[92:93]
	v_mul_f64 v[204:205], v[204:205], v[94:95]
	ds_read2_b64 v[220:223], v216 offset0:58 offset1:59
	v_fmac_f64_e32 v[204:205], v[206:207], v[214:215]
	s_waitcnt vmcnt(22)
	v_add_f64 v[86:87], v[86:87], -v[204:205]
	ds_read2_b64 v[204:207], v216 offset0:60 offset1:61
	v_add_f64 v[84:85], v[84:85], -v[92:93]
	s_waitcnt lgkmcnt(1)
	v_mul_f64 v[92:93], v[222:223], v[94:95]
	v_fma_f64 v[92:93], v[220:221], v[214:215], -v[92:93]
	v_mul_f64 v[220:221], v[220:221], v[94:95]
	v_fmac_f64_e32 v[220:221], v[222:223], v[214:215]
	s_waitcnt vmcnt(21)
	v_add_f64 v[80:81], v[80:81], -v[92:93]
	s_waitcnt lgkmcnt(0)
	v_mul_f64 v[92:93], v[206:207], v[94:95]
	v_add_f64 v[82:83], v[82:83], -v[220:221]
	v_fma_f64 v[92:93], v[204:205], v[214:215], -v[92:93]
	v_mul_f64 v[204:205], v[204:205], v[94:95]
	ds_read2_b64 v[220:223], v216 offset0:62 offset1:63
	v_fmac_f64_e32 v[204:205], v[206:207], v[214:215]
	s_waitcnt vmcnt(20)
	v_add_f64 v[78:79], v[78:79], -v[204:205]
	ds_read2_b64 v[204:207], v216 offset0:64 offset1:65
	v_add_f64 v[76:77], v[76:77], -v[92:93]
	;; [unrolled: 18-line block ×11, first 2 shown]
	s_waitcnt lgkmcnt(1)
	v_mul_f64 v[92:93], v[222:223], v[94:95]
	v_fma_f64 v[92:93], v[220:221], v[214:215], -v[92:93]
	s_waitcnt vmcnt(1)
	v_add_f64 v[0:1], v[0:1], -v[92:93]
	s_waitcnt lgkmcnt(0)
	v_mul_f64 v[92:93], v[206:207], v[94:95]
	v_mul_f64 v[220:221], v[220:221], v[94:95]
	v_fma_f64 v[92:93], v[204:205], v[214:215], -v[92:93]
	v_mul_f64 v[204:205], v[204:205], v[94:95]
	v_fmac_f64_e32 v[220:221], v[222:223], v[214:215]
	v_fmac_f64_e32 v[204:205], v[206:207], v[214:215]
	v_add_f64 v[2:3], v[2:3], -v[220:221]
	s_waitcnt vmcnt(0)
	v_add_f64 v[200:201], v[200:201], -v[92:93]
	v_add_f64 v[202:203], v[202:203], -v[204:205]
	v_mov_b64_e32 v[92:93], v[214:215]
.LBB100_566:
	s_or_b64 exec, exec, s[0:1]
	v_lshl_add_u32 v204, v217, 4, v216
	s_barrier
	s_waitcnt vmcnt(23)
	ds_write2_b64 v204, v[88:89], v[90:91] offset1:1
	s_waitcnt lgkmcnt(0)
	s_barrier
	ds_read2_b64 v[204:207], v216 offset0:54 offset1:55
	s_cmp_lt_i32 s20, 29
	v_mov_b32_e32 v214, 27
	s_cbranch_scc1 .LBB100_569
; %bb.567:
	v_add_u32_e32 v215, 0x1c0, v216
	s_mov_b32 s16, 28
	v_mov_b32_e32 v214, 27
.LBB100_568:                            ; =>This Inner Loop Header: Depth=1
	ds_read2_b64 v[220:223], v215 offset1:1
	s_waitcnt lgkmcnt(1)
	v_xor_b32_e32 v225, 0x80000000, v205
	v_xor_b32_e32 v227, 0x80000000, v207
	v_cmp_gt_f64_e32 vcc, 0, v[206:207]
	v_cmp_gt_f64_e64 s[0:1], 0, v[204:205]
	v_mov_b32_e32 v224, v204
	v_mov_b32_e32 v226, v206
	v_cndmask_b32_e64 v225, v205, v225, s[0:1]
	v_cndmask_b32_e32 v227, v207, v227, vcc
	v_add_f64 v[224:225], v[224:225], v[226:227]
	s_waitcnt lgkmcnt(0)
	v_xor_b32_e32 v227, 0x80000000, v221
	v_xor_b32_e32 v229, 0x80000000, v223
	v_cmp_gt_f64_e32 vcc, 0, v[222:223]
	v_cmp_gt_f64_e64 s[0:1], 0, v[220:221]
	v_mov_b32_e32 v226, v220
	v_mov_b32_e32 v228, v222
	v_cndmask_b32_e64 v227, v221, v227, s[0:1]
	v_cndmask_b32_e32 v229, v223, v229, vcc
	v_add_f64 v[226:227], v[226:227], v[228:229]
	v_mov_b32_e32 v230, s16
	s_add_i32 s16, s16, 1
	v_cmp_lt_f64_e32 vcc, v[224:225], v[226:227]
	v_add_u32_e32 v215, 16, v215
	s_cmp_lg_u32 s20, s16
	v_cndmask_b32_e32 v205, v205, v221, vcc
	v_cndmask_b32_e32 v204, v204, v220, vcc
	v_cndmask_b32_e32 v207, v207, v223, vcc
	v_cndmask_b32_e32 v206, v206, v222, vcc
	v_cndmask_b32_e32 v214, v214, v230, vcc
	s_cbranch_scc1 .LBB100_568
.LBB100_569:
	s_waitcnt lgkmcnt(0)
	v_cmp_eq_f64_e32 vcc, 0, v[204:205]
	v_cmp_eq_f64_e64 s[0:1], 0, v[206:207]
	s_and_b64 s[0:1], vcc, s[0:1]
	s_and_saveexec_b64 s[16:17], s[0:1]
	s_xor_b64 s[0:1], exec, s[16:17]
; %bb.570:
	v_cmp_ne_u32_e32 vcc, 0, v218
	s_nop 1
	v_cndmask_b32_e32 v218, 28, v218, vcc
; %bb.571:
	s_andn2_saveexec_b64 s[0:1], s[0:1]
	s_cbranch_execz .LBB100_577
; %bb.572:
	v_cmp_ngt_f64_e64 s[16:17], |v[204:205]|, |v[206:207]|
	s_and_saveexec_b64 s[18:19], s[16:17]
	s_xor_b64 s[16:17], exec, s[18:19]
	s_cbranch_execz .LBB100_574
; %bb.573:
	v_div_scale_f64 v[220:221], s[18:19], v[206:207], v[206:207], v[204:205]
	v_rcp_f64_e32 v[222:223], v[220:221]
	v_div_scale_f64 v[224:225], vcc, v[204:205], v[206:207], v[204:205]
	v_fma_f64 v[226:227], -v[220:221], v[222:223], 1.0
	v_fmac_f64_e32 v[222:223], v[222:223], v[226:227]
	v_fma_f64 v[226:227], -v[220:221], v[222:223], 1.0
	v_fmac_f64_e32 v[222:223], v[222:223], v[226:227]
	v_mul_f64 v[226:227], v[224:225], v[222:223]
	v_fma_f64 v[220:221], -v[220:221], v[226:227], v[224:225]
	v_div_fmas_f64 v[220:221], v[220:221], v[222:223], v[226:227]
	v_div_fixup_f64 v[220:221], v[220:221], v[206:207], v[204:205]
	v_fmac_f64_e32 v[206:207], v[204:205], v[220:221]
	v_div_scale_f64 v[204:205], s[18:19], v[206:207], v[206:207], 1.0
	v_rcp_f64_e32 v[222:223], v[204:205]
	s_nop 0
	v_fma_f64 v[224:225], -v[204:205], v[222:223], 1.0
	v_fmac_f64_e32 v[222:223], v[222:223], v[224:225]
	v_fma_f64 v[224:225], -v[204:205], v[222:223], 1.0
	v_fmac_f64_e32 v[222:223], v[222:223], v[224:225]
	v_div_scale_f64 v[224:225], vcc, 1.0, v[206:207], 1.0
	v_mul_f64 v[226:227], v[224:225], v[222:223]
	v_fma_f64 v[204:205], -v[204:205], v[226:227], v[224:225]
	s_nop 1
	v_div_fmas_f64 v[204:205], v[204:205], v[222:223], v[226:227]
	v_div_fixup_f64 v[206:207], v[204:205], v[206:207], 1.0
	v_mul_f64 v[204:205], v[220:221], v[206:207]
	v_xor_b32_e32 v207, 0x80000000, v207
.LBB100_574:
	s_andn2_saveexec_b64 s[16:17], s[16:17]
	s_cbranch_execz .LBB100_576
; %bb.575:
	v_div_scale_f64 v[220:221], s[18:19], v[204:205], v[204:205], v[206:207]
	v_rcp_f64_e32 v[222:223], v[220:221]
	v_div_scale_f64 v[224:225], vcc, v[206:207], v[204:205], v[206:207]
	v_fma_f64 v[226:227], -v[220:221], v[222:223], 1.0
	v_fmac_f64_e32 v[222:223], v[222:223], v[226:227]
	v_fma_f64 v[226:227], -v[220:221], v[222:223], 1.0
	v_fmac_f64_e32 v[222:223], v[222:223], v[226:227]
	v_mul_f64 v[226:227], v[224:225], v[222:223]
	v_fma_f64 v[220:221], -v[220:221], v[226:227], v[224:225]
	v_div_fmas_f64 v[220:221], v[220:221], v[222:223], v[226:227]
	v_div_fixup_f64 v[220:221], v[220:221], v[204:205], v[206:207]
	v_fmac_f64_e32 v[204:205], v[206:207], v[220:221]
	v_div_scale_f64 v[206:207], s[18:19], v[204:205], v[204:205], 1.0
	v_rcp_f64_e32 v[222:223], v[206:207]
	s_nop 0
	v_fma_f64 v[224:225], -v[206:207], v[222:223], 1.0
	v_fmac_f64_e32 v[222:223], v[222:223], v[224:225]
	v_fma_f64 v[224:225], -v[206:207], v[222:223], 1.0
	v_fmac_f64_e32 v[222:223], v[222:223], v[224:225]
	v_div_scale_f64 v[224:225], vcc, 1.0, v[204:205], 1.0
	v_mul_f64 v[226:227], v[224:225], v[222:223]
	v_fma_f64 v[206:207], -v[206:207], v[226:227], v[224:225]
	s_nop 1
	v_div_fmas_f64 v[206:207], v[206:207], v[222:223], v[226:227]
	v_div_fixup_f64 v[204:205], v[206:207], v[204:205], 1.0
	v_mul_f64 v[206:207], v[220:221], -v[204:205]
.LBB100_576:
	s_or_b64 exec, exec, s[16:17]
.LBB100_577:
	s_or_b64 exec, exec, s[0:1]
	v_cmp_ne_u32_e32 vcc, v217, v214
	s_and_saveexec_b64 s[0:1], vcc
	s_xor_b64 s[0:1], exec, s[0:1]
	s_cbranch_execz .LBB100_583
; %bb.578:
	v_cmp_eq_u32_e32 vcc, 27, v217
	s_and_saveexec_b64 s[16:17], vcc
	s_cbranch_execz .LBB100_582
; %bb.579:
	v_cmp_ne_u32_e32 vcc, 27, v214
	s_xor_b64 s[18:19], s[14:15], -1
	s_and_b64 s[22:23], s[18:19], vcc
	s_and_saveexec_b64 s[18:19], s[22:23]
	s_cbranch_execz .LBB100_581
; %bb.580:
	v_ashrrev_i32_e32 v215, 31, v214
	v_lshl_add_u64 v[220:221], v[214:215], 2, v[212:213]
	global_load_dword v215, v[220:221], off
	global_load_dword v217, v[212:213], off offset:108
	s_waitcnt vmcnt(1)
	global_store_dword v[212:213], v215, off offset:108
	s_waitcnt vmcnt(1)
	global_store_dword v[220:221], v217, off
.LBB100_581:
	s_or_b64 exec, exec, s[18:19]
	v_mov_b32_e32 v217, v214
	v_mov_b32_e32 v219, v214
.LBB100_582:
	s_or_b64 exec, exec, s[16:17]
.LBB100_583:
	s_andn2_saveexec_b64 s[0:1], s[0:1]
	s_cbranch_execz .LBB100_585
; %bb.584:
	v_mov_b32_e32 v217, 27
	s_waitcnt vmcnt(22)
	ds_write2_b64 v216, v[84:85], v[86:87] offset0:56 offset1:57
	s_waitcnt vmcnt(21)
	ds_write2_b64 v216, v[80:81], v[82:83] offset0:58 offset1:59
	;; [unrolled: 2-line block ×23, first 2 shown]
.LBB100_585:
	s_or_b64 exec, exec, s[0:1]
	v_cmp_lt_i32_e32 vcc, 27, v217
	s_waitcnt lgkmcnt(0)
	s_barrier
	s_and_saveexec_b64 s[0:1], vcc
	s_cbranch_execz .LBB100_587
; %bb.586:
	ds_read2_b64 v[220:223], v216 offset0:56 offset1:57
	v_mul_f64 v[214:215], v[206:207], v[90:91]
	v_mul_f64 v[90:91], v[204:205], v[90:91]
	v_fmac_f64_e32 v[90:91], v[206:207], v[88:89]
	v_fma_f64 v[214:215], v[204:205], v[88:89], -v[214:215]
	ds_read2_b64 v[204:207], v216 offset0:58 offset1:59
	s_waitcnt lgkmcnt(1)
	v_mul_f64 v[88:89], v[222:223], v[90:91]
	v_fma_f64 v[88:89], v[220:221], v[214:215], -v[88:89]
	v_mul_f64 v[220:221], v[220:221], v[90:91]
	v_fmac_f64_e32 v[220:221], v[222:223], v[214:215]
	s_waitcnt vmcnt(22)
	v_add_f64 v[86:87], v[86:87], -v[220:221]
	ds_read2_b64 v[220:223], v216 offset0:60 offset1:61
	v_add_f64 v[84:85], v[84:85], -v[88:89]
	s_waitcnt lgkmcnt(1)
	v_mul_f64 v[88:89], v[206:207], v[90:91]
	v_fma_f64 v[88:89], v[204:205], v[214:215], -v[88:89]
	v_mul_f64 v[204:205], v[204:205], v[90:91]
	v_fmac_f64_e32 v[204:205], v[206:207], v[214:215]
	s_waitcnt vmcnt(21)
	v_add_f64 v[80:81], v[80:81], -v[88:89]
	v_add_f64 v[82:83], v[82:83], -v[204:205]
	ds_read2_b64 v[204:207], v216 offset0:62 offset1:63
	s_waitcnt lgkmcnt(1)
	v_mul_f64 v[88:89], v[222:223], v[90:91]
	v_fma_f64 v[88:89], v[220:221], v[214:215], -v[88:89]
	v_mul_f64 v[220:221], v[220:221], v[90:91]
	v_fmac_f64_e32 v[220:221], v[222:223], v[214:215]
	s_waitcnt vmcnt(20)
	v_add_f64 v[78:79], v[78:79], -v[220:221]
	ds_read2_b64 v[220:223], v216 offset0:64 offset1:65
	v_add_f64 v[76:77], v[76:77], -v[88:89]
	s_waitcnt lgkmcnt(1)
	v_mul_f64 v[88:89], v[206:207], v[90:91]
	v_fma_f64 v[88:89], v[204:205], v[214:215], -v[88:89]
	v_mul_f64 v[204:205], v[204:205], v[90:91]
	v_fmac_f64_e32 v[204:205], v[206:207], v[214:215]
	s_waitcnt vmcnt(19)
	v_add_f64 v[72:73], v[72:73], -v[88:89]
	v_add_f64 v[74:75], v[74:75], -v[204:205]
	;; [unrolled: 18-line block ×11, first 2 shown]
	s_waitcnt lgkmcnt(0)
	v_mul_f64 v[88:89], v[222:223], v[90:91]
	v_mul_f64 v[204:205], v[220:221], v[90:91]
	v_fma_f64 v[88:89], v[220:221], v[214:215], -v[88:89]
	v_fmac_f64_e32 v[204:205], v[222:223], v[214:215]
	s_waitcnt vmcnt(0)
	v_add_f64 v[200:201], v[200:201], -v[88:89]
	v_add_f64 v[202:203], v[202:203], -v[204:205]
	v_mov_b64_e32 v[88:89], v[214:215]
.LBB100_587:
	s_or_b64 exec, exec, s[0:1]
	v_lshl_add_u32 v204, v217, 4, v216
	s_barrier
	s_waitcnt vmcnt(22)
	ds_write2_b64 v204, v[84:85], v[86:87] offset1:1
	s_waitcnt lgkmcnt(0)
	s_barrier
	ds_read2_b64 v[204:207], v216 offset0:56 offset1:57
	s_cmp_lt_i32 s20, 30
	v_mov_b32_e32 v214, 28
	s_cbranch_scc1 .LBB100_590
; %bb.588:
	v_add_u32_e32 v215, 0x1d0, v216
	s_mov_b32 s16, 29
	v_mov_b32_e32 v214, 28
.LBB100_589:                            ; =>This Inner Loop Header: Depth=1
	ds_read2_b64 v[220:223], v215 offset1:1
	s_waitcnt lgkmcnt(1)
	v_xor_b32_e32 v225, 0x80000000, v205
	v_xor_b32_e32 v227, 0x80000000, v207
	v_cmp_gt_f64_e32 vcc, 0, v[206:207]
	v_cmp_gt_f64_e64 s[0:1], 0, v[204:205]
	v_mov_b32_e32 v224, v204
	v_mov_b32_e32 v226, v206
	v_cndmask_b32_e64 v225, v205, v225, s[0:1]
	v_cndmask_b32_e32 v227, v207, v227, vcc
	v_add_f64 v[224:225], v[224:225], v[226:227]
	s_waitcnt lgkmcnt(0)
	v_xor_b32_e32 v227, 0x80000000, v221
	v_xor_b32_e32 v229, 0x80000000, v223
	v_cmp_gt_f64_e32 vcc, 0, v[222:223]
	v_cmp_gt_f64_e64 s[0:1], 0, v[220:221]
	v_mov_b32_e32 v226, v220
	v_mov_b32_e32 v228, v222
	v_cndmask_b32_e64 v227, v221, v227, s[0:1]
	v_cndmask_b32_e32 v229, v223, v229, vcc
	v_add_f64 v[226:227], v[226:227], v[228:229]
	v_mov_b32_e32 v230, s16
	s_add_i32 s16, s16, 1
	v_cmp_lt_f64_e32 vcc, v[224:225], v[226:227]
	v_add_u32_e32 v215, 16, v215
	s_cmp_lg_u32 s20, s16
	v_cndmask_b32_e32 v205, v205, v221, vcc
	v_cndmask_b32_e32 v204, v204, v220, vcc
	;; [unrolled: 1-line block ×5, first 2 shown]
	s_cbranch_scc1 .LBB100_589
.LBB100_590:
	s_waitcnt lgkmcnt(0)
	v_cmp_eq_f64_e32 vcc, 0, v[204:205]
	v_cmp_eq_f64_e64 s[0:1], 0, v[206:207]
	s_and_b64 s[0:1], vcc, s[0:1]
	s_and_saveexec_b64 s[16:17], s[0:1]
	s_xor_b64 s[0:1], exec, s[16:17]
; %bb.591:
	v_cmp_ne_u32_e32 vcc, 0, v218
	s_nop 1
	v_cndmask_b32_e32 v218, 29, v218, vcc
; %bb.592:
	s_andn2_saveexec_b64 s[0:1], s[0:1]
	s_cbranch_execz .LBB100_598
; %bb.593:
	v_cmp_ngt_f64_e64 s[16:17], |v[204:205]|, |v[206:207]|
	s_and_saveexec_b64 s[18:19], s[16:17]
	s_xor_b64 s[16:17], exec, s[18:19]
	s_cbranch_execz .LBB100_595
; %bb.594:
	v_div_scale_f64 v[220:221], s[18:19], v[206:207], v[206:207], v[204:205]
	v_rcp_f64_e32 v[222:223], v[220:221]
	v_div_scale_f64 v[224:225], vcc, v[204:205], v[206:207], v[204:205]
	v_fma_f64 v[226:227], -v[220:221], v[222:223], 1.0
	v_fmac_f64_e32 v[222:223], v[222:223], v[226:227]
	v_fma_f64 v[226:227], -v[220:221], v[222:223], 1.0
	v_fmac_f64_e32 v[222:223], v[222:223], v[226:227]
	v_mul_f64 v[226:227], v[224:225], v[222:223]
	v_fma_f64 v[220:221], -v[220:221], v[226:227], v[224:225]
	v_div_fmas_f64 v[220:221], v[220:221], v[222:223], v[226:227]
	v_div_fixup_f64 v[220:221], v[220:221], v[206:207], v[204:205]
	v_fmac_f64_e32 v[206:207], v[204:205], v[220:221]
	v_div_scale_f64 v[204:205], s[18:19], v[206:207], v[206:207], 1.0
	v_rcp_f64_e32 v[222:223], v[204:205]
	s_nop 0
	v_fma_f64 v[224:225], -v[204:205], v[222:223], 1.0
	v_fmac_f64_e32 v[222:223], v[222:223], v[224:225]
	v_fma_f64 v[224:225], -v[204:205], v[222:223], 1.0
	v_fmac_f64_e32 v[222:223], v[222:223], v[224:225]
	v_div_scale_f64 v[224:225], vcc, 1.0, v[206:207], 1.0
	v_mul_f64 v[226:227], v[224:225], v[222:223]
	v_fma_f64 v[204:205], -v[204:205], v[226:227], v[224:225]
	s_nop 1
	v_div_fmas_f64 v[204:205], v[204:205], v[222:223], v[226:227]
	v_div_fixup_f64 v[206:207], v[204:205], v[206:207], 1.0
	v_mul_f64 v[204:205], v[220:221], v[206:207]
	v_xor_b32_e32 v207, 0x80000000, v207
.LBB100_595:
	s_andn2_saveexec_b64 s[16:17], s[16:17]
	s_cbranch_execz .LBB100_597
; %bb.596:
	v_div_scale_f64 v[220:221], s[18:19], v[204:205], v[204:205], v[206:207]
	v_rcp_f64_e32 v[222:223], v[220:221]
	v_div_scale_f64 v[224:225], vcc, v[206:207], v[204:205], v[206:207]
	v_fma_f64 v[226:227], -v[220:221], v[222:223], 1.0
	v_fmac_f64_e32 v[222:223], v[222:223], v[226:227]
	v_fma_f64 v[226:227], -v[220:221], v[222:223], 1.0
	v_fmac_f64_e32 v[222:223], v[222:223], v[226:227]
	v_mul_f64 v[226:227], v[224:225], v[222:223]
	v_fma_f64 v[220:221], -v[220:221], v[226:227], v[224:225]
	v_div_fmas_f64 v[220:221], v[220:221], v[222:223], v[226:227]
	v_div_fixup_f64 v[220:221], v[220:221], v[204:205], v[206:207]
	v_fmac_f64_e32 v[204:205], v[206:207], v[220:221]
	v_div_scale_f64 v[206:207], s[18:19], v[204:205], v[204:205], 1.0
	v_rcp_f64_e32 v[222:223], v[206:207]
	s_nop 0
	v_fma_f64 v[224:225], -v[206:207], v[222:223], 1.0
	v_fmac_f64_e32 v[222:223], v[222:223], v[224:225]
	v_fma_f64 v[224:225], -v[206:207], v[222:223], 1.0
	v_fmac_f64_e32 v[222:223], v[222:223], v[224:225]
	v_div_scale_f64 v[224:225], vcc, 1.0, v[204:205], 1.0
	v_mul_f64 v[226:227], v[224:225], v[222:223]
	v_fma_f64 v[206:207], -v[206:207], v[226:227], v[224:225]
	s_nop 1
	v_div_fmas_f64 v[206:207], v[206:207], v[222:223], v[226:227]
	v_div_fixup_f64 v[204:205], v[206:207], v[204:205], 1.0
	v_mul_f64 v[206:207], v[220:221], -v[204:205]
.LBB100_597:
	s_or_b64 exec, exec, s[16:17]
.LBB100_598:
	s_or_b64 exec, exec, s[0:1]
	v_cmp_ne_u32_e32 vcc, v217, v214
	s_and_saveexec_b64 s[0:1], vcc
	s_xor_b64 s[0:1], exec, s[0:1]
	s_cbranch_execz .LBB100_604
; %bb.599:
	v_cmp_eq_u32_e32 vcc, 28, v217
	s_and_saveexec_b64 s[16:17], vcc
	s_cbranch_execz .LBB100_603
; %bb.600:
	v_cmp_ne_u32_e32 vcc, 28, v214
	s_xor_b64 s[18:19], s[14:15], -1
	s_and_b64 s[22:23], s[18:19], vcc
	s_and_saveexec_b64 s[18:19], s[22:23]
	s_cbranch_execz .LBB100_602
; %bb.601:
	v_ashrrev_i32_e32 v215, 31, v214
	v_lshl_add_u64 v[220:221], v[214:215], 2, v[212:213]
	global_load_dword v215, v[220:221], off
	global_load_dword v217, v[212:213], off offset:112
	s_waitcnt vmcnt(1)
	global_store_dword v[212:213], v215, off offset:112
	s_waitcnt vmcnt(1)
	global_store_dword v[220:221], v217, off
.LBB100_602:
	s_or_b64 exec, exec, s[18:19]
	v_mov_b32_e32 v217, v214
	v_mov_b32_e32 v219, v214
.LBB100_603:
	s_or_b64 exec, exec, s[16:17]
.LBB100_604:
	s_andn2_saveexec_b64 s[0:1], s[0:1]
	s_cbranch_execz .LBB100_606
; %bb.605:
	v_mov_b32_e32 v217, 28
	s_waitcnt vmcnt(21)
	ds_write2_b64 v216, v[80:81], v[82:83] offset0:58 offset1:59
	s_waitcnt vmcnt(20)
	ds_write2_b64 v216, v[76:77], v[78:79] offset0:60 offset1:61
	;; [unrolled: 2-line block ×22, first 2 shown]
.LBB100_606:
	s_or_b64 exec, exec, s[0:1]
	v_cmp_lt_i32_e32 vcc, 28, v217
	s_waitcnt lgkmcnt(0)
	s_barrier
	s_and_saveexec_b64 s[0:1], vcc
	s_cbranch_execz .LBB100_608
; %bb.607:
	ds_read2_b64 v[220:223], v216 offset0:58 offset1:59
	v_mul_f64 v[214:215], v[206:207], v[86:87]
	v_mul_f64 v[86:87], v[204:205], v[86:87]
	v_fma_f64 v[214:215], v[204:205], v[84:85], -v[214:215]
	v_fmac_f64_e32 v[86:87], v[206:207], v[84:85]
	ds_read2_b64 v[204:207], v216 offset0:60 offset1:61
	s_waitcnt lgkmcnt(1)
	v_mul_f64 v[84:85], v[222:223], v[86:87]
	v_fma_f64 v[84:85], v[220:221], v[214:215], -v[84:85]
	v_mul_f64 v[220:221], v[220:221], v[86:87]
	v_fmac_f64_e32 v[220:221], v[222:223], v[214:215]
	s_waitcnt vmcnt(21)
	v_add_f64 v[80:81], v[80:81], -v[84:85]
	s_waitcnt lgkmcnt(0)
	v_mul_f64 v[84:85], v[206:207], v[86:87]
	v_add_f64 v[82:83], v[82:83], -v[220:221]
	v_fma_f64 v[84:85], v[204:205], v[214:215], -v[84:85]
	v_mul_f64 v[204:205], v[204:205], v[86:87]
	ds_read2_b64 v[220:223], v216 offset0:62 offset1:63
	v_fmac_f64_e32 v[204:205], v[206:207], v[214:215]
	s_waitcnt vmcnt(20)
	v_add_f64 v[78:79], v[78:79], -v[204:205]
	ds_read2_b64 v[204:207], v216 offset0:64 offset1:65
	v_add_f64 v[76:77], v[76:77], -v[84:85]
	s_waitcnt lgkmcnt(1)
	v_mul_f64 v[84:85], v[222:223], v[86:87]
	v_fma_f64 v[84:85], v[220:221], v[214:215], -v[84:85]
	v_mul_f64 v[220:221], v[220:221], v[86:87]
	v_fmac_f64_e32 v[220:221], v[222:223], v[214:215]
	s_waitcnt vmcnt(19)
	v_add_f64 v[72:73], v[72:73], -v[84:85]
	s_waitcnt lgkmcnt(0)
	v_mul_f64 v[84:85], v[206:207], v[86:87]
	v_add_f64 v[74:75], v[74:75], -v[220:221]
	v_fma_f64 v[84:85], v[204:205], v[214:215], -v[84:85]
	v_mul_f64 v[204:205], v[204:205], v[86:87]
	ds_read2_b64 v[220:223], v216 offset0:66 offset1:67
	v_fmac_f64_e32 v[204:205], v[206:207], v[214:215]
	s_waitcnt vmcnt(18)
	v_add_f64 v[70:71], v[70:71], -v[204:205]
	ds_read2_b64 v[204:207], v216 offset0:68 offset1:69
	v_add_f64 v[68:69], v[68:69], -v[84:85]
	;; [unrolled: 18-line block ×10, first 2 shown]
	s_waitcnt lgkmcnt(1)
	v_mul_f64 v[84:85], v[222:223], v[86:87]
	v_fma_f64 v[84:85], v[220:221], v[214:215], -v[84:85]
	s_waitcnt vmcnt(1)
	v_add_f64 v[0:1], v[0:1], -v[84:85]
	s_waitcnt lgkmcnt(0)
	v_mul_f64 v[84:85], v[206:207], v[86:87]
	v_mul_f64 v[220:221], v[220:221], v[86:87]
	v_fma_f64 v[84:85], v[204:205], v[214:215], -v[84:85]
	v_mul_f64 v[204:205], v[204:205], v[86:87]
	v_fmac_f64_e32 v[220:221], v[222:223], v[214:215]
	v_fmac_f64_e32 v[204:205], v[206:207], v[214:215]
	v_add_f64 v[2:3], v[2:3], -v[220:221]
	s_waitcnt vmcnt(0)
	v_add_f64 v[200:201], v[200:201], -v[84:85]
	v_add_f64 v[202:203], v[202:203], -v[204:205]
	v_mov_b64_e32 v[84:85], v[214:215]
.LBB100_608:
	s_or_b64 exec, exec, s[0:1]
	v_lshl_add_u32 v204, v217, 4, v216
	s_barrier
	s_waitcnt vmcnt(21)
	ds_write2_b64 v204, v[80:81], v[82:83] offset1:1
	s_waitcnt lgkmcnt(0)
	s_barrier
	ds_read2_b64 v[204:207], v216 offset0:58 offset1:59
	s_cmp_lt_i32 s20, 31
	v_mov_b32_e32 v214, 29
	s_cbranch_scc1 .LBB100_611
; %bb.609:
	v_add_u32_e32 v215, 0x1e0, v216
	s_mov_b32 s16, 30
	v_mov_b32_e32 v214, 29
.LBB100_610:                            ; =>This Inner Loop Header: Depth=1
	ds_read2_b64 v[220:223], v215 offset1:1
	s_waitcnt lgkmcnt(1)
	v_xor_b32_e32 v225, 0x80000000, v205
	v_xor_b32_e32 v227, 0x80000000, v207
	v_cmp_gt_f64_e32 vcc, 0, v[206:207]
	v_cmp_gt_f64_e64 s[0:1], 0, v[204:205]
	v_mov_b32_e32 v224, v204
	v_mov_b32_e32 v226, v206
	v_cndmask_b32_e64 v225, v205, v225, s[0:1]
	v_cndmask_b32_e32 v227, v207, v227, vcc
	v_add_f64 v[224:225], v[224:225], v[226:227]
	s_waitcnt lgkmcnt(0)
	v_xor_b32_e32 v227, 0x80000000, v221
	v_xor_b32_e32 v229, 0x80000000, v223
	v_cmp_gt_f64_e32 vcc, 0, v[222:223]
	v_cmp_gt_f64_e64 s[0:1], 0, v[220:221]
	v_mov_b32_e32 v226, v220
	v_mov_b32_e32 v228, v222
	v_cndmask_b32_e64 v227, v221, v227, s[0:1]
	v_cndmask_b32_e32 v229, v223, v229, vcc
	v_add_f64 v[226:227], v[226:227], v[228:229]
	v_mov_b32_e32 v230, s16
	s_add_i32 s16, s16, 1
	v_cmp_lt_f64_e32 vcc, v[224:225], v[226:227]
	v_add_u32_e32 v215, 16, v215
	s_cmp_lg_u32 s20, s16
	v_cndmask_b32_e32 v205, v205, v221, vcc
	v_cndmask_b32_e32 v204, v204, v220, vcc
	;; [unrolled: 1-line block ×5, first 2 shown]
	s_cbranch_scc1 .LBB100_610
.LBB100_611:
	s_waitcnt lgkmcnt(0)
	v_cmp_eq_f64_e32 vcc, 0, v[204:205]
	v_cmp_eq_f64_e64 s[0:1], 0, v[206:207]
	s_and_b64 s[0:1], vcc, s[0:1]
	s_and_saveexec_b64 s[16:17], s[0:1]
	s_xor_b64 s[0:1], exec, s[16:17]
; %bb.612:
	v_cmp_ne_u32_e32 vcc, 0, v218
	s_nop 1
	v_cndmask_b32_e32 v218, 30, v218, vcc
; %bb.613:
	s_andn2_saveexec_b64 s[0:1], s[0:1]
	s_cbranch_execz .LBB100_619
; %bb.614:
	v_cmp_ngt_f64_e64 s[16:17], |v[204:205]|, |v[206:207]|
	s_and_saveexec_b64 s[18:19], s[16:17]
	s_xor_b64 s[16:17], exec, s[18:19]
	s_cbranch_execz .LBB100_616
; %bb.615:
	v_div_scale_f64 v[220:221], s[18:19], v[206:207], v[206:207], v[204:205]
	v_rcp_f64_e32 v[222:223], v[220:221]
	v_div_scale_f64 v[224:225], vcc, v[204:205], v[206:207], v[204:205]
	v_fma_f64 v[226:227], -v[220:221], v[222:223], 1.0
	v_fmac_f64_e32 v[222:223], v[222:223], v[226:227]
	v_fma_f64 v[226:227], -v[220:221], v[222:223], 1.0
	v_fmac_f64_e32 v[222:223], v[222:223], v[226:227]
	v_mul_f64 v[226:227], v[224:225], v[222:223]
	v_fma_f64 v[220:221], -v[220:221], v[226:227], v[224:225]
	v_div_fmas_f64 v[220:221], v[220:221], v[222:223], v[226:227]
	v_div_fixup_f64 v[220:221], v[220:221], v[206:207], v[204:205]
	v_fmac_f64_e32 v[206:207], v[204:205], v[220:221]
	v_div_scale_f64 v[204:205], s[18:19], v[206:207], v[206:207], 1.0
	v_rcp_f64_e32 v[222:223], v[204:205]
	s_nop 0
	v_fma_f64 v[224:225], -v[204:205], v[222:223], 1.0
	v_fmac_f64_e32 v[222:223], v[222:223], v[224:225]
	v_fma_f64 v[224:225], -v[204:205], v[222:223], 1.0
	v_fmac_f64_e32 v[222:223], v[222:223], v[224:225]
	v_div_scale_f64 v[224:225], vcc, 1.0, v[206:207], 1.0
	v_mul_f64 v[226:227], v[224:225], v[222:223]
	v_fma_f64 v[204:205], -v[204:205], v[226:227], v[224:225]
	s_nop 1
	v_div_fmas_f64 v[204:205], v[204:205], v[222:223], v[226:227]
	v_div_fixup_f64 v[206:207], v[204:205], v[206:207], 1.0
	v_mul_f64 v[204:205], v[220:221], v[206:207]
	v_xor_b32_e32 v207, 0x80000000, v207
.LBB100_616:
	s_andn2_saveexec_b64 s[16:17], s[16:17]
	s_cbranch_execz .LBB100_618
; %bb.617:
	v_div_scale_f64 v[220:221], s[18:19], v[204:205], v[204:205], v[206:207]
	v_rcp_f64_e32 v[222:223], v[220:221]
	v_div_scale_f64 v[224:225], vcc, v[206:207], v[204:205], v[206:207]
	v_fma_f64 v[226:227], -v[220:221], v[222:223], 1.0
	v_fmac_f64_e32 v[222:223], v[222:223], v[226:227]
	v_fma_f64 v[226:227], -v[220:221], v[222:223], 1.0
	v_fmac_f64_e32 v[222:223], v[222:223], v[226:227]
	v_mul_f64 v[226:227], v[224:225], v[222:223]
	v_fma_f64 v[220:221], -v[220:221], v[226:227], v[224:225]
	v_div_fmas_f64 v[220:221], v[220:221], v[222:223], v[226:227]
	v_div_fixup_f64 v[220:221], v[220:221], v[204:205], v[206:207]
	v_fmac_f64_e32 v[204:205], v[206:207], v[220:221]
	v_div_scale_f64 v[206:207], s[18:19], v[204:205], v[204:205], 1.0
	v_rcp_f64_e32 v[222:223], v[206:207]
	s_nop 0
	v_fma_f64 v[224:225], -v[206:207], v[222:223], 1.0
	v_fmac_f64_e32 v[222:223], v[222:223], v[224:225]
	v_fma_f64 v[224:225], -v[206:207], v[222:223], 1.0
	v_fmac_f64_e32 v[222:223], v[222:223], v[224:225]
	v_div_scale_f64 v[224:225], vcc, 1.0, v[204:205], 1.0
	v_mul_f64 v[226:227], v[224:225], v[222:223]
	v_fma_f64 v[206:207], -v[206:207], v[226:227], v[224:225]
	s_nop 1
	v_div_fmas_f64 v[206:207], v[206:207], v[222:223], v[226:227]
	v_div_fixup_f64 v[204:205], v[206:207], v[204:205], 1.0
	v_mul_f64 v[206:207], v[220:221], -v[204:205]
.LBB100_618:
	s_or_b64 exec, exec, s[16:17]
.LBB100_619:
	s_or_b64 exec, exec, s[0:1]
	v_cmp_ne_u32_e32 vcc, v217, v214
	s_and_saveexec_b64 s[0:1], vcc
	s_xor_b64 s[0:1], exec, s[0:1]
	s_cbranch_execz .LBB100_625
; %bb.620:
	v_cmp_eq_u32_e32 vcc, 29, v217
	s_and_saveexec_b64 s[16:17], vcc
	s_cbranch_execz .LBB100_624
; %bb.621:
	v_cmp_ne_u32_e32 vcc, 29, v214
	s_xor_b64 s[18:19], s[14:15], -1
	s_and_b64 s[22:23], s[18:19], vcc
	s_and_saveexec_b64 s[18:19], s[22:23]
	s_cbranch_execz .LBB100_623
; %bb.622:
	v_ashrrev_i32_e32 v215, 31, v214
	v_lshl_add_u64 v[220:221], v[214:215], 2, v[212:213]
	global_load_dword v215, v[220:221], off
	global_load_dword v217, v[212:213], off offset:116
	s_waitcnt vmcnt(1)
	global_store_dword v[212:213], v215, off offset:116
	s_waitcnt vmcnt(1)
	global_store_dword v[220:221], v217, off
.LBB100_623:
	s_or_b64 exec, exec, s[18:19]
	v_mov_b32_e32 v217, v214
	v_mov_b32_e32 v219, v214
.LBB100_624:
	s_or_b64 exec, exec, s[16:17]
.LBB100_625:
	s_andn2_saveexec_b64 s[0:1], s[0:1]
	s_cbranch_execz .LBB100_627
; %bb.626:
	v_mov_b32_e32 v217, 29
	s_waitcnt vmcnt(20)
	ds_write2_b64 v216, v[76:77], v[78:79] offset0:60 offset1:61
	s_waitcnt vmcnt(19)
	ds_write2_b64 v216, v[72:73], v[74:75] offset0:62 offset1:63
	;; [unrolled: 2-line block ×21, first 2 shown]
.LBB100_627:
	s_or_b64 exec, exec, s[0:1]
	v_cmp_lt_i32_e32 vcc, 29, v217
	s_waitcnt lgkmcnt(0)
	s_barrier
	s_and_saveexec_b64 s[0:1], vcc
	s_cbranch_execz .LBB100_629
; %bb.628:
	ds_read2_b64 v[220:223], v216 offset0:60 offset1:61
	v_mul_f64 v[214:215], v[206:207], v[82:83]
	v_mul_f64 v[82:83], v[204:205], v[82:83]
	v_fmac_f64_e32 v[82:83], v[206:207], v[80:81]
	v_fma_f64 v[214:215], v[204:205], v[80:81], -v[214:215]
	ds_read2_b64 v[204:207], v216 offset0:62 offset1:63
	s_waitcnt lgkmcnt(1)
	v_mul_f64 v[80:81], v[222:223], v[82:83]
	v_fma_f64 v[80:81], v[220:221], v[214:215], -v[80:81]
	v_mul_f64 v[220:221], v[220:221], v[82:83]
	v_fmac_f64_e32 v[220:221], v[222:223], v[214:215]
	s_waitcnt vmcnt(20)
	v_add_f64 v[78:79], v[78:79], -v[220:221]
	ds_read2_b64 v[220:223], v216 offset0:64 offset1:65
	v_add_f64 v[76:77], v[76:77], -v[80:81]
	s_waitcnt lgkmcnt(1)
	v_mul_f64 v[80:81], v[206:207], v[82:83]
	v_fma_f64 v[80:81], v[204:205], v[214:215], -v[80:81]
	v_mul_f64 v[204:205], v[204:205], v[82:83]
	v_fmac_f64_e32 v[204:205], v[206:207], v[214:215]
	s_waitcnt vmcnt(19)
	v_add_f64 v[72:73], v[72:73], -v[80:81]
	v_add_f64 v[74:75], v[74:75], -v[204:205]
	ds_read2_b64 v[204:207], v216 offset0:66 offset1:67
	s_waitcnt lgkmcnt(1)
	v_mul_f64 v[80:81], v[222:223], v[82:83]
	v_fma_f64 v[80:81], v[220:221], v[214:215], -v[80:81]
	v_mul_f64 v[220:221], v[220:221], v[82:83]
	v_fmac_f64_e32 v[220:221], v[222:223], v[214:215]
	s_waitcnt vmcnt(18)
	v_add_f64 v[70:71], v[70:71], -v[220:221]
	ds_read2_b64 v[220:223], v216 offset0:68 offset1:69
	v_add_f64 v[68:69], v[68:69], -v[80:81]
	s_waitcnt lgkmcnt(1)
	v_mul_f64 v[80:81], v[206:207], v[82:83]
	v_fma_f64 v[80:81], v[204:205], v[214:215], -v[80:81]
	v_mul_f64 v[204:205], v[204:205], v[82:83]
	v_fmac_f64_e32 v[204:205], v[206:207], v[214:215]
	s_waitcnt vmcnt(17)
	v_add_f64 v[64:65], v[64:65], -v[80:81]
	v_add_f64 v[66:67], v[66:67], -v[204:205]
	;; [unrolled: 18-line block ×10, first 2 shown]
	s_waitcnt lgkmcnt(0)
	v_mul_f64 v[80:81], v[222:223], v[82:83]
	v_mul_f64 v[204:205], v[220:221], v[82:83]
	v_fma_f64 v[80:81], v[220:221], v[214:215], -v[80:81]
	v_fmac_f64_e32 v[204:205], v[222:223], v[214:215]
	s_waitcnt vmcnt(0)
	v_add_f64 v[200:201], v[200:201], -v[80:81]
	v_add_f64 v[202:203], v[202:203], -v[204:205]
	v_mov_b64_e32 v[80:81], v[214:215]
.LBB100_629:
	s_or_b64 exec, exec, s[0:1]
	v_lshl_add_u32 v204, v217, 4, v216
	s_barrier
	s_waitcnt vmcnt(20)
	ds_write2_b64 v204, v[76:77], v[78:79] offset1:1
	s_waitcnt lgkmcnt(0)
	s_barrier
	ds_read2_b64 v[204:207], v216 offset0:60 offset1:61
	s_cmp_lt_i32 s20, 32
	v_mov_b32_e32 v214, 30
	s_cbranch_scc1 .LBB100_632
; %bb.630:
	v_add_u32_e32 v215, 0x1f0, v216
	s_mov_b32 s16, 31
	v_mov_b32_e32 v214, 30
.LBB100_631:                            ; =>This Inner Loop Header: Depth=1
	ds_read2_b64 v[220:223], v215 offset1:1
	s_waitcnt lgkmcnt(1)
	v_xor_b32_e32 v225, 0x80000000, v205
	v_xor_b32_e32 v227, 0x80000000, v207
	v_cmp_gt_f64_e32 vcc, 0, v[206:207]
	v_cmp_gt_f64_e64 s[0:1], 0, v[204:205]
	v_mov_b32_e32 v224, v204
	v_mov_b32_e32 v226, v206
	v_cndmask_b32_e64 v225, v205, v225, s[0:1]
	v_cndmask_b32_e32 v227, v207, v227, vcc
	v_add_f64 v[224:225], v[224:225], v[226:227]
	s_waitcnt lgkmcnt(0)
	v_xor_b32_e32 v227, 0x80000000, v221
	v_xor_b32_e32 v229, 0x80000000, v223
	v_cmp_gt_f64_e32 vcc, 0, v[222:223]
	v_cmp_gt_f64_e64 s[0:1], 0, v[220:221]
	v_mov_b32_e32 v226, v220
	v_mov_b32_e32 v228, v222
	v_cndmask_b32_e64 v227, v221, v227, s[0:1]
	v_cndmask_b32_e32 v229, v223, v229, vcc
	v_add_f64 v[226:227], v[226:227], v[228:229]
	v_mov_b32_e32 v230, s16
	s_add_i32 s16, s16, 1
	v_cmp_lt_f64_e32 vcc, v[224:225], v[226:227]
	v_add_u32_e32 v215, 16, v215
	s_cmp_lg_u32 s20, s16
	v_cndmask_b32_e32 v205, v205, v221, vcc
	v_cndmask_b32_e32 v204, v204, v220, vcc
	v_cndmask_b32_e32 v207, v207, v223, vcc
	v_cndmask_b32_e32 v206, v206, v222, vcc
	v_cndmask_b32_e32 v214, v214, v230, vcc
	s_cbranch_scc1 .LBB100_631
.LBB100_632:
	s_waitcnt lgkmcnt(0)
	v_cmp_eq_f64_e32 vcc, 0, v[204:205]
	v_cmp_eq_f64_e64 s[0:1], 0, v[206:207]
	s_and_b64 s[0:1], vcc, s[0:1]
	s_and_saveexec_b64 s[16:17], s[0:1]
	s_xor_b64 s[0:1], exec, s[16:17]
; %bb.633:
	v_cmp_ne_u32_e32 vcc, 0, v218
	s_nop 1
	v_cndmask_b32_e32 v218, 31, v218, vcc
; %bb.634:
	s_andn2_saveexec_b64 s[0:1], s[0:1]
	s_cbranch_execz .LBB100_640
; %bb.635:
	v_cmp_ngt_f64_e64 s[16:17], |v[204:205]|, |v[206:207]|
	s_and_saveexec_b64 s[18:19], s[16:17]
	s_xor_b64 s[16:17], exec, s[18:19]
	s_cbranch_execz .LBB100_637
; %bb.636:
	v_div_scale_f64 v[220:221], s[18:19], v[206:207], v[206:207], v[204:205]
	v_rcp_f64_e32 v[222:223], v[220:221]
	v_div_scale_f64 v[224:225], vcc, v[204:205], v[206:207], v[204:205]
	v_fma_f64 v[226:227], -v[220:221], v[222:223], 1.0
	v_fmac_f64_e32 v[222:223], v[222:223], v[226:227]
	v_fma_f64 v[226:227], -v[220:221], v[222:223], 1.0
	v_fmac_f64_e32 v[222:223], v[222:223], v[226:227]
	v_mul_f64 v[226:227], v[224:225], v[222:223]
	v_fma_f64 v[220:221], -v[220:221], v[226:227], v[224:225]
	v_div_fmas_f64 v[220:221], v[220:221], v[222:223], v[226:227]
	v_div_fixup_f64 v[220:221], v[220:221], v[206:207], v[204:205]
	v_fmac_f64_e32 v[206:207], v[204:205], v[220:221]
	v_div_scale_f64 v[204:205], s[18:19], v[206:207], v[206:207], 1.0
	v_rcp_f64_e32 v[222:223], v[204:205]
	s_nop 0
	v_fma_f64 v[224:225], -v[204:205], v[222:223], 1.0
	v_fmac_f64_e32 v[222:223], v[222:223], v[224:225]
	v_fma_f64 v[224:225], -v[204:205], v[222:223], 1.0
	v_fmac_f64_e32 v[222:223], v[222:223], v[224:225]
	v_div_scale_f64 v[224:225], vcc, 1.0, v[206:207], 1.0
	v_mul_f64 v[226:227], v[224:225], v[222:223]
	v_fma_f64 v[204:205], -v[204:205], v[226:227], v[224:225]
	s_nop 1
	v_div_fmas_f64 v[204:205], v[204:205], v[222:223], v[226:227]
	v_div_fixup_f64 v[206:207], v[204:205], v[206:207], 1.0
	v_mul_f64 v[204:205], v[220:221], v[206:207]
	v_xor_b32_e32 v207, 0x80000000, v207
.LBB100_637:
	s_andn2_saveexec_b64 s[16:17], s[16:17]
	s_cbranch_execz .LBB100_639
; %bb.638:
	v_div_scale_f64 v[220:221], s[18:19], v[204:205], v[204:205], v[206:207]
	v_rcp_f64_e32 v[222:223], v[220:221]
	v_div_scale_f64 v[224:225], vcc, v[206:207], v[204:205], v[206:207]
	v_fma_f64 v[226:227], -v[220:221], v[222:223], 1.0
	v_fmac_f64_e32 v[222:223], v[222:223], v[226:227]
	v_fma_f64 v[226:227], -v[220:221], v[222:223], 1.0
	v_fmac_f64_e32 v[222:223], v[222:223], v[226:227]
	v_mul_f64 v[226:227], v[224:225], v[222:223]
	v_fma_f64 v[220:221], -v[220:221], v[226:227], v[224:225]
	v_div_fmas_f64 v[220:221], v[220:221], v[222:223], v[226:227]
	v_div_fixup_f64 v[220:221], v[220:221], v[204:205], v[206:207]
	v_fmac_f64_e32 v[204:205], v[206:207], v[220:221]
	v_div_scale_f64 v[206:207], s[18:19], v[204:205], v[204:205], 1.0
	v_rcp_f64_e32 v[222:223], v[206:207]
	s_nop 0
	v_fma_f64 v[224:225], -v[206:207], v[222:223], 1.0
	v_fmac_f64_e32 v[222:223], v[222:223], v[224:225]
	v_fma_f64 v[224:225], -v[206:207], v[222:223], 1.0
	v_fmac_f64_e32 v[222:223], v[222:223], v[224:225]
	v_div_scale_f64 v[224:225], vcc, 1.0, v[204:205], 1.0
	v_mul_f64 v[226:227], v[224:225], v[222:223]
	v_fma_f64 v[206:207], -v[206:207], v[226:227], v[224:225]
	s_nop 1
	v_div_fmas_f64 v[206:207], v[206:207], v[222:223], v[226:227]
	v_div_fixup_f64 v[204:205], v[206:207], v[204:205], 1.0
	v_mul_f64 v[206:207], v[220:221], -v[204:205]
.LBB100_639:
	s_or_b64 exec, exec, s[16:17]
.LBB100_640:
	s_or_b64 exec, exec, s[0:1]
	v_cmp_ne_u32_e32 vcc, v217, v214
	s_and_saveexec_b64 s[0:1], vcc
	s_xor_b64 s[0:1], exec, s[0:1]
	s_cbranch_execz .LBB100_646
; %bb.641:
	v_cmp_eq_u32_e32 vcc, 30, v217
	s_and_saveexec_b64 s[16:17], vcc
	s_cbranch_execz .LBB100_645
; %bb.642:
	v_cmp_ne_u32_e32 vcc, 30, v214
	s_xor_b64 s[18:19], s[14:15], -1
	s_and_b64 s[22:23], s[18:19], vcc
	s_and_saveexec_b64 s[18:19], s[22:23]
	s_cbranch_execz .LBB100_644
; %bb.643:
	v_ashrrev_i32_e32 v215, 31, v214
	v_lshl_add_u64 v[220:221], v[214:215], 2, v[212:213]
	global_load_dword v215, v[220:221], off
	global_load_dword v217, v[212:213], off offset:120
	s_waitcnt vmcnt(1)
	global_store_dword v[212:213], v215, off offset:120
	s_waitcnt vmcnt(1)
	global_store_dword v[220:221], v217, off
.LBB100_644:
	s_or_b64 exec, exec, s[18:19]
	v_mov_b32_e32 v217, v214
	v_mov_b32_e32 v219, v214
.LBB100_645:
	s_or_b64 exec, exec, s[16:17]
.LBB100_646:
	s_andn2_saveexec_b64 s[0:1], s[0:1]
	s_cbranch_execz .LBB100_648
; %bb.647:
	v_mov_b32_e32 v217, 30
	s_waitcnt vmcnt(19)
	ds_write2_b64 v216, v[72:73], v[74:75] offset0:62 offset1:63
	s_waitcnt vmcnt(18)
	ds_write2_b64 v216, v[68:69], v[70:71] offset0:64 offset1:65
	s_waitcnt vmcnt(17)
	ds_write2_b64 v216, v[64:65], v[66:67] offset0:66 offset1:67
	s_waitcnt vmcnt(16)
	ds_write2_b64 v216, v[60:61], v[62:63] offset0:68 offset1:69
	s_waitcnt vmcnt(15)
	ds_write2_b64 v216, v[56:57], v[58:59] offset0:70 offset1:71
	s_waitcnt vmcnt(14)
	ds_write2_b64 v216, v[52:53], v[54:55] offset0:72 offset1:73
	s_waitcnt vmcnt(13)
	ds_write2_b64 v216, v[48:49], v[50:51] offset0:74 offset1:75
	s_waitcnt vmcnt(12)
	ds_write2_b64 v216, v[44:45], v[46:47] offset0:76 offset1:77
	s_waitcnt vmcnt(11)
	ds_write2_b64 v216, v[40:41], v[42:43] offset0:78 offset1:79
	s_waitcnt vmcnt(10)
	ds_write2_b64 v216, v[36:37], v[38:39] offset0:80 offset1:81
	s_waitcnt vmcnt(9)
	ds_write2_b64 v216, v[32:33], v[34:35] offset0:82 offset1:83
	s_waitcnt vmcnt(8)
	ds_write2_b64 v216, v[28:29], v[30:31] offset0:84 offset1:85
	s_waitcnt vmcnt(7)
	ds_write2_b64 v216, v[24:25], v[26:27] offset0:86 offset1:87
	s_waitcnt vmcnt(6)
	ds_write2_b64 v216, v[20:21], v[22:23] offset0:88 offset1:89
	s_waitcnt vmcnt(5)
	ds_write2_b64 v216, v[16:17], v[18:19] offset0:90 offset1:91
	s_waitcnt vmcnt(4)
	ds_write2_b64 v216, v[12:13], v[14:15] offset0:92 offset1:93
	s_waitcnt vmcnt(3)
	ds_write2_b64 v216, v[8:9], v[10:11] offset0:94 offset1:95
	s_waitcnt vmcnt(2)
	ds_write2_b64 v216, v[4:5], v[6:7] offset0:96 offset1:97
	s_waitcnt vmcnt(1)
	ds_write2_b64 v216, v[0:1], v[2:3] offset0:98 offset1:99
	s_waitcnt vmcnt(0)
	ds_write2_b64 v216, v[200:201], v[202:203] offset0:100 offset1:101
.LBB100_648:
	s_or_b64 exec, exec, s[0:1]
	v_cmp_lt_i32_e32 vcc, 30, v217
	s_waitcnt lgkmcnt(0)
	s_barrier
	s_and_saveexec_b64 s[0:1], vcc
	s_cbranch_execz .LBB100_650
; %bb.649:
	ds_read2_b64 v[220:223], v216 offset0:62 offset1:63
	v_mul_f64 v[214:215], v[206:207], v[78:79]
	v_mul_f64 v[78:79], v[204:205], v[78:79]
	v_fma_f64 v[214:215], v[204:205], v[76:77], -v[214:215]
	v_fmac_f64_e32 v[78:79], v[206:207], v[76:77]
	ds_read2_b64 v[204:207], v216 offset0:64 offset1:65
	s_waitcnt lgkmcnt(1)
	v_mul_f64 v[76:77], v[222:223], v[78:79]
	v_fma_f64 v[76:77], v[220:221], v[214:215], -v[76:77]
	v_mul_f64 v[220:221], v[220:221], v[78:79]
	v_fmac_f64_e32 v[220:221], v[222:223], v[214:215]
	s_waitcnt vmcnt(19)
	v_add_f64 v[72:73], v[72:73], -v[76:77]
	s_waitcnt lgkmcnt(0)
	v_mul_f64 v[76:77], v[206:207], v[78:79]
	v_add_f64 v[74:75], v[74:75], -v[220:221]
	v_fma_f64 v[76:77], v[204:205], v[214:215], -v[76:77]
	v_mul_f64 v[204:205], v[204:205], v[78:79]
	ds_read2_b64 v[220:223], v216 offset0:66 offset1:67
	v_fmac_f64_e32 v[204:205], v[206:207], v[214:215]
	s_waitcnt vmcnt(18)
	v_add_f64 v[70:71], v[70:71], -v[204:205]
	ds_read2_b64 v[204:207], v216 offset0:68 offset1:69
	v_add_f64 v[68:69], v[68:69], -v[76:77]
	s_waitcnt lgkmcnt(1)
	v_mul_f64 v[76:77], v[222:223], v[78:79]
	v_fma_f64 v[76:77], v[220:221], v[214:215], -v[76:77]
	v_mul_f64 v[220:221], v[220:221], v[78:79]
	v_fmac_f64_e32 v[220:221], v[222:223], v[214:215]
	s_waitcnt vmcnt(17)
	v_add_f64 v[64:65], v[64:65], -v[76:77]
	s_waitcnt lgkmcnt(0)
	v_mul_f64 v[76:77], v[206:207], v[78:79]
	v_add_f64 v[66:67], v[66:67], -v[220:221]
	v_fma_f64 v[76:77], v[204:205], v[214:215], -v[76:77]
	v_mul_f64 v[204:205], v[204:205], v[78:79]
	ds_read2_b64 v[220:223], v216 offset0:70 offset1:71
	v_fmac_f64_e32 v[204:205], v[206:207], v[214:215]
	s_waitcnt vmcnt(16)
	v_add_f64 v[62:63], v[62:63], -v[204:205]
	ds_read2_b64 v[204:207], v216 offset0:72 offset1:73
	v_add_f64 v[60:61], v[60:61], -v[76:77]
	;; [unrolled: 18-line block ×9, first 2 shown]
	s_waitcnt lgkmcnt(1)
	v_mul_f64 v[76:77], v[222:223], v[78:79]
	v_fma_f64 v[76:77], v[220:221], v[214:215], -v[76:77]
	s_waitcnt vmcnt(1)
	v_add_f64 v[0:1], v[0:1], -v[76:77]
	s_waitcnt lgkmcnt(0)
	v_mul_f64 v[76:77], v[206:207], v[78:79]
	v_mul_f64 v[220:221], v[220:221], v[78:79]
	v_fma_f64 v[76:77], v[204:205], v[214:215], -v[76:77]
	v_mul_f64 v[204:205], v[204:205], v[78:79]
	v_fmac_f64_e32 v[220:221], v[222:223], v[214:215]
	v_fmac_f64_e32 v[204:205], v[206:207], v[214:215]
	v_add_f64 v[2:3], v[2:3], -v[220:221]
	s_waitcnt vmcnt(0)
	v_add_f64 v[200:201], v[200:201], -v[76:77]
	v_add_f64 v[202:203], v[202:203], -v[204:205]
	v_mov_b64_e32 v[76:77], v[214:215]
.LBB100_650:
	s_or_b64 exec, exec, s[0:1]
	v_lshl_add_u32 v204, v217, 4, v216
	s_barrier
	s_waitcnt vmcnt(19)
	ds_write2_b64 v204, v[72:73], v[74:75] offset1:1
	s_waitcnt lgkmcnt(0)
	s_barrier
	ds_read2_b64 v[204:207], v216 offset0:62 offset1:63
	s_cmp_lt_i32 s20, 33
	v_mov_b32_e32 v214, 31
	s_cbranch_scc1 .LBB100_653
; %bb.651:
	v_add_u32_e32 v215, 0x200, v216
	s_mov_b32 s16, 32
	v_mov_b32_e32 v214, 31
.LBB100_652:                            ; =>This Inner Loop Header: Depth=1
	ds_read2_b64 v[220:223], v215 offset1:1
	s_waitcnt lgkmcnt(1)
	v_xor_b32_e32 v225, 0x80000000, v205
	v_xor_b32_e32 v227, 0x80000000, v207
	v_cmp_gt_f64_e32 vcc, 0, v[206:207]
	v_cmp_gt_f64_e64 s[0:1], 0, v[204:205]
	v_mov_b32_e32 v224, v204
	v_mov_b32_e32 v226, v206
	v_cndmask_b32_e64 v225, v205, v225, s[0:1]
	v_cndmask_b32_e32 v227, v207, v227, vcc
	v_add_f64 v[224:225], v[224:225], v[226:227]
	s_waitcnt lgkmcnt(0)
	v_xor_b32_e32 v227, 0x80000000, v221
	v_xor_b32_e32 v229, 0x80000000, v223
	v_cmp_gt_f64_e32 vcc, 0, v[222:223]
	v_cmp_gt_f64_e64 s[0:1], 0, v[220:221]
	v_mov_b32_e32 v226, v220
	v_mov_b32_e32 v228, v222
	v_cndmask_b32_e64 v227, v221, v227, s[0:1]
	v_cndmask_b32_e32 v229, v223, v229, vcc
	v_add_f64 v[226:227], v[226:227], v[228:229]
	v_mov_b32_e32 v230, s16
	s_add_i32 s16, s16, 1
	v_cmp_lt_f64_e32 vcc, v[224:225], v[226:227]
	v_add_u32_e32 v215, 16, v215
	s_cmp_lg_u32 s20, s16
	v_cndmask_b32_e32 v205, v205, v221, vcc
	v_cndmask_b32_e32 v204, v204, v220, vcc
	;; [unrolled: 1-line block ×5, first 2 shown]
	s_cbranch_scc1 .LBB100_652
.LBB100_653:
	s_waitcnt lgkmcnt(0)
	v_cmp_eq_f64_e32 vcc, 0, v[204:205]
	v_cmp_eq_f64_e64 s[0:1], 0, v[206:207]
	s_and_b64 s[0:1], vcc, s[0:1]
	s_and_saveexec_b64 s[16:17], s[0:1]
	s_xor_b64 s[0:1], exec, s[16:17]
; %bb.654:
	v_cmp_ne_u32_e32 vcc, 0, v218
	s_nop 1
	v_cndmask_b32_e32 v218, 32, v218, vcc
; %bb.655:
	s_andn2_saveexec_b64 s[0:1], s[0:1]
	s_cbranch_execz .LBB100_661
; %bb.656:
	v_cmp_ngt_f64_e64 s[16:17], |v[204:205]|, |v[206:207]|
	s_and_saveexec_b64 s[18:19], s[16:17]
	s_xor_b64 s[16:17], exec, s[18:19]
	s_cbranch_execz .LBB100_658
; %bb.657:
	v_div_scale_f64 v[220:221], s[18:19], v[206:207], v[206:207], v[204:205]
	v_rcp_f64_e32 v[222:223], v[220:221]
	v_div_scale_f64 v[224:225], vcc, v[204:205], v[206:207], v[204:205]
	v_fma_f64 v[226:227], -v[220:221], v[222:223], 1.0
	v_fmac_f64_e32 v[222:223], v[222:223], v[226:227]
	v_fma_f64 v[226:227], -v[220:221], v[222:223], 1.0
	v_fmac_f64_e32 v[222:223], v[222:223], v[226:227]
	v_mul_f64 v[226:227], v[224:225], v[222:223]
	v_fma_f64 v[220:221], -v[220:221], v[226:227], v[224:225]
	v_div_fmas_f64 v[220:221], v[220:221], v[222:223], v[226:227]
	v_div_fixup_f64 v[220:221], v[220:221], v[206:207], v[204:205]
	v_fmac_f64_e32 v[206:207], v[204:205], v[220:221]
	v_div_scale_f64 v[204:205], s[18:19], v[206:207], v[206:207], 1.0
	v_rcp_f64_e32 v[222:223], v[204:205]
	s_nop 0
	v_fma_f64 v[224:225], -v[204:205], v[222:223], 1.0
	v_fmac_f64_e32 v[222:223], v[222:223], v[224:225]
	v_fma_f64 v[224:225], -v[204:205], v[222:223], 1.0
	v_fmac_f64_e32 v[222:223], v[222:223], v[224:225]
	v_div_scale_f64 v[224:225], vcc, 1.0, v[206:207], 1.0
	v_mul_f64 v[226:227], v[224:225], v[222:223]
	v_fma_f64 v[204:205], -v[204:205], v[226:227], v[224:225]
	s_nop 1
	v_div_fmas_f64 v[204:205], v[204:205], v[222:223], v[226:227]
	v_div_fixup_f64 v[206:207], v[204:205], v[206:207], 1.0
	v_mul_f64 v[204:205], v[220:221], v[206:207]
	v_xor_b32_e32 v207, 0x80000000, v207
.LBB100_658:
	s_andn2_saveexec_b64 s[16:17], s[16:17]
	s_cbranch_execz .LBB100_660
; %bb.659:
	v_div_scale_f64 v[220:221], s[18:19], v[204:205], v[204:205], v[206:207]
	v_rcp_f64_e32 v[222:223], v[220:221]
	v_div_scale_f64 v[224:225], vcc, v[206:207], v[204:205], v[206:207]
	v_fma_f64 v[226:227], -v[220:221], v[222:223], 1.0
	v_fmac_f64_e32 v[222:223], v[222:223], v[226:227]
	v_fma_f64 v[226:227], -v[220:221], v[222:223], 1.0
	v_fmac_f64_e32 v[222:223], v[222:223], v[226:227]
	v_mul_f64 v[226:227], v[224:225], v[222:223]
	v_fma_f64 v[220:221], -v[220:221], v[226:227], v[224:225]
	v_div_fmas_f64 v[220:221], v[220:221], v[222:223], v[226:227]
	v_div_fixup_f64 v[220:221], v[220:221], v[204:205], v[206:207]
	v_fmac_f64_e32 v[204:205], v[206:207], v[220:221]
	v_div_scale_f64 v[206:207], s[18:19], v[204:205], v[204:205], 1.0
	v_rcp_f64_e32 v[222:223], v[206:207]
	s_nop 0
	v_fma_f64 v[224:225], -v[206:207], v[222:223], 1.0
	v_fmac_f64_e32 v[222:223], v[222:223], v[224:225]
	v_fma_f64 v[224:225], -v[206:207], v[222:223], 1.0
	v_fmac_f64_e32 v[222:223], v[222:223], v[224:225]
	v_div_scale_f64 v[224:225], vcc, 1.0, v[204:205], 1.0
	v_mul_f64 v[226:227], v[224:225], v[222:223]
	v_fma_f64 v[206:207], -v[206:207], v[226:227], v[224:225]
	s_nop 1
	v_div_fmas_f64 v[206:207], v[206:207], v[222:223], v[226:227]
	v_div_fixup_f64 v[204:205], v[206:207], v[204:205], 1.0
	v_mul_f64 v[206:207], v[220:221], -v[204:205]
.LBB100_660:
	s_or_b64 exec, exec, s[16:17]
.LBB100_661:
	s_or_b64 exec, exec, s[0:1]
	v_cmp_ne_u32_e32 vcc, v217, v214
	s_and_saveexec_b64 s[0:1], vcc
	s_xor_b64 s[0:1], exec, s[0:1]
	s_cbranch_execz .LBB100_667
; %bb.662:
	v_cmp_eq_u32_e32 vcc, 31, v217
	s_and_saveexec_b64 s[16:17], vcc
	s_cbranch_execz .LBB100_666
; %bb.663:
	v_cmp_ne_u32_e32 vcc, 31, v214
	s_xor_b64 s[18:19], s[14:15], -1
	s_and_b64 s[22:23], s[18:19], vcc
	s_and_saveexec_b64 s[18:19], s[22:23]
	s_cbranch_execz .LBB100_665
; %bb.664:
	v_ashrrev_i32_e32 v215, 31, v214
	v_lshl_add_u64 v[220:221], v[214:215], 2, v[212:213]
	global_load_dword v215, v[220:221], off
	global_load_dword v217, v[212:213], off offset:124
	s_waitcnt vmcnt(1)
	global_store_dword v[212:213], v215, off offset:124
	s_waitcnt vmcnt(1)
	global_store_dword v[220:221], v217, off
.LBB100_665:
	s_or_b64 exec, exec, s[18:19]
	v_mov_b32_e32 v217, v214
	v_mov_b32_e32 v219, v214
.LBB100_666:
	s_or_b64 exec, exec, s[16:17]
.LBB100_667:
	s_andn2_saveexec_b64 s[0:1], s[0:1]
	s_cbranch_execz .LBB100_669
; %bb.668:
	v_mov_b32_e32 v217, 31
	s_waitcnt vmcnt(18)
	ds_write2_b64 v216, v[68:69], v[70:71] offset0:64 offset1:65
	s_waitcnt vmcnt(17)
	ds_write2_b64 v216, v[64:65], v[66:67] offset0:66 offset1:67
	;; [unrolled: 2-line block ×19, first 2 shown]
.LBB100_669:
	s_or_b64 exec, exec, s[0:1]
	v_cmp_lt_i32_e32 vcc, 31, v217
	s_waitcnt lgkmcnt(0)
	s_barrier
	s_and_saveexec_b64 s[0:1], vcc
	s_cbranch_execz .LBB100_671
; %bb.670:
	ds_read2_b64 v[220:223], v216 offset0:64 offset1:65
	v_mul_f64 v[214:215], v[206:207], v[74:75]
	v_mul_f64 v[74:75], v[204:205], v[74:75]
	v_fmac_f64_e32 v[74:75], v[206:207], v[72:73]
	v_fma_f64 v[214:215], v[204:205], v[72:73], -v[214:215]
	ds_read2_b64 v[204:207], v216 offset0:66 offset1:67
	s_waitcnt lgkmcnt(1)
	v_mul_f64 v[72:73], v[222:223], v[74:75]
	v_fma_f64 v[72:73], v[220:221], v[214:215], -v[72:73]
	v_mul_f64 v[220:221], v[220:221], v[74:75]
	v_fmac_f64_e32 v[220:221], v[222:223], v[214:215]
	s_waitcnt vmcnt(18)
	v_add_f64 v[70:71], v[70:71], -v[220:221]
	ds_read2_b64 v[220:223], v216 offset0:68 offset1:69
	v_add_f64 v[68:69], v[68:69], -v[72:73]
	s_waitcnt lgkmcnt(1)
	v_mul_f64 v[72:73], v[206:207], v[74:75]
	v_fma_f64 v[72:73], v[204:205], v[214:215], -v[72:73]
	v_mul_f64 v[204:205], v[204:205], v[74:75]
	v_fmac_f64_e32 v[204:205], v[206:207], v[214:215]
	s_waitcnt vmcnt(17)
	v_add_f64 v[64:65], v[64:65], -v[72:73]
	v_add_f64 v[66:67], v[66:67], -v[204:205]
	ds_read2_b64 v[204:207], v216 offset0:70 offset1:71
	s_waitcnt lgkmcnt(1)
	v_mul_f64 v[72:73], v[222:223], v[74:75]
	v_fma_f64 v[72:73], v[220:221], v[214:215], -v[72:73]
	v_mul_f64 v[220:221], v[220:221], v[74:75]
	v_fmac_f64_e32 v[220:221], v[222:223], v[214:215]
	s_waitcnt vmcnt(16)
	v_add_f64 v[62:63], v[62:63], -v[220:221]
	ds_read2_b64 v[220:223], v216 offset0:72 offset1:73
	v_add_f64 v[60:61], v[60:61], -v[72:73]
	s_waitcnt lgkmcnt(1)
	v_mul_f64 v[72:73], v[206:207], v[74:75]
	v_fma_f64 v[72:73], v[204:205], v[214:215], -v[72:73]
	v_mul_f64 v[204:205], v[204:205], v[74:75]
	v_fmac_f64_e32 v[204:205], v[206:207], v[214:215]
	s_waitcnt vmcnt(15)
	v_add_f64 v[56:57], v[56:57], -v[72:73]
	v_add_f64 v[58:59], v[58:59], -v[204:205]
	;; [unrolled: 18-line block ×9, first 2 shown]
	s_waitcnt lgkmcnt(0)
	v_mul_f64 v[72:73], v[222:223], v[74:75]
	v_mul_f64 v[204:205], v[220:221], v[74:75]
	v_fma_f64 v[72:73], v[220:221], v[214:215], -v[72:73]
	v_fmac_f64_e32 v[204:205], v[222:223], v[214:215]
	s_waitcnt vmcnt(0)
	v_add_f64 v[200:201], v[200:201], -v[72:73]
	v_add_f64 v[202:203], v[202:203], -v[204:205]
	v_mov_b64_e32 v[72:73], v[214:215]
.LBB100_671:
	s_or_b64 exec, exec, s[0:1]
	v_lshl_add_u32 v204, v217, 4, v216
	s_barrier
	s_waitcnt vmcnt(18)
	ds_write2_b64 v204, v[68:69], v[70:71] offset1:1
	s_waitcnt lgkmcnt(0)
	s_barrier
	ds_read2_b64 v[204:207], v216 offset0:64 offset1:65
	s_cmp_lt_i32 s20, 34
	v_mov_b32_e32 v214, 32
	s_cbranch_scc1 .LBB100_674
; %bb.672:
	v_add_u32_e32 v215, 0x210, v216
	s_mov_b32 s16, 33
	v_mov_b32_e32 v214, 32
.LBB100_673:                            ; =>This Inner Loop Header: Depth=1
	ds_read2_b64 v[220:223], v215 offset1:1
	s_waitcnt lgkmcnt(1)
	v_xor_b32_e32 v225, 0x80000000, v205
	v_xor_b32_e32 v227, 0x80000000, v207
	v_cmp_gt_f64_e32 vcc, 0, v[206:207]
	v_cmp_gt_f64_e64 s[0:1], 0, v[204:205]
	v_mov_b32_e32 v224, v204
	v_mov_b32_e32 v226, v206
	v_cndmask_b32_e64 v225, v205, v225, s[0:1]
	v_cndmask_b32_e32 v227, v207, v227, vcc
	v_add_f64 v[224:225], v[224:225], v[226:227]
	s_waitcnt lgkmcnt(0)
	v_xor_b32_e32 v227, 0x80000000, v221
	v_xor_b32_e32 v229, 0x80000000, v223
	v_cmp_gt_f64_e32 vcc, 0, v[222:223]
	v_cmp_gt_f64_e64 s[0:1], 0, v[220:221]
	v_mov_b32_e32 v226, v220
	v_mov_b32_e32 v228, v222
	v_cndmask_b32_e64 v227, v221, v227, s[0:1]
	v_cndmask_b32_e32 v229, v223, v229, vcc
	v_add_f64 v[226:227], v[226:227], v[228:229]
	v_mov_b32_e32 v230, s16
	s_add_i32 s16, s16, 1
	v_cmp_lt_f64_e32 vcc, v[224:225], v[226:227]
	v_add_u32_e32 v215, 16, v215
	s_cmp_lg_u32 s20, s16
	v_cndmask_b32_e32 v205, v205, v221, vcc
	v_cndmask_b32_e32 v204, v204, v220, vcc
	;; [unrolled: 1-line block ×5, first 2 shown]
	s_cbranch_scc1 .LBB100_673
.LBB100_674:
	s_waitcnt lgkmcnt(0)
	v_cmp_eq_f64_e32 vcc, 0, v[204:205]
	v_cmp_eq_f64_e64 s[0:1], 0, v[206:207]
	s_and_b64 s[0:1], vcc, s[0:1]
	s_and_saveexec_b64 s[16:17], s[0:1]
	s_xor_b64 s[0:1], exec, s[16:17]
; %bb.675:
	v_cmp_ne_u32_e32 vcc, 0, v218
	s_nop 1
	v_cndmask_b32_e32 v218, 33, v218, vcc
; %bb.676:
	s_andn2_saveexec_b64 s[0:1], s[0:1]
	s_cbranch_execz .LBB100_682
; %bb.677:
	v_cmp_ngt_f64_e64 s[16:17], |v[204:205]|, |v[206:207]|
	s_and_saveexec_b64 s[18:19], s[16:17]
	s_xor_b64 s[16:17], exec, s[18:19]
	s_cbranch_execz .LBB100_679
; %bb.678:
	v_div_scale_f64 v[220:221], s[18:19], v[206:207], v[206:207], v[204:205]
	v_rcp_f64_e32 v[222:223], v[220:221]
	v_div_scale_f64 v[224:225], vcc, v[204:205], v[206:207], v[204:205]
	v_fma_f64 v[226:227], -v[220:221], v[222:223], 1.0
	v_fmac_f64_e32 v[222:223], v[222:223], v[226:227]
	v_fma_f64 v[226:227], -v[220:221], v[222:223], 1.0
	v_fmac_f64_e32 v[222:223], v[222:223], v[226:227]
	v_mul_f64 v[226:227], v[224:225], v[222:223]
	v_fma_f64 v[220:221], -v[220:221], v[226:227], v[224:225]
	v_div_fmas_f64 v[220:221], v[220:221], v[222:223], v[226:227]
	v_div_fixup_f64 v[220:221], v[220:221], v[206:207], v[204:205]
	v_fmac_f64_e32 v[206:207], v[204:205], v[220:221]
	v_div_scale_f64 v[204:205], s[18:19], v[206:207], v[206:207], 1.0
	v_rcp_f64_e32 v[222:223], v[204:205]
	s_nop 0
	v_fma_f64 v[224:225], -v[204:205], v[222:223], 1.0
	v_fmac_f64_e32 v[222:223], v[222:223], v[224:225]
	v_fma_f64 v[224:225], -v[204:205], v[222:223], 1.0
	v_fmac_f64_e32 v[222:223], v[222:223], v[224:225]
	v_div_scale_f64 v[224:225], vcc, 1.0, v[206:207], 1.0
	v_mul_f64 v[226:227], v[224:225], v[222:223]
	v_fma_f64 v[204:205], -v[204:205], v[226:227], v[224:225]
	s_nop 1
	v_div_fmas_f64 v[204:205], v[204:205], v[222:223], v[226:227]
	v_div_fixup_f64 v[206:207], v[204:205], v[206:207], 1.0
	v_mul_f64 v[204:205], v[220:221], v[206:207]
	v_xor_b32_e32 v207, 0x80000000, v207
.LBB100_679:
	s_andn2_saveexec_b64 s[16:17], s[16:17]
	s_cbranch_execz .LBB100_681
; %bb.680:
	v_div_scale_f64 v[220:221], s[18:19], v[204:205], v[204:205], v[206:207]
	v_rcp_f64_e32 v[222:223], v[220:221]
	v_div_scale_f64 v[224:225], vcc, v[206:207], v[204:205], v[206:207]
	v_fma_f64 v[226:227], -v[220:221], v[222:223], 1.0
	v_fmac_f64_e32 v[222:223], v[222:223], v[226:227]
	v_fma_f64 v[226:227], -v[220:221], v[222:223], 1.0
	v_fmac_f64_e32 v[222:223], v[222:223], v[226:227]
	v_mul_f64 v[226:227], v[224:225], v[222:223]
	v_fma_f64 v[220:221], -v[220:221], v[226:227], v[224:225]
	v_div_fmas_f64 v[220:221], v[220:221], v[222:223], v[226:227]
	v_div_fixup_f64 v[220:221], v[220:221], v[204:205], v[206:207]
	v_fmac_f64_e32 v[204:205], v[206:207], v[220:221]
	v_div_scale_f64 v[206:207], s[18:19], v[204:205], v[204:205], 1.0
	v_rcp_f64_e32 v[222:223], v[206:207]
	s_nop 0
	v_fma_f64 v[224:225], -v[206:207], v[222:223], 1.0
	v_fmac_f64_e32 v[222:223], v[222:223], v[224:225]
	v_fma_f64 v[224:225], -v[206:207], v[222:223], 1.0
	v_fmac_f64_e32 v[222:223], v[222:223], v[224:225]
	v_div_scale_f64 v[224:225], vcc, 1.0, v[204:205], 1.0
	v_mul_f64 v[226:227], v[224:225], v[222:223]
	v_fma_f64 v[206:207], -v[206:207], v[226:227], v[224:225]
	s_nop 1
	v_div_fmas_f64 v[206:207], v[206:207], v[222:223], v[226:227]
	v_div_fixup_f64 v[204:205], v[206:207], v[204:205], 1.0
	v_mul_f64 v[206:207], v[220:221], -v[204:205]
.LBB100_681:
	s_or_b64 exec, exec, s[16:17]
.LBB100_682:
	s_or_b64 exec, exec, s[0:1]
	v_cmp_ne_u32_e32 vcc, v217, v214
	s_and_saveexec_b64 s[0:1], vcc
	s_xor_b64 s[0:1], exec, s[0:1]
	s_cbranch_execz .LBB100_688
; %bb.683:
	v_cmp_eq_u32_e32 vcc, 32, v217
	s_and_saveexec_b64 s[16:17], vcc
	s_cbranch_execz .LBB100_687
; %bb.684:
	v_cmp_ne_u32_e32 vcc, 32, v214
	s_xor_b64 s[18:19], s[14:15], -1
	s_and_b64 s[22:23], s[18:19], vcc
	s_and_saveexec_b64 s[18:19], s[22:23]
	s_cbranch_execz .LBB100_686
; %bb.685:
	v_ashrrev_i32_e32 v215, 31, v214
	v_lshl_add_u64 v[220:221], v[214:215], 2, v[212:213]
	global_load_dword v215, v[220:221], off
	global_load_dword v217, v[212:213], off offset:128
	s_waitcnt vmcnt(1)
	global_store_dword v[212:213], v215, off offset:128
	s_waitcnt vmcnt(1)
	global_store_dword v[220:221], v217, off
.LBB100_686:
	s_or_b64 exec, exec, s[18:19]
	v_mov_b32_e32 v217, v214
	v_mov_b32_e32 v219, v214
.LBB100_687:
	s_or_b64 exec, exec, s[16:17]
.LBB100_688:
	s_andn2_saveexec_b64 s[0:1], s[0:1]
	s_cbranch_execz .LBB100_690
; %bb.689:
	v_mov_b32_e32 v217, 32
	s_waitcnt vmcnt(17)
	ds_write2_b64 v216, v[64:65], v[66:67] offset0:66 offset1:67
	s_waitcnt vmcnt(16)
	ds_write2_b64 v216, v[60:61], v[62:63] offset0:68 offset1:69
	;; [unrolled: 2-line block ×18, first 2 shown]
.LBB100_690:
	s_or_b64 exec, exec, s[0:1]
	v_cmp_lt_i32_e32 vcc, 32, v217
	s_waitcnt lgkmcnt(0)
	s_barrier
	s_and_saveexec_b64 s[0:1], vcc
	s_cbranch_execz .LBB100_692
; %bb.691:
	ds_read2_b64 v[220:223], v216 offset0:66 offset1:67
	v_mul_f64 v[214:215], v[206:207], v[70:71]
	v_mul_f64 v[70:71], v[204:205], v[70:71]
	v_fma_f64 v[214:215], v[204:205], v[68:69], -v[214:215]
	v_fmac_f64_e32 v[70:71], v[206:207], v[68:69]
	ds_read2_b64 v[204:207], v216 offset0:68 offset1:69
	s_waitcnt lgkmcnt(1)
	v_mul_f64 v[68:69], v[222:223], v[70:71]
	v_fma_f64 v[68:69], v[220:221], v[214:215], -v[68:69]
	v_mul_f64 v[220:221], v[220:221], v[70:71]
	v_fmac_f64_e32 v[220:221], v[222:223], v[214:215]
	s_waitcnt vmcnt(17)
	v_add_f64 v[64:65], v[64:65], -v[68:69]
	s_waitcnt lgkmcnt(0)
	v_mul_f64 v[68:69], v[206:207], v[70:71]
	v_add_f64 v[66:67], v[66:67], -v[220:221]
	v_fma_f64 v[68:69], v[204:205], v[214:215], -v[68:69]
	v_mul_f64 v[204:205], v[204:205], v[70:71]
	ds_read2_b64 v[220:223], v216 offset0:70 offset1:71
	v_fmac_f64_e32 v[204:205], v[206:207], v[214:215]
	s_waitcnt vmcnt(16)
	v_add_f64 v[62:63], v[62:63], -v[204:205]
	ds_read2_b64 v[204:207], v216 offset0:72 offset1:73
	v_add_f64 v[60:61], v[60:61], -v[68:69]
	s_waitcnt lgkmcnt(1)
	v_mul_f64 v[68:69], v[222:223], v[70:71]
	v_fma_f64 v[68:69], v[220:221], v[214:215], -v[68:69]
	v_mul_f64 v[220:221], v[220:221], v[70:71]
	v_fmac_f64_e32 v[220:221], v[222:223], v[214:215]
	s_waitcnt vmcnt(15)
	v_add_f64 v[56:57], v[56:57], -v[68:69]
	s_waitcnt lgkmcnt(0)
	v_mul_f64 v[68:69], v[206:207], v[70:71]
	v_add_f64 v[58:59], v[58:59], -v[220:221]
	v_fma_f64 v[68:69], v[204:205], v[214:215], -v[68:69]
	v_mul_f64 v[204:205], v[204:205], v[70:71]
	ds_read2_b64 v[220:223], v216 offset0:74 offset1:75
	v_fmac_f64_e32 v[204:205], v[206:207], v[214:215]
	s_waitcnt vmcnt(14)
	v_add_f64 v[54:55], v[54:55], -v[204:205]
	ds_read2_b64 v[204:207], v216 offset0:76 offset1:77
	v_add_f64 v[52:53], v[52:53], -v[68:69]
	;; [unrolled: 18-line block ×8, first 2 shown]
	s_waitcnt lgkmcnt(1)
	v_mul_f64 v[68:69], v[222:223], v[70:71]
	v_fma_f64 v[68:69], v[220:221], v[214:215], -v[68:69]
	s_waitcnt vmcnt(1)
	v_add_f64 v[0:1], v[0:1], -v[68:69]
	s_waitcnt lgkmcnt(0)
	v_mul_f64 v[68:69], v[206:207], v[70:71]
	v_mul_f64 v[220:221], v[220:221], v[70:71]
	v_fma_f64 v[68:69], v[204:205], v[214:215], -v[68:69]
	v_mul_f64 v[204:205], v[204:205], v[70:71]
	v_fmac_f64_e32 v[220:221], v[222:223], v[214:215]
	v_fmac_f64_e32 v[204:205], v[206:207], v[214:215]
	v_add_f64 v[2:3], v[2:3], -v[220:221]
	s_waitcnt vmcnt(0)
	v_add_f64 v[200:201], v[200:201], -v[68:69]
	v_add_f64 v[202:203], v[202:203], -v[204:205]
	v_mov_b64_e32 v[68:69], v[214:215]
.LBB100_692:
	s_or_b64 exec, exec, s[0:1]
	v_lshl_add_u32 v204, v217, 4, v216
	s_barrier
	s_waitcnt vmcnt(17)
	ds_write2_b64 v204, v[64:65], v[66:67] offset1:1
	s_waitcnt lgkmcnt(0)
	s_barrier
	ds_read2_b64 v[204:207], v216 offset0:66 offset1:67
	s_cmp_lt_i32 s20, 35
	v_mov_b32_e32 v214, 33
	s_cbranch_scc1 .LBB100_695
; %bb.693:
	v_add_u32_e32 v215, 0x220, v216
	s_mov_b32 s16, 34
	v_mov_b32_e32 v214, 33
.LBB100_694:                            ; =>This Inner Loop Header: Depth=1
	ds_read2_b64 v[220:223], v215 offset1:1
	s_waitcnt lgkmcnt(1)
	v_xor_b32_e32 v225, 0x80000000, v205
	v_xor_b32_e32 v227, 0x80000000, v207
	v_cmp_gt_f64_e32 vcc, 0, v[206:207]
	v_cmp_gt_f64_e64 s[0:1], 0, v[204:205]
	v_mov_b32_e32 v224, v204
	v_mov_b32_e32 v226, v206
	v_cndmask_b32_e64 v225, v205, v225, s[0:1]
	v_cndmask_b32_e32 v227, v207, v227, vcc
	v_add_f64 v[224:225], v[224:225], v[226:227]
	s_waitcnt lgkmcnt(0)
	v_xor_b32_e32 v227, 0x80000000, v221
	v_xor_b32_e32 v229, 0x80000000, v223
	v_cmp_gt_f64_e32 vcc, 0, v[222:223]
	v_cmp_gt_f64_e64 s[0:1], 0, v[220:221]
	v_mov_b32_e32 v226, v220
	v_mov_b32_e32 v228, v222
	v_cndmask_b32_e64 v227, v221, v227, s[0:1]
	v_cndmask_b32_e32 v229, v223, v229, vcc
	v_add_f64 v[226:227], v[226:227], v[228:229]
	v_mov_b32_e32 v230, s16
	s_add_i32 s16, s16, 1
	v_cmp_lt_f64_e32 vcc, v[224:225], v[226:227]
	v_add_u32_e32 v215, 16, v215
	s_cmp_lg_u32 s20, s16
	v_cndmask_b32_e32 v205, v205, v221, vcc
	v_cndmask_b32_e32 v204, v204, v220, vcc
	;; [unrolled: 1-line block ×5, first 2 shown]
	s_cbranch_scc1 .LBB100_694
.LBB100_695:
	s_waitcnt lgkmcnt(0)
	v_cmp_eq_f64_e32 vcc, 0, v[204:205]
	v_cmp_eq_f64_e64 s[0:1], 0, v[206:207]
	s_and_b64 s[0:1], vcc, s[0:1]
	s_and_saveexec_b64 s[16:17], s[0:1]
	s_xor_b64 s[0:1], exec, s[16:17]
; %bb.696:
	v_cmp_ne_u32_e32 vcc, 0, v218
	s_nop 1
	v_cndmask_b32_e32 v218, 34, v218, vcc
; %bb.697:
	s_andn2_saveexec_b64 s[0:1], s[0:1]
	s_cbranch_execz .LBB100_703
; %bb.698:
	v_cmp_ngt_f64_e64 s[16:17], |v[204:205]|, |v[206:207]|
	s_and_saveexec_b64 s[18:19], s[16:17]
	s_xor_b64 s[16:17], exec, s[18:19]
	s_cbranch_execz .LBB100_700
; %bb.699:
	v_div_scale_f64 v[220:221], s[18:19], v[206:207], v[206:207], v[204:205]
	v_rcp_f64_e32 v[222:223], v[220:221]
	v_div_scale_f64 v[224:225], vcc, v[204:205], v[206:207], v[204:205]
	v_fma_f64 v[226:227], -v[220:221], v[222:223], 1.0
	v_fmac_f64_e32 v[222:223], v[222:223], v[226:227]
	v_fma_f64 v[226:227], -v[220:221], v[222:223], 1.0
	v_fmac_f64_e32 v[222:223], v[222:223], v[226:227]
	v_mul_f64 v[226:227], v[224:225], v[222:223]
	v_fma_f64 v[220:221], -v[220:221], v[226:227], v[224:225]
	v_div_fmas_f64 v[220:221], v[220:221], v[222:223], v[226:227]
	v_div_fixup_f64 v[220:221], v[220:221], v[206:207], v[204:205]
	v_fmac_f64_e32 v[206:207], v[204:205], v[220:221]
	v_div_scale_f64 v[204:205], s[18:19], v[206:207], v[206:207], 1.0
	v_rcp_f64_e32 v[222:223], v[204:205]
	s_nop 0
	v_fma_f64 v[224:225], -v[204:205], v[222:223], 1.0
	v_fmac_f64_e32 v[222:223], v[222:223], v[224:225]
	v_fma_f64 v[224:225], -v[204:205], v[222:223], 1.0
	v_fmac_f64_e32 v[222:223], v[222:223], v[224:225]
	v_div_scale_f64 v[224:225], vcc, 1.0, v[206:207], 1.0
	v_mul_f64 v[226:227], v[224:225], v[222:223]
	v_fma_f64 v[204:205], -v[204:205], v[226:227], v[224:225]
	s_nop 1
	v_div_fmas_f64 v[204:205], v[204:205], v[222:223], v[226:227]
	v_div_fixup_f64 v[206:207], v[204:205], v[206:207], 1.0
	v_mul_f64 v[204:205], v[220:221], v[206:207]
	v_xor_b32_e32 v207, 0x80000000, v207
.LBB100_700:
	s_andn2_saveexec_b64 s[16:17], s[16:17]
	s_cbranch_execz .LBB100_702
; %bb.701:
	v_div_scale_f64 v[220:221], s[18:19], v[204:205], v[204:205], v[206:207]
	v_rcp_f64_e32 v[222:223], v[220:221]
	v_div_scale_f64 v[224:225], vcc, v[206:207], v[204:205], v[206:207]
	v_fma_f64 v[226:227], -v[220:221], v[222:223], 1.0
	v_fmac_f64_e32 v[222:223], v[222:223], v[226:227]
	v_fma_f64 v[226:227], -v[220:221], v[222:223], 1.0
	v_fmac_f64_e32 v[222:223], v[222:223], v[226:227]
	v_mul_f64 v[226:227], v[224:225], v[222:223]
	v_fma_f64 v[220:221], -v[220:221], v[226:227], v[224:225]
	v_div_fmas_f64 v[220:221], v[220:221], v[222:223], v[226:227]
	v_div_fixup_f64 v[220:221], v[220:221], v[204:205], v[206:207]
	v_fmac_f64_e32 v[204:205], v[206:207], v[220:221]
	v_div_scale_f64 v[206:207], s[18:19], v[204:205], v[204:205], 1.0
	v_rcp_f64_e32 v[222:223], v[206:207]
	s_nop 0
	v_fma_f64 v[224:225], -v[206:207], v[222:223], 1.0
	v_fmac_f64_e32 v[222:223], v[222:223], v[224:225]
	v_fma_f64 v[224:225], -v[206:207], v[222:223], 1.0
	v_fmac_f64_e32 v[222:223], v[222:223], v[224:225]
	v_div_scale_f64 v[224:225], vcc, 1.0, v[204:205], 1.0
	v_mul_f64 v[226:227], v[224:225], v[222:223]
	v_fma_f64 v[206:207], -v[206:207], v[226:227], v[224:225]
	s_nop 1
	v_div_fmas_f64 v[206:207], v[206:207], v[222:223], v[226:227]
	v_div_fixup_f64 v[204:205], v[206:207], v[204:205], 1.0
	v_mul_f64 v[206:207], v[220:221], -v[204:205]
.LBB100_702:
	s_or_b64 exec, exec, s[16:17]
.LBB100_703:
	s_or_b64 exec, exec, s[0:1]
	v_cmp_ne_u32_e32 vcc, v217, v214
	s_and_saveexec_b64 s[0:1], vcc
	s_xor_b64 s[0:1], exec, s[0:1]
	s_cbranch_execz .LBB100_709
; %bb.704:
	v_cmp_eq_u32_e32 vcc, 33, v217
	s_and_saveexec_b64 s[16:17], vcc
	s_cbranch_execz .LBB100_708
; %bb.705:
	v_cmp_ne_u32_e32 vcc, 33, v214
	s_xor_b64 s[18:19], s[14:15], -1
	s_and_b64 s[22:23], s[18:19], vcc
	s_and_saveexec_b64 s[18:19], s[22:23]
	s_cbranch_execz .LBB100_707
; %bb.706:
	v_ashrrev_i32_e32 v215, 31, v214
	v_lshl_add_u64 v[220:221], v[214:215], 2, v[212:213]
	global_load_dword v215, v[220:221], off
	global_load_dword v217, v[212:213], off offset:132
	s_waitcnt vmcnt(1)
	global_store_dword v[212:213], v215, off offset:132
	s_waitcnt vmcnt(1)
	global_store_dword v[220:221], v217, off
.LBB100_707:
	s_or_b64 exec, exec, s[18:19]
	v_mov_b32_e32 v217, v214
	v_mov_b32_e32 v219, v214
.LBB100_708:
	s_or_b64 exec, exec, s[16:17]
.LBB100_709:
	s_andn2_saveexec_b64 s[0:1], s[0:1]
	s_cbranch_execz .LBB100_711
; %bb.710:
	v_mov_b32_e32 v217, 33
	s_waitcnt vmcnt(16)
	ds_write2_b64 v216, v[60:61], v[62:63] offset0:68 offset1:69
	s_waitcnt vmcnt(15)
	ds_write2_b64 v216, v[56:57], v[58:59] offset0:70 offset1:71
	;; [unrolled: 2-line block ×17, first 2 shown]
.LBB100_711:
	s_or_b64 exec, exec, s[0:1]
	v_cmp_lt_i32_e32 vcc, 33, v217
	s_waitcnt lgkmcnt(0)
	s_barrier
	s_and_saveexec_b64 s[0:1], vcc
	s_cbranch_execz .LBB100_713
; %bb.712:
	ds_read2_b64 v[220:223], v216 offset0:68 offset1:69
	v_mul_f64 v[214:215], v[206:207], v[66:67]
	v_mul_f64 v[66:67], v[204:205], v[66:67]
	v_fmac_f64_e32 v[66:67], v[206:207], v[64:65]
	v_fma_f64 v[214:215], v[204:205], v[64:65], -v[214:215]
	ds_read2_b64 v[204:207], v216 offset0:70 offset1:71
	s_waitcnt lgkmcnt(1)
	v_mul_f64 v[64:65], v[222:223], v[66:67]
	v_fma_f64 v[64:65], v[220:221], v[214:215], -v[64:65]
	v_mul_f64 v[220:221], v[220:221], v[66:67]
	v_fmac_f64_e32 v[220:221], v[222:223], v[214:215]
	s_waitcnt vmcnt(16)
	v_add_f64 v[62:63], v[62:63], -v[220:221]
	ds_read2_b64 v[220:223], v216 offset0:72 offset1:73
	v_add_f64 v[60:61], v[60:61], -v[64:65]
	s_waitcnt lgkmcnt(1)
	v_mul_f64 v[64:65], v[206:207], v[66:67]
	v_fma_f64 v[64:65], v[204:205], v[214:215], -v[64:65]
	v_mul_f64 v[204:205], v[204:205], v[66:67]
	v_fmac_f64_e32 v[204:205], v[206:207], v[214:215]
	s_waitcnt vmcnt(15)
	v_add_f64 v[56:57], v[56:57], -v[64:65]
	v_add_f64 v[58:59], v[58:59], -v[204:205]
	ds_read2_b64 v[204:207], v216 offset0:74 offset1:75
	s_waitcnt lgkmcnt(1)
	v_mul_f64 v[64:65], v[222:223], v[66:67]
	v_fma_f64 v[64:65], v[220:221], v[214:215], -v[64:65]
	v_mul_f64 v[220:221], v[220:221], v[66:67]
	v_fmac_f64_e32 v[220:221], v[222:223], v[214:215]
	s_waitcnt vmcnt(14)
	v_add_f64 v[54:55], v[54:55], -v[220:221]
	ds_read2_b64 v[220:223], v216 offset0:76 offset1:77
	v_add_f64 v[52:53], v[52:53], -v[64:65]
	s_waitcnt lgkmcnt(1)
	v_mul_f64 v[64:65], v[206:207], v[66:67]
	v_fma_f64 v[64:65], v[204:205], v[214:215], -v[64:65]
	v_mul_f64 v[204:205], v[204:205], v[66:67]
	v_fmac_f64_e32 v[204:205], v[206:207], v[214:215]
	s_waitcnt vmcnt(13)
	v_add_f64 v[48:49], v[48:49], -v[64:65]
	v_add_f64 v[50:51], v[50:51], -v[204:205]
	ds_read2_b64 v[204:207], v216 offset0:78 offset1:79
	s_waitcnt lgkmcnt(1)
	v_mul_f64 v[64:65], v[222:223], v[66:67]
	v_fma_f64 v[64:65], v[220:221], v[214:215], -v[64:65]
	v_mul_f64 v[220:221], v[220:221], v[66:67]
	v_fmac_f64_e32 v[220:221], v[222:223], v[214:215]
	s_waitcnt vmcnt(12)
	v_add_f64 v[46:47], v[46:47], -v[220:221]
	ds_read2_b64 v[220:223], v216 offset0:80 offset1:81
	v_add_f64 v[44:45], v[44:45], -v[64:65]
	s_waitcnt lgkmcnt(1)
	v_mul_f64 v[64:65], v[206:207], v[66:67]
	v_fma_f64 v[64:65], v[204:205], v[214:215], -v[64:65]
	v_mul_f64 v[204:205], v[204:205], v[66:67]
	v_fmac_f64_e32 v[204:205], v[206:207], v[214:215]
	s_waitcnt vmcnt(11)
	v_add_f64 v[40:41], v[40:41], -v[64:65]
	v_add_f64 v[42:43], v[42:43], -v[204:205]
	ds_read2_b64 v[204:207], v216 offset0:82 offset1:83
	s_waitcnt lgkmcnt(1)
	v_mul_f64 v[64:65], v[222:223], v[66:67]
	v_fma_f64 v[64:65], v[220:221], v[214:215], -v[64:65]
	v_mul_f64 v[220:221], v[220:221], v[66:67]
	v_fmac_f64_e32 v[220:221], v[222:223], v[214:215]
	s_waitcnt vmcnt(10)
	v_add_f64 v[38:39], v[38:39], -v[220:221]
	ds_read2_b64 v[220:223], v216 offset0:84 offset1:85
	v_add_f64 v[36:37], v[36:37], -v[64:65]
	s_waitcnt lgkmcnt(1)
	v_mul_f64 v[64:65], v[206:207], v[66:67]
	v_fma_f64 v[64:65], v[204:205], v[214:215], -v[64:65]
	v_mul_f64 v[204:205], v[204:205], v[66:67]
	v_fmac_f64_e32 v[204:205], v[206:207], v[214:215]
	s_waitcnt vmcnt(9)
	v_add_f64 v[32:33], v[32:33], -v[64:65]
	v_add_f64 v[34:35], v[34:35], -v[204:205]
	ds_read2_b64 v[204:207], v216 offset0:86 offset1:87
	s_waitcnt lgkmcnt(1)
	v_mul_f64 v[64:65], v[222:223], v[66:67]
	v_fma_f64 v[64:65], v[220:221], v[214:215], -v[64:65]
	v_mul_f64 v[220:221], v[220:221], v[66:67]
	v_fmac_f64_e32 v[220:221], v[222:223], v[214:215]
	s_waitcnt vmcnt(8)
	v_add_f64 v[30:31], v[30:31], -v[220:221]
	ds_read2_b64 v[220:223], v216 offset0:88 offset1:89
	v_add_f64 v[28:29], v[28:29], -v[64:65]
	s_waitcnt lgkmcnt(1)
	v_mul_f64 v[64:65], v[206:207], v[66:67]
	v_fma_f64 v[64:65], v[204:205], v[214:215], -v[64:65]
	v_mul_f64 v[204:205], v[204:205], v[66:67]
	v_fmac_f64_e32 v[204:205], v[206:207], v[214:215]
	s_waitcnt vmcnt(7)
	v_add_f64 v[24:25], v[24:25], -v[64:65]
	v_add_f64 v[26:27], v[26:27], -v[204:205]
	ds_read2_b64 v[204:207], v216 offset0:90 offset1:91
	s_waitcnt lgkmcnt(1)
	v_mul_f64 v[64:65], v[222:223], v[66:67]
	v_fma_f64 v[64:65], v[220:221], v[214:215], -v[64:65]
	v_mul_f64 v[220:221], v[220:221], v[66:67]
	v_fmac_f64_e32 v[220:221], v[222:223], v[214:215]
	s_waitcnt vmcnt(6)
	v_add_f64 v[22:23], v[22:23], -v[220:221]
	ds_read2_b64 v[220:223], v216 offset0:92 offset1:93
	v_add_f64 v[20:21], v[20:21], -v[64:65]
	s_waitcnt lgkmcnt(1)
	v_mul_f64 v[64:65], v[206:207], v[66:67]
	v_fma_f64 v[64:65], v[204:205], v[214:215], -v[64:65]
	v_mul_f64 v[204:205], v[204:205], v[66:67]
	v_fmac_f64_e32 v[204:205], v[206:207], v[214:215]
	s_waitcnt vmcnt(5)
	v_add_f64 v[16:17], v[16:17], -v[64:65]
	v_add_f64 v[18:19], v[18:19], -v[204:205]
	ds_read2_b64 v[204:207], v216 offset0:94 offset1:95
	s_waitcnt lgkmcnt(1)
	v_mul_f64 v[64:65], v[222:223], v[66:67]
	v_fma_f64 v[64:65], v[220:221], v[214:215], -v[64:65]
	v_mul_f64 v[220:221], v[220:221], v[66:67]
	v_fmac_f64_e32 v[220:221], v[222:223], v[214:215]
	s_waitcnt vmcnt(4)
	v_add_f64 v[14:15], v[14:15], -v[220:221]
	ds_read2_b64 v[220:223], v216 offset0:96 offset1:97
	v_add_f64 v[12:13], v[12:13], -v[64:65]
	s_waitcnt lgkmcnt(1)
	v_mul_f64 v[64:65], v[206:207], v[66:67]
	v_fma_f64 v[64:65], v[204:205], v[214:215], -v[64:65]
	v_mul_f64 v[204:205], v[204:205], v[66:67]
	v_fmac_f64_e32 v[204:205], v[206:207], v[214:215]
	s_waitcnt vmcnt(3)
	v_add_f64 v[8:9], v[8:9], -v[64:65]
	v_add_f64 v[10:11], v[10:11], -v[204:205]
	ds_read2_b64 v[204:207], v216 offset0:98 offset1:99
	s_waitcnt lgkmcnt(1)
	v_mul_f64 v[64:65], v[222:223], v[66:67]
	v_fma_f64 v[64:65], v[220:221], v[214:215], -v[64:65]
	v_mul_f64 v[220:221], v[220:221], v[66:67]
	v_fmac_f64_e32 v[220:221], v[222:223], v[214:215]
	s_waitcnt vmcnt(2)
	v_add_f64 v[6:7], v[6:7], -v[220:221]
	ds_read2_b64 v[220:223], v216 offset0:100 offset1:101
	v_add_f64 v[4:5], v[4:5], -v[64:65]
	s_waitcnt lgkmcnt(1)
	v_mul_f64 v[64:65], v[206:207], v[66:67]
	v_fma_f64 v[64:65], v[204:205], v[214:215], -v[64:65]
	v_mul_f64 v[204:205], v[204:205], v[66:67]
	v_fmac_f64_e32 v[204:205], v[206:207], v[214:215]
	s_waitcnt vmcnt(1)
	v_add_f64 v[0:1], v[0:1], -v[64:65]
	v_add_f64 v[2:3], v[2:3], -v[204:205]
	s_waitcnt lgkmcnt(0)
	v_mul_f64 v[64:65], v[222:223], v[66:67]
	v_mul_f64 v[204:205], v[220:221], v[66:67]
	v_fma_f64 v[64:65], v[220:221], v[214:215], -v[64:65]
	v_fmac_f64_e32 v[204:205], v[222:223], v[214:215]
	s_waitcnt vmcnt(0)
	v_add_f64 v[200:201], v[200:201], -v[64:65]
	v_add_f64 v[202:203], v[202:203], -v[204:205]
	v_mov_b64_e32 v[64:65], v[214:215]
.LBB100_713:
	s_or_b64 exec, exec, s[0:1]
	v_lshl_add_u32 v204, v217, 4, v216
	s_barrier
	s_waitcnt vmcnt(16)
	ds_write2_b64 v204, v[60:61], v[62:63] offset1:1
	s_waitcnt lgkmcnt(0)
	s_barrier
	ds_read2_b64 v[204:207], v216 offset0:68 offset1:69
	s_cmp_lt_i32 s20, 36
	v_mov_b32_e32 v214, 34
	s_cbranch_scc1 .LBB100_716
; %bb.714:
	v_add_u32_e32 v215, 0x230, v216
	s_mov_b32 s16, 35
	v_mov_b32_e32 v214, 34
.LBB100_715:                            ; =>This Inner Loop Header: Depth=1
	ds_read2_b64 v[220:223], v215 offset1:1
	s_waitcnt lgkmcnt(1)
	v_xor_b32_e32 v225, 0x80000000, v205
	v_xor_b32_e32 v227, 0x80000000, v207
	v_cmp_gt_f64_e32 vcc, 0, v[206:207]
	v_cmp_gt_f64_e64 s[0:1], 0, v[204:205]
	v_mov_b32_e32 v224, v204
	v_mov_b32_e32 v226, v206
	v_cndmask_b32_e64 v225, v205, v225, s[0:1]
	v_cndmask_b32_e32 v227, v207, v227, vcc
	v_add_f64 v[224:225], v[224:225], v[226:227]
	s_waitcnt lgkmcnt(0)
	v_xor_b32_e32 v227, 0x80000000, v221
	v_xor_b32_e32 v229, 0x80000000, v223
	v_cmp_gt_f64_e32 vcc, 0, v[222:223]
	v_cmp_gt_f64_e64 s[0:1], 0, v[220:221]
	v_mov_b32_e32 v226, v220
	v_mov_b32_e32 v228, v222
	v_cndmask_b32_e64 v227, v221, v227, s[0:1]
	v_cndmask_b32_e32 v229, v223, v229, vcc
	v_add_f64 v[226:227], v[226:227], v[228:229]
	v_mov_b32_e32 v230, s16
	s_add_i32 s16, s16, 1
	v_cmp_lt_f64_e32 vcc, v[224:225], v[226:227]
	v_add_u32_e32 v215, 16, v215
	s_cmp_lg_u32 s20, s16
	v_cndmask_b32_e32 v205, v205, v221, vcc
	v_cndmask_b32_e32 v204, v204, v220, vcc
	;; [unrolled: 1-line block ×5, first 2 shown]
	s_cbranch_scc1 .LBB100_715
.LBB100_716:
	s_waitcnt lgkmcnt(0)
	v_cmp_eq_f64_e32 vcc, 0, v[204:205]
	v_cmp_eq_f64_e64 s[0:1], 0, v[206:207]
	s_and_b64 s[0:1], vcc, s[0:1]
	s_and_saveexec_b64 s[16:17], s[0:1]
	s_xor_b64 s[0:1], exec, s[16:17]
; %bb.717:
	v_cmp_ne_u32_e32 vcc, 0, v218
	s_nop 1
	v_cndmask_b32_e32 v218, 35, v218, vcc
; %bb.718:
	s_andn2_saveexec_b64 s[0:1], s[0:1]
	s_cbranch_execz .LBB100_724
; %bb.719:
	v_cmp_ngt_f64_e64 s[16:17], |v[204:205]|, |v[206:207]|
	s_and_saveexec_b64 s[18:19], s[16:17]
	s_xor_b64 s[16:17], exec, s[18:19]
	s_cbranch_execz .LBB100_721
; %bb.720:
	v_div_scale_f64 v[220:221], s[18:19], v[206:207], v[206:207], v[204:205]
	v_rcp_f64_e32 v[222:223], v[220:221]
	v_div_scale_f64 v[224:225], vcc, v[204:205], v[206:207], v[204:205]
	v_fma_f64 v[226:227], -v[220:221], v[222:223], 1.0
	v_fmac_f64_e32 v[222:223], v[222:223], v[226:227]
	v_fma_f64 v[226:227], -v[220:221], v[222:223], 1.0
	v_fmac_f64_e32 v[222:223], v[222:223], v[226:227]
	v_mul_f64 v[226:227], v[224:225], v[222:223]
	v_fma_f64 v[220:221], -v[220:221], v[226:227], v[224:225]
	v_div_fmas_f64 v[220:221], v[220:221], v[222:223], v[226:227]
	v_div_fixup_f64 v[220:221], v[220:221], v[206:207], v[204:205]
	v_fmac_f64_e32 v[206:207], v[204:205], v[220:221]
	v_div_scale_f64 v[204:205], s[18:19], v[206:207], v[206:207], 1.0
	v_rcp_f64_e32 v[222:223], v[204:205]
	s_nop 0
	v_fma_f64 v[224:225], -v[204:205], v[222:223], 1.0
	v_fmac_f64_e32 v[222:223], v[222:223], v[224:225]
	v_fma_f64 v[224:225], -v[204:205], v[222:223], 1.0
	v_fmac_f64_e32 v[222:223], v[222:223], v[224:225]
	v_div_scale_f64 v[224:225], vcc, 1.0, v[206:207], 1.0
	v_mul_f64 v[226:227], v[224:225], v[222:223]
	v_fma_f64 v[204:205], -v[204:205], v[226:227], v[224:225]
	s_nop 1
	v_div_fmas_f64 v[204:205], v[204:205], v[222:223], v[226:227]
	v_div_fixup_f64 v[206:207], v[204:205], v[206:207], 1.0
	v_mul_f64 v[204:205], v[220:221], v[206:207]
	v_xor_b32_e32 v207, 0x80000000, v207
.LBB100_721:
	s_andn2_saveexec_b64 s[16:17], s[16:17]
	s_cbranch_execz .LBB100_723
; %bb.722:
	v_div_scale_f64 v[220:221], s[18:19], v[204:205], v[204:205], v[206:207]
	v_rcp_f64_e32 v[222:223], v[220:221]
	v_div_scale_f64 v[224:225], vcc, v[206:207], v[204:205], v[206:207]
	v_fma_f64 v[226:227], -v[220:221], v[222:223], 1.0
	v_fmac_f64_e32 v[222:223], v[222:223], v[226:227]
	v_fma_f64 v[226:227], -v[220:221], v[222:223], 1.0
	v_fmac_f64_e32 v[222:223], v[222:223], v[226:227]
	v_mul_f64 v[226:227], v[224:225], v[222:223]
	v_fma_f64 v[220:221], -v[220:221], v[226:227], v[224:225]
	v_div_fmas_f64 v[220:221], v[220:221], v[222:223], v[226:227]
	v_div_fixup_f64 v[220:221], v[220:221], v[204:205], v[206:207]
	v_fmac_f64_e32 v[204:205], v[206:207], v[220:221]
	v_div_scale_f64 v[206:207], s[18:19], v[204:205], v[204:205], 1.0
	v_rcp_f64_e32 v[222:223], v[206:207]
	s_nop 0
	v_fma_f64 v[224:225], -v[206:207], v[222:223], 1.0
	v_fmac_f64_e32 v[222:223], v[222:223], v[224:225]
	v_fma_f64 v[224:225], -v[206:207], v[222:223], 1.0
	v_fmac_f64_e32 v[222:223], v[222:223], v[224:225]
	v_div_scale_f64 v[224:225], vcc, 1.0, v[204:205], 1.0
	v_mul_f64 v[226:227], v[224:225], v[222:223]
	v_fma_f64 v[206:207], -v[206:207], v[226:227], v[224:225]
	s_nop 1
	v_div_fmas_f64 v[206:207], v[206:207], v[222:223], v[226:227]
	v_div_fixup_f64 v[204:205], v[206:207], v[204:205], 1.0
	v_mul_f64 v[206:207], v[220:221], -v[204:205]
.LBB100_723:
	s_or_b64 exec, exec, s[16:17]
.LBB100_724:
	s_or_b64 exec, exec, s[0:1]
	v_cmp_ne_u32_e32 vcc, v217, v214
	s_and_saveexec_b64 s[0:1], vcc
	s_xor_b64 s[0:1], exec, s[0:1]
	s_cbranch_execz .LBB100_730
; %bb.725:
	v_cmp_eq_u32_e32 vcc, 34, v217
	s_and_saveexec_b64 s[16:17], vcc
	s_cbranch_execz .LBB100_729
; %bb.726:
	v_cmp_ne_u32_e32 vcc, 34, v214
	s_xor_b64 s[18:19], s[14:15], -1
	s_and_b64 s[22:23], s[18:19], vcc
	s_and_saveexec_b64 s[18:19], s[22:23]
	s_cbranch_execz .LBB100_728
; %bb.727:
	v_ashrrev_i32_e32 v215, 31, v214
	v_lshl_add_u64 v[220:221], v[214:215], 2, v[212:213]
	global_load_dword v215, v[220:221], off
	global_load_dword v217, v[212:213], off offset:136
	s_waitcnt vmcnt(1)
	global_store_dword v[212:213], v215, off offset:136
	s_waitcnt vmcnt(1)
	global_store_dword v[220:221], v217, off
.LBB100_728:
	s_or_b64 exec, exec, s[18:19]
	v_mov_b32_e32 v217, v214
	v_mov_b32_e32 v219, v214
.LBB100_729:
	s_or_b64 exec, exec, s[16:17]
.LBB100_730:
	s_andn2_saveexec_b64 s[0:1], s[0:1]
	s_cbranch_execz .LBB100_732
; %bb.731:
	v_mov_b32_e32 v217, 34
	s_waitcnt vmcnt(15)
	ds_write2_b64 v216, v[56:57], v[58:59] offset0:70 offset1:71
	s_waitcnt vmcnt(14)
	ds_write2_b64 v216, v[52:53], v[54:55] offset0:72 offset1:73
	;; [unrolled: 2-line block ×16, first 2 shown]
.LBB100_732:
	s_or_b64 exec, exec, s[0:1]
	v_cmp_lt_i32_e32 vcc, 34, v217
	s_waitcnt lgkmcnt(0)
	s_barrier
	s_and_saveexec_b64 s[0:1], vcc
	s_cbranch_execz .LBB100_734
; %bb.733:
	ds_read2_b64 v[220:223], v216 offset0:70 offset1:71
	v_mul_f64 v[214:215], v[204:205], v[62:63]
	v_mul_f64 v[62:63], v[206:207], v[62:63]
	v_fmac_f64_e32 v[214:215], v[206:207], v[60:61]
	v_fma_f64 v[60:61], v[204:205], v[60:61], -v[62:63]
	ds_read2_b64 v[204:207], v216 offset0:72 offset1:73
	s_waitcnt lgkmcnt(1)
	v_mul_f64 v[62:63], v[222:223], v[214:215]
	v_fma_f64 v[62:63], v[220:221], v[60:61], -v[62:63]
	v_mul_f64 v[220:221], v[220:221], v[214:215]
	v_fmac_f64_e32 v[220:221], v[222:223], v[60:61]
	s_waitcnt vmcnt(15)
	v_add_f64 v[56:57], v[56:57], -v[62:63]
	s_waitcnt lgkmcnt(0)
	v_mul_f64 v[62:63], v[206:207], v[214:215]
	v_add_f64 v[58:59], v[58:59], -v[220:221]
	v_fma_f64 v[62:63], v[204:205], v[60:61], -v[62:63]
	v_mul_f64 v[204:205], v[204:205], v[214:215]
	ds_read2_b64 v[220:223], v216 offset0:74 offset1:75
	v_fmac_f64_e32 v[204:205], v[206:207], v[60:61]
	s_waitcnt vmcnt(14)
	v_add_f64 v[54:55], v[54:55], -v[204:205]
	ds_read2_b64 v[204:207], v216 offset0:76 offset1:77
	v_add_f64 v[52:53], v[52:53], -v[62:63]
	s_waitcnt lgkmcnt(1)
	v_mul_f64 v[62:63], v[222:223], v[214:215]
	v_fma_f64 v[62:63], v[220:221], v[60:61], -v[62:63]
	v_mul_f64 v[220:221], v[220:221], v[214:215]
	v_fmac_f64_e32 v[220:221], v[222:223], v[60:61]
	s_waitcnt vmcnt(13)
	v_add_f64 v[48:49], v[48:49], -v[62:63]
	s_waitcnt lgkmcnt(0)
	v_mul_f64 v[62:63], v[206:207], v[214:215]
	v_add_f64 v[50:51], v[50:51], -v[220:221]
	v_fma_f64 v[62:63], v[204:205], v[60:61], -v[62:63]
	v_mul_f64 v[204:205], v[204:205], v[214:215]
	ds_read2_b64 v[220:223], v216 offset0:78 offset1:79
	v_fmac_f64_e32 v[204:205], v[206:207], v[60:61]
	s_waitcnt vmcnt(12)
	v_add_f64 v[46:47], v[46:47], -v[204:205]
	ds_read2_b64 v[204:207], v216 offset0:80 offset1:81
	v_add_f64 v[44:45], v[44:45], -v[62:63]
	s_waitcnt lgkmcnt(1)
	v_mul_f64 v[62:63], v[222:223], v[214:215]
	v_fma_f64 v[62:63], v[220:221], v[60:61], -v[62:63]
	v_mul_f64 v[220:221], v[220:221], v[214:215]
	v_fmac_f64_e32 v[220:221], v[222:223], v[60:61]
	s_waitcnt vmcnt(11)
	v_add_f64 v[40:41], v[40:41], -v[62:63]
	s_waitcnt lgkmcnt(0)
	v_mul_f64 v[62:63], v[206:207], v[214:215]
	v_add_f64 v[42:43], v[42:43], -v[220:221]
	v_fma_f64 v[62:63], v[204:205], v[60:61], -v[62:63]
	v_mul_f64 v[204:205], v[204:205], v[214:215]
	ds_read2_b64 v[220:223], v216 offset0:82 offset1:83
	v_fmac_f64_e32 v[204:205], v[206:207], v[60:61]
	s_waitcnt vmcnt(10)
	v_add_f64 v[38:39], v[38:39], -v[204:205]
	ds_read2_b64 v[204:207], v216 offset0:84 offset1:85
	v_add_f64 v[36:37], v[36:37], -v[62:63]
	s_waitcnt lgkmcnt(1)
	v_mul_f64 v[62:63], v[222:223], v[214:215]
	v_fma_f64 v[62:63], v[220:221], v[60:61], -v[62:63]
	v_mul_f64 v[220:221], v[220:221], v[214:215]
	v_fmac_f64_e32 v[220:221], v[222:223], v[60:61]
	s_waitcnt vmcnt(9)
	v_add_f64 v[32:33], v[32:33], -v[62:63]
	s_waitcnt lgkmcnt(0)
	v_mul_f64 v[62:63], v[206:207], v[214:215]
	v_add_f64 v[34:35], v[34:35], -v[220:221]
	v_fma_f64 v[62:63], v[204:205], v[60:61], -v[62:63]
	v_mul_f64 v[204:205], v[204:205], v[214:215]
	ds_read2_b64 v[220:223], v216 offset0:86 offset1:87
	v_fmac_f64_e32 v[204:205], v[206:207], v[60:61]
	s_waitcnt vmcnt(8)
	v_add_f64 v[30:31], v[30:31], -v[204:205]
	ds_read2_b64 v[204:207], v216 offset0:88 offset1:89
	v_add_f64 v[28:29], v[28:29], -v[62:63]
	s_waitcnt lgkmcnt(1)
	v_mul_f64 v[62:63], v[222:223], v[214:215]
	v_fma_f64 v[62:63], v[220:221], v[60:61], -v[62:63]
	v_mul_f64 v[220:221], v[220:221], v[214:215]
	v_fmac_f64_e32 v[220:221], v[222:223], v[60:61]
	s_waitcnt vmcnt(7)
	v_add_f64 v[24:25], v[24:25], -v[62:63]
	s_waitcnt lgkmcnt(0)
	v_mul_f64 v[62:63], v[206:207], v[214:215]
	v_add_f64 v[26:27], v[26:27], -v[220:221]
	v_fma_f64 v[62:63], v[204:205], v[60:61], -v[62:63]
	v_mul_f64 v[204:205], v[204:205], v[214:215]
	ds_read2_b64 v[220:223], v216 offset0:90 offset1:91
	v_fmac_f64_e32 v[204:205], v[206:207], v[60:61]
	s_waitcnt vmcnt(6)
	v_add_f64 v[22:23], v[22:23], -v[204:205]
	ds_read2_b64 v[204:207], v216 offset0:92 offset1:93
	v_add_f64 v[20:21], v[20:21], -v[62:63]
	s_waitcnt lgkmcnt(1)
	v_mul_f64 v[62:63], v[222:223], v[214:215]
	v_fma_f64 v[62:63], v[220:221], v[60:61], -v[62:63]
	v_mul_f64 v[220:221], v[220:221], v[214:215]
	v_fmac_f64_e32 v[220:221], v[222:223], v[60:61]
	s_waitcnt vmcnt(5)
	v_add_f64 v[16:17], v[16:17], -v[62:63]
	s_waitcnt lgkmcnt(0)
	v_mul_f64 v[62:63], v[206:207], v[214:215]
	v_add_f64 v[18:19], v[18:19], -v[220:221]
	v_fma_f64 v[62:63], v[204:205], v[60:61], -v[62:63]
	v_mul_f64 v[204:205], v[204:205], v[214:215]
	ds_read2_b64 v[220:223], v216 offset0:94 offset1:95
	v_fmac_f64_e32 v[204:205], v[206:207], v[60:61]
	s_waitcnt vmcnt(4)
	v_add_f64 v[14:15], v[14:15], -v[204:205]
	ds_read2_b64 v[204:207], v216 offset0:96 offset1:97
	v_add_f64 v[12:13], v[12:13], -v[62:63]
	s_waitcnt lgkmcnt(1)
	v_mul_f64 v[62:63], v[222:223], v[214:215]
	v_fma_f64 v[62:63], v[220:221], v[60:61], -v[62:63]
	v_mul_f64 v[220:221], v[220:221], v[214:215]
	v_fmac_f64_e32 v[220:221], v[222:223], v[60:61]
	s_waitcnt vmcnt(3)
	v_add_f64 v[8:9], v[8:9], -v[62:63]
	s_waitcnt lgkmcnt(0)
	v_mul_f64 v[62:63], v[206:207], v[214:215]
	v_add_f64 v[10:11], v[10:11], -v[220:221]
	v_fma_f64 v[62:63], v[204:205], v[60:61], -v[62:63]
	v_mul_f64 v[204:205], v[204:205], v[214:215]
	ds_read2_b64 v[220:223], v216 offset0:98 offset1:99
	v_fmac_f64_e32 v[204:205], v[206:207], v[60:61]
	s_waitcnt vmcnt(2)
	v_add_f64 v[6:7], v[6:7], -v[204:205]
	ds_read2_b64 v[204:207], v216 offset0:100 offset1:101
	v_add_f64 v[4:5], v[4:5], -v[62:63]
	s_waitcnt lgkmcnt(1)
	v_mul_f64 v[62:63], v[222:223], v[214:215]
	v_fma_f64 v[62:63], v[220:221], v[60:61], -v[62:63]
	s_waitcnt vmcnt(1)
	v_add_f64 v[0:1], v[0:1], -v[62:63]
	s_waitcnt lgkmcnt(0)
	v_mul_f64 v[62:63], v[206:207], v[214:215]
	v_mul_f64 v[220:221], v[220:221], v[214:215]
	v_fma_f64 v[62:63], v[204:205], v[60:61], -v[62:63]
	v_mul_f64 v[204:205], v[204:205], v[214:215]
	v_fmac_f64_e32 v[220:221], v[222:223], v[60:61]
	v_fmac_f64_e32 v[204:205], v[206:207], v[60:61]
	v_add_f64 v[2:3], v[2:3], -v[220:221]
	s_waitcnt vmcnt(0)
	v_add_f64 v[200:201], v[200:201], -v[62:63]
	v_add_f64 v[202:203], v[202:203], -v[204:205]
	v_mov_b64_e32 v[62:63], v[214:215]
.LBB100_734:
	s_or_b64 exec, exec, s[0:1]
	v_lshl_add_u32 v204, v217, 4, v216
	s_barrier
	s_waitcnt vmcnt(15)
	ds_write2_b64 v204, v[56:57], v[58:59] offset1:1
	s_waitcnt lgkmcnt(0)
	s_barrier
	ds_read2_b64 v[204:207], v216 offset0:70 offset1:71
	s_cmp_lt_i32 s20, 37
	v_mov_b32_e32 v214, 35
	s_cbranch_scc1 .LBB100_737
; %bb.735:
	v_add_u32_e32 v215, 0x240, v216
	s_mov_b32 s16, 36
	v_mov_b32_e32 v214, 35
.LBB100_736:                            ; =>This Inner Loop Header: Depth=1
	ds_read2_b64 v[220:223], v215 offset1:1
	s_waitcnt lgkmcnt(1)
	v_xor_b32_e32 v225, 0x80000000, v205
	v_xor_b32_e32 v227, 0x80000000, v207
	v_cmp_gt_f64_e32 vcc, 0, v[206:207]
	v_cmp_gt_f64_e64 s[0:1], 0, v[204:205]
	v_mov_b32_e32 v224, v204
	v_mov_b32_e32 v226, v206
	v_cndmask_b32_e64 v225, v205, v225, s[0:1]
	v_cndmask_b32_e32 v227, v207, v227, vcc
	v_add_f64 v[224:225], v[224:225], v[226:227]
	s_waitcnt lgkmcnt(0)
	v_xor_b32_e32 v227, 0x80000000, v221
	v_xor_b32_e32 v229, 0x80000000, v223
	v_cmp_gt_f64_e32 vcc, 0, v[222:223]
	v_cmp_gt_f64_e64 s[0:1], 0, v[220:221]
	v_mov_b32_e32 v226, v220
	v_mov_b32_e32 v228, v222
	v_cndmask_b32_e64 v227, v221, v227, s[0:1]
	v_cndmask_b32_e32 v229, v223, v229, vcc
	v_add_f64 v[226:227], v[226:227], v[228:229]
	v_mov_b32_e32 v230, s16
	s_add_i32 s16, s16, 1
	v_cmp_lt_f64_e32 vcc, v[224:225], v[226:227]
	v_add_u32_e32 v215, 16, v215
	s_cmp_lg_u32 s20, s16
	v_cndmask_b32_e32 v205, v205, v221, vcc
	v_cndmask_b32_e32 v204, v204, v220, vcc
	;; [unrolled: 1-line block ×5, first 2 shown]
	s_cbranch_scc1 .LBB100_736
.LBB100_737:
	s_waitcnt lgkmcnt(0)
	v_cmp_eq_f64_e32 vcc, 0, v[204:205]
	v_cmp_eq_f64_e64 s[0:1], 0, v[206:207]
	s_and_b64 s[0:1], vcc, s[0:1]
	s_and_saveexec_b64 s[16:17], s[0:1]
	s_xor_b64 s[0:1], exec, s[16:17]
; %bb.738:
	v_cmp_ne_u32_e32 vcc, 0, v218
	s_nop 1
	v_cndmask_b32_e32 v218, 36, v218, vcc
; %bb.739:
	s_andn2_saveexec_b64 s[0:1], s[0:1]
	s_cbranch_execz .LBB100_745
; %bb.740:
	v_cmp_ngt_f64_e64 s[16:17], |v[204:205]|, |v[206:207]|
	s_and_saveexec_b64 s[18:19], s[16:17]
	s_xor_b64 s[16:17], exec, s[18:19]
	s_cbranch_execz .LBB100_742
; %bb.741:
	v_div_scale_f64 v[220:221], s[18:19], v[206:207], v[206:207], v[204:205]
	v_rcp_f64_e32 v[222:223], v[220:221]
	v_div_scale_f64 v[224:225], vcc, v[204:205], v[206:207], v[204:205]
	v_fma_f64 v[226:227], -v[220:221], v[222:223], 1.0
	v_fmac_f64_e32 v[222:223], v[222:223], v[226:227]
	v_fma_f64 v[226:227], -v[220:221], v[222:223], 1.0
	v_fmac_f64_e32 v[222:223], v[222:223], v[226:227]
	v_mul_f64 v[226:227], v[224:225], v[222:223]
	v_fma_f64 v[220:221], -v[220:221], v[226:227], v[224:225]
	v_div_fmas_f64 v[220:221], v[220:221], v[222:223], v[226:227]
	v_div_fixup_f64 v[220:221], v[220:221], v[206:207], v[204:205]
	v_fmac_f64_e32 v[206:207], v[204:205], v[220:221]
	v_div_scale_f64 v[204:205], s[18:19], v[206:207], v[206:207], 1.0
	v_rcp_f64_e32 v[222:223], v[204:205]
	s_nop 0
	v_fma_f64 v[224:225], -v[204:205], v[222:223], 1.0
	v_fmac_f64_e32 v[222:223], v[222:223], v[224:225]
	v_fma_f64 v[224:225], -v[204:205], v[222:223], 1.0
	v_fmac_f64_e32 v[222:223], v[222:223], v[224:225]
	v_div_scale_f64 v[224:225], vcc, 1.0, v[206:207], 1.0
	v_mul_f64 v[226:227], v[224:225], v[222:223]
	v_fma_f64 v[204:205], -v[204:205], v[226:227], v[224:225]
	s_nop 1
	v_div_fmas_f64 v[204:205], v[204:205], v[222:223], v[226:227]
	v_div_fixup_f64 v[206:207], v[204:205], v[206:207], 1.0
	v_mul_f64 v[204:205], v[220:221], v[206:207]
	v_xor_b32_e32 v207, 0x80000000, v207
.LBB100_742:
	s_andn2_saveexec_b64 s[16:17], s[16:17]
	s_cbranch_execz .LBB100_744
; %bb.743:
	v_div_scale_f64 v[220:221], s[18:19], v[204:205], v[204:205], v[206:207]
	v_rcp_f64_e32 v[222:223], v[220:221]
	v_div_scale_f64 v[224:225], vcc, v[206:207], v[204:205], v[206:207]
	v_fma_f64 v[226:227], -v[220:221], v[222:223], 1.0
	v_fmac_f64_e32 v[222:223], v[222:223], v[226:227]
	v_fma_f64 v[226:227], -v[220:221], v[222:223], 1.0
	v_fmac_f64_e32 v[222:223], v[222:223], v[226:227]
	v_mul_f64 v[226:227], v[224:225], v[222:223]
	v_fma_f64 v[220:221], -v[220:221], v[226:227], v[224:225]
	v_div_fmas_f64 v[220:221], v[220:221], v[222:223], v[226:227]
	v_div_fixup_f64 v[220:221], v[220:221], v[204:205], v[206:207]
	v_fmac_f64_e32 v[204:205], v[206:207], v[220:221]
	v_div_scale_f64 v[206:207], s[18:19], v[204:205], v[204:205], 1.0
	v_rcp_f64_e32 v[222:223], v[206:207]
	s_nop 0
	v_fma_f64 v[224:225], -v[206:207], v[222:223], 1.0
	v_fmac_f64_e32 v[222:223], v[222:223], v[224:225]
	v_fma_f64 v[224:225], -v[206:207], v[222:223], 1.0
	v_fmac_f64_e32 v[222:223], v[222:223], v[224:225]
	v_div_scale_f64 v[224:225], vcc, 1.0, v[204:205], 1.0
	v_mul_f64 v[226:227], v[224:225], v[222:223]
	v_fma_f64 v[206:207], -v[206:207], v[226:227], v[224:225]
	s_nop 1
	v_div_fmas_f64 v[206:207], v[206:207], v[222:223], v[226:227]
	v_div_fixup_f64 v[204:205], v[206:207], v[204:205], 1.0
	v_mul_f64 v[206:207], v[220:221], -v[204:205]
.LBB100_744:
	s_or_b64 exec, exec, s[16:17]
.LBB100_745:
	s_or_b64 exec, exec, s[0:1]
	v_cmp_ne_u32_e32 vcc, v217, v214
	s_and_saveexec_b64 s[0:1], vcc
	s_xor_b64 s[0:1], exec, s[0:1]
	s_cbranch_execz .LBB100_751
; %bb.746:
	v_cmp_eq_u32_e32 vcc, 35, v217
	s_and_saveexec_b64 s[16:17], vcc
	s_cbranch_execz .LBB100_750
; %bb.747:
	v_cmp_ne_u32_e32 vcc, 35, v214
	s_xor_b64 s[18:19], s[14:15], -1
	s_and_b64 s[22:23], s[18:19], vcc
	s_and_saveexec_b64 s[18:19], s[22:23]
	s_cbranch_execz .LBB100_749
; %bb.748:
	v_ashrrev_i32_e32 v215, 31, v214
	v_lshl_add_u64 v[220:221], v[214:215], 2, v[212:213]
	global_load_dword v215, v[220:221], off
	global_load_dword v217, v[212:213], off offset:140
	s_waitcnt vmcnt(1)
	global_store_dword v[212:213], v215, off offset:140
	s_waitcnt vmcnt(1)
	global_store_dword v[220:221], v217, off
.LBB100_749:
	s_or_b64 exec, exec, s[18:19]
	v_mov_b32_e32 v217, v214
	v_mov_b32_e32 v219, v214
.LBB100_750:
	s_or_b64 exec, exec, s[16:17]
.LBB100_751:
	s_andn2_saveexec_b64 s[0:1], s[0:1]
	s_cbranch_execz .LBB100_753
; %bb.752:
	v_mov_b32_e32 v217, 35
	s_waitcnt vmcnt(14)
	ds_write2_b64 v216, v[52:53], v[54:55] offset0:72 offset1:73
	s_waitcnt vmcnt(13)
	ds_write2_b64 v216, v[48:49], v[50:51] offset0:74 offset1:75
	s_waitcnt vmcnt(12)
	ds_write2_b64 v216, v[44:45], v[46:47] offset0:76 offset1:77
	s_waitcnt vmcnt(11)
	ds_write2_b64 v216, v[40:41], v[42:43] offset0:78 offset1:79
	s_waitcnt vmcnt(10)
	ds_write2_b64 v216, v[36:37], v[38:39] offset0:80 offset1:81
	s_waitcnt vmcnt(9)
	ds_write2_b64 v216, v[32:33], v[34:35] offset0:82 offset1:83
	s_waitcnt vmcnt(8)
	ds_write2_b64 v216, v[28:29], v[30:31] offset0:84 offset1:85
	s_waitcnt vmcnt(7)
	ds_write2_b64 v216, v[24:25], v[26:27] offset0:86 offset1:87
	s_waitcnt vmcnt(6)
	ds_write2_b64 v216, v[20:21], v[22:23] offset0:88 offset1:89
	s_waitcnt vmcnt(5)
	ds_write2_b64 v216, v[16:17], v[18:19] offset0:90 offset1:91
	s_waitcnt vmcnt(4)
	ds_write2_b64 v216, v[12:13], v[14:15] offset0:92 offset1:93
	s_waitcnt vmcnt(3)
	ds_write2_b64 v216, v[8:9], v[10:11] offset0:94 offset1:95
	s_waitcnt vmcnt(2)
	ds_write2_b64 v216, v[4:5], v[6:7] offset0:96 offset1:97
	s_waitcnt vmcnt(1)
	ds_write2_b64 v216, v[0:1], v[2:3] offset0:98 offset1:99
	s_waitcnt vmcnt(0)
	ds_write2_b64 v216, v[200:201], v[202:203] offset0:100 offset1:101
.LBB100_753:
	s_or_b64 exec, exec, s[0:1]
	v_cmp_lt_i32_e32 vcc, 35, v217
	s_waitcnt lgkmcnt(0)
	s_barrier
	s_and_saveexec_b64 s[0:1], vcc
	s_cbranch_execz .LBB100_755
; %bb.754:
	ds_read2_b64 v[220:223], v216 offset0:72 offset1:73
	v_mul_f64 v[214:215], v[204:205], v[58:59]
	v_fmac_f64_e32 v[214:215], v[206:207], v[56:57]
	v_mul_f64 v[58:59], v[206:207], v[58:59]
	v_fma_f64 v[56:57], v[204:205], v[56:57], -v[58:59]
	ds_read2_b64 v[204:207], v216 offset0:74 offset1:75
	s_waitcnt lgkmcnt(1)
	v_mul_f64 v[58:59], v[222:223], v[214:215]
	v_fma_f64 v[58:59], v[220:221], v[56:57], -v[58:59]
	v_mul_f64 v[220:221], v[220:221], v[214:215]
	v_fmac_f64_e32 v[220:221], v[222:223], v[56:57]
	s_waitcnt vmcnt(14)
	v_add_f64 v[54:55], v[54:55], -v[220:221]
	ds_read2_b64 v[220:223], v216 offset0:76 offset1:77
	v_add_f64 v[52:53], v[52:53], -v[58:59]
	s_waitcnt lgkmcnt(1)
	v_mul_f64 v[58:59], v[206:207], v[214:215]
	v_fma_f64 v[58:59], v[204:205], v[56:57], -v[58:59]
	v_mul_f64 v[204:205], v[204:205], v[214:215]
	v_fmac_f64_e32 v[204:205], v[206:207], v[56:57]
	s_waitcnt vmcnt(13)
	v_add_f64 v[48:49], v[48:49], -v[58:59]
	v_add_f64 v[50:51], v[50:51], -v[204:205]
	ds_read2_b64 v[204:207], v216 offset0:78 offset1:79
	s_waitcnt lgkmcnt(1)
	v_mul_f64 v[58:59], v[222:223], v[214:215]
	v_fma_f64 v[58:59], v[220:221], v[56:57], -v[58:59]
	v_mul_f64 v[220:221], v[220:221], v[214:215]
	v_fmac_f64_e32 v[220:221], v[222:223], v[56:57]
	s_waitcnt vmcnt(12)
	v_add_f64 v[46:47], v[46:47], -v[220:221]
	ds_read2_b64 v[220:223], v216 offset0:80 offset1:81
	v_add_f64 v[44:45], v[44:45], -v[58:59]
	s_waitcnt lgkmcnt(1)
	v_mul_f64 v[58:59], v[206:207], v[214:215]
	v_fma_f64 v[58:59], v[204:205], v[56:57], -v[58:59]
	v_mul_f64 v[204:205], v[204:205], v[214:215]
	v_fmac_f64_e32 v[204:205], v[206:207], v[56:57]
	s_waitcnt vmcnt(11)
	v_add_f64 v[40:41], v[40:41], -v[58:59]
	v_add_f64 v[42:43], v[42:43], -v[204:205]
	;; [unrolled: 18-line block ×7, first 2 shown]
	s_waitcnt lgkmcnt(0)
	v_mul_f64 v[58:59], v[222:223], v[214:215]
	v_mul_f64 v[204:205], v[220:221], v[214:215]
	v_fma_f64 v[58:59], v[220:221], v[56:57], -v[58:59]
	v_fmac_f64_e32 v[204:205], v[222:223], v[56:57]
	s_waitcnt vmcnt(0)
	v_add_f64 v[200:201], v[200:201], -v[58:59]
	v_add_f64 v[202:203], v[202:203], -v[204:205]
	v_mov_b64_e32 v[58:59], v[214:215]
.LBB100_755:
	s_or_b64 exec, exec, s[0:1]
	v_lshl_add_u32 v204, v217, 4, v216
	s_barrier
	s_waitcnt vmcnt(14)
	ds_write2_b64 v204, v[52:53], v[54:55] offset1:1
	s_waitcnt lgkmcnt(0)
	s_barrier
	ds_read2_b64 v[204:207], v216 offset0:72 offset1:73
	s_cmp_lt_i32 s20, 38
	v_mov_b32_e32 v214, 36
	s_cbranch_scc1 .LBB100_758
; %bb.756:
	v_add_u32_e32 v215, 0x250, v216
	s_mov_b32 s16, 37
	v_mov_b32_e32 v214, 36
.LBB100_757:                            ; =>This Inner Loop Header: Depth=1
	ds_read2_b64 v[220:223], v215 offset1:1
	s_waitcnt lgkmcnt(1)
	v_xor_b32_e32 v225, 0x80000000, v205
	v_xor_b32_e32 v227, 0x80000000, v207
	v_cmp_gt_f64_e32 vcc, 0, v[206:207]
	v_cmp_gt_f64_e64 s[0:1], 0, v[204:205]
	v_mov_b32_e32 v224, v204
	v_mov_b32_e32 v226, v206
	v_cndmask_b32_e64 v225, v205, v225, s[0:1]
	v_cndmask_b32_e32 v227, v207, v227, vcc
	v_add_f64 v[224:225], v[224:225], v[226:227]
	s_waitcnt lgkmcnt(0)
	v_xor_b32_e32 v227, 0x80000000, v221
	v_xor_b32_e32 v229, 0x80000000, v223
	v_cmp_gt_f64_e32 vcc, 0, v[222:223]
	v_cmp_gt_f64_e64 s[0:1], 0, v[220:221]
	v_mov_b32_e32 v226, v220
	v_mov_b32_e32 v228, v222
	v_cndmask_b32_e64 v227, v221, v227, s[0:1]
	v_cndmask_b32_e32 v229, v223, v229, vcc
	v_add_f64 v[226:227], v[226:227], v[228:229]
	v_mov_b32_e32 v230, s16
	s_add_i32 s16, s16, 1
	v_cmp_lt_f64_e32 vcc, v[224:225], v[226:227]
	v_add_u32_e32 v215, 16, v215
	s_cmp_lg_u32 s20, s16
	v_cndmask_b32_e32 v205, v205, v221, vcc
	v_cndmask_b32_e32 v204, v204, v220, vcc
	;; [unrolled: 1-line block ×5, first 2 shown]
	s_cbranch_scc1 .LBB100_757
.LBB100_758:
	s_waitcnt lgkmcnt(0)
	v_cmp_eq_f64_e32 vcc, 0, v[204:205]
	v_cmp_eq_f64_e64 s[0:1], 0, v[206:207]
	s_and_b64 s[0:1], vcc, s[0:1]
	s_and_saveexec_b64 s[16:17], s[0:1]
	s_xor_b64 s[0:1], exec, s[16:17]
; %bb.759:
	v_cmp_ne_u32_e32 vcc, 0, v218
	s_nop 1
	v_cndmask_b32_e32 v218, 37, v218, vcc
; %bb.760:
	s_andn2_saveexec_b64 s[0:1], s[0:1]
	s_cbranch_execz .LBB100_766
; %bb.761:
	v_cmp_ngt_f64_e64 s[16:17], |v[204:205]|, |v[206:207]|
	s_and_saveexec_b64 s[18:19], s[16:17]
	s_xor_b64 s[16:17], exec, s[18:19]
	s_cbranch_execz .LBB100_763
; %bb.762:
	v_div_scale_f64 v[220:221], s[18:19], v[206:207], v[206:207], v[204:205]
	v_rcp_f64_e32 v[222:223], v[220:221]
	v_div_scale_f64 v[224:225], vcc, v[204:205], v[206:207], v[204:205]
	v_fma_f64 v[226:227], -v[220:221], v[222:223], 1.0
	v_fmac_f64_e32 v[222:223], v[222:223], v[226:227]
	v_fma_f64 v[226:227], -v[220:221], v[222:223], 1.0
	v_fmac_f64_e32 v[222:223], v[222:223], v[226:227]
	v_mul_f64 v[226:227], v[224:225], v[222:223]
	v_fma_f64 v[220:221], -v[220:221], v[226:227], v[224:225]
	v_div_fmas_f64 v[220:221], v[220:221], v[222:223], v[226:227]
	v_div_fixup_f64 v[220:221], v[220:221], v[206:207], v[204:205]
	v_fmac_f64_e32 v[206:207], v[204:205], v[220:221]
	v_div_scale_f64 v[204:205], s[18:19], v[206:207], v[206:207], 1.0
	v_rcp_f64_e32 v[222:223], v[204:205]
	s_nop 0
	v_fma_f64 v[224:225], -v[204:205], v[222:223], 1.0
	v_fmac_f64_e32 v[222:223], v[222:223], v[224:225]
	v_fma_f64 v[224:225], -v[204:205], v[222:223], 1.0
	v_fmac_f64_e32 v[222:223], v[222:223], v[224:225]
	v_div_scale_f64 v[224:225], vcc, 1.0, v[206:207], 1.0
	v_mul_f64 v[226:227], v[224:225], v[222:223]
	v_fma_f64 v[204:205], -v[204:205], v[226:227], v[224:225]
	s_nop 1
	v_div_fmas_f64 v[204:205], v[204:205], v[222:223], v[226:227]
	v_div_fixup_f64 v[206:207], v[204:205], v[206:207], 1.0
	v_mul_f64 v[204:205], v[220:221], v[206:207]
	v_xor_b32_e32 v207, 0x80000000, v207
.LBB100_763:
	s_andn2_saveexec_b64 s[16:17], s[16:17]
	s_cbranch_execz .LBB100_765
; %bb.764:
	v_div_scale_f64 v[220:221], s[18:19], v[204:205], v[204:205], v[206:207]
	v_rcp_f64_e32 v[222:223], v[220:221]
	v_div_scale_f64 v[224:225], vcc, v[206:207], v[204:205], v[206:207]
	v_fma_f64 v[226:227], -v[220:221], v[222:223], 1.0
	v_fmac_f64_e32 v[222:223], v[222:223], v[226:227]
	v_fma_f64 v[226:227], -v[220:221], v[222:223], 1.0
	v_fmac_f64_e32 v[222:223], v[222:223], v[226:227]
	v_mul_f64 v[226:227], v[224:225], v[222:223]
	v_fma_f64 v[220:221], -v[220:221], v[226:227], v[224:225]
	v_div_fmas_f64 v[220:221], v[220:221], v[222:223], v[226:227]
	v_div_fixup_f64 v[220:221], v[220:221], v[204:205], v[206:207]
	v_fmac_f64_e32 v[204:205], v[206:207], v[220:221]
	v_div_scale_f64 v[206:207], s[18:19], v[204:205], v[204:205], 1.0
	v_rcp_f64_e32 v[222:223], v[206:207]
	s_nop 0
	v_fma_f64 v[224:225], -v[206:207], v[222:223], 1.0
	v_fmac_f64_e32 v[222:223], v[222:223], v[224:225]
	v_fma_f64 v[224:225], -v[206:207], v[222:223], 1.0
	v_fmac_f64_e32 v[222:223], v[222:223], v[224:225]
	v_div_scale_f64 v[224:225], vcc, 1.0, v[204:205], 1.0
	v_mul_f64 v[226:227], v[224:225], v[222:223]
	v_fma_f64 v[206:207], -v[206:207], v[226:227], v[224:225]
	s_nop 1
	v_div_fmas_f64 v[206:207], v[206:207], v[222:223], v[226:227]
	v_div_fixup_f64 v[204:205], v[206:207], v[204:205], 1.0
	v_mul_f64 v[206:207], v[220:221], -v[204:205]
.LBB100_765:
	s_or_b64 exec, exec, s[16:17]
.LBB100_766:
	s_or_b64 exec, exec, s[0:1]
	v_cmp_ne_u32_e32 vcc, v217, v214
	s_and_saveexec_b64 s[0:1], vcc
	s_xor_b64 s[0:1], exec, s[0:1]
	s_cbranch_execz .LBB100_772
; %bb.767:
	v_cmp_eq_u32_e32 vcc, 36, v217
	s_and_saveexec_b64 s[16:17], vcc
	s_cbranch_execz .LBB100_771
; %bb.768:
	v_cmp_ne_u32_e32 vcc, 36, v214
	s_xor_b64 s[18:19], s[14:15], -1
	s_and_b64 s[22:23], s[18:19], vcc
	s_and_saveexec_b64 s[18:19], s[22:23]
	s_cbranch_execz .LBB100_770
; %bb.769:
	v_ashrrev_i32_e32 v215, 31, v214
	v_lshl_add_u64 v[220:221], v[214:215], 2, v[212:213]
	global_load_dword v215, v[220:221], off
	global_load_dword v217, v[212:213], off offset:144
	s_waitcnt vmcnt(1)
	global_store_dword v[212:213], v215, off offset:144
	s_waitcnt vmcnt(1)
	global_store_dword v[220:221], v217, off
.LBB100_770:
	s_or_b64 exec, exec, s[18:19]
	v_mov_b32_e32 v217, v214
	v_mov_b32_e32 v219, v214
.LBB100_771:
	s_or_b64 exec, exec, s[16:17]
.LBB100_772:
	s_andn2_saveexec_b64 s[0:1], s[0:1]
	s_cbranch_execz .LBB100_774
; %bb.773:
	v_mov_b32_e32 v217, 36
	s_waitcnt vmcnt(13)
	ds_write2_b64 v216, v[48:49], v[50:51] offset0:74 offset1:75
	s_waitcnt vmcnt(12)
	ds_write2_b64 v216, v[44:45], v[46:47] offset0:76 offset1:77
	;; [unrolled: 2-line block ×14, first 2 shown]
.LBB100_774:
	s_or_b64 exec, exec, s[0:1]
	v_cmp_lt_i32_e32 vcc, 36, v217
	s_waitcnt lgkmcnt(0)
	s_barrier
	s_and_saveexec_b64 s[0:1], vcc
	s_cbranch_execz .LBB100_776
; %bb.775:
	ds_read2_b64 v[220:223], v216 offset0:74 offset1:75
	v_mul_f64 v[214:215], v[204:205], v[54:55]
	v_mul_f64 v[54:55], v[206:207], v[54:55]
	v_fmac_f64_e32 v[214:215], v[206:207], v[52:53]
	v_fma_f64 v[52:53], v[204:205], v[52:53], -v[54:55]
	ds_read2_b64 v[204:207], v216 offset0:76 offset1:77
	s_waitcnt lgkmcnt(1)
	v_mul_f64 v[54:55], v[222:223], v[214:215]
	v_fma_f64 v[54:55], v[220:221], v[52:53], -v[54:55]
	v_mul_f64 v[220:221], v[220:221], v[214:215]
	v_fmac_f64_e32 v[220:221], v[222:223], v[52:53]
	s_waitcnt vmcnt(13)
	v_add_f64 v[48:49], v[48:49], -v[54:55]
	s_waitcnt lgkmcnt(0)
	v_mul_f64 v[54:55], v[206:207], v[214:215]
	v_add_f64 v[50:51], v[50:51], -v[220:221]
	v_fma_f64 v[54:55], v[204:205], v[52:53], -v[54:55]
	v_mul_f64 v[204:205], v[204:205], v[214:215]
	ds_read2_b64 v[220:223], v216 offset0:78 offset1:79
	v_fmac_f64_e32 v[204:205], v[206:207], v[52:53]
	s_waitcnt vmcnt(12)
	v_add_f64 v[46:47], v[46:47], -v[204:205]
	ds_read2_b64 v[204:207], v216 offset0:80 offset1:81
	v_add_f64 v[44:45], v[44:45], -v[54:55]
	s_waitcnt lgkmcnt(1)
	v_mul_f64 v[54:55], v[222:223], v[214:215]
	v_fma_f64 v[54:55], v[220:221], v[52:53], -v[54:55]
	v_mul_f64 v[220:221], v[220:221], v[214:215]
	v_fmac_f64_e32 v[220:221], v[222:223], v[52:53]
	s_waitcnt vmcnt(11)
	v_add_f64 v[40:41], v[40:41], -v[54:55]
	s_waitcnt lgkmcnt(0)
	v_mul_f64 v[54:55], v[206:207], v[214:215]
	v_add_f64 v[42:43], v[42:43], -v[220:221]
	v_fma_f64 v[54:55], v[204:205], v[52:53], -v[54:55]
	v_mul_f64 v[204:205], v[204:205], v[214:215]
	ds_read2_b64 v[220:223], v216 offset0:82 offset1:83
	v_fmac_f64_e32 v[204:205], v[206:207], v[52:53]
	s_waitcnt vmcnt(10)
	v_add_f64 v[38:39], v[38:39], -v[204:205]
	ds_read2_b64 v[204:207], v216 offset0:84 offset1:85
	v_add_f64 v[36:37], v[36:37], -v[54:55]
	;; [unrolled: 18-line block ×6, first 2 shown]
	s_waitcnt lgkmcnt(1)
	v_mul_f64 v[54:55], v[222:223], v[214:215]
	v_fma_f64 v[54:55], v[220:221], v[52:53], -v[54:55]
	s_waitcnt vmcnt(1)
	v_add_f64 v[0:1], v[0:1], -v[54:55]
	s_waitcnt lgkmcnt(0)
	v_mul_f64 v[54:55], v[206:207], v[214:215]
	v_mul_f64 v[220:221], v[220:221], v[214:215]
	v_fma_f64 v[54:55], v[204:205], v[52:53], -v[54:55]
	v_mul_f64 v[204:205], v[204:205], v[214:215]
	v_fmac_f64_e32 v[220:221], v[222:223], v[52:53]
	v_fmac_f64_e32 v[204:205], v[206:207], v[52:53]
	v_add_f64 v[2:3], v[2:3], -v[220:221]
	s_waitcnt vmcnt(0)
	v_add_f64 v[200:201], v[200:201], -v[54:55]
	v_add_f64 v[202:203], v[202:203], -v[204:205]
	v_mov_b64_e32 v[54:55], v[214:215]
.LBB100_776:
	s_or_b64 exec, exec, s[0:1]
	v_lshl_add_u32 v204, v217, 4, v216
	s_barrier
	s_waitcnt vmcnt(13)
	ds_write2_b64 v204, v[48:49], v[50:51] offset1:1
	s_waitcnt lgkmcnt(0)
	s_barrier
	ds_read2_b64 v[204:207], v216 offset0:74 offset1:75
	s_cmp_lt_i32 s20, 39
	v_mov_b32_e32 v214, 37
	s_cbranch_scc1 .LBB100_779
; %bb.777:
	v_add_u32_e32 v215, 0x260, v216
	s_mov_b32 s16, 38
	v_mov_b32_e32 v214, 37
.LBB100_778:                            ; =>This Inner Loop Header: Depth=1
	ds_read2_b64 v[220:223], v215 offset1:1
	s_waitcnt lgkmcnt(1)
	v_xor_b32_e32 v225, 0x80000000, v205
	v_xor_b32_e32 v227, 0x80000000, v207
	v_cmp_gt_f64_e32 vcc, 0, v[206:207]
	v_cmp_gt_f64_e64 s[0:1], 0, v[204:205]
	v_mov_b32_e32 v224, v204
	v_mov_b32_e32 v226, v206
	v_cndmask_b32_e64 v225, v205, v225, s[0:1]
	v_cndmask_b32_e32 v227, v207, v227, vcc
	v_add_f64 v[224:225], v[224:225], v[226:227]
	s_waitcnt lgkmcnt(0)
	v_xor_b32_e32 v227, 0x80000000, v221
	v_xor_b32_e32 v229, 0x80000000, v223
	v_cmp_gt_f64_e32 vcc, 0, v[222:223]
	v_cmp_gt_f64_e64 s[0:1], 0, v[220:221]
	v_mov_b32_e32 v226, v220
	v_mov_b32_e32 v228, v222
	v_cndmask_b32_e64 v227, v221, v227, s[0:1]
	v_cndmask_b32_e32 v229, v223, v229, vcc
	v_add_f64 v[226:227], v[226:227], v[228:229]
	v_mov_b32_e32 v230, s16
	s_add_i32 s16, s16, 1
	v_cmp_lt_f64_e32 vcc, v[224:225], v[226:227]
	v_add_u32_e32 v215, 16, v215
	s_cmp_lg_u32 s20, s16
	v_cndmask_b32_e32 v205, v205, v221, vcc
	v_cndmask_b32_e32 v204, v204, v220, vcc
	;; [unrolled: 1-line block ×5, first 2 shown]
	s_cbranch_scc1 .LBB100_778
.LBB100_779:
	s_waitcnt lgkmcnt(0)
	v_cmp_eq_f64_e32 vcc, 0, v[204:205]
	v_cmp_eq_f64_e64 s[0:1], 0, v[206:207]
	s_and_b64 s[0:1], vcc, s[0:1]
	s_and_saveexec_b64 s[16:17], s[0:1]
	s_xor_b64 s[0:1], exec, s[16:17]
; %bb.780:
	v_cmp_ne_u32_e32 vcc, 0, v218
	s_nop 1
	v_cndmask_b32_e32 v218, 38, v218, vcc
; %bb.781:
	s_andn2_saveexec_b64 s[0:1], s[0:1]
	s_cbranch_execz .LBB100_787
; %bb.782:
	v_cmp_ngt_f64_e64 s[16:17], |v[204:205]|, |v[206:207]|
	s_and_saveexec_b64 s[18:19], s[16:17]
	s_xor_b64 s[16:17], exec, s[18:19]
	s_cbranch_execz .LBB100_784
; %bb.783:
	v_div_scale_f64 v[220:221], s[18:19], v[206:207], v[206:207], v[204:205]
	v_rcp_f64_e32 v[222:223], v[220:221]
	v_div_scale_f64 v[224:225], vcc, v[204:205], v[206:207], v[204:205]
	v_fma_f64 v[226:227], -v[220:221], v[222:223], 1.0
	v_fmac_f64_e32 v[222:223], v[222:223], v[226:227]
	v_fma_f64 v[226:227], -v[220:221], v[222:223], 1.0
	v_fmac_f64_e32 v[222:223], v[222:223], v[226:227]
	v_mul_f64 v[226:227], v[224:225], v[222:223]
	v_fma_f64 v[220:221], -v[220:221], v[226:227], v[224:225]
	v_div_fmas_f64 v[220:221], v[220:221], v[222:223], v[226:227]
	v_div_fixup_f64 v[220:221], v[220:221], v[206:207], v[204:205]
	v_fmac_f64_e32 v[206:207], v[204:205], v[220:221]
	v_div_scale_f64 v[204:205], s[18:19], v[206:207], v[206:207], 1.0
	v_rcp_f64_e32 v[222:223], v[204:205]
	s_nop 0
	v_fma_f64 v[224:225], -v[204:205], v[222:223], 1.0
	v_fmac_f64_e32 v[222:223], v[222:223], v[224:225]
	v_fma_f64 v[224:225], -v[204:205], v[222:223], 1.0
	v_fmac_f64_e32 v[222:223], v[222:223], v[224:225]
	v_div_scale_f64 v[224:225], vcc, 1.0, v[206:207], 1.0
	v_mul_f64 v[226:227], v[224:225], v[222:223]
	v_fma_f64 v[204:205], -v[204:205], v[226:227], v[224:225]
	s_nop 1
	v_div_fmas_f64 v[204:205], v[204:205], v[222:223], v[226:227]
	v_div_fixup_f64 v[206:207], v[204:205], v[206:207], 1.0
	v_mul_f64 v[204:205], v[220:221], v[206:207]
	v_xor_b32_e32 v207, 0x80000000, v207
.LBB100_784:
	s_andn2_saveexec_b64 s[16:17], s[16:17]
	s_cbranch_execz .LBB100_786
; %bb.785:
	v_div_scale_f64 v[220:221], s[18:19], v[204:205], v[204:205], v[206:207]
	v_rcp_f64_e32 v[222:223], v[220:221]
	v_div_scale_f64 v[224:225], vcc, v[206:207], v[204:205], v[206:207]
	v_fma_f64 v[226:227], -v[220:221], v[222:223], 1.0
	v_fmac_f64_e32 v[222:223], v[222:223], v[226:227]
	v_fma_f64 v[226:227], -v[220:221], v[222:223], 1.0
	v_fmac_f64_e32 v[222:223], v[222:223], v[226:227]
	v_mul_f64 v[226:227], v[224:225], v[222:223]
	v_fma_f64 v[220:221], -v[220:221], v[226:227], v[224:225]
	v_div_fmas_f64 v[220:221], v[220:221], v[222:223], v[226:227]
	v_div_fixup_f64 v[220:221], v[220:221], v[204:205], v[206:207]
	v_fmac_f64_e32 v[204:205], v[206:207], v[220:221]
	v_div_scale_f64 v[206:207], s[18:19], v[204:205], v[204:205], 1.0
	v_rcp_f64_e32 v[222:223], v[206:207]
	s_nop 0
	v_fma_f64 v[224:225], -v[206:207], v[222:223], 1.0
	v_fmac_f64_e32 v[222:223], v[222:223], v[224:225]
	v_fma_f64 v[224:225], -v[206:207], v[222:223], 1.0
	v_fmac_f64_e32 v[222:223], v[222:223], v[224:225]
	v_div_scale_f64 v[224:225], vcc, 1.0, v[204:205], 1.0
	v_mul_f64 v[226:227], v[224:225], v[222:223]
	v_fma_f64 v[206:207], -v[206:207], v[226:227], v[224:225]
	s_nop 1
	v_div_fmas_f64 v[206:207], v[206:207], v[222:223], v[226:227]
	v_div_fixup_f64 v[204:205], v[206:207], v[204:205], 1.0
	v_mul_f64 v[206:207], v[220:221], -v[204:205]
.LBB100_786:
	s_or_b64 exec, exec, s[16:17]
.LBB100_787:
	s_or_b64 exec, exec, s[0:1]
	v_cmp_ne_u32_e32 vcc, v217, v214
	s_and_saveexec_b64 s[0:1], vcc
	s_xor_b64 s[0:1], exec, s[0:1]
	s_cbranch_execz .LBB100_793
; %bb.788:
	v_cmp_eq_u32_e32 vcc, 37, v217
	s_and_saveexec_b64 s[16:17], vcc
	s_cbranch_execz .LBB100_792
; %bb.789:
	v_cmp_ne_u32_e32 vcc, 37, v214
	s_xor_b64 s[18:19], s[14:15], -1
	s_and_b64 s[22:23], s[18:19], vcc
	s_and_saveexec_b64 s[18:19], s[22:23]
	s_cbranch_execz .LBB100_791
; %bb.790:
	v_ashrrev_i32_e32 v215, 31, v214
	v_lshl_add_u64 v[220:221], v[214:215], 2, v[212:213]
	global_load_dword v215, v[220:221], off
	global_load_dword v217, v[212:213], off offset:148
	s_waitcnt vmcnt(1)
	global_store_dword v[212:213], v215, off offset:148
	s_waitcnt vmcnt(1)
	global_store_dword v[220:221], v217, off
.LBB100_791:
	s_or_b64 exec, exec, s[18:19]
	v_mov_b32_e32 v217, v214
	v_mov_b32_e32 v219, v214
.LBB100_792:
	s_or_b64 exec, exec, s[16:17]
.LBB100_793:
	s_andn2_saveexec_b64 s[0:1], s[0:1]
	s_cbranch_execz .LBB100_795
; %bb.794:
	v_mov_b32_e32 v217, 37
	s_waitcnt vmcnt(12)
	ds_write2_b64 v216, v[44:45], v[46:47] offset0:76 offset1:77
	s_waitcnt vmcnt(11)
	ds_write2_b64 v216, v[40:41], v[42:43] offset0:78 offset1:79
	;; [unrolled: 2-line block ×13, first 2 shown]
.LBB100_795:
	s_or_b64 exec, exec, s[0:1]
	v_cmp_lt_i32_e32 vcc, 37, v217
	s_waitcnt lgkmcnt(0)
	s_barrier
	s_and_saveexec_b64 s[0:1], vcc
	s_cbranch_execz .LBB100_797
; %bb.796:
	ds_read2_b64 v[220:223], v216 offset0:76 offset1:77
	v_mul_f64 v[214:215], v[204:205], v[50:51]
	v_fmac_f64_e32 v[214:215], v[206:207], v[48:49]
	v_mul_f64 v[50:51], v[206:207], v[50:51]
	v_fma_f64 v[48:49], v[204:205], v[48:49], -v[50:51]
	ds_read2_b64 v[204:207], v216 offset0:78 offset1:79
	s_waitcnt lgkmcnt(1)
	v_mul_f64 v[50:51], v[222:223], v[214:215]
	v_fma_f64 v[50:51], v[220:221], v[48:49], -v[50:51]
	v_mul_f64 v[220:221], v[220:221], v[214:215]
	v_fmac_f64_e32 v[220:221], v[222:223], v[48:49]
	s_waitcnt vmcnt(12)
	v_add_f64 v[46:47], v[46:47], -v[220:221]
	ds_read2_b64 v[220:223], v216 offset0:80 offset1:81
	v_add_f64 v[44:45], v[44:45], -v[50:51]
	s_waitcnt lgkmcnt(1)
	v_mul_f64 v[50:51], v[206:207], v[214:215]
	v_fma_f64 v[50:51], v[204:205], v[48:49], -v[50:51]
	v_mul_f64 v[204:205], v[204:205], v[214:215]
	v_fmac_f64_e32 v[204:205], v[206:207], v[48:49]
	s_waitcnt vmcnt(11)
	v_add_f64 v[40:41], v[40:41], -v[50:51]
	v_add_f64 v[42:43], v[42:43], -v[204:205]
	ds_read2_b64 v[204:207], v216 offset0:82 offset1:83
	s_waitcnt lgkmcnt(1)
	v_mul_f64 v[50:51], v[222:223], v[214:215]
	v_fma_f64 v[50:51], v[220:221], v[48:49], -v[50:51]
	v_mul_f64 v[220:221], v[220:221], v[214:215]
	v_fmac_f64_e32 v[220:221], v[222:223], v[48:49]
	s_waitcnt vmcnt(10)
	v_add_f64 v[38:39], v[38:39], -v[220:221]
	ds_read2_b64 v[220:223], v216 offset0:84 offset1:85
	v_add_f64 v[36:37], v[36:37], -v[50:51]
	s_waitcnt lgkmcnt(1)
	v_mul_f64 v[50:51], v[206:207], v[214:215]
	v_fma_f64 v[50:51], v[204:205], v[48:49], -v[50:51]
	v_mul_f64 v[204:205], v[204:205], v[214:215]
	v_fmac_f64_e32 v[204:205], v[206:207], v[48:49]
	s_waitcnt vmcnt(9)
	v_add_f64 v[32:33], v[32:33], -v[50:51]
	v_add_f64 v[34:35], v[34:35], -v[204:205]
	;; [unrolled: 18-line block ×6, first 2 shown]
	s_waitcnt lgkmcnt(0)
	v_mul_f64 v[50:51], v[222:223], v[214:215]
	v_mul_f64 v[204:205], v[220:221], v[214:215]
	v_fma_f64 v[50:51], v[220:221], v[48:49], -v[50:51]
	v_fmac_f64_e32 v[204:205], v[222:223], v[48:49]
	s_waitcnt vmcnt(0)
	v_add_f64 v[200:201], v[200:201], -v[50:51]
	v_add_f64 v[202:203], v[202:203], -v[204:205]
	v_mov_b64_e32 v[50:51], v[214:215]
.LBB100_797:
	s_or_b64 exec, exec, s[0:1]
	v_lshl_add_u32 v204, v217, 4, v216
	s_barrier
	s_waitcnt vmcnt(12)
	ds_write2_b64 v204, v[44:45], v[46:47] offset1:1
	s_waitcnt lgkmcnt(0)
	s_barrier
	ds_read2_b64 v[204:207], v216 offset0:76 offset1:77
	s_cmp_lt_i32 s20, 40
	v_mov_b32_e32 v214, 38
	s_cbranch_scc1 .LBB100_800
; %bb.798:
	v_add_u32_e32 v215, 0x270, v216
	s_mov_b32 s16, 39
	v_mov_b32_e32 v214, 38
.LBB100_799:                            ; =>This Inner Loop Header: Depth=1
	ds_read2_b64 v[220:223], v215 offset1:1
	s_waitcnt lgkmcnt(1)
	v_xor_b32_e32 v225, 0x80000000, v205
	v_xor_b32_e32 v227, 0x80000000, v207
	v_cmp_gt_f64_e32 vcc, 0, v[206:207]
	v_cmp_gt_f64_e64 s[0:1], 0, v[204:205]
	v_mov_b32_e32 v224, v204
	v_mov_b32_e32 v226, v206
	v_cndmask_b32_e64 v225, v205, v225, s[0:1]
	v_cndmask_b32_e32 v227, v207, v227, vcc
	v_add_f64 v[224:225], v[224:225], v[226:227]
	s_waitcnt lgkmcnt(0)
	v_xor_b32_e32 v227, 0x80000000, v221
	v_xor_b32_e32 v229, 0x80000000, v223
	v_cmp_gt_f64_e32 vcc, 0, v[222:223]
	v_cmp_gt_f64_e64 s[0:1], 0, v[220:221]
	v_mov_b32_e32 v226, v220
	v_mov_b32_e32 v228, v222
	v_cndmask_b32_e64 v227, v221, v227, s[0:1]
	v_cndmask_b32_e32 v229, v223, v229, vcc
	v_add_f64 v[226:227], v[226:227], v[228:229]
	v_mov_b32_e32 v230, s16
	s_add_i32 s16, s16, 1
	v_cmp_lt_f64_e32 vcc, v[224:225], v[226:227]
	v_add_u32_e32 v215, 16, v215
	s_cmp_lg_u32 s20, s16
	v_cndmask_b32_e32 v205, v205, v221, vcc
	v_cndmask_b32_e32 v204, v204, v220, vcc
	;; [unrolled: 1-line block ×5, first 2 shown]
	s_cbranch_scc1 .LBB100_799
.LBB100_800:
	s_waitcnt lgkmcnt(0)
	v_cmp_eq_f64_e32 vcc, 0, v[204:205]
	v_cmp_eq_f64_e64 s[0:1], 0, v[206:207]
	s_and_b64 s[0:1], vcc, s[0:1]
	s_and_saveexec_b64 s[16:17], s[0:1]
	s_xor_b64 s[0:1], exec, s[16:17]
; %bb.801:
	v_cmp_ne_u32_e32 vcc, 0, v218
	s_nop 1
	v_cndmask_b32_e32 v218, 39, v218, vcc
; %bb.802:
	s_andn2_saveexec_b64 s[0:1], s[0:1]
	s_cbranch_execz .LBB100_808
; %bb.803:
	v_cmp_ngt_f64_e64 s[16:17], |v[204:205]|, |v[206:207]|
	s_and_saveexec_b64 s[18:19], s[16:17]
	s_xor_b64 s[16:17], exec, s[18:19]
	s_cbranch_execz .LBB100_805
; %bb.804:
	v_div_scale_f64 v[220:221], s[18:19], v[206:207], v[206:207], v[204:205]
	v_rcp_f64_e32 v[222:223], v[220:221]
	v_div_scale_f64 v[224:225], vcc, v[204:205], v[206:207], v[204:205]
	v_fma_f64 v[226:227], -v[220:221], v[222:223], 1.0
	v_fmac_f64_e32 v[222:223], v[222:223], v[226:227]
	v_fma_f64 v[226:227], -v[220:221], v[222:223], 1.0
	v_fmac_f64_e32 v[222:223], v[222:223], v[226:227]
	v_mul_f64 v[226:227], v[224:225], v[222:223]
	v_fma_f64 v[220:221], -v[220:221], v[226:227], v[224:225]
	v_div_fmas_f64 v[220:221], v[220:221], v[222:223], v[226:227]
	v_div_fixup_f64 v[220:221], v[220:221], v[206:207], v[204:205]
	v_fmac_f64_e32 v[206:207], v[204:205], v[220:221]
	v_div_scale_f64 v[204:205], s[18:19], v[206:207], v[206:207], 1.0
	v_rcp_f64_e32 v[222:223], v[204:205]
	s_nop 0
	v_fma_f64 v[224:225], -v[204:205], v[222:223], 1.0
	v_fmac_f64_e32 v[222:223], v[222:223], v[224:225]
	v_fma_f64 v[224:225], -v[204:205], v[222:223], 1.0
	v_fmac_f64_e32 v[222:223], v[222:223], v[224:225]
	v_div_scale_f64 v[224:225], vcc, 1.0, v[206:207], 1.0
	v_mul_f64 v[226:227], v[224:225], v[222:223]
	v_fma_f64 v[204:205], -v[204:205], v[226:227], v[224:225]
	s_nop 1
	v_div_fmas_f64 v[204:205], v[204:205], v[222:223], v[226:227]
	v_div_fixup_f64 v[206:207], v[204:205], v[206:207], 1.0
	v_mul_f64 v[204:205], v[220:221], v[206:207]
	v_xor_b32_e32 v207, 0x80000000, v207
.LBB100_805:
	s_andn2_saveexec_b64 s[16:17], s[16:17]
	s_cbranch_execz .LBB100_807
; %bb.806:
	v_div_scale_f64 v[220:221], s[18:19], v[204:205], v[204:205], v[206:207]
	v_rcp_f64_e32 v[222:223], v[220:221]
	v_div_scale_f64 v[224:225], vcc, v[206:207], v[204:205], v[206:207]
	v_fma_f64 v[226:227], -v[220:221], v[222:223], 1.0
	v_fmac_f64_e32 v[222:223], v[222:223], v[226:227]
	v_fma_f64 v[226:227], -v[220:221], v[222:223], 1.0
	v_fmac_f64_e32 v[222:223], v[222:223], v[226:227]
	v_mul_f64 v[226:227], v[224:225], v[222:223]
	v_fma_f64 v[220:221], -v[220:221], v[226:227], v[224:225]
	v_div_fmas_f64 v[220:221], v[220:221], v[222:223], v[226:227]
	v_div_fixup_f64 v[220:221], v[220:221], v[204:205], v[206:207]
	v_fmac_f64_e32 v[204:205], v[206:207], v[220:221]
	v_div_scale_f64 v[206:207], s[18:19], v[204:205], v[204:205], 1.0
	v_rcp_f64_e32 v[222:223], v[206:207]
	s_nop 0
	v_fma_f64 v[224:225], -v[206:207], v[222:223], 1.0
	v_fmac_f64_e32 v[222:223], v[222:223], v[224:225]
	v_fma_f64 v[224:225], -v[206:207], v[222:223], 1.0
	v_fmac_f64_e32 v[222:223], v[222:223], v[224:225]
	v_div_scale_f64 v[224:225], vcc, 1.0, v[204:205], 1.0
	v_mul_f64 v[226:227], v[224:225], v[222:223]
	v_fma_f64 v[206:207], -v[206:207], v[226:227], v[224:225]
	s_nop 1
	v_div_fmas_f64 v[206:207], v[206:207], v[222:223], v[226:227]
	v_div_fixup_f64 v[204:205], v[206:207], v[204:205], 1.0
	v_mul_f64 v[206:207], v[220:221], -v[204:205]
.LBB100_807:
	s_or_b64 exec, exec, s[16:17]
.LBB100_808:
	s_or_b64 exec, exec, s[0:1]
	v_cmp_ne_u32_e32 vcc, v217, v214
	s_and_saveexec_b64 s[0:1], vcc
	s_xor_b64 s[0:1], exec, s[0:1]
	s_cbranch_execz .LBB100_814
; %bb.809:
	v_cmp_eq_u32_e32 vcc, 38, v217
	s_and_saveexec_b64 s[16:17], vcc
	s_cbranch_execz .LBB100_813
; %bb.810:
	v_cmp_ne_u32_e32 vcc, 38, v214
	s_xor_b64 s[18:19], s[14:15], -1
	s_and_b64 s[22:23], s[18:19], vcc
	s_and_saveexec_b64 s[18:19], s[22:23]
	s_cbranch_execz .LBB100_812
; %bb.811:
	v_ashrrev_i32_e32 v215, 31, v214
	v_lshl_add_u64 v[220:221], v[214:215], 2, v[212:213]
	global_load_dword v215, v[220:221], off
	global_load_dword v217, v[212:213], off offset:152
	s_waitcnt vmcnt(1)
	global_store_dword v[212:213], v215, off offset:152
	s_waitcnt vmcnt(1)
	global_store_dword v[220:221], v217, off
.LBB100_812:
	s_or_b64 exec, exec, s[18:19]
	v_mov_b32_e32 v217, v214
	v_mov_b32_e32 v219, v214
.LBB100_813:
	s_or_b64 exec, exec, s[16:17]
.LBB100_814:
	s_andn2_saveexec_b64 s[0:1], s[0:1]
	s_cbranch_execz .LBB100_816
; %bb.815:
	v_mov_b32_e32 v217, 38
	s_waitcnt vmcnt(11)
	ds_write2_b64 v216, v[40:41], v[42:43] offset0:78 offset1:79
	s_waitcnt vmcnt(10)
	ds_write2_b64 v216, v[36:37], v[38:39] offset0:80 offset1:81
	;; [unrolled: 2-line block ×12, first 2 shown]
.LBB100_816:
	s_or_b64 exec, exec, s[0:1]
	v_cmp_lt_i32_e32 vcc, 38, v217
	s_waitcnt lgkmcnt(0)
	s_barrier
	s_and_saveexec_b64 s[0:1], vcc
	s_cbranch_execz .LBB100_818
; %bb.817:
	ds_read2_b64 v[220:223], v216 offset0:78 offset1:79
	v_mul_f64 v[214:215], v[204:205], v[46:47]
	v_mul_f64 v[46:47], v[206:207], v[46:47]
	v_fmac_f64_e32 v[214:215], v[206:207], v[44:45]
	v_fma_f64 v[44:45], v[204:205], v[44:45], -v[46:47]
	ds_read2_b64 v[204:207], v216 offset0:80 offset1:81
	s_waitcnt lgkmcnt(1)
	v_mul_f64 v[46:47], v[222:223], v[214:215]
	v_fma_f64 v[46:47], v[220:221], v[44:45], -v[46:47]
	v_mul_f64 v[220:221], v[220:221], v[214:215]
	v_fmac_f64_e32 v[220:221], v[222:223], v[44:45]
	s_waitcnt vmcnt(11)
	v_add_f64 v[40:41], v[40:41], -v[46:47]
	s_waitcnt lgkmcnt(0)
	v_mul_f64 v[46:47], v[206:207], v[214:215]
	v_add_f64 v[42:43], v[42:43], -v[220:221]
	v_fma_f64 v[46:47], v[204:205], v[44:45], -v[46:47]
	v_mul_f64 v[204:205], v[204:205], v[214:215]
	ds_read2_b64 v[220:223], v216 offset0:82 offset1:83
	v_fmac_f64_e32 v[204:205], v[206:207], v[44:45]
	s_waitcnt vmcnt(10)
	v_add_f64 v[38:39], v[38:39], -v[204:205]
	ds_read2_b64 v[204:207], v216 offset0:84 offset1:85
	v_add_f64 v[36:37], v[36:37], -v[46:47]
	s_waitcnt lgkmcnt(1)
	v_mul_f64 v[46:47], v[222:223], v[214:215]
	v_fma_f64 v[46:47], v[220:221], v[44:45], -v[46:47]
	v_mul_f64 v[220:221], v[220:221], v[214:215]
	v_fmac_f64_e32 v[220:221], v[222:223], v[44:45]
	s_waitcnt vmcnt(9)
	v_add_f64 v[32:33], v[32:33], -v[46:47]
	s_waitcnt lgkmcnt(0)
	v_mul_f64 v[46:47], v[206:207], v[214:215]
	v_add_f64 v[34:35], v[34:35], -v[220:221]
	v_fma_f64 v[46:47], v[204:205], v[44:45], -v[46:47]
	v_mul_f64 v[204:205], v[204:205], v[214:215]
	ds_read2_b64 v[220:223], v216 offset0:86 offset1:87
	v_fmac_f64_e32 v[204:205], v[206:207], v[44:45]
	s_waitcnt vmcnt(8)
	v_add_f64 v[30:31], v[30:31], -v[204:205]
	ds_read2_b64 v[204:207], v216 offset0:88 offset1:89
	v_add_f64 v[28:29], v[28:29], -v[46:47]
	;; [unrolled: 18-line block ×5, first 2 shown]
	s_waitcnt lgkmcnt(1)
	v_mul_f64 v[46:47], v[222:223], v[214:215]
	v_fma_f64 v[46:47], v[220:221], v[44:45], -v[46:47]
	s_waitcnt vmcnt(1)
	v_add_f64 v[0:1], v[0:1], -v[46:47]
	s_waitcnt lgkmcnt(0)
	v_mul_f64 v[46:47], v[206:207], v[214:215]
	v_mul_f64 v[220:221], v[220:221], v[214:215]
	v_fma_f64 v[46:47], v[204:205], v[44:45], -v[46:47]
	v_mul_f64 v[204:205], v[204:205], v[214:215]
	v_fmac_f64_e32 v[220:221], v[222:223], v[44:45]
	v_fmac_f64_e32 v[204:205], v[206:207], v[44:45]
	v_add_f64 v[2:3], v[2:3], -v[220:221]
	s_waitcnt vmcnt(0)
	v_add_f64 v[200:201], v[200:201], -v[46:47]
	v_add_f64 v[202:203], v[202:203], -v[204:205]
	v_mov_b64_e32 v[46:47], v[214:215]
.LBB100_818:
	s_or_b64 exec, exec, s[0:1]
	v_lshl_add_u32 v204, v217, 4, v216
	s_barrier
	s_waitcnt vmcnt(11)
	ds_write2_b64 v204, v[40:41], v[42:43] offset1:1
	s_waitcnt lgkmcnt(0)
	s_barrier
	ds_read2_b64 v[204:207], v216 offset0:78 offset1:79
	s_cmp_lt_i32 s20, 41
	v_mov_b32_e32 v214, 39
	s_cbranch_scc1 .LBB100_821
; %bb.819:
	v_add_u32_e32 v215, 0x280, v216
	s_mov_b32 s16, 40
	v_mov_b32_e32 v214, 39
.LBB100_820:                            ; =>This Inner Loop Header: Depth=1
	ds_read2_b64 v[220:223], v215 offset1:1
	s_waitcnt lgkmcnt(1)
	v_xor_b32_e32 v225, 0x80000000, v205
	v_xor_b32_e32 v227, 0x80000000, v207
	v_cmp_gt_f64_e32 vcc, 0, v[206:207]
	v_cmp_gt_f64_e64 s[0:1], 0, v[204:205]
	v_mov_b32_e32 v224, v204
	v_mov_b32_e32 v226, v206
	v_cndmask_b32_e64 v225, v205, v225, s[0:1]
	v_cndmask_b32_e32 v227, v207, v227, vcc
	v_add_f64 v[224:225], v[224:225], v[226:227]
	s_waitcnt lgkmcnt(0)
	v_xor_b32_e32 v227, 0x80000000, v221
	v_xor_b32_e32 v229, 0x80000000, v223
	v_cmp_gt_f64_e32 vcc, 0, v[222:223]
	v_cmp_gt_f64_e64 s[0:1], 0, v[220:221]
	v_mov_b32_e32 v226, v220
	v_mov_b32_e32 v228, v222
	v_cndmask_b32_e64 v227, v221, v227, s[0:1]
	v_cndmask_b32_e32 v229, v223, v229, vcc
	v_add_f64 v[226:227], v[226:227], v[228:229]
	v_mov_b32_e32 v230, s16
	s_add_i32 s16, s16, 1
	v_cmp_lt_f64_e32 vcc, v[224:225], v[226:227]
	v_add_u32_e32 v215, 16, v215
	s_cmp_lg_u32 s20, s16
	v_cndmask_b32_e32 v205, v205, v221, vcc
	v_cndmask_b32_e32 v204, v204, v220, vcc
	v_cndmask_b32_e32 v207, v207, v223, vcc
	v_cndmask_b32_e32 v206, v206, v222, vcc
	v_cndmask_b32_e32 v214, v214, v230, vcc
	s_cbranch_scc1 .LBB100_820
.LBB100_821:
	s_waitcnt lgkmcnt(0)
	v_cmp_eq_f64_e32 vcc, 0, v[204:205]
	v_cmp_eq_f64_e64 s[0:1], 0, v[206:207]
	s_and_b64 s[0:1], vcc, s[0:1]
	s_and_saveexec_b64 s[16:17], s[0:1]
	s_xor_b64 s[0:1], exec, s[16:17]
; %bb.822:
	v_cmp_ne_u32_e32 vcc, 0, v218
	s_nop 1
	v_cndmask_b32_e32 v218, 40, v218, vcc
; %bb.823:
	s_andn2_saveexec_b64 s[0:1], s[0:1]
	s_cbranch_execz .LBB100_829
; %bb.824:
	v_cmp_ngt_f64_e64 s[16:17], |v[204:205]|, |v[206:207]|
	s_and_saveexec_b64 s[18:19], s[16:17]
	s_xor_b64 s[16:17], exec, s[18:19]
	s_cbranch_execz .LBB100_826
; %bb.825:
	v_div_scale_f64 v[220:221], s[18:19], v[206:207], v[206:207], v[204:205]
	v_rcp_f64_e32 v[222:223], v[220:221]
	v_div_scale_f64 v[224:225], vcc, v[204:205], v[206:207], v[204:205]
	v_fma_f64 v[226:227], -v[220:221], v[222:223], 1.0
	v_fmac_f64_e32 v[222:223], v[222:223], v[226:227]
	v_fma_f64 v[226:227], -v[220:221], v[222:223], 1.0
	v_fmac_f64_e32 v[222:223], v[222:223], v[226:227]
	v_mul_f64 v[226:227], v[224:225], v[222:223]
	v_fma_f64 v[220:221], -v[220:221], v[226:227], v[224:225]
	v_div_fmas_f64 v[220:221], v[220:221], v[222:223], v[226:227]
	v_div_fixup_f64 v[220:221], v[220:221], v[206:207], v[204:205]
	v_fmac_f64_e32 v[206:207], v[204:205], v[220:221]
	v_div_scale_f64 v[204:205], s[18:19], v[206:207], v[206:207], 1.0
	v_rcp_f64_e32 v[222:223], v[204:205]
	s_nop 0
	v_fma_f64 v[224:225], -v[204:205], v[222:223], 1.0
	v_fmac_f64_e32 v[222:223], v[222:223], v[224:225]
	v_fma_f64 v[224:225], -v[204:205], v[222:223], 1.0
	v_fmac_f64_e32 v[222:223], v[222:223], v[224:225]
	v_div_scale_f64 v[224:225], vcc, 1.0, v[206:207], 1.0
	v_mul_f64 v[226:227], v[224:225], v[222:223]
	v_fma_f64 v[204:205], -v[204:205], v[226:227], v[224:225]
	s_nop 1
	v_div_fmas_f64 v[204:205], v[204:205], v[222:223], v[226:227]
	v_div_fixup_f64 v[206:207], v[204:205], v[206:207], 1.0
	v_mul_f64 v[204:205], v[220:221], v[206:207]
	v_xor_b32_e32 v207, 0x80000000, v207
.LBB100_826:
	s_andn2_saveexec_b64 s[16:17], s[16:17]
	s_cbranch_execz .LBB100_828
; %bb.827:
	v_div_scale_f64 v[220:221], s[18:19], v[204:205], v[204:205], v[206:207]
	v_rcp_f64_e32 v[222:223], v[220:221]
	v_div_scale_f64 v[224:225], vcc, v[206:207], v[204:205], v[206:207]
	v_fma_f64 v[226:227], -v[220:221], v[222:223], 1.0
	v_fmac_f64_e32 v[222:223], v[222:223], v[226:227]
	v_fma_f64 v[226:227], -v[220:221], v[222:223], 1.0
	v_fmac_f64_e32 v[222:223], v[222:223], v[226:227]
	v_mul_f64 v[226:227], v[224:225], v[222:223]
	v_fma_f64 v[220:221], -v[220:221], v[226:227], v[224:225]
	v_div_fmas_f64 v[220:221], v[220:221], v[222:223], v[226:227]
	v_div_fixup_f64 v[220:221], v[220:221], v[204:205], v[206:207]
	v_fmac_f64_e32 v[204:205], v[206:207], v[220:221]
	v_div_scale_f64 v[206:207], s[18:19], v[204:205], v[204:205], 1.0
	v_rcp_f64_e32 v[222:223], v[206:207]
	s_nop 0
	v_fma_f64 v[224:225], -v[206:207], v[222:223], 1.0
	v_fmac_f64_e32 v[222:223], v[222:223], v[224:225]
	v_fma_f64 v[224:225], -v[206:207], v[222:223], 1.0
	v_fmac_f64_e32 v[222:223], v[222:223], v[224:225]
	v_div_scale_f64 v[224:225], vcc, 1.0, v[204:205], 1.0
	v_mul_f64 v[226:227], v[224:225], v[222:223]
	v_fma_f64 v[206:207], -v[206:207], v[226:227], v[224:225]
	s_nop 1
	v_div_fmas_f64 v[206:207], v[206:207], v[222:223], v[226:227]
	v_div_fixup_f64 v[204:205], v[206:207], v[204:205], 1.0
	v_mul_f64 v[206:207], v[220:221], -v[204:205]
.LBB100_828:
	s_or_b64 exec, exec, s[16:17]
.LBB100_829:
	s_or_b64 exec, exec, s[0:1]
	v_cmp_ne_u32_e32 vcc, v217, v214
	s_and_saveexec_b64 s[0:1], vcc
	s_xor_b64 s[0:1], exec, s[0:1]
	s_cbranch_execz .LBB100_835
; %bb.830:
	v_cmp_eq_u32_e32 vcc, 39, v217
	s_and_saveexec_b64 s[16:17], vcc
	s_cbranch_execz .LBB100_834
; %bb.831:
	v_cmp_ne_u32_e32 vcc, 39, v214
	s_xor_b64 s[18:19], s[14:15], -1
	s_and_b64 s[22:23], s[18:19], vcc
	s_and_saveexec_b64 s[18:19], s[22:23]
	s_cbranch_execz .LBB100_833
; %bb.832:
	v_ashrrev_i32_e32 v215, 31, v214
	v_lshl_add_u64 v[220:221], v[214:215], 2, v[212:213]
	global_load_dword v215, v[220:221], off
	global_load_dword v217, v[212:213], off offset:156
	s_waitcnt vmcnt(1)
	global_store_dword v[212:213], v215, off offset:156
	s_waitcnt vmcnt(1)
	global_store_dword v[220:221], v217, off
.LBB100_833:
	s_or_b64 exec, exec, s[18:19]
	v_mov_b32_e32 v217, v214
	v_mov_b32_e32 v219, v214
.LBB100_834:
	s_or_b64 exec, exec, s[16:17]
.LBB100_835:
	s_andn2_saveexec_b64 s[0:1], s[0:1]
	s_cbranch_execz .LBB100_837
; %bb.836:
	v_mov_b32_e32 v217, 39
	s_waitcnt vmcnt(10)
	ds_write2_b64 v216, v[36:37], v[38:39] offset0:80 offset1:81
	s_waitcnt vmcnt(9)
	ds_write2_b64 v216, v[32:33], v[34:35] offset0:82 offset1:83
	;; [unrolled: 2-line block ×11, first 2 shown]
.LBB100_837:
	s_or_b64 exec, exec, s[0:1]
	v_cmp_lt_i32_e32 vcc, 39, v217
	s_waitcnt lgkmcnt(0)
	s_barrier
	s_and_saveexec_b64 s[0:1], vcc
	s_cbranch_execz .LBB100_839
; %bb.838:
	ds_read2_b64 v[220:223], v216 offset0:80 offset1:81
	v_mul_f64 v[214:215], v[204:205], v[42:43]
	v_fmac_f64_e32 v[214:215], v[206:207], v[40:41]
	v_mul_f64 v[42:43], v[206:207], v[42:43]
	v_fma_f64 v[40:41], v[204:205], v[40:41], -v[42:43]
	ds_read2_b64 v[204:207], v216 offset0:82 offset1:83
	s_waitcnt lgkmcnt(1)
	v_mul_f64 v[42:43], v[222:223], v[214:215]
	v_fma_f64 v[42:43], v[220:221], v[40:41], -v[42:43]
	v_mul_f64 v[220:221], v[220:221], v[214:215]
	v_fmac_f64_e32 v[220:221], v[222:223], v[40:41]
	s_waitcnt vmcnt(10)
	v_add_f64 v[38:39], v[38:39], -v[220:221]
	ds_read2_b64 v[220:223], v216 offset0:84 offset1:85
	v_add_f64 v[36:37], v[36:37], -v[42:43]
	s_waitcnt lgkmcnt(1)
	v_mul_f64 v[42:43], v[206:207], v[214:215]
	v_fma_f64 v[42:43], v[204:205], v[40:41], -v[42:43]
	v_mul_f64 v[204:205], v[204:205], v[214:215]
	v_fmac_f64_e32 v[204:205], v[206:207], v[40:41]
	s_waitcnt vmcnt(9)
	v_add_f64 v[32:33], v[32:33], -v[42:43]
	v_add_f64 v[34:35], v[34:35], -v[204:205]
	ds_read2_b64 v[204:207], v216 offset0:86 offset1:87
	s_waitcnt lgkmcnt(1)
	v_mul_f64 v[42:43], v[222:223], v[214:215]
	v_fma_f64 v[42:43], v[220:221], v[40:41], -v[42:43]
	v_mul_f64 v[220:221], v[220:221], v[214:215]
	v_fmac_f64_e32 v[220:221], v[222:223], v[40:41]
	s_waitcnt vmcnt(8)
	v_add_f64 v[30:31], v[30:31], -v[220:221]
	ds_read2_b64 v[220:223], v216 offset0:88 offset1:89
	v_add_f64 v[28:29], v[28:29], -v[42:43]
	s_waitcnt lgkmcnt(1)
	v_mul_f64 v[42:43], v[206:207], v[214:215]
	v_fma_f64 v[42:43], v[204:205], v[40:41], -v[42:43]
	v_mul_f64 v[204:205], v[204:205], v[214:215]
	v_fmac_f64_e32 v[204:205], v[206:207], v[40:41]
	s_waitcnt vmcnt(7)
	v_add_f64 v[24:25], v[24:25], -v[42:43]
	v_add_f64 v[26:27], v[26:27], -v[204:205]
	;; [unrolled: 18-line block ×5, first 2 shown]
	s_waitcnt lgkmcnt(0)
	v_mul_f64 v[42:43], v[222:223], v[214:215]
	v_mul_f64 v[204:205], v[220:221], v[214:215]
	v_fma_f64 v[42:43], v[220:221], v[40:41], -v[42:43]
	v_fmac_f64_e32 v[204:205], v[222:223], v[40:41]
	s_waitcnt vmcnt(0)
	v_add_f64 v[200:201], v[200:201], -v[42:43]
	v_add_f64 v[202:203], v[202:203], -v[204:205]
	v_mov_b64_e32 v[42:43], v[214:215]
.LBB100_839:
	s_or_b64 exec, exec, s[0:1]
	v_lshl_add_u32 v204, v217, 4, v216
	s_barrier
	s_waitcnt vmcnt(10)
	ds_write2_b64 v204, v[36:37], v[38:39] offset1:1
	s_waitcnt lgkmcnt(0)
	s_barrier
	ds_read2_b64 v[204:207], v216 offset0:80 offset1:81
	s_cmp_lt_i32 s20, 42
	v_mov_b32_e32 v214, 40
	s_cbranch_scc1 .LBB100_842
; %bb.840:
	v_add_u32_e32 v215, 0x290, v216
	s_mov_b32 s16, 41
	v_mov_b32_e32 v214, 40
.LBB100_841:                            ; =>This Inner Loop Header: Depth=1
	ds_read2_b64 v[220:223], v215 offset1:1
	s_waitcnt lgkmcnt(1)
	v_xor_b32_e32 v225, 0x80000000, v205
	v_xor_b32_e32 v227, 0x80000000, v207
	v_cmp_gt_f64_e32 vcc, 0, v[206:207]
	v_cmp_gt_f64_e64 s[0:1], 0, v[204:205]
	v_mov_b32_e32 v224, v204
	v_mov_b32_e32 v226, v206
	v_cndmask_b32_e64 v225, v205, v225, s[0:1]
	v_cndmask_b32_e32 v227, v207, v227, vcc
	v_add_f64 v[224:225], v[224:225], v[226:227]
	s_waitcnt lgkmcnt(0)
	v_xor_b32_e32 v227, 0x80000000, v221
	v_xor_b32_e32 v229, 0x80000000, v223
	v_cmp_gt_f64_e32 vcc, 0, v[222:223]
	v_cmp_gt_f64_e64 s[0:1], 0, v[220:221]
	v_mov_b32_e32 v226, v220
	v_mov_b32_e32 v228, v222
	v_cndmask_b32_e64 v227, v221, v227, s[0:1]
	v_cndmask_b32_e32 v229, v223, v229, vcc
	v_add_f64 v[226:227], v[226:227], v[228:229]
	v_mov_b32_e32 v230, s16
	s_add_i32 s16, s16, 1
	v_cmp_lt_f64_e32 vcc, v[224:225], v[226:227]
	v_add_u32_e32 v215, 16, v215
	s_cmp_lg_u32 s20, s16
	v_cndmask_b32_e32 v205, v205, v221, vcc
	v_cndmask_b32_e32 v204, v204, v220, vcc
	;; [unrolled: 1-line block ×5, first 2 shown]
	s_cbranch_scc1 .LBB100_841
.LBB100_842:
	s_waitcnt lgkmcnt(0)
	v_cmp_eq_f64_e32 vcc, 0, v[204:205]
	v_cmp_eq_f64_e64 s[0:1], 0, v[206:207]
	s_and_b64 s[0:1], vcc, s[0:1]
	s_and_saveexec_b64 s[16:17], s[0:1]
	s_xor_b64 s[0:1], exec, s[16:17]
; %bb.843:
	v_cmp_ne_u32_e32 vcc, 0, v218
	s_nop 1
	v_cndmask_b32_e32 v218, 41, v218, vcc
; %bb.844:
	s_andn2_saveexec_b64 s[0:1], s[0:1]
	s_cbranch_execz .LBB100_850
; %bb.845:
	v_cmp_ngt_f64_e64 s[16:17], |v[204:205]|, |v[206:207]|
	s_and_saveexec_b64 s[18:19], s[16:17]
	s_xor_b64 s[16:17], exec, s[18:19]
	s_cbranch_execz .LBB100_847
; %bb.846:
	v_div_scale_f64 v[220:221], s[18:19], v[206:207], v[206:207], v[204:205]
	v_rcp_f64_e32 v[222:223], v[220:221]
	v_div_scale_f64 v[224:225], vcc, v[204:205], v[206:207], v[204:205]
	v_fma_f64 v[226:227], -v[220:221], v[222:223], 1.0
	v_fmac_f64_e32 v[222:223], v[222:223], v[226:227]
	v_fma_f64 v[226:227], -v[220:221], v[222:223], 1.0
	v_fmac_f64_e32 v[222:223], v[222:223], v[226:227]
	v_mul_f64 v[226:227], v[224:225], v[222:223]
	v_fma_f64 v[220:221], -v[220:221], v[226:227], v[224:225]
	v_div_fmas_f64 v[220:221], v[220:221], v[222:223], v[226:227]
	v_div_fixup_f64 v[220:221], v[220:221], v[206:207], v[204:205]
	v_fmac_f64_e32 v[206:207], v[204:205], v[220:221]
	v_div_scale_f64 v[204:205], s[18:19], v[206:207], v[206:207], 1.0
	v_rcp_f64_e32 v[222:223], v[204:205]
	s_nop 0
	v_fma_f64 v[224:225], -v[204:205], v[222:223], 1.0
	v_fmac_f64_e32 v[222:223], v[222:223], v[224:225]
	v_fma_f64 v[224:225], -v[204:205], v[222:223], 1.0
	v_fmac_f64_e32 v[222:223], v[222:223], v[224:225]
	v_div_scale_f64 v[224:225], vcc, 1.0, v[206:207], 1.0
	v_mul_f64 v[226:227], v[224:225], v[222:223]
	v_fma_f64 v[204:205], -v[204:205], v[226:227], v[224:225]
	s_nop 1
	v_div_fmas_f64 v[204:205], v[204:205], v[222:223], v[226:227]
	v_div_fixup_f64 v[206:207], v[204:205], v[206:207], 1.0
	v_mul_f64 v[204:205], v[220:221], v[206:207]
	v_xor_b32_e32 v207, 0x80000000, v207
.LBB100_847:
	s_andn2_saveexec_b64 s[16:17], s[16:17]
	s_cbranch_execz .LBB100_849
; %bb.848:
	v_div_scale_f64 v[220:221], s[18:19], v[204:205], v[204:205], v[206:207]
	v_rcp_f64_e32 v[222:223], v[220:221]
	v_div_scale_f64 v[224:225], vcc, v[206:207], v[204:205], v[206:207]
	v_fma_f64 v[226:227], -v[220:221], v[222:223], 1.0
	v_fmac_f64_e32 v[222:223], v[222:223], v[226:227]
	v_fma_f64 v[226:227], -v[220:221], v[222:223], 1.0
	v_fmac_f64_e32 v[222:223], v[222:223], v[226:227]
	v_mul_f64 v[226:227], v[224:225], v[222:223]
	v_fma_f64 v[220:221], -v[220:221], v[226:227], v[224:225]
	v_div_fmas_f64 v[220:221], v[220:221], v[222:223], v[226:227]
	v_div_fixup_f64 v[220:221], v[220:221], v[204:205], v[206:207]
	v_fmac_f64_e32 v[204:205], v[206:207], v[220:221]
	v_div_scale_f64 v[206:207], s[18:19], v[204:205], v[204:205], 1.0
	v_rcp_f64_e32 v[222:223], v[206:207]
	s_nop 0
	v_fma_f64 v[224:225], -v[206:207], v[222:223], 1.0
	v_fmac_f64_e32 v[222:223], v[222:223], v[224:225]
	v_fma_f64 v[224:225], -v[206:207], v[222:223], 1.0
	v_fmac_f64_e32 v[222:223], v[222:223], v[224:225]
	v_div_scale_f64 v[224:225], vcc, 1.0, v[204:205], 1.0
	v_mul_f64 v[226:227], v[224:225], v[222:223]
	v_fma_f64 v[206:207], -v[206:207], v[226:227], v[224:225]
	s_nop 1
	v_div_fmas_f64 v[206:207], v[206:207], v[222:223], v[226:227]
	v_div_fixup_f64 v[204:205], v[206:207], v[204:205], 1.0
	v_mul_f64 v[206:207], v[220:221], -v[204:205]
.LBB100_849:
	s_or_b64 exec, exec, s[16:17]
.LBB100_850:
	s_or_b64 exec, exec, s[0:1]
	v_cmp_ne_u32_e32 vcc, v217, v214
	s_and_saveexec_b64 s[0:1], vcc
	s_xor_b64 s[0:1], exec, s[0:1]
	s_cbranch_execz .LBB100_856
; %bb.851:
	v_cmp_eq_u32_e32 vcc, 40, v217
	s_and_saveexec_b64 s[16:17], vcc
	s_cbranch_execz .LBB100_855
; %bb.852:
	v_cmp_ne_u32_e32 vcc, 40, v214
	s_xor_b64 s[18:19], s[14:15], -1
	s_and_b64 s[22:23], s[18:19], vcc
	s_and_saveexec_b64 s[18:19], s[22:23]
	s_cbranch_execz .LBB100_854
; %bb.853:
	v_ashrrev_i32_e32 v215, 31, v214
	v_lshl_add_u64 v[220:221], v[214:215], 2, v[212:213]
	global_load_dword v215, v[220:221], off
	global_load_dword v217, v[212:213], off offset:160
	s_waitcnt vmcnt(1)
	global_store_dword v[212:213], v215, off offset:160
	s_waitcnt vmcnt(1)
	global_store_dword v[220:221], v217, off
.LBB100_854:
	s_or_b64 exec, exec, s[18:19]
	v_mov_b32_e32 v217, v214
	v_mov_b32_e32 v219, v214
.LBB100_855:
	s_or_b64 exec, exec, s[16:17]
.LBB100_856:
	s_andn2_saveexec_b64 s[0:1], s[0:1]
	s_cbranch_execz .LBB100_858
; %bb.857:
	v_mov_b32_e32 v217, 40
	s_waitcnt vmcnt(9)
	ds_write2_b64 v216, v[32:33], v[34:35] offset0:82 offset1:83
	s_waitcnt vmcnt(8)
	ds_write2_b64 v216, v[28:29], v[30:31] offset0:84 offset1:85
	;; [unrolled: 2-line block ×10, first 2 shown]
.LBB100_858:
	s_or_b64 exec, exec, s[0:1]
	v_cmp_lt_i32_e32 vcc, 40, v217
	s_waitcnt lgkmcnt(0)
	s_barrier
	s_and_saveexec_b64 s[0:1], vcc
	s_cbranch_execz .LBB100_860
; %bb.859:
	ds_read2_b64 v[220:223], v216 offset0:82 offset1:83
	v_mul_f64 v[214:215], v[204:205], v[38:39]
	v_mul_f64 v[38:39], v[206:207], v[38:39]
	v_fmac_f64_e32 v[214:215], v[206:207], v[36:37]
	v_fma_f64 v[36:37], v[204:205], v[36:37], -v[38:39]
	ds_read2_b64 v[204:207], v216 offset0:84 offset1:85
	s_waitcnt lgkmcnt(1)
	v_mul_f64 v[38:39], v[222:223], v[214:215]
	v_fma_f64 v[38:39], v[220:221], v[36:37], -v[38:39]
	v_mul_f64 v[220:221], v[220:221], v[214:215]
	v_fmac_f64_e32 v[220:221], v[222:223], v[36:37]
	s_waitcnt vmcnt(9)
	v_add_f64 v[32:33], v[32:33], -v[38:39]
	s_waitcnt lgkmcnt(0)
	v_mul_f64 v[38:39], v[206:207], v[214:215]
	v_add_f64 v[34:35], v[34:35], -v[220:221]
	v_fma_f64 v[38:39], v[204:205], v[36:37], -v[38:39]
	v_mul_f64 v[204:205], v[204:205], v[214:215]
	ds_read2_b64 v[220:223], v216 offset0:86 offset1:87
	v_fmac_f64_e32 v[204:205], v[206:207], v[36:37]
	s_waitcnt vmcnt(8)
	v_add_f64 v[30:31], v[30:31], -v[204:205]
	ds_read2_b64 v[204:207], v216 offset0:88 offset1:89
	v_add_f64 v[28:29], v[28:29], -v[38:39]
	s_waitcnt lgkmcnt(1)
	v_mul_f64 v[38:39], v[222:223], v[214:215]
	v_fma_f64 v[38:39], v[220:221], v[36:37], -v[38:39]
	v_mul_f64 v[220:221], v[220:221], v[214:215]
	v_fmac_f64_e32 v[220:221], v[222:223], v[36:37]
	s_waitcnt vmcnt(7)
	v_add_f64 v[24:25], v[24:25], -v[38:39]
	s_waitcnt lgkmcnt(0)
	v_mul_f64 v[38:39], v[206:207], v[214:215]
	v_add_f64 v[26:27], v[26:27], -v[220:221]
	v_fma_f64 v[38:39], v[204:205], v[36:37], -v[38:39]
	v_mul_f64 v[204:205], v[204:205], v[214:215]
	ds_read2_b64 v[220:223], v216 offset0:90 offset1:91
	v_fmac_f64_e32 v[204:205], v[206:207], v[36:37]
	s_waitcnt vmcnt(6)
	v_add_f64 v[22:23], v[22:23], -v[204:205]
	ds_read2_b64 v[204:207], v216 offset0:92 offset1:93
	v_add_f64 v[20:21], v[20:21], -v[38:39]
	;; [unrolled: 18-line block ×4, first 2 shown]
	s_waitcnt lgkmcnt(1)
	v_mul_f64 v[38:39], v[222:223], v[214:215]
	v_fma_f64 v[38:39], v[220:221], v[36:37], -v[38:39]
	s_waitcnt vmcnt(1)
	v_add_f64 v[0:1], v[0:1], -v[38:39]
	s_waitcnt lgkmcnt(0)
	v_mul_f64 v[38:39], v[206:207], v[214:215]
	v_mul_f64 v[220:221], v[220:221], v[214:215]
	v_fma_f64 v[38:39], v[204:205], v[36:37], -v[38:39]
	v_mul_f64 v[204:205], v[204:205], v[214:215]
	v_fmac_f64_e32 v[220:221], v[222:223], v[36:37]
	v_fmac_f64_e32 v[204:205], v[206:207], v[36:37]
	v_add_f64 v[2:3], v[2:3], -v[220:221]
	s_waitcnt vmcnt(0)
	v_add_f64 v[200:201], v[200:201], -v[38:39]
	v_add_f64 v[202:203], v[202:203], -v[204:205]
	v_mov_b64_e32 v[38:39], v[214:215]
.LBB100_860:
	s_or_b64 exec, exec, s[0:1]
	v_lshl_add_u32 v204, v217, 4, v216
	s_barrier
	s_waitcnt vmcnt(9)
	ds_write2_b64 v204, v[32:33], v[34:35] offset1:1
	s_waitcnt lgkmcnt(0)
	s_barrier
	ds_read2_b64 v[204:207], v216 offset0:82 offset1:83
	s_cmp_lt_i32 s20, 43
	v_mov_b32_e32 v214, 41
	s_cbranch_scc1 .LBB100_863
; %bb.861:
	v_add_u32_e32 v215, 0x2a0, v216
	s_mov_b32 s16, 42
	v_mov_b32_e32 v214, 41
.LBB100_862:                            ; =>This Inner Loop Header: Depth=1
	ds_read2_b64 v[220:223], v215 offset1:1
	s_waitcnt lgkmcnt(1)
	v_xor_b32_e32 v225, 0x80000000, v205
	v_xor_b32_e32 v227, 0x80000000, v207
	v_cmp_gt_f64_e32 vcc, 0, v[206:207]
	v_cmp_gt_f64_e64 s[0:1], 0, v[204:205]
	v_mov_b32_e32 v224, v204
	v_mov_b32_e32 v226, v206
	v_cndmask_b32_e64 v225, v205, v225, s[0:1]
	v_cndmask_b32_e32 v227, v207, v227, vcc
	v_add_f64 v[224:225], v[224:225], v[226:227]
	s_waitcnt lgkmcnt(0)
	v_xor_b32_e32 v227, 0x80000000, v221
	v_xor_b32_e32 v229, 0x80000000, v223
	v_cmp_gt_f64_e32 vcc, 0, v[222:223]
	v_cmp_gt_f64_e64 s[0:1], 0, v[220:221]
	v_mov_b32_e32 v226, v220
	v_mov_b32_e32 v228, v222
	v_cndmask_b32_e64 v227, v221, v227, s[0:1]
	v_cndmask_b32_e32 v229, v223, v229, vcc
	v_add_f64 v[226:227], v[226:227], v[228:229]
	v_mov_b32_e32 v230, s16
	s_add_i32 s16, s16, 1
	v_cmp_lt_f64_e32 vcc, v[224:225], v[226:227]
	v_add_u32_e32 v215, 16, v215
	s_cmp_lg_u32 s20, s16
	v_cndmask_b32_e32 v205, v205, v221, vcc
	v_cndmask_b32_e32 v204, v204, v220, vcc
	;; [unrolled: 1-line block ×5, first 2 shown]
	s_cbranch_scc1 .LBB100_862
.LBB100_863:
	s_waitcnt lgkmcnt(0)
	v_cmp_eq_f64_e32 vcc, 0, v[204:205]
	v_cmp_eq_f64_e64 s[0:1], 0, v[206:207]
	s_and_b64 s[0:1], vcc, s[0:1]
	s_and_saveexec_b64 s[16:17], s[0:1]
	s_xor_b64 s[0:1], exec, s[16:17]
; %bb.864:
	v_cmp_ne_u32_e32 vcc, 0, v218
	s_nop 1
	v_cndmask_b32_e32 v218, 42, v218, vcc
; %bb.865:
	s_andn2_saveexec_b64 s[0:1], s[0:1]
	s_cbranch_execz .LBB100_871
; %bb.866:
	v_cmp_ngt_f64_e64 s[16:17], |v[204:205]|, |v[206:207]|
	s_and_saveexec_b64 s[18:19], s[16:17]
	s_xor_b64 s[16:17], exec, s[18:19]
	s_cbranch_execz .LBB100_868
; %bb.867:
	v_div_scale_f64 v[220:221], s[18:19], v[206:207], v[206:207], v[204:205]
	v_rcp_f64_e32 v[222:223], v[220:221]
	v_div_scale_f64 v[224:225], vcc, v[204:205], v[206:207], v[204:205]
	v_fma_f64 v[226:227], -v[220:221], v[222:223], 1.0
	v_fmac_f64_e32 v[222:223], v[222:223], v[226:227]
	v_fma_f64 v[226:227], -v[220:221], v[222:223], 1.0
	v_fmac_f64_e32 v[222:223], v[222:223], v[226:227]
	v_mul_f64 v[226:227], v[224:225], v[222:223]
	v_fma_f64 v[220:221], -v[220:221], v[226:227], v[224:225]
	v_div_fmas_f64 v[220:221], v[220:221], v[222:223], v[226:227]
	v_div_fixup_f64 v[220:221], v[220:221], v[206:207], v[204:205]
	v_fmac_f64_e32 v[206:207], v[204:205], v[220:221]
	v_div_scale_f64 v[204:205], s[18:19], v[206:207], v[206:207], 1.0
	v_rcp_f64_e32 v[222:223], v[204:205]
	s_nop 0
	v_fma_f64 v[224:225], -v[204:205], v[222:223], 1.0
	v_fmac_f64_e32 v[222:223], v[222:223], v[224:225]
	v_fma_f64 v[224:225], -v[204:205], v[222:223], 1.0
	v_fmac_f64_e32 v[222:223], v[222:223], v[224:225]
	v_div_scale_f64 v[224:225], vcc, 1.0, v[206:207], 1.0
	v_mul_f64 v[226:227], v[224:225], v[222:223]
	v_fma_f64 v[204:205], -v[204:205], v[226:227], v[224:225]
	s_nop 1
	v_div_fmas_f64 v[204:205], v[204:205], v[222:223], v[226:227]
	v_div_fixup_f64 v[206:207], v[204:205], v[206:207], 1.0
	v_mul_f64 v[204:205], v[220:221], v[206:207]
	v_xor_b32_e32 v207, 0x80000000, v207
.LBB100_868:
	s_andn2_saveexec_b64 s[16:17], s[16:17]
	s_cbranch_execz .LBB100_870
; %bb.869:
	v_div_scale_f64 v[220:221], s[18:19], v[204:205], v[204:205], v[206:207]
	v_rcp_f64_e32 v[222:223], v[220:221]
	v_div_scale_f64 v[224:225], vcc, v[206:207], v[204:205], v[206:207]
	v_fma_f64 v[226:227], -v[220:221], v[222:223], 1.0
	v_fmac_f64_e32 v[222:223], v[222:223], v[226:227]
	v_fma_f64 v[226:227], -v[220:221], v[222:223], 1.0
	v_fmac_f64_e32 v[222:223], v[222:223], v[226:227]
	v_mul_f64 v[226:227], v[224:225], v[222:223]
	v_fma_f64 v[220:221], -v[220:221], v[226:227], v[224:225]
	v_div_fmas_f64 v[220:221], v[220:221], v[222:223], v[226:227]
	v_div_fixup_f64 v[220:221], v[220:221], v[204:205], v[206:207]
	v_fmac_f64_e32 v[204:205], v[206:207], v[220:221]
	v_div_scale_f64 v[206:207], s[18:19], v[204:205], v[204:205], 1.0
	v_rcp_f64_e32 v[222:223], v[206:207]
	s_nop 0
	v_fma_f64 v[224:225], -v[206:207], v[222:223], 1.0
	v_fmac_f64_e32 v[222:223], v[222:223], v[224:225]
	v_fma_f64 v[224:225], -v[206:207], v[222:223], 1.0
	v_fmac_f64_e32 v[222:223], v[222:223], v[224:225]
	v_div_scale_f64 v[224:225], vcc, 1.0, v[204:205], 1.0
	v_mul_f64 v[226:227], v[224:225], v[222:223]
	v_fma_f64 v[206:207], -v[206:207], v[226:227], v[224:225]
	s_nop 1
	v_div_fmas_f64 v[206:207], v[206:207], v[222:223], v[226:227]
	v_div_fixup_f64 v[204:205], v[206:207], v[204:205], 1.0
	v_mul_f64 v[206:207], v[220:221], -v[204:205]
.LBB100_870:
	s_or_b64 exec, exec, s[16:17]
.LBB100_871:
	s_or_b64 exec, exec, s[0:1]
	v_cmp_ne_u32_e32 vcc, v217, v214
	s_and_saveexec_b64 s[0:1], vcc
	s_xor_b64 s[0:1], exec, s[0:1]
	s_cbranch_execz .LBB100_877
; %bb.872:
	v_cmp_eq_u32_e32 vcc, 41, v217
	s_and_saveexec_b64 s[16:17], vcc
	s_cbranch_execz .LBB100_876
; %bb.873:
	v_cmp_ne_u32_e32 vcc, 41, v214
	s_xor_b64 s[18:19], s[14:15], -1
	s_and_b64 s[22:23], s[18:19], vcc
	s_and_saveexec_b64 s[18:19], s[22:23]
	s_cbranch_execz .LBB100_875
; %bb.874:
	v_ashrrev_i32_e32 v215, 31, v214
	v_lshl_add_u64 v[220:221], v[214:215], 2, v[212:213]
	global_load_dword v215, v[220:221], off
	global_load_dword v217, v[212:213], off offset:164
	s_waitcnt vmcnt(1)
	global_store_dword v[212:213], v215, off offset:164
	s_waitcnt vmcnt(1)
	global_store_dword v[220:221], v217, off
.LBB100_875:
	s_or_b64 exec, exec, s[18:19]
	v_mov_b32_e32 v217, v214
	v_mov_b32_e32 v219, v214
.LBB100_876:
	s_or_b64 exec, exec, s[16:17]
.LBB100_877:
	s_andn2_saveexec_b64 s[0:1], s[0:1]
	s_cbranch_execz .LBB100_879
; %bb.878:
	v_mov_b32_e32 v217, 41
	s_waitcnt vmcnt(8)
	ds_write2_b64 v216, v[28:29], v[30:31] offset0:84 offset1:85
	s_waitcnt vmcnt(7)
	ds_write2_b64 v216, v[24:25], v[26:27] offset0:86 offset1:87
	;; [unrolled: 2-line block ×9, first 2 shown]
.LBB100_879:
	s_or_b64 exec, exec, s[0:1]
	v_cmp_lt_i32_e32 vcc, 41, v217
	s_waitcnt lgkmcnt(0)
	s_barrier
	s_and_saveexec_b64 s[0:1], vcc
	s_cbranch_execz .LBB100_881
; %bb.880:
	ds_read2_b64 v[220:223], v216 offset0:84 offset1:85
	v_mul_f64 v[214:215], v[204:205], v[34:35]
	v_fmac_f64_e32 v[214:215], v[206:207], v[32:33]
	v_mul_f64 v[34:35], v[206:207], v[34:35]
	v_fma_f64 v[32:33], v[204:205], v[32:33], -v[34:35]
	ds_read2_b64 v[204:207], v216 offset0:86 offset1:87
	s_waitcnt lgkmcnt(1)
	v_mul_f64 v[34:35], v[222:223], v[214:215]
	v_fma_f64 v[34:35], v[220:221], v[32:33], -v[34:35]
	v_mul_f64 v[220:221], v[220:221], v[214:215]
	v_fmac_f64_e32 v[220:221], v[222:223], v[32:33]
	s_waitcnt vmcnt(8)
	v_add_f64 v[30:31], v[30:31], -v[220:221]
	ds_read2_b64 v[220:223], v216 offset0:88 offset1:89
	v_add_f64 v[28:29], v[28:29], -v[34:35]
	s_waitcnt lgkmcnt(1)
	v_mul_f64 v[34:35], v[206:207], v[214:215]
	v_fma_f64 v[34:35], v[204:205], v[32:33], -v[34:35]
	v_mul_f64 v[204:205], v[204:205], v[214:215]
	v_fmac_f64_e32 v[204:205], v[206:207], v[32:33]
	s_waitcnt vmcnt(7)
	v_add_f64 v[24:25], v[24:25], -v[34:35]
	v_add_f64 v[26:27], v[26:27], -v[204:205]
	ds_read2_b64 v[204:207], v216 offset0:90 offset1:91
	s_waitcnt lgkmcnt(1)
	v_mul_f64 v[34:35], v[222:223], v[214:215]
	v_fma_f64 v[34:35], v[220:221], v[32:33], -v[34:35]
	v_mul_f64 v[220:221], v[220:221], v[214:215]
	v_fmac_f64_e32 v[220:221], v[222:223], v[32:33]
	s_waitcnt vmcnt(6)
	v_add_f64 v[22:23], v[22:23], -v[220:221]
	ds_read2_b64 v[220:223], v216 offset0:92 offset1:93
	v_add_f64 v[20:21], v[20:21], -v[34:35]
	s_waitcnt lgkmcnt(1)
	v_mul_f64 v[34:35], v[206:207], v[214:215]
	v_fma_f64 v[34:35], v[204:205], v[32:33], -v[34:35]
	v_mul_f64 v[204:205], v[204:205], v[214:215]
	v_fmac_f64_e32 v[204:205], v[206:207], v[32:33]
	s_waitcnt vmcnt(5)
	v_add_f64 v[16:17], v[16:17], -v[34:35]
	v_add_f64 v[18:19], v[18:19], -v[204:205]
	;; [unrolled: 18-line block ×4, first 2 shown]
	s_waitcnt lgkmcnt(0)
	v_mul_f64 v[34:35], v[222:223], v[214:215]
	v_mul_f64 v[204:205], v[220:221], v[214:215]
	v_fma_f64 v[34:35], v[220:221], v[32:33], -v[34:35]
	v_fmac_f64_e32 v[204:205], v[222:223], v[32:33]
	s_waitcnt vmcnt(0)
	v_add_f64 v[200:201], v[200:201], -v[34:35]
	v_add_f64 v[202:203], v[202:203], -v[204:205]
	v_mov_b64_e32 v[34:35], v[214:215]
.LBB100_881:
	s_or_b64 exec, exec, s[0:1]
	v_lshl_add_u32 v204, v217, 4, v216
	s_barrier
	s_waitcnt vmcnt(8)
	ds_write2_b64 v204, v[28:29], v[30:31] offset1:1
	s_waitcnt lgkmcnt(0)
	s_barrier
	ds_read2_b64 v[204:207], v216 offset0:84 offset1:85
	s_cmp_lt_i32 s20, 44
	v_mov_b32_e32 v214, 42
	s_cbranch_scc1 .LBB100_884
; %bb.882:
	v_add_u32_e32 v215, 0x2b0, v216
	s_mov_b32 s16, 43
	v_mov_b32_e32 v214, 42
.LBB100_883:                            ; =>This Inner Loop Header: Depth=1
	ds_read2_b64 v[220:223], v215 offset1:1
	s_waitcnt lgkmcnt(1)
	v_xor_b32_e32 v225, 0x80000000, v205
	v_xor_b32_e32 v227, 0x80000000, v207
	v_cmp_gt_f64_e32 vcc, 0, v[206:207]
	v_cmp_gt_f64_e64 s[0:1], 0, v[204:205]
	v_mov_b32_e32 v224, v204
	v_mov_b32_e32 v226, v206
	v_cndmask_b32_e64 v225, v205, v225, s[0:1]
	v_cndmask_b32_e32 v227, v207, v227, vcc
	v_add_f64 v[224:225], v[224:225], v[226:227]
	s_waitcnt lgkmcnt(0)
	v_xor_b32_e32 v227, 0x80000000, v221
	v_xor_b32_e32 v229, 0x80000000, v223
	v_cmp_gt_f64_e32 vcc, 0, v[222:223]
	v_cmp_gt_f64_e64 s[0:1], 0, v[220:221]
	v_mov_b32_e32 v226, v220
	v_mov_b32_e32 v228, v222
	v_cndmask_b32_e64 v227, v221, v227, s[0:1]
	v_cndmask_b32_e32 v229, v223, v229, vcc
	v_add_f64 v[226:227], v[226:227], v[228:229]
	v_mov_b32_e32 v230, s16
	s_add_i32 s16, s16, 1
	v_cmp_lt_f64_e32 vcc, v[224:225], v[226:227]
	v_add_u32_e32 v215, 16, v215
	s_cmp_lg_u32 s20, s16
	v_cndmask_b32_e32 v205, v205, v221, vcc
	v_cndmask_b32_e32 v204, v204, v220, vcc
	;; [unrolled: 1-line block ×5, first 2 shown]
	s_cbranch_scc1 .LBB100_883
.LBB100_884:
	s_waitcnt lgkmcnt(0)
	v_cmp_eq_f64_e32 vcc, 0, v[204:205]
	v_cmp_eq_f64_e64 s[0:1], 0, v[206:207]
	s_and_b64 s[0:1], vcc, s[0:1]
	s_and_saveexec_b64 s[16:17], s[0:1]
	s_xor_b64 s[0:1], exec, s[16:17]
; %bb.885:
	v_cmp_ne_u32_e32 vcc, 0, v218
	s_nop 1
	v_cndmask_b32_e32 v218, 43, v218, vcc
; %bb.886:
	s_andn2_saveexec_b64 s[0:1], s[0:1]
	s_cbranch_execz .LBB100_892
; %bb.887:
	v_cmp_ngt_f64_e64 s[16:17], |v[204:205]|, |v[206:207]|
	s_and_saveexec_b64 s[18:19], s[16:17]
	s_xor_b64 s[16:17], exec, s[18:19]
	s_cbranch_execz .LBB100_889
; %bb.888:
	v_div_scale_f64 v[220:221], s[18:19], v[206:207], v[206:207], v[204:205]
	v_rcp_f64_e32 v[222:223], v[220:221]
	v_div_scale_f64 v[224:225], vcc, v[204:205], v[206:207], v[204:205]
	v_fma_f64 v[226:227], -v[220:221], v[222:223], 1.0
	v_fmac_f64_e32 v[222:223], v[222:223], v[226:227]
	v_fma_f64 v[226:227], -v[220:221], v[222:223], 1.0
	v_fmac_f64_e32 v[222:223], v[222:223], v[226:227]
	v_mul_f64 v[226:227], v[224:225], v[222:223]
	v_fma_f64 v[220:221], -v[220:221], v[226:227], v[224:225]
	v_div_fmas_f64 v[220:221], v[220:221], v[222:223], v[226:227]
	v_div_fixup_f64 v[220:221], v[220:221], v[206:207], v[204:205]
	v_fmac_f64_e32 v[206:207], v[204:205], v[220:221]
	v_div_scale_f64 v[204:205], s[18:19], v[206:207], v[206:207], 1.0
	v_rcp_f64_e32 v[222:223], v[204:205]
	s_nop 0
	v_fma_f64 v[224:225], -v[204:205], v[222:223], 1.0
	v_fmac_f64_e32 v[222:223], v[222:223], v[224:225]
	v_fma_f64 v[224:225], -v[204:205], v[222:223], 1.0
	v_fmac_f64_e32 v[222:223], v[222:223], v[224:225]
	v_div_scale_f64 v[224:225], vcc, 1.0, v[206:207], 1.0
	v_mul_f64 v[226:227], v[224:225], v[222:223]
	v_fma_f64 v[204:205], -v[204:205], v[226:227], v[224:225]
	s_nop 1
	v_div_fmas_f64 v[204:205], v[204:205], v[222:223], v[226:227]
	v_div_fixup_f64 v[206:207], v[204:205], v[206:207], 1.0
	v_mul_f64 v[204:205], v[220:221], v[206:207]
	v_xor_b32_e32 v207, 0x80000000, v207
.LBB100_889:
	s_andn2_saveexec_b64 s[16:17], s[16:17]
	s_cbranch_execz .LBB100_891
; %bb.890:
	v_div_scale_f64 v[220:221], s[18:19], v[204:205], v[204:205], v[206:207]
	v_rcp_f64_e32 v[222:223], v[220:221]
	v_div_scale_f64 v[224:225], vcc, v[206:207], v[204:205], v[206:207]
	v_fma_f64 v[226:227], -v[220:221], v[222:223], 1.0
	v_fmac_f64_e32 v[222:223], v[222:223], v[226:227]
	v_fma_f64 v[226:227], -v[220:221], v[222:223], 1.0
	v_fmac_f64_e32 v[222:223], v[222:223], v[226:227]
	v_mul_f64 v[226:227], v[224:225], v[222:223]
	v_fma_f64 v[220:221], -v[220:221], v[226:227], v[224:225]
	v_div_fmas_f64 v[220:221], v[220:221], v[222:223], v[226:227]
	v_div_fixup_f64 v[220:221], v[220:221], v[204:205], v[206:207]
	v_fmac_f64_e32 v[204:205], v[206:207], v[220:221]
	v_div_scale_f64 v[206:207], s[18:19], v[204:205], v[204:205], 1.0
	v_rcp_f64_e32 v[222:223], v[206:207]
	s_nop 0
	v_fma_f64 v[224:225], -v[206:207], v[222:223], 1.0
	v_fmac_f64_e32 v[222:223], v[222:223], v[224:225]
	v_fma_f64 v[224:225], -v[206:207], v[222:223], 1.0
	v_fmac_f64_e32 v[222:223], v[222:223], v[224:225]
	v_div_scale_f64 v[224:225], vcc, 1.0, v[204:205], 1.0
	v_mul_f64 v[226:227], v[224:225], v[222:223]
	v_fma_f64 v[206:207], -v[206:207], v[226:227], v[224:225]
	s_nop 1
	v_div_fmas_f64 v[206:207], v[206:207], v[222:223], v[226:227]
	v_div_fixup_f64 v[204:205], v[206:207], v[204:205], 1.0
	v_mul_f64 v[206:207], v[220:221], -v[204:205]
.LBB100_891:
	s_or_b64 exec, exec, s[16:17]
.LBB100_892:
	s_or_b64 exec, exec, s[0:1]
	v_cmp_ne_u32_e32 vcc, v217, v214
	s_and_saveexec_b64 s[0:1], vcc
	s_xor_b64 s[0:1], exec, s[0:1]
	s_cbranch_execz .LBB100_898
; %bb.893:
	v_cmp_eq_u32_e32 vcc, 42, v217
	s_and_saveexec_b64 s[16:17], vcc
	s_cbranch_execz .LBB100_897
; %bb.894:
	v_cmp_ne_u32_e32 vcc, 42, v214
	s_xor_b64 s[18:19], s[14:15], -1
	s_and_b64 s[22:23], s[18:19], vcc
	s_and_saveexec_b64 s[18:19], s[22:23]
	s_cbranch_execz .LBB100_896
; %bb.895:
	v_ashrrev_i32_e32 v215, 31, v214
	v_lshl_add_u64 v[220:221], v[214:215], 2, v[212:213]
	global_load_dword v215, v[220:221], off
	global_load_dword v217, v[212:213], off offset:168
	s_waitcnt vmcnt(1)
	global_store_dword v[212:213], v215, off offset:168
	s_waitcnt vmcnt(1)
	global_store_dword v[220:221], v217, off
.LBB100_896:
	s_or_b64 exec, exec, s[18:19]
	v_mov_b32_e32 v217, v214
	v_mov_b32_e32 v219, v214
.LBB100_897:
	s_or_b64 exec, exec, s[16:17]
.LBB100_898:
	s_andn2_saveexec_b64 s[0:1], s[0:1]
	s_cbranch_execz .LBB100_900
; %bb.899:
	v_mov_b32_e32 v217, 42
	s_waitcnt vmcnt(7)
	ds_write2_b64 v216, v[24:25], v[26:27] offset0:86 offset1:87
	s_waitcnt vmcnt(6)
	ds_write2_b64 v216, v[20:21], v[22:23] offset0:88 offset1:89
	;; [unrolled: 2-line block ×8, first 2 shown]
.LBB100_900:
	s_or_b64 exec, exec, s[0:1]
	v_cmp_lt_i32_e32 vcc, 42, v217
	s_waitcnt lgkmcnt(0)
	s_barrier
	s_and_saveexec_b64 s[0:1], vcc
	s_cbranch_execz .LBB100_902
; %bb.901:
	ds_read2_b64 v[220:223], v216 offset0:86 offset1:87
	v_mul_f64 v[214:215], v[204:205], v[30:31]
	v_mul_f64 v[30:31], v[206:207], v[30:31]
	v_fmac_f64_e32 v[214:215], v[206:207], v[28:29]
	v_fma_f64 v[28:29], v[204:205], v[28:29], -v[30:31]
	ds_read2_b64 v[204:207], v216 offset0:88 offset1:89
	s_waitcnt lgkmcnt(1)
	v_mul_f64 v[30:31], v[222:223], v[214:215]
	v_fma_f64 v[30:31], v[220:221], v[28:29], -v[30:31]
	v_mul_f64 v[220:221], v[220:221], v[214:215]
	v_fmac_f64_e32 v[220:221], v[222:223], v[28:29]
	s_waitcnt vmcnt(7)
	v_add_f64 v[24:25], v[24:25], -v[30:31]
	s_waitcnt lgkmcnt(0)
	v_mul_f64 v[30:31], v[206:207], v[214:215]
	v_add_f64 v[26:27], v[26:27], -v[220:221]
	v_fma_f64 v[30:31], v[204:205], v[28:29], -v[30:31]
	v_mul_f64 v[204:205], v[204:205], v[214:215]
	ds_read2_b64 v[220:223], v216 offset0:90 offset1:91
	v_fmac_f64_e32 v[204:205], v[206:207], v[28:29]
	s_waitcnt vmcnt(6)
	v_add_f64 v[22:23], v[22:23], -v[204:205]
	ds_read2_b64 v[204:207], v216 offset0:92 offset1:93
	v_add_f64 v[20:21], v[20:21], -v[30:31]
	s_waitcnt lgkmcnt(1)
	v_mul_f64 v[30:31], v[222:223], v[214:215]
	v_fma_f64 v[30:31], v[220:221], v[28:29], -v[30:31]
	v_mul_f64 v[220:221], v[220:221], v[214:215]
	v_fmac_f64_e32 v[220:221], v[222:223], v[28:29]
	s_waitcnt vmcnt(5)
	v_add_f64 v[16:17], v[16:17], -v[30:31]
	s_waitcnt lgkmcnt(0)
	v_mul_f64 v[30:31], v[206:207], v[214:215]
	v_add_f64 v[18:19], v[18:19], -v[220:221]
	v_fma_f64 v[30:31], v[204:205], v[28:29], -v[30:31]
	v_mul_f64 v[204:205], v[204:205], v[214:215]
	ds_read2_b64 v[220:223], v216 offset0:94 offset1:95
	v_fmac_f64_e32 v[204:205], v[206:207], v[28:29]
	s_waitcnt vmcnt(4)
	v_add_f64 v[14:15], v[14:15], -v[204:205]
	ds_read2_b64 v[204:207], v216 offset0:96 offset1:97
	v_add_f64 v[12:13], v[12:13], -v[30:31]
	;; [unrolled: 18-line block ×3, first 2 shown]
	s_waitcnt lgkmcnt(1)
	v_mul_f64 v[30:31], v[222:223], v[214:215]
	v_fma_f64 v[30:31], v[220:221], v[28:29], -v[30:31]
	s_waitcnt vmcnt(1)
	v_add_f64 v[0:1], v[0:1], -v[30:31]
	s_waitcnt lgkmcnt(0)
	v_mul_f64 v[30:31], v[206:207], v[214:215]
	v_mul_f64 v[220:221], v[220:221], v[214:215]
	v_fma_f64 v[30:31], v[204:205], v[28:29], -v[30:31]
	v_mul_f64 v[204:205], v[204:205], v[214:215]
	v_fmac_f64_e32 v[220:221], v[222:223], v[28:29]
	v_fmac_f64_e32 v[204:205], v[206:207], v[28:29]
	v_add_f64 v[2:3], v[2:3], -v[220:221]
	s_waitcnt vmcnt(0)
	v_add_f64 v[200:201], v[200:201], -v[30:31]
	v_add_f64 v[202:203], v[202:203], -v[204:205]
	v_mov_b64_e32 v[30:31], v[214:215]
.LBB100_902:
	s_or_b64 exec, exec, s[0:1]
	v_lshl_add_u32 v204, v217, 4, v216
	s_barrier
	s_waitcnt vmcnt(7)
	ds_write2_b64 v204, v[24:25], v[26:27] offset1:1
	s_waitcnt lgkmcnt(0)
	s_barrier
	ds_read2_b64 v[204:207], v216 offset0:86 offset1:87
	s_cmp_lt_i32 s20, 45
	v_mov_b32_e32 v214, 43
	s_cbranch_scc1 .LBB100_905
; %bb.903:
	v_add_u32_e32 v215, 0x2c0, v216
	s_mov_b32 s16, 44
	v_mov_b32_e32 v214, 43
.LBB100_904:                            ; =>This Inner Loop Header: Depth=1
	ds_read2_b64 v[220:223], v215 offset1:1
	s_waitcnt lgkmcnt(1)
	v_xor_b32_e32 v225, 0x80000000, v205
	v_xor_b32_e32 v227, 0x80000000, v207
	v_cmp_gt_f64_e32 vcc, 0, v[206:207]
	v_cmp_gt_f64_e64 s[0:1], 0, v[204:205]
	v_mov_b32_e32 v224, v204
	v_mov_b32_e32 v226, v206
	v_cndmask_b32_e64 v225, v205, v225, s[0:1]
	v_cndmask_b32_e32 v227, v207, v227, vcc
	v_add_f64 v[224:225], v[224:225], v[226:227]
	s_waitcnt lgkmcnt(0)
	v_xor_b32_e32 v227, 0x80000000, v221
	v_xor_b32_e32 v229, 0x80000000, v223
	v_cmp_gt_f64_e32 vcc, 0, v[222:223]
	v_cmp_gt_f64_e64 s[0:1], 0, v[220:221]
	v_mov_b32_e32 v226, v220
	v_mov_b32_e32 v228, v222
	v_cndmask_b32_e64 v227, v221, v227, s[0:1]
	v_cndmask_b32_e32 v229, v223, v229, vcc
	v_add_f64 v[226:227], v[226:227], v[228:229]
	v_mov_b32_e32 v230, s16
	s_add_i32 s16, s16, 1
	v_cmp_lt_f64_e32 vcc, v[224:225], v[226:227]
	v_add_u32_e32 v215, 16, v215
	s_cmp_lg_u32 s20, s16
	v_cndmask_b32_e32 v205, v205, v221, vcc
	v_cndmask_b32_e32 v204, v204, v220, vcc
	;; [unrolled: 1-line block ×5, first 2 shown]
	s_cbranch_scc1 .LBB100_904
.LBB100_905:
	s_waitcnt lgkmcnt(0)
	v_cmp_eq_f64_e32 vcc, 0, v[204:205]
	v_cmp_eq_f64_e64 s[0:1], 0, v[206:207]
	s_and_b64 s[0:1], vcc, s[0:1]
	s_and_saveexec_b64 s[16:17], s[0:1]
	s_xor_b64 s[0:1], exec, s[16:17]
; %bb.906:
	v_cmp_ne_u32_e32 vcc, 0, v218
	s_nop 1
	v_cndmask_b32_e32 v218, 44, v218, vcc
; %bb.907:
	s_andn2_saveexec_b64 s[0:1], s[0:1]
	s_cbranch_execz .LBB100_913
; %bb.908:
	v_cmp_ngt_f64_e64 s[16:17], |v[204:205]|, |v[206:207]|
	s_and_saveexec_b64 s[18:19], s[16:17]
	s_xor_b64 s[16:17], exec, s[18:19]
	s_cbranch_execz .LBB100_910
; %bb.909:
	v_div_scale_f64 v[220:221], s[18:19], v[206:207], v[206:207], v[204:205]
	v_rcp_f64_e32 v[222:223], v[220:221]
	v_div_scale_f64 v[224:225], vcc, v[204:205], v[206:207], v[204:205]
	v_fma_f64 v[226:227], -v[220:221], v[222:223], 1.0
	v_fmac_f64_e32 v[222:223], v[222:223], v[226:227]
	v_fma_f64 v[226:227], -v[220:221], v[222:223], 1.0
	v_fmac_f64_e32 v[222:223], v[222:223], v[226:227]
	v_mul_f64 v[226:227], v[224:225], v[222:223]
	v_fma_f64 v[220:221], -v[220:221], v[226:227], v[224:225]
	v_div_fmas_f64 v[220:221], v[220:221], v[222:223], v[226:227]
	v_div_fixup_f64 v[220:221], v[220:221], v[206:207], v[204:205]
	v_fmac_f64_e32 v[206:207], v[204:205], v[220:221]
	v_div_scale_f64 v[204:205], s[18:19], v[206:207], v[206:207], 1.0
	v_rcp_f64_e32 v[222:223], v[204:205]
	s_nop 0
	v_fma_f64 v[224:225], -v[204:205], v[222:223], 1.0
	v_fmac_f64_e32 v[222:223], v[222:223], v[224:225]
	v_fma_f64 v[224:225], -v[204:205], v[222:223], 1.0
	v_fmac_f64_e32 v[222:223], v[222:223], v[224:225]
	v_div_scale_f64 v[224:225], vcc, 1.0, v[206:207], 1.0
	v_mul_f64 v[226:227], v[224:225], v[222:223]
	v_fma_f64 v[204:205], -v[204:205], v[226:227], v[224:225]
	s_nop 1
	v_div_fmas_f64 v[204:205], v[204:205], v[222:223], v[226:227]
	v_div_fixup_f64 v[206:207], v[204:205], v[206:207], 1.0
	v_mul_f64 v[204:205], v[220:221], v[206:207]
	v_xor_b32_e32 v207, 0x80000000, v207
.LBB100_910:
	s_andn2_saveexec_b64 s[16:17], s[16:17]
	s_cbranch_execz .LBB100_912
; %bb.911:
	v_div_scale_f64 v[220:221], s[18:19], v[204:205], v[204:205], v[206:207]
	v_rcp_f64_e32 v[222:223], v[220:221]
	v_div_scale_f64 v[224:225], vcc, v[206:207], v[204:205], v[206:207]
	v_fma_f64 v[226:227], -v[220:221], v[222:223], 1.0
	v_fmac_f64_e32 v[222:223], v[222:223], v[226:227]
	v_fma_f64 v[226:227], -v[220:221], v[222:223], 1.0
	v_fmac_f64_e32 v[222:223], v[222:223], v[226:227]
	v_mul_f64 v[226:227], v[224:225], v[222:223]
	v_fma_f64 v[220:221], -v[220:221], v[226:227], v[224:225]
	v_div_fmas_f64 v[220:221], v[220:221], v[222:223], v[226:227]
	v_div_fixup_f64 v[220:221], v[220:221], v[204:205], v[206:207]
	v_fmac_f64_e32 v[204:205], v[206:207], v[220:221]
	v_div_scale_f64 v[206:207], s[18:19], v[204:205], v[204:205], 1.0
	v_rcp_f64_e32 v[222:223], v[206:207]
	s_nop 0
	v_fma_f64 v[224:225], -v[206:207], v[222:223], 1.0
	v_fmac_f64_e32 v[222:223], v[222:223], v[224:225]
	v_fma_f64 v[224:225], -v[206:207], v[222:223], 1.0
	v_fmac_f64_e32 v[222:223], v[222:223], v[224:225]
	v_div_scale_f64 v[224:225], vcc, 1.0, v[204:205], 1.0
	v_mul_f64 v[226:227], v[224:225], v[222:223]
	v_fma_f64 v[206:207], -v[206:207], v[226:227], v[224:225]
	s_nop 1
	v_div_fmas_f64 v[206:207], v[206:207], v[222:223], v[226:227]
	v_div_fixup_f64 v[204:205], v[206:207], v[204:205], 1.0
	v_mul_f64 v[206:207], v[220:221], -v[204:205]
.LBB100_912:
	s_or_b64 exec, exec, s[16:17]
.LBB100_913:
	s_or_b64 exec, exec, s[0:1]
	v_cmp_ne_u32_e32 vcc, v217, v214
	s_and_saveexec_b64 s[0:1], vcc
	s_xor_b64 s[0:1], exec, s[0:1]
	s_cbranch_execz .LBB100_919
; %bb.914:
	v_cmp_eq_u32_e32 vcc, 43, v217
	s_and_saveexec_b64 s[16:17], vcc
	s_cbranch_execz .LBB100_918
; %bb.915:
	v_cmp_ne_u32_e32 vcc, 43, v214
	s_xor_b64 s[18:19], s[14:15], -1
	s_and_b64 s[22:23], s[18:19], vcc
	s_and_saveexec_b64 s[18:19], s[22:23]
	s_cbranch_execz .LBB100_917
; %bb.916:
	v_ashrrev_i32_e32 v215, 31, v214
	v_lshl_add_u64 v[220:221], v[214:215], 2, v[212:213]
	global_load_dword v215, v[220:221], off
	global_load_dword v217, v[212:213], off offset:172
	s_waitcnt vmcnt(1)
	global_store_dword v[212:213], v215, off offset:172
	s_waitcnt vmcnt(1)
	global_store_dword v[220:221], v217, off
.LBB100_917:
	s_or_b64 exec, exec, s[18:19]
	v_mov_b32_e32 v217, v214
	v_mov_b32_e32 v219, v214
.LBB100_918:
	s_or_b64 exec, exec, s[16:17]
.LBB100_919:
	s_andn2_saveexec_b64 s[0:1], s[0:1]
	s_cbranch_execz .LBB100_921
; %bb.920:
	v_mov_b32_e32 v217, 43
	s_waitcnt vmcnt(6)
	ds_write2_b64 v216, v[20:21], v[22:23] offset0:88 offset1:89
	s_waitcnt vmcnt(5)
	ds_write2_b64 v216, v[16:17], v[18:19] offset0:90 offset1:91
	;; [unrolled: 2-line block ×7, first 2 shown]
.LBB100_921:
	s_or_b64 exec, exec, s[0:1]
	v_cmp_lt_i32_e32 vcc, 43, v217
	s_waitcnt lgkmcnt(0)
	s_barrier
	s_and_saveexec_b64 s[0:1], vcc
	s_cbranch_execz .LBB100_923
; %bb.922:
	ds_read2_b64 v[220:223], v216 offset0:88 offset1:89
	v_mul_f64 v[214:215], v[204:205], v[26:27]
	v_fmac_f64_e32 v[214:215], v[206:207], v[24:25]
	v_mul_f64 v[26:27], v[206:207], v[26:27]
	v_fma_f64 v[24:25], v[204:205], v[24:25], -v[26:27]
	ds_read2_b64 v[204:207], v216 offset0:90 offset1:91
	s_waitcnt lgkmcnt(1)
	v_mul_f64 v[26:27], v[222:223], v[214:215]
	v_fma_f64 v[26:27], v[220:221], v[24:25], -v[26:27]
	v_mul_f64 v[220:221], v[220:221], v[214:215]
	v_fmac_f64_e32 v[220:221], v[222:223], v[24:25]
	s_waitcnt vmcnt(6)
	v_add_f64 v[22:23], v[22:23], -v[220:221]
	ds_read2_b64 v[220:223], v216 offset0:92 offset1:93
	v_add_f64 v[20:21], v[20:21], -v[26:27]
	s_waitcnt lgkmcnt(1)
	v_mul_f64 v[26:27], v[206:207], v[214:215]
	v_fma_f64 v[26:27], v[204:205], v[24:25], -v[26:27]
	v_mul_f64 v[204:205], v[204:205], v[214:215]
	v_fmac_f64_e32 v[204:205], v[206:207], v[24:25]
	s_waitcnt vmcnt(5)
	v_add_f64 v[16:17], v[16:17], -v[26:27]
	v_add_f64 v[18:19], v[18:19], -v[204:205]
	ds_read2_b64 v[204:207], v216 offset0:94 offset1:95
	s_waitcnt lgkmcnt(1)
	v_mul_f64 v[26:27], v[222:223], v[214:215]
	v_fma_f64 v[26:27], v[220:221], v[24:25], -v[26:27]
	v_mul_f64 v[220:221], v[220:221], v[214:215]
	v_fmac_f64_e32 v[220:221], v[222:223], v[24:25]
	s_waitcnt vmcnt(4)
	v_add_f64 v[14:15], v[14:15], -v[220:221]
	ds_read2_b64 v[220:223], v216 offset0:96 offset1:97
	v_add_f64 v[12:13], v[12:13], -v[26:27]
	s_waitcnt lgkmcnt(1)
	v_mul_f64 v[26:27], v[206:207], v[214:215]
	v_fma_f64 v[26:27], v[204:205], v[24:25], -v[26:27]
	v_mul_f64 v[204:205], v[204:205], v[214:215]
	v_fmac_f64_e32 v[204:205], v[206:207], v[24:25]
	s_waitcnt vmcnt(3)
	v_add_f64 v[8:9], v[8:9], -v[26:27]
	v_add_f64 v[10:11], v[10:11], -v[204:205]
	;; [unrolled: 18-line block ×3, first 2 shown]
	s_waitcnt lgkmcnt(0)
	v_mul_f64 v[26:27], v[222:223], v[214:215]
	v_mul_f64 v[204:205], v[220:221], v[214:215]
	v_fma_f64 v[26:27], v[220:221], v[24:25], -v[26:27]
	v_fmac_f64_e32 v[204:205], v[222:223], v[24:25]
	s_waitcnt vmcnt(0)
	v_add_f64 v[200:201], v[200:201], -v[26:27]
	v_add_f64 v[202:203], v[202:203], -v[204:205]
	v_mov_b64_e32 v[26:27], v[214:215]
.LBB100_923:
	s_or_b64 exec, exec, s[0:1]
	v_lshl_add_u32 v204, v217, 4, v216
	s_barrier
	s_waitcnt vmcnt(6)
	ds_write2_b64 v204, v[20:21], v[22:23] offset1:1
	s_waitcnt lgkmcnt(0)
	s_barrier
	ds_read2_b64 v[204:207], v216 offset0:88 offset1:89
	s_cmp_lt_i32 s20, 46
	v_mov_b32_e32 v214, 44
	s_cbranch_scc1 .LBB100_926
; %bb.924:
	v_add_u32_e32 v215, 0x2d0, v216
	s_mov_b32 s16, 45
	v_mov_b32_e32 v214, 44
.LBB100_925:                            ; =>This Inner Loop Header: Depth=1
	ds_read2_b64 v[220:223], v215 offset1:1
	s_waitcnt lgkmcnt(1)
	v_xor_b32_e32 v225, 0x80000000, v205
	v_xor_b32_e32 v227, 0x80000000, v207
	v_cmp_gt_f64_e32 vcc, 0, v[206:207]
	v_cmp_gt_f64_e64 s[0:1], 0, v[204:205]
	v_mov_b32_e32 v224, v204
	v_mov_b32_e32 v226, v206
	v_cndmask_b32_e64 v225, v205, v225, s[0:1]
	v_cndmask_b32_e32 v227, v207, v227, vcc
	v_add_f64 v[224:225], v[224:225], v[226:227]
	s_waitcnt lgkmcnt(0)
	v_xor_b32_e32 v227, 0x80000000, v221
	v_xor_b32_e32 v229, 0x80000000, v223
	v_cmp_gt_f64_e32 vcc, 0, v[222:223]
	v_cmp_gt_f64_e64 s[0:1], 0, v[220:221]
	v_mov_b32_e32 v226, v220
	v_mov_b32_e32 v228, v222
	v_cndmask_b32_e64 v227, v221, v227, s[0:1]
	v_cndmask_b32_e32 v229, v223, v229, vcc
	v_add_f64 v[226:227], v[226:227], v[228:229]
	v_mov_b32_e32 v230, s16
	s_add_i32 s16, s16, 1
	v_cmp_lt_f64_e32 vcc, v[224:225], v[226:227]
	v_add_u32_e32 v215, 16, v215
	s_cmp_lg_u32 s20, s16
	v_cndmask_b32_e32 v205, v205, v221, vcc
	v_cndmask_b32_e32 v204, v204, v220, vcc
	;; [unrolled: 1-line block ×5, first 2 shown]
	s_cbranch_scc1 .LBB100_925
.LBB100_926:
	s_waitcnt lgkmcnt(0)
	v_cmp_eq_f64_e32 vcc, 0, v[204:205]
	v_cmp_eq_f64_e64 s[0:1], 0, v[206:207]
	s_and_b64 s[0:1], vcc, s[0:1]
	s_and_saveexec_b64 s[16:17], s[0:1]
	s_xor_b64 s[0:1], exec, s[16:17]
; %bb.927:
	v_cmp_ne_u32_e32 vcc, 0, v218
	s_nop 1
	v_cndmask_b32_e32 v218, 45, v218, vcc
; %bb.928:
	s_andn2_saveexec_b64 s[0:1], s[0:1]
	s_cbranch_execz .LBB100_934
; %bb.929:
	v_cmp_ngt_f64_e64 s[16:17], |v[204:205]|, |v[206:207]|
	s_and_saveexec_b64 s[18:19], s[16:17]
	s_xor_b64 s[16:17], exec, s[18:19]
	s_cbranch_execz .LBB100_931
; %bb.930:
	v_div_scale_f64 v[220:221], s[18:19], v[206:207], v[206:207], v[204:205]
	v_rcp_f64_e32 v[222:223], v[220:221]
	v_div_scale_f64 v[224:225], vcc, v[204:205], v[206:207], v[204:205]
	v_fma_f64 v[226:227], -v[220:221], v[222:223], 1.0
	v_fmac_f64_e32 v[222:223], v[222:223], v[226:227]
	v_fma_f64 v[226:227], -v[220:221], v[222:223], 1.0
	v_fmac_f64_e32 v[222:223], v[222:223], v[226:227]
	v_mul_f64 v[226:227], v[224:225], v[222:223]
	v_fma_f64 v[220:221], -v[220:221], v[226:227], v[224:225]
	v_div_fmas_f64 v[220:221], v[220:221], v[222:223], v[226:227]
	v_div_fixup_f64 v[220:221], v[220:221], v[206:207], v[204:205]
	v_fmac_f64_e32 v[206:207], v[204:205], v[220:221]
	v_div_scale_f64 v[204:205], s[18:19], v[206:207], v[206:207], 1.0
	v_rcp_f64_e32 v[222:223], v[204:205]
	s_nop 0
	v_fma_f64 v[224:225], -v[204:205], v[222:223], 1.0
	v_fmac_f64_e32 v[222:223], v[222:223], v[224:225]
	v_fma_f64 v[224:225], -v[204:205], v[222:223], 1.0
	v_fmac_f64_e32 v[222:223], v[222:223], v[224:225]
	v_div_scale_f64 v[224:225], vcc, 1.0, v[206:207], 1.0
	v_mul_f64 v[226:227], v[224:225], v[222:223]
	v_fma_f64 v[204:205], -v[204:205], v[226:227], v[224:225]
	s_nop 1
	v_div_fmas_f64 v[204:205], v[204:205], v[222:223], v[226:227]
	v_div_fixup_f64 v[206:207], v[204:205], v[206:207], 1.0
	v_mul_f64 v[204:205], v[220:221], v[206:207]
	v_xor_b32_e32 v207, 0x80000000, v207
.LBB100_931:
	s_andn2_saveexec_b64 s[16:17], s[16:17]
	s_cbranch_execz .LBB100_933
; %bb.932:
	v_div_scale_f64 v[220:221], s[18:19], v[204:205], v[204:205], v[206:207]
	v_rcp_f64_e32 v[222:223], v[220:221]
	v_div_scale_f64 v[224:225], vcc, v[206:207], v[204:205], v[206:207]
	v_fma_f64 v[226:227], -v[220:221], v[222:223], 1.0
	v_fmac_f64_e32 v[222:223], v[222:223], v[226:227]
	v_fma_f64 v[226:227], -v[220:221], v[222:223], 1.0
	v_fmac_f64_e32 v[222:223], v[222:223], v[226:227]
	v_mul_f64 v[226:227], v[224:225], v[222:223]
	v_fma_f64 v[220:221], -v[220:221], v[226:227], v[224:225]
	v_div_fmas_f64 v[220:221], v[220:221], v[222:223], v[226:227]
	v_div_fixup_f64 v[220:221], v[220:221], v[204:205], v[206:207]
	v_fmac_f64_e32 v[204:205], v[206:207], v[220:221]
	v_div_scale_f64 v[206:207], s[18:19], v[204:205], v[204:205], 1.0
	v_rcp_f64_e32 v[222:223], v[206:207]
	s_nop 0
	v_fma_f64 v[224:225], -v[206:207], v[222:223], 1.0
	v_fmac_f64_e32 v[222:223], v[222:223], v[224:225]
	v_fma_f64 v[224:225], -v[206:207], v[222:223], 1.0
	v_fmac_f64_e32 v[222:223], v[222:223], v[224:225]
	v_div_scale_f64 v[224:225], vcc, 1.0, v[204:205], 1.0
	v_mul_f64 v[226:227], v[224:225], v[222:223]
	v_fma_f64 v[206:207], -v[206:207], v[226:227], v[224:225]
	s_nop 1
	v_div_fmas_f64 v[206:207], v[206:207], v[222:223], v[226:227]
	v_div_fixup_f64 v[204:205], v[206:207], v[204:205], 1.0
	v_mul_f64 v[206:207], v[220:221], -v[204:205]
.LBB100_933:
	s_or_b64 exec, exec, s[16:17]
.LBB100_934:
	s_or_b64 exec, exec, s[0:1]
	v_cmp_ne_u32_e32 vcc, v217, v214
	s_and_saveexec_b64 s[0:1], vcc
	s_xor_b64 s[0:1], exec, s[0:1]
	s_cbranch_execz .LBB100_940
; %bb.935:
	v_cmp_eq_u32_e32 vcc, 44, v217
	s_and_saveexec_b64 s[16:17], vcc
	s_cbranch_execz .LBB100_939
; %bb.936:
	v_cmp_ne_u32_e32 vcc, 44, v214
	s_xor_b64 s[18:19], s[14:15], -1
	s_and_b64 s[22:23], s[18:19], vcc
	s_and_saveexec_b64 s[18:19], s[22:23]
	s_cbranch_execz .LBB100_938
; %bb.937:
	v_ashrrev_i32_e32 v215, 31, v214
	v_lshl_add_u64 v[220:221], v[214:215], 2, v[212:213]
	global_load_dword v215, v[220:221], off
	global_load_dword v217, v[212:213], off offset:176
	s_waitcnt vmcnt(1)
	global_store_dword v[212:213], v215, off offset:176
	s_waitcnt vmcnt(1)
	global_store_dword v[220:221], v217, off
.LBB100_938:
	s_or_b64 exec, exec, s[18:19]
	v_mov_b32_e32 v217, v214
	v_mov_b32_e32 v219, v214
.LBB100_939:
	s_or_b64 exec, exec, s[16:17]
.LBB100_940:
	s_andn2_saveexec_b64 s[0:1], s[0:1]
	s_cbranch_execz .LBB100_942
; %bb.941:
	v_mov_b32_e32 v217, 44
	s_waitcnt vmcnt(5)
	ds_write2_b64 v216, v[16:17], v[18:19] offset0:90 offset1:91
	s_waitcnt vmcnt(4)
	ds_write2_b64 v216, v[12:13], v[14:15] offset0:92 offset1:93
	;; [unrolled: 2-line block ×6, first 2 shown]
.LBB100_942:
	s_or_b64 exec, exec, s[0:1]
	v_cmp_lt_i32_e32 vcc, 44, v217
	s_waitcnt lgkmcnt(0)
	s_barrier
	s_and_saveexec_b64 s[0:1], vcc
	s_cbranch_execz .LBB100_944
; %bb.943:
	ds_read2_b64 v[220:223], v216 offset0:90 offset1:91
	v_mul_f64 v[214:215], v[204:205], v[22:23]
	v_mul_f64 v[22:23], v[206:207], v[22:23]
	v_fmac_f64_e32 v[214:215], v[206:207], v[20:21]
	v_fma_f64 v[20:21], v[204:205], v[20:21], -v[22:23]
	ds_read2_b64 v[204:207], v216 offset0:92 offset1:93
	s_waitcnt lgkmcnt(1)
	v_mul_f64 v[22:23], v[222:223], v[214:215]
	v_fma_f64 v[22:23], v[220:221], v[20:21], -v[22:23]
	v_mul_f64 v[220:221], v[220:221], v[214:215]
	v_fmac_f64_e32 v[220:221], v[222:223], v[20:21]
	s_waitcnt vmcnt(5)
	v_add_f64 v[16:17], v[16:17], -v[22:23]
	s_waitcnt lgkmcnt(0)
	v_mul_f64 v[22:23], v[206:207], v[214:215]
	v_add_f64 v[18:19], v[18:19], -v[220:221]
	v_fma_f64 v[22:23], v[204:205], v[20:21], -v[22:23]
	v_mul_f64 v[204:205], v[204:205], v[214:215]
	ds_read2_b64 v[220:223], v216 offset0:94 offset1:95
	v_fmac_f64_e32 v[204:205], v[206:207], v[20:21]
	s_waitcnt vmcnt(4)
	v_add_f64 v[14:15], v[14:15], -v[204:205]
	ds_read2_b64 v[204:207], v216 offset0:96 offset1:97
	v_add_f64 v[12:13], v[12:13], -v[22:23]
	s_waitcnt lgkmcnt(1)
	v_mul_f64 v[22:23], v[222:223], v[214:215]
	v_fma_f64 v[22:23], v[220:221], v[20:21], -v[22:23]
	v_mul_f64 v[220:221], v[220:221], v[214:215]
	v_fmac_f64_e32 v[220:221], v[222:223], v[20:21]
	s_waitcnt vmcnt(3)
	v_add_f64 v[8:9], v[8:9], -v[22:23]
	s_waitcnt lgkmcnt(0)
	v_mul_f64 v[22:23], v[206:207], v[214:215]
	v_add_f64 v[10:11], v[10:11], -v[220:221]
	v_fma_f64 v[22:23], v[204:205], v[20:21], -v[22:23]
	v_mul_f64 v[204:205], v[204:205], v[214:215]
	ds_read2_b64 v[220:223], v216 offset0:98 offset1:99
	v_fmac_f64_e32 v[204:205], v[206:207], v[20:21]
	s_waitcnt vmcnt(2)
	v_add_f64 v[6:7], v[6:7], -v[204:205]
	ds_read2_b64 v[204:207], v216 offset0:100 offset1:101
	v_add_f64 v[4:5], v[4:5], -v[22:23]
	s_waitcnt lgkmcnt(1)
	v_mul_f64 v[22:23], v[222:223], v[214:215]
	v_fma_f64 v[22:23], v[220:221], v[20:21], -v[22:23]
	s_waitcnt vmcnt(1)
	v_add_f64 v[0:1], v[0:1], -v[22:23]
	s_waitcnt lgkmcnt(0)
	v_mul_f64 v[22:23], v[206:207], v[214:215]
	v_mul_f64 v[220:221], v[220:221], v[214:215]
	v_fma_f64 v[22:23], v[204:205], v[20:21], -v[22:23]
	v_mul_f64 v[204:205], v[204:205], v[214:215]
	v_fmac_f64_e32 v[220:221], v[222:223], v[20:21]
	v_fmac_f64_e32 v[204:205], v[206:207], v[20:21]
	v_add_f64 v[2:3], v[2:3], -v[220:221]
	s_waitcnt vmcnt(0)
	v_add_f64 v[200:201], v[200:201], -v[22:23]
	v_add_f64 v[202:203], v[202:203], -v[204:205]
	v_mov_b64_e32 v[22:23], v[214:215]
.LBB100_944:
	s_or_b64 exec, exec, s[0:1]
	v_lshl_add_u32 v204, v217, 4, v216
	s_barrier
	s_waitcnt vmcnt(5)
	ds_write2_b64 v204, v[16:17], v[18:19] offset1:1
	s_waitcnt lgkmcnt(0)
	s_barrier
	ds_read2_b64 v[204:207], v216 offset0:90 offset1:91
	s_cmp_lt_i32 s20, 47
	v_mov_b32_e32 v214, 45
	s_cbranch_scc1 .LBB100_947
; %bb.945:
	v_add_u32_e32 v215, 0x2e0, v216
	s_mov_b32 s16, 46
	v_mov_b32_e32 v214, 45
.LBB100_946:                            ; =>This Inner Loop Header: Depth=1
	ds_read2_b64 v[220:223], v215 offset1:1
	s_waitcnt lgkmcnt(1)
	v_xor_b32_e32 v225, 0x80000000, v205
	v_xor_b32_e32 v227, 0x80000000, v207
	v_cmp_gt_f64_e32 vcc, 0, v[206:207]
	v_cmp_gt_f64_e64 s[0:1], 0, v[204:205]
	v_mov_b32_e32 v224, v204
	v_mov_b32_e32 v226, v206
	v_cndmask_b32_e64 v225, v205, v225, s[0:1]
	v_cndmask_b32_e32 v227, v207, v227, vcc
	v_add_f64 v[224:225], v[224:225], v[226:227]
	s_waitcnt lgkmcnt(0)
	v_xor_b32_e32 v227, 0x80000000, v221
	v_xor_b32_e32 v229, 0x80000000, v223
	v_cmp_gt_f64_e32 vcc, 0, v[222:223]
	v_cmp_gt_f64_e64 s[0:1], 0, v[220:221]
	v_mov_b32_e32 v226, v220
	v_mov_b32_e32 v228, v222
	v_cndmask_b32_e64 v227, v221, v227, s[0:1]
	v_cndmask_b32_e32 v229, v223, v229, vcc
	v_add_f64 v[226:227], v[226:227], v[228:229]
	v_mov_b32_e32 v230, s16
	s_add_i32 s16, s16, 1
	v_cmp_lt_f64_e32 vcc, v[224:225], v[226:227]
	v_add_u32_e32 v215, 16, v215
	s_cmp_lg_u32 s20, s16
	v_cndmask_b32_e32 v205, v205, v221, vcc
	v_cndmask_b32_e32 v204, v204, v220, vcc
	;; [unrolled: 1-line block ×5, first 2 shown]
	s_cbranch_scc1 .LBB100_946
.LBB100_947:
	s_waitcnt lgkmcnt(0)
	v_cmp_eq_f64_e32 vcc, 0, v[204:205]
	v_cmp_eq_f64_e64 s[0:1], 0, v[206:207]
	s_and_b64 s[0:1], vcc, s[0:1]
	s_and_saveexec_b64 s[16:17], s[0:1]
	s_xor_b64 s[0:1], exec, s[16:17]
; %bb.948:
	v_cmp_ne_u32_e32 vcc, 0, v218
	s_nop 1
	v_cndmask_b32_e32 v218, 46, v218, vcc
; %bb.949:
	s_andn2_saveexec_b64 s[0:1], s[0:1]
	s_cbranch_execz .LBB100_955
; %bb.950:
	v_cmp_ngt_f64_e64 s[16:17], |v[204:205]|, |v[206:207]|
	s_and_saveexec_b64 s[18:19], s[16:17]
	s_xor_b64 s[16:17], exec, s[18:19]
	s_cbranch_execz .LBB100_952
; %bb.951:
	v_div_scale_f64 v[220:221], s[18:19], v[206:207], v[206:207], v[204:205]
	v_rcp_f64_e32 v[222:223], v[220:221]
	v_div_scale_f64 v[224:225], vcc, v[204:205], v[206:207], v[204:205]
	v_fma_f64 v[226:227], -v[220:221], v[222:223], 1.0
	v_fmac_f64_e32 v[222:223], v[222:223], v[226:227]
	v_fma_f64 v[226:227], -v[220:221], v[222:223], 1.0
	v_fmac_f64_e32 v[222:223], v[222:223], v[226:227]
	v_mul_f64 v[226:227], v[224:225], v[222:223]
	v_fma_f64 v[220:221], -v[220:221], v[226:227], v[224:225]
	v_div_fmas_f64 v[220:221], v[220:221], v[222:223], v[226:227]
	v_div_fixup_f64 v[220:221], v[220:221], v[206:207], v[204:205]
	v_fmac_f64_e32 v[206:207], v[204:205], v[220:221]
	v_div_scale_f64 v[204:205], s[18:19], v[206:207], v[206:207], 1.0
	v_rcp_f64_e32 v[222:223], v[204:205]
	s_nop 0
	v_fma_f64 v[224:225], -v[204:205], v[222:223], 1.0
	v_fmac_f64_e32 v[222:223], v[222:223], v[224:225]
	v_fma_f64 v[224:225], -v[204:205], v[222:223], 1.0
	v_fmac_f64_e32 v[222:223], v[222:223], v[224:225]
	v_div_scale_f64 v[224:225], vcc, 1.0, v[206:207], 1.0
	v_mul_f64 v[226:227], v[224:225], v[222:223]
	v_fma_f64 v[204:205], -v[204:205], v[226:227], v[224:225]
	s_nop 1
	v_div_fmas_f64 v[204:205], v[204:205], v[222:223], v[226:227]
	v_div_fixup_f64 v[206:207], v[204:205], v[206:207], 1.0
	v_mul_f64 v[204:205], v[220:221], v[206:207]
	v_xor_b32_e32 v207, 0x80000000, v207
.LBB100_952:
	s_andn2_saveexec_b64 s[16:17], s[16:17]
	s_cbranch_execz .LBB100_954
; %bb.953:
	v_div_scale_f64 v[220:221], s[18:19], v[204:205], v[204:205], v[206:207]
	v_rcp_f64_e32 v[222:223], v[220:221]
	v_div_scale_f64 v[224:225], vcc, v[206:207], v[204:205], v[206:207]
	v_fma_f64 v[226:227], -v[220:221], v[222:223], 1.0
	v_fmac_f64_e32 v[222:223], v[222:223], v[226:227]
	v_fma_f64 v[226:227], -v[220:221], v[222:223], 1.0
	v_fmac_f64_e32 v[222:223], v[222:223], v[226:227]
	v_mul_f64 v[226:227], v[224:225], v[222:223]
	v_fma_f64 v[220:221], -v[220:221], v[226:227], v[224:225]
	v_div_fmas_f64 v[220:221], v[220:221], v[222:223], v[226:227]
	v_div_fixup_f64 v[220:221], v[220:221], v[204:205], v[206:207]
	v_fmac_f64_e32 v[204:205], v[206:207], v[220:221]
	v_div_scale_f64 v[206:207], s[18:19], v[204:205], v[204:205], 1.0
	v_rcp_f64_e32 v[222:223], v[206:207]
	s_nop 0
	v_fma_f64 v[224:225], -v[206:207], v[222:223], 1.0
	v_fmac_f64_e32 v[222:223], v[222:223], v[224:225]
	v_fma_f64 v[224:225], -v[206:207], v[222:223], 1.0
	v_fmac_f64_e32 v[222:223], v[222:223], v[224:225]
	v_div_scale_f64 v[224:225], vcc, 1.0, v[204:205], 1.0
	v_mul_f64 v[226:227], v[224:225], v[222:223]
	v_fma_f64 v[206:207], -v[206:207], v[226:227], v[224:225]
	s_nop 1
	v_div_fmas_f64 v[206:207], v[206:207], v[222:223], v[226:227]
	v_div_fixup_f64 v[204:205], v[206:207], v[204:205], 1.0
	v_mul_f64 v[206:207], v[220:221], -v[204:205]
.LBB100_954:
	s_or_b64 exec, exec, s[16:17]
.LBB100_955:
	s_or_b64 exec, exec, s[0:1]
	v_cmp_ne_u32_e32 vcc, v217, v214
	s_and_saveexec_b64 s[0:1], vcc
	s_xor_b64 s[0:1], exec, s[0:1]
	s_cbranch_execz .LBB100_961
; %bb.956:
	v_cmp_eq_u32_e32 vcc, 45, v217
	s_and_saveexec_b64 s[16:17], vcc
	s_cbranch_execz .LBB100_960
; %bb.957:
	v_cmp_ne_u32_e32 vcc, 45, v214
	s_xor_b64 s[18:19], s[14:15], -1
	s_and_b64 s[22:23], s[18:19], vcc
	s_and_saveexec_b64 s[18:19], s[22:23]
	s_cbranch_execz .LBB100_959
; %bb.958:
	v_ashrrev_i32_e32 v215, 31, v214
	v_lshl_add_u64 v[220:221], v[214:215], 2, v[212:213]
	global_load_dword v215, v[220:221], off
	global_load_dword v217, v[212:213], off offset:180
	s_waitcnt vmcnt(1)
	global_store_dword v[212:213], v215, off offset:180
	s_waitcnt vmcnt(1)
	global_store_dword v[220:221], v217, off
.LBB100_959:
	s_or_b64 exec, exec, s[18:19]
	v_mov_b32_e32 v217, v214
	v_mov_b32_e32 v219, v214
.LBB100_960:
	s_or_b64 exec, exec, s[16:17]
.LBB100_961:
	s_andn2_saveexec_b64 s[0:1], s[0:1]
	s_cbranch_execz .LBB100_963
; %bb.962:
	v_mov_b32_e32 v217, 45
	s_waitcnt vmcnt(4)
	ds_write2_b64 v216, v[12:13], v[14:15] offset0:92 offset1:93
	s_waitcnt vmcnt(3)
	ds_write2_b64 v216, v[8:9], v[10:11] offset0:94 offset1:95
	;; [unrolled: 2-line block ×5, first 2 shown]
.LBB100_963:
	s_or_b64 exec, exec, s[0:1]
	v_cmp_lt_i32_e32 vcc, 45, v217
	s_waitcnt lgkmcnt(0)
	s_barrier
	s_and_saveexec_b64 s[0:1], vcc
	s_cbranch_execz .LBB100_965
; %bb.964:
	ds_read2_b64 v[220:223], v216 offset0:92 offset1:93
	v_mul_f64 v[214:215], v[204:205], v[18:19]
	v_fmac_f64_e32 v[214:215], v[206:207], v[16:17]
	v_mul_f64 v[18:19], v[206:207], v[18:19]
	v_fma_f64 v[16:17], v[204:205], v[16:17], -v[18:19]
	ds_read2_b64 v[204:207], v216 offset0:94 offset1:95
	s_waitcnt lgkmcnt(1)
	v_mul_f64 v[18:19], v[222:223], v[214:215]
	v_fma_f64 v[18:19], v[220:221], v[16:17], -v[18:19]
	v_mul_f64 v[220:221], v[220:221], v[214:215]
	v_fmac_f64_e32 v[220:221], v[222:223], v[16:17]
	s_waitcnt vmcnt(4)
	v_add_f64 v[14:15], v[14:15], -v[220:221]
	ds_read2_b64 v[220:223], v216 offset0:96 offset1:97
	v_add_f64 v[12:13], v[12:13], -v[18:19]
	s_waitcnt lgkmcnt(1)
	v_mul_f64 v[18:19], v[206:207], v[214:215]
	v_fma_f64 v[18:19], v[204:205], v[16:17], -v[18:19]
	v_mul_f64 v[204:205], v[204:205], v[214:215]
	v_fmac_f64_e32 v[204:205], v[206:207], v[16:17]
	s_waitcnt vmcnt(3)
	v_add_f64 v[8:9], v[8:9], -v[18:19]
	v_add_f64 v[10:11], v[10:11], -v[204:205]
	ds_read2_b64 v[204:207], v216 offset0:98 offset1:99
	s_waitcnt lgkmcnt(1)
	v_mul_f64 v[18:19], v[222:223], v[214:215]
	v_fma_f64 v[18:19], v[220:221], v[16:17], -v[18:19]
	v_mul_f64 v[220:221], v[220:221], v[214:215]
	v_fmac_f64_e32 v[220:221], v[222:223], v[16:17]
	s_waitcnt vmcnt(2)
	v_add_f64 v[6:7], v[6:7], -v[220:221]
	ds_read2_b64 v[220:223], v216 offset0:100 offset1:101
	v_add_f64 v[4:5], v[4:5], -v[18:19]
	s_waitcnt lgkmcnt(1)
	v_mul_f64 v[18:19], v[206:207], v[214:215]
	v_fma_f64 v[18:19], v[204:205], v[16:17], -v[18:19]
	v_mul_f64 v[204:205], v[204:205], v[214:215]
	v_fmac_f64_e32 v[204:205], v[206:207], v[16:17]
	s_waitcnt vmcnt(1)
	v_add_f64 v[0:1], v[0:1], -v[18:19]
	v_add_f64 v[2:3], v[2:3], -v[204:205]
	s_waitcnt lgkmcnt(0)
	v_mul_f64 v[18:19], v[222:223], v[214:215]
	v_mul_f64 v[204:205], v[220:221], v[214:215]
	v_fma_f64 v[18:19], v[220:221], v[16:17], -v[18:19]
	v_fmac_f64_e32 v[204:205], v[222:223], v[16:17]
	s_waitcnt vmcnt(0)
	v_add_f64 v[200:201], v[200:201], -v[18:19]
	v_add_f64 v[202:203], v[202:203], -v[204:205]
	v_mov_b64_e32 v[18:19], v[214:215]
.LBB100_965:
	s_or_b64 exec, exec, s[0:1]
	v_lshl_add_u32 v204, v217, 4, v216
	s_barrier
	s_waitcnt vmcnt(4)
	ds_write2_b64 v204, v[12:13], v[14:15] offset1:1
	s_waitcnt lgkmcnt(0)
	s_barrier
	ds_read2_b64 v[204:207], v216 offset0:92 offset1:93
	s_cmp_lt_i32 s20, 48
	v_mov_b32_e32 v214, 46
	s_cbranch_scc1 .LBB100_968
; %bb.966:
	v_add_u32_e32 v215, 0x2f0, v216
	s_mov_b32 s16, 47
	v_mov_b32_e32 v214, 46
.LBB100_967:                            ; =>This Inner Loop Header: Depth=1
	ds_read2_b64 v[220:223], v215 offset1:1
	s_waitcnt lgkmcnt(1)
	v_xor_b32_e32 v225, 0x80000000, v205
	v_xor_b32_e32 v227, 0x80000000, v207
	v_cmp_gt_f64_e32 vcc, 0, v[206:207]
	v_cmp_gt_f64_e64 s[0:1], 0, v[204:205]
	v_mov_b32_e32 v224, v204
	v_mov_b32_e32 v226, v206
	v_cndmask_b32_e64 v225, v205, v225, s[0:1]
	v_cndmask_b32_e32 v227, v207, v227, vcc
	v_add_f64 v[224:225], v[224:225], v[226:227]
	s_waitcnt lgkmcnt(0)
	v_xor_b32_e32 v227, 0x80000000, v221
	v_xor_b32_e32 v229, 0x80000000, v223
	v_cmp_gt_f64_e32 vcc, 0, v[222:223]
	v_cmp_gt_f64_e64 s[0:1], 0, v[220:221]
	v_mov_b32_e32 v226, v220
	v_mov_b32_e32 v228, v222
	v_cndmask_b32_e64 v227, v221, v227, s[0:1]
	v_cndmask_b32_e32 v229, v223, v229, vcc
	v_add_f64 v[226:227], v[226:227], v[228:229]
	v_mov_b32_e32 v230, s16
	s_add_i32 s16, s16, 1
	v_cmp_lt_f64_e32 vcc, v[224:225], v[226:227]
	v_add_u32_e32 v215, 16, v215
	s_cmp_lg_u32 s20, s16
	v_cndmask_b32_e32 v205, v205, v221, vcc
	v_cndmask_b32_e32 v204, v204, v220, vcc
	;; [unrolled: 1-line block ×5, first 2 shown]
	s_cbranch_scc1 .LBB100_967
.LBB100_968:
	s_waitcnt lgkmcnt(0)
	v_cmp_eq_f64_e32 vcc, 0, v[204:205]
	v_cmp_eq_f64_e64 s[0:1], 0, v[206:207]
	s_and_b64 s[0:1], vcc, s[0:1]
	s_and_saveexec_b64 s[16:17], s[0:1]
	s_xor_b64 s[0:1], exec, s[16:17]
; %bb.969:
	v_cmp_ne_u32_e32 vcc, 0, v218
	s_nop 1
	v_cndmask_b32_e32 v218, 47, v218, vcc
; %bb.970:
	s_andn2_saveexec_b64 s[0:1], s[0:1]
	s_cbranch_execz .LBB100_976
; %bb.971:
	v_cmp_ngt_f64_e64 s[16:17], |v[204:205]|, |v[206:207]|
	s_and_saveexec_b64 s[18:19], s[16:17]
	s_xor_b64 s[16:17], exec, s[18:19]
	s_cbranch_execz .LBB100_973
; %bb.972:
	v_div_scale_f64 v[220:221], s[18:19], v[206:207], v[206:207], v[204:205]
	v_rcp_f64_e32 v[222:223], v[220:221]
	v_div_scale_f64 v[224:225], vcc, v[204:205], v[206:207], v[204:205]
	v_fma_f64 v[226:227], -v[220:221], v[222:223], 1.0
	v_fmac_f64_e32 v[222:223], v[222:223], v[226:227]
	v_fma_f64 v[226:227], -v[220:221], v[222:223], 1.0
	v_fmac_f64_e32 v[222:223], v[222:223], v[226:227]
	v_mul_f64 v[226:227], v[224:225], v[222:223]
	v_fma_f64 v[220:221], -v[220:221], v[226:227], v[224:225]
	v_div_fmas_f64 v[220:221], v[220:221], v[222:223], v[226:227]
	v_div_fixup_f64 v[220:221], v[220:221], v[206:207], v[204:205]
	v_fmac_f64_e32 v[206:207], v[204:205], v[220:221]
	v_div_scale_f64 v[204:205], s[18:19], v[206:207], v[206:207], 1.0
	v_rcp_f64_e32 v[222:223], v[204:205]
	s_nop 0
	v_fma_f64 v[224:225], -v[204:205], v[222:223], 1.0
	v_fmac_f64_e32 v[222:223], v[222:223], v[224:225]
	v_fma_f64 v[224:225], -v[204:205], v[222:223], 1.0
	v_fmac_f64_e32 v[222:223], v[222:223], v[224:225]
	v_div_scale_f64 v[224:225], vcc, 1.0, v[206:207], 1.0
	v_mul_f64 v[226:227], v[224:225], v[222:223]
	v_fma_f64 v[204:205], -v[204:205], v[226:227], v[224:225]
	s_nop 1
	v_div_fmas_f64 v[204:205], v[204:205], v[222:223], v[226:227]
	v_div_fixup_f64 v[206:207], v[204:205], v[206:207], 1.0
	v_mul_f64 v[204:205], v[220:221], v[206:207]
	v_xor_b32_e32 v207, 0x80000000, v207
.LBB100_973:
	s_andn2_saveexec_b64 s[16:17], s[16:17]
	s_cbranch_execz .LBB100_975
; %bb.974:
	v_div_scale_f64 v[220:221], s[18:19], v[204:205], v[204:205], v[206:207]
	v_rcp_f64_e32 v[222:223], v[220:221]
	v_div_scale_f64 v[224:225], vcc, v[206:207], v[204:205], v[206:207]
	v_fma_f64 v[226:227], -v[220:221], v[222:223], 1.0
	v_fmac_f64_e32 v[222:223], v[222:223], v[226:227]
	v_fma_f64 v[226:227], -v[220:221], v[222:223], 1.0
	v_fmac_f64_e32 v[222:223], v[222:223], v[226:227]
	v_mul_f64 v[226:227], v[224:225], v[222:223]
	v_fma_f64 v[220:221], -v[220:221], v[226:227], v[224:225]
	v_div_fmas_f64 v[220:221], v[220:221], v[222:223], v[226:227]
	v_div_fixup_f64 v[220:221], v[220:221], v[204:205], v[206:207]
	v_fmac_f64_e32 v[204:205], v[206:207], v[220:221]
	v_div_scale_f64 v[206:207], s[18:19], v[204:205], v[204:205], 1.0
	v_rcp_f64_e32 v[222:223], v[206:207]
	s_nop 0
	v_fma_f64 v[224:225], -v[206:207], v[222:223], 1.0
	v_fmac_f64_e32 v[222:223], v[222:223], v[224:225]
	v_fma_f64 v[224:225], -v[206:207], v[222:223], 1.0
	v_fmac_f64_e32 v[222:223], v[222:223], v[224:225]
	v_div_scale_f64 v[224:225], vcc, 1.0, v[204:205], 1.0
	v_mul_f64 v[226:227], v[224:225], v[222:223]
	v_fma_f64 v[206:207], -v[206:207], v[226:227], v[224:225]
	s_nop 1
	v_div_fmas_f64 v[206:207], v[206:207], v[222:223], v[226:227]
	v_div_fixup_f64 v[204:205], v[206:207], v[204:205], 1.0
	v_mul_f64 v[206:207], v[220:221], -v[204:205]
.LBB100_975:
	s_or_b64 exec, exec, s[16:17]
.LBB100_976:
	s_or_b64 exec, exec, s[0:1]
	v_cmp_ne_u32_e32 vcc, v217, v214
	s_and_saveexec_b64 s[0:1], vcc
	s_xor_b64 s[0:1], exec, s[0:1]
	s_cbranch_execz .LBB100_982
; %bb.977:
	v_cmp_eq_u32_e32 vcc, 46, v217
	s_and_saveexec_b64 s[16:17], vcc
	s_cbranch_execz .LBB100_981
; %bb.978:
	v_cmp_ne_u32_e32 vcc, 46, v214
	s_xor_b64 s[18:19], s[14:15], -1
	s_and_b64 s[22:23], s[18:19], vcc
	s_and_saveexec_b64 s[18:19], s[22:23]
	s_cbranch_execz .LBB100_980
; %bb.979:
	v_ashrrev_i32_e32 v215, 31, v214
	v_lshl_add_u64 v[220:221], v[214:215], 2, v[212:213]
	global_load_dword v215, v[220:221], off
	global_load_dword v217, v[212:213], off offset:184
	s_waitcnt vmcnt(1)
	global_store_dword v[212:213], v215, off offset:184
	s_waitcnt vmcnt(1)
	global_store_dword v[220:221], v217, off
.LBB100_980:
	s_or_b64 exec, exec, s[18:19]
	v_mov_b32_e32 v217, v214
	v_mov_b32_e32 v219, v214
.LBB100_981:
	s_or_b64 exec, exec, s[16:17]
.LBB100_982:
	s_andn2_saveexec_b64 s[0:1], s[0:1]
	s_cbranch_execz .LBB100_984
; %bb.983:
	v_mov_b32_e32 v217, 46
	s_waitcnt vmcnt(3)
	ds_write2_b64 v216, v[8:9], v[10:11] offset0:94 offset1:95
	s_waitcnt vmcnt(2)
	ds_write2_b64 v216, v[4:5], v[6:7] offset0:96 offset1:97
	;; [unrolled: 2-line block ×4, first 2 shown]
.LBB100_984:
	s_or_b64 exec, exec, s[0:1]
	v_cmp_lt_i32_e32 vcc, 46, v217
	s_waitcnt lgkmcnt(0)
	s_barrier
	s_and_saveexec_b64 s[0:1], vcc
	s_cbranch_execz .LBB100_986
; %bb.985:
	ds_read2_b64 v[220:223], v216 offset0:94 offset1:95
	v_mul_f64 v[214:215], v[204:205], v[14:15]
	v_mul_f64 v[14:15], v[206:207], v[14:15]
	v_fmac_f64_e32 v[214:215], v[206:207], v[12:13]
	v_fma_f64 v[12:13], v[204:205], v[12:13], -v[14:15]
	ds_read2_b64 v[204:207], v216 offset0:96 offset1:97
	s_waitcnt lgkmcnt(1)
	v_mul_f64 v[14:15], v[222:223], v[214:215]
	v_fma_f64 v[14:15], v[220:221], v[12:13], -v[14:15]
	v_mul_f64 v[220:221], v[220:221], v[214:215]
	v_fmac_f64_e32 v[220:221], v[222:223], v[12:13]
	s_waitcnt vmcnt(3)
	v_add_f64 v[8:9], v[8:9], -v[14:15]
	s_waitcnt lgkmcnt(0)
	v_mul_f64 v[14:15], v[206:207], v[214:215]
	v_add_f64 v[10:11], v[10:11], -v[220:221]
	v_fma_f64 v[14:15], v[204:205], v[12:13], -v[14:15]
	v_mul_f64 v[204:205], v[204:205], v[214:215]
	ds_read2_b64 v[220:223], v216 offset0:98 offset1:99
	v_fmac_f64_e32 v[204:205], v[206:207], v[12:13]
	s_waitcnt vmcnt(2)
	v_add_f64 v[6:7], v[6:7], -v[204:205]
	ds_read2_b64 v[204:207], v216 offset0:100 offset1:101
	v_add_f64 v[4:5], v[4:5], -v[14:15]
	s_waitcnt lgkmcnt(1)
	v_mul_f64 v[14:15], v[222:223], v[214:215]
	v_fma_f64 v[14:15], v[220:221], v[12:13], -v[14:15]
	s_waitcnt vmcnt(1)
	v_add_f64 v[0:1], v[0:1], -v[14:15]
	s_waitcnt lgkmcnt(0)
	v_mul_f64 v[14:15], v[206:207], v[214:215]
	v_mul_f64 v[220:221], v[220:221], v[214:215]
	v_fma_f64 v[14:15], v[204:205], v[12:13], -v[14:15]
	v_mul_f64 v[204:205], v[204:205], v[214:215]
	v_fmac_f64_e32 v[220:221], v[222:223], v[12:13]
	v_fmac_f64_e32 v[204:205], v[206:207], v[12:13]
	v_add_f64 v[2:3], v[2:3], -v[220:221]
	s_waitcnt vmcnt(0)
	v_add_f64 v[200:201], v[200:201], -v[14:15]
	v_add_f64 v[202:203], v[202:203], -v[204:205]
	v_mov_b64_e32 v[14:15], v[214:215]
.LBB100_986:
	s_or_b64 exec, exec, s[0:1]
	v_lshl_add_u32 v204, v217, 4, v216
	s_barrier
	s_waitcnt vmcnt(3)
	ds_write2_b64 v204, v[8:9], v[10:11] offset1:1
	s_waitcnt lgkmcnt(0)
	s_barrier
	ds_read2_b64 v[204:207], v216 offset0:94 offset1:95
	s_cmp_lt_i32 s20, 49
	v_mov_b32_e32 v214, 47
	s_cbranch_scc1 .LBB100_989
; %bb.987:
	v_add_u32_e32 v215, 0x300, v216
	s_mov_b32 s16, 48
	v_mov_b32_e32 v214, 47
.LBB100_988:                            ; =>This Inner Loop Header: Depth=1
	ds_read2_b64 v[220:223], v215 offset1:1
	s_waitcnt lgkmcnt(1)
	v_xor_b32_e32 v225, 0x80000000, v205
	v_xor_b32_e32 v227, 0x80000000, v207
	v_cmp_gt_f64_e32 vcc, 0, v[206:207]
	v_cmp_gt_f64_e64 s[0:1], 0, v[204:205]
	v_mov_b32_e32 v224, v204
	v_mov_b32_e32 v226, v206
	v_cndmask_b32_e64 v225, v205, v225, s[0:1]
	v_cndmask_b32_e32 v227, v207, v227, vcc
	v_add_f64 v[224:225], v[224:225], v[226:227]
	s_waitcnt lgkmcnt(0)
	v_xor_b32_e32 v227, 0x80000000, v221
	v_xor_b32_e32 v229, 0x80000000, v223
	v_cmp_gt_f64_e32 vcc, 0, v[222:223]
	v_cmp_gt_f64_e64 s[0:1], 0, v[220:221]
	v_mov_b32_e32 v226, v220
	v_mov_b32_e32 v228, v222
	v_cndmask_b32_e64 v227, v221, v227, s[0:1]
	v_cndmask_b32_e32 v229, v223, v229, vcc
	v_add_f64 v[226:227], v[226:227], v[228:229]
	v_mov_b32_e32 v230, s16
	s_add_i32 s16, s16, 1
	v_cmp_lt_f64_e32 vcc, v[224:225], v[226:227]
	v_add_u32_e32 v215, 16, v215
	s_cmp_lg_u32 s20, s16
	v_cndmask_b32_e32 v205, v205, v221, vcc
	v_cndmask_b32_e32 v204, v204, v220, vcc
	v_cndmask_b32_e32 v207, v207, v223, vcc
	v_cndmask_b32_e32 v206, v206, v222, vcc
	v_cndmask_b32_e32 v214, v214, v230, vcc
	s_cbranch_scc1 .LBB100_988
.LBB100_989:
	s_waitcnt lgkmcnt(0)
	v_cmp_eq_f64_e32 vcc, 0, v[204:205]
	v_cmp_eq_f64_e64 s[0:1], 0, v[206:207]
	s_and_b64 s[0:1], vcc, s[0:1]
	s_and_saveexec_b64 s[16:17], s[0:1]
	s_xor_b64 s[0:1], exec, s[16:17]
; %bb.990:
	v_cmp_ne_u32_e32 vcc, 0, v218
	s_nop 1
	v_cndmask_b32_e32 v218, 48, v218, vcc
; %bb.991:
	s_andn2_saveexec_b64 s[0:1], s[0:1]
	s_cbranch_execz .LBB100_997
; %bb.992:
	v_cmp_ngt_f64_e64 s[16:17], |v[204:205]|, |v[206:207]|
	s_and_saveexec_b64 s[18:19], s[16:17]
	s_xor_b64 s[16:17], exec, s[18:19]
	s_cbranch_execz .LBB100_994
; %bb.993:
	v_div_scale_f64 v[220:221], s[18:19], v[206:207], v[206:207], v[204:205]
	v_rcp_f64_e32 v[222:223], v[220:221]
	v_div_scale_f64 v[224:225], vcc, v[204:205], v[206:207], v[204:205]
	v_fma_f64 v[226:227], -v[220:221], v[222:223], 1.0
	v_fmac_f64_e32 v[222:223], v[222:223], v[226:227]
	v_fma_f64 v[226:227], -v[220:221], v[222:223], 1.0
	v_fmac_f64_e32 v[222:223], v[222:223], v[226:227]
	v_mul_f64 v[226:227], v[224:225], v[222:223]
	v_fma_f64 v[220:221], -v[220:221], v[226:227], v[224:225]
	v_div_fmas_f64 v[220:221], v[220:221], v[222:223], v[226:227]
	v_div_fixup_f64 v[220:221], v[220:221], v[206:207], v[204:205]
	v_fmac_f64_e32 v[206:207], v[204:205], v[220:221]
	v_div_scale_f64 v[204:205], s[18:19], v[206:207], v[206:207], 1.0
	v_rcp_f64_e32 v[222:223], v[204:205]
	s_nop 0
	v_fma_f64 v[224:225], -v[204:205], v[222:223], 1.0
	v_fmac_f64_e32 v[222:223], v[222:223], v[224:225]
	v_fma_f64 v[224:225], -v[204:205], v[222:223], 1.0
	v_fmac_f64_e32 v[222:223], v[222:223], v[224:225]
	v_div_scale_f64 v[224:225], vcc, 1.0, v[206:207], 1.0
	v_mul_f64 v[226:227], v[224:225], v[222:223]
	v_fma_f64 v[204:205], -v[204:205], v[226:227], v[224:225]
	s_nop 1
	v_div_fmas_f64 v[204:205], v[204:205], v[222:223], v[226:227]
	v_div_fixup_f64 v[206:207], v[204:205], v[206:207], 1.0
	v_mul_f64 v[204:205], v[220:221], v[206:207]
	v_xor_b32_e32 v207, 0x80000000, v207
.LBB100_994:
	s_andn2_saveexec_b64 s[16:17], s[16:17]
	s_cbranch_execz .LBB100_996
; %bb.995:
	v_div_scale_f64 v[220:221], s[18:19], v[204:205], v[204:205], v[206:207]
	v_rcp_f64_e32 v[222:223], v[220:221]
	v_div_scale_f64 v[224:225], vcc, v[206:207], v[204:205], v[206:207]
	v_fma_f64 v[226:227], -v[220:221], v[222:223], 1.0
	v_fmac_f64_e32 v[222:223], v[222:223], v[226:227]
	v_fma_f64 v[226:227], -v[220:221], v[222:223], 1.0
	v_fmac_f64_e32 v[222:223], v[222:223], v[226:227]
	v_mul_f64 v[226:227], v[224:225], v[222:223]
	v_fma_f64 v[220:221], -v[220:221], v[226:227], v[224:225]
	v_div_fmas_f64 v[220:221], v[220:221], v[222:223], v[226:227]
	v_div_fixup_f64 v[220:221], v[220:221], v[204:205], v[206:207]
	v_fmac_f64_e32 v[204:205], v[206:207], v[220:221]
	v_div_scale_f64 v[206:207], s[18:19], v[204:205], v[204:205], 1.0
	v_rcp_f64_e32 v[222:223], v[206:207]
	s_nop 0
	v_fma_f64 v[224:225], -v[206:207], v[222:223], 1.0
	v_fmac_f64_e32 v[222:223], v[222:223], v[224:225]
	v_fma_f64 v[224:225], -v[206:207], v[222:223], 1.0
	v_fmac_f64_e32 v[222:223], v[222:223], v[224:225]
	v_div_scale_f64 v[224:225], vcc, 1.0, v[204:205], 1.0
	v_mul_f64 v[226:227], v[224:225], v[222:223]
	v_fma_f64 v[206:207], -v[206:207], v[226:227], v[224:225]
	s_nop 1
	v_div_fmas_f64 v[206:207], v[206:207], v[222:223], v[226:227]
	v_div_fixup_f64 v[204:205], v[206:207], v[204:205], 1.0
	v_mul_f64 v[206:207], v[220:221], -v[204:205]
.LBB100_996:
	s_or_b64 exec, exec, s[16:17]
.LBB100_997:
	s_or_b64 exec, exec, s[0:1]
	v_cmp_ne_u32_e32 vcc, v217, v214
	s_and_saveexec_b64 s[0:1], vcc
	s_xor_b64 s[0:1], exec, s[0:1]
	s_cbranch_execz .LBB100_1003
; %bb.998:
	v_cmp_eq_u32_e32 vcc, 47, v217
	s_and_saveexec_b64 s[16:17], vcc
	s_cbranch_execz .LBB100_1002
; %bb.999:
	v_cmp_ne_u32_e32 vcc, 47, v214
	s_xor_b64 s[18:19], s[14:15], -1
	s_and_b64 s[22:23], s[18:19], vcc
	s_and_saveexec_b64 s[18:19], s[22:23]
	s_cbranch_execz .LBB100_1001
; %bb.1000:
	v_ashrrev_i32_e32 v215, 31, v214
	v_lshl_add_u64 v[220:221], v[214:215], 2, v[212:213]
	global_load_dword v215, v[220:221], off
	global_load_dword v217, v[212:213], off offset:188
	s_waitcnt vmcnt(1)
	global_store_dword v[212:213], v215, off offset:188
	s_waitcnt vmcnt(1)
	global_store_dword v[220:221], v217, off
.LBB100_1001:
	s_or_b64 exec, exec, s[18:19]
	v_mov_b32_e32 v217, v214
	v_mov_b32_e32 v219, v214
.LBB100_1002:
	s_or_b64 exec, exec, s[16:17]
.LBB100_1003:
	s_andn2_saveexec_b64 s[0:1], s[0:1]
	s_cbranch_execz .LBB100_1005
; %bb.1004:
	v_mov_b32_e32 v217, 47
	s_waitcnt vmcnt(2)
	ds_write2_b64 v216, v[4:5], v[6:7] offset0:96 offset1:97
	s_waitcnt vmcnt(1)
	ds_write2_b64 v216, v[0:1], v[2:3] offset0:98 offset1:99
	s_waitcnt vmcnt(0)
	ds_write2_b64 v216, v[200:201], v[202:203] offset0:100 offset1:101
.LBB100_1005:
	s_or_b64 exec, exec, s[0:1]
	v_cmp_lt_i32_e32 vcc, 47, v217
	s_waitcnt lgkmcnt(0)
	s_barrier
	s_and_saveexec_b64 s[0:1], vcc
	s_cbranch_execz .LBB100_1007
; %bb.1006:
	ds_read2_b64 v[220:223], v216 offset0:96 offset1:97
	v_mul_f64 v[214:215], v[204:205], v[10:11]
	v_fmac_f64_e32 v[214:215], v[206:207], v[8:9]
	v_mul_f64 v[10:11], v[206:207], v[10:11]
	v_fma_f64 v[8:9], v[204:205], v[8:9], -v[10:11]
	ds_read2_b64 v[204:207], v216 offset0:98 offset1:99
	s_waitcnt lgkmcnt(1)
	v_mul_f64 v[10:11], v[222:223], v[214:215]
	v_fma_f64 v[10:11], v[220:221], v[8:9], -v[10:11]
	v_mul_f64 v[220:221], v[220:221], v[214:215]
	v_fmac_f64_e32 v[220:221], v[222:223], v[8:9]
	s_waitcnt vmcnt(2)
	v_add_f64 v[6:7], v[6:7], -v[220:221]
	ds_read2_b64 v[220:223], v216 offset0:100 offset1:101
	v_add_f64 v[4:5], v[4:5], -v[10:11]
	s_waitcnt lgkmcnt(1)
	v_mul_f64 v[10:11], v[206:207], v[214:215]
	v_fma_f64 v[10:11], v[204:205], v[8:9], -v[10:11]
	v_mul_f64 v[204:205], v[204:205], v[214:215]
	v_fmac_f64_e32 v[204:205], v[206:207], v[8:9]
	s_waitcnt vmcnt(1)
	v_add_f64 v[0:1], v[0:1], -v[10:11]
	v_add_f64 v[2:3], v[2:3], -v[204:205]
	s_waitcnt lgkmcnt(0)
	v_mul_f64 v[10:11], v[222:223], v[214:215]
	v_mul_f64 v[204:205], v[220:221], v[214:215]
	v_fma_f64 v[10:11], v[220:221], v[8:9], -v[10:11]
	v_fmac_f64_e32 v[204:205], v[222:223], v[8:9]
	s_waitcnt vmcnt(0)
	v_add_f64 v[200:201], v[200:201], -v[10:11]
	v_add_f64 v[202:203], v[202:203], -v[204:205]
	v_mov_b64_e32 v[10:11], v[214:215]
.LBB100_1007:
	s_or_b64 exec, exec, s[0:1]
	v_lshl_add_u32 v204, v217, 4, v216
	s_barrier
	s_waitcnt vmcnt(2)
	ds_write2_b64 v204, v[4:5], v[6:7] offset1:1
	s_waitcnt lgkmcnt(0)
	s_barrier
	ds_read2_b64 v[204:207], v216 offset0:96 offset1:97
	s_cmp_lt_i32 s20, 50
	v_mov_b32_e32 v214, 48
	s_cbranch_scc1 .LBB100_1010
; %bb.1008:
	v_add_u32_e32 v215, 0x310, v216
	s_mov_b32 s16, 49
	v_mov_b32_e32 v214, 48
.LBB100_1009:                           ; =>This Inner Loop Header: Depth=1
	ds_read2_b64 v[220:223], v215 offset1:1
	s_waitcnt lgkmcnt(1)
	v_xor_b32_e32 v225, 0x80000000, v205
	v_xor_b32_e32 v227, 0x80000000, v207
	v_cmp_gt_f64_e32 vcc, 0, v[206:207]
	v_cmp_gt_f64_e64 s[0:1], 0, v[204:205]
	v_mov_b32_e32 v224, v204
	v_mov_b32_e32 v226, v206
	v_cndmask_b32_e64 v225, v205, v225, s[0:1]
	v_cndmask_b32_e32 v227, v207, v227, vcc
	v_add_f64 v[224:225], v[224:225], v[226:227]
	s_waitcnt lgkmcnt(0)
	v_xor_b32_e32 v227, 0x80000000, v221
	v_xor_b32_e32 v229, 0x80000000, v223
	v_cmp_gt_f64_e32 vcc, 0, v[222:223]
	v_cmp_gt_f64_e64 s[0:1], 0, v[220:221]
	v_mov_b32_e32 v226, v220
	v_mov_b32_e32 v228, v222
	v_cndmask_b32_e64 v227, v221, v227, s[0:1]
	v_cndmask_b32_e32 v229, v223, v229, vcc
	v_add_f64 v[226:227], v[226:227], v[228:229]
	v_mov_b32_e32 v230, s16
	s_add_i32 s16, s16, 1
	v_cmp_lt_f64_e32 vcc, v[224:225], v[226:227]
	v_add_u32_e32 v215, 16, v215
	s_cmp_lg_u32 s20, s16
	v_cndmask_b32_e32 v205, v205, v221, vcc
	v_cndmask_b32_e32 v204, v204, v220, vcc
	;; [unrolled: 1-line block ×5, first 2 shown]
	s_cbranch_scc1 .LBB100_1009
.LBB100_1010:
	s_waitcnt lgkmcnt(0)
	v_cmp_eq_f64_e32 vcc, 0, v[204:205]
	v_cmp_eq_f64_e64 s[0:1], 0, v[206:207]
	s_and_b64 s[0:1], vcc, s[0:1]
	s_and_saveexec_b64 s[16:17], s[0:1]
	s_xor_b64 s[0:1], exec, s[16:17]
; %bb.1011:
	v_cmp_ne_u32_e32 vcc, 0, v218
	s_nop 1
	v_cndmask_b32_e32 v218, 49, v218, vcc
; %bb.1012:
	s_andn2_saveexec_b64 s[0:1], s[0:1]
	s_cbranch_execz .LBB100_1018
; %bb.1013:
	v_cmp_ngt_f64_e64 s[16:17], |v[204:205]|, |v[206:207]|
	s_and_saveexec_b64 s[18:19], s[16:17]
	s_xor_b64 s[16:17], exec, s[18:19]
	s_cbranch_execz .LBB100_1015
; %bb.1014:
	v_div_scale_f64 v[220:221], s[18:19], v[206:207], v[206:207], v[204:205]
	v_rcp_f64_e32 v[222:223], v[220:221]
	v_div_scale_f64 v[224:225], vcc, v[204:205], v[206:207], v[204:205]
	v_fma_f64 v[226:227], -v[220:221], v[222:223], 1.0
	v_fmac_f64_e32 v[222:223], v[222:223], v[226:227]
	v_fma_f64 v[226:227], -v[220:221], v[222:223], 1.0
	v_fmac_f64_e32 v[222:223], v[222:223], v[226:227]
	v_mul_f64 v[226:227], v[224:225], v[222:223]
	v_fma_f64 v[220:221], -v[220:221], v[226:227], v[224:225]
	v_div_fmas_f64 v[220:221], v[220:221], v[222:223], v[226:227]
	v_div_fixup_f64 v[220:221], v[220:221], v[206:207], v[204:205]
	v_fmac_f64_e32 v[206:207], v[204:205], v[220:221]
	v_div_scale_f64 v[204:205], s[18:19], v[206:207], v[206:207], 1.0
	v_rcp_f64_e32 v[222:223], v[204:205]
	s_nop 0
	v_fma_f64 v[224:225], -v[204:205], v[222:223], 1.0
	v_fmac_f64_e32 v[222:223], v[222:223], v[224:225]
	v_fma_f64 v[224:225], -v[204:205], v[222:223], 1.0
	v_fmac_f64_e32 v[222:223], v[222:223], v[224:225]
	v_div_scale_f64 v[224:225], vcc, 1.0, v[206:207], 1.0
	v_mul_f64 v[226:227], v[224:225], v[222:223]
	v_fma_f64 v[204:205], -v[204:205], v[226:227], v[224:225]
	s_nop 1
	v_div_fmas_f64 v[204:205], v[204:205], v[222:223], v[226:227]
	v_div_fixup_f64 v[206:207], v[204:205], v[206:207], 1.0
	v_mul_f64 v[204:205], v[220:221], v[206:207]
	v_xor_b32_e32 v207, 0x80000000, v207
.LBB100_1015:
	s_andn2_saveexec_b64 s[16:17], s[16:17]
	s_cbranch_execz .LBB100_1017
; %bb.1016:
	v_div_scale_f64 v[220:221], s[18:19], v[204:205], v[204:205], v[206:207]
	v_rcp_f64_e32 v[222:223], v[220:221]
	v_div_scale_f64 v[224:225], vcc, v[206:207], v[204:205], v[206:207]
	v_fma_f64 v[226:227], -v[220:221], v[222:223], 1.0
	v_fmac_f64_e32 v[222:223], v[222:223], v[226:227]
	v_fma_f64 v[226:227], -v[220:221], v[222:223], 1.0
	v_fmac_f64_e32 v[222:223], v[222:223], v[226:227]
	v_mul_f64 v[226:227], v[224:225], v[222:223]
	v_fma_f64 v[220:221], -v[220:221], v[226:227], v[224:225]
	v_div_fmas_f64 v[220:221], v[220:221], v[222:223], v[226:227]
	v_div_fixup_f64 v[220:221], v[220:221], v[204:205], v[206:207]
	v_fmac_f64_e32 v[204:205], v[206:207], v[220:221]
	v_div_scale_f64 v[206:207], s[18:19], v[204:205], v[204:205], 1.0
	v_rcp_f64_e32 v[222:223], v[206:207]
	s_nop 0
	v_fma_f64 v[224:225], -v[206:207], v[222:223], 1.0
	v_fmac_f64_e32 v[222:223], v[222:223], v[224:225]
	v_fma_f64 v[224:225], -v[206:207], v[222:223], 1.0
	v_fmac_f64_e32 v[222:223], v[222:223], v[224:225]
	v_div_scale_f64 v[224:225], vcc, 1.0, v[204:205], 1.0
	v_mul_f64 v[226:227], v[224:225], v[222:223]
	v_fma_f64 v[206:207], -v[206:207], v[226:227], v[224:225]
	s_nop 1
	v_div_fmas_f64 v[206:207], v[206:207], v[222:223], v[226:227]
	v_div_fixup_f64 v[204:205], v[206:207], v[204:205], 1.0
	v_mul_f64 v[206:207], v[220:221], -v[204:205]
.LBB100_1017:
	s_or_b64 exec, exec, s[16:17]
.LBB100_1018:
	s_or_b64 exec, exec, s[0:1]
	v_cmp_ne_u32_e32 vcc, v217, v214
	s_and_saveexec_b64 s[0:1], vcc
	s_xor_b64 s[0:1], exec, s[0:1]
	s_cbranch_execz .LBB100_1024
; %bb.1019:
	v_cmp_eq_u32_e32 vcc, 48, v217
	s_and_saveexec_b64 s[16:17], vcc
	s_cbranch_execz .LBB100_1023
; %bb.1020:
	v_cmp_ne_u32_e32 vcc, 48, v214
	s_xor_b64 s[18:19], s[14:15], -1
	s_and_b64 s[22:23], s[18:19], vcc
	s_and_saveexec_b64 s[18:19], s[22:23]
	s_cbranch_execz .LBB100_1022
; %bb.1021:
	v_ashrrev_i32_e32 v215, 31, v214
	v_lshl_add_u64 v[220:221], v[214:215], 2, v[212:213]
	global_load_dword v215, v[220:221], off
	global_load_dword v217, v[212:213], off offset:192
	s_waitcnt vmcnt(1)
	global_store_dword v[212:213], v215, off offset:192
	s_waitcnt vmcnt(1)
	global_store_dword v[220:221], v217, off
.LBB100_1022:
	s_or_b64 exec, exec, s[18:19]
	v_mov_b32_e32 v217, v214
	v_mov_b32_e32 v219, v214
.LBB100_1023:
	s_or_b64 exec, exec, s[16:17]
.LBB100_1024:
	s_andn2_saveexec_b64 s[0:1], s[0:1]
	s_cbranch_execz .LBB100_1026
; %bb.1025:
	v_mov_b32_e32 v217, 48
	s_waitcnt vmcnt(1)
	ds_write2_b64 v216, v[0:1], v[2:3] offset0:98 offset1:99
	s_waitcnt vmcnt(0)
	ds_write2_b64 v216, v[200:201], v[202:203] offset0:100 offset1:101
.LBB100_1026:
	s_or_b64 exec, exec, s[0:1]
	v_cmp_lt_i32_e32 vcc, 48, v217
	s_waitcnt lgkmcnt(0)
	s_barrier
	s_and_saveexec_b64 s[0:1], vcc
	s_cbranch_execz .LBB100_1028
; %bb.1027:
	ds_read2_b64 v[220:223], v216 offset0:98 offset1:99
	v_mul_f64 v[214:215], v[204:205], v[6:7]
	v_mul_f64 v[6:7], v[206:207], v[6:7]
	v_fmac_f64_e32 v[214:215], v[206:207], v[4:5]
	v_fma_f64 v[4:5], v[204:205], v[4:5], -v[6:7]
	ds_read2_b64 v[204:207], v216 offset0:100 offset1:101
	s_waitcnt lgkmcnt(1)
	v_mul_f64 v[6:7], v[222:223], v[214:215]
	v_fma_f64 v[6:7], v[220:221], v[4:5], -v[6:7]
	s_waitcnt vmcnt(1)
	v_add_f64 v[0:1], v[0:1], -v[6:7]
	v_mul_f64 v[220:221], v[220:221], v[214:215]
	s_waitcnt lgkmcnt(0)
	v_mul_f64 v[6:7], v[206:207], v[214:215]
	v_fma_f64 v[6:7], v[204:205], v[4:5], -v[6:7]
	v_mul_f64 v[204:205], v[204:205], v[214:215]
	v_fmac_f64_e32 v[220:221], v[222:223], v[4:5]
	v_fmac_f64_e32 v[204:205], v[206:207], v[4:5]
	v_add_f64 v[2:3], v[2:3], -v[220:221]
	s_waitcnt vmcnt(0)
	v_add_f64 v[200:201], v[200:201], -v[6:7]
	v_add_f64 v[202:203], v[202:203], -v[204:205]
	v_mov_b64_e32 v[6:7], v[214:215]
.LBB100_1028:
	s_or_b64 exec, exec, s[0:1]
	v_lshl_add_u32 v204, v217, 4, v216
	s_barrier
	s_waitcnt vmcnt(1)
	ds_write2_b64 v204, v[0:1], v[2:3] offset1:1
	s_waitcnt lgkmcnt(0)
	s_barrier
	ds_read2_b64 v[204:207], v216 offset0:98 offset1:99
	s_cmp_lt_i32 s20, 51
	v_mov_b32_e32 v214, 49
	s_cbranch_scc1 .LBB100_1031
; %bb.1029:
	v_add_u32_e32 v215, 0x320, v216
	s_mov_b32 s16, 50
	v_mov_b32_e32 v214, 49
.LBB100_1030:                           ; =>This Inner Loop Header: Depth=1
	ds_read2_b64 v[220:223], v215 offset1:1
	s_waitcnt lgkmcnt(1)
	v_xor_b32_e32 v225, 0x80000000, v205
	v_xor_b32_e32 v227, 0x80000000, v207
	v_cmp_gt_f64_e32 vcc, 0, v[206:207]
	v_cmp_gt_f64_e64 s[0:1], 0, v[204:205]
	v_mov_b32_e32 v224, v204
	v_mov_b32_e32 v226, v206
	v_cndmask_b32_e64 v225, v205, v225, s[0:1]
	v_cndmask_b32_e32 v227, v207, v227, vcc
	v_add_f64 v[224:225], v[224:225], v[226:227]
	s_waitcnt lgkmcnt(0)
	v_xor_b32_e32 v227, 0x80000000, v221
	v_xor_b32_e32 v229, 0x80000000, v223
	v_cmp_gt_f64_e32 vcc, 0, v[222:223]
	v_cmp_gt_f64_e64 s[0:1], 0, v[220:221]
	v_mov_b32_e32 v226, v220
	v_mov_b32_e32 v228, v222
	v_cndmask_b32_e64 v227, v221, v227, s[0:1]
	v_cndmask_b32_e32 v229, v223, v229, vcc
	v_add_f64 v[226:227], v[226:227], v[228:229]
	v_mov_b32_e32 v230, s16
	s_add_i32 s16, s16, 1
	v_cmp_lt_f64_e32 vcc, v[224:225], v[226:227]
	v_add_u32_e32 v215, 16, v215
	s_cmp_lg_u32 s20, s16
	v_cndmask_b32_e32 v205, v205, v221, vcc
	v_cndmask_b32_e32 v204, v204, v220, vcc
	;; [unrolled: 1-line block ×5, first 2 shown]
	s_cbranch_scc1 .LBB100_1030
.LBB100_1031:
	s_waitcnt lgkmcnt(0)
	v_cmp_eq_f64_e32 vcc, 0, v[204:205]
	v_cmp_eq_f64_e64 s[0:1], 0, v[206:207]
	s_and_b64 s[0:1], vcc, s[0:1]
	s_and_saveexec_b64 s[16:17], s[0:1]
	s_xor_b64 s[0:1], exec, s[16:17]
; %bb.1032:
	v_cmp_ne_u32_e32 vcc, 0, v218
	s_nop 1
	v_cndmask_b32_e32 v218, 50, v218, vcc
; %bb.1033:
	s_andn2_saveexec_b64 s[0:1], s[0:1]
	s_cbranch_execz .LBB100_1039
; %bb.1034:
	v_cmp_ngt_f64_e64 s[16:17], |v[204:205]|, |v[206:207]|
	s_and_saveexec_b64 s[18:19], s[16:17]
	s_xor_b64 s[16:17], exec, s[18:19]
	s_cbranch_execz .LBB100_1036
; %bb.1035:
	v_div_scale_f64 v[220:221], s[18:19], v[206:207], v[206:207], v[204:205]
	v_rcp_f64_e32 v[222:223], v[220:221]
	v_div_scale_f64 v[224:225], vcc, v[204:205], v[206:207], v[204:205]
	v_fma_f64 v[226:227], -v[220:221], v[222:223], 1.0
	v_fmac_f64_e32 v[222:223], v[222:223], v[226:227]
	v_fma_f64 v[226:227], -v[220:221], v[222:223], 1.0
	v_fmac_f64_e32 v[222:223], v[222:223], v[226:227]
	v_mul_f64 v[226:227], v[224:225], v[222:223]
	v_fma_f64 v[220:221], -v[220:221], v[226:227], v[224:225]
	v_div_fmas_f64 v[220:221], v[220:221], v[222:223], v[226:227]
	v_div_fixup_f64 v[220:221], v[220:221], v[206:207], v[204:205]
	v_fmac_f64_e32 v[206:207], v[204:205], v[220:221]
	v_div_scale_f64 v[204:205], s[18:19], v[206:207], v[206:207], 1.0
	v_rcp_f64_e32 v[222:223], v[204:205]
	s_nop 0
	v_fma_f64 v[224:225], -v[204:205], v[222:223], 1.0
	v_fmac_f64_e32 v[222:223], v[222:223], v[224:225]
	v_fma_f64 v[224:225], -v[204:205], v[222:223], 1.0
	v_fmac_f64_e32 v[222:223], v[222:223], v[224:225]
	v_div_scale_f64 v[224:225], vcc, 1.0, v[206:207], 1.0
	v_mul_f64 v[226:227], v[224:225], v[222:223]
	v_fma_f64 v[204:205], -v[204:205], v[226:227], v[224:225]
	s_nop 1
	v_div_fmas_f64 v[204:205], v[204:205], v[222:223], v[226:227]
	v_div_fixup_f64 v[206:207], v[204:205], v[206:207], 1.0
	v_mul_f64 v[204:205], v[220:221], v[206:207]
	v_xor_b32_e32 v207, 0x80000000, v207
.LBB100_1036:
	s_andn2_saveexec_b64 s[16:17], s[16:17]
	s_cbranch_execz .LBB100_1038
; %bb.1037:
	v_div_scale_f64 v[220:221], s[18:19], v[204:205], v[204:205], v[206:207]
	v_rcp_f64_e32 v[222:223], v[220:221]
	v_div_scale_f64 v[224:225], vcc, v[206:207], v[204:205], v[206:207]
	v_fma_f64 v[226:227], -v[220:221], v[222:223], 1.0
	v_fmac_f64_e32 v[222:223], v[222:223], v[226:227]
	v_fma_f64 v[226:227], -v[220:221], v[222:223], 1.0
	v_fmac_f64_e32 v[222:223], v[222:223], v[226:227]
	v_mul_f64 v[226:227], v[224:225], v[222:223]
	v_fma_f64 v[220:221], -v[220:221], v[226:227], v[224:225]
	v_div_fmas_f64 v[220:221], v[220:221], v[222:223], v[226:227]
	v_div_fixup_f64 v[220:221], v[220:221], v[204:205], v[206:207]
	v_fmac_f64_e32 v[204:205], v[206:207], v[220:221]
	v_div_scale_f64 v[206:207], s[18:19], v[204:205], v[204:205], 1.0
	v_rcp_f64_e32 v[222:223], v[206:207]
	s_nop 0
	v_fma_f64 v[224:225], -v[206:207], v[222:223], 1.0
	v_fmac_f64_e32 v[222:223], v[222:223], v[224:225]
	v_fma_f64 v[224:225], -v[206:207], v[222:223], 1.0
	v_fmac_f64_e32 v[222:223], v[222:223], v[224:225]
	v_div_scale_f64 v[224:225], vcc, 1.0, v[204:205], 1.0
	v_mul_f64 v[226:227], v[224:225], v[222:223]
	v_fma_f64 v[206:207], -v[206:207], v[226:227], v[224:225]
	s_nop 1
	v_div_fmas_f64 v[206:207], v[206:207], v[222:223], v[226:227]
	v_div_fixup_f64 v[204:205], v[206:207], v[204:205], 1.0
	v_mul_f64 v[206:207], v[220:221], -v[204:205]
.LBB100_1038:
	s_or_b64 exec, exec, s[16:17]
.LBB100_1039:
	s_or_b64 exec, exec, s[0:1]
	v_cmp_ne_u32_e32 vcc, v217, v214
	s_and_saveexec_b64 s[0:1], vcc
	s_xor_b64 s[0:1], exec, s[0:1]
	s_cbranch_execz .LBB100_1045
; %bb.1040:
	v_cmp_eq_u32_e32 vcc, 49, v217
	s_and_saveexec_b64 s[16:17], vcc
	s_cbranch_execz .LBB100_1044
; %bb.1041:
	v_cmp_ne_u32_e32 vcc, 49, v214
	s_xor_b64 s[18:19], s[14:15], -1
	s_and_b64 s[22:23], s[18:19], vcc
	s_and_saveexec_b64 s[18:19], s[22:23]
	s_cbranch_execz .LBB100_1043
; %bb.1042:
	v_ashrrev_i32_e32 v215, 31, v214
	v_lshl_add_u64 v[220:221], v[214:215], 2, v[212:213]
	global_load_dword v215, v[220:221], off
	global_load_dword v217, v[212:213], off offset:196
	s_waitcnt vmcnt(1)
	global_store_dword v[212:213], v215, off offset:196
	s_waitcnt vmcnt(1)
	global_store_dword v[220:221], v217, off
.LBB100_1043:
	s_or_b64 exec, exec, s[18:19]
	v_mov_b32_e32 v217, v214
	v_mov_b32_e32 v219, v214
.LBB100_1044:
	s_or_b64 exec, exec, s[16:17]
.LBB100_1045:
	s_andn2_saveexec_b64 s[0:1], s[0:1]
	s_cbranch_execz .LBB100_1047
; %bb.1046:
	v_mov_b32_e32 v217, 49
	s_waitcnt vmcnt(0)
	ds_write2_b64 v216, v[200:201], v[202:203] offset0:100 offset1:101
.LBB100_1047:
	s_or_b64 exec, exec, s[0:1]
	v_cmp_lt_i32_e32 vcc, 49, v217
	s_waitcnt lgkmcnt(0)
	s_barrier
	s_and_saveexec_b64 s[0:1], vcc
	s_cbranch_execz .LBB100_1049
; %bb.1048:
	ds_read2_b64 v[220:223], v216 offset0:100 offset1:101
	v_mul_f64 v[214:215], v[204:205], v[2:3]
	v_mul_f64 v[2:3], v[206:207], v[2:3]
	v_fmac_f64_e32 v[214:215], v[206:207], v[0:1]
	v_fma_f64 v[0:1], v[204:205], v[0:1], -v[2:3]
	s_waitcnt lgkmcnt(0)
	v_mul_f64 v[2:3], v[222:223], v[214:215]
	v_mul_f64 v[204:205], v[220:221], v[214:215]
	v_fma_f64 v[2:3], v[220:221], v[0:1], -v[2:3]
	v_fmac_f64_e32 v[204:205], v[222:223], v[0:1]
	s_waitcnt vmcnt(0)
	v_add_f64 v[200:201], v[200:201], -v[2:3]
	v_add_f64 v[202:203], v[202:203], -v[204:205]
	v_mov_b64_e32 v[2:3], v[214:215]
.LBB100_1049:
	s_or_b64 exec, exec, s[0:1]
	v_lshl_add_u32 v204, v217, 4, v216
	s_barrier
	s_waitcnt vmcnt(0)
	ds_write2_b64 v204, v[200:201], v[202:203] offset1:1
	s_waitcnt lgkmcnt(0)
	s_barrier
	ds_read2_b64 v[204:207], v216 offset0:100 offset1:101
	s_cmp_lt_i32 s20, 52
	v_mov_b32_e32 v214, 50
	s_cbranch_scc1 .LBB100_1052
; %bb.1050:
	v_add_u32_e32 v215, 0x330, v216
	s_mov_b32 s16, 51
	v_mov_b32_e32 v214, 50
.LBB100_1051:                           ; =>This Inner Loop Header: Depth=1
	ds_read2_b64 v[220:223], v215 offset1:1
	s_waitcnt lgkmcnt(1)
	v_xor_b32_e32 v216, 0x80000000, v205
	v_xor_b32_e32 v227, 0x80000000, v207
	v_cmp_gt_f64_e32 vcc, 0, v[206:207]
	v_cmp_gt_f64_e64 s[0:1], 0, v[204:205]
	v_mov_b32_e32 v224, v204
	v_mov_b32_e32 v226, v206
	v_cndmask_b32_e64 v225, v205, v216, s[0:1]
	v_cndmask_b32_e32 v227, v207, v227, vcc
	s_waitcnt lgkmcnt(0)
	v_xor_b32_e32 v216, 0x80000000, v221
	v_xor_b32_e32 v229, 0x80000000, v223
	v_cmp_gt_f64_e32 vcc, 0, v[222:223]
	v_cmp_gt_f64_e64 s[0:1], 0, v[220:221]
	v_add_f64 v[224:225], v[224:225], v[226:227]
	v_mov_b32_e32 v226, v220
	v_mov_b32_e32 v228, v222
	v_cndmask_b32_e64 v227, v221, v216, s[0:1]
	v_cndmask_b32_e32 v229, v223, v229, vcc
	v_add_f64 v[226:227], v[226:227], v[228:229]
	v_mov_b32_e32 v230, s16
	s_add_i32 s16, s16, 1
	v_cmp_lt_f64_e32 vcc, v[224:225], v[226:227]
	v_add_u32_e32 v215, 16, v215
	s_cmp_lg_u32 s20, s16
	v_cndmask_b32_e32 v205, v205, v221, vcc
	v_cndmask_b32_e32 v204, v204, v220, vcc
	;; [unrolled: 1-line block ×5, first 2 shown]
	s_cbranch_scc1 .LBB100_1051
.LBB100_1052:
	s_waitcnt lgkmcnt(0)
	v_cmp_eq_f64_e32 vcc, 0, v[204:205]
	v_cmp_eq_f64_e64 s[0:1], 0, v[206:207]
	s_and_b64 s[0:1], vcc, s[0:1]
	s_and_saveexec_b64 s[16:17], s[0:1]
	s_xor_b64 s[0:1], exec, s[16:17]
; %bb.1053:
	v_cmp_ne_u32_e32 vcc, 0, v218
	s_nop 1
	v_cndmask_b32_e32 v218, 51, v218, vcc
; %bb.1054:
	s_andn2_saveexec_b64 s[0:1], s[0:1]
	s_cbranch_execz .LBB100_1060
; %bb.1055:
	v_cmp_ngt_f64_e64 s[16:17], |v[204:205]|, |v[206:207]|
	s_and_saveexec_b64 s[18:19], s[16:17]
	s_xor_b64 s[16:17], exec, s[18:19]
	s_cbranch_execz .LBB100_1057
; %bb.1056:
	v_div_scale_f64 v[220:221], s[18:19], v[206:207], v[206:207], v[204:205]
	v_rcp_f64_e32 v[222:223], v[220:221]
	v_div_scale_f64 v[224:225], vcc, v[204:205], v[206:207], v[204:205]
	v_fma_f64 v[226:227], -v[220:221], v[222:223], 1.0
	v_fmac_f64_e32 v[222:223], v[222:223], v[226:227]
	v_fma_f64 v[226:227], -v[220:221], v[222:223], 1.0
	v_fmac_f64_e32 v[222:223], v[222:223], v[226:227]
	v_mul_f64 v[226:227], v[224:225], v[222:223]
	v_fma_f64 v[220:221], -v[220:221], v[226:227], v[224:225]
	v_div_fmas_f64 v[220:221], v[220:221], v[222:223], v[226:227]
	v_div_fixup_f64 v[220:221], v[220:221], v[206:207], v[204:205]
	v_fmac_f64_e32 v[206:207], v[204:205], v[220:221]
	v_div_scale_f64 v[204:205], s[18:19], v[206:207], v[206:207], 1.0
	v_rcp_f64_e32 v[222:223], v[204:205]
	s_nop 0
	v_fma_f64 v[224:225], -v[204:205], v[222:223], 1.0
	v_fmac_f64_e32 v[222:223], v[222:223], v[224:225]
	v_fma_f64 v[224:225], -v[204:205], v[222:223], 1.0
	v_fmac_f64_e32 v[222:223], v[222:223], v[224:225]
	v_div_scale_f64 v[224:225], vcc, 1.0, v[206:207], 1.0
	v_mul_f64 v[226:227], v[224:225], v[222:223]
	v_fma_f64 v[204:205], -v[204:205], v[226:227], v[224:225]
	s_nop 1
	v_div_fmas_f64 v[204:205], v[204:205], v[222:223], v[226:227]
	v_div_fixup_f64 v[206:207], v[204:205], v[206:207], 1.0
	v_mul_f64 v[204:205], v[220:221], v[206:207]
	v_xor_b32_e32 v207, 0x80000000, v207
.LBB100_1057:
	s_andn2_saveexec_b64 s[16:17], s[16:17]
	s_cbranch_execz .LBB100_1059
; %bb.1058:
	v_div_scale_f64 v[220:221], s[18:19], v[204:205], v[204:205], v[206:207]
	v_rcp_f64_e32 v[222:223], v[220:221]
	v_div_scale_f64 v[224:225], vcc, v[206:207], v[204:205], v[206:207]
	v_fma_f64 v[226:227], -v[220:221], v[222:223], 1.0
	v_fmac_f64_e32 v[222:223], v[222:223], v[226:227]
	v_fma_f64 v[226:227], -v[220:221], v[222:223], 1.0
	v_fmac_f64_e32 v[222:223], v[222:223], v[226:227]
	v_mul_f64 v[226:227], v[224:225], v[222:223]
	v_fma_f64 v[220:221], -v[220:221], v[226:227], v[224:225]
	v_div_fmas_f64 v[220:221], v[220:221], v[222:223], v[226:227]
	v_div_fixup_f64 v[220:221], v[220:221], v[204:205], v[206:207]
	v_fmac_f64_e32 v[204:205], v[206:207], v[220:221]
	v_div_scale_f64 v[206:207], s[18:19], v[204:205], v[204:205], 1.0
	v_rcp_f64_e32 v[222:223], v[206:207]
	s_nop 0
	v_fma_f64 v[224:225], -v[206:207], v[222:223], 1.0
	v_fmac_f64_e32 v[222:223], v[222:223], v[224:225]
	v_fma_f64 v[224:225], -v[206:207], v[222:223], 1.0
	v_fmac_f64_e32 v[222:223], v[222:223], v[224:225]
	v_div_scale_f64 v[224:225], vcc, 1.0, v[204:205], 1.0
	v_mul_f64 v[226:227], v[224:225], v[222:223]
	v_fma_f64 v[206:207], -v[206:207], v[226:227], v[224:225]
	s_nop 1
	v_div_fmas_f64 v[206:207], v[206:207], v[222:223], v[226:227]
	v_div_fixup_f64 v[204:205], v[206:207], v[204:205], 1.0
	v_mul_f64 v[206:207], v[220:221], -v[204:205]
.LBB100_1059:
	s_or_b64 exec, exec, s[16:17]
.LBB100_1060:
	s_or_b64 exec, exec, s[0:1]
	v_cmp_ne_u32_e32 vcc, v217, v214
	v_mov_b32_e32 v216, 50
	s_and_saveexec_b64 s[0:1], vcc
	s_cbranch_execz .LBB100_1066
; %bb.1061:
	v_cmp_eq_u32_e32 vcc, 50, v217
	s_and_saveexec_b64 s[16:17], vcc
	s_cbranch_execz .LBB100_1065
; %bb.1062:
	v_cmp_ne_u32_e32 vcc, 50, v214
	s_xor_b64 s[14:15], s[14:15], -1
	s_and_b64 s[18:19], s[14:15], vcc
	s_and_saveexec_b64 s[14:15], s[18:19]
	s_cbranch_execz .LBB100_1064
; %bb.1063:
	v_ashrrev_i32_e32 v215, 31, v214
	v_lshl_add_u64 v[216:217], v[214:215], 2, v[212:213]
	global_load_dword v215, v[216:217], off
	global_load_dword v219, v[212:213], off offset:200
	s_waitcnt vmcnt(1)
	global_store_dword v[212:213], v215, off offset:200
	s_waitcnt vmcnt(1)
	global_store_dword v[216:217], v219, off
.LBB100_1064:
	s_or_b64 exec, exec, s[14:15]
	v_mov_b32_e32 v217, v214
	v_mov_b32_e32 v219, v214
.LBB100_1065:
	s_or_b64 exec, exec, s[16:17]
	v_mov_b32_e32 v216, v217
.LBB100_1066:
	s_or_b64 exec, exec, s[0:1]
	v_cmp_gt_i32_e32 vcc, 51, v216
	v_ashrrev_i32_e32 v217, 31, v216
	s_barrier
	s_barrier
	s_and_saveexec_b64 s[0:1], vcc
	s_cbranch_execz .LBB100_1068
; %bb.1067:
	v_mov_b32_e32 v212, s6
	v_mov_b32_e32 v213, s7
	v_mul_lo_u32 v220, s11, v210
	v_mul_lo_u32 v221, s10, v211
	v_mad_u64_u32 v[214:215], s[6:7], s10, v210, 0
	v_add3_u32 v215, v215, v221, v220
	v_lshl_add_u64 v[212:213], v[214:215], 2, v[212:213]
	v_lshl_add_u64 v[212:213], s[8:9], 2, v[212:213]
	;; [unrolled: 1-line block ×3, first 2 shown]
	v_add3_u32 v214, v219, s13, 1
	global_store_dword v[212:213], v214, off
.LBB100_1068:
	s_or_b64 exec, exec, s[0:1]
	v_cmp_eq_u32_e32 vcc, 0, v216
	s_and_saveexec_b64 s[6:7], vcc
	s_cbranch_execz .LBB100_1071
; %bb.1069:
	v_mov_b32_e32 v212, s4
	v_mov_b32_e32 v213, s5
	v_lshl_add_u64 v[210:211], v[210:211], 2, v[212:213]
	global_load_dword v212, v[210:211], off
	v_cmp_ne_u32_e64 s[0:1], 0, v218
	s_waitcnt vmcnt(0)
	v_cmp_eq_u32_e32 vcc, 0, v212
	s_and_b64 s[0:1], vcc, s[0:1]
	s_and_b64 exec, exec, s[0:1]
	s_cbranch_execz .LBB100_1071
; %bb.1070:
	v_add_u32_e32 v212, s13, v218
	global_store_dword v[210:211], v212, off
.LBB100_1071:
	s_or_b64 exec, exec, s[6:7]
	v_mul_f64 v[210:211], v[206:207], v[202:203]
	v_fma_f64 v[210:211], v[204:205], v[200:201], -v[210:211]
	v_mul_f64 v[204:205], v[204:205], v[202:203]
	v_fmac_f64_e32 v[204:205], v[206:207], v[200:201]
	v_cmp_lt_i32_e32 vcc, 50, v216
	s_nop 1
	v_cndmask_b32_e32 v203, v203, v205, vcc
	v_cndmask_b32_e32 v202, v202, v204, vcc
	v_lshl_add_u64 v[204:205], v[216:217], 4, v[208:209]
	global_store_dwordx4 v[204:205], v[136:139], off
	v_cndmask_b32_e32 v201, v201, v211, vcc
	v_cndmask_b32_e32 v200, v200, v210, vcc
	v_lshl_add_u64 v[136:137], s[2:3], 4, v[204:205]
	global_store_dwordx4 v[136:137], v[132:135], off
	s_nop 1
	v_add_u32_e32 v132, s12, v216
	v_ashrrev_i32_e32 v133, 31, v132
	v_lshl_add_u64 v[134:135], v[132:133], 4, v[208:209]
	v_add_u32_e32 v132, s2, v132
	v_ashrrev_i32_e32 v133, 31, v132
	global_store_dwordx4 v[134:135], v[196:199], off
	v_lshl_add_u64 v[134:135], v[132:133], 4, v[208:209]
	v_add_u32_e32 v132, s2, v132
	v_ashrrev_i32_e32 v133, 31, v132
	global_store_dwordx4 v[134:135], v[192:195], off
	;; [unrolled: 4-line block ×15, first 2 shown]
	v_lshl_add_u64 v[134:135], v[132:133], 4, v[208:209]
	global_store_dwordx4 v[134:135], v[128:131], off
	s_nop 1
	v_add_u32_e32 v128, s2, v132
	v_ashrrev_i32_e32 v129, 31, v128
	v_lshl_add_u64 v[130:131], v[128:129], 4, v[208:209]
	global_store_dwordx4 v[130:131], v[124:127], off
	s_nop 1
	v_add_u32_e32 v124, s2, v128
	v_ashrrev_i32_e32 v125, 31, v124
	;; [unrolled: 5-line block ×33, first 2 shown]
	v_lshl_add_u64 v[0:1], v[0:1], 4, v[208:209]
	global_store_dwordx4 v[0:1], v[200:203], off
.LBB100_1072:
	s_endpgm
	.section	.rodata,"a",@progbits
	.p2align	6, 0x0
	.amdhsa_kernel _ZN9rocsolver6v33100L18getf2_small_kernelILi51E19rocblas_complex_numIdEiiPS3_EEvT1_T3_lS5_lPS5_llPT2_S5_S5_S7_l
		.amdhsa_group_segment_fixed_size 0
		.amdhsa_private_segment_fixed_size 0
		.amdhsa_kernarg_size 352
		.amdhsa_user_sgpr_count 2
		.amdhsa_user_sgpr_dispatch_ptr 0
		.amdhsa_user_sgpr_queue_ptr 0
		.amdhsa_user_sgpr_kernarg_segment_ptr 1
		.amdhsa_user_sgpr_dispatch_id 0
		.amdhsa_user_sgpr_kernarg_preload_length 0
		.amdhsa_user_sgpr_kernarg_preload_offset 0
		.amdhsa_user_sgpr_private_segment_size 0
		.amdhsa_uses_dynamic_stack 0
		.amdhsa_enable_private_segment 0
		.amdhsa_system_sgpr_workgroup_id_x 1
		.amdhsa_system_sgpr_workgroup_id_y 1
		.amdhsa_system_sgpr_workgroup_id_z 0
		.amdhsa_system_sgpr_workgroup_info 0
		.amdhsa_system_vgpr_workitem_id 1
		.amdhsa_next_free_vgpr 246
		.amdhsa_next_free_sgpr 26
		.amdhsa_accum_offset 248
		.amdhsa_reserve_vcc 1
		.amdhsa_float_round_mode_32 0
		.amdhsa_float_round_mode_16_64 0
		.amdhsa_float_denorm_mode_32 3
		.amdhsa_float_denorm_mode_16_64 3
		.amdhsa_dx10_clamp 1
		.amdhsa_ieee_mode 1
		.amdhsa_fp16_overflow 0
		.amdhsa_tg_split 0
		.amdhsa_exception_fp_ieee_invalid_op 0
		.amdhsa_exception_fp_denorm_src 0
		.amdhsa_exception_fp_ieee_div_zero 0
		.amdhsa_exception_fp_ieee_overflow 0
		.amdhsa_exception_fp_ieee_underflow 0
		.amdhsa_exception_fp_ieee_inexact 0
		.amdhsa_exception_int_div_zero 0
	.end_amdhsa_kernel
	.section	.text._ZN9rocsolver6v33100L18getf2_small_kernelILi51E19rocblas_complex_numIdEiiPS3_EEvT1_T3_lS5_lPS5_llPT2_S5_S5_S7_l,"axG",@progbits,_ZN9rocsolver6v33100L18getf2_small_kernelILi51E19rocblas_complex_numIdEiiPS3_EEvT1_T3_lS5_lPS5_llPT2_S5_S5_S7_l,comdat
.Lfunc_end100:
	.size	_ZN9rocsolver6v33100L18getf2_small_kernelILi51E19rocblas_complex_numIdEiiPS3_EEvT1_T3_lS5_lPS5_llPT2_S5_S5_S7_l, .Lfunc_end100-_ZN9rocsolver6v33100L18getf2_small_kernelILi51E19rocblas_complex_numIdEiiPS3_EEvT1_T3_lS5_lPS5_llPT2_S5_S5_S7_l
                                        ; -- End function
	.set _ZN9rocsolver6v33100L18getf2_small_kernelILi51E19rocblas_complex_numIdEiiPS3_EEvT1_T3_lS5_lPS5_llPT2_S5_S5_S7_l.num_vgpr, 246
	.set _ZN9rocsolver6v33100L18getf2_small_kernelILi51E19rocblas_complex_numIdEiiPS3_EEvT1_T3_lS5_lPS5_llPT2_S5_S5_S7_l.num_agpr, 0
	.set _ZN9rocsolver6v33100L18getf2_small_kernelILi51E19rocblas_complex_numIdEiiPS3_EEvT1_T3_lS5_lPS5_llPT2_S5_S5_S7_l.numbered_sgpr, 26
	.set _ZN9rocsolver6v33100L18getf2_small_kernelILi51E19rocblas_complex_numIdEiiPS3_EEvT1_T3_lS5_lPS5_llPT2_S5_S5_S7_l.num_named_barrier, 0
	.set _ZN9rocsolver6v33100L18getf2_small_kernelILi51E19rocblas_complex_numIdEiiPS3_EEvT1_T3_lS5_lPS5_llPT2_S5_S5_S7_l.private_seg_size, 0
	.set _ZN9rocsolver6v33100L18getf2_small_kernelILi51E19rocblas_complex_numIdEiiPS3_EEvT1_T3_lS5_lPS5_llPT2_S5_S5_S7_l.uses_vcc, 1
	.set _ZN9rocsolver6v33100L18getf2_small_kernelILi51E19rocblas_complex_numIdEiiPS3_EEvT1_T3_lS5_lPS5_llPT2_S5_S5_S7_l.uses_flat_scratch, 0
	.set _ZN9rocsolver6v33100L18getf2_small_kernelILi51E19rocblas_complex_numIdEiiPS3_EEvT1_T3_lS5_lPS5_llPT2_S5_S5_S7_l.has_dyn_sized_stack, 0
	.set _ZN9rocsolver6v33100L18getf2_small_kernelILi51E19rocblas_complex_numIdEiiPS3_EEvT1_T3_lS5_lPS5_llPT2_S5_S5_S7_l.has_recursion, 0
	.set _ZN9rocsolver6v33100L18getf2_small_kernelILi51E19rocblas_complex_numIdEiiPS3_EEvT1_T3_lS5_lPS5_llPT2_S5_S5_S7_l.has_indirect_call, 0
	.section	.AMDGPU.csdata,"",@progbits
; Kernel info:
; codeLenInByte = 138880
; TotalNumSgprs: 32
; NumVgprs: 246
; NumAgprs: 0
; TotalNumVgprs: 246
; ScratchSize: 0
; MemoryBound: 0
; FloatMode: 240
; IeeeMode: 1
; LDSByteSize: 0 bytes/workgroup (compile time only)
; SGPRBlocks: 3
; VGPRBlocks: 30
; NumSGPRsForWavesPerEU: 32
; NumVGPRsForWavesPerEU: 246
; AccumOffset: 248
; Occupancy: 2
; WaveLimiterHint : 0
; COMPUTE_PGM_RSRC2:SCRATCH_EN: 0
; COMPUTE_PGM_RSRC2:USER_SGPR: 2
; COMPUTE_PGM_RSRC2:TRAP_HANDLER: 0
; COMPUTE_PGM_RSRC2:TGID_X_EN: 1
; COMPUTE_PGM_RSRC2:TGID_Y_EN: 1
; COMPUTE_PGM_RSRC2:TGID_Z_EN: 0
; COMPUTE_PGM_RSRC2:TIDIG_COMP_CNT: 1
; COMPUTE_PGM_RSRC3_GFX90A:ACCUM_OFFSET: 61
; COMPUTE_PGM_RSRC3_GFX90A:TG_SPLIT: 0
	.section	.text._ZN9rocsolver6v33100L23getf2_npvt_small_kernelILi51E19rocblas_complex_numIdEiiPS3_EEvT1_T3_lS5_lPT2_S5_S5_,"axG",@progbits,_ZN9rocsolver6v33100L23getf2_npvt_small_kernelILi51E19rocblas_complex_numIdEiiPS3_EEvT1_T3_lS5_lPT2_S5_S5_,comdat
	.globl	_ZN9rocsolver6v33100L23getf2_npvt_small_kernelILi51E19rocblas_complex_numIdEiiPS3_EEvT1_T3_lS5_lPT2_S5_S5_ ; -- Begin function _ZN9rocsolver6v33100L23getf2_npvt_small_kernelILi51E19rocblas_complex_numIdEiiPS3_EEvT1_T3_lS5_lPT2_S5_S5_
	.p2align	8
	.type	_ZN9rocsolver6v33100L23getf2_npvt_small_kernelILi51E19rocblas_complex_numIdEiiPS3_EEvT1_T3_lS5_lPT2_S5_S5_,@function
_ZN9rocsolver6v33100L23getf2_npvt_small_kernelILi51E19rocblas_complex_numIdEiiPS3_EEvT1_T3_lS5_lPT2_S5_S5_: ; @_ZN9rocsolver6v33100L23getf2_npvt_small_kernelILi51E19rocblas_complex_numIdEiiPS3_EEvT1_T3_lS5_lPT2_S5_S5_
; %bb.0:
	s_load_dword s2, s[0:1], 0x44
	s_load_dwordx2 s[8:9], s[0:1], 0x30
	v_bfe_u32 v2, v0, 10, 10
	s_waitcnt lgkmcnt(0)
	s_lshr_b32 s2, s2, 16
	s_mul_i32 s3, s3, s2
	v_add_u32_e32 v4, s3, v2
	v_cmp_gt_i32_e32 vcc, s8, v4
	s_and_saveexec_b64 s[4:5], vcc
	s_cbranch_execz .LBB101_462
; %bb.1:
	s_load_dwordx4 s[12:15], s[0:1], 0x8
	s_load_dword s10, s[0:1], 0x18
	s_load_dwordx4 s[4:7], s[0:1], 0x20
	v_ashrrev_i32_e32 v5, 31, v4
	scratch_store_dwordx2 off, v[4:5], off offset:1048 ; 8-byte Folded Spill
	v_and_b32_e32 v254, 0x3ff, v0
	s_waitcnt lgkmcnt(0)
	v_mov_b32_e32 v0, s12
	v_mul_lo_u32 v3, s5, v4
	v_mul_lo_u32 v6, s4, v5
	v_mad_u64_u32 v[4:5], s[0:1], s4, v4, 0
	v_mov_b32_e32 v1, s13
	v_add3_u32 v5, v5, v6, v3
	v_lshl_add_u64 v[0:1], v[4:5], 4, v[0:1]
	v_lshl_add_u64 v[0:1], s[14:15], 4, v[0:1]
	v_lshlrev_b32_e32 v4, 4, v254
	v_mov_b32_e32 v5, 0
	s_add_i32 s0, s10, s10
	v_lshl_add_u64 v[6:7], v[0:1], 0, v[4:5]
	v_add_u32_e32 v4, s0, v254
	v_ashrrev_i32_e32 v5, 31, v4
	v_lshl_add_u64 v[8:9], v[4:5], 4, v[0:1]
	v_add_u32_e32 v4, s10, v4
	v_ashrrev_i32_e32 v5, 31, v4
	;; [unrolled: 3-line block ×48, first 2 shown]
	v_lshl_add_u64 v[228:229], v[4:5], 4, v[0:1]
	v_add_u32_e32 v4, s10, v4
	s_mulk_i32 s2, 0x330
	v_ashrrev_i32_e32 v5, 31, v4
	s_movk_i32 s0, 0x330
	s_add_i32 s1, s2, 0
	v_lshl_add_u64 v[230:231], v[4:5], 4, v[0:1]
	v_mad_u32_u24 v253, v2, s0, 0
	v_lshl_add_u32 v252, v2, 4, s1
	global_load_dwordx4 v[2:5], v[6:7], off
	s_ashr_i32 s11, s10, 31
	v_lshl_add_u64 v[0:1], s[10:11], 4, v[6:7]
	scratch_store_dwordx2 off, v[6:7], off offset:16 ; 8-byte Folded Spill
	v_cmp_ne_u32_e64 s[2:3], 0, v254
	v_cmp_eq_u32_e64 s[0:1], 0, v254
	s_waitcnt vmcnt(1)
	scratch_store_dwordx4 off, v[2:5], off  ; 16-byte Folded Spill
	scratch_store_dwordx2 off, v[0:1], off offset:416 ; 8-byte Folded Spill
	global_load_dwordx4 v[192:195], v[0:1], off
	global_load_dwordx4 v[188:191], v[8:9], off
	;; [unrolled: 1-line block ×33, first 2 shown]
	s_nop 0
	scratch_store_dwordx2 off, v[8:9], off offset:24 ; 8-byte Folded Spill
	scratch_store_dwordx2 off, v[10:11], off offset:32 ; 8-byte Folded Spill
	;; [unrolled: 1-line block ×31, first 2 shown]
	global_load_dwordx4 v[68:71], v[68:69], off
	s_nop 0
	global_load_dwordx4 v[64:67], v[196:197], off
	global_load_dwordx4 v[60:63], v[198:199], off
	;; [unrolled: 1-line block ×15, first 2 shown]
	s_nop 0
	scratch_store_dwordx2 off, v[200:201], off offset:288 ; 8-byte Folded Spill
	scratch_store_dwordx2 off, v[202:203], off offset:296 ; 8-byte Folded Spill
	global_load_dwordx4 v[200:203], v[230:231], off
	s_nop 0
	scratch_store_dwordx2 off, v[196:197], off offset:272 ; 8-byte Folded Spill
	scratch_store_dwordx2 off, v[198:199], off offset:280 ; 8-byte Folded Spill
	;; [unrolled: 1-line block ×16, first 2 shown]
	s_and_saveexec_b64 s[10:11], s[0:1]
	s_cbranch_execz .LBB101_8
; %bb.2:
	scratch_load_dwordx4 v[196:199], off, off ; 16-byte Folded Reload
	s_waitcnt vmcnt(0)
	ds_write2_b64 v252, v[196:197], v[198:199] offset1:1
	ds_write2_b64 v253, v[192:193], v[194:195] offset0:2 offset1:3
	ds_write2_b64 v253, v[188:189], v[190:191] offset0:4 offset1:5
	ds_write2_b64 v253, v[184:185], v[186:187] offset0:6 offset1:7
	ds_write2_b64 v253, v[180:181], v[182:183] offset0:8 offset1:9
	ds_write2_b64 v253, v[176:177], v[178:179] offset0:10 offset1:11
	ds_write2_b64 v253, v[172:173], v[174:175] offset0:12 offset1:13
	ds_write2_b64 v253, v[168:169], v[170:171] offset0:14 offset1:15
	ds_write2_b64 v253, v[164:165], v[166:167] offset0:16 offset1:17
	ds_write2_b64 v253, v[160:161], v[162:163] offset0:18 offset1:19
	ds_write2_b64 v253, v[156:157], v[158:159] offset0:20 offset1:21
	ds_write2_b64 v253, v[152:153], v[154:155] offset0:22 offset1:23
	ds_write2_b64 v253, v[148:149], v[150:151] offset0:24 offset1:25
	ds_write2_b64 v253, v[144:145], v[146:147] offset0:26 offset1:27
	ds_write2_b64 v253, v[140:141], v[142:143] offset0:28 offset1:29
	ds_write2_b64 v253, v[136:137], v[138:139] offset0:30 offset1:31
	ds_write2_b64 v253, v[132:133], v[134:135] offset0:32 offset1:33
	ds_write2_b64 v253, v[128:129], v[130:131] offset0:34 offset1:35
	ds_write2_b64 v253, v[124:125], v[126:127] offset0:36 offset1:37
	ds_write2_b64 v253, v[120:121], v[122:123] offset0:38 offset1:39
	ds_write2_b64 v253, v[116:117], v[118:119] offset0:40 offset1:41
	ds_write2_b64 v253, v[112:113], v[114:115] offset0:42 offset1:43
	ds_write2_b64 v253, v[108:109], v[110:111] offset0:44 offset1:45
	ds_write2_b64 v253, v[104:105], v[106:107] offset0:46 offset1:47
	ds_write2_b64 v253, v[100:101], v[102:103] offset0:48 offset1:49
	ds_write2_b64 v253, v[96:97], v[98:99] offset0:50 offset1:51
	ds_write2_b64 v253, v[92:93], v[94:95] offset0:52 offset1:53
	ds_write2_b64 v253, v[88:89], v[90:91] offset0:54 offset1:55
	ds_write2_b64 v253, v[84:85], v[86:87] offset0:56 offset1:57
	ds_write2_b64 v253, v[80:81], v[82:83] offset0:58 offset1:59
	ds_write2_b64 v253, v[76:77], v[78:79] offset0:60 offset1:61
	ds_write2_b64 v253, v[72:73], v[74:75] offset0:62 offset1:63
	ds_write2_b64 v253, v[68:69], v[70:71] offset0:64 offset1:65
	ds_write2_b64 v253, v[64:65], v[66:67] offset0:66 offset1:67
	ds_write2_b64 v253, v[60:61], v[62:63] offset0:68 offset1:69
	ds_write2_b64 v253, v[56:57], v[58:59] offset0:70 offset1:71
	ds_write2_b64 v253, v[52:53], v[54:55] offset0:72 offset1:73
	ds_write2_b64 v253, v[48:49], v[50:51] offset0:74 offset1:75
	ds_write2_b64 v253, v[44:45], v[46:47] offset0:76 offset1:77
	ds_write2_b64 v253, v[40:41], v[42:43] offset0:78 offset1:79
	ds_write2_b64 v253, v[36:37], v[38:39] offset0:80 offset1:81
	ds_write2_b64 v253, v[32:33], v[34:35] offset0:82 offset1:83
	ds_write2_b64 v253, v[28:29], v[30:31] offset0:84 offset1:85
	ds_write2_b64 v253, v[24:25], v[26:27] offset0:86 offset1:87
	ds_write2_b64 v253, v[20:21], v[22:23] offset0:88 offset1:89
	ds_write2_b64 v253, v[16:17], v[18:19] offset0:90 offset1:91
	ds_write2_b64 v253, v[12:13], v[14:15] offset0:92 offset1:93
	ds_write2_b64 v253, v[8:9], v[10:11] offset0:94 offset1:95
	ds_write2_b64 v253, v[4:5], v[6:7] offset0:96 offset1:97
	ds_write2_b64 v253, v[0:1], v[2:3] offset0:98 offset1:99
	ds_write2_b64 v253, v[200:201], v[202:203] offset0:100 offset1:101
	ds_read2_b64 v[204:207], v252 offset1:1
	s_waitcnt lgkmcnt(0)
	v_cmp_neq_f64_e32 vcc, 0, v[204:205]
	v_cmp_neq_f64_e64 s[4:5], 0, v[206:207]
	s_or_b64 s[4:5], vcc, s[4:5]
	s_and_b64 exec, exec, s[4:5]
	s_cbranch_execz .LBB101_8
; %bb.3:
	v_cmp_ngt_f64_e64 s[4:5], |v[204:205]|, |v[206:207]|
                                        ; implicit-def: $vgpr208_vgpr209
	s_and_saveexec_b64 s[12:13], s[4:5]
	s_xor_b64 s[4:5], exec, s[12:13]
                                        ; implicit-def: $vgpr210_vgpr211
	s_cbranch_execz .LBB101_5
; %bb.4:
	v_div_scale_f64 v[208:209], s[12:13], v[206:207], v[206:207], v[204:205]
	v_rcp_f64_e32 v[210:211], v[208:209]
	v_div_scale_f64 v[212:213], vcc, v[204:205], v[206:207], v[204:205]
	v_fma_f64 v[214:215], -v[208:209], v[210:211], 1.0
	v_fmac_f64_e32 v[210:211], v[210:211], v[214:215]
	v_fma_f64 v[214:215], -v[208:209], v[210:211], 1.0
	v_fmac_f64_e32 v[210:211], v[210:211], v[214:215]
	v_mul_f64 v[214:215], v[212:213], v[210:211]
	v_fma_f64 v[208:209], -v[208:209], v[214:215], v[212:213]
	v_div_fmas_f64 v[208:209], v[208:209], v[210:211], v[214:215]
	v_div_fixup_f64 v[208:209], v[208:209], v[206:207], v[204:205]
	v_fmac_f64_e32 v[206:207], v[204:205], v[208:209]
	v_div_scale_f64 v[204:205], s[12:13], v[206:207], v[206:207], 1.0
	v_rcp_f64_e32 v[210:211], v[204:205]
	s_nop 0
	v_fma_f64 v[212:213], -v[204:205], v[210:211], 1.0
	v_fmac_f64_e32 v[210:211], v[210:211], v[212:213]
	v_fma_f64 v[212:213], -v[204:205], v[210:211], 1.0
	v_fmac_f64_e32 v[210:211], v[210:211], v[212:213]
	v_div_scale_f64 v[212:213], vcc, 1.0, v[206:207], 1.0
	v_mul_f64 v[214:215], v[212:213], v[210:211]
	v_fma_f64 v[204:205], -v[204:205], v[214:215], v[212:213]
	s_nop 1
	v_div_fmas_f64 v[204:205], v[204:205], v[210:211], v[214:215]
	v_div_fixup_f64 v[210:211], v[204:205], v[206:207], 1.0
	v_mul_f64 v[208:209], v[208:209], v[210:211]
	v_xor_b32_e32 v211, 0x80000000, v211
                                        ; implicit-def: $vgpr204_vgpr205
.LBB101_5:
	s_andn2_saveexec_b64 s[4:5], s[4:5]
	s_cbranch_execz .LBB101_7
; %bb.6:
	v_div_scale_f64 v[208:209], s[12:13], v[204:205], v[204:205], v[206:207]
	v_rcp_f64_e32 v[210:211], v[208:209]
	v_div_scale_f64 v[212:213], vcc, v[206:207], v[204:205], v[206:207]
	v_fma_f64 v[214:215], -v[208:209], v[210:211], 1.0
	v_fmac_f64_e32 v[210:211], v[210:211], v[214:215]
	v_fma_f64 v[214:215], -v[208:209], v[210:211], 1.0
	v_fmac_f64_e32 v[210:211], v[210:211], v[214:215]
	v_mul_f64 v[214:215], v[212:213], v[210:211]
	v_fma_f64 v[208:209], -v[208:209], v[214:215], v[212:213]
	v_div_fmas_f64 v[208:209], v[208:209], v[210:211], v[214:215]
	v_div_fixup_f64 v[210:211], v[208:209], v[204:205], v[206:207]
	v_fmac_f64_e32 v[204:205], v[206:207], v[210:211]
	v_div_scale_f64 v[206:207], s[12:13], v[204:205], v[204:205], 1.0
	v_rcp_f64_e32 v[208:209], v[206:207]
	s_nop 0
	v_fma_f64 v[212:213], -v[206:207], v[208:209], 1.0
	v_fmac_f64_e32 v[208:209], v[208:209], v[212:213]
	v_fma_f64 v[212:213], -v[206:207], v[208:209], 1.0
	v_fmac_f64_e32 v[208:209], v[208:209], v[212:213]
	v_div_scale_f64 v[212:213], vcc, 1.0, v[204:205], 1.0
	v_mul_f64 v[214:215], v[212:213], v[208:209]
	v_fma_f64 v[206:207], -v[206:207], v[214:215], v[212:213]
	s_nop 1
	v_div_fmas_f64 v[206:207], v[206:207], v[208:209], v[214:215]
	v_div_fixup_f64 v[208:209], v[206:207], v[204:205], 1.0
	v_mul_f64 v[210:211], v[210:211], -v[208:209]
.LBB101_7:
	s_or_b64 exec, exec, s[4:5]
	ds_write2_b64 v252, v[208:209], v[210:211] offset1:1
.LBB101_8:
	s_or_b64 exec, exec, s[10:11]
	s_waitcnt lgkmcnt(0)
	s_barrier
	ds_read2_b64 v[196:199], v252 offset1:1
	s_waitcnt lgkmcnt(0)
	scratch_store_dwordx4 off, v[196:199], off offset:424 ; 16-byte Folded Spill
	s_and_saveexec_b64 s[4:5], s[2:3]
	s_cbranch_execz .LBB101_10
; %bb.9:
	scratch_load_dwordx4 v[196:199], off, off ; 16-byte Folded Reload
	scratch_load_dwordx4 v[206:209], off, off offset:424 ; 16-byte Folded Reload
	s_waitcnt vmcnt(0)
	v_mul_f64 v[204:205], v[208:209], v[198:199]
	v_mul_f64 v[198:199], v[206:207], v[198:199]
	v_fma_f64 v[204:205], v[206:207], v[196:197], -v[204:205]
	v_fmac_f64_e32 v[198:199], v[208:209], v[196:197]
	ds_read2_b64 v[206:209], v253 offset0:2 offset1:3
	s_waitcnt lgkmcnt(0)
	v_mul_f64 v[196:197], v[208:209], v[198:199]
	v_fma_f64 v[196:197], v[206:207], v[204:205], -v[196:197]
	v_mul_f64 v[206:207], v[206:207], v[198:199]
	v_fmac_f64_e32 v[206:207], v[208:209], v[204:205]
	v_add_f64 v[194:195], v[194:195], -v[206:207]
	ds_read2_b64 v[206:209], v253 offset0:4 offset1:5
	v_add_f64 v[192:193], v[192:193], -v[196:197]
	s_waitcnt lgkmcnt(0)
	v_mul_f64 v[196:197], v[208:209], v[198:199]
	v_fma_f64 v[196:197], v[206:207], v[204:205], -v[196:197]
	v_mul_f64 v[206:207], v[206:207], v[198:199]
	v_fmac_f64_e32 v[206:207], v[208:209], v[204:205]
	v_add_f64 v[190:191], v[190:191], -v[206:207]
	ds_read2_b64 v[206:209], v253 offset0:6 offset1:7
	v_add_f64 v[188:189], v[188:189], -v[196:197]
	;; [unrolled: 8-line block ×49, first 2 shown]
	s_waitcnt lgkmcnt(0)
	v_mul_f64 v[196:197], v[208:209], v[198:199]
	v_fma_f64 v[196:197], v[206:207], v[204:205], -v[196:197]
	v_mul_f64 v[206:207], v[206:207], v[198:199]
	v_fmac_f64_e32 v[206:207], v[208:209], v[204:205]
	v_add_f64 v[200:201], v[200:201], -v[196:197]
	v_add_f64 v[202:203], v[202:203], -v[206:207]
	v_mov_b64_e32 v[196:197], v[204:205]
	scratch_store_dwordx4 off, v[196:199], off ; 16-byte Folded Spill
.LBB101_10:
	s_or_b64 exec, exec, s[4:5]
	v_cmp_eq_u32_e32 vcc, 1, v254
	s_waitcnt vmcnt(63) expcnt(7) lgkmcnt(15)
	s_barrier
	s_and_saveexec_b64 s[4:5], vcc
	s_cbranch_execz .LBB101_17
; %bb.11:
	ds_write2_b64 v252, v[192:193], v[194:195] offset1:1
	ds_write2_b64 v253, v[188:189], v[190:191] offset0:4 offset1:5
	ds_write2_b64 v253, v[184:185], v[186:187] offset0:6 offset1:7
	;; [unrolled: 1-line block ×30, first 2 shown]
	s_waitcnt vmcnt(35)
	ds_write2_b64 v253, v[68:69], v[70:71] offset0:64 offset1:65
	s_waitcnt vmcnt(34)
	ds_write2_b64 v253, v[64:65], v[66:67] offset0:66 offset1:67
	;; [unrolled: 2-line block ×16, first 2 shown]
	ds_write2_b64 v253, v[4:5], v[6:7] offset0:96 offset1:97
	ds_write2_b64 v253, v[0:1], v[2:3] offset0:98 offset1:99
	s_waitcnt vmcnt(17)
	ds_write2_b64 v253, v[200:201], v[202:203] offset0:100 offset1:101
	ds_read2_b64 v[204:207], v252 offset1:1
	s_waitcnt lgkmcnt(0)
	v_cmp_neq_f64_e32 vcc, 0, v[204:205]
	v_cmp_neq_f64_e64 s[2:3], 0, v[206:207]
	s_or_b64 s[2:3], vcc, s[2:3]
	s_and_b64 exec, exec, s[2:3]
	s_cbranch_execz .LBB101_17
; %bb.12:
	v_cmp_ngt_f64_e64 s[2:3], |v[204:205]|, |v[206:207]|
                                        ; implicit-def: $vgpr208_vgpr209
	s_and_saveexec_b64 s[10:11], s[2:3]
	s_xor_b64 s[2:3], exec, s[10:11]
                                        ; implicit-def: $vgpr210_vgpr211
	s_cbranch_execz .LBB101_14
; %bb.13:
	v_div_scale_f64 v[208:209], s[10:11], v[206:207], v[206:207], v[204:205]
	v_rcp_f64_e32 v[210:211], v[208:209]
	v_div_scale_f64 v[212:213], vcc, v[204:205], v[206:207], v[204:205]
	v_fma_f64 v[214:215], -v[208:209], v[210:211], 1.0
	v_fmac_f64_e32 v[210:211], v[210:211], v[214:215]
	v_fma_f64 v[214:215], -v[208:209], v[210:211], 1.0
	v_fmac_f64_e32 v[210:211], v[210:211], v[214:215]
	v_mul_f64 v[214:215], v[212:213], v[210:211]
	v_fma_f64 v[208:209], -v[208:209], v[214:215], v[212:213]
	v_div_fmas_f64 v[208:209], v[208:209], v[210:211], v[214:215]
	v_div_fixup_f64 v[208:209], v[208:209], v[206:207], v[204:205]
	v_fmac_f64_e32 v[206:207], v[204:205], v[208:209]
	v_div_scale_f64 v[204:205], s[10:11], v[206:207], v[206:207], 1.0
	v_rcp_f64_e32 v[210:211], v[204:205]
	s_nop 0
	v_fma_f64 v[212:213], -v[204:205], v[210:211], 1.0
	v_fmac_f64_e32 v[210:211], v[210:211], v[212:213]
	v_fma_f64 v[212:213], -v[204:205], v[210:211], 1.0
	v_fmac_f64_e32 v[210:211], v[210:211], v[212:213]
	v_div_scale_f64 v[212:213], vcc, 1.0, v[206:207], 1.0
	v_mul_f64 v[214:215], v[212:213], v[210:211]
	v_fma_f64 v[204:205], -v[204:205], v[214:215], v[212:213]
	s_nop 1
	v_div_fmas_f64 v[204:205], v[204:205], v[210:211], v[214:215]
	v_div_fixup_f64 v[210:211], v[204:205], v[206:207], 1.0
	v_mul_f64 v[208:209], v[208:209], v[210:211]
	v_xor_b32_e32 v211, 0x80000000, v211
                                        ; implicit-def: $vgpr204_vgpr205
.LBB101_14:
	s_andn2_saveexec_b64 s[2:3], s[2:3]
	s_cbranch_execz .LBB101_16
; %bb.15:
	v_div_scale_f64 v[208:209], s[10:11], v[204:205], v[204:205], v[206:207]
	v_rcp_f64_e32 v[210:211], v[208:209]
	v_div_scale_f64 v[212:213], vcc, v[206:207], v[204:205], v[206:207]
	v_fma_f64 v[214:215], -v[208:209], v[210:211], 1.0
	v_fmac_f64_e32 v[210:211], v[210:211], v[214:215]
	v_fma_f64 v[214:215], -v[208:209], v[210:211], 1.0
	v_fmac_f64_e32 v[210:211], v[210:211], v[214:215]
	v_mul_f64 v[214:215], v[212:213], v[210:211]
	v_fma_f64 v[208:209], -v[208:209], v[214:215], v[212:213]
	v_div_fmas_f64 v[208:209], v[208:209], v[210:211], v[214:215]
	v_div_fixup_f64 v[210:211], v[208:209], v[204:205], v[206:207]
	v_fmac_f64_e32 v[204:205], v[206:207], v[210:211]
	v_div_scale_f64 v[206:207], s[10:11], v[204:205], v[204:205], 1.0
	v_rcp_f64_e32 v[208:209], v[206:207]
	s_nop 0
	v_fma_f64 v[212:213], -v[206:207], v[208:209], 1.0
	v_fmac_f64_e32 v[208:209], v[208:209], v[212:213]
	v_fma_f64 v[212:213], -v[206:207], v[208:209], 1.0
	v_fmac_f64_e32 v[208:209], v[208:209], v[212:213]
	v_div_scale_f64 v[212:213], vcc, 1.0, v[204:205], 1.0
	v_mul_f64 v[214:215], v[212:213], v[208:209]
	v_fma_f64 v[206:207], -v[206:207], v[214:215], v[212:213]
	s_nop 1
	v_div_fmas_f64 v[206:207], v[206:207], v[208:209], v[214:215]
	v_div_fixup_f64 v[208:209], v[206:207], v[204:205], 1.0
	v_mul_f64 v[210:211], v[210:211], -v[208:209]
.LBB101_16:
	s_or_b64 exec, exec, s[2:3]
	ds_write2_b64 v252, v[208:209], v[210:211] offset1:1
.LBB101_17:
	s_or_b64 exec, exec, s[4:5]
	s_waitcnt lgkmcnt(0)
	s_barrier
	ds_read2_b64 v[196:199], v252 offset1:1
	v_cmp_lt_u32_e32 vcc, 1, v254
	s_and_saveexec_b64 s[2:3], vcc
	s_cbranch_execz .LBB101_19
; %bb.18:
	ds_read2_b64 v[206:209], v253 offset0:4 offset1:5
	s_waitcnt lgkmcnt(1)
	v_mul_f64 v[204:205], v[198:199], v[194:195]
	v_mul_f64 v[194:195], v[196:197], v[194:195]
	v_fmac_f64_e32 v[194:195], v[198:199], v[192:193]
	v_fma_f64 v[204:205], v[196:197], v[192:193], -v[204:205]
	s_waitcnt lgkmcnt(0)
	v_mul_f64 v[192:193], v[208:209], v[194:195]
	v_fma_f64 v[192:193], v[206:207], v[204:205], -v[192:193]
	v_mul_f64 v[206:207], v[206:207], v[194:195]
	v_fmac_f64_e32 v[206:207], v[208:209], v[204:205]
	v_add_f64 v[190:191], v[190:191], -v[206:207]
	ds_read2_b64 v[206:209], v253 offset0:6 offset1:7
	v_add_f64 v[188:189], v[188:189], -v[192:193]
	s_waitcnt lgkmcnt(0)
	v_mul_f64 v[192:193], v[208:209], v[194:195]
	v_fma_f64 v[192:193], v[206:207], v[204:205], -v[192:193]
	v_mul_f64 v[206:207], v[206:207], v[194:195]
	v_fmac_f64_e32 v[206:207], v[208:209], v[204:205]
	v_add_f64 v[186:187], v[186:187], -v[206:207]
	ds_read2_b64 v[206:209], v253 offset0:8 offset1:9
	v_add_f64 v[184:185], v[184:185], -v[192:193]
	;; [unrolled: 8-line block ×30, first 2 shown]
	s_waitcnt lgkmcnt(0)
	v_mul_f64 v[192:193], v[208:209], v[194:195]
	v_fma_f64 v[192:193], v[206:207], v[204:205], -v[192:193]
	v_mul_f64 v[206:207], v[206:207], v[194:195]
	v_fmac_f64_e32 v[206:207], v[208:209], v[204:205]
	s_waitcnt vmcnt(35)
	v_add_f64 v[70:71], v[70:71], -v[206:207]
	ds_read2_b64 v[206:209], v253 offset0:66 offset1:67
	v_add_f64 v[68:69], v[68:69], -v[192:193]
	s_waitcnt lgkmcnt(0)
	v_mul_f64 v[192:193], v[208:209], v[194:195]
	v_fma_f64 v[192:193], v[206:207], v[204:205], -v[192:193]
	v_mul_f64 v[206:207], v[206:207], v[194:195]
	v_fmac_f64_e32 v[206:207], v[208:209], v[204:205]
	s_waitcnt vmcnt(34)
	v_add_f64 v[66:67], v[66:67], -v[206:207]
	ds_read2_b64 v[206:209], v253 offset0:68 offset1:69
	v_add_f64 v[64:65], v[64:65], -v[192:193]
	s_waitcnt lgkmcnt(0)
	v_mul_f64 v[192:193], v[208:209], v[194:195]
	v_fma_f64 v[192:193], v[206:207], v[204:205], -v[192:193]
	v_mul_f64 v[206:207], v[206:207], v[194:195]
	v_fmac_f64_e32 v[206:207], v[208:209], v[204:205]
	s_waitcnt vmcnt(33)
	v_add_f64 v[62:63], v[62:63], -v[206:207]
	ds_read2_b64 v[206:209], v253 offset0:70 offset1:71
	v_add_f64 v[60:61], v[60:61], -v[192:193]
	s_waitcnt lgkmcnt(0)
	v_mul_f64 v[192:193], v[208:209], v[194:195]
	v_fma_f64 v[192:193], v[206:207], v[204:205], -v[192:193]
	v_mul_f64 v[206:207], v[206:207], v[194:195]
	v_fmac_f64_e32 v[206:207], v[208:209], v[204:205]
	s_waitcnt vmcnt(32)
	v_add_f64 v[58:59], v[58:59], -v[206:207]
	ds_read2_b64 v[206:209], v253 offset0:72 offset1:73
	v_add_f64 v[56:57], v[56:57], -v[192:193]
	s_waitcnt lgkmcnt(0)
	v_mul_f64 v[192:193], v[208:209], v[194:195]
	v_fma_f64 v[192:193], v[206:207], v[204:205], -v[192:193]
	v_mul_f64 v[206:207], v[206:207], v[194:195]
	v_fmac_f64_e32 v[206:207], v[208:209], v[204:205]
	s_waitcnt vmcnt(31)
	v_add_f64 v[54:55], v[54:55], -v[206:207]
	ds_read2_b64 v[206:209], v253 offset0:74 offset1:75
	v_add_f64 v[52:53], v[52:53], -v[192:193]
	s_waitcnt lgkmcnt(0)
	v_mul_f64 v[192:193], v[208:209], v[194:195]
	v_fma_f64 v[192:193], v[206:207], v[204:205], -v[192:193]
	v_mul_f64 v[206:207], v[206:207], v[194:195]
	v_fmac_f64_e32 v[206:207], v[208:209], v[204:205]
	s_waitcnt vmcnt(30)
	v_add_f64 v[50:51], v[50:51], -v[206:207]
	ds_read2_b64 v[206:209], v253 offset0:76 offset1:77
	v_add_f64 v[48:49], v[48:49], -v[192:193]
	s_waitcnt lgkmcnt(0)
	v_mul_f64 v[192:193], v[208:209], v[194:195]
	v_fma_f64 v[192:193], v[206:207], v[204:205], -v[192:193]
	v_mul_f64 v[206:207], v[206:207], v[194:195]
	v_fmac_f64_e32 v[206:207], v[208:209], v[204:205]
	s_waitcnt vmcnt(29)
	v_add_f64 v[46:47], v[46:47], -v[206:207]
	ds_read2_b64 v[206:209], v253 offset0:78 offset1:79
	v_add_f64 v[44:45], v[44:45], -v[192:193]
	s_waitcnt lgkmcnt(0)
	v_mul_f64 v[192:193], v[208:209], v[194:195]
	v_fma_f64 v[192:193], v[206:207], v[204:205], -v[192:193]
	v_mul_f64 v[206:207], v[206:207], v[194:195]
	v_fmac_f64_e32 v[206:207], v[208:209], v[204:205]
	s_waitcnt vmcnt(28)
	v_add_f64 v[42:43], v[42:43], -v[206:207]
	ds_read2_b64 v[206:209], v253 offset0:80 offset1:81
	v_add_f64 v[40:41], v[40:41], -v[192:193]
	s_waitcnt lgkmcnt(0)
	v_mul_f64 v[192:193], v[208:209], v[194:195]
	v_fma_f64 v[192:193], v[206:207], v[204:205], -v[192:193]
	v_mul_f64 v[206:207], v[206:207], v[194:195]
	v_fmac_f64_e32 v[206:207], v[208:209], v[204:205]
	s_waitcnt vmcnt(27)
	v_add_f64 v[38:39], v[38:39], -v[206:207]
	ds_read2_b64 v[206:209], v253 offset0:82 offset1:83
	v_add_f64 v[36:37], v[36:37], -v[192:193]
	s_waitcnt lgkmcnt(0)
	v_mul_f64 v[192:193], v[208:209], v[194:195]
	v_fma_f64 v[192:193], v[206:207], v[204:205], -v[192:193]
	v_mul_f64 v[206:207], v[206:207], v[194:195]
	v_fmac_f64_e32 v[206:207], v[208:209], v[204:205]
	s_waitcnt vmcnt(26)
	v_add_f64 v[34:35], v[34:35], -v[206:207]
	ds_read2_b64 v[206:209], v253 offset0:84 offset1:85
	v_add_f64 v[32:33], v[32:33], -v[192:193]
	s_waitcnt lgkmcnt(0)
	v_mul_f64 v[192:193], v[208:209], v[194:195]
	v_fma_f64 v[192:193], v[206:207], v[204:205], -v[192:193]
	v_mul_f64 v[206:207], v[206:207], v[194:195]
	v_fmac_f64_e32 v[206:207], v[208:209], v[204:205]
	s_waitcnt vmcnt(25)
	v_add_f64 v[30:31], v[30:31], -v[206:207]
	ds_read2_b64 v[206:209], v253 offset0:86 offset1:87
	v_add_f64 v[28:29], v[28:29], -v[192:193]
	s_waitcnt lgkmcnt(0)
	v_mul_f64 v[192:193], v[208:209], v[194:195]
	v_fma_f64 v[192:193], v[206:207], v[204:205], -v[192:193]
	v_mul_f64 v[206:207], v[206:207], v[194:195]
	v_fmac_f64_e32 v[206:207], v[208:209], v[204:205]
	s_waitcnt vmcnt(24)
	v_add_f64 v[26:27], v[26:27], -v[206:207]
	ds_read2_b64 v[206:209], v253 offset0:88 offset1:89
	v_add_f64 v[24:25], v[24:25], -v[192:193]
	s_waitcnt lgkmcnt(0)
	v_mul_f64 v[192:193], v[208:209], v[194:195]
	v_fma_f64 v[192:193], v[206:207], v[204:205], -v[192:193]
	v_mul_f64 v[206:207], v[206:207], v[194:195]
	v_fmac_f64_e32 v[206:207], v[208:209], v[204:205]
	s_waitcnt vmcnt(23)
	v_add_f64 v[22:23], v[22:23], -v[206:207]
	ds_read2_b64 v[206:209], v253 offset0:90 offset1:91
	v_add_f64 v[20:21], v[20:21], -v[192:193]
	s_waitcnt lgkmcnt(0)
	v_mul_f64 v[192:193], v[208:209], v[194:195]
	v_fma_f64 v[192:193], v[206:207], v[204:205], -v[192:193]
	v_mul_f64 v[206:207], v[206:207], v[194:195]
	v_fmac_f64_e32 v[206:207], v[208:209], v[204:205]
	s_waitcnt vmcnt(22)
	v_add_f64 v[18:19], v[18:19], -v[206:207]
	ds_read2_b64 v[206:209], v253 offset0:92 offset1:93
	v_add_f64 v[16:17], v[16:17], -v[192:193]
	s_waitcnt lgkmcnt(0)
	v_mul_f64 v[192:193], v[208:209], v[194:195]
	v_fma_f64 v[192:193], v[206:207], v[204:205], -v[192:193]
	v_mul_f64 v[206:207], v[206:207], v[194:195]
	v_fmac_f64_e32 v[206:207], v[208:209], v[204:205]
	s_waitcnt vmcnt(21)
	v_add_f64 v[14:15], v[14:15], -v[206:207]
	ds_read2_b64 v[206:209], v253 offset0:94 offset1:95
	v_add_f64 v[12:13], v[12:13], -v[192:193]
	s_waitcnt lgkmcnt(0)
	v_mul_f64 v[192:193], v[208:209], v[194:195]
	v_fma_f64 v[192:193], v[206:207], v[204:205], -v[192:193]
	v_mul_f64 v[206:207], v[206:207], v[194:195]
	v_fmac_f64_e32 v[206:207], v[208:209], v[204:205]
	s_waitcnt vmcnt(20)
	v_add_f64 v[10:11], v[10:11], -v[206:207]
	ds_read2_b64 v[206:209], v253 offset0:96 offset1:97
	v_add_f64 v[8:9], v[8:9], -v[192:193]
	s_waitcnt lgkmcnt(0)
	v_mul_f64 v[192:193], v[208:209], v[194:195]
	v_fma_f64 v[192:193], v[206:207], v[204:205], -v[192:193]
	v_mul_f64 v[206:207], v[206:207], v[194:195]
	v_fmac_f64_e32 v[206:207], v[208:209], v[204:205]
	v_add_f64 v[6:7], v[6:7], -v[206:207]
	ds_read2_b64 v[206:209], v253 offset0:98 offset1:99
	v_add_f64 v[4:5], v[4:5], -v[192:193]
	s_waitcnt lgkmcnt(0)
	v_mul_f64 v[192:193], v[208:209], v[194:195]
	v_fma_f64 v[192:193], v[206:207], v[204:205], -v[192:193]
	v_mul_f64 v[206:207], v[206:207], v[194:195]
	v_fmac_f64_e32 v[206:207], v[208:209], v[204:205]
	v_add_f64 v[2:3], v[2:3], -v[206:207]
	ds_read2_b64 v[206:209], v253 offset0:100 offset1:101
	v_add_f64 v[0:1], v[0:1], -v[192:193]
	s_waitcnt lgkmcnt(0)
	v_mul_f64 v[192:193], v[208:209], v[194:195]
	v_fma_f64 v[192:193], v[206:207], v[204:205], -v[192:193]
	v_mul_f64 v[206:207], v[206:207], v[194:195]
	v_fmac_f64_e32 v[206:207], v[208:209], v[204:205]
	s_waitcnt vmcnt(17)
	v_add_f64 v[200:201], v[200:201], -v[192:193]
	v_add_f64 v[202:203], v[202:203], -v[206:207]
	v_mov_b64_e32 v[192:193], v[204:205]
.LBB101_19:
	s_or_b64 exec, exec, s[2:3]
	v_cmp_eq_u32_e32 vcc, 2, v254
	s_waitcnt lgkmcnt(0)
	s_barrier
	s_and_saveexec_b64 s[4:5], vcc
	s_cbranch_execz .LBB101_26
; %bb.20:
	ds_write2_b64 v252, v[188:189], v[190:191] offset1:1
	ds_write2_b64 v253, v[184:185], v[186:187] offset0:6 offset1:7
	ds_write2_b64 v253, v[180:181], v[182:183] offset0:8 offset1:9
	;; [unrolled: 1-line block ×29, first 2 shown]
	s_waitcnt vmcnt(35)
	ds_write2_b64 v253, v[68:69], v[70:71] offset0:64 offset1:65
	s_waitcnt vmcnt(34)
	ds_write2_b64 v253, v[64:65], v[66:67] offset0:66 offset1:67
	;; [unrolled: 2-line block ×16, first 2 shown]
	ds_write2_b64 v253, v[4:5], v[6:7] offset0:96 offset1:97
	ds_write2_b64 v253, v[0:1], v[2:3] offset0:98 offset1:99
	s_waitcnt vmcnt(17)
	ds_write2_b64 v253, v[200:201], v[202:203] offset0:100 offset1:101
	ds_read2_b64 v[204:207], v252 offset1:1
	s_waitcnt lgkmcnt(0)
	v_cmp_neq_f64_e32 vcc, 0, v[204:205]
	v_cmp_neq_f64_e64 s[2:3], 0, v[206:207]
	s_or_b64 s[2:3], vcc, s[2:3]
	s_and_b64 exec, exec, s[2:3]
	s_cbranch_execz .LBB101_26
; %bb.21:
	v_cmp_ngt_f64_e64 s[2:3], |v[204:205]|, |v[206:207]|
                                        ; implicit-def: $vgpr208_vgpr209
	s_and_saveexec_b64 s[10:11], s[2:3]
	s_xor_b64 s[2:3], exec, s[10:11]
                                        ; implicit-def: $vgpr210_vgpr211
	s_cbranch_execz .LBB101_23
; %bb.22:
	v_div_scale_f64 v[208:209], s[10:11], v[206:207], v[206:207], v[204:205]
	v_rcp_f64_e32 v[210:211], v[208:209]
	v_div_scale_f64 v[212:213], vcc, v[204:205], v[206:207], v[204:205]
	v_fma_f64 v[214:215], -v[208:209], v[210:211], 1.0
	v_fmac_f64_e32 v[210:211], v[210:211], v[214:215]
	v_fma_f64 v[214:215], -v[208:209], v[210:211], 1.0
	v_fmac_f64_e32 v[210:211], v[210:211], v[214:215]
	v_mul_f64 v[214:215], v[212:213], v[210:211]
	v_fma_f64 v[208:209], -v[208:209], v[214:215], v[212:213]
	v_div_fmas_f64 v[208:209], v[208:209], v[210:211], v[214:215]
	v_div_fixup_f64 v[208:209], v[208:209], v[206:207], v[204:205]
	v_fmac_f64_e32 v[206:207], v[204:205], v[208:209]
	v_div_scale_f64 v[204:205], s[10:11], v[206:207], v[206:207], 1.0
	v_rcp_f64_e32 v[210:211], v[204:205]
	s_nop 0
	v_fma_f64 v[212:213], -v[204:205], v[210:211], 1.0
	v_fmac_f64_e32 v[210:211], v[210:211], v[212:213]
	v_fma_f64 v[212:213], -v[204:205], v[210:211], 1.0
	v_fmac_f64_e32 v[210:211], v[210:211], v[212:213]
	v_div_scale_f64 v[212:213], vcc, 1.0, v[206:207], 1.0
	v_mul_f64 v[214:215], v[212:213], v[210:211]
	v_fma_f64 v[204:205], -v[204:205], v[214:215], v[212:213]
	s_nop 1
	v_div_fmas_f64 v[204:205], v[204:205], v[210:211], v[214:215]
	v_div_fixup_f64 v[210:211], v[204:205], v[206:207], 1.0
	v_mul_f64 v[208:209], v[208:209], v[210:211]
	v_xor_b32_e32 v211, 0x80000000, v211
                                        ; implicit-def: $vgpr204_vgpr205
.LBB101_23:
	s_andn2_saveexec_b64 s[2:3], s[2:3]
	s_cbranch_execz .LBB101_25
; %bb.24:
	v_div_scale_f64 v[208:209], s[10:11], v[204:205], v[204:205], v[206:207]
	v_rcp_f64_e32 v[210:211], v[208:209]
	v_div_scale_f64 v[212:213], vcc, v[206:207], v[204:205], v[206:207]
	v_fma_f64 v[214:215], -v[208:209], v[210:211], 1.0
	v_fmac_f64_e32 v[210:211], v[210:211], v[214:215]
	v_fma_f64 v[214:215], -v[208:209], v[210:211], 1.0
	v_fmac_f64_e32 v[210:211], v[210:211], v[214:215]
	v_mul_f64 v[214:215], v[212:213], v[210:211]
	v_fma_f64 v[208:209], -v[208:209], v[214:215], v[212:213]
	v_div_fmas_f64 v[208:209], v[208:209], v[210:211], v[214:215]
	v_div_fixup_f64 v[210:211], v[208:209], v[204:205], v[206:207]
	v_fmac_f64_e32 v[204:205], v[206:207], v[210:211]
	v_div_scale_f64 v[206:207], s[10:11], v[204:205], v[204:205], 1.0
	v_rcp_f64_e32 v[208:209], v[206:207]
	s_nop 0
	v_fma_f64 v[212:213], -v[206:207], v[208:209], 1.0
	v_fmac_f64_e32 v[208:209], v[208:209], v[212:213]
	v_fma_f64 v[212:213], -v[206:207], v[208:209], 1.0
	v_fmac_f64_e32 v[208:209], v[208:209], v[212:213]
	v_div_scale_f64 v[212:213], vcc, 1.0, v[204:205], 1.0
	v_mul_f64 v[214:215], v[212:213], v[208:209]
	v_fma_f64 v[206:207], -v[206:207], v[214:215], v[212:213]
	s_nop 1
	v_div_fmas_f64 v[206:207], v[206:207], v[208:209], v[214:215]
	v_div_fixup_f64 v[208:209], v[206:207], v[204:205], 1.0
	v_mul_f64 v[210:211], v[210:211], -v[208:209]
.LBB101_25:
	s_or_b64 exec, exec, s[2:3]
	ds_write2_b64 v252, v[208:209], v[210:211] offset1:1
.LBB101_26:
	s_or_b64 exec, exec, s[4:5]
	s_waitcnt lgkmcnt(0)
	s_barrier
	ds_read2_b64 v[204:207], v252 offset1:1
	v_cmp_lt_u32_e32 vcc, 2, v254
	s_waitcnt lgkmcnt(0)
	scratch_store_dwordx4 off, v[204:207], off offset:440 ; 16-byte Folded Spill
	s_and_saveexec_b64 s[2:3], vcc
	s_cbranch_execz .LBB101_28
; %bb.27:
	scratch_load_dwordx4 v[206:209], off, off offset:440 ; 16-byte Folded Reload
	s_waitcnt vmcnt(0)
	v_mul_f64 v[204:205], v[208:209], v[190:191]
	v_mul_f64 v[190:191], v[206:207], v[190:191]
	v_fma_f64 v[204:205], v[206:207], v[188:189], -v[204:205]
	v_fmac_f64_e32 v[190:191], v[208:209], v[188:189]
	ds_read2_b64 v[206:209], v253 offset0:6 offset1:7
	s_waitcnt lgkmcnt(0)
	v_mul_f64 v[188:189], v[208:209], v[190:191]
	v_fma_f64 v[188:189], v[206:207], v[204:205], -v[188:189]
	v_mul_f64 v[206:207], v[206:207], v[190:191]
	v_fmac_f64_e32 v[206:207], v[208:209], v[204:205]
	v_add_f64 v[186:187], v[186:187], -v[206:207]
	ds_read2_b64 v[206:209], v253 offset0:8 offset1:9
	v_add_f64 v[184:185], v[184:185], -v[188:189]
	s_waitcnt lgkmcnt(0)
	v_mul_f64 v[188:189], v[208:209], v[190:191]
	v_fma_f64 v[188:189], v[206:207], v[204:205], -v[188:189]
	v_mul_f64 v[206:207], v[206:207], v[190:191]
	v_fmac_f64_e32 v[206:207], v[208:209], v[204:205]
	v_add_f64 v[182:183], v[182:183], -v[206:207]
	ds_read2_b64 v[206:209], v253 offset0:10 offset1:11
	v_add_f64 v[180:181], v[180:181], -v[188:189]
	;; [unrolled: 8-line block ×47, first 2 shown]
	s_waitcnt lgkmcnt(0)
	v_mul_f64 v[188:189], v[208:209], v[190:191]
	v_fma_f64 v[188:189], v[206:207], v[204:205], -v[188:189]
	v_mul_f64 v[206:207], v[206:207], v[190:191]
	v_fmac_f64_e32 v[206:207], v[208:209], v[204:205]
	v_add_f64 v[200:201], v[200:201], -v[188:189]
	v_add_f64 v[202:203], v[202:203], -v[206:207]
	v_mov_b64_e32 v[188:189], v[204:205]
.LBB101_28:
	s_or_b64 exec, exec, s[2:3]
	v_cmp_eq_u32_e32 vcc, 3, v254
	s_waitcnt vmcnt(63) expcnt(7) lgkmcnt(15)
	s_barrier
	s_and_saveexec_b64 s[4:5], vcc
	s_cbranch_execz .LBB101_35
; %bb.29:
	ds_write2_b64 v252, v[184:185], v[186:187] offset1:1
	ds_write2_b64 v253, v[180:181], v[182:183] offset0:8 offset1:9
	ds_write2_b64 v253, v[176:177], v[178:179] offset0:10 offset1:11
	;; [unrolled: 1-line block ×28, first 2 shown]
	s_waitcnt vmcnt(36)
	ds_write2_b64 v253, v[68:69], v[70:71] offset0:64 offset1:65
	s_waitcnt vmcnt(35)
	ds_write2_b64 v253, v[64:65], v[66:67] offset0:66 offset1:67
	;; [unrolled: 2-line block ×16, first 2 shown]
	ds_write2_b64 v253, v[4:5], v[6:7] offset0:96 offset1:97
	ds_write2_b64 v253, v[0:1], v[2:3] offset0:98 offset1:99
	s_waitcnt vmcnt(18)
	ds_write2_b64 v253, v[200:201], v[202:203] offset0:100 offset1:101
	ds_read2_b64 v[204:207], v252 offset1:1
	s_waitcnt lgkmcnt(0)
	v_cmp_neq_f64_e32 vcc, 0, v[204:205]
	v_cmp_neq_f64_e64 s[2:3], 0, v[206:207]
	s_or_b64 s[2:3], vcc, s[2:3]
	s_and_b64 exec, exec, s[2:3]
	s_cbranch_execz .LBB101_35
; %bb.30:
	v_cmp_ngt_f64_e64 s[2:3], |v[204:205]|, |v[206:207]|
                                        ; implicit-def: $vgpr208_vgpr209
	s_and_saveexec_b64 s[10:11], s[2:3]
	s_xor_b64 s[2:3], exec, s[10:11]
                                        ; implicit-def: $vgpr210_vgpr211
	s_cbranch_execz .LBB101_32
; %bb.31:
	v_div_scale_f64 v[208:209], s[10:11], v[206:207], v[206:207], v[204:205]
	v_rcp_f64_e32 v[210:211], v[208:209]
	v_div_scale_f64 v[212:213], vcc, v[204:205], v[206:207], v[204:205]
	v_fma_f64 v[214:215], -v[208:209], v[210:211], 1.0
	v_fmac_f64_e32 v[210:211], v[210:211], v[214:215]
	v_fma_f64 v[214:215], -v[208:209], v[210:211], 1.0
	v_fmac_f64_e32 v[210:211], v[210:211], v[214:215]
	v_mul_f64 v[214:215], v[212:213], v[210:211]
	v_fma_f64 v[208:209], -v[208:209], v[214:215], v[212:213]
	v_div_fmas_f64 v[208:209], v[208:209], v[210:211], v[214:215]
	v_div_fixup_f64 v[208:209], v[208:209], v[206:207], v[204:205]
	v_fmac_f64_e32 v[206:207], v[204:205], v[208:209]
	v_div_scale_f64 v[204:205], s[10:11], v[206:207], v[206:207], 1.0
	v_rcp_f64_e32 v[210:211], v[204:205]
	s_nop 0
	v_fma_f64 v[212:213], -v[204:205], v[210:211], 1.0
	v_fmac_f64_e32 v[210:211], v[210:211], v[212:213]
	v_fma_f64 v[212:213], -v[204:205], v[210:211], 1.0
	v_fmac_f64_e32 v[210:211], v[210:211], v[212:213]
	v_div_scale_f64 v[212:213], vcc, 1.0, v[206:207], 1.0
	v_mul_f64 v[214:215], v[212:213], v[210:211]
	v_fma_f64 v[204:205], -v[204:205], v[214:215], v[212:213]
	s_nop 1
	v_div_fmas_f64 v[204:205], v[204:205], v[210:211], v[214:215]
	v_div_fixup_f64 v[210:211], v[204:205], v[206:207], 1.0
	v_mul_f64 v[208:209], v[208:209], v[210:211]
	v_xor_b32_e32 v211, 0x80000000, v211
                                        ; implicit-def: $vgpr204_vgpr205
.LBB101_32:
	s_andn2_saveexec_b64 s[2:3], s[2:3]
	s_cbranch_execz .LBB101_34
; %bb.33:
	v_div_scale_f64 v[208:209], s[10:11], v[204:205], v[204:205], v[206:207]
	v_rcp_f64_e32 v[210:211], v[208:209]
	v_div_scale_f64 v[212:213], vcc, v[206:207], v[204:205], v[206:207]
	v_fma_f64 v[214:215], -v[208:209], v[210:211], 1.0
	v_fmac_f64_e32 v[210:211], v[210:211], v[214:215]
	v_fma_f64 v[214:215], -v[208:209], v[210:211], 1.0
	v_fmac_f64_e32 v[210:211], v[210:211], v[214:215]
	v_mul_f64 v[214:215], v[212:213], v[210:211]
	v_fma_f64 v[208:209], -v[208:209], v[214:215], v[212:213]
	v_div_fmas_f64 v[208:209], v[208:209], v[210:211], v[214:215]
	v_div_fixup_f64 v[210:211], v[208:209], v[204:205], v[206:207]
	v_fmac_f64_e32 v[204:205], v[206:207], v[210:211]
	v_div_scale_f64 v[206:207], s[10:11], v[204:205], v[204:205], 1.0
	v_rcp_f64_e32 v[208:209], v[206:207]
	s_nop 0
	v_fma_f64 v[212:213], -v[206:207], v[208:209], 1.0
	v_fmac_f64_e32 v[208:209], v[208:209], v[212:213]
	v_fma_f64 v[212:213], -v[206:207], v[208:209], 1.0
	v_fmac_f64_e32 v[208:209], v[208:209], v[212:213]
	v_div_scale_f64 v[212:213], vcc, 1.0, v[204:205], 1.0
	v_mul_f64 v[214:215], v[212:213], v[208:209]
	v_fma_f64 v[206:207], -v[206:207], v[214:215], v[212:213]
	s_nop 1
	v_div_fmas_f64 v[206:207], v[206:207], v[208:209], v[214:215]
	v_div_fixup_f64 v[208:209], v[206:207], v[204:205], 1.0
	v_mul_f64 v[210:211], v[210:211], -v[208:209]
.LBB101_34:
	s_or_b64 exec, exec, s[2:3]
	ds_write2_b64 v252, v[208:209], v[210:211] offset1:1
.LBB101_35:
	s_or_b64 exec, exec, s[4:5]
	s_waitcnt lgkmcnt(0)
	s_barrier
	ds_read2_b64 v[204:207], v252 offset1:1
	v_cmp_lt_u32_e32 vcc, 3, v254
	s_waitcnt lgkmcnt(0)
	scratch_store_dwordx4 off, v[204:207], off offset:456 ; 16-byte Folded Spill
	s_and_saveexec_b64 s[2:3], vcc
	s_cbranch_execz .LBB101_37
; %bb.36:
	scratch_load_dwordx4 v[206:209], off, off offset:456 ; 16-byte Folded Reload
	s_waitcnt vmcnt(0)
	v_mul_f64 v[204:205], v[208:209], v[186:187]
	v_mul_f64 v[186:187], v[206:207], v[186:187]
	v_fma_f64 v[204:205], v[206:207], v[184:185], -v[204:205]
	v_fmac_f64_e32 v[186:187], v[208:209], v[184:185]
	ds_read2_b64 v[206:209], v253 offset0:8 offset1:9
	s_waitcnt lgkmcnt(0)
	v_mul_f64 v[184:185], v[208:209], v[186:187]
	v_fma_f64 v[184:185], v[206:207], v[204:205], -v[184:185]
	v_mul_f64 v[206:207], v[206:207], v[186:187]
	v_fmac_f64_e32 v[206:207], v[208:209], v[204:205]
	v_add_f64 v[182:183], v[182:183], -v[206:207]
	ds_read2_b64 v[206:209], v253 offset0:10 offset1:11
	v_add_f64 v[180:181], v[180:181], -v[184:185]
	s_waitcnt lgkmcnt(0)
	v_mul_f64 v[184:185], v[208:209], v[186:187]
	v_fma_f64 v[184:185], v[206:207], v[204:205], -v[184:185]
	v_mul_f64 v[206:207], v[206:207], v[186:187]
	v_fmac_f64_e32 v[206:207], v[208:209], v[204:205]
	v_add_f64 v[178:179], v[178:179], -v[206:207]
	ds_read2_b64 v[206:209], v253 offset0:12 offset1:13
	v_add_f64 v[176:177], v[176:177], -v[184:185]
	;; [unrolled: 8-line block ×46, first 2 shown]
	s_waitcnt lgkmcnt(0)
	v_mul_f64 v[184:185], v[208:209], v[186:187]
	v_fma_f64 v[184:185], v[206:207], v[204:205], -v[184:185]
	v_mul_f64 v[206:207], v[206:207], v[186:187]
	v_fmac_f64_e32 v[206:207], v[208:209], v[204:205]
	v_add_f64 v[200:201], v[200:201], -v[184:185]
	v_add_f64 v[202:203], v[202:203], -v[206:207]
	v_mov_b64_e32 v[184:185], v[204:205]
.LBB101_37:
	s_or_b64 exec, exec, s[2:3]
	v_cmp_eq_u32_e32 vcc, 4, v254
	s_waitcnt vmcnt(63) expcnt(7) lgkmcnt(15)
	s_barrier
	s_and_saveexec_b64 s[4:5], vcc
	s_cbranch_execz .LBB101_44
; %bb.38:
	ds_write2_b64 v252, v[180:181], v[182:183] offset1:1
	ds_write2_b64 v253, v[176:177], v[178:179] offset0:10 offset1:11
	ds_write2_b64 v253, v[172:173], v[174:175] offset0:12 offset1:13
	;; [unrolled: 1-line block ×27, first 2 shown]
	s_waitcnt vmcnt(37)
	ds_write2_b64 v253, v[68:69], v[70:71] offset0:64 offset1:65
	s_waitcnt vmcnt(36)
	ds_write2_b64 v253, v[64:65], v[66:67] offset0:66 offset1:67
	s_waitcnt vmcnt(35)
	ds_write2_b64 v253, v[60:61], v[62:63] offset0:68 offset1:69
	s_waitcnt vmcnt(34)
	ds_write2_b64 v253, v[56:57], v[58:59] offset0:70 offset1:71
	s_waitcnt vmcnt(33)
	ds_write2_b64 v253, v[52:53], v[54:55] offset0:72 offset1:73
	s_waitcnt vmcnt(32)
	ds_write2_b64 v253, v[48:49], v[50:51] offset0:74 offset1:75
	s_waitcnt vmcnt(31)
	ds_write2_b64 v253, v[44:45], v[46:47] offset0:76 offset1:77
	s_waitcnt vmcnt(30)
	ds_write2_b64 v253, v[40:41], v[42:43] offset0:78 offset1:79
	s_waitcnt vmcnt(29)
	ds_write2_b64 v253, v[36:37], v[38:39] offset0:80 offset1:81
	s_waitcnt vmcnt(28)
	ds_write2_b64 v253, v[32:33], v[34:35] offset0:82 offset1:83
	s_waitcnt vmcnt(27)
	ds_write2_b64 v253, v[28:29], v[30:31] offset0:84 offset1:85
	s_waitcnt vmcnt(26)
	ds_write2_b64 v253, v[24:25], v[26:27] offset0:86 offset1:87
	s_waitcnt vmcnt(25)
	ds_write2_b64 v253, v[20:21], v[22:23] offset0:88 offset1:89
	s_waitcnt vmcnt(24)
	ds_write2_b64 v253, v[16:17], v[18:19] offset0:90 offset1:91
	s_waitcnt vmcnt(23)
	ds_write2_b64 v253, v[12:13], v[14:15] offset0:92 offset1:93
	s_waitcnt vmcnt(22)
	ds_write2_b64 v253, v[8:9], v[10:11] offset0:94 offset1:95
	ds_write2_b64 v253, v[4:5], v[6:7] offset0:96 offset1:97
	ds_write2_b64 v253, v[0:1], v[2:3] offset0:98 offset1:99
	s_waitcnt vmcnt(19)
	ds_write2_b64 v253, v[200:201], v[202:203] offset0:100 offset1:101
	ds_read2_b64 v[204:207], v252 offset1:1
	s_waitcnt lgkmcnt(0)
	v_cmp_neq_f64_e32 vcc, 0, v[204:205]
	v_cmp_neq_f64_e64 s[2:3], 0, v[206:207]
	s_or_b64 s[2:3], vcc, s[2:3]
	s_and_b64 exec, exec, s[2:3]
	s_cbranch_execz .LBB101_44
; %bb.39:
	v_cmp_ngt_f64_e64 s[2:3], |v[204:205]|, |v[206:207]|
                                        ; implicit-def: $vgpr208_vgpr209
	s_and_saveexec_b64 s[10:11], s[2:3]
	s_xor_b64 s[2:3], exec, s[10:11]
                                        ; implicit-def: $vgpr210_vgpr211
	s_cbranch_execz .LBB101_41
; %bb.40:
	v_div_scale_f64 v[208:209], s[10:11], v[206:207], v[206:207], v[204:205]
	v_rcp_f64_e32 v[210:211], v[208:209]
	v_div_scale_f64 v[212:213], vcc, v[204:205], v[206:207], v[204:205]
	v_fma_f64 v[214:215], -v[208:209], v[210:211], 1.0
	v_fmac_f64_e32 v[210:211], v[210:211], v[214:215]
	v_fma_f64 v[214:215], -v[208:209], v[210:211], 1.0
	v_fmac_f64_e32 v[210:211], v[210:211], v[214:215]
	v_mul_f64 v[214:215], v[212:213], v[210:211]
	v_fma_f64 v[208:209], -v[208:209], v[214:215], v[212:213]
	v_div_fmas_f64 v[208:209], v[208:209], v[210:211], v[214:215]
	v_div_fixup_f64 v[208:209], v[208:209], v[206:207], v[204:205]
	v_fmac_f64_e32 v[206:207], v[204:205], v[208:209]
	v_div_scale_f64 v[204:205], s[10:11], v[206:207], v[206:207], 1.0
	v_rcp_f64_e32 v[210:211], v[204:205]
	s_nop 0
	v_fma_f64 v[212:213], -v[204:205], v[210:211], 1.0
	v_fmac_f64_e32 v[210:211], v[210:211], v[212:213]
	v_fma_f64 v[212:213], -v[204:205], v[210:211], 1.0
	v_fmac_f64_e32 v[210:211], v[210:211], v[212:213]
	v_div_scale_f64 v[212:213], vcc, 1.0, v[206:207], 1.0
	v_mul_f64 v[214:215], v[212:213], v[210:211]
	v_fma_f64 v[204:205], -v[204:205], v[214:215], v[212:213]
	s_nop 1
	v_div_fmas_f64 v[204:205], v[204:205], v[210:211], v[214:215]
	v_div_fixup_f64 v[210:211], v[204:205], v[206:207], 1.0
	v_mul_f64 v[208:209], v[208:209], v[210:211]
	v_xor_b32_e32 v211, 0x80000000, v211
                                        ; implicit-def: $vgpr204_vgpr205
.LBB101_41:
	s_andn2_saveexec_b64 s[2:3], s[2:3]
	s_cbranch_execz .LBB101_43
; %bb.42:
	v_div_scale_f64 v[208:209], s[10:11], v[204:205], v[204:205], v[206:207]
	v_rcp_f64_e32 v[210:211], v[208:209]
	v_div_scale_f64 v[212:213], vcc, v[206:207], v[204:205], v[206:207]
	v_fma_f64 v[214:215], -v[208:209], v[210:211], 1.0
	v_fmac_f64_e32 v[210:211], v[210:211], v[214:215]
	v_fma_f64 v[214:215], -v[208:209], v[210:211], 1.0
	v_fmac_f64_e32 v[210:211], v[210:211], v[214:215]
	v_mul_f64 v[214:215], v[212:213], v[210:211]
	v_fma_f64 v[208:209], -v[208:209], v[214:215], v[212:213]
	v_div_fmas_f64 v[208:209], v[208:209], v[210:211], v[214:215]
	v_div_fixup_f64 v[210:211], v[208:209], v[204:205], v[206:207]
	v_fmac_f64_e32 v[204:205], v[206:207], v[210:211]
	v_div_scale_f64 v[206:207], s[10:11], v[204:205], v[204:205], 1.0
	v_rcp_f64_e32 v[208:209], v[206:207]
	s_nop 0
	v_fma_f64 v[212:213], -v[206:207], v[208:209], 1.0
	v_fmac_f64_e32 v[208:209], v[208:209], v[212:213]
	v_fma_f64 v[212:213], -v[206:207], v[208:209], 1.0
	v_fmac_f64_e32 v[208:209], v[208:209], v[212:213]
	v_div_scale_f64 v[212:213], vcc, 1.0, v[204:205], 1.0
	v_mul_f64 v[214:215], v[212:213], v[208:209]
	v_fma_f64 v[206:207], -v[206:207], v[214:215], v[212:213]
	s_nop 1
	v_div_fmas_f64 v[206:207], v[206:207], v[208:209], v[214:215]
	v_div_fixup_f64 v[208:209], v[206:207], v[204:205], 1.0
	v_mul_f64 v[210:211], v[210:211], -v[208:209]
.LBB101_43:
	s_or_b64 exec, exec, s[2:3]
	ds_write2_b64 v252, v[208:209], v[210:211] offset1:1
.LBB101_44:
	s_or_b64 exec, exec, s[4:5]
	s_waitcnt lgkmcnt(0)
	s_barrier
	ds_read2_b64 v[204:207], v252 offset1:1
	v_cmp_lt_u32_e32 vcc, 4, v254
	s_waitcnt lgkmcnt(0)
	scratch_store_dwordx4 off, v[204:207], off offset:472 ; 16-byte Folded Spill
	s_and_saveexec_b64 s[2:3], vcc
	s_cbranch_execz .LBB101_46
; %bb.45:
	scratch_load_dwordx4 v[206:209], off, off offset:472 ; 16-byte Folded Reload
	s_waitcnt vmcnt(0)
	v_mul_f64 v[204:205], v[208:209], v[182:183]
	v_mul_f64 v[182:183], v[206:207], v[182:183]
	v_fma_f64 v[204:205], v[206:207], v[180:181], -v[204:205]
	v_fmac_f64_e32 v[182:183], v[208:209], v[180:181]
	ds_read2_b64 v[206:209], v253 offset0:10 offset1:11
	s_waitcnt lgkmcnt(0)
	v_mul_f64 v[180:181], v[208:209], v[182:183]
	v_fma_f64 v[180:181], v[206:207], v[204:205], -v[180:181]
	v_mul_f64 v[206:207], v[206:207], v[182:183]
	v_fmac_f64_e32 v[206:207], v[208:209], v[204:205]
	v_add_f64 v[178:179], v[178:179], -v[206:207]
	ds_read2_b64 v[206:209], v253 offset0:12 offset1:13
	v_add_f64 v[176:177], v[176:177], -v[180:181]
	s_waitcnt lgkmcnt(0)
	v_mul_f64 v[180:181], v[208:209], v[182:183]
	v_fma_f64 v[180:181], v[206:207], v[204:205], -v[180:181]
	v_mul_f64 v[206:207], v[206:207], v[182:183]
	v_fmac_f64_e32 v[206:207], v[208:209], v[204:205]
	v_add_f64 v[174:175], v[174:175], -v[206:207]
	ds_read2_b64 v[206:209], v253 offset0:14 offset1:15
	v_add_f64 v[172:173], v[172:173], -v[180:181]
	;; [unrolled: 8-line block ×45, first 2 shown]
	s_waitcnt lgkmcnt(0)
	v_mul_f64 v[180:181], v[208:209], v[182:183]
	v_fma_f64 v[180:181], v[206:207], v[204:205], -v[180:181]
	v_mul_f64 v[206:207], v[206:207], v[182:183]
	v_fmac_f64_e32 v[206:207], v[208:209], v[204:205]
	v_add_f64 v[200:201], v[200:201], -v[180:181]
	v_add_f64 v[202:203], v[202:203], -v[206:207]
	v_mov_b64_e32 v[180:181], v[204:205]
.LBB101_46:
	s_or_b64 exec, exec, s[2:3]
	v_cmp_eq_u32_e32 vcc, 5, v254
	s_waitcnt vmcnt(63) expcnt(7) lgkmcnt(15)
	s_barrier
	s_and_saveexec_b64 s[4:5], vcc
	s_cbranch_execz .LBB101_53
; %bb.47:
	ds_write2_b64 v252, v[176:177], v[178:179] offset1:1
	ds_write2_b64 v253, v[172:173], v[174:175] offset0:12 offset1:13
	ds_write2_b64 v253, v[168:169], v[170:171] offset0:14 offset1:15
	;; [unrolled: 1-line block ×26, first 2 shown]
	s_waitcnt vmcnt(38)
	ds_write2_b64 v253, v[68:69], v[70:71] offset0:64 offset1:65
	s_waitcnt vmcnt(37)
	ds_write2_b64 v253, v[64:65], v[66:67] offset0:66 offset1:67
	;; [unrolled: 2-line block ×16, first 2 shown]
	ds_write2_b64 v253, v[4:5], v[6:7] offset0:96 offset1:97
	ds_write2_b64 v253, v[0:1], v[2:3] offset0:98 offset1:99
	s_waitcnt vmcnt(20)
	ds_write2_b64 v253, v[200:201], v[202:203] offset0:100 offset1:101
	ds_read2_b64 v[204:207], v252 offset1:1
	s_waitcnt lgkmcnt(0)
	v_cmp_neq_f64_e32 vcc, 0, v[204:205]
	v_cmp_neq_f64_e64 s[2:3], 0, v[206:207]
	s_or_b64 s[2:3], vcc, s[2:3]
	s_and_b64 exec, exec, s[2:3]
	s_cbranch_execz .LBB101_53
; %bb.48:
	v_cmp_ngt_f64_e64 s[2:3], |v[204:205]|, |v[206:207]|
                                        ; implicit-def: $vgpr208_vgpr209
	s_and_saveexec_b64 s[10:11], s[2:3]
	s_xor_b64 s[2:3], exec, s[10:11]
                                        ; implicit-def: $vgpr210_vgpr211
	s_cbranch_execz .LBB101_50
; %bb.49:
	v_div_scale_f64 v[208:209], s[10:11], v[206:207], v[206:207], v[204:205]
	v_rcp_f64_e32 v[210:211], v[208:209]
	v_div_scale_f64 v[212:213], vcc, v[204:205], v[206:207], v[204:205]
	v_fma_f64 v[214:215], -v[208:209], v[210:211], 1.0
	v_fmac_f64_e32 v[210:211], v[210:211], v[214:215]
	v_fma_f64 v[214:215], -v[208:209], v[210:211], 1.0
	v_fmac_f64_e32 v[210:211], v[210:211], v[214:215]
	v_mul_f64 v[214:215], v[212:213], v[210:211]
	v_fma_f64 v[208:209], -v[208:209], v[214:215], v[212:213]
	v_div_fmas_f64 v[208:209], v[208:209], v[210:211], v[214:215]
	v_div_fixup_f64 v[208:209], v[208:209], v[206:207], v[204:205]
	v_fmac_f64_e32 v[206:207], v[204:205], v[208:209]
	v_div_scale_f64 v[204:205], s[10:11], v[206:207], v[206:207], 1.0
	v_rcp_f64_e32 v[210:211], v[204:205]
	s_nop 0
	v_fma_f64 v[212:213], -v[204:205], v[210:211], 1.0
	v_fmac_f64_e32 v[210:211], v[210:211], v[212:213]
	v_fma_f64 v[212:213], -v[204:205], v[210:211], 1.0
	v_fmac_f64_e32 v[210:211], v[210:211], v[212:213]
	v_div_scale_f64 v[212:213], vcc, 1.0, v[206:207], 1.0
	v_mul_f64 v[214:215], v[212:213], v[210:211]
	v_fma_f64 v[204:205], -v[204:205], v[214:215], v[212:213]
	s_nop 1
	v_div_fmas_f64 v[204:205], v[204:205], v[210:211], v[214:215]
	v_div_fixup_f64 v[210:211], v[204:205], v[206:207], 1.0
	v_mul_f64 v[208:209], v[208:209], v[210:211]
	v_xor_b32_e32 v211, 0x80000000, v211
                                        ; implicit-def: $vgpr204_vgpr205
.LBB101_50:
	s_andn2_saveexec_b64 s[2:3], s[2:3]
	s_cbranch_execz .LBB101_52
; %bb.51:
	v_div_scale_f64 v[208:209], s[10:11], v[204:205], v[204:205], v[206:207]
	v_rcp_f64_e32 v[210:211], v[208:209]
	v_div_scale_f64 v[212:213], vcc, v[206:207], v[204:205], v[206:207]
	v_fma_f64 v[214:215], -v[208:209], v[210:211], 1.0
	v_fmac_f64_e32 v[210:211], v[210:211], v[214:215]
	v_fma_f64 v[214:215], -v[208:209], v[210:211], 1.0
	v_fmac_f64_e32 v[210:211], v[210:211], v[214:215]
	v_mul_f64 v[214:215], v[212:213], v[210:211]
	v_fma_f64 v[208:209], -v[208:209], v[214:215], v[212:213]
	v_div_fmas_f64 v[208:209], v[208:209], v[210:211], v[214:215]
	v_div_fixup_f64 v[210:211], v[208:209], v[204:205], v[206:207]
	v_fmac_f64_e32 v[204:205], v[206:207], v[210:211]
	v_div_scale_f64 v[206:207], s[10:11], v[204:205], v[204:205], 1.0
	v_rcp_f64_e32 v[208:209], v[206:207]
	s_nop 0
	v_fma_f64 v[212:213], -v[206:207], v[208:209], 1.0
	v_fmac_f64_e32 v[208:209], v[208:209], v[212:213]
	v_fma_f64 v[212:213], -v[206:207], v[208:209], 1.0
	v_fmac_f64_e32 v[208:209], v[208:209], v[212:213]
	v_div_scale_f64 v[212:213], vcc, 1.0, v[204:205], 1.0
	v_mul_f64 v[214:215], v[212:213], v[208:209]
	v_fma_f64 v[206:207], -v[206:207], v[214:215], v[212:213]
	s_nop 1
	v_div_fmas_f64 v[206:207], v[206:207], v[208:209], v[214:215]
	v_div_fixup_f64 v[208:209], v[206:207], v[204:205], 1.0
	v_mul_f64 v[210:211], v[210:211], -v[208:209]
.LBB101_52:
	s_or_b64 exec, exec, s[2:3]
	ds_write2_b64 v252, v[208:209], v[210:211] offset1:1
.LBB101_53:
	s_or_b64 exec, exec, s[4:5]
	s_waitcnt lgkmcnt(0)
	s_barrier
	ds_read2_b64 v[204:207], v252 offset1:1
	v_cmp_lt_u32_e32 vcc, 5, v254
	s_waitcnt lgkmcnt(0)
	scratch_store_dwordx4 off, v[204:207], off offset:488 ; 16-byte Folded Spill
	s_and_saveexec_b64 s[2:3], vcc
	s_cbranch_execz .LBB101_55
; %bb.54:
	scratch_load_dwordx4 v[206:209], off, off offset:488 ; 16-byte Folded Reload
	s_waitcnt vmcnt(0)
	v_mul_f64 v[204:205], v[208:209], v[178:179]
	v_mul_f64 v[178:179], v[206:207], v[178:179]
	v_fma_f64 v[204:205], v[206:207], v[176:177], -v[204:205]
	v_fmac_f64_e32 v[178:179], v[208:209], v[176:177]
	ds_read2_b64 v[206:209], v253 offset0:12 offset1:13
	s_waitcnt lgkmcnt(0)
	v_mul_f64 v[176:177], v[208:209], v[178:179]
	v_fma_f64 v[176:177], v[206:207], v[204:205], -v[176:177]
	v_mul_f64 v[206:207], v[206:207], v[178:179]
	v_fmac_f64_e32 v[206:207], v[208:209], v[204:205]
	v_add_f64 v[174:175], v[174:175], -v[206:207]
	ds_read2_b64 v[206:209], v253 offset0:14 offset1:15
	v_add_f64 v[172:173], v[172:173], -v[176:177]
	s_waitcnt lgkmcnt(0)
	v_mul_f64 v[176:177], v[208:209], v[178:179]
	v_fma_f64 v[176:177], v[206:207], v[204:205], -v[176:177]
	v_mul_f64 v[206:207], v[206:207], v[178:179]
	v_fmac_f64_e32 v[206:207], v[208:209], v[204:205]
	v_add_f64 v[170:171], v[170:171], -v[206:207]
	ds_read2_b64 v[206:209], v253 offset0:16 offset1:17
	v_add_f64 v[168:169], v[168:169], -v[176:177]
	s_waitcnt lgkmcnt(0)
	v_mul_f64 v[176:177], v[208:209], v[178:179]
	v_fma_f64 v[176:177], v[206:207], v[204:205], -v[176:177]
	v_mul_f64 v[206:207], v[206:207], v[178:179]
	v_fmac_f64_e32 v[206:207], v[208:209], v[204:205]
	v_add_f64 v[166:167], v[166:167], -v[206:207]
	ds_read2_b64 v[206:209], v253 offset0:18 offset1:19
	v_add_f64 v[164:165], v[164:165], -v[176:177]
	s_waitcnt lgkmcnt(0)
	v_mul_f64 v[176:177], v[208:209], v[178:179]
	v_fma_f64 v[176:177], v[206:207], v[204:205], -v[176:177]
	v_mul_f64 v[206:207], v[206:207], v[178:179]
	v_fmac_f64_e32 v[206:207], v[208:209], v[204:205]
	v_add_f64 v[162:163], v[162:163], -v[206:207]
	ds_read2_b64 v[206:209], v253 offset0:20 offset1:21
	v_add_f64 v[160:161], v[160:161], -v[176:177]
	s_waitcnt lgkmcnt(0)
	v_mul_f64 v[176:177], v[208:209], v[178:179]
	v_fma_f64 v[176:177], v[206:207], v[204:205], -v[176:177]
	v_mul_f64 v[206:207], v[206:207], v[178:179]
	v_fmac_f64_e32 v[206:207], v[208:209], v[204:205]
	v_add_f64 v[158:159], v[158:159], -v[206:207]
	ds_read2_b64 v[206:209], v253 offset0:22 offset1:23
	v_add_f64 v[156:157], v[156:157], -v[176:177]
	s_waitcnt lgkmcnt(0)
	v_mul_f64 v[176:177], v[208:209], v[178:179]
	v_fma_f64 v[176:177], v[206:207], v[204:205], -v[176:177]
	v_mul_f64 v[206:207], v[206:207], v[178:179]
	v_fmac_f64_e32 v[206:207], v[208:209], v[204:205]
	v_add_f64 v[154:155], v[154:155], -v[206:207]
	ds_read2_b64 v[206:209], v253 offset0:24 offset1:25
	v_add_f64 v[152:153], v[152:153], -v[176:177]
	s_waitcnt lgkmcnt(0)
	v_mul_f64 v[176:177], v[208:209], v[178:179]
	v_fma_f64 v[176:177], v[206:207], v[204:205], -v[176:177]
	v_mul_f64 v[206:207], v[206:207], v[178:179]
	v_fmac_f64_e32 v[206:207], v[208:209], v[204:205]
	v_add_f64 v[150:151], v[150:151], -v[206:207]
	ds_read2_b64 v[206:209], v253 offset0:26 offset1:27
	v_add_f64 v[148:149], v[148:149], -v[176:177]
	s_waitcnt lgkmcnt(0)
	v_mul_f64 v[176:177], v[208:209], v[178:179]
	v_fma_f64 v[176:177], v[206:207], v[204:205], -v[176:177]
	v_mul_f64 v[206:207], v[206:207], v[178:179]
	v_fmac_f64_e32 v[206:207], v[208:209], v[204:205]
	v_add_f64 v[146:147], v[146:147], -v[206:207]
	ds_read2_b64 v[206:209], v253 offset0:28 offset1:29
	v_add_f64 v[144:145], v[144:145], -v[176:177]
	s_waitcnt lgkmcnt(0)
	v_mul_f64 v[176:177], v[208:209], v[178:179]
	v_fma_f64 v[176:177], v[206:207], v[204:205], -v[176:177]
	v_mul_f64 v[206:207], v[206:207], v[178:179]
	v_fmac_f64_e32 v[206:207], v[208:209], v[204:205]
	v_add_f64 v[142:143], v[142:143], -v[206:207]
	ds_read2_b64 v[206:209], v253 offset0:30 offset1:31
	v_add_f64 v[140:141], v[140:141], -v[176:177]
	s_waitcnt lgkmcnt(0)
	v_mul_f64 v[176:177], v[208:209], v[178:179]
	v_fma_f64 v[176:177], v[206:207], v[204:205], -v[176:177]
	v_mul_f64 v[206:207], v[206:207], v[178:179]
	v_fmac_f64_e32 v[206:207], v[208:209], v[204:205]
	v_add_f64 v[138:139], v[138:139], -v[206:207]
	ds_read2_b64 v[206:209], v253 offset0:32 offset1:33
	v_add_f64 v[136:137], v[136:137], -v[176:177]
	s_waitcnt lgkmcnt(0)
	v_mul_f64 v[176:177], v[208:209], v[178:179]
	v_fma_f64 v[176:177], v[206:207], v[204:205], -v[176:177]
	v_mul_f64 v[206:207], v[206:207], v[178:179]
	v_fmac_f64_e32 v[206:207], v[208:209], v[204:205]
	v_add_f64 v[134:135], v[134:135], -v[206:207]
	ds_read2_b64 v[206:209], v253 offset0:34 offset1:35
	v_add_f64 v[132:133], v[132:133], -v[176:177]
	s_waitcnt lgkmcnt(0)
	v_mul_f64 v[176:177], v[208:209], v[178:179]
	v_fma_f64 v[176:177], v[206:207], v[204:205], -v[176:177]
	v_mul_f64 v[206:207], v[206:207], v[178:179]
	v_fmac_f64_e32 v[206:207], v[208:209], v[204:205]
	v_add_f64 v[130:131], v[130:131], -v[206:207]
	ds_read2_b64 v[206:209], v253 offset0:36 offset1:37
	v_add_f64 v[128:129], v[128:129], -v[176:177]
	s_waitcnt lgkmcnt(0)
	v_mul_f64 v[176:177], v[208:209], v[178:179]
	v_fma_f64 v[176:177], v[206:207], v[204:205], -v[176:177]
	v_mul_f64 v[206:207], v[206:207], v[178:179]
	v_fmac_f64_e32 v[206:207], v[208:209], v[204:205]
	v_add_f64 v[126:127], v[126:127], -v[206:207]
	ds_read2_b64 v[206:209], v253 offset0:38 offset1:39
	v_add_f64 v[124:125], v[124:125], -v[176:177]
	s_waitcnt lgkmcnt(0)
	v_mul_f64 v[176:177], v[208:209], v[178:179]
	v_fma_f64 v[176:177], v[206:207], v[204:205], -v[176:177]
	v_mul_f64 v[206:207], v[206:207], v[178:179]
	v_fmac_f64_e32 v[206:207], v[208:209], v[204:205]
	v_add_f64 v[122:123], v[122:123], -v[206:207]
	ds_read2_b64 v[206:209], v253 offset0:40 offset1:41
	v_add_f64 v[120:121], v[120:121], -v[176:177]
	s_waitcnt lgkmcnt(0)
	v_mul_f64 v[176:177], v[208:209], v[178:179]
	v_fma_f64 v[176:177], v[206:207], v[204:205], -v[176:177]
	v_mul_f64 v[206:207], v[206:207], v[178:179]
	v_fmac_f64_e32 v[206:207], v[208:209], v[204:205]
	v_add_f64 v[118:119], v[118:119], -v[206:207]
	ds_read2_b64 v[206:209], v253 offset0:42 offset1:43
	v_add_f64 v[116:117], v[116:117], -v[176:177]
	s_waitcnt lgkmcnt(0)
	v_mul_f64 v[176:177], v[208:209], v[178:179]
	v_fma_f64 v[176:177], v[206:207], v[204:205], -v[176:177]
	v_mul_f64 v[206:207], v[206:207], v[178:179]
	v_fmac_f64_e32 v[206:207], v[208:209], v[204:205]
	v_add_f64 v[114:115], v[114:115], -v[206:207]
	ds_read2_b64 v[206:209], v253 offset0:44 offset1:45
	v_add_f64 v[112:113], v[112:113], -v[176:177]
	s_waitcnt lgkmcnt(0)
	v_mul_f64 v[176:177], v[208:209], v[178:179]
	v_fma_f64 v[176:177], v[206:207], v[204:205], -v[176:177]
	v_mul_f64 v[206:207], v[206:207], v[178:179]
	v_fmac_f64_e32 v[206:207], v[208:209], v[204:205]
	v_add_f64 v[110:111], v[110:111], -v[206:207]
	ds_read2_b64 v[206:209], v253 offset0:46 offset1:47
	v_add_f64 v[108:109], v[108:109], -v[176:177]
	s_waitcnt lgkmcnt(0)
	v_mul_f64 v[176:177], v[208:209], v[178:179]
	v_fma_f64 v[176:177], v[206:207], v[204:205], -v[176:177]
	v_mul_f64 v[206:207], v[206:207], v[178:179]
	v_fmac_f64_e32 v[206:207], v[208:209], v[204:205]
	v_add_f64 v[106:107], v[106:107], -v[206:207]
	ds_read2_b64 v[206:209], v253 offset0:48 offset1:49
	v_add_f64 v[104:105], v[104:105], -v[176:177]
	s_waitcnt lgkmcnt(0)
	v_mul_f64 v[176:177], v[208:209], v[178:179]
	v_fma_f64 v[176:177], v[206:207], v[204:205], -v[176:177]
	v_mul_f64 v[206:207], v[206:207], v[178:179]
	v_fmac_f64_e32 v[206:207], v[208:209], v[204:205]
	v_add_f64 v[102:103], v[102:103], -v[206:207]
	ds_read2_b64 v[206:209], v253 offset0:50 offset1:51
	v_add_f64 v[100:101], v[100:101], -v[176:177]
	s_waitcnt lgkmcnt(0)
	v_mul_f64 v[176:177], v[208:209], v[178:179]
	v_fma_f64 v[176:177], v[206:207], v[204:205], -v[176:177]
	v_mul_f64 v[206:207], v[206:207], v[178:179]
	v_fmac_f64_e32 v[206:207], v[208:209], v[204:205]
	v_add_f64 v[98:99], v[98:99], -v[206:207]
	ds_read2_b64 v[206:209], v253 offset0:52 offset1:53
	v_add_f64 v[96:97], v[96:97], -v[176:177]
	s_waitcnt lgkmcnt(0)
	v_mul_f64 v[176:177], v[208:209], v[178:179]
	v_fma_f64 v[176:177], v[206:207], v[204:205], -v[176:177]
	v_mul_f64 v[206:207], v[206:207], v[178:179]
	v_fmac_f64_e32 v[206:207], v[208:209], v[204:205]
	v_add_f64 v[94:95], v[94:95], -v[206:207]
	ds_read2_b64 v[206:209], v253 offset0:54 offset1:55
	v_add_f64 v[92:93], v[92:93], -v[176:177]
	s_waitcnt lgkmcnt(0)
	v_mul_f64 v[176:177], v[208:209], v[178:179]
	v_fma_f64 v[176:177], v[206:207], v[204:205], -v[176:177]
	v_mul_f64 v[206:207], v[206:207], v[178:179]
	v_fmac_f64_e32 v[206:207], v[208:209], v[204:205]
	v_add_f64 v[90:91], v[90:91], -v[206:207]
	ds_read2_b64 v[206:209], v253 offset0:56 offset1:57
	v_add_f64 v[88:89], v[88:89], -v[176:177]
	s_waitcnt lgkmcnt(0)
	v_mul_f64 v[176:177], v[208:209], v[178:179]
	v_fma_f64 v[176:177], v[206:207], v[204:205], -v[176:177]
	v_mul_f64 v[206:207], v[206:207], v[178:179]
	v_fmac_f64_e32 v[206:207], v[208:209], v[204:205]
	v_add_f64 v[86:87], v[86:87], -v[206:207]
	ds_read2_b64 v[206:209], v253 offset0:58 offset1:59
	v_add_f64 v[84:85], v[84:85], -v[176:177]
	s_waitcnt lgkmcnt(0)
	v_mul_f64 v[176:177], v[208:209], v[178:179]
	v_fma_f64 v[176:177], v[206:207], v[204:205], -v[176:177]
	v_mul_f64 v[206:207], v[206:207], v[178:179]
	v_fmac_f64_e32 v[206:207], v[208:209], v[204:205]
	v_add_f64 v[82:83], v[82:83], -v[206:207]
	ds_read2_b64 v[206:209], v253 offset0:60 offset1:61
	v_add_f64 v[80:81], v[80:81], -v[176:177]
	s_waitcnt lgkmcnt(0)
	v_mul_f64 v[176:177], v[208:209], v[178:179]
	v_fma_f64 v[176:177], v[206:207], v[204:205], -v[176:177]
	v_mul_f64 v[206:207], v[206:207], v[178:179]
	v_fmac_f64_e32 v[206:207], v[208:209], v[204:205]
	v_add_f64 v[78:79], v[78:79], -v[206:207]
	ds_read2_b64 v[206:209], v253 offset0:62 offset1:63
	v_add_f64 v[76:77], v[76:77], -v[176:177]
	s_waitcnt lgkmcnt(0)
	v_mul_f64 v[176:177], v[208:209], v[178:179]
	v_fma_f64 v[176:177], v[206:207], v[204:205], -v[176:177]
	v_mul_f64 v[206:207], v[206:207], v[178:179]
	v_fmac_f64_e32 v[206:207], v[208:209], v[204:205]
	v_add_f64 v[74:75], v[74:75], -v[206:207]
	ds_read2_b64 v[206:209], v253 offset0:64 offset1:65
	v_add_f64 v[72:73], v[72:73], -v[176:177]
	s_waitcnt lgkmcnt(0)
	v_mul_f64 v[176:177], v[208:209], v[178:179]
	v_fma_f64 v[176:177], v[206:207], v[204:205], -v[176:177]
	v_mul_f64 v[206:207], v[206:207], v[178:179]
	v_fmac_f64_e32 v[206:207], v[208:209], v[204:205]
	v_add_f64 v[70:71], v[70:71], -v[206:207]
	ds_read2_b64 v[206:209], v253 offset0:66 offset1:67
	v_add_f64 v[68:69], v[68:69], -v[176:177]
	s_waitcnt lgkmcnt(0)
	v_mul_f64 v[176:177], v[208:209], v[178:179]
	v_fma_f64 v[176:177], v[206:207], v[204:205], -v[176:177]
	v_mul_f64 v[206:207], v[206:207], v[178:179]
	v_fmac_f64_e32 v[206:207], v[208:209], v[204:205]
	v_add_f64 v[66:67], v[66:67], -v[206:207]
	ds_read2_b64 v[206:209], v253 offset0:68 offset1:69
	v_add_f64 v[64:65], v[64:65], -v[176:177]
	s_waitcnt lgkmcnt(0)
	v_mul_f64 v[176:177], v[208:209], v[178:179]
	v_fma_f64 v[176:177], v[206:207], v[204:205], -v[176:177]
	v_mul_f64 v[206:207], v[206:207], v[178:179]
	v_fmac_f64_e32 v[206:207], v[208:209], v[204:205]
	v_add_f64 v[62:63], v[62:63], -v[206:207]
	ds_read2_b64 v[206:209], v253 offset0:70 offset1:71
	v_add_f64 v[60:61], v[60:61], -v[176:177]
	s_waitcnt lgkmcnt(0)
	v_mul_f64 v[176:177], v[208:209], v[178:179]
	v_fma_f64 v[176:177], v[206:207], v[204:205], -v[176:177]
	v_mul_f64 v[206:207], v[206:207], v[178:179]
	v_fmac_f64_e32 v[206:207], v[208:209], v[204:205]
	v_add_f64 v[58:59], v[58:59], -v[206:207]
	ds_read2_b64 v[206:209], v253 offset0:72 offset1:73
	v_add_f64 v[56:57], v[56:57], -v[176:177]
	s_waitcnt lgkmcnt(0)
	v_mul_f64 v[176:177], v[208:209], v[178:179]
	v_fma_f64 v[176:177], v[206:207], v[204:205], -v[176:177]
	v_mul_f64 v[206:207], v[206:207], v[178:179]
	v_fmac_f64_e32 v[206:207], v[208:209], v[204:205]
	v_add_f64 v[54:55], v[54:55], -v[206:207]
	ds_read2_b64 v[206:209], v253 offset0:74 offset1:75
	v_add_f64 v[52:53], v[52:53], -v[176:177]
	s_waitcnt lgkmcnt(0)
	v_mul_f64 v[176:177], v[208:209], v[178:179]
	v_fma_f64 v[176:177], v[206:207], v[204:205], -v[176:177]
	v_mul_f64 v[206:207], v[206:207], v[178:179]
	v_fmac_f64_e32 v[206:207], v[208:209], v[204:205]
	v_add_f64 v[50:51], v[50:51], -v[206:207]
	ds_read2_b64 v[206:209], v253 offset0:76 offset1:77
	v_add_f64 v[48:49], v[48:49], -v[176:177]
	s_waitcnt lgkmcnt(0)
	v_mul_f64 v[176:177], v[208:209], v[178:179]
	v_fma_f64 v[176:177], v[206:207], v[204:205], -v[176:177]
	v_mul_f64 v[206:207], v[206:207], v[178:179]
	v_fmac_f64_e32 v[206:207], v[208:209], v[204:205]
	v_add_f64 v[46:47], v[46:47], -v[206:207]
	ds_read2_b64 v[206:209], v253 offset0:78 offset1:79
	v_add_f64 v[44:45], v[44:45], -v[176:177]
	s_waitcnt lgkmcnt(0)
	v_mul_f64 v[176:177], v[208:209], v[178:179]
	v_fma_f64 v[176:177], v[206:207], v[204:205], -v[176:177]
	v_mul_f64 v[206:207], v[206:207], v[178:179]
	v_fmac_f64_e32 v[206:207], v[208:209], v[204:205]
	v_add_f64 v[42:43], v[42:43], -v[206:207]
	ds_read2_b64 v[206:209], v253 offset0:80 offset1:81
	v_add_f64 v[40:41], v[40:41], -v[176:177]
	s_waitcnt lgkmcnt(0)
	v_mul_f64 v[176:177], v[208:209], v[178:179]
	v_fma_f64 v[176:177], v[206:207], v[204:205], -v[176:177]
	v_mul_f64 v[206:207], v[206:207], v[178:179]
	v_fmac_f64_e32 v[206:207], v[208:209], v[204:205]
	v_add_f64 v[38:39], v[38:39], -v[206:207]
	ds_read2_b64 v[206:209], v253 offset0:82 offset1:83
	v_add_f64 v[36:37], v[36:37], -v[176:177]
	s_waitcnt lgkmcnt(0)
	v_mul_f64 v[176:177], v[208:209], v[178:179]
	v_fma_f64 v[176:177], v[206:207], v[204:205], -v[176:177]
	v_mul_f64 v[206:207], v[206:207], v[178:179]
	v_fmac_f64_e32 v[206:207], v[208:209], v[204:205]
	v_add_f64 v[34:35], v[34:35], -v[206:207]
	ds_read2_b64 v[206:209], v253 offset0:84 offset1:85
	v_add_f64 v[32:33], v[32:33], -v[176:177]
	s_waitcnt lgkmcnt(0)
	v_mul_f64 v[176:177], v[208:209], v[178:179]
	v_fma_f64 v[176:177], v[206:207], v[204:205], -v[176:177]
	v_mul_f64 v[206:207], v[206:207], v[178:179]
	v_fmac_f64_e32 v[206:207], v[208:209], v[204:205]
	v_add_f64 v[30:31], v[30:31], -v[206:207]
	ds_read2_b64 v[206:209], v253 offset0:86 offset1:87
	v_add_f64 v[28:29], v[28:29], -v[176:177]
	s_waitcnt lgkmcnt(0)
	v_mul_f64 v[176:177], v[208:209], v[178:179]
	v_fma_f64 v[176:177], v[206:207], v[204:205], -v[176:177]
	v_mul_f64 v[206:207], v[206:207], v[178:179]
	v_fmac_f64_e32 v[206:207], v[208:209], v[204:205]
	v_add_f64 v[26:27], v[26:27], -v[206:207]
	ds_read2_b64 v[206:209], v253 offset0:88 offset1:89
	v_add_f64 v[24:25], v[24:25], -v[176:177]
	s_waitcnt lgkmcnt(0)
	v_mul_f64 v[176:177], v[208:209], v[178:179]
	v_fma_f64 v[176:177], v[206:207], v[204:205], -v[176:177]
	v_mul_f64 v[206:207], v[206:207], v[178:179]
	v_fmac_f64_e32 v[206:207], v[208:209], v[204:205]
	v_add_f64 v[22:23], v[22:23], -v[206:207]
	ds_read2_b64 v[206:209], v253 offset0:90 offset1:91
	v_add_f64 v[20:21], v[20:21], -v[176:177]
	s_waitcnt lgkmcnt(0)
	v_mul_f64 v[176:177], v[208:209], v[178:179]
	v_fma_f64 v[176:177], v[206:207], v[204:205], -v[176:177]
	v_mul_f64 v[206:207], v[206:207], v[178:179]
	v_fmac_f64_e32 v[206:207], v[208:209], v[204:205]
	v_add_f64 v[18:19], v[18:19], -v[206:207]
	ds_read2_b64 v[206:209], v253 offset0:92 offset1:93
	v_add_f64 v[16:17], v[16:17], -v[176:177]
	s_waitcnt lgkmcnt(0)
	v_mul_f64 v[176:177], v[208:209], v[178:179]
	v_fma_f64 v[176:177], v[206:207], v[204:205], -v[176:177]
	v_mul_f64 v[206:207], v[206:207], v[178:179]
	v_fmac_f64_e32 v[206:207], v[208:209], v[204:205]
	v_add_f64 v[14:15], v[14:15], -v[206:207]
	ds_read2_b64 v[206:209], v253 offset0:94 offset1:95
	v_add_f64 v[12:13], v[12:13], -v[176:177]
	s_waitcnt lgkmcnt(0)
	v_mul_f64 v[176:177], v[208:209], v[178:179]
	v_fma_f64 v[176:177], v[206:207], v[204:205], -v[176:177]
	v_mul_f64 v[206:207], v[206:207], v[178:179]
	v_fmac_f64_e32 v[206:207], v[208:209], v[204:205]
	v_add_f64 v[10:11], v[10:11], -v[206:207]
	ds_read2_b64 v[206:209], v253 offset0:96 offset1:97
	v_add_f64 v[8:9], v[8:9], -v[176:177]
	s_waitcnt lgkmcnt(0)
	v_mul_f64 v[176:177], v[208:209], v[178:179]
	v_fma_f64 v[176:177], v[206:207], v[204:205], -v[176:177]
	v_mul_f64 v[206:207], v[206:207], v[178:179]
	v_fmac_f64_e32 v[206:207], v[208:209], v[204:205]
	v_add_f64 v[6:7], v[6:7], -v[206:207]
	ds_read2_b64 v[206:209], v253 offset0:98 offset1:99
	v_add_f64 v[4:5], v[4:5], -v[176:177]
	s_waitcnt lgkmcnt(0)
	v_mul_f64 v[176:177], v[208:209], v[178:179]
	v_fma_f64 v[176:177], v[206:207], v[204:205], -v[176:177]
	v_mul_f64 v[206:207], v[206:207], v[178:179]
	v_fmac_f64_e32 v[206:207], v[208:209], v[204:205]
	v_add_f64 v[2:3], v[2:3], -v[206:207]
	ds_read2_b64 v[206:209], v253 offset0:100 offset1:101
	v_add_f64 v[0:1], v[0:1], -v[176:177]
	s_waitcnt lgkmcnt(0)
	v_mul_f64 v[176:177], v[208:209], v[178:179]
	v_fma_f64 v[176:177], v[206:207], v[204:205], -v[176:177]
	v_mul_f64 v[206:207], v[206:207], v[178:179]
	v_fmac_f64_e32 v[206:207], v[208:209], v[204:205]
	v_add_f64 v[200:201], v[200:201], -v[176:177]
	v_add_f64 v[202:203], v[202:203], -v[206:207]
	v_mov_b64_e32 v[176:177], v[204:205]
.LBB101_55:
	s_or_b64 exec, exec, s[2:3]
	v_cmp_eq_u32_e32 vcc, 6, v254
	s_waitcnt vmcnt(63) expcnt(7) lgkmcnt(15)
	s_barrier
	s_and_saveexec_b64 s[4:5], vcc
	s_cbranch_execz .LBB101_62
; %bb.56:
	ds_write2_b64 v252, v[172:173], v[174:175] offset1:1
	ds_write2_b64 v253, v[168:169], v[170:171] offset0:14 offset1:15
	ds_write2_b64 v253, v[164:165], v[166:167] offset0:16 offset1:17
	;; [unrolled: 1-line block ×25, first 2 shown]
	s_waitcnt vmcnt(39)
	ds_write2_b64 v253, v[68:69], v[70:71] offset0:64 offset1:65
	s_waitcnt vmcnt(38)
	ds_write2_b64 v253, v[64:65], v[66:67] offset0:66 offset1:67
	;; [unrolled: 2-line block ×16, first 2 shown]
	ds_write2_b64 v253, v[4:5], v[6:7] offset0:96 offset1:97
	ds_write2_b64 v253, v[0:1], v[2:3] offset0:98 offset1:99
	s_waitcnt vmcnt(21)
	ds_write2_b64 v253, v[200:201], v[202:203] offset0:100 offset1:101
	ds_read2_b64 v[204:207], v252 offset1:1
	s_waitcnt lgkmcnt(0)
	v_cmp_neq_f64_e32 vcc, 0, v[204:205]
	v_cmp_neq_f64_e64 s[2:3], 0, v[206:207]
	s_or_b64 s[2:3], vcc, s[2:3]
	s_and_b64 exec, exec, s[2:3]
	s_cbranch_execz .LBB101_62
; %bb.57:
	v_cmp_ngt_f64_e64 s[2:3], |v[204:205]|, |v[206:207]|
                                        ; implicit-def: $vgpr208_vgpr209
	s_and_saveexec_b64 s[10:11], s[2:3]
	s_xor_b64 s[2:3], exec, s[10:11]
                                        ; implicit-def: $vgpr210_vgpr211
	s_cbranch_execz .LBB101_59
; %bb.58:
	v_div_scale_f64 v[208:209], s[10:11], v[206:207], v[206:207], v[204:205]
	v_rcp_f64_e32 v[210:211], v[208:209]
	v_div_scale_f64 v[212:213], vcc, v[204:205], v[206:207], v[204:205]
	v_fma_f64 v[214:215], -v[208:209], v[210:211], 1.0
	v_fmac_f64_e32 v[210:211], v[210:211], v[214:215]
	v_fma_f64 v[214:215], -v[208:209], v[210:211], 1.0
	v_fmac_f64_e32 v[210:211], v[210:211], v[214:215]
	v_mul_f64 v[214:215], v[212:213], v[210:211]
	v_fma_f64 v[208:209], -v[208:209], v[214:215], v[212:213]
	v_div_fmas_f64 v[208:209], v[208:209], v[210:211], v[214:215]
	v_div_fixup_f64 v[208:209], v[208:209], v[206:207], v[204:205]
	v_fmac_f64_e32 v[206:207], v[204:205], v[208:209]
	v_div_scale_f64 v[204:205], s[10:11], v[206:207], v[206:207], 1.0
	v_rcp_f64_e32 v[210:211], v[204:205]
	s_nop 0
	v_fma_f64 v[212:213], -v[204:205], v[210:211], 1.0
	v_fmac_f64_e32 v[210:211], v[210:211], v[212:213]
	v_fma_f64 v[212:213], -v[204:205], v[210:211], 1.0
	v_fmac_f64_e32 v[210:211], v[210:211], v[212:213]
	v_div_scale_f64 v[212:213], vcc, 1.0, v[206:207], 1.0
	v_mul_f64 v[214:215], v[212:213], v[210:211]
	v_fma_f64 v[204:205], -v[204:205], v[214:215], v[212:213]
	s_nop 1
	v_div_fmas_f64 v[204:205], v[204:205], v[210:211], v[214:215]
	v_div_fixup_f64 v[210:211], v[204:205], v[206:207], 1.0
	v_mul_f64 v[208:209], v[208:209], v[210:211]
	v_xor_b32_e32 v211, 0x80000000, v211
                                        ; implicit-def: $vgpr204_vgpr205
.LBB101_59:
	s_andn2_saveexec_b64 s[2:3], s[2:3]
	s_cbranch_execz .LBB101_61
; %bb.60:
	v_div_scale_f64 v[208:209], s[10:11], v[204:205], v[204:205], v[206:207]
	v_rcp_f64_e32 v[210:211], v[208:209]
	v_div_scale_f64 v[212:213], vcc, v[206:207], v[204:205], v[206:207]
	v_fma_f64 v[214:215], -v[208:209], v[210:211], 1.0
	v_fmac_f64_e32 v[210:211], v[210:211], v[214:215]
	v_fma_f64 v[214:215], -v[208:209], v[210:211], 1.0
	v_fmac_f64_e32 v[210:211], v[210:211], v[214:215]
	v_mul_f64 v[214:215], v[212:213], v[210:211]
	v_fma_f64 v[208:209], -v[208:209], v[214:215], v[212:213]
	v_div_fmas_f64 v[208:209], v[208:209], v[210:211], v[214:215]
	v_div_fixup_f64 v[210:211], v[208:209], v[204:205], v[206:207]
	v_fmac_f64_e32 v[204:205], v[206:207], v[210:211]
	v_div_scale_f64 v[206:207], s[10:11], v[204:205], v[204:205], 1.0
	v_rcp_f64_e32 v[208:209], v[206:207]
	s_nop 0
	v_fma_f64 v[212:213], -v[206:207], v[208:209], 1.0
	v_fmac_f64_e32 v[208:209], v[208:209], v[212:213]
	v_fma_f64 v[212:213], -v[206:207], v[208:209], 1.0
	v_fmac_f64_e32 v[208:209], v[208:209], v[212:213]
	v_div_scale_f64 v[212:213], vcc, 1.0, v[204:205], 1.0
	v_mul_f64 v[214:215], v[212:213], v[208:209]
	v_fma_f64 v[206:207], -v[206:207], v[214:215], v[212:213]
	s_nop 1
	v_div_fmas_f64 v[206:207], v[206:207], v[208:209], v[214:215]
	v_div_fixup_f64 v[208:209], v[206:207], v[204:205], 1.0
	v_mul_f64 v[210:211], v[210:211], -v[208:209]
.LBB101_61:
	s_or_b64 exec, exec, s[2:3]
	ds_write2_b64 v252, v[208:209], v[210:211] offset1:1
.LBB101_62:
	s_or_b64 exec, exec, s[4:5]
	s_waitcnt lgkmcnt(0)
	s_barrier
	ds_read2_b64 v[204:207], v252 offset1:1
	v_cmp_lt_u32_e32 vcc, 6, v254
	s_waitcnt lgkmcnt(0)
	scratch_store_dwordx4 off, v[204:207], off offset:504 ; 16-byte Folded Spill
	s_and_saveexec_b64 s[2:3], vcc
	s_cbranch_execz .LBB101_64
; %bb.63:
	scratch_load_dwordx4 v[206:209], off, off offset:504 ; 16-byte Folded Reload
	s_waitcnt vmcnt(0)
	v_mul_f64 v[204:205], v[208:209], v[174:175]
	v_mul_f64 v[174:175], v[206:207], v[174:175]
	v_fma_f64 v[204:205], v[206:207], v[172:173], -v[204:205]
	v_fmac_f64_e32 v[174:175], v[208:209], v[172:173]
	ds_read2_b64 v[206:209], v253 offset0:14 offset1:15
	s_waitcnt lgkmcnt(0)
	v_mul_f64 v[172:173], v[208:209], v[174:175]
	v_fma_f64 v[172:173], v[206:207], v[204:205], -v[172:173]
	v_mul_f64 v[206:207], v[206:207], v[174:175]
	v_fmac_f64_e32 v[206:207], v[208:209], v[204:205]
	v_add_f64 v[170:171], v[170:171], -v[206:207]
	ds_read2_b64 v[206:209], v253 offset0:16 offset1:17
	v_add_f64 v[168:169], v[168:169], -v[172:173]
	s_waitcnt lgkmcnt(0)
	v_mul_f64 v[172:173], v[208:209], v[174:175]
	v_fma_f64 v[172:173], v[206:207], v[204:205], -v[172:173]
	v_mul_f64 v[206:207], v[206:207], v[174:175]
	v_fmac_f64_e32 v[206:207], v[208:209], v[204:205]
	v_add_f64 v[166:167], v[166:167], -v[206:207]
	ds_read2_b64 v[206:209], v253 offset0:18 offset1:19
	v_add_f64 v[164:165], v[164:165], -v[172:173]
	;; [unrolled: 8-line block ×43, first 2 shown]
	s_waitcnt lgkmcnt(0)
	v_mul_f64 v[172:173], v[208:209], v[174:175]
	v_fma_f64 v[172:173], v[206:207], v[204:205], -v[172:173]
	v_mul_f64 v[206:207], v[206:207], v[174:175]
	v_fmac_f64_e32 v[206:207], v[208:209], v[204:205]
	v_add_f64 v[200:201], v[200:201], -v[172:173]
	v_add_f64 v[202:203], v[202:203], -v[206:207]
	v_mov_b64_e32 v[172:173], v[204:205]
.LBB101_64:
	s_or_b64 exec, exec, s[2:3]
	v_cmp_eq_u32_e32 vcc, 7, v254
	s_waitcnt vmcnt(63) expcnt(7) lgkmcnt(15)
	s_barrier
	s_and_saveexec_b64 s[4:5], vcc
	s_cbranch_execz .LBB101_71
; %bb.65:
	ds_write2_b64 v252, v[168:169], v[170:171] offset1:1
	ds_write2_b64 v253, v[164:165], v[166:167] offset0:16 offset1:17
	ds_write2_b64 v253, v[160:161], v[162:163] offset0:18 offset1:19
	;; [unrolled: 1-line block ×24, first 2 shown]
	s_waitcnt vmcnt(40)
	ds_write2_b64 v253, v[68:69], v[70:71] offset0:64 offset1:65
	s_waitcnt vmcnt(39)
	ds_write2_b64 v253, v[64:65], v[66:67] offset0:66 offset1:67
	;; [unrolled: 2-line block ×16, first 2 shown]
	ds_write2_b64 v253, v[4:5], v[6:7] offset0:96 offset1:97
	ds_write2_b64 v253, v[0:1], v[2:3] offset0:98 offset1:99
	s_waitcnt vmcnt(22)
	ds_write2_b64 v253, v[200:201], v[202:203] offset0:100 offset1:101
	ds_read2_b64 v[204:207], v252 offset1:1
	s_waitcnt lgkmcnt(0)
	v_cmp_neq_f64_e32 vcc, 0, v[204:205]
	v_cmp_neq_f64_e64 s[2:3], 0, v[206:207]
	s_or_b64 s[2:3], vcc, s[2:3]
	s_and_b64 exec, exec, s[2:3]
	s_cbranch_execz .LBB101_71
; %bb.66:
	v_cmp_ngt_f64_e64 s[2:3], |v[204:205]|, |v[206:207]|
                                        ; implicit-def: $vgpr208_vgpr209
	s_and_saveexec_b64 s[10:11], s[2:3]
	s_xor_b64 s[2:3], exec, s[10:11]
                                        ; implicit-def: $vgpr210_vgpr211
	s_cbranch_execz .LBB101_68
; %bb.67:
	v_div_scale_f64 v[208:209], s[10:11], v[206:207], v[206:207], v[204:205]
	v_rcp_f64_e32 v[210:211], v[208:209]
	v_div_scale_f64 v[212:213], vcc, v[204:205], v[206:207], v[204:205]
	v_fma_f64 v[214:215], -v[208:209], v[210:211], 1.0
	v_fmac_f64_e32 v[210:211], v[210:211], v[214:215]
	v_fma_f64 v[214:215], -v[208:209], v[210:211], 1.0
	v_fmac_f64_e32 v[210:211], v[210:211], v[214:215]
	v_mul_f64 v[214:215], v[212:213], v[210:211]
	v_fma_f64 v[208:209], -v[208:209], v[214:215], v[212:213]
	v_div_fmas_f64 v[208:209], v[208:209], v[210:211], v[214:215]
	v_div_fixup_f64 v[208:209], v[208:209], v[206:207], v[204:205]
	v_fmac_f64_e32 v[206:207], v[204:205], v[208:209]
	v_div_scale_f64 v[204:205], s[10:11], v[206:207], v[206:207], 1.0
	v_rcp_f64_e32 v[210:211], v[204:205]
	s_nop 0
	v_fma_f64 v[212:213], -v[204:205], v[210:211], 1.0
	v_fmac_f64_e32 v[210:211], v[210:211], v[212:213]
	v_fma_f64 v[212:213], -v[204:205], v[210:211], 1.0
	v_fmac_f64_e32 v[210:211], v[210:211], v[212:213]
	v_div_scale_f64 v[212:213], vcc, 1.0, v[206:207], 1.0
	v_mul_f64 v[214:215], v[212:213], v[210:211]
	v_fma_f64 v[204:205], -v[204:205], v[214:215], v[212:213]
	s_nop 1
	v_div_fmas_f64 v[204:205], v[204:205], v[210:211], v[214:215]
	v_div_fixup_f64 v[210:211], v[204:205], v[206:207], 1.0
	v_mul_f64 v[208:209], v[208:209], v[210:211]
	v_xor_b32_e32 v211, 0x80000000, v211
                                        ; implicit-def: $vgpr204_vgpr205
.LBB101_68:
	s_andn2_saveexec_b64 s[2:3], s[2:3]
	s_cbranch_execz .LBB101_70
; %bb.69:
	v_div_scale_f64 v[208:209], s[10:11], v[204:205], v[204:205], v[206:207]
	v_rcp_f64_e32 v[210:211], v[208:209]
	v_div_scale_f64 v[212:213], vcc, v[206:207], v[204:205], v[206:207]
	v_fma_f64 v[214:215], -v[208:209], v[210:211], 1.0
	v_fmac_f64_e32 v[210:211], v[210:211], v[214:215]
	v_fma_f64 v[214:215], -v[208:209], v[210:211], 1.0
	v_fmac_f64_e32 v[210:211], v[210:211], v[214:215]
	v_mul_f64 v[214:215], v[212:213], v[210:211]
	v_fma_f64 v[208:209], -v[208:209], v[214:215], v[212:213]
	v_div_fmas_f64 v[208:209], v[208:209], v[210:211], v[214:215]
	v_div_fixup_f64 v[210:211], v[208:209], v[204:205], v[206:207]
	v_fmac_f64_e32 v[204:205], v[206:207], v[210:211]
	v_div_scale_f64 v[206:207], s[10:11], v[204:205], v[204:205], 1.0
	v_rcp_f64_e32 v[208:209], v[206:207]
	s_nop 0
	v_fma_f64 v[212:213], -v[206:207], v[208:209], 1.0
	v_fmac_f64_e32 v[208:209], v[208:209], v[212:213]
	v_fma_f64 v[212:213], -v[206:207], v[208:209], 1.0
	v_fmac_f64_e32 v[208:209], v[208:209], v[212:213]
	v_div_scale_f64 v[212:213], vcc, 1.0, v[204:205], 1.0
	v_mul_f64 v[214:215], v[212:213], v[208:209]
	v_fma_f64 v[206:207], -v[206:207], v[214:215], v[212:213]
	s_nop 1
	v_div_fmas_f64 v[206:207], v[206:207], v[208:209], v[214:215]
	v_div_fixup_f64 v[208:209], v[206:207], v[204:205], 1.0
	v_mul_f64 v[210:211], v[210:211], -v[208:209]
.LBB101_70:
	s_or_b64 exec, exec, s[2:3]
	ds_write2_b64 v252, v[208:209], v[210:211] offset1:1
.LBB101_71:
	s_or_b64 exec, exec, s[4:5]
	s_waitcnt lgkmcnt(0)
	s_barrier
	ds_read2_b64 v[204:207], v252 offset1:1
	v_cmp_lt_u32_e32 vcc, 7, v254
	s_waitcnt lgkmcnt(0)
	scratch_store_dwordx4 off, v[204:207], off offset:520 ; 16-byte Folded Spill
	s_and_saveexec_b64 s[2:3], vcc
	s_cbranch_execz .LBB101_73
; %bb.72:
	scratch_load_dwordx4 v[206:209], off, off offset:520 ; 16-byte Folded Reload
	s_waitcnt vmcnt(0)
	v_mul_f64 v[204:205], v[208:209], v[170:171]
	v_mul_f64 v[170:171], v[206:207], v[170:171]
	v_fma_f64 v[204:205], v[206:207], v[168:169], -v[204:205]
	v_fmac_f64_e32 v[170:171], v[208:209], v[168:169]
	ds_read2_b64 v[206:209], v253 offset0:16 offset1:17
	s_waitcnt lgkmcnt(0)
	v_mul_f64 v[168:169], v[208:209], v[170:171]
	v_fma_f64 v[168:169], v[206:207], v[204:205], -v[168:169]
	v_mul_f64 v[206:207], v[206:207], v[170:171]
	v_fmac_f64_e32 v[206:207], v[208:209], v[204:205]
	v_add_f64 v[166:167], v[166:167], -v[206:207]
	ds_read2_b64 v[206:209], v253 offset0:18 offset1:19
	v_add_f64 v[164:165], v[164:165], -v[168:169]
	s_waitcnt lgkmcnt(0)
	v_mul_f64 v[168:169], v[208:209], v[170:171]
	v_fma_f64 v[168:169], v[206:207], v[204:205], -v[168:169]
	v_mul_f64 v[206:207], v[206:207], v[170:171]
	v_fmac_f64_e32 v[206:207], v[208:209], v[204:205]
	v_add_f64 v[162:163], v[162:163], -v[206:207]
	ds_read2_b64 v[206:209], v253 offset0:20 offset1:21
	v_add_f64 v[160:161], v[160:161], -v[168:169]
	;; [unrolled: 8-line block ×42, first 2 shown]
	s_waitcnt lgkmcnt(0)
	v_mul_f64 v[168:169], v[208:209], v[170:171]
	v_fma_f64 v[168:169], v[206:207], v[204:205], -v[168:169]
	v_mul_f64 v[206:207], v[206:207], v[170:171]
	v_fmac_f64_e32 v[206:207], v[208:209], v[204:205]
	v_add_f64 v[200:201], v[200:201], -v[168:169]
	v_add_f64 v[202:203], v[202:203], -v[206:207]
	v_mov_b64_e32 v[168:169], v[204:205]
.LBB101_73:
	s_or_b64 exec, exec, s[2:3]
	v_cmp_eq_u32_e32 vcc, 8, v254
	s_waitcnt vmcnt(63) expcnt(7) lgkmcnt(15)
	s_barrier
	s_and_saveexec_b64 s[4:5], vcc
	s_cbranch_execz .LBB101_80
; %bb.74:
	ds_write2_b64 v252, v[164:165], v[166:167] offset1:1
	ds_write2_b64 v253, v[160:161], v[162:163] offset0:18 offset1:19
	ds_write2_b64 v253, v[156:157], v[158:159] offset0:20 offset1:21
	;; [unrolled: 1-line block ×23, first 2 shown]
	s_waitcnt vmcnt(41)
	ds_write2_b64 v253, v[68:69], v[70:71] offset0:64 offset1:65
	s_waitcnt vmcnt(40)
	ds_write2_b64 v253, v[64:65], v[66:67] offset0:66 offset1:67
	;; [unrolled: 2-line block ×16, first 2 shown]
	ds_write2_b64 v253, v[4:5], v[6:7] offset0:96 offset1:97
	ds_write2_b64 v253, v[0:1], v[2:3] offset0:98 offset1:99
	s_waitcnt vmcnt(23)
	ds_write2_b64 v253, v[200:201], v[202:203] offset0:100 offset1:101
	ds_read2_b64 v[204:207], v252 offset1:1
	s_waitcnt lgkmcnt(0)
	v_cmp_neq_f64_e32 vcc, 0, v[204:205]
	v_cmp_neq_f64_e64 s[2:3], 0, v[206:207]
	s_or_b64 s[2:3], vcc, s[2:3]
	s_and_b64 exec, exec, s[2:3]
	s_cbranch_execz .LBB101_80
; %bb.75:
	v_cmp_ngt_f64_e64 s[2:3], |v[204:205]|, |v[206:207]|
                                        ; implicit-def: $vgpr208_vgpr209
	s_and_saveexec_b64 s[10:11], s[2:3]
	s_xor_b64 s[2:3], exec, s[10:11]
                                        ; implicit-def: $vgpr210_vgpr211
	s_cbranch_execz .LBB101_77
; %bb.76:
	v_div_scale_f64 v[208:209], s[10:11], v[206:207], v[206:207], v[204:205]
	v_rcp_f64_e32 v[210:211], v[208:209]
	v_div_scale_f64 v[212:213], vcc, v[204:205], v[206:207], v[204:205]
	v_fma_f64 v[214:215], -v[208:209], v[210:211], 1.0
	v_fmac_f64_e32 v[210:211], v[210:211], v[214:215]
	v_fma_f64 v[214:215], -v[208:209], v[210:211], 1.0
	v_fmac_f64_e32 v[210:211], v[210:211], v[214:215]
	v_mul_f64 v[214:215], v[212:213], v[210:211]
	v_fma_f64 v[208:209], -v[208:209], v[214:215], v[212:213]
	v_div_fmas_f64 v[208:209], v[208:209], v[210:211], v[214:215]
	v_div_fixup_f64 v[208:209], v[208:209], v[206:207], v[204:205]
	v_fmac_f64_e32 v[206:207], v[204:205], v[208:209]
	v_div_scale_f64 v[204:205], s[10:11], v[206:207], v[206:207], 1.0
	v_rcp_f64_e32 v[210:211], v[204:205]
	s_nop 0
	v_fma_f64 v[212:213], -v[204:205], v[210:211], 1.0
	v_fmac_f64_e32 v[210:211], v[210:211], v[212:213]
	v_fma_f64 v[212:213], -v[204:205], v[210:211], 1.0
	v_fmac_f64_e32 v[210:211], v[210:211], v[212:213]
	v_div_scale_f64 v[212:213], vcc, 1.0, v[206:207], 1.0
	v_mul_f64 v[214:215], v[212:213], v[210:211]
	v_fma_f64 v[204:205], -v[204:205], v[214:215], v[212:213]
	s_nop 1
	v_div_fmas_f64 v[204:205], v[204:205], v[210:211], v[214:215]
	v_div_fixup_f64 v[210:211], v[204:205], v[206:207], 1.0
	v_mul_f64 v[208:209], v[208:209], v[210:211]
	v_xor_b32_e32 v211, 0x80000000, v211
                                        ; implicit-def: $vgpr204_vgpr205
.LBB101_77:
	s_andn2_saveexec_b64 s[2:3], s[2:3]
	s_cbranch_execz .LBB101_79
; %bb.78:
	v_div_scale_f64 v[208:209], s[10:11], v[204:205], v[204:205], v[206:207]
	v_rcp_f64_e32 v[210:211], v[208:209]
	v_div_scale_f64 v[212:213], vcc, v[206:207], v[204:205], v[206:207]
	v_fma_f64 v[214:215], -v[208:209], v[210:211], 1.0
	v_fmac_f64_e32 v[210:211], v[210:211], v[214:215]
	v_fma_f64 v[214:215], -v[208:209], v[210:211], 1.0
	v_fmac_f64_e32 v[210:211], v[210:211], v[214:215]
	v_mul_f64 v[214:215], v[212:213], v[210:211]
	v_fma_f64 v[208:209], -v[208:209], v[214:215], v[212:213]
	v_div_fmas_f64 v[208:209], v[208:209], v[210:211], v[214:215]
	v_div_fixup_f64 v[210:211], v[208:209], v[204:205], v[206:207]
	v_fmac_f64_e32 v[204:205], v[206:207], v[210:211]
	v_div_scale_f64 v[206:207], s[10:11], v[204:205], v[204:205], 1.0
	v_rcp_f64_e32 v[208:209], v[206:207]
	s_nop 0
	v_fma_f64 v[212:213], -v[206:207], v[208:209], 1.0
	v_fmac_f64_e32 v[208:209], v[208:209], v[212:213]
	v_fma_f64 v[212:213], -v[206:207], v[208:209], 1.0
	v_fmac_f64_e32 v[208:209], v[208:209], v[212:213]
	v_div_scale_f64 v[212:213], vcc, 1.0, v[204:205], 1.0
	v_mul_f64 v[214:215], v[212:213], v[208:209]
	v_fma_f64 v[206:207], -v[206:207], v[214:215], v[212:213]
	s_nop 1
	v_div_fmas_f64 v[206:207], v[206:207], v[208:209], v[214:215]
	v_div_fixup_f64 v[208:209], v[206:207], v[204:205], 1.0
	v_mul_f64 v[210:211], v[210:211], -v[208:209]
.LBB101_79:
	s_or_b64 exec, exec, s[2:3]
	ds_write2_b64 v252, v[208:209], v[210:211] offset1:1
.LBB101_80:
	s_or_b64 exec, exec, s[4:5]
	s_waitcnt lgkmcnt(0)
	s_barrier
	ds_read2_b64 v[204:207], v252 offset1:1
	v_cmp_lt_u32_e32 vcc, 8, v254
	s_waitcnt lgkmcnt(0)
	scratch_store_dwordx4 off, v[204:207], off offset:536 ; 16-byte Folded Spill
	s_and_saveexec_b64 s[2:3], vcc
	s_cbranch_execz .LBB101_82
; %bb.81:
	scratch_load_dwordx4 v[206:209], off, off offset:536 ; 16-byte Folded Reload
	s_waitcnt vmcnt(0)
	v_mul_f64 v[204:205], v[208:209], v[166:167]
	v_mul_f64 v[166:167], v[206:207], v[166:167]
	v_fma_f64 v[204:205], v[206:207], v[164:165], -v[204:205]
	v_fmac_f64_e32 v[166:167], v[208:209], v[164:165]
	ds_read2_b64 v[206:209], v253 offset0:18 offset1:19
	s_waitcnt lgkmcnt(0)
	v_mul_f64 v[164:165], v[208:209], v[166:167]
	v_fma_f64 v[164:165], v[206:207], v[204:205], -v[164:165]
	v_mul_f64 v[206:207], v[206:207], v[166:167]
	v_fmac_f64_e32 v[206:207], v[208:209], v[204:205]
	v_add_f64 v[162:163], v[162:163], -v[206:207]
	ds_read2_b64 v[206:209], v253 offset0:20 offset1:21
	v_add_f64 v[160:161], v[160:161], -v[164:165]
	s_waitcnt lgkmcnt(0)
	v_mul_f64 v[164:165], v[208:209], v[166:167]
	v_fma_f64 v[164:165], v[206:207], v[204:205], -v[164:165]
	v_mul_f64 v[206:207], v[206:207], v[166:167]
	v_fmac_f64_e32 v[206:207], v[208:209], v[204:205]
	v_add_f64 v[158:159], v[158:159], -v[206:207]
	ds_read2_b64 v[206:209], v253 offset0:22 offset1:23
	v_add_f64 v[156:157], v[156:157], -v[164:165]
	;; [unrolled: 8-line block ×41, first 2 shown]
	s_waitcnt lgkmcnt(0)
	v_mul_f64 v[164:165], v[208:209], v[166:167]
	v_fma_f64 v[164:165], v[206:207], v[204:205], -v[164:165]
	v_mul_f64 v[206:207], v[206:207], v[166:167]
	v_fmac_f64_e32 v[206:207], v[208:209], v[204:205]
	v_add_f64 v[200:201], v[200:201], -v[164:165]
	v_add_f64 v[202:203], v[202:203], -v[206:207]
	v_mov_b64_e32 v[164:165], v[204:205]
.LBB101_82:
	s_or_b64 exec, exec, s[2:3]
	v_cmp_eq_u32_e32 vcc, 9, v254
	s_waitcnt vmcnt(63) expcnt(7) lgkmcnt(15)
	s_barrier
	s_and_saveexec_b64 s[4:5], vcc
	s_cbranch_execz .LBB101_89
; %bb.83:
	ds_write2_b64 v252, v[160:161], v[162:163] offset1:1
	ds_write2_b64 v253, v[156:157], v[158:159] offset0:20 offset1:21
	ds_write2_b64 v253, v[152:153], v[154:155] offset0:22 offset1:23
	ds_write2_b64 v253, v[148:149], v[150:151] offset0:24 offset1:25
	ds_write2_b64 v253, v[144:145], v[146:147] offset0:26 offset1:27
	ds_write2_b64 v253, v[140:141], v[142:143] offset0:28 offset1:29
	ds_write2_b64 v253, v[136:137], v[138:139] offset0:30 offset1:31
	ds_write2_b64 v253, v[132:133], v[134:135] offset0:32 offset1:33
	ds_write2_b64 v253, v[128:129], v[130:131] offset0:34 offset1:35
	ds_write2_b64 v253, v[124:125], v[126:127] offset0:36 offset1:37
	ds_write2_b64 v253, v[120:121], v[122:123] offset0:38 offset1:39
	ds_write2_b64 v253, v[116:117], v[118:119] offset0:40 offset1:41
	ds_write2_b64 v253, v[112:113], v[114:115] offset0:42 offset1:43
	ds_write2_b64 v253, v[108:109], v[110:111] offset0:44 offset1:45
	ds_write2_b64 v253, v[104:105], v[106:107] offset0:46 offset1:47
	ds_write2_b64 v253, v[100:101], v[102:103] offset0:48 offset1:49
	ds_write2_b64 v253, v[96:97], v[98:99] offset0:50 offset1:51
	ds_write2_b64 v253, v[92:93], v[94:95] offset0:52 offset1:53
	ds_write2_b64 v253, v[88:89], v[90:91] offset0:54 offset1:55
	ds_write2_b64 v253, v[84:85], v[86:87] offset0:56 offset1:57
	ds_write2_b64 v253, v[80:81], v[82:83] offset0:58 offset1:59
	ds_write2_b64 v253, v[76:77], v[78:79] offset0:60 offset1:61
	ds_write2_b64 v253, v[72:73], v[74:75] offset0:62 offset1:63
	s_waitcnt vmcnt(42)
	ds_write2_b64 v253, v[68:69], v[70:71] offset0:64 offset1:65
	s_waitcnt vmcnt(41)
	ds_write2_b64 v253, v[64:65], v[66:67] offset0:66 offset1:67
	;; [unrolled: 2-line block ×16, first 2 shown]
	ds_write2_b64 v253, v[4:5], v[6:7] offset0:96 offset1:97
	ds_write2_b64 v253, v[0:1], v[2:3] offset0:98 offset1:99
	s_waitcnt vmcnt(24)
	ds_write2_b64 v253, v[200:201], v[202:203] offset0:100 offset1:101
	ds_read2_b64 v[204:207], v252 offset1:1
	s_waitcnt lgkmcnt(0)
	v_cmp_neq_f64_e32 vcc, 0, v[204:205]
	v_cmp_neq_f64_e64 s[2:3], 0, v[206:207]
	s_or_b64 s[2:3], vcc, s[2:3]
	s_and_b64 exec, exec, s[2:3]
	s_cbranch_execz .LBB101_89
; %bb.84:
	v_cmp_ngt_f64_e64 s[2:3], |v[204:205]|, |v[206:207]|
                                        ; implicit-def: $vgpr208_vgpr209
	s_and_saveexec_b64 s[10:11], s[2:3]
	s_xor_b64 s[2:3], exec, s[10:11]
                                        ; implicit-def: $vgpr210_vgpr211
	s_cbranch_execz .LBB101_86
; %bb.85:
	v_div_scale_f64 v[208:209], s[10:11], v[206:207], v[206:207], v[204:205]
	v_rcp_f64_e32 v[210:211], v[208:209]
	v_div_scale_f64 v[212:213], vcc, v[204:205], v[206:207], v[204:205]
	v_fma_f64 v[214:215], -v[208:209], v[210:211], 1.0
	v_fmac_f64_e32 v[210:211], v[210:211], v[214:215]
	v_fma_f64 v[214:215], -v[208:209], v[210:211], 1.0
	v_fmac_f64_e32 v[210:211], v[210:211], v[214:215]
	v_mul_f64 v[214:215], v[212:213], v[210:211]
	v_fma_f64 v[208:209], -v[208:209], v[214:215], v[212:213]
	v_div_fmas_f64 v[208:209], v[208:209], v[210:211], v[214:215]
	v_div_fixup_f64 v[208:209], v[208:209], v[206:207], v[204:205]
	v_fmac_f64_e32 v[206:207], v[204:205], v[208:209]
	v_div_scale_f64 v[204:205], s[10:11], v[206:207], v[206:207], 1.0
	v_rcp_f64_e32 v[210:211], v[204:205]
	s_nop 0
	v_fma_f64 v[212:213], -v[204:205], v[210:211], 1.0
	v_fmac_f64_e32 v[210:211], v[210:211], v[212:213]
	v_fma_f64 v[212:213], -v[204:205], v[210:211], 1.0
	v_fmac_f64_e32 v[210:211], v[210:211], v[212:213]
	v_div_scale_f64 v[212:213], vcc, 1.0, v[206:207], 1.0
	v_mul_f64 v[214:215], v[212:213], v[210:211]
	v_fma_f64 v[204:205], -v[204:205], v[214:215], v[212:213]
	s_nop 1
	v_div_fmas_f64 v[204:205], v[204:205], v[210:211], v[214:215]
	v_div_fixup_f64 v[210:211], v[204:205], v[206:207], 1.0
	v_mul_f64 v[208:209], v[208:209], v[210:211]
	v_xor_b32_e32 v211, 0x80000000, v211
                                        ; implicit-def: $vgpr204_vgpr205
.LBB101_86:
	s_andn2_saveexec_b64 s[2:3], s[2:3]
	s_cbranch_execz .LBB101_88
; %bb.87:
	v_div_scale_f64 v[208:209], s[10:11], v[204:205], v[204:205], v[206:207]
	v_rcp_f64_e32 v[210:211], v[208:209]
	v_div_scale_f64 v[212:213], vcc, v[206:207], v[204:205], v[206:207]
	v_fma_f64 v[214:215], -v[208:209], v[210:211], 1.0
	v_fmac_f64_e32 v[210:211], v[210:211], v[214:215]
	v_fma_f64 v[214:215], -v[208:209], v[210:211], 1.0
	v_fmac_f64_e32 v[210:211], v[210:211], v[214:215]
	v_mul_f64 v[214:215], v[212:213], v[210:211]
	v_fma_f64 v[208:209], -v[208:209], v[214:215], v[212:213]
	v_div_fmas_f64 v[208:209], v[208:209], v[210:211], v[214:215]
	v_div_fixup_f64 v[210:211], v[208:209], v[204:205], v[206:207]
	v_fmac_f64_e32 v[204:205], v[206:207], v[210:211]
	v_div_scale_f64 v[206:207], s[10:11], v[204:205], v[204:205], 1.0
	v_rcp_f64_e32 v[208:209], v[206:207]
	s_nop 0
	v_fma_f64 v[212:213], -v[206:207], v[208:209], 1.0
	v_fmac_f64_e32 v[208:209], v[208:209], v[212:213]
	v_fma_f64 v[212:213], -v[206:207], v[208:209], 1.0
	v_fmac_f64_e32 v[208:209], v[208:209], v[212:213]
	v_div_scale_f64 v[212:213], vcc, 1.0, v[204:205], 1.0
	v_mul_f64 v[214:215], v[212:213], v[208:209]
	v_fma_f64 v[206:207], -v[206:207], v[214:215], v[212:213]
	s_nop 1
	v_div_fmas_f64 v[206:207], v[206:207], v[208:209], v[214:215]
	v_div_fixup_f64 v[208:209], v[206:207], v[204:205], 1.0
	v_mul_f64 v[210:211], v[210:211], -v[208:209]
.LBB101_88:
	s_or_b64 exec, exec, s[2:3]
	ds_write2_b64 v252, v[208:209], v[210:211] offset1:1
.LBB101_89:
	s_or_b64 exec, exec, s[4:5]
	s_waitcnt lgkmcnt(0)
	s_barrier
	ds_read2_b64 v[204:207], v252 offset1:1
	v_cmp_lt_u32_e32 vcc, 9, v254
	s_waitcnt lgkmcnt(0)
	scratch_store_dwordx4 off, v[204:207], off offset:552 ; 16-byte Folded Spill
	s_and_saveexec_b64 s[2:3], vcc
	s_cbranch_execz .LBB101_91
; %bb.90:
	scratch_load_dwordx4 v[206:209], off, off offset:552 ; 16-byte Folded Reload
	s_waitcnt vmcnt(0)
	v_mul_f64 v[204:205], v[208:209], v[162:163]
	v_mul_f64 v[162:163], v[206:207], v[162:163]
	v_fma_f64 v[204:205], v[206:207], v[160:161], -v[204:205]
	v_fmac_f64_e32 v[162:163], v[208:209], v[160:161]
	ds_read2_b64 v[206:209], v253 offset0:20 offset1:21
	s_waitcnt lgkmcnt(0)
	v_mul_f64 v[160:161], v[208:209], v[162:163]
	v_fma_f64 v[160:161], v[206:207], v[204:205], -v[160:161]
	v_mul_f64 v[206:207], v[206:207], v[162:163]
	v_fmac_f64_e32 v[206:207], v[208:209], v[204:205]
	v_add_f64 v[158:159], v[158:159], -v[206:207]
	ds_read2_b64 v[206:209], v253 offset0:22 offset1:23
	v_add_f64 v[156:157], v[156:157], -v[160:161]
	s_waitcnt lgkmcnt(0)
	v_mul_f64 v[160:161], v[208:209], v[162:163]
	v_fma_f64 v[160:161], v[206:207], v[204:205], -v[160:161]
	v_mul_f64 v[206:207], v[206:207], v[162:163]
	v_fmac_f64_e32 v[206:207], v[208:209], v[204:205]
	v_add_f64 v[154:155], v[154:155], -v[206:207]
	ds_read2_b64 v[206:209], v253 offset0:24 offset1:25
	v_add_f64 v[152:153], v[152:153], -v[160:161]
	;; [unrolled: 8-line block ×40, first 2 shown]
	s_waitcnt lgkmcnt(0)
	v_mul_f64 v[160:161], v[208:209], v[162:163]
	v_fma_f64 v[160:161], v[206:207], v[204:205], -v[160:161]
	v_mul_f64 v[206:207], v[206:207], v[162:163]
	v_fmac_f64_e32 v[206:207], v[208:209], v[204:205]
	v_add_f64 v[200:201], v[200:201], -v[160:161]
	v_add_f64 v[202:203], v[202:203], -v[206:207]
	v_mov_b64_e32 v[160:161], v[204:205]
.LBB101_91:
	s_or_b64 exec, exec, s[2:3]
	v_cmp_eq_u32_e32 vcc, 10, v254
	s_waitcnt vmcnt(63) expcnt(7) lgkmcnt(15)
	s_barrier
	s_and_saveexec_b64 s[4:5], vcc
	s_cbranch_execz .LBB101_98
; %bb.92:
	ds_write2_b64 v252, v[156:157], v[158:159] offset1:1
	ds_write2_b64 v253, v[152:153], v[154:155] offset0:22 offset1:23
	ds_write2_b64 v253, v[148:149], v[150:151] offset0:24 offset1:25
	;; [unrolled: 1-line block ×21, first 2 shown]
	s_waitcnt vmcnt(43)
	ds_write2_b64 v253, v[68:69], v[70:71] offset0:64 offset1:65
	s_waitcnt vmcnt(42)
	ds_write2_b64 v253, v[64:65], v[66:67] offset0:66 offset1:67
	;; [unrolled: 2-line block ×16, first 2 shown]
	ds_write2_b64 v253, v[4:5], v[6:7] offset0:96 offset1:97
	ds_write2_b64 v253, v[0:1], v[2:3] offset0:98 offset1:99
	s_waitcnt vmcnt(25)
	ds_write2_b64 v253, v[200:201], v[202:203] offset0:100 offset1:101
	ds_read2_b64 v[204:207], v252 offset1:1
	s_waitcnt lgkmcnt(0)
	v_cmp_neq_f64_e32 vcc, 0, v[204:205]
	v_cmp_neq_f64_e64 s[2:3], 0, v[206:207]
	s_or_b64 s[2:3], vcc, s[2:3]
	s_and_b64 exec, exec, s[2:3]
	s_cbranch_execz .LBB101_98
; %bb.93:
	v_cmp_ngt_f64_e64 s[2:3], |v[204:205]|, |v[206:207]|
                                        ; implicit-def: $vgpr208_vgpr209
	s_and_saveexec_b64 s[10:11], s[2:3]
	s_xor_b64 s[2:3], exec, s[10:11]
                                        ; implicit-def: $vgpr210_vgpr211
	s_cbranch_execz .LBB101_95
; %bb.94:
	v_div_scale_f64 v[208:209], s[10:11], v[206:207], v[206:207], v[204:205]
	v_rcp_f64_e32 v[210:211], v[208:209]
	v_div_scale_f64 v[212:213], vcc, v[204:205], v[206:207], v[204:205]
	v_fma_f64 v[214:215], -v[208:209], v[210:211], 1.0
	v_fmac_f64_e32 v[210:211], v[210:211], v[214:215]
	v_fma_f64 v[214:215], -v[208:209], v[210:211], 1.0
	v_fmac_f64_e32 v[210:211], v[210:211], v[214:215]
	v_mul_f64 v[214:215], v[212:213], v[210:211]
	v_fma_f64 v[208:209], -v[208:209], v[214:215], v[212:213]
	v_div_fmas_f64 v[208:209], v[208:209], v[210:211], v[214:215]
	v_div_fixup_f64 v[208:209], v[208:209], v[206:207], v[204:205]
	v_fmac_f64_e32 v[206:207], v[204:205], v[208:209]
	v_div_scale_f64 v[204:205], s[10:11], v[206:207], v[206:207], 1.0
	v_rcp_f64_e32 v[210:211], v[204:205]
	s_nop 0
	v_fma_f64 v[212:213], -v[204:205], v[210:211], 1.0
	v_fmac_f64_e32 v[210:211], v[210:211], v[212:213]
	v_fma_f64 v[212:213], -v[204:205], v[210:211], 1.0
	v_fmac_f64_e32 v[210:211], v[210:211], v[212:213]
	v_div_scale_f64 v[212:213], vcc, 1.0, v[206:207], 1.0
	v_mul_f64 v[214:215], v[212:213], v[210:211]
	v_fma_f64 v[204:205], -v[204:205], v[214:215], v[212:213]
	s_nop 1
	v_div_fmas_f64 v[204:205], v[204:205], v[210:211], v[214:215]
	v_div_fixup_f64 v[210:211], v[204:205], v[206:207], 1.0
	v_mul_f64 v[208:209], v[208:209], v[210:211]
	v_xor_b32_e32 v211, 0x80000000, v211
                                        ; implicit-def: $vgpr204_vgpr205
.LBB101_95:
	s_andn2_saveexec_b64 s[2:3], s[2:3]
	s_cbranch_execz .LBB101_97
; %bb.96:
	v_div_scale_f64 v[208:209], s[10:11], v[204:205], v[204:205], v[206:207]
	v_rcp_f64_e32 v[210:211], v[208:209]
	v_div_scale_f64 v[212:213], vcc, v[206:207], v[204:205], v[206:207]
	v_fma_f64 v[214:215], -v[208:209], v[210:211], 1.0
	v_fmac_f64_e32 v[210:211], v[210:211], v[214:215]
	v_fma_f64 v[214:215], -v[208:209], v[210:211], 1.0
	v_fmac_f64_e32 v[210:211], v[210:211], v[214:215]
	v_mul_f64 v[214:215], v[212:213], v[210:211]
	v_fma_f64 v[208:209], -v[208:209], v[214:215], v[212:213]
	v_div_fmas_f64 v[208:209], v[208:209], v[210:211], v[214:215]
	v_div_fixup_f64 v[210:211], v[208:209], v[204:205], v[206:207]
	v_fmac_f64_e32 v[204:205], v[206:207], v[210:211]
	v_div_scale_f64 v[206:207], s[10:11], v[204:205], v[204:205], 1.0
	v_rcp_f64_e32 v[208:209], v[206:207]
	s_nop 0
	v_fma_f64 v[212:213], -v[206:207], v[208:209], 1.0
	v_fmac_f64_e32 v[208:209], v[208:209], v[212:213]
	v_fma_f64 v[212:213], -v[206:207], v[208:209], 1.0
	v_fmac_f64_e32 v[208:209], v[208:209], v[212:213]
	v_div_scale_f64 v[212:213], vcc, 1.0, v[204:205], 1.0
	v_mul_f64 v[214:215], v[212:213], v[208:209]
	v_fma_f64 v[206:207], -v[206:207], v[214:215], v[212:213]
	s_nop 1
	v_div_fmas_f64 v[206:207], v[206:207], v[208:209], v[214:215]
	v_div_fixup_f64 v[208:209], v[206:207], v[204:205], 1.0
	v_mul_f64 v[210:211], v[210:211], -v[208:209]
.LBB101_97:
	s_or_b64 exec, exec, s[2:3]
	ds_write2_b64 v252, v[208:209], v[210:211] offset1:1
.LBB101_98:
	s_or_b64 exec, exec, s[4:5]
	s_waitcnt lgkmcnt(0)
	s_barrier
	ds_read2_b64 v[204:207], v252 offset1:1
	v_cmp_lt_u32_e32 vcc, 10, v254
	s_waitcnt lgkmcnt(0)
	scratch_store_dwordx4 off, v[204:207], off offset:568 ; 16-byte Folded Spill
	s_and_saveexec_b64 s[2:3], vcc
	s_cbranch_execz .LBB101_100
; %bb.99:
	scratch_load_dwordx4 v[206:209], off, off offset:568 ; 16-byte Folded Reload
	s_waitcnt vmcnt(0)
	v_mul_f64 v[204:205], v[208:209], v[158:159]
	v_mul_f64 v[158:159], v[206:207], v[158:159]
	v_fma_f64 v[204:205], v[206:207], v[156:157], -v[204:205]
	v_fmac_f64_e32 v[158:159], v[208:209], v[156:157]
	ds_read2_b64 v[206:209], v253 offset0:22 offset1:23
	s_waitcnt lgkmcnt(0)
	v_mul_f64 v[156:157], v[208:209], v[158:159]
	v_fma_f64 v[156:157], v[206:207], v[204:205], -v[156:157]
	v_mul_f64 v[206:207], v[206:207], v[158:159]
	v_fmac_f64_e32 v[206:207], v[208:209], v[204:205]
	v_add_f64 v[154:155], v[154:155], -v[206:207]
	ds_read2_b64 v[206:209], v253 offset0:24 offset1:25
	v_add_f64 v[152:153], v[152:153], -v[156:157]
	s_waitcnt lgkmcnt(0)
	v_mul_f64 v[156:157], v[208:209], v[158:159]
	v_fma_f64 v[156:157], v[206:207], v[204:205], -v[156:157]
	v_mul_f64 v[206:207], v[206:207], v[158:159]
	v_fmac_f64_e32 v[206:207], v[208:209], v[204:205]
	v_add_f64 v[150:151], v[150:151], -v[206:207]
	ds_read2_b64 v[206:209], v253 offset0:26 offset1:27
	v_add_f64 v[148:149], v[148:149], -v[156:157]
	;; [unrolled: 8-line block ×39, first 2 shown]
	s_waitcnt lgkmcnt(0)
	v_mul_f64 v[156:157], v[208:209], v[158:159]
	v_fma_f64 v[156:157], v[206:207], v[204:205], -v[156:157]
	v_mul_f64 v[206:207], v[206:207], v[158:159]
	v_fmac_f64_e32 v[206:207], v[208:209], v[204:205]
	v_add_f64 v[200:201], v[200:201], -v[156:157]
	v_add_f64 v[202:203], v[202:203], -v[206:207]
	v_mov_b64_e32 v[156:157], v[204:205]
.LBB101_100:
	s_or_b64 exec, exec, s[2:3]
	v_cmp_eq_u32_e32 vcc, 11, v254
	s_waitcnt vmcnt(63) expcnt(7) lgkmcnt(15)
	s_barrier
	s_and_saveexec_b64 s[4:5], vcc
	s_cbranch_execz .LBB101_107
; %bb.101:
	ds_write2_b64 v252, v[152:153], v[154:155] offset1:1
	ds_write2_b64 v253, v[148:149], v[150:151] offset0:24 offset1:25
	ds_write2_b64 v253, v[144:145], v[146:147] offset0:26 offset1:27
	;; [unrolled: 1-line block ×20, first 2 shown]
	s_waitcnt vmcnt(44)
	ds_write2_b64 v253, v[68:69], v[70:71] offset0:64 offset1:65
	s_waitcnt vmcnt(43)
	ds_write2_b64 v253, v[64:65], v[66:67] offset0:66 offset1:67
	;; [unrolled: 2-line block ×16, first 2 shown]
	ds_write2_b64 v253, v[4:5], v[6:7] offset0:96 offset1:97
	ds_write2_b64 v253, v[0:1], v[2:3] offset0:98 offset1:99
	s_waitcnt vmcnt(26)
	ds_write2_b64 v253, v[200:201], v[202:203] offset0:100 offset1:101
	ds_read2_b64 v[204:207], v252 offset1:1
	s_waitcnt lgkmcnt(0)
	v_cmp_neq_f64_e32 vcc, 0, v[204:205]
	v_cmp_neq_f64_e64 s[2:3], 0, v[206:207]
	s_or_b64 s[2:3], vcc, s[2:3]
	s_and_b64 exec, exec, s[2:3]
	s_cbranch_execz .LBB101_107
; %bb.102:
	v_cmp_ngt_f64_e64 s[2:3], |v[204:205]|, |v[206:207]|
                                        ; implicit-def: $vgpr208_vgpr209
	s_and_saveexec_b64 s[10:11], s[2:3]
	s_xor_b64 s[2:3], exec, s[10:11]
                                        ; implicit-def: $vgpr210_vgpr211
	s_cbranch_execz .LBB101_104
; %bb.103:
	v_div_scale_f64 v[208:209], s[10:11], v[206:207], v[206:207], v[204:205]
	v_rcp_f64_e32 v[210:211], v[208:209]
	v_div_scale_f64 v[212:213], vcc, v[204:205], v[206:207], v[204:205]
	v_fma_f64 v[214:215], -v[208:209], v[210:211], 1.0
	v_fmac_f64_e32 v[210:211], v[210:211], v[214:215]
	v_fma_f64 v[214:215], -v[208:209], v[210:211], 1.0
	v_fmac_f64_e32 v[210:211], v[210:211], v[214:215]
	v_mul_f64 v[214:215], v[212:213], v[210:211]
	v_fma_f64 v[208:209], -v[208:209], v[214:215], v[212:213]
	v_div_fmas_f64 v[208:209], v[208:209], v[210:211], v[214:215]
	v_div_fixup_f64 v[208:209], v[208:209], v[206:207], v[204:205]
	v_fmac_f64_e32 v[206:207], v[204:205], v[208:209]
	v_div_scale_f64 v[204:205], s[10:11], v[206:207], v[206:207], 1.0
	v_rcp_f64_e32 v[210:211], v[204:205]
	s_nop 0
	v_fma_f64 v[212:213], -v[204:205], v[210:211], 1.0
	v_fmac_f64_e32 v[210:211], v[210:211], v[212:213]
	v_fma_f64 v[212:213], -v[204:205], v[210:211], 1.0
	v_fmac_f64_e32 v[210:211], v[210:211], v[212:213]
	v_div_scale_f64 v[212:213], vcc, 1.0, v[206:207], 1.0
	v_mul_f64 v[214:215], v[212:213], v[210:211]
	v_fma_f64 v[204:205], -v[204:205], v[214:215], v[212:213]
	s_nop 1
	v_div_fmas_f64 v[204:205], v[204:205], v[210:211], v[214:215]
	v_div_fixup_f64 v[210:211], v[204:205], v[206:207], 1.0
	v_mul_f64 v[208:209], v[208:209], v[210:211]
	v_xor_b32_e32 v211, 0x80000000, v211
                                        ; implicit-def: $vgpr204_vgpr205
.LBB101_104:
	s_andn2_saveexec_b64 s[2:3], s[2:3]
	s_cbranch_execz .LBB101_106
; %bb.105:
	v_div_scale_f64 v[208:209], s[10:11], v[204:205], v[204:205], v[206:207]
	v_rcp_f64_e32 v[210:211], v[208:209]
	v_div_scale_f64 v[212:213], vcc, v[206:207], v[204:205], v[206:207]
	v_fma_f64 v[214:215], -v[208:209], v[210:211], 1.0
	v_fmac_f64_e32 v[210:211], v[210:211], v[214:215]
	v_fma_f64 v[214:215], -v[208:209], v[210:211], 1.0
	v_fmac_f64_e32 v[210:211], v[210:211], v[214:215]
	v_mul_f64 v[214:215], v[212:213], v[210:211]
	v_fma_f64 v[208:209], -v[208:209], v[214:215], v[212:213]
	v_div_fmas_f64 v[208:209], v[208:209], v[210:211], v[214:215]
	v_div_fixup_f64 v[210:211], v[208:209], v[204:205], v[206:207]
	v_fmac_f64_e32 v[204:205], v[206:207], v[210:211]
	v_div_scale_f64 v[206:207], s[10:11], v[204:205], v[204:205], 1.0
	v_rcp_f64_e32 v[208:209], v[206:207]
	s_nop 0
	v_fma_f64 v[212:213], -v[206:207], v[208:209], 1.0
	v_fmac_f64_e32 v[208:209], v[208:209], v[212:213]
	v_fma_f64 v[212:213], -v[206:207], v[208:209], 1.0
	v_fmac_f64_e32 v[208:209], v[208:209], v[212:213]
	v_div_scale_f64 v[212:213], vcc, 1.0, v[204:205], 1.0
	v_mul_f64 v[214:215], v[212:213], v[208:209]
	v_fma_f64 v[206:207], -v[206:207], v[214:215], v[212:213]
	s_nop 1
	v_div_fmas_f64 v[206:207], v[206:207], v[208:209], v[214:215]
	v_div_fixup_f64 v[208:209], v[206:207], v[204:205], 1.0
	v_mul_f64 v[210:211], v[210:211], -v[208:209]
.LBB101_106:
	s_or_b64 exec, exec, s[2:3]
	ds_write2_b64 v252, v[208:209], v[210:211] offset1:1
.LBB101_107:
	s_or_b64 exec, exec, s[4:5]
	s_waitcnt lgkmcnt(0)
	s_barrier
	ds_read2_b64 v[204:207], v252 offset1:1
	v_cmp_lt_u32_e32 vcc, 11, v254
	s_waitcnt lgkmcnt(0)
	scratch_store_dwordx4 off, v[204:207], off offset:584 ; 16-byte Folded Spill
	s_and_saveexec_b64 s[2:3], vcc
	s_cbranch_execz .LBB101_109
; %bb.108:
	scratch_load_dwordx4 v[206:209], off, off offset:584 ; 16-byte Folded Reload
	s_waitcnt vmcnt(0)
	v_mul_f64 v[204:205], v[208:209], v[154:155]
	v_mul_f64 v[154:155], v[206:207], v[154:155]
	v_fma_f64 v[204:205], v[206:207], v[152:153], -v[204:205]
	v_fmac_f64_e32 v[154:155], v[208:209], v[152:153]
	ds_read2_b64 v[206:209], v253 offset0:24 offset1:25
	s_waitcnt lgkmcnt(0)
	v_mul_f64 v[152:153], v[208:209], v[154:155]
	v_fma_f64 v[152:153], v[206:207], v[204:205], -v[152:153]
	v_mul_f64 v[206:207], v[206:207], v[154:155]
	v_fmac_f64_e32 v[206:207], v[208:209], v[204:205]
	v_add_f64 v[150:151], v[150:151], -v[206:207]
	ds_read2_b64 v[206:209], v253 offset0:26 offset1:27
	v_add_f64 v[148:149], v[148:149], -v[152:153]
	s_waitcnt lgkmcnt(0)
	v_mul_f64 v[152:153], v[208:209], v[154:155]
	v_fma_f64 v[152:153], v[206:207], v[204:205], -v[152:153]
	v_mul_f64 v[206:207], v[206:207], v[154:155]
	v_fmac_f64_e32 v[206:207], v[208:209], v[204:205]
	v_add_f64 v[146:147], v[146:147], -v[206:207]
	ds_read2_b64 v[206:209], v253 offset0:28 offset1:29
	v_add_f64 v[144:145], v[144:145], -v[152:153]
	;; [unrolled: 8-line block ×38, first 2 shown]
	s_waitcnt lgkmcnt(0)
	v_mul_f64 v[152:153], v[208:209], v[154:155]
	v_fma_f64 v[152:153], v[206:207], v[204:205], -v[152:153]
	v_mul_f64 v[206:207], v[206:207], v[154:155]
	v_fmac_f64_e32 v[206:207], v[208:209], v[204:205]
	v_add_f64 v[200:201], v[200:201], -v[152:153]
	v_add_f64 v[202:203], v[202:203], -v[206:207]
	v_mov_b64_e32 v[152:153], v[204:205]
.LBB101_109:
	s_or_b64 exec, exec, s[2:3]
	v_cmp_eq_u32_e32 vcc, 12, v254
	s_waitcnt vmcnt(63) expcnt(7) lgkmcnt(15)
	s_barrier
	s_and_saveexec_b64 s[4:5], vcc
	s_cbranch_execz .LBB101_116
; %bb.110:
	ds_write2_b64 v252, v[148:149], v[150:151] offset1:1
	ds_write2_b64 v253, v[144:145], v[146:147] offset0:26 offset1:27
	ds_write2_b64 v253, v[140:141], v[142:143] offset0:28 offset1:29
	;; [unrolled: 1-line block ×19, first 2 shown]
	s_waitcnt vmcnt(45)
	ds_write2_b64 v253, v[68:69], v[70:71] offset0:64 offset1:65
	s_waitcnt vmcnt(44)
	ds_write2_b64 v253, v[64:65], v[66:67] offset0:66 offset1:67
	;; [unrolled: 2-line block ×16, first 2 shown]
	ds_write2_b64 v253, v[4:5], v[6:7] offset0:96 offset1:97
	ds_write2_b64 v253, v[0:1], v[2:3] offset0:98 offset1:99
	s_waitcnt vmcnt(27)
	ds_write2_b64 v253, v[200:201], v[202:203] offset0:100 offset1:101
	ds_read2_b64 v[204:207], v252 offset1:1
	s_waitcnt lgkmcnt(0)
	v_cmp_neq_f64_e32 vcc, 0, v[204:205]
	v_cmp_neq_f64_e64 s[2:3], 0, v[206:207]
	s_or_b64 s[2:3], vcc, s[2:3]
	s_and_b64 exec, exec, s[2:3]
	s_cbranch_execz .LBB101_116
; %bb.111:
	v_cmp_ngt_f64_e64 s[2:3], |v[204:205]|, |v[206:207]|
                                        ; implicit-def: $vgpr208_vgpr209
	s_and_saveexec_b64 s[10:11], s[2:3]
	s_xor_b64 s[2:3], exec, s[10:11]
                                        ; implicit-def: $vgpr210_vgpr211
	s_cbranch_execz .LBB101_113
; %bb.112:
	v_div_scale_f64 v[208:209], s[10:11], v[206:207], v[206:207], v[204:205]
	v_rcp_f64_e32 v[210:211], v[208:209]
	v_div_scale_f64 v[212:213], vcc, v[204:205], v[206:207], v[204:205]
	v_fma_f64 v[214:215], -v[208:209], v[210:211], 1.0
	v_fmac_f64_e32 v[210:211], v[210:211], v[214:215]
	v_fma_f64 v[214:215], -v[208:209], v[210:211], 1.0
	v_fmac_f64_e32 v[210:211], v[210:211], v[214:215]
	v_mul_f64 v[214:215], v[212:213], v[210:211]
	v_fma_f64 v[208:209], -v[208:209], v[214:215], v[212:213]
	v_div_fmas_f64 v[208:209], v[208:209], v[210:211], v[214:215]
	v_div_fixup_f64 v[208:209], v[208:209], v[206:207], v[204:205]
	v_fmac_f64_e32 v[206:207], v[204:205], v[208:209]
	v_div_scale_f64 v[204:205], s[10:11], v[206:207], v[206:207], 1.0
	v_rcp_f64_e32 v[210:211], v[204:205]
	s_nop 0
	v_fma_f64 v[212:213], -v[204:205], v[210:211], 1.0
	v_fmac_f64_e32 v[210:211], v[210:211], v[212:213]
	v_fma_f64 v[212:213], -v[204:205], v[210:211], 1.0
	v_fmac_f64_e32 v[210:211], v[210:211], v[212:213]
	v_div_scale_f64 v[212:213], vcc, 1.0, v[206:207], 1.0
	v_mul_f64 v[214:215], v[212:213], v[210:211]
	v_fma_f64 v[204:205], -v[204:205], v[214:215], v[212:213]
	s_nop 1
	v_div_fmas_f64 v[204:205], v[204:205], v[210:211], v[214:215]
	v_div_fixup_f64 v[210:211], v[204:205], v[206:207], 1.0
	v_mul_f64 v[208:209], v[208:209], v[210:211]
	v_xor_b32_e32 v211, 0x80000000, v211
                                        ; implicit-def: $vgpr204_vgpr205
.LBB101_113:
	s_andn2_saveexec_b64 s[2:3], s[2:3]
	s_cbranch_execz .LBB101_115
; %bb.114:
	v_div_scale_f64 v[208:209], s[10:11], v[204:205], v[204:205], v[206:207]
	v_rcp_f64_e32 v[210:211], v[208:209]
	v_div_scale_f64 v[212:213], vcc, v[206:207], v[204:205], v[206:207]
	v_fma_f64 v[214:215], -v[208:209], v[210:211], 1.0
	v_fmac_f64_e32 v[210:211], v[210:211], v[214:215]
	v_fma_f64 v[214:215], -v[208:209], v[210:211], 1.0
	v_fmac_f64_e32 v[210:211], v[210:211], v[214:215]
	v_mul_f64 v[214:215], v[212:213], v[210:211]
	v_fma_f64 v[208:209], -v[208:209], v[214:215], v[212:213]
	v_div_fmas_f64 v[208:209], v[208:209], v[210:211], v[214:215]
	v_div_fixup_f64 v[210:211], v[208:209], v[204:205], v[206:207]
	v_fmac_f64_e32 v[204:205], v[206:207], v[210:211]
	v_div_scale_f64 v[206:207], s[10:11], v[204:205], v[204:205], 1.0
	v_rcp_f64_e32 v[208:209], v[206:207]
	s_nop 0
	v_fma_f64 v[212:213], -v[206:207], v[208:209], 1.0
	v_fmac_f64_e32 v[208:209], v[208:209], v[212:213]
	v_fma_f64 v[212:213], -v[206:207], v[208:209], 1.0
	v_fmac_f64_e32 v[208:209], v[208:209], v[212:213]
	v_div_scale_f64 v[212:213], vcc, 1.0, v[204:205], 1.0
	v_mul_f64 v[214:215], v[212:213], v[208:209]
	v_fma_f64 v[206:207], -v[206:207], v[214:215], v[212:213]
	s_nop 1
	v_div_fmas_f64 v[206:207], v[206:207], v[208:209], v[214:215]
	v_div_fixup_f64 v[208:209], v[206:207], v[204:205], 1.0
	v_mul_f64 v[210:211], v[210:211], -v[208:209]
.LBB101_115:
	s_or_b64 exec, exec, s[2:3]
	ds_write2_b64 v252, v[208:209], v[210:211] offset1:1
.LBB101_116:
	s_or_b64 exec, exec, s[4:5]
	s_waitcnt lgkmcnt(0)
	s_barrier
	ds_read2_b64 v[204:207], v252 offset1:1
	v_cmp_lt_u32_e32 vcc, 12, v254
	s_waitcnt lgkmcnt(0)
	scratch_store_dwordx4 off, v[204:207], off offset:600 ; 16-byte Folded Spill
	s_and_saveexec_b64 s[2:3], vcc
	s_cbranch_execz .LBB101_118
; %bb.117:
	scratch_load_dwordx4 v[206:209], off, off offset:600 ; 16-byte Folded Reload
	s_waitcnt vmcnt(0)
	v_mul_f64 v[204:205], v[208:209], v[150:151]
	v_mul_f64 v[150:151], v[206:207], v[150:151]
	v_fma_f64 v[204:205], v[206:207], v[148:149], -v[204:205]
	v_fmac_f64_e32 v[150:151], v[208:209], v[148:149]
	ds_read2_b64 v[206:209], v253 offset0:26 offset1:27
	s_waitcnt lgkmcnt(0)
	v_mul_f64 v[148:149], v[208:209], v[150:151]
	v_fma_f64 v[148:149], v[206:207], v[204:205], -v[148:149]
	v_mul_f64 v[206:207], v[206:207], v[150:151]
	v_fmac_f64_e32 v[206:207], v[208:209], v[204:205]
	v_add_f64 v[146:147], v[146:147], -v[206:207]
	ds_read2_b64 v[206:209], v253 offset0:28 offset1:29
	v_add_f64 v[144:145], v[144:145], -v[148:149]
	s_waitcnt lgkmcnt(0)
	v_mul_f64 v[148:149], v[208:209], v[150:151]
	v_fma_f64 v[148:149], v[206:207], v[204:205], -v[148:149]
	v_mul_f64 v[206:207], v[206:207], v[150:151]
	v_fmac_f64_e32 v[206:207], v[208:209], v[204:205]
	v_add_f64 v[142:143], v[142:143], -v[206:207]
	ds_read2_b64 v[206:209], v253 offset0:30 offset1:31
	v_add_f64 v[140:141], v[140:141], -v[148:149]
	;; [unrolled: 8-line block ×37, first 2 shown]
	s_waitcnt lgkmcnt(0)
	v_mul_f64 v[148:149], v[208:209], v[150:151]
	v_fma_f64 v[148:149], v[206:207], v[204:205], -v[148:149]
	v_mul_f64 v[206:207], v[206:207], v[150:151]
	v_fmac_f64_e32 v[206:207], v[208:209], v[204:205]
	v_add_f64 v[200:201], v[200:201], -v[148:149]
	v_add_f64 v[202:203], v[202:203], -v[206:207]
	v_mov_b64_e32 v[148:149], v[204:205]
.LBB101_118:
	s_or_b64 exec, exec, s[2:3]
	v_cmp_eq_u32_e32 vcc, 13, v254
	s_waitcnt vmcnt(63) expcnt(7) lgkmcnt(15)
	s_barrier
	s_and_saveexec_b64 s[4:5], vcc
	s_cbranch_execz .LBB101_125
; %bb.119:
	ds_write2_b64 v252, v[144:145], v[146:147] offset1:1
	ds_write2_b64 v253, v[140:141], v[142:143] offset0:28 offset1:29
	ds_write2_b64 v253, v[136:137], v[138:139] offset0:30 offset1:31
	;; [unrolled: 1-line block ×18, first 2 shown]
	s_waitcnt vmcnt(46)
	ds_write2_b64 v253, v[68:69], v[70:71] offset0:64 offset1:65
	s_waitcnt vmcnt(45)
	ds_write2_b64 v253, v[64:65], v[66:67] offset0:66 offset1:67
	;; [unrolled: 2-line block ×16, first 2 shown]
	ds_write2_b64 v253, v[4:5], v[6:7] offset0:96 offset1:97
	ds_write2_b64 v253, v[0:1], v[2:3] offset0:98 offset1:99
	s_waitcnt vmcnt(28)
	ds_write2_b64 v253, v[200:201], v[202:203] offset0:100 offset1:101
	ds_read2_b64 v[204:207], v252 offset1:1
	s_waitcnt lgkmcnt(0)
	v_cmp_neq_f64_e32 vcc, 0, v[204:205]
	v_cmp_neq_f64_e64 s[2:3], 0, v[206:207]
	s_or_b64 s[2:3], vcc, s[2:3]
	s_and_b64 exec, exec, s[2:3]
	s_cbranch_execz .LBB101_125
; %bb.120:
	v_cmp_ngt_f64_e64 s[2:3], |v[204:205]|, |v[206:207]|
                                        ; implicit-def: $vgpr208_vgpr209
	s_and_saveexec_b64 s[10:11], s[2:3]
	s_xor_b64 s[2:3], exec, s[10:11]
                                        ; implicit-def: $vgpr210_vgpr211
	s_cbranch_execz .LBB101_122
; %bb.121:
	v_div_scale_f64 v[208:209], s[10:11], v[206:207], v[206:207], v[204:205]
	v_rcp_f64_e32 v[210:211], v[208:209]
	v_div_scale_f64 v[212:213], vcc, v[204:205], v[206:207], v[204:205]
	v_fma_f64 v[214:215], -v[208:209], v[210:211], 1.0
	v_fmac_f64_e32 v[210:211], v[210:211], v[214:215]
	v_fma_f64 v[214:215], -v[208:209], v[210:211], 1.0
	v_fmac_f64_e32 v[210:211], v[210:211], v[214:215]
	v_mul_f64 v[214:215], v[212:213], v[210:211]
	v_fma_f64 v[208:209], -v[208:209], v[214:215], v[212:213]
	v_div_fmas_f64 v[208:209], v[208:209], v[210:211], v[214:215]
	v_div_fixup_f64 v[208:209], v[208:209], v[206:207], v[204:205]
	v_fmac_f64_e32 v[206:207], v[204:205], v[208:209]
	v_div_scale_f64 v[204:205], s[10:11], v[206:207], v[206:207], 1.0
	v_rcp_f64_e32 v[210:211], v[204:205]
	s_nop 0
	v_fma_f64 v[212:213], -v[204:205], v[210:211], 1.0
	v_fmac_f64_e32 v[210:211], v[210:211], v[212:213]
	v_fma_f64 v[212:213], -v[204:205], v[210:211], 1.0
	v_fmac_f64_e32 v[210:211], v[210:211], v[212:213]
	v_div_scale_f64 v[212:213], vcc, 1.0, v[206:207], 1.0
	v_mul_f64 v[214:215], v[212:213], v[210:211]
	v_fma_f64 v[204:205], -v[204:205], v[214:215], v[212:213]
	s_nop 1
	v_div_fmas_f64 v[204:205], v[204:205], v[210:211], v[214:215]
	v_div_fixup_f64 v[210:211], v[204:205], v[206:207], 1.0
	v_mul_f64 v[208:209], v[208:209], v[210:211]
	v_xor_b32_e32 v211, 0x80000000, v211
                                        ; implicit-def: $vgpr204_vgpr205
.LBB101_122:
	s_andn2_saveexec_b64 s[2:3], s[2:3]
	s_cbranch_execz .LBB101_124
; %bb.123:
	v_div_scale_f64 v[208:209], s[10:11], v[204:205], v[204:205], v[206:207]
	v_rcp_f64_e32 v[210:211], v[208:209]
	v_div_scale_f64 v[212:213], vcc, v[206:207], v[204:205], v[206:207]
	v_fma_f64 v[214:215], -v[208:209], v[210:211], 1.0
	v_fmac_f64_e32 v[210:211], v[210:211], v[214:215]
	v_fma_f64 v[214:215], -v[208:209], v[210:211], 1.0
	v_fmac_f64_e32 v[210:211], v[210:211], v[214:215]
	v_mul_f64 v[214:215], v[212:213], v[210:211]
	v_fma_f64 v[208:209], -v[208:209], v[214:215], v[212:213]
	v_div_fmas_f64 v[208:209], v[208:209], v[210:211], v[214:215]
	v_div_fixup_f64 v[210:211], v[208:209], v[204:205], v[206:207]
	v_fmac_f64_e32 v[204:205], v[206:207], v[210:211]
	v_div_scale_f64 v[206:207], s[10:11], v[204:205], v[204:205], 1.0
	v_rcp_f64_e32 v[208:209], v[206:207]
	s_nop 0
	v_fma_f64 v[212:213], -v[206:207], v[208:209], 1.0
	v_fmac_f64_e32 v[208:209], v[208:209], v[212:213]
	v_fma_f64 v[212:213], -v[206:207], v[208:209], 1.0
	v_fmac_f64_e32 v[208:209], v[208:209], v[212:213]
	v_div_scale_f64 v[212:213], vcc, 1.0, v[204:205], 1.0
	v_mul_f64 v[214:215], v[212:213], v[208:209]
	v_fma_f64 v[206:207], -v[206:207], v[214:215], v[212:213]
	s_nop 1
	v_div_fmas_f64 v[206:207], v[206:207], v[208:209], v[214:215]
	v_div_fixup_f64 v[208:209], v[206:207], v[204:205], 1.0
	v_mul_f64 v[210:211], v[210:211], -v[208:209]
.LBB101_124:
	s_or_b64 exec, exec, s[2:3]
	ds_write2_b64 v252, v[208:209], v[210:211] offset1:1
.LBB101_125:
	s_or_b64 exec, exec, s[4:5]
	s_waitcnt lgkmcnt(0)
	s_barrier
	ds_read2_b64 v[204:207], v252 offset1:1
	v_cmp_lt_u32_e32 vcc, 13, v254
	s_waitcnt lgkmcnt(0)
	scratch_store_dwordx4 off, v[204:207], off offset:616 ; 16-byte Folded Spill
	s_and_saveexec_b64 s[2:3], vcc
	s_cbranch_execz .LBB101_127
; %bb.126:
	scratch_load_dwordx4 v[206:209], off, off offset:616 ; 16-byte Folded Reload
	s_waitcnt vmcnt(0)
	v_mul_f64 v[204:205], v[208:209], v[146:147]
	v_mul_f64 v[146:147], v[206:207], v[146:147]
	v_fma_f64 v[204:205], v[206:207], v[144:145], -v[204:205]
	v_fmac_f64_e32 v[146:147], v[208:209], v[144:145]
	ds_read2_b64 v[206:209], v253 offset0:28 offset1:29
	s_waitcnt lgkmcnt(0)
	v_mul_f64 v[144:145], v[208:209], v[146:147]
	v_fma_f64 v[144:145], v[206:207], v[204:205], -v[144:145]
	v_mul_f64 v[206:207], v[206:207], v[146:147]
	v_fmac_f64_e32 v[206:207], v[208:209], v[204:205]
	v_add_f64 v[142:143], v[142:143], -v[206:207]
	ds_read2_b64 v[206:209], v253 offset0:30 offset1:31
	v_add_f64 v[140:141], v[140:141], -v[144:145]
	s_waitcnt lgkmcnt(0)
	v_mul_f64 v[144:145], v[208:209], v[146:147]
	v_fma_f64 v[144:145], v[206:207], v[204:205], -v[144:145]
	v_mul_f64 v[206:207], v[206:207], v[146:147]
	v_fmac_f64_e32 v[206:207], v[208:209], v[204:205]
	v_add_f64 v[138:139], v[138:139], -v[206:207]
	ds_read2_b64 v[206:209], v253 offset0:32 offset1:33
	v_add_f64 v[136:137], v[136:137], -v[144:145]
	;; [unrolled: 8-line block ×36, first 2 shown]
	s_waitcnt lgkmcnt(0)
	v_mul_f64 v[144:145], v[208:209], v[146:147]
	v_fma_f64 v[144:145], v[206:207], v[204:205], -v[144:145]
	v_mul_f64 v[206:207], v[206:207], v[146:147]
	v_fmac_f64_e32 v[206:207], v[208:209], v[204:205]
	v_add_f64 v[200:201], v[200:201], -v[144:145]
	v_add_f64 v[202:203], v[202:203], -v[206:207]
	v_mov_b64_e32 v[144:145], v[204:205]
.LBB101_127:
	s_or_b64 exec, exec, s[2:3]
	v_cmp_eq_u32_e32 vcc, 14, v254
	s_waitcnt vmcnt(63) expcnt(7) lgkmcnt(15)
	s_barrier
	s_and_saveexec_b64 s[4:5], vcc
	s_cbranch_execz .LBB101_134
; %bb.128:
	ds_write2_b64 v252, v[140:141], v[142:143] offset1:1
	ds_write2_b64 v253, v[136:137], v[138:139] offset0:30 offset1:31
	ds_write2_b64 v253, v[132:133], v[134:135] offset0:32 offset1:33
	;; [unrolled: 1-line block ×17, first 2 shown]
	s_waitcnt vmcnt(47)
	ds_write2_b64 v253, v[68:69], v[70:71] offset0:64 offset1:65
	s_waitcnt vmcnt(46)
	ds_write2_b64 v253, v[64:65], v[66:67] offset0:66 offset1:67
	;; [unrolled: 2-line block ×16, first 2 shown]
	ds_write2_b64 v253, v[4:5], v[6:7] offset0:96 offset1:97
	ds_write2_b64 v253, v[0:1], v[2:3] offset0:98 offset1:99
	s_waitcnt vmcnt(29)
	ds_write2_b64 v253, v[200:201], v[202:203] offset0:100 offset1:101
	ds_read2_b64 v[204:207], v252 offset1:1
	s_waitcnt lgkmcnt(0)
	v_cmp_neq_f64_e32 vcc, 0, v[204:205]
	v_cmp_neq_f64_e64 s[2:3], 0, v[206:207]
	s_or_b64 s[2:3], vcc, s[2:3]
	s_and_b64 exec, exec, s[2:3]
	s_cbranch_execz .LBB101_134
; %bb.129:
	v_cmp_ngt_f64_e64 s[2:3], |v[204:205]|, |v[206:207]|
                                        ; implicit-def: $vgpr208_vgpr209
	s_and_saveexec_b64 s[10:11], s[2:3]
	s_xor_b64 s[2:3], exec, s[10:11]
                                        ; implicit-def: $vgpr210_vgpr211
	s_cbranch_execz .LBB101_131
; %bb.130:
	v_div_scale_f64 v[208:209], s[10:11], v[206:207], v[206:207], v[204:205]
	v_rcp_f64_e32 v[210:211], v[208:209]
	v_div_scale_f64 v[212:213], vcc, v[204:205], v[206:207], v[204:205]
	v_fma_f64 v[214:215], -v[208:209], v[210:211], 1.0
	v_fmac_f64_e32 v[210:211], v[210:211], v[214:215]
	v_fma_f64 v[214:215], -v[208:209], v[210:211], 1.0
	v_fmac_f64_e32 v[210:211], v[210:211], v[214:215]
	v_mul_f64 v[214:215], v[212:213], v[210:211]
	v_fma_f64 v[208:209], -v[208:209], v[214:215], v[212:213]
	v_div_fmas_f64 v[208:209], v[208:209], v[210:211], v[214:215]
	v_div_fixup_f64 v[208:209], v[208:209], v[206:207], v[204:205]
	v_fmac_f64_e32 v[206:207], v[204:205], v[208:209]
	v_div_scale_f64 v[204:205], s[10:11], v[206:207], v[206:207], 1.0
	v_rcp_f64_e32 v[210:211], v[204:205]
	s_nop 0
	v_fma_f64 v[212:213], -v[204:205], v[210:211], 1.0
	v_fmac_f64_e32 v[210:211], v[210:211], v[212:213]
	v_fma_f64 v[212:213], -v[204:205], v[210:211], 1.0
	v_fmac_f64_e32 v[210:211], v[210:211], v[212:213]
	v_div_scale_f64 v[212:213], vcc, 1.0, v[206:207], 1.0
	v_mul_f64 v[214:215], v[212:213], v[210:211]
	v_fma_f64 v[204:205], -v[204:205], v[214:215], v[212:213]
	s_nop 1
	v_div_fmas_f64 v[204:205], v[204:205], v[210:211], v[214:215]
	v_div_fixup_f64 v[210:211], v[204:205], v[206:207], 1.0
	v_mul_f64 v[208:209], v[208:209], v[210:211]
	v_xor_b32_e32 v211, 0x80000000, v211
                                        ; implicit-def: $vgpr204_vgpr205
.LBB101_131:
	s_andn2_saveexec_b64 s[2:3], s[2:3]
	s_cbranch_execz .LBB101_133
; %bb.132:
	v_div_scale_f64 v[208:209], s[10:11], v[204:205], v[204:205], v[206:207]
	v_rcp_f64_e32 v[210:211], v[208:209]
	v_div_scale_f64 v[212:213], vcc, v[206:207], v[204:205], v[206:207]
	v_fma_f64 v[214:215], -v[208:209], v[210:211], 1.0
	v_fmac_f64_e32 v[210:211], v[210:211], v[214:215]
	v_fma_f64 v[214:215], -v[208:209], v[210:211], 1.0
	v_fmac_f64_e32 v[210:211], v[210:211], v[214:215]
	v_mul_f64 v[214:215], v[212:213], v[210:211]
	v_fma_f64 v[208:209], -v[208:209], v[214:215], v[212:213]
	v_div_fmas_f64 v[208:209], v[208:209], v[210:211], v[214:215]
	v_div_fixup_f64 v[210:211], v[208:209], v[204:205], v[206:207]
	v_fmac_f64_e32 v[204:205], v[206:207], v[210:211]
	v_div_scale_f64 v[206:207], s[10:11], v[204:205], v[204:205], 1.0
	v_rcp_f64_e32 v[208:209], v[206:207]
	s_nop 0
	v_fma_f64 v[212:213], -v[206:207], v[208:209], 1.0
	v_fmac_f64_e32 v[208:209], v[208:209], v[212:213]
	v_fma_f64 v[212:213], -v[206:207], v[208:209], 1.0
	v_fmac_f64_e32 v[208:209], v[208:209], v[212:213]
	v_div_scale_f64 v[212:213], vcc, 1.0, v[204:205], 1.0
	v_mul_f64 v[214:215], v[212:213], v[208:209]
	v_fma_f64 v[206:207], -v[206:207], v[214:215], v[212:213]
	s_nop 1
	v_div_fmas_f64 v[206:207], v[206:207], v[208:209], v[214:215]
	v_div_fixup_f64 v[208:209], v[206:207], v[204:205], 1.0
	v_mul_f64 v[210:211], v[210:211], -v[208:209]
.LBB101_133:
	s_or_b64 exec, exec, s[2:3]
	ds_write2_b64 v252, v[208:209], v[210:211] offset1:1
.LBB101_134:
	s_or_b64 exec, exec, s[4:5]
	s_waitcnt lgkmcnt(0)
	s_barrier
	ds_read2_b64 v[204:207], v252 offset1:1
	v_cmp_lt_u32_e32 vcc, 14, v254
	s_waitcnt lgkmcnt(0)
	scratch_store_dwordx4 off, v[204:207], off offset:632 ; 16-byte Folded Spill
	s_and_saveexec_b64 s[2:3], vcc
	s_cbranch_execz .LBB101_136
; %bb.135:
	scratch_load_dwordx4 v[206:209], off, off offset:632 ; 16-byte Folded Reload
	s_waitcnt vmcnt(0)
	v_mul_f64 v[204:205], v[208:209], v[142:143]
	v_mul_f64 v[142:143], v[206:207], v[142:143]
	v_fma_f64 v[204:205], v[206:207], v[140:141], -v[204:205]
	v_fmac_f64_e32 v[142:143], v[208:209], v[140:141]
	ds_read2_b64 v[206:209], v253 offset0:30 offset1:31
	s_waitcnt lgkmcnt(0)
	v_mul_f64 v[140:141], v[208:209], v[142:143]
	v_fma_f64 v[140:141], v[206:207], v[204:205], -v[140:141]
	v_mul_f64 v[206:207], v[206:207], v[142:143]
	v_fmac_f64_e32 v[206:207], v[208:209], v[204:205]
	v_add_f64 v[138:139], v[138:139], -v[206:207]
	ds_read2_b64 v[206:209], v253 offset0:32 offset1:33
	v_add_f64 v[136:137], v[136:137], -v[140:141]
	s_waitcnt lgkmcnt(0)
	v_mul_f64 v[140:141], v[208:209], v[142:143]
	v_fma_f64 v[140:141], v[206:207], v[204:205], -v[140:141]
	v_mul_f64 v[206:207], v[206:207], v[142:143]
	v_fmac_f64_e32 v[206:207], v[208:209], v[204:205]
	v_add_f64 v[134:135], v[134:135], -v[206:207]
	ds_read2_b64 v[206:209], v253 offset0:34 offset1:35
	v_add_f64 v[132:133], v[132:133], -v[140:141]
	;; [unrolled: 8-line block ×35, first 2 shown]
	s_waitcnt lgkmcnt(0)
	v_mul_f64 v[140:141], v[208:209], v[142:143]
	v_fma_f64 v[140:141], v[206:207], v[204:205], -v[140:141]
	v_mul_f64 v[206:207], v[206:207], v[142:143]
	v_fmac_f64_e32 v[206:207], v[208:209], v[204:205]
	v_add_f64 v[200:201], v[200:201], -v[140:141]
	v_add_f64 v[202:203], v[202:203], -v[206:207]
	v_mov_b64_e32 v[140:141], v[204:205]
.LBB101_136:
	s_or_b64 exec, exec, s[2:3]
	v_cmp_eq_u32_e32 vcc, 15, v254
	s_waitcnt vmcnt(63) expcnt(7) lgkmcnt(15)
	s_barrier
	s_and_saveexec_b64 s[4:5], vcc
	s_cbranch_execz .LBB101_143
; %bb.137:
	ds_write2_b64 v252, v[136:137], v[138:139] offset1:1
	ds_write2_b64 v253, v[132:133], v[134:135] offset0:32 offset1:33
	ds_write2_b64 v253, v[128:129], v[130:131] offset0:34 offset1:35
	ds_write2_b64 v253, v[124:125], v[126:127] offset0:36 offset1:37
	ds_write2_b64 v253, v[120:121], v[122:123] offset0:38 offset1:39
	ds_write2_b64 v253, v[116:117], v[118:119] offset0:40 offset1:41
	ds_write2_b64 v253, v[112:113], v[114:115] offset0:42 offset1:43
	ds_write2_b64 v253, v[108:109], v[110:111] offset0:44 offset1:45
	ds_write2_b64 v253, v[104:105], v[106:107] offset0:46 offset1:47
	ds_write2_b64 v253, v[100:101], v[102:103] offset0:48 offset1:49
	ds_write2_b64 v253, v[96:97], v[98:99] offset0:50 offset1:51
	ds_write2_b64 v253, v[92:93], v[94:95] offset0:52 offset1:53
	ds_write2_b64 v253, v[88:89], v[90:91] offset0:54 offset1:55
	ds_write2_b64 v253, v[84:85], v[86:87] offset0:56 offset1:57
	ds_write2_b64 v253, v[80:81], v[82:83] offset0:58 offset1:59
	ds_write2_b64 v253, v[76:77], v[78:79] offset0:60 offset1:61
	ds_write2_b64 v253, v[72:73], v[74:75] offset0:62 offset1:63
	s_waitcnt vmcnt(48)
	ds_write2_b64 v253, v[68:69], v[70:71] offset0:64 offset1:65
	s_waitcnt vmcnt(47)
	ds_write2_b64 v253, v[64:65], v[66:67] offset0:66 offset1:67
	;; [unrolled: 2-line block ×16, first 2 shown]
	ds_write2_b64 v253, v[4:5], v[6:7] offset0:96 offset1:97
	ds_write2_b64 v253, v[0:1], v[2:3] offset0:98 offset1:99
	s_waitcnt vmcnt(30)
	ds_write2_b64 v253, v[200:201], v[202:203] offset0:100 offset1:101
	ds_read2_b64 v[204:207], v252 offset1:1
	s_waitcnt lgkmcnt(0)
	v_cmp_neq_f64_e32 vcc, 0, v[204:205]
	v_cmp_neq_f64_e64 s[2:3], 0, v[206:207]
	s_or_b64 s[2:3], vcc, s[2:3]
	s_and_b64 exec, exec, s[2:3]
	s_cbranch_execz .LBB101_143
; %bb.138:
	v_cmp_ngt_f64_e64 s[2:3], |v[204:205]|, |v[206:207]|
                                        ; implicit-def: $vgpr208_vgpr209
	s_and_saveexec_b64 s[10:11], s[2:3]
	s_xor_b64 s[2:3], exec, s[10:11]
                                        ; implicit-def: $vgpr210_vgpr211
	s_cbranch_execz .LBB101_140
; %bb.139:
	v_div_scale_f64 v[208:209], s[10:11], v[206:207], v[206:207], v[204:205]
	v_rcp_f64_e32 v[210:211], v[208:209]
	v_div_scale_f64 v[212:213], vcc, v[204:205], v[206:207], v[204:205]
	v_fma_f64 v[214:215], -v[208:209], v[210:211], 1.0
	v_fmac_f64_e32 v[210:211], v[210:211], v[214:215]
	v_fma_f64 v[214:215], -v[208:209], v[210:211], 1.0
	v_fmac_f64_e32 v[210:211], v[210:211], v[214:215]
	v_mul_f64 v[214:215], v[212:213], v[210:211]
	v_fma_f64 v[208:209], -v[208:209], v[214:215], v[212:213]
	v_div_fmas_f64 v[208:209], v[208:209], v[210:211], v[214:215]
	v_div_fixup_f64 v[208:209], v[208:209], v[206:207], v[204:205]
	v_fmac_f64_e32 v[206:207], v[204:205], v[208:209]
	v_div_scale_f64 v[204:205], s[10:11], v[206:207], v[206:207], 1.0
	v_rcp_f64_e32 v[210:211], v[204:205]
	s_nop 0
	v_fma_f64 v[212:213], -v[204:205], v[210:211], 1.0
	v_fmac_f64_e32 v[210:211], v[210:211], v[212:213]
	v_fma_f64 v[212:213], -v[204:205], v[210:211], 1.0
	v_fmac_f64_e32 v[210:211], v[210:211], v[212:213]
	v_div_scale_f64 v[212:213], vcc, 1.0, v[206:207], 1.0
	v_mul_f64 v[214:215], v[212:213], v[210:211]
	v_fma_f64 v[204:205], -v[204:205], v[214:215], v[212:213]
	s_nop 1
	v_div_fmas_f64 v[204:205], v[204:205], v[210:211], v[214:215]
	v_div_fixup_f64 v[210:211], v[204:205], v[206:207], 1.0
	v_mul_f64 v[208:209], v[208:209], v[210:211]
	v_xor_b32_e32 v211, 0x80000000, v211
                                        ; implicit-def: $vgpr204_vgpr205
.LBB101_140:
	s_andn2_saveexec_b64 s[2:3], s[2:3]
	s_cbranch_execz .LBB101_142
; %bb.141:
	v_div_scale_f64 v[208:209], s[10:11], v[204:205], v[204:205], v[206:207]
	v_rcp_f64_e32 v[210:211], v[208:209]
	v_div_scale_f64 v[212:213], vcc, v[206:207], v[204:205], v[206:207]
	v_fma_f64 v[214:215], -v[208:209], v[210:211], 1.0
	v_fmac_f64_e32 v[210:211], v[210:211], v[214:215]
	v_fma_f64 v[214:215], -v[208:209], v[210:211], 1.0
	v_fmac_f64_e32 v[210:211], v[210:211], v[214:215]
	v_mul_f64 v[214:215], v[212:213], v[210:211]
	v_fma_f64 v[208:209], -v[208:209], v[214:215], v[212:213]
	v_div_fmas_f64 v[208:209], v[208:209], v[210:211], v[214:215]
	v_div_fixup_f64 v[210:211], v[208:209], v[204:205], v[206:207]
	v_fmac_f64_e32 v[204:205], v[206:207], v[210:211]
	v_div_scale_f64 v[206:207], s[10:11], v[204:205], v[204:205], 1.0
	v_rcp_f64_e32 v[208:209], v[206:207]
	s_nop 0
	v_fma_f64 v[212:213], -v[206:207], v[208:209], 1.0
	v_fmac_f64_e32 v[208:209], v[208:209], v[212:213]
	v_fma_f64 v[212:213], -v[206:207], v[208:209], 1.0
	v_fmac_f64_e32 v[208:209], v[208:209], v[212:213]
	v_div_scale_f64 v[212:213], vcc, 1.0, v[204:205], 1.0
	v_mul_f64 v[214:215], v[212:213], v[208:209]
	v_fma_f64 v[206:207], -v[206:207], v[214:215], v[212:213]
	s_nop 1
	v_div_fmas_f64 v[206:207], v[206:207], v[208:209], v[214:215]
	v_div_fixup_f64 v[208:209], v[206:207], v[204:205], 1.0
	v_mul_f64 v[210:211], v[210:211], -v[208:209]
.LBB101_142:
	s_or_b64 exec, exec, s[2:3]
	ds_write2_b64 v252, v[208:209], v[210:211] offset1:1
.LBB101_143:
	s_or_b64 exec, exec, s[4:5]
	s_waitcnt lgkmcnt(0)
	s_barrier
	ds_read2_b64 v[204:207], v252 offset1:1
	v_cmp_lt_u32_e32 vcc, 15, v254
	s_waitcnt lgkmcnt(0)
	scratch_store_dwordx4 off, v[204:207], off offset:648 ; 16-byte Folded Spill
	s_and_saveexec_b64 s[2:3], vcc
	s_cbranch_execz .LBB101_145
; %bb.144:
	scratch_load_dwordx4 v[206:209], off, off offset:648 ; 16-byte Folded Reload
	s_waitcnt vmcnt(0)
	v_mul_f64 v[204:205], v[208:209], v[138:139]
	v_mul_f64 v[138:139], v[206:207], v[138:139]
	v_fma_f64 v[204:205], v[206:207], v[136:137], -v[204:205]
	v_fmac_f64_e32 v[138:139], v[208:209], v[136:137]
	ds_read2_b64 v[206:209], v253 offset0:32 offset1:33
	s_waitcnt lgkmcnt(0)
	v_mul_f64 v[136:137], v[208:209], v[138:139]
	v_fma_f64 v[136:137], v[206:207], v[204:205], -v[136:137]
	v_mul_f64 v[206:207], v[206:207], v[138:139]
	v_fmac_f64_e32 v[206:207], v[208:209], v[204:205]
	v_add_f64 v[134:135], v[134:135], -v[206:207]
	ds_read2_b64 v[206:209], v253 offset0:34 offset1:35
	v_add_f64 v[132:133], v[132:133], -v[136:137]
	s_waitcnt lgkmcnt(0)
	v_mul_f64 v[136:137], v[208:209], v[138:139]
	v_fma_f64 v[136:137], v[206:207], v[204:205], -v[136:137]
	v_mul_f64 v[206:207], v[206:207], v[138:139]
	v_fmac_f64_e32 v[206:207], v[208:209], v[204:205]
	v_add_f64 v[130:131], v[130:131], -v[206:207]
	ds_read2_b64 v[206:209], v253 offset0:36 offset1:37
	v_add_f64 v[128:129], v[128:129], -v[136:137]
	s_waitcnt lgkmcnt(0)
	v_mul_f64 v[136:137], v[208:209], v[138:139]
	v_fma_f64 v[136:137], v[206:207], v[204:205], -v[136:137]
	v_mul_f64 v[206:207], v[206:207], v[138:139]
	v_fmac_f64_e32 v[206:207], v[208:209], v[204:205]
	v_add_f64 v[126:127], v[126:127], -v[206:207]
	ds_read2_b64 v[206:209], v253 offset0:38 offset1:39
	v_add_f64 v[124:125], v[124:125], -v[136:137]
	s_waitcnt lgkmcnt(0)
	v_mul_f64 v[136:137], v[208:209], v[138:139]
	v_fma_f64 v[136:137], v[206:207], v[204:205], -v[136:137]
	v_mul_f64 v[206:207], v[206:207], v[138:139]
	v_fmac_f64_e32 v[206:207], v[208:209], v[204:205]
	v_add_f64 v[122:123], v[122:123], -v[206:207]
	ds_read2_b64 v[206:209], v253 offset0:40 offset1:41
	v_add_f64 v[120:121], v[120:121], -v[136:137]
	s_waitcnt lgkmcnt(0)
	v_mul_f64 v[136:137], v[208:209], v[138:139]
	v_fma_f64 v[136:137], v[206:207], v[204:205], -v[136:137]
	v_mul_f64 v[206:207], v[206:207], v[138:139]
	v_fmac_f64_e32 v[206:207], v[208:209], v[204:205]
	v_add_f64 v[118:119], v[118:119], -v[206:207]
	ds_read2_b64 v[206:209], v253 offset0:42 offset1:43
	v_add_f64 v[116:117], v[116:117], -v[136:137]
	s_waitcnt lgkmcnt(0)
	v_mul_f64 v[136:137], v[208:209], v[138:139]
	v_fma_f64 v[136:137], v[206:207], v[204:205], -v[136:137]
	v_mul_f64 v[206:207], v[206:207], v[138:139]
	v_fmac_f64_e32 v[206:207], v[208:209], v[204:205]
	v_add_f64 v[114:115], v[114:115], -v[206:207]
	ds_read2_b64 v[206:209], v253 offset0:44 offset1:45
	v_add_f64 v[112:113], v[112:113], -v[136:137]
	s_waitcnt lgkmcnt(0)
	v_mul_f64 v[136:137], v[208:209], v[138:139]
	v_fma_f64 v[136:137], v[206:207], v[204:205], -v[136:137]
	v_mul_f64 v[206:207], v[206:207], v[138:139]
	v_fmac_f64_e32 v[206:207], v[208:209], v[204:205]
	v_add_f64 v[110:111], v[110:111], -v[206:207]
	ds_read2_b64 v[206:209], v253 offset0:46 offset1:47
	v_add_f64 v[108:109], v[108:109], -v[136:137]
	s_waitcnt lgkmcnt(0)
	v_mul_f64 v[136:137], v[208:209], v[138:139]
	v_fma_f64 v[136:137], v[206:207], v[204:205], -v[136:137]
	v_mul_f64 v[206:207], v[206:207], v[138:139]
	v_fmac_f64_e32 v[206:207], v[208:209], v[204:205]
	v_add_f64 v[106:107], v[106:107], -v[206:207]
	ds_read2_b64 v[206:209], v253 offset0:48 offset1:49
	v_add_f64 v[104:105], v[104:105], -v[136:137]
	s_waitcnt lgkmcnt(0)
	v_mul_f64 v[136:137], v[208:209], v[138:139]
	v_fma_f64 v[136:137], v[206:207], v[204:205], -v[136:137]
	v_mul_f64 v[206:207], v[206:207], v[138:139]
	v_fmac_f64_e32 v[206:207], v[208:209], v[204:205]
	v_add_f64 v[102:103], v[102:103], -v[206:207]
	ds_read2_b64 v[206:209], v253 offset0:50 offset1:51
	v_add_f64 v[100:101], v[100:101], -v[136:137]
	s_waitcnt lgkmcnt(0)
	v_mul_f64 v[136:137], v[208:209], v[138:139]
	v_fma_f64 v[136:137], v[206:207], v[204:205], -v[136:137]
	v_mul_f64 v[206:207], v[206:207], v[138:139]
	v_fmac_f64_e32 v[206:207], v[208:209], v[204:205]
	v_add_f64 v[98:99], v[98:99], -v[206:207]
	ds_read2_b64 v[206:209], v253 offset0:52 offset1:53
	v_add_f64 v[96:97], v[96:97], -v[136:137]
	s_waitcnt lgkmcnt(0)
	v_mul_f64 v[136:137], v[208:209], v[138:139]
	v_fma_f64 v[136:137], v[206:207], v[204:205], -v[136:137]
	v_mul_f64 v[206:207], v[206:207], v[138:139]
	v_fmac_f64_e32 v[206:207], v[208:209], v[204:205]
	v_add_f64 v[94:95], v[94:95], -v[206:207]
	ds_read2_b64 v[206:209], v253 offset0:54 offset1:55
	v_add_f64 v[92:93], v[92:93], -v[136:137]
	s_waitcnt lgkmcnt(0)
	v_mul_f64 v[136:137], v[208:209], v[138:139]
	v_fma_f64 v[136:137], v[206:207], v[204:205], -v[136:137]
	v_mul_f64 v[206:207], v[206:207], v[138:139]
	v_fmac_f64_e32 v[206:207], v[208:209], v[204:205]
	v_add_f64 v[90:91], v[90:91], -v[206:207]
	ds_read2_b64 v[206:209], v253 offset0:56 offset1:57
	v_add_f64 v[88:89], v[88:89], -v[136:137]
	s_waitcnt lgkmcnt(0)
	v_mul_f64 v[136:137], v[208:209], v[138:139]
	v_fma_f64 v[136:137], v[206:207], v[204:205], -v[136:137]
	v_mul_f64 v[206:207], v[206:207], v[138:139]
	v_fmac_f64_e32 v[206:207], v[208:209], v[204:205]
	v_add_f64 v[86:87], v[86:87], -v[206:207]
	ds_read2_b64 v[206:209], v253 offset0:58 offset1:59
	v_add_f64 v[84:85], v[84:85], -v[136:137]
	s_waitcnt lgkmcnt(0)
	v_mul_f64 v[136:137], v[208:209], v[138:139]
	v_fma_f64 v[136:137], v[206:207], v[204:205], -v[136:137]
	v_mul_f64 v[206:207], v[206:207], v[138:139]
	v_fmac_f64_e32 v[206:207], v[208:209], v[204:205]
	v_add_f64 v[82:83], v[82:83], -v[206:207]
	ds_read2_b64 v[206:209], v253 offset0:60 offset1:61
	v_add_f64 v[80:81], v[80:81], -v[136:137]
	s_waitcnt lgkmcnt(0)
	v_mul_f64 v[136:137], v[208:209], v[138:139]
	v_fma_f64 v[136:137], v[206:207], v[204:205], -v[136:137]
	v_mul_f64 v[206:207], v[206:207], v[138:139]
	v_fmac_f64_e32 v[206:207], v[208:209], v[204:205]
	v_add_f64 v[78:79], v[78:79], -v[206:207]
	ds_read2_b64 v[206:209], v253 offset0:62 offset1:63
	v_add_f64 v[76:77], v[76:77], -v[136:137]
	s_waitcnt lgkmcnt(0)
	v_mul_f64 v[136:137], v[208:209], v[138:139]
	v_fma_f64 v[136:137], v[206:207], v[204:205], -v[136:137]
	v_mul_f64 v[206:207], v[206:207], v[138:139]
	v_fmac_f64_e32 v[206:207], v[208:209], v[204:205]
	v_add_f64 v[74:75], v[74:75], -v[206:207]
	ds_read2_b64 v[206:209], v253 offset0:64 offset1:65
	v_add_f64 v[72:73], v[72:73], -v[136:137]
	s_waitcnt lgkmcnt(0)
	v_mul_f64 v[136:137], v[208:209], v[138:139]
	v_fma_f64 v[136:137], v[206:207], v[204:205], -v[136:137]
	v_mul_f64 v[206:207], v[206:207], v[138:139]
	v_fmac_f64_e32 v[206:207], v[208:209], v[204:205]
	v_add_f64 v[70:71], v[70:71], -v[206:207]
	ds_read2_b64 v[206:209], v253 offset0:66 offset1:67
	v_add_f64 v[68:69], v[68:69], -v[136:137]
	s_waitcnt lgkmcnt(0)
	v_mul_f64 v[136:137], v[208:209], v[138:139]
	v_fma_f64 v[136:137], v[206:207], v[204:205], -v[136:137]
	v_mul_f64 v[206:207], v[206:207], v[138:139]
	v_fmac_f64_e32 v[206:207], v[208:209], v[204:205]
	v_add_f64 v[66:67], v[66:67], -v[206:207]
	ds_read2_b64 v[206:209], v253 offset0:68 offset1:69
	v_add_f64 v[64:65], v[64:65], -v[136:137]
	s_waitcnt lgkmcnt(0)
	v_mul_f64 v[136:137], v[208:209], v[138:139]
	v_fma_f64 v[136:137], v[206:207], v[204:205], -v[136:137]
	v_mul_f64 v[206:207], v[206:207], v[138:139]
	v_fmac_f64_e32 v[206:207], v[208:209], v[204:205]
	v_add_f64 v[62:63], v[62:63], -v[206:207]
	ds_read2_b64 v[206:209], v253 offset0:70 offset1:71
	v_add_f64 v[60:61], v[60:61], -v[136:137]
	s_waitcnt lgkmcnt(0)
	v_mul_f64 v[136:137], v[208:209], v[138:139]
	v_fma_f64 v[136:137], v[206:207], v[204:205], -v[136:137]
	v_mul_f64 v[206:207], v[206:207], v[138:139]
	v_fmac_f64_e32 v[206:207], v[208:209], v[204:205]
	v_add_f64 v[58:59], v[58:59], -v[206:207]
	ds_read2_b64 v[206:209], v253 offset0:72 offset1:73
	v_add_f64 v[56:57], v[56:57], -v[136:137]
	s_waitcnt lgkmcnt(0)
	v_mul_f64 v[136:137], v[208:209], v[138:139]
	v_fma_f64 v[136:137], v[206:207], v[204:205], -v[136:137]
	v_mul_f64 v[206:207], v[206:207], v[138:139]
	v_fmac_f64_e32 v[206:207], v[208:209], v[204:205]
	v_add_f64 v[54:55], v[54:55], -v[206:207]
	ds_read2_b64 v[206:209], v253 offset0:74 offset1:75
	v_add_f64 v[52:53], v[52:53], -v[136:137]
	s_waitcnt lgkmcnt(0)
	v_mul_f64 v[136:137], v[208:209], v[138:139]
	v_fma_f64 v[136:137], v[206:207], v[204:205], -v[136:137]
	v_mul_f64 v[206:207], v[206:207], v[138:139]
	v_fmac_f64_e32 v[206:207], v[208:209], v[204:205]
	v_add_f64 v[50:51], v[50:51], -v[206:207]
	ds_read2_b64 v[206:209], v253 offset0:76 offset1:77
	v_add_f64 v[48:49], v[48:49], -v[136:137]
	s_waitcnt lgkmcnt(0)
	v_mul_f64 v[136:137], v[208:209], v[138:139]
	v_fma_f64 v[136:137], v[206:207], v[204:205], -v[136:137]
	v_mul_f64 v[206:207], v[206:207], v[138:139]
	v_fmac_f64_e32 v[206:207], v[208:209], v[204:205]
	v_add_f64 v[46:47], v[46:47], -v[206:207]
	ds_read2_b64 v[206:209], v253 offset0:78 offset1:79
	v_add_f64 v[44:45], v[44:45], -v[136:137]
	s_waitcnt lgkmcnt(0)
	v_mul_f64 v[136:137], v[208:209], v[138:139]
	v_fma_f64 v[136:137], v[206:207], v[204:205], -v[136:137]
	v_mul_f64 v[206:207], v[206:207], v[138:139]
	v_fmac_f64_e32 v[206:207], v[208:209], v[204:205]
	v_add_f64 v[42:43], v[42:43], -v[206:207]
	ds_read2_b64 v[206:209], v253 offset0:80 offset1:81
	v_add_f64 v[40:41], v[40:41], -v[136:137]
	s_waitcnt lgkmcnt(0)
	v_mul_f64 v[136:137], v[208:209], v[138:139]
	v_fma_f64 v[136:137], v[206:207], v[204:205], -v[136:137]
	v_mul_f64 v[206:207], v[206:207], v[138:139]
	v_fmac_f64_e32 v[206:207], v[208:209], v[204:205]
	v_add_f64 v[38:39], v[38:39], -v[206:207]
	ds_read2_b64 v[206:209], v253 offset0:82 offset1:83
	v_add_f64 v[36:37], v[36:37], -v[136:137]
	s_waitcnt lgkmcnt(0)
	v_mul_f64 v[136:137], v[208:209], v[138:139]
	v_fma_f64 v[136:137], v[206:207], v[204:205], -v[136:137]
	v_mul_f64 v[206:207], v[206:207], v[138:139]
	v_fmac_f64_e32 v[206:207], v[208:209], v[204:205]
	v_add_f64 v[34:35], v[34:35], -v[206:207]
	ds_read2_b64 v[206:209], v253 offset0:84 offset1:85
	v_add_f64 v[32:33], v[32:33], -v[136:137]
	s_waitcnt lgkmcnt(0)
	v_mul_f64 v[136:137], v[208:209], v[138:139]
	v_fma_f64 v[136:137], v[206:207], v[204:205], -v[136:137]
	v_mul_f64 v[206:207], v[206:207], v[138:139]
	v_fmac_f64_e32 v[206:207], v[208:209], v[204:205]
	v_add_f64 v[30:31], v[30:31], -v[206:207]
	ds_read2_b64 v[206:209], v253 offset0:86 offset1:87
	v_add_f64 v[28:29], v[28:29], -v[136:137]
	s_waitcnt lgkmcnt(0)
	v_mul_f64 v[136:137], v[208:209], v[138:139]
	v_fma_f64 v[136:137], v[206:207], v[204:205], -v[136:137]
	v_mul_f64 v[206:207], v[206:207], v[138:139]
	v_fmac_f64_e32 v[206:207], v[208:209], v[204:205]
	v_add_f64 v[26:27], v[26:27], -v[206:207]
	ds_read2_b64 v[206:209], v253 offset0:88 offset1:89
	v_add_f64 v[24:25], v[24:25], -v[136:137]
	s_waitcnt lgkmcnt(0)
	v_mul_f64 v[136:137], v[208:209], v[138:139]
	v_fma_f64 v[136:137], v[206:207], v[204:205], -v[136:137]
	v_mul_f64 v[206:207], v[206:207], v[138:139]
	v_fmac_f64_e32 v[206:207], v[208:209], v[204:205]
	v_add_f64 v[22:23], v[22:23], -v[206:207]
	ds_read2_b64 v[206:209], v253 offset0:90 offset1:91
	v_add_f64 v[20:21], v[20:21], -v[136:137]
	s_waitcnt lgkmcnt(0)
	v_mul_f64 v[136:137], v[208:209], v[138:139]
	v_fma_f64 v[136:137], v[206:207], v[204:205], -v[136:137]
	v_mul_f64 v[206:207], v[206:207], v[138:139]
	v_fmac_f64_e32 v[206:207], v[208:209], v[204:205]
	v_add_f64 v[18:19], v[18:19], -v[206:207]
	ds_read2_b64 v[206:209], v253 offset0:92 offset1:93
	v_add_f64 v[16:17], v[16:17], -v[136:137]
	s_waitcnt lgkmcnt(0)
	v_mul_f64 v[136:137], v[208:209], v[138:139]
	v_fma_f64 v[136:137], v[206:207], v[204:205], -v[136:137]
	v_mul_f64 v[206:207], v[206:207], v[138:139]
	v_fmac_f64_e32 v[206:207], v[208:209], v[204:205]
	v_add_f64 v[14:15], v[14:15], -v[206:207]
	ds_read2_b64 v[206:209], v253 offset0:94 offset1:95
	v_add_f64 v[12:13], v[12:13], -v[136:137]
	s_waitcnt lgkmcnt(0)
	v_mul_f64 v[136:137], v[208:209], v[138:139]
	v_fma_f64 v[136:137], v[206:207], v[204:205], -v[136:137]
	v_mul_f64 v[206:207], v[206:207], v[138:139]
	v_fmac_f64_e32 v[206:207], v[208:209], v[204:205]
	v_add_f64 v[10:11], v[10:11], -v[206:207]
	ds_read2_b64 v[206:209], v253 offset0:96 offset1:97
	v_add_f64 v[8:9], v[8:9], -v[136:137]
	s_waitcnt lgkmcnt(0)
	v_mul_f64 v[136:137], v[208:209], v[138:139]
	v_fma_f64 v[136:137], v[206:207], v[204:205], -v[136:137]
	v_mul_f64 v[206:207], v[206:207], v[138:139]
	v_fmac_f64_e32 v[206:207], v[208:209], v[204:205]
	v_add_f64 v[6:7], v[6:7], -v[206:207]
	ds_read2_b64 v[206:209], v253 offset0:98 offset1:99
	v_add_f64 v[4:5], v[4:5], -v[136:137]
	s_waitcnt lgkmcnt(0)
	v_mul_f64 v[136:137], v[208:209], v[138:139]
	v_fma_f64 v[136:137], v[206:207], v[204:205], -v[136:137]
	v_mul_f64 v[206:207], v[206:207], v[138:139]
	v_fmac_f64_e32 v[206:207], v[208:209], v[204:205]
	v_add_f64 v[2:3], v[2:3], -v[206:207]
	ds_read2_b64 v[206:209], v253 offset0:100 offset1:101
	v_add_f64 v[0:1], v[0:1], -v[136:137]
	s_waitcnt lgkmcnt(0)
	v_mul_f64 v[136:137], v[208:209], v[138:139]
	v_fma_f64 v[136:137], v[206:207], v[204:205], -v[136:137]
	v_mul_f64 v[206:207], v[206:207], v[138:139]
	v_fmac_f64_e32 v[206:207], v[208:209], v[204:205]
	v_add_f64 v[200:201], v[200:201], -v[136:137]
	v_add_f64 v[202:203], v[202:203], -v[206:207]
	v_mov_b64_e32 v[136:137], v[204:205]
.LBB101_145:
	s_or_b64 exec, exec, s[2:3]
	v_cmp_eq_u32_e32 vcc, 16, v254
	s_waitcnt vmcnt(63) expcnt(7) lgkmcnt(15)
	s_barrier
	s_and_saveexec_b64 s[4:5], vcc
	s_cbranch_execz .LBB101_152
; %bb.146:
	ds_write2_b64 v252, v[132:133], v[134:135] offset1:1
	ds_write2_b64 v253, v[128:129], v[130:131] offset0:34 offset1:35
	ds_write2_b64 v253, v[124:125], v[126:127] offset0:36 offset1:37
	ds_write2_b64 v253, v[120:121], v[122:123] offset0:38 offset1:39
	ds_write2_b64 v253, v[116:117], v[118:119] offset0:40 offset1:41
	ds_write2_b64 v253, v[112:113], v[114:115] offset0:42 offset1:43
	ds_write2_b64 v253, v[108:109], v[110:111] offset0:44 offset1:45
	ds_write2_b64 v253, v[104:105], v[106:107] offset0:46 offset1:47
	ds_write2_b64 v253, v[100:101], v[102:103] offset0:48 offset1:49
	ds_write2_b64 v253, v[96:97], v[98:99] offset0:50 offset1:51
	ds_write2_b64 v253, v[92:93], v[94:95] offset0:52 offset1:53
	ds_write2_b64 v253, v[88:89], v[90:91] offset0:54 offset1:55
	ds_write2_b64 v253, v[84:85], v[86:87] offset0:56 offset1:57
	ds_write2_b64 v253, v[80:81], v[82:83] offset0:58 offset1:59
	ds_write2_b64 v253, v[76:77], v[78:79] offset0:60 offset1:61
	ds_write2_b64 v253, v[72:73], v[74:75] offset0:62 offset1:63
	s_waitcnt vmcnt(49)
	ds_write2_b64 v253, v[68:69], v[70:71] offset0:64 offset1:65
	s_waitcnt vmcnt(48)
	ds_write2_b64 v253, v[64:65], v[66:67] offset0:66 offset1:67
	;; [unrolled: 2-line block ×16, first 2 shown]
	ds_write2_b64 v253, v[4:5], v[6:7] offset0:96 offset1:97
	ds_write2_b64 v253, v[0:1], v[2:3] offset0:98 offset1:99
	s_waitcnt vmcnt(31)
	ds_write2_b64 v253, v[200:201], v[202:203] offset0:100 offset1:101
	ds_read2_b64 v[204:207], v252 offset1:1
	s_waitcnt lgkmcnt(0)
	v_cmp_neq_f64_e32 vcc, 0, v[204:205]
	v_cmp_neq_f64_e64 s[2:3], 0, v[206:207]
	s_or_b64 s[2:3], vcc, s[2:3]
	s_and_b64 exec, exec, s[2:3]
	s_cbranch_execz .LBB101_152
; %bb.147:
	v_cmp_ngt_f64_e64 s[2:3], |v[204:205]|, |v[206:207]|
                                        ; implicit-def: $vgpr208_vgpr209
	s_and_saveexec_b64 s[10:11], s[2:3]
	s_xor_b64 s[2:3], exec, s[10:11]
                                        ; implicit-def: $vgpr210_vgpr211
	s_cbranch_execz .LBB101_149
; %bb.148:
	v_div_scale_f64 v[208:209], s[10:11], v[206:207], v[206:207], v[204:205]
	v_rcp_f64_e32 v[210:211], v[208:209]
	v_div_scale_f64 v[212:213], vcc, v[204:205], v[206:207], v[204:205]
	v_fma_f64 v[214:215], -v[208:209], v[210:211], 1.0
	v_fmac_f64_e32 v[210:211], v[210:211], v[214:215]
	v_fma_f64 v[214:215], -v[208:209], v[210:211], 1.0
	v_fmac_f64_e32 v[210:211], v[210:211], v[214:215]
	v_mul_f64 v[214:215], v[212:213], v[210:211]
	v_fma_f64 v[208:209], -v[208:209], v[214:215], v[212:213]
	v_div_fmas_f64 v[208:209], v[208:209], v[210:211], v[214:215]
	v_div_fixup_f64 v[208:209], v[208:209], v[206:207], v[204:205]
	v_fmac_f64_e32 v[206:207], v[204:205], v[208:209]
	v_div_scale_f64 v[204:205], s[10:11], v[206:207], v[206:207], 1.0
	v_rcp_f64_e32 v[210:211], v[204:205]
	s_nop 0
	v_fma_f64 v[212:213], -v[204:205], v[210:211], 1.0
	v_fmac_f64_e32 v[210:211], v[210:211], v[212:213]
	v_fma_f64 v[212:213], -v[204:205], v[210:211], 1.0
	v_fmac_f64_e32 v[210:211], v[210:211], v[212:213]
	v_div_scale_f64 v[212:213], vcc, 1.0, v[206:207], 1.0
	v_mul_f64 v[214:215], v[212:213], v[210:211]
	v_fma_f64 v[204:205], -v[204:205], v[214:215], v[212:213]
	s_nop 1
	v_div_fmas_f64 v[204:205], v[204:205], v[210:211], v[214:215]
	v_div_fixup_f64 v[210:211], v[204:205], v[206:207], 1.0
	v_mul_f64 v[208:209], v[208:209], v[210:211]
	v_xor_b32_e32 v211, 0x80000000, v211
                                        ; implicit-def: $vgpr204_vgpr205
.LBB101_149:
	s_andn2_saveexec_b64 s[2:3], s[2:3]
	s_cbranch_execz .LBB101_151
; %bb.150:
	v_div_scale_f64 v[208:209], s[10:11], v[204:205], v[204:205], v[206:207]
	v_rcp_f64_e32 v[210:211], v[208:209]
	v_div_scale_f64 v[212:213], vcc, v[206:207], v[204:205], v[206:207]
	v_fma_f64 v[214:215], -v[208:209], v[210:211], 1.0
	v_fmac_f64_e32 v[210:211], v[210:211], v[214:215]
	v_fma_f64 v[214:215], -v[208:209], v[210:211], 1.0
	v_fmac_f64_e32 v[210:211], v[210:211], v[214:215]
	v_mul_f64 v[214:215], v[212:213], v[210:211]
	v_fma_f64 v[208:209], -v[208:209], v[214:215], v[212:213]
	v_div_fmas_f64 v[208:209], v[208:209], v[210:211], v[214:215]
	v_div_fixup_f64 v[210:211], v[208:209], v[204:205], v[206:207]
	v_fmac_f64_e32 v[204:205], v[206:207], v[210:211]
	v_div_scale_f64 v[206:207], s[10:11], v[204:205], v[204:205], 1.0
	v_rcp_f64_e32 v[208:209], v[206:207]
	s_nop 0
	v_fma_f64 v[212:213], -v[206:207], v[208:209], 1.0
	v_fmac_f64_e32 v[208:209], v[208:209], v[212:213]
	v_fma_f64 v[212:213], -v[206:207], v[208:209], 1.0
	v_fmac_f64_e32 v[208:209], v[208:209], v[212:213]
	v_div_scale_f64 v[212:213], vcc, 1.0, v[204:205], 1.0
	v_mul_f64 v[214:215], v[212:213], v[208:209]
	v_fma_f64 v[206:207], -v[206:207], v[214:215], v[212:213]
	s_nop 1
	v_div_fmas_f64 v[206:207], v[206:207], v[208:209], v[214:215]
	v_div_fixup_f64 v[208:209], v[206:207], v[204:205], 1.0
	v_mul_f64 v[210:211], v[210:211], -v[208:209]
.LBB101_151:
	s_or_b64 exec, exec, s[2:3]
	ds_write2_b64 v252, v[208:209], v[210:211] offset1:1
.LBB101_152:
	s_or_b64 exec, exec, s[4:5]
	s_waitcnt lgkmcnt(0)
	s_barrier
	ds_read2_b64 v[204:207], v252 offset1:1
	v_cmp_lt_u32_e32 vcc, 16, v254
	s_waitcnt lgkmcnt(0)
	scratch_store_dwordx4 off, v[204:207], off offset:664 ; 16-byte Folded Spill
	s_and_saveexec_b64 s[2:3], vcc
	s_cbranch_execz .LBB101_154
; %bb.153:
	scratch_load_dwordx4 v[206:209], off, off offset:664 ; 16-byte Folded Reload
	s_waitcnt vmcnt(0)
	v_mul_f64 v[204:205], v[208:209], v[134:135]
	v_mul_f64 v[134:135], v[206:207], v[134:135]
	v_fma_f64 v[204:205], v[206:207], v[132:133], -v[204:205]
	v_fmac_f64_e32 v[134:135], v[208:209], v[132:133]
	ds_read2_b64 v[206:209], v253 offset0:34 offset1:35
	s_waitcnt lgkmcnt(0)
	v_mul_f64 v[132:133], v[208:209], v[134:135]
	v_fma_f64 v[132:133], v[206:207], v[204:205], -v[132:133]
	v_mul_f64 v[206:207], v[206:207], v[134:135]
	v_fmac_f64_e32 v[206:207], v[208:209], v[204:205]
	v_add_f64 v[130:131], v[130:131], -v[206:207]
	ds_read2_b64 v[206:209], v253 offset0:36 offset1:37
	v_add_f64 v[128:129], v[128:129], -v[132:133]
	s_waitcnt lgkmcnt(0)
	v_mul_f64 v[132:133], v[208:209], v[134:135]
	v_fma_f64 v[132:133], v[206:207], v[204:205], -v[132:133]
	v_mul_f64 v[206:207], v[206:207], v[134:135]
	v_fmac_f64_e32 v[206:207], v[208:209], v[204:205]
	v_add_f64 v[126:127], v[126:127], -v[206:207]
	ds_read2_b64 v[206:209], v253 offset0:38 offset1:39
	v_add_f64 v[124:125], v[124:125], -v[132:133]
	;; [unrolled: 8-line block ×33, first 2 shown]
	s_waitcnt lgkmcnt(0)
	v_mul_f64 v[132:133], v[208:209], v[134:135]
	v_fma_f64 v[132:133], v[206:207], v[204:205], -v[132:133]
	v_mul_f64 v[206:207], v[206:207], v[134:135]
	v_fmac_f64_e32 v[206:207], v[208:209], v[204:205]
	v_add_f64 v[200:201], v[200:201], -v[132:133]
	v_add_f64 v[202:203], v[202:203], -v[206:207]
	v_mov_b64_e32 v[132:133], v[204:205]
.LBB101_154:
	s_or_b64 exec, exec, s[2:3]
	v_cmp_eq_u32_e32 vcc, 17, v254
	s_waitcnt vmcnt(63) expcnt(7) lgkmcnt(15)
	s_barrier
	s_and_saveexec_b64 s[4:5], vcc
	s_cbranch_execz .LBB101_161
; %bb.155:
	ds_write2_b64 v252, v[128:129], v[130:131] offset1:1
	ds_write2_b64 v253, v[124:125], v[126:127] offset0:36 offset1:37
	ds_write2_b64 v253, v[120:121], v[122:123] offset0:38 offset1:39
	;; [unrolled: 1-line block ×14, first 2 shown]
	s_waitcnt vmcnt(50)
	ds_write2_b64 v253, v[68:69], v[70:71] offset0:64 offset1:65
	s_waitcnt vmcnt(49)
	ds_write2_b64 v253, v[64:65], v[66:67] offset0:66 offset1:67
	;; [unrolled: 2-line block ×16, first 2 shown]
	ds_write2_b64 v253, v[4:5], v[6:7] offset0:96 offset1:97
	ds_write2_b64 v253, v[0:1], v[2:3] offset0:98 offset1:99
	s_waitcnt vmcnt(32)
	ds_write2_b64 v253, v[200:201], v[202:203] offset0:100 offset1:101
	ds_read2_b64 v[204:207], v252 offset1:1
	s_waitcnt lgkmcnt(0)
	v_cmp_neq_f64_e32 vcc, 0, v[204:205]
	v_cmp_neq_f64_e64 s[2:3], 0, v[206:207]
	s_or_b64 s[2:3], vcc, s[2:3]
	s_and_b64 exec, exec, s[2:3]
	s_cbranch_execz .LBB101_161
; %bb.156:
	v_cmp_ngt_f64_e64 s[2:3], |v[204:205]|, |v[206:207]|
                                        ; implicit-def: $vgpr208_vgpr209
	s_and_saveexec_b64 s[10:11], s[2:3]
	s_xor_b64 s[2:3], exec, s[10:11]
                                        ; implicit-def: $vgpr210_vgpr211
	s_cbranch_execz .LBB101_158
; %bb.157:
	v_div_scale_f64 v[208:209], s[10:11], v[206:207], v[206:207], v[204:205]
	v_rcp_f64_e32 v[210:211], v[208:209]
	v_div_scale_f64 v[212:213], vcc, v[204:205], v[206:207], v[204:205]
	v_fma_f64 v[214:215], -v[208:209], v[210:211], 1.0
	v_fmac_f64_e32 v[210:211], v[210:211], v[214:215]
	v_fma_f64 v[214:215], -v[208:209], v[210:211], 1.0
	v_fmac_f64_e32 v[210:211], v[210:211], v[214:215]
	v_mul_f64 v[214:215], v[212:213], v[210:211]
	v_fma_f64 v[208:209], -v[208:209], v[214:215], v[212:213]
	v_div_fmas_f64 v[208:209], v[208:209], v[210:211], v[214:215]
	v_div_fixup_f64 v[208:209], v[208:209], v[206:207], v[204:205]
	v_fmac_f64_e32 v[206:207], v[204:205], v[208:209]
	v_div_scale_f64 v[204:205], s[10:11], v[206:207], v[206:207], 1.0
	v_rcp_f64_e32 v[210:211], v[204:205]
	s_nop 0
	v_fma_f64 v[212:213], -v[204:205], v[210:211], 1.0
	v_fmac_f64_e32 v[210:211], v[210:211], v[212:213]
	v_fma_f64 v[212:213], -v[204:205], v[210:211], 1.0
	v_fmac_f64_e32 v[210:211], v[210:211], v[212:213]
	v_div_scale_f64 v[212:213], vcc, 1.0, v[206:207], 1.0
	v_mul_f64 v[214:215], v[212:213], v[210:211]
	v_fma_f64 v[204:205], -v[204:205], v[214:215], v[212:213]
	s_nop 1
	v_div_fmas_f64 v[204:205], v[204:205], v[210:211], v[214:215]
	v_div_fixup_f64 v[210:211], v[204:205], v[206:207], 1.0
	v_mul_f64 v[208:209], v[208:209], v[210:211]
	v_xor_b32_e32 v211, 0x80000000, v211
                                        ; implicit-def: $vgpr204_vgpr205
.LBB101_158:
	s_andn2_saveexec_b64 s[2:3], s[2:3]
	s_cbranch_execz .LBB101_160
; %bb.159:
	v_div_scale_f64 v[208:209], s[10:11], v[204:205], v[204:205], v[206:207]
	v_rcp_f64_e32 v[210:211], v[208:209]
	v_div_scale_f64 v[212:213], vcc, v[206:207], v[204:205], v[206:207]
	v_fma_f64 v[214:215], -v[208:209], v[210:211], 1.0
	v_fmac_f64_e32 v[210:211], v[210:211], v[214:215]
	v_fma_f64 v[214:215], -v[208:209], v[210:211], 1.0
	v_fmac_f64_e32 v[210:211], v[210:211], v[214:215]
	v_mul_f64 v[214:215], v[212:213], v[210:211]
	v_fma_f64 v[208:209], -v[208:209], v[214:215], v[212:213]
	v_div_fmas_f64 v[208:209], v[208:209], v[210:211], v[214:215]
	v_div_fixup_f64 v[210:211], v[208:209], v[204:205], v[206:207]
	v_fmac_f64_e32 v[204:205], v[206:207], v[210:211]
	v_div_scale_f64 v[206:207], s[10:11], v[204:205], v[204:205], 1.0
	v_rcp_f64_e32 v[208:209], v[206:207]
	s_nop 0
	v_fma_f64 v[212:213], -v[206:207], v[208:209], 1.0
	v_fmac_f64_e32 v[208:209], v[208:209], v[212:213]
	v_fma_f64 v[212:213], -v[206:207], v[208:209], 1.0
	v_fmac_f64_e32 v[208:209], v[208:209], v[212:213]
	v_div_scale_f64 v[212:213], vcc, 1.0, v[204:205], 1.0
	v_mul_f64 v[214:215], v[212:213], v[208:209]
	v_fma_f64 v[206:207], -v[206:207], v[214:215], v[212:213]
	s_nop 1
	v_div_fmas_f64 v[206:207], v[206:207], v[208:209], v[214:215]
	v_div_fixup_f64 v[208:209], v[206:207], v[204:205], 1.0
	v_mul_f64 v[210:211], v[210:211], -v[208:209]
.LBB101_160:
	s_or_b64 exec, exec, s[2:3]
	ds_write2_b64 v252, v[208:209], v[210:211] offset1:1
.LBB101_161:
	s_or_b64 exec, exec, s[4:5]
	s_waitcnt lgkmcnt(0)
	s_barrier
	ds_read2_b64 v[204:207], v252 offset1:1
	v_cmp_lt_u32_e32 vcc, 17, v254
	s_waitcnt lgkmcnt(0)
	scratch_store_dwordx4 off, v[204:207], off offset:680 ; 16-byte Folded Spill
	s_and_saveexec_b64 s[2:3], vcc
	s_cbranch_execz .LBB101_163
; %bb.162:
	scratch_load_dwordx4 v[206:209], off, off offset:680 ; 16-byte Folded Reload
	s_waitcnt vmcnt(0)
	v_mul_f64 v[204:205], v[208:209], v[130:131]
	v_mul_f64 v[130:131], v[206:207], v[130:131]
	v_fma_f64 v[204:205], v[206:207], v[128:129], -v[204:205]
	v_fmac_f64_e32 v[130:131], v[208:209], v[128:129]
	ds_read2_b64 v[206:209], v253 offset0:36 offset1:37
	s_waitcnt lgkmcnt(0)
	v_mul_f64 v[128:129], v[208:209], v[130:131]
	v_fma_f64 v[128:129], v[206:207], v[204:205], -v[128:129]
	v_mul_f64 v[206:207], v[206:207], v[130:131]
	v_fmac_f64_e32 v[206:207], v[208:209], v[204:205]
	v_add_f64 v[126:127], v[126:127], -v[206:207]
	ds_read2_b64 v[206:209], v253 offset0:38 offset1:39
	v_add_f64 v[124:125], v[124:125], -v[128:129]
	s_waitcnt lgkmcnt(0)
	v_mul_f64 v[128:129], v[208:209], v[130:131]
	v_fma_f64 v[128:129], v[206:207], v[204:205], -v[128:129]
	v_mul_f64 v[206:207], v[206:207], v[130:131]
	v_fmac_f64_e32 v[206:207], v[208:209], v[204:205]
	v_add_f64 v[122:123], v[122:123], -v[206:207]
	ds_read2_b64 v[206:209], v253 offset0:40 offset1:41
	v_add_f64 v[120:121], v[120:121], -v[128:129]
	s_waitcnt lgkmcnt(0)
	v_mul_f64 v[128:129], v[208:209], v[130:131]
	v_fma_f64 v[128:129], v[206:207], v[204:205], -v[128:129]
	v_mul_f64 v[206:207], v[206:207], v[130:131]
	v_fmac_f64_e32 v[206:207], v[208:209], v[204:205]
	v_add_f64 v[118:119], v[118:119], -v[206:207]
	ds_read2_b64 v[206:209], v253 offset0:42 offset1:43
	v_add_f64 v[116:117], v[116:117], -v[128:129]
	s_waitcnt lgkmcnt(0)
	v_mul_f64 v[128:129], v[208:209], v[130:131]
	v_fma_f64 v[128:129], v[206:207], v[204:205], -v[128:129]
	v_mul_f64 v[206:207], v[206:207], v[130:131]
	v_fmac_f64_e32 v[206:207], v[208:209], v[204:205]
	v_add_f64 v[114:115], v[114:115], -v[206:207]
	ds_read2_b64 v[206:209], v253 offset0:44 offset1:45
	v_add_f64 v[112:113], v[112:113], -v[128:129]
	s_waitcnt lgkmcnt(0)
	v_mul_f64 v[128:129], v[208:209], v[130:131]
	v_fma_f64 v[128:129], v[206:207], v[204:205], -v[128:129]
	v_mul_f64 v[206:207], v[206:207], v[130:131]
	v_fmac_f64_e32 v[206:207], v[208:209], v[204:205]
	v_add_f64 v[110:111], v[110:111], -v[206:207]
	ds_read2_b64 v[206:209], v253 offset0:46 offset1:47
	v_add_f64 v[108:109], v[108:109], -v[128:129]
	s_waitcnt lgkmcnt(0)
	v_mul_f64 v[128:129], v[208:209], v[130:131]
	v_fma_f64 v[128:129], v[206:207], v[204:205], -v[128:129]
	v_mul_f64 v[206:207], v[206:207], v[130:131]
	v_fmac_f64_e32 v[206:207], v[208:209], v[204:205]
	v_add_f64 v[106:107], v[106:107], -v[206:207]
	ds_read2_b64 v[206:209], v253 offset0:48 offset1:49
	v_add_f64 v[104:105], v[104:105], -v[128:129]
	s_waitcnt lgkmcnt(0)
	v_mul_f64 v[128:129], v[208:209], v[130:131]
	v_fma_f64 v[128:129], v[206:207], v[204:205], -v[128:129]
	v_mul_f64 v[206:207], v[206:207], v[130:131]
	v_fmac_f64_e32 v[206:207], v[208:209], v[204:205]
	v_add_f64 v[102:103], v[102:103], -v[206:207]
	ds_read2_b64 v[206:209], v253 offset0:50 offset1:51
	v_add_f64 v[100:101], v[100:101], -v[128:129]
	s_waitcnt lgkmcnt(0)
	v_mul_f64 v[128:129], v[208:209], v[130:131]
	v_fma_f64 v[128:129], v[206:207], v[204:205], -v[128:129]
	v_mul_f64 v[206:207], v[206:207], v[130:131]
	v_fmac_f64_e32 v[206:207], v[208:209], v[204:205]
	v_add_f64 v[98:99], v[98:99], -v[206:207]
	ds_read2_b64 v[206:209], v253 offset0:52 offset1:53
	v_add_f64 v[96:97], v[96:97], -v[128:129]
	s_waitcnt lgkmcnt(0)
	v_mul_f64 v[128:129], v[208:209], v[130:131]
	v_fma_f64 v[128:129], v[206:207], v[204:205], -v[128:129]
	v_mul_f64 v[206:207], v[206:207], v[130:131]
	v_fmac_f64_e32 v[206:207], v[208:209], v[204:205]
	v_add_f64 v[94:95], v[94:95], -v[206:207]
	ds_read2_b64 v[206:209], v253 offset0:54 offset1:55
	v_add_f64 v[92:93], v[92:93], -v[128:129]
	s_waitcnt lgkmcnt(0)
	v_mul_f64 v[128:129], v[208:209], v[130:131]
	v_fma_f64 v[128:129], v[206:207], v[204:205], -v[128:129]
	v_mul_f64 v[206:207], v[206:207], v[130:131]
	v_fmac_f64_e32 v[206:207], v[208:209], v[204:205]
	v_add_f64 v[90:91], v[90:91], -v[206:207]
	ds_read2_b64 v[206:209], v253 offset0:56 offset1:57
	v_add_f64 v[88:89], v[88:89], -v[128:129]
	s_waitcnt lgkmcnt(0)
	v_mul_f64 v[128:129], v[208:209], v[130:131]
	v_fma_f64 v[128:129], v[206:207], v[204:205], -v[128:129]
	v_mul_f64 v[206:207], v[206:207], v[130:131]
	v_fmac_f64_e32 v[206:207], v[208:209], v[204:205]
	v_add_f64 v[86:87], v[86:87], -v[206:207]
	ds_read2_b64 v[206:209], v253 offset0:58 offset1:59
	v_add_f64 v[84:85], v[84:85], -v[128:129]
	s_waitcnt lgkmcnt(0)
	v_mul_f64 v[128:129], v[208:209], v[130:131]
	v_fma_f64 v[128:129], v[206:207], v[204:205], -v[128:129]
	v_mul_f64 v[206:207], v[206:207], v[130:131]
	v_fmac_f64_e32 v[206:207], v[208:209], v[204:205]
	v_add_f64 v[82:83], v[82:83], -v[206:207]
	ds_read2_b64 v[206:209], v253 offset0:60 offset1:61
	v_add_f64 v[80:81], v[80:81], -v[128:129]
	s_waitcnt lgkmcnt(0)
	v_mul_f64 v[128:129], v[208:209], v[130:131]
	v_fma_f64 v[128:129], v[206:207], v[204:205], -v[128:129]
	v_mul_f64 v[206:207], v[206:207], v[130:131]
	v_fmac_f64_e32 v[206:207], v[208:209], v[204:205]
	v_add_f64 v[78:79], v[78:79], -v[206:207]
	ds_read2_b64 v[206:209], v253 offset0:62 offset1:63
	v_add_f64 v[76:77], v[76:77], -v[128:129]
	s_waitcnt lgkmcnt(0)
	v_mul_f64 v[128:129], v[208:209], v[130:131]
	v_fma_f64 v[128:129], v[206:207], v[204:205], -v[128:129]
	v_mul_f64 v[206:207], v[206:207], v[130:131]
	v_fmac_f64_e32 v[206:207], v[208:209], v[204:205]
	v_add_f64 v[74:75], v[74:75], -v[206:207]
	ds_read2_b64 v[206:209], v253 offset0:64 offset1:65
	v_add_f64 v[72:73], v[72:73], -v[128:129]
	s_waitcnt lgkmcnt(0)
	v_mul_f64 v[128:129], v[208:209], v[130:131]
	v_fma_f64 v[128:129], v[206:207], v[204:205], -v[128:129]
	v_mul_f64 v[206:207], v[206:207], v[130:131]
	v_fmac_f64_e32 v[206:207], v[208:209], v[204:205]
	v_add_f64 v[70:71], v[70:71], -v[206:207]
	ds_read2_b64 v[206:209], v253 offset0:66 offset1:67
	v_add_f64 v[68:69], v[68:69], -v[128:129]
	s_waitcnt lgkmcnt(0)
	v_mul_f64 v[128:129], v[208:209], v[130:131]
	v_fma_f64 v[128:129], v[206:207], v[204:205], -v[128:129]
	v_mul_f64 v[206:207], v[206:207], v[130:131]
	v_fmac_f64_e32 v[206:207], v[208:209], v[204:205]
	v_add_f64 v[66:67], v[66:67], -v[206:207]
	ds_read2_b64 v[206:209], v253 offset0:68 offset1:69
	v_add_f64 v[64:65], v[64:65], -v[128:129]
	s_waitcnt lgkmcnt(0)
	v_mul_f64 v[128:129], v[208:209], v[130:131]
	v_fma_f64 v[128:129], v[206:207], v[204:205], -v[128:129]
	v_mul_f64 v[206:207], v[206:207], v[130:131]
	v_fmac_f64_e32 v[206:207], v[208:209], v[204:205]
	v_add_f64 v[62:63], v[62:63], -v[206:207]
	ds_read2_b64 v[206:209], v253 offset0:70 offset1:71
	v_add_f64 v[60:61], v[60:61], -v[128:129]
	s_waitcnt lgkmcnt(0)
	v_mul_f64 v[128:129], v[208:209], v[130:131]
	v_fma_f64 v[128:129], v[206:207], v[204:205], -v[128:129]
	v_mul_f64 v[206:207], v[206:207], v[130:131]
	v_fmac_f64_e32 v[206:207], v[208:209], v[204:205]
	v_add_f64 v[58:59], v[58:59], -v[206:207]
	ds_read2_b64 v[206:209], v253 offset0:72 offset1:73
	v_add_f64 v[56:57], v[56:57], -v[128:129]
	s_waitcnt lgkmcnt(0)
	v_mul_f64 v[128:129], v[208:209], v[130:131]
	v_fma_f64 v[128:129], v[206:207], v[204:205], -v[128:129]
	v_mul_f64 v[206:207], v[206:207], v[130:131]
	v_fmac_f64_e32 v[206:207], v[208:209], v[204:205]
	v_add_f64 v[54:55], v[54:55], -v[206:207]
	ds_read2_b64 v[206:209], v253 offset0:74 offset1:75
	v_add_f64 v[52:53], v[52:53], -v[128:129]
	s_waitcnt lgkmcnt(0)
	v_mul_f64 v[128:129], v[208:209], v[130:131]
	v_fma_f64 v[128:129], v[206:207], v[204:205], -v[128:129]
	v_mul_f64 v[206:207], v[206:207], v[130:131]
	v_fmac_f64_e32 v[206:207], v[208:209], v[204:205]
	v_add_f64 v[50:51], v[50:51], -v[206:207]
	ds_read2_b64 v[206:209], v253 offset0:76 offset1:77
	v_add_f64 v[48:49], v[48:49], -v[128:129]
	s_waitcnt lgkmcnt(0)
	v_mul_f64 v[128:129], v[208:209], v[130:131]
	v_fma_f64 v[128:129], v[206:207], v[204:205], -v[128:129]
	v_mul_f64 v[206:207], v[206:207], v[130:131]
	v_fmac_f64_e32 v[206:207], v[208:209], v[204:205]
	v_add_f64 v[46:47], v[46:47], -v[206:207]
	ds_read2_b64 v[206:209], v253 offset0:78 offset1:79
	v_add_f64 v[44:45], v[44:45], -v[128:129]
	s_waitcnt lgkmcnt(0)
	v_mul_f64 v[128:129], v[208:209], v[130:131]
	v_fma_f64 v[128:129], v[206:207], v[204:205], -v[128:129]
	v_mul_f64 v[206:207], v[206:207], v[130:131]
	v_fmac_f64_e32 v[206:207], v[208:209], v[204:205]
	v_add_f64 v[42:43], v[42:43], -v[206:207]
	ds_read2_b64 v[206:209], v253 offset0:80 offset1:81
	v_add_f64 v[40:41], v[40:41], -v[128:129]
	s_waitcnt lgkmcnt(0)
	v_mul_f64 v[128:129], v[208:209], v[130:131]
	v_fma_f64 v[128:129], v[206:207], v[204:205], -v[128:129]
	v_mul_f64 v[206:207], v[206:207], v[130:131]
	v_fmac_f64_e32 v[206:207], v[208:209], v[204:205]
	v_add_f64 v[38:39], v[38:39], -v[206:207]
	ds_read2_b64 v[206:209], v253 offset0:82 offset1:83
	v_add_f64 v[36:37], v[36:37], -v[128:129]
	s_waitcnt lgkmcnt(0)
	v_mul_f64 v[128:129], v[208:209], v[130:131]
	v_fma_f64 v[128:129], v[206:207], v[204:205], -v[128:129]
	v_mul_f64 v[206:207], v[206:207], v[130:131]
	v_fmac_f64_e32 v[206:207], v[208:209], v[204:205]
	v_add_f64 v[34:35], v[34:35], -v[206:207]
	ds_read2_b64 v[206:209], v253 offset0:84 offset1:85
	v_add_f64 v[32:33], v[32:33], -v[128:129]
	s_waitcnt lgkmcnt(0)
	v_mul_f64 v[128:129], v[208:209], v[130:131]
	v_fma_f64 v[128:129], v[206:207], v[204:205], -v[128:129]
	v_mul_f64 v[206:207], v[206:207], v[130:131]
	v_fmac_f64_e32 v[206:207], v[208:209], v[204:205]
	v_add_f64 v[30:31], v[30:31], -v[206:207]
	ds_read2_b64 v[206:209], v253 offset0:86 offset1:87
	v_add_f64 v[28:29], v[28:29], -v[128:129]
	s_waitcnt lgkmcnt(0)
	v_mul_f64 v[128:129], v[208:209], v[130:131]
	v_fma_f64 v[128:129], v[206:207], v[204:205], -v[128:129]
	v_mul_f64 v[206:207], v[206:207], v[130:131]
	v_fmac_f64_e32 v[206:207], v[208:209], v[204:205]
	v_add_f64 v[26:27], v[26:27], -v[206:207]
	ds_read2_b64 v[206:209], v253 offset0:88 offset1:89
	v_add_f64 v[24:25], v[24:25], -v[128:129]
	s_waitcnt lgkmcnt(0)
	v_mul_f64 v[128:129], v[208:209], v[130:131]
	v_fma_f64 v[128:129], v[206:207], v[204:205], -v[128:129]
	v_mul_f64 v[206:207], v[206:207], v[130:131]
	v_fmac_f64_e32 v[206:207], v[208:209], v[204:205]
	v_add_f64 v[22:23], v[22:23], -v[206:207]
	ds_read2_b64 v[206:209], v253 offset0:90 offset1:91
	v_add_f64 v[20:21], v[20:21], -v[128:129]
	s_waitcnt lgkmcnt(0)
	v_mul_f64 v[128:129], v[208:209], v[130:131]
	v_fma_f64 v[128:129], v[206:207], v[204:205], -v[128:129]
	v_mul_f64 v[206:207], v[206:207], v[130:131]
	v_fmac_f64_e32 v[206:207], v[208:209], v[204:205]
	v_add_f64 v[18:19], v[18:19], -v[206:207]
	ds_read2_b64 v[206:209], v253 offset0:92 offset1:93
	v_add_f64 v[16:17], v[16:17], -v[128:129]
	s_waitcnt lgkmcnt(0)
	v_mul_f64 v[128:129], v[208:209], v[130:131]
	v_fma_f64 v[128:129], v[206:207], v[204:205], -v[128:129]
	v_mul_f64 v[206:207], v[206:207], v[130:131]
	v_fmac_f64_e32 v[206:207], v[208:209], v[204:205]
	v_add_f64 v[14:15], v[14:15], -v[206:207]
	ds_read2_b64 v[206:209], v253 offset0:94 offset1:95
	v_add_f64 v[12:13], v[12:13], -v[128:129]
	s_waitcnt lgkmcnt(0)
	v_mul_f64 v[128:129], v[208:209], v[130:131]
	v_fma_f64 v[128:129], v[206:207], v[204:205], -v[128:129]
	v_mul_f64 v[206:207], v[206:207], v[130:131]
	v_fmac_f64_e32 v[206:207], v[208:209], v[204:205]
	v_add_f64 v[10:11], v[10:11], -v[206:207]
	ds_read2_b64 v[206:209], v253 offset0:96 offset1:97
	v_add_f64 v[8:9], v[8:9], -v[128:129]
	s_waitcnt lgkmcnt(0)
	v_mul_f64 v[128:129], v[208:209], v[130:131]
	v_fma_f64 v[128:129], v[206:207], v[204:205], -v[128:129]
	v_mul_f64 v[206:207], v[206:207], v[130:131]
	v_fmac_f64_e32 v[206:207], v[208:209], v[204:205]
	v_add_f64 v[6:7], v[6:7], -v[206:207]
	ds_read2_b64 v[206:209], v253 offset0:98 offset1:99
	v_add_f64 v[4:5], v[4:5], -v[128:129]
	s_waitcnt lgkmcnt(0)
	v_mul_f64 v[128:129], v[208:209], v[130:131]
	v_fma_f64 v[128:129], v[206:207], v[204:205], -v[128:129]
	v_mul_f64 v[206:207], v[206:207], v[130:131]
	v_fmac_f64_e32 v[206:207], v[208:209], v[204:205]
	v_add_f64 v[2:3], v[2:3], -v[206:207]
	ds_read2_b64 v[206:209], v253 offset0:100 offset1:101
	v_add_f64 v[0:1], v[0:1], -v[128:129]
	s_waitcnt lgkmcnt(0)
	v_mul_f64 v[128:129], v[208:209], v[130:131]
	v_fma_f64 v[128:129], v[206:207], v[204:205], -v[128:129]
	v_mul_f64 v[206:207], v[206:207], v[130:131]
	v_fmac_f64_e32 v[206:207], v[208:209], v[204:205]
	v_add_f64 v[200:201], v[200:201], -v[128:129]
	v_add_f64 v[202:203], v[202:203], -v[206:207]
	v_mov_b64_e32 v[128:129], v[204:205]
.LBB101_163:
	s_or_b64 exec, exec, s[2:3]
	v_cmp_eq_u32_e32 vcc, 18, v254
	s_waitcnt vmcnt(63) expcnt(7) lgkmcnt(15)
	s_barrier
	s_and_saveexec_b64 s[4:5], vcc
	s_cbranch_execz .LBB101_170
; %bb.164:
	ds_write2_b64 v252, v[124:125], v[126:127] offset1:1
	ds_write2_b64 v253, v[120:121], v[122:123] offset0:38 offset1:39
	ds_write2_b64 v253, v[116:117], v[118:119] offset0:40 offset1:41
	;; [unrolled: 1-line block ×13, first 2 shown]
	s_waitcnt vmcnt(51)
	ds_write2_b64 v253, v[68:69], v[70:71] offset0:64 offset1:65
	s_waitcnt vmcnt(50)
	ds_write2_b64 v253, v[64:65], v[66:67] offset0:66 offset1:67
	;; [unrolled: 2-line block ×16, first 2 shown]
	ds_write2_b64 v253, v[4:5], v[6:7] offset0:96 offset1:97
	ds_write2_b64 v253, v[0:1], v[2:3] offset0:98 offset1:99
	s_waitcnt vmcnt(33)
	ds_write2_b64 v253, v[200:201], v[202:203] offset0:100 offset1:101
	ds_read2_b64 v[204:207], v252 offset1:1
	s_waitcnt lgkmcnt(0)
	v_cmp_neq_f64_e32 vcc, 0, v[204:205]
	v_cmp_neq_f64_e64 s[2:3], 0, v[206:207]
	s_or_b64 s[2:3], vcc, s[2:3]
	s_and_b64 exec, exec, s[2:3]
	s_cbranch_execz .LBB101_170
; %bb.165:
	v_cmp_ngt_f64_e64 s[2:3], |v[204:205]|, |v[206:207]|
                                        ; implicit-def: $vgpr208_vgpr209
	s_and_saveexec_b64 s[10:11], s[2:3]
	s_xor_b64 s[2:3], exec, s[10:11]
                                        ; implicit-def: $vgpr210_vgpr211
	s_cbranch_execz .LBB101_167
; %bb.166:
	v_div_scale_f64 v[208:209], s[10:11], v[206:207], v[206:207], v[204:205]
	v_rcp_f64_e32 v[210:211], v[208:209]
	v_div_scale_f64 v[212:213], vcc, v[204:205], v[206:207], v[204:205]
	v_fma_f64 v[214:215], -v[208:209], v[210:211], 1.0
	v_fmac_f64_e32 v[210:211], v[210:211], v[214:215]
	v_fma_f64 v[214:215], -v[208:209], v[210:211], 1.0
	v_fmac_f64_e32 v[210:211], v[210:211], v[214:215]
	v_mul_f64 v[214:215], v[212:213], v[210:211]
	v_fma_f64 v[208:209], -v[208:209], v[214:215], v[212:213]
	v_div_fmas_f64 v[208:209], v[208:209], v[210:211], v[214:215]
	v_div_fixup_f64 v[208:209], v[208:209], v[206:207], v[204:205]
	v_fmac_f64_e32 v[206:207], v[204:205], v[208:209]
	v_div_scale_f64 v[204:205], s[10:11], v[206:207], v[206:207], 1.0
	v_rcp_f64_e32 v[210:211], v[204:205]
	s_nop 0
	v_fma_f64 v[212:213], -v[204:205], v[210:211], 1.0
	v_fmac_f64_e32 v[210:211], v[210:211], v[212:213]
	v_fma_f64 v[212:213], -v[204:205], v[210:211], 1.0
	v_fmac_f64_e32 v[210:211], v[210:211], v[212:213]
	v_div_scale_f64 v[212:213], vcc, 1.0, v[206:207], 1.0
	v_mul_f64 v[214:215], v[212:213], v[210:211]
	v_fma_f64 v[204:205], -v[204:205], v[214:215], v[212:213]
	s_nop 1
	v_div_fmas_f64 v[204:205], v[204:205], v[210:211], v[214:215]
	v_div_fixup_f64 v[210:211], v[204:205], v[206:207], 1.0
	v_mul_f64 v[208:209], v[208:209], v[210:211]
	v_xor_b32_e32 v211, 0x80000000, v211
                                        ; implicit-def: $vgpr204_vgpr205
.LBB101_167:
	s_andn2_saveexec_b64 s[2:3], s[2:3]
	s_cbranch_execz .LBB101_169
; %bb.168:
	v_div_scale_f64 v[208:209], s[10:11], v[204:205], v[204:205], v[206:207]
	v_rcp_f64_e32 v[210:211], v[208:209]
	v_div_scale_f64 v[212:213], vcc, v[206:207], v[204:205], v[206:207]
	v_fma_f64 v[214:215], -v[208:209], v[210:211], 1.0
	v_fmac_f64_e32 v[210:211], v[210:211], v[214:215]
	v_fma_f64 v[214:215], -v[208:209], v[210:211], 1.0
	v_fmac_f64_e32 v[210:211], v[210:211], v[214:215]
	v_mul_f64 v[214:215], v[212:213], v[210:211]
	v_fma_f64 v[208:209], -v[208:209], v[214:215], v[212:213]
	v_div_fmas_f64 v[208:209], v[208:209], v[210:211], v[214:215]
	v_div_fixup_f64 v[210:211], v[208:209], v[204:205], v[206:207]
	v_fmac_f64_e32 v[204:205], v[206:207], v[210:211]
	v_div_scale_f64 v[206:207], s[10:11], v[204:205], v[204:205], 1.0
	v_rcp_f64_e32 v[208:209], v[206:207]
	s_nop 0
	v_fma_f64 v[212:213], -v[206:207], v[208:209], 1.0
	v_fmac_f64_e32 v[208:209], v[208:209], v[212:213]
	v_fma_f64 v[212:213], -v[206:207], v[208:209], 1.0
	v_fmac_f64_e32 v[208:209], v[208:209], v[212:213]
	v_div_scale_f64 v[212:213], vcc, 1.0, v[204:205], 1.0
	v_mul_f64 v[214:215], v[212:213], v[208:209]
	v_fma_f64 v[206:207], -v[206:207], v[214:215], v[212:213]
	s_nop 1
	v_div_fmas_f64 v[206:207], v[206:207], v[208:209], v[214:215]
	v_div_fixup_f64 v[208:209], v[206:207], v[204:205], 1.0
	v_mul_f64 v[210:211], v[210:211], -v[208:209]
.LBB101_169:
	s_or_b64 exec, exec, s[2:3]
	ds_write2_b64 v252, v[208:209], v[210:211] offset1:1
.LBB101_170:
	s_or_b64 exec, exec, s[4:5]
	s_waitcnt lgkmcnt(0)
	s_barrier
	ds_read2_b64 v[204:207], v252 offset1:1
	v_cmp_lt_u32_e32 vcc, 18, v254
	s_waitcnt lgkmcnt(0)
	scratch_store_dwordx4 off, v[204:207], off offset:696 ; 16-byte Folded Spill
	s_and_saveexec_b64 s[2:3], vcc
	s_cbranch_execz .LBB101_172
; %bb.171:
	scratch_load_dwordx4 v[206:209], off, off offset:696 ; 16-byte Folded Reload
	s_waitcnt vmcnt(0)
	v_mul_f64 v[204:205], v[208:209], v[126:127]
	v_mul_f64 v[126:127], v[206:207], v[126:127]
	v_fma_f64 v[204:205], v[206:207], v[124:125], -v[204:205]
	v_fmac_f64_e32 v[126:127], v[208:209], v[124:125]
	ds_read2_b64 v[206:209], v253 offset0:38 offset1:39
	s_waitcnt lgkmcnt(0)
	v_mul_f64 v[124:125], v[208:209], v[126:127]
	v_fma_f64 v[124:125], v[206:207], v[204:205], -v[124:125]
	v_mul_f64 v[206:207], v[206:207], v[126:127]
	v_fmac_f64_e32 v[206:207], v[208:209], v[204:205]
	v_add_f64 v[122:123], v[122:123], -v[206:207]
	ds_read2_b64 v[206:209], v253 offset0:40 offset1:41
	v_add_f64 v[120:121], v[120:121], -v[124:125]
	s_waitcnt lgkmcnt(0)
	v_mul_f64 v[124:125], v[208:209], v[126:127]
	v_fma_f64 v[124:125], v[206:207], v[204:205], -v[124:125]
	v_mul_f64 v[206:207], v[206:207], v[126:127]
	v_fmac_f64_e32 v[206:207], v[208:209], v[204:205]
	v_add_f64 v[118:119], v[118:119], -v[206:207]
	ds_read2_b64 v[206:209], v253 offset0:42 offset1:43
	v_add_f64 v[116:117], v[116:117], -v[124:125]
	;; [unrolled: 8-line block ×31, first 2 shown]
	s_waitcnt lgkmcnt(0)
	v_mul_f64 v[124:125], v[208:209], v[126:127]
	v_fma_f64 v[124:125], v[206:207], v[204:205], -v[124:125]
	v_mul_f64 v[206:207], v[206:207], v[126:127]
	v_fmac_f64_e32 v[206:207], v[208:209], v[204:205]
	v_add_f64 v[200:201], v[200:201], -v[124:125]
	v_add_f64 v[202:203], v[202:203], -v[206:207]
	v_mov_b64_e32 v[124:125], v[204:205]
.LBB101_172:
	s_or_b64 exec, exec, s[2:3]
	v_cmp_eq_u32_e32 vcc, 19, v254
	s_waitcnt vmcnt(63) expcnt(7) lgkmcnt(15)
	s_barrier
	s_and_saveexec_b64 s[4:5], vcc
	s_cbranch_execz .LBB101_179
; %bb.173:
	ds_write2_b64 v252, v[120:121], v[122:123] offset1:1
	ds_write2_b64 v253, v[116:117], v[118:119] offset0:40 offset1:41
	ds_write2_b64 v253, v[112:113], v[114:115] offset0:42 offset1:43
	;; [unrolled: 1-line block ×12, first 2 shown]
	s_waitcnt vmcnt(52)
	ds_write2_b64 v253, v[68:69], v[70:71] offset0:64 offset1:65
	s_waitcnt vmcnt(51)
	ds_write2_b64 v253, v[64:65], v[66:67] offset0:66 offset1:67
	;; [unrolled: 2-line block ×16, first 2 shown]
	ds_write2_b64 v253, v[4:5], v[6:7] offset0:96 offset1:97
	ds_write2_b64 v253, v[0:1], v[2:3] offset0:98 offset1:99
	s_waitcnt vmcnt(34)
	ds_write2_b64 v253, v[200:201], v[202:203] offset0:100 offset1:101
	ds_read2_b64 v[204:207], v252 offset1:1
	s_waitcnt lgkmcnt(0)
	v_cmp_neq_f64_e32 vcc, 0, v[204:205]
	v_cmp_neq_f64_e64 s[2:3], 0, v[206:207]
	s_or_b64 s[2:3], vcc, s[2:3]
	s_and_b64 exec, exec, s[2:3]
	s_cbranch_execz .LBB101_179
; %bb.174:
	v_cmp_ngt_f64_e64 s[2:3], |v[204:205]|, |v[206:207]|
                                        ; implicit-def: $vgpr208_vgpr209
	s_and_saveexec_b64 s[10:11], s[2:3]
	s_xor_b64 s[2:3], exec, s[10:11]
                                        ; implicit-def: $vgpr210_vgpr211
	s_cbranch_execz .LBB101_176
; %bb.175:
	v_div_scale_f64 v[208:209], s[10:11], v[206:207], v[206:207], v[204:205]
	v_rcp_f64_e32 v[210:211], v[208:209]
	v_div_scale_f64 v[212:213], vcc, v[204:205], v[206:207], v[204:205]
	v_fma_f64 v[214:215], -v[208:209], v[210:211], 1.0
	v_fmac_f64_e32 v[210:211], v[210:211], v[214:215]
	v_fma_f64 v[214:215], -v[208:209], v[210:211], 1.0
	v_fmac_f64_e32 v[210:211], v[210:211], v[214:215]
	v_mul_f64 v[214:215], v[212:213], v[210:211]
	v_fma_f64 v[208:209], -v[208:209], v[214:215], v[212:213]
	v_div_fmas_f64 v[208:209], v[208:209], v[210:211], v[214:215]
	v_div_fixup_f64 v[208:209], v[208:209], v[206:207], v[204:205]
	v_fmac_f64_e32 v[206:207], v[204:205], v[208:209]
	v_div_scale_f64 v[204:205], s[10:11], v[206:207], v[206:207], 1.0
	v_rcp_f64_e32 v[210:211], v[204:205]
	s_nop 0
	v_fma_f64 v[212:213], -v[204:205], v[210:211], 1.0
	v_fmac_f64_e32 v[210:211], v[210:211], v[212:213]
	v_fma_f64 v[212:213], -v[204:205], v[210:211], 1.0
	v_fmac_f64_e32 v[210:211], v[210:211], v[212:213]
	v_div_scale_f64 v[212:213], vcc, 1.0, v[206:207], 1.0
	v_mul_f64 v[214:215], v[212:213], v[210:211]
	v_fma_f64 v[204:205], -v[204:205], v[214:215], v[212:213]
	s_nop 1
	v_div_fmas_f64 v[204:205], v[204:205], v[210:211], v[214:215]
	v_div_fixup_f64 v[210:211], v[204:205], v[206:207], 1.0
	v_mul_f64 v[208:209], v[208:209], v[210:211]
	v_xor_b32_e32 v211, 0x80000000, v211
                                        ; implicit-def: $vgpr204_vgpr205
.LBB101_176:
	s_andn2_saveexec_b64 s[2:3], s[2:3]
	s_cbranch_execz .LBB101_178
; %bb.177:
	v_div_scale_f64 v[208:209], s[10:11], v[204:205], v[204:205], v[206:207]
	v_rcp_f64_e32 v[210:211], v[208:209]
	v_div_scale_f64 v[212:213], vcc, v[206:207], v[204:205], v[206:207]
	v_fma_f64 v[214:215], -v[208:209], v[210:211], 1.0
	v_fmac_f64_e32 v[210:211], v[210:211], v[214:215]
	v_fma_f64 v[214:215], -v[208:209], v[210:211], 1.0
	v_fmac_f64_e32 v[210:211], v[210:211], v[214:215]
	v_mul_f64 v[214:215], v[212:213], v[210:211]
	v_fma_f64 v[208:209], -v[208:209], v[214:215], v[212:213]
	v_div_fmas_f64 v[208:209], v[208:209], v[210:211], v[214:215]
	v_div_fixup_f64 v[210:211], v[208:209], v[204:205], v[206:207]
	v_fmac_f64_e32 v[204:205], v[206:207], v[210:211]
	v_div_scale_f64 v[206:207], s[10:11], v[204:205], v[204:205], 1.0
	v_rcp_f64_e32 v[208:209], v[206:207]
	s_nop 0
	v_fma_f64 v[212:213], -v[206:207], v[208:209], 1.0
	v_fmac_f64_e32 v[208:209], v[208:209], v[212:213]
	v_fma_f64 v[212:213], -v[206:207], v[208:209], 1.0
	v_fmac_f64_e32 v[208:209], v[208:209], v[212:213]
	v_div_scale_f64 v[212:213], vcc, 1.0, v[204:205], 1.0
	v_mul_f64 v[214:215], v[212:213], v[208:209]
	v_fma_f64 v[206:207], -v[206:207], v[214:215], v[212:213]
	s_nop 1
	v_div_fmas_f64 v[206:207], v[206:207], v[208:209], v[214:215]
	v_div_fixup_f64 v[208:209], v[206:207], v[204:205], 1.0
	v_mul_f64 v[210:211], v[210:211], -v[208:209]
.LBB101_178:
	s_or_b64 exec, exec, s[2:3]
	ds_write2_b64 v252, v[208:209], v[210:211] offset1:1
.LBB101_179:
	s_or_b64 exec, exec, s[4:5]
	s_waitcnt lgkmcnt(0)
	s_barrier
	ds_read2_b64 v[204:207], v252 offset1:1
	v_cmp_lt_u32_e32 vcc, 19, v254
	s_waitcnt lgkmcnt(0)
	scratch_store_dwordx4 off, v[204:207], off offset:712 ; 16-byte Folded Spill
	s_and_saveexec_b64 s[2:3], vcc
	s_cbranch_execz .LBB101_181
; %bb.180:
	scratch_load_dwordx4 v[206:209], off, off offset:712 ; 16-byte Folded Reload
	s_waitcnt vmcnt(0)
	v_mul_f64 v[204:205], v[208:209], v[122:123]
	v_mul_f64 v[122:123], v[206:207], v[122:123]
	v_fma_f64 v[204:205], v[206:207], v[120:121], -v[204:205]
	v_fmac_f64_e32 v[122:123], v[208:209], v[120:121]
	ds_read2_b64 v[206:209], v253 offset0:40 offset1:41
	s_waitcnt lgkmcnt(0)
	v_mul_f64 v[120:121], v[208:209], v[122:123]
	v_fma_f64 v[120:121], v[206:207], v[204:205], -v[120:121]
	v_mul_f64 v[206:207], v[206:207], v[122:123]
	v_fmac_f64_e32 v[206:207], v[208:209], v[204:205]
	v_add_f64 v[118:119], v[118:119], -v[206:207]
	ds_read2_b64 v[206:209], v253 offset0:42 offset1:43
	v_add_f64 v[116:117], v[116:117], -v[120:121]
	s_waitcnt lgkmcnt(0)
	v_mul_f64 v[120:121], v[208:209], v[122:123]
	v_fma_f64 v[120:121], v[206:207], v[204:205], -v[120:121]
	v_mul_f64 v[206:207], v[206:207], v[122:123]
	v_fmac_f64_e32 v[206:207], v[208:209], v[204:205]
	v_add_f64 v[114:115], v[114:115], -v[206:207]
	ds_read2_b64 v[206:209], v253 offset0:44 offset1:45
	v_add_f64 v[112:113], v[112:113], -v[120:121]
	;; [unrolled: 8-line block ×30, first 2 shown]
	s_waitcnt lgkmcnt(0)
	v_mul_f64 v[120:121], v[208:209], v[122:123]
	v_fma_f64 v[120:121], v[206:207], v[204:205], -v[120:121]
	v_mul_f64 v[206:207], v[206:207], v[122:123]
	v_fmac_f64_e32 v[206:207], v[208:209], v[204:205]
	v_add_f64 v[200:201], v[200:201], -v[120:121]
	v_add_f64 v[202:203], v[202:203], -v[206:207]
	v_mov_b64_e32 v[120:121], v[204:205]
.LBB101_181:
	s_or_b64 exec, exec, s[2:3]
	v_cmp_eq_u32_e32 vcc, 20, v254
	s_waitcnt vmcnt(63) expcnt(7) lgkmcnt(15)
	s_barrier
	s_and_saveexec_b64 s[4:5], vcc
	s_cbranch_execz .LBB101_188
; %bb.182:
	ds_write2_b64 v252, v[116:117], v[118:119] offset1:1
	ds_write2_b64 v253, v[112:113], v[114:115] offset0:42 offset1:43
	ds_write2_b64 v253, v[108:109], v[110:111] offset0:44 offset1:45
	;; [unrolled: 1-line block ×11, first 2 shown]
	s_waitcnt vmcnt(53)
	ds_write2_b64 v253, v[68:69], v[70:71] offset0:64 offset1:65
	s_waitcnt vmcnt(52)
	ds_write2_b64 v253, v[64:65], v[66:67] offset0:66 offset1:67
	;; [unrolled: 2-line block ×16, first 2 shown]
	ds_write2_b64 v253, v[4:5], v[6:7] offset0:96 offset1:97
	ds_write2_b64 v253, v[0:1], v[2:3] offset0:98 offset1:99
	s_waitcnt vmcnt(35)
	ds_write2_b64 v253, v[200:201], v[202:203] offset0:100 offset1:101
	ds_read2_b64 v[204:207], v252 offset1:1
	s_waitcnt lgkmcnt(0)
	v_cmp_neq_f64_e32 vcc, 0, v[204:205]
	v_cmp_neq_f64_e64 s[2:3], 0, v[206:207]
	s_or_b64 s[2:3], vcc, s[2:3]
	s_and_b64 exec, exec, s[2:3]
	s_cbranch_execz .LBB101_188
; %bb.183:
	v_cmp_ngt_f64_e64 s[2:3], |v[204:205]|, |v[206:207]|
                                        ; implicit-def: $vgpr208_vgpr209
	s_and_saveexec_b64 s[10:11], s[2:3]
	s_xor_b64 s[2:3], exec, s[10:11]
                                        ; implicit-def: $vgpr210_vgpr211
	s_cbranch_execz .LBB101_185
; %bb.184:
	v_div_scale_f64 v[208:209], s[10:11], v[206:207], v[206:207], v[204:205]
	v_rcp_f64_e32 v[210:211], v[208:209]
	v_div_scale_f64 v[212:213], vcc, v[204:205], v[206:207], v[204:205]
	v_fma_f64 v[214:215], -v[208:209], v[210:211], 1.0
	v_fmac_f64_e32 v[210:211], v[210:211], v[214:215]
	v_fma_f64 v[214:215], -v[208:209], v[210:211], 1.0
	v_fmac_f64_e32 v[210:211], v[210:211], v[214:215]
	v_mul_f64 v[214:215], v[212:213], v[210:211]
	v_fma_f64 v[208:209], -v[208:209], v[214:215], v[212:213]
	v_div_fmas_f64 v[208:209], v[208:209], v[210:211], v[214:215]
	v_div_fixup_f64 v[208:209], v[208:209], v[206:207], v[204:205]
	v_fmac_f64_e32 v[206:207], v[204:205], v[208:209]
	v_div_scale_f64 v[204:205], s[10:11], v[206:207], v[206:207], 1.0
	v_rcp_f64_e32 v[210:211], v[204:205]
	s_nop 0
	v_fma_f64 v[212:213], -v[204:205], v[210:211], 1.0
	v_fmac_f64_e32 v[210:211], v[210:211], v[212:213]
	v_fma_f64 v[212:213], -v[204:205], v[210:211], 1.0
	v_fmac_f64_e32 v[210:211], v[210:211], v[212:213]
	v_div_scale_f64 v[212:213], vcc, 1.0, v[206:207], 1.0
	v_mul_f64 v[214:215], v[212:213], v[210:211]
	v_fma_f64 v[204:205], -v[204:205], v[214:215], v[212:213]
	s_nop 1
	v_div_fmas_f64 v[204:205], v[204:205], v[210:211], v[214:215]
	v_div_fixup_f64 v[210:211], v[204:205], v[206:207], 1.0
	v_mul_f64 v[208:209], v[208:209], v[210:211]
	v_xor_b32_e32 v211, 0x80000000, v211
                                        ; implicit-def: $vgpr204_vgpr205
.LBB101_185:
	s_andn2_saveexec_b64 s[2:3], s[2:3]
	s_cbranch_execz .LBB101_187
; %bb.186:
	v_div_scale_f64 v[208:209], s[10:11], v[204:205], v[204:205], v[206:207]
	v_rcp_f64_e32 v[210:211], v[208:209]
	v_div_scale_f64 v[212:213], vcc, v[206:207], v[204:205], v[206:207]
	v_fma_f64 v[214:215], -v[208:209], v[210:211], 1.0
	v_fmac_f64_e32 v[210:211], v[210:211], v[214:215]
	v_fma_f64 v[214:215], -v[208:209], v[210:211], 1.0
	v_fmac_f64_e32 v[210:211], v[210:211], v[214:215]
	v_mul_f64 v[214:215], v[212:213], v[210:211]
	v_fma_f64 v[208:209], -v[208:209], v[214:215], v[212:213]
	v_div_fmas_f64 v[208:209], v[208:209], v[210:211], v[214:215]
	v_div_fixup_f64 v[210:211], v[208:209], v[204:205], v[206:207]
	v_fmac_f64_e32 v[204:205], v[206:207], v[210:211]
	v_div_scale_f64 v[206:207], s[10:11], v[204:205], v[204:205], 1.0
	v_rcp_f64_e32 v[208:209], v[206:207]
	s_nop 0
	v_fma_f64 v[212:213], -v[206:207], v[208:209], 1.0
	v_fmac_f64_e32 v[208:209], v[208:209], v[212:213]
	v_fma_f64 v[212:213], -v[206:207], v[208:209], 1.0
	v_fmac_f64_e32 v[208:209], v[208:209], v[212:213]
	v_div_scale_f64 v[212:213], vcc, 1.0, v[204:205], 1.0
	v_mul_f64 v[214:215], v[212:213], v[208:209]
	v_fma_f64 v[206:207], -v[206:207], v[214:215], v[212:213]
	s_nop 1
	v_div_fmas_f64 v[206:207], v[206:207], v[208:209], v[214:215]
	v_div_fixup_f64 v[208:209], v[206:207], v[204:205], 1.0
	v_mul_f64 v[210:211], v[210:211], -v[208:209]
.LBB101_187:
	s_or_b64 exec, exec, s[2:3]
	ds_write2_b64 v252, v[208:209], v[210:211] offset1:1
.LBB101_188:
	s_or_b64 exec, exec, s[4:5]
	s_waitcnt lgkmcnt(0)
	s_barrier
	ds_read2_b64 v[204:207], v252 offset1:1
	v_cmp_lt_u32_e32 vcc, 20, v254
	s_waitcnt lgkmcnt(0)
	scratch_store_dwordx4 off, v[204:207], off offset:728 ; 16-byte Folded Spill
	s_and_saveexec_b64 s[2:3], vcc
	s_cbranch_execz .LBB101_190
; %bb.189:
	scratch_load_dwordx4 v[206:209], off, off offset:728 ; 16-byte Folded Reload
	s_waitcnt vmcnt(0)
	v_mul_f64 v[204:205], v[208:209], v[118:119]
	v_mul_f64 v[118:119], v[206:207], v[118:119]
	v_fma_f64 v[204:205], v[206:207], v[116:117], -v[204:205]
	v_fmac_f64_e32 v[118:119], v[208:209], v[116:117]
	ds_read2_b64 v[206:209], v253 offset0:42 offset1:43
	s_waitcnt lgkmcnt(0)
	v_mul_f64 v[116:117], v[208:209], v[118:119]
	v_fma_f64 v[116:117], v[206:207], v[204:205], -v[116:117]
	v_mul_f64 v[206:207], v[206:207], v[118:119]
	v_fmac_f64_e32 v[206:207], v[208:209], v[204:205]
	v_add_f64 v[114:115], v[114:115], -v[206:207]
	ds_read2_b64 v[206:209], v253 offset0:44 offset1:45
	v_add_f64 v[112:113], v[112:113], -v[116:117]
	s_waitcnt lgkmcnt(0)
	v_mul_f64 v[116:117], v[208:209], v[118:119]
	v_fma_f64 v[116:117], v[206:207], v[204:205], -v[116:117]
	v_mul_f64 v[206:207], v[206:207], v[118:119]
	v_fmac_f64_e32 v[206:207], v[208:209], v[204:205]
	v_add_f64 v[110:111], v[110:111], -v[206:207]
	ds_read2_b64 v[206:209], v253 offset0:46 offset1:47
	v_add_f64 v[108:109], v[108:109], -v[116:117]
	;; [unrolled: 8-line block ×29, first 2 shown]
	s_waitcnt lgkmcnt(0)
	v_mul_f64 v[116:117], v[208:209], v[118:119]
	v_fma_f64 v[116:117], v[206:207], v[204:205], -v[116:117]
	v_mul_f64 v[206:207], v[206:207], v[118:119]
	v_fmac_f64_e32 v[206:207], v[208:209], v[204:205]
	v_add_f64 v[200:201], v[200:201], -v[116:117]
	v_add_f64 v[202:203], v[202:203], -v[206:207]
	v_mov_b64_e32 v[116:117], v[204:205]
.LBB101_190:
	s_or_b64 exec, exec, s[2:3]
	v_cmp_eq_u32_e32 vcc, 21, v254
	s_waitcnt vmcnt(63) expcnt(7) lgkmcnt(15)
	s_barrier
	s_and_saveexec_b64 s[4:5], vcc
	s_cbranch_execz .LBB101_197
; %bb.191:
	ds_write2_b64 v252, v[112:113], v[114:115] offset1:1
	ds_write2_b64 v253, v[108:109], v[110:111] offset0:44 offset1:45
	ds_write2_b64 v253, v[104:105], v[106:107] offset0:46 offset1:47
	;; [unrolled: 1-line block ×10, first 2 shown]
	s_waitcnt vmcnt(54)
	ds_write2_b64 v253, v[68:69], v[70:71] offset0:64 offset1:65
	s_waitcnt vmcnt(53)
	ds_write2_b64 v253, v[64:65], v[66:67] offset0:66 offset1:67
	;; [unrolled: 2-line block ×16, first 2 shown]
	ds_write2_b64 v253, v[4:5], v[6:7] offset0:96 offset1:97
	ds_write2_b64 v253, v[0:1], v[2:3] offset0:98 offset1:99
	s_waitcnt vmcnt(36)
	ds_write2_b64 v253, v[200:201], v[202:203] offset0:100 offset1:101
	ds_read2_b64 v[204:207], v252 offset1:1
	s_waitcnt lgkmcnt(0)
	v_cmp_neq_f64_e32 vcc, 0, v[204:205]
	v_cmp_neq_f64_e64 s[2:3], 0, v[206:207]
	s_or_b64 s[2:3], vcc, s[2:3]
	s_and_b64 exec, exec, s[2:3]
	s_cbranch_execz .LBB101_197
; %bb.192:
	v_cmp_ngt_f64_e64 s[2:3], |v[204:205]|, |v[206:207]|
                                        ; implicit-def: $vgpr208_vgpr209
	s_and_saveexec_b64 s[10:11], s[2:3]
	s_xor_b64 s[2:3], exec, s[10:11]
                                        ; implicit-def: $vgpr210_vgpr211
	s_cbranch_execz .LBB101_194
; %bb.193:
	v_div_scale_f64 v[208:209], s[10:11], v[206:207], v[206:207], v[204:205]
	v_rcp_f64_e32 v[210:211], v[208:209]
	v_div_scale_f64 v[212:213], vcc, v[204:205], v[206:207], v[204:205]
	v_fma_f64 v[214:215], -v[208:209], v[210:211], 1.0
	v_fmac_f64_e32 v[210:211], v[210:211], v[214:215]
	v_fma_f64 v[214:215], -v[208:209], v[210:211], 1.0
	v_fmac_f64_e32 v[210:211], v[210:211], v[214:215]
	v_mul_f64 v[214:215], v[212:213], v[210:211]
	v_fma_f64 v[208:209], -v[208:209], v[214:215], v[212:213]
	v_div_fmas_f64 v[208:209], v[208:209], v[210:211], v[214:215]
	v_div_fixup_f64 v[208:209], v[208:209], v[206:207], v[204:205]
	v_fmac_f64_e32 v[206:207], v[204:205], v[208:209]
	v_div_scale_f64 v[204:205], s[10:11], v[206:207], v[206:207], 1.0
	v_rcp_f64_e32 v[210:211], v[204:205]
	s_nop 0
	v_fma_f64 v[212:213], -v[204:205], v[210:211], 1.0
	v_fmac_f64_e32 v[210:211], v[210:211], v[212:213]
	v_fma_f64 v[212:213], -v[204:205], v[210:211], 1.0
	v_fmac_f64_e32 v[210:211], v[210:211], v[212:213]
	v_div_scale_f64 v[212:213], vcc, 1.0, v[206:207], 1.0
	v_mul_f64 v[214:215], v[212:213], v[210:211]
	v_fma_f64 v[204:205], -v[204:205], v[214:215], v[212:213]
	s_nop 1
	v_div_fmas_f64 v[204:205], v[204:205], v[210:211], v[214:215]
	v_div_fixup_f64 v[210:211], v[204:205], v[206:207], 1.0
	v_mul_f64 v[208:209], v[208:209], v[210:211]
	v_xor_b32_e32 v211, 0x80000000, v211
                                        ; implicit-def: $vgpr204_vgpr205
.LBB101_194:
	s_andn2_saveexec_b64 s[2:3], s[2:3]
	s_cbranch_execz .LBB101_196
; %bb.195:
	v_div_scale_f64 v[208:209], s[10:11], v[204:205], v[204:205], v[206:207]
	v_rcp_f64_e32 v[210:211], v[208:209]
	v_div_scale_f64 v[212:213], vcc, v[206:207], v[204:205], v[206:207]
	v_fma_f64 v[214:215], -v[208:209], v[210:211], 1.0
	v_fmac_f64_e32 v[210:211], v[210:211], v[214:215]
	v_fma_f64 v[214:215], -v[208:209], v[210:211], 1.0
	v_fmac_f64_e32 v[210:211], v[210:211], v[214:215]
	v_mul_f64 v[214:215], v[212:213], v[210:211]
	v_fma_f64 v[208:209], -v[208:209], v[214:215], v[212:213]
	v_div_fmas_f64 v[208:209], v[208:209], v[210:211], v[214:215]
	v_div_fixup_f64 v[210:211], v[208:209], v[204:205], v[206:207]
	v_fmac_f64_e32 v[204:205], v[206:207], v[210:211]
	v_div_scale_f64 v[206:207], s[10:11], v[204:205], v[204:205], 1.0
	v_rcp_f64_e32 v[208:209], v[206:207]
	s_nop 0
	v_fma_f64 v[212:213], -v[206:207], v[208:209], 1.0
	v_fmac_f64_e32 v[208:209], v[208:209], v[212:213]
	v_fma_f64 v[212:213], -v[206:207], v[208:209], 1.0
	v_fmac_f64_e32 v[208:209], v[208:209], v[212:213]
	v_div_scale_f64 v[212:213], vcc, 1.0, v[204:205], 1.0
	v_mul_f64 v[214:215], v[212:213], v[208:209]
	v_fma_f64 v[206:207], -v[206:207], v[214:215], v[212:213]
	s_nop 1
	v_div_fmas_f64 v[206:207], v[206:207], v[208:209], v[214:215]
	v_div_fixup_f64 v[208:209], v[206:207], v[204:205], 1.0
	v_mul_f64 v[210:211], v[210:211], -v[208:209]
.LBB101_196:
	s_or_b64 exec, exec, s[2:3]
	ds_write2_b64 v252, v[208:209], v[210:211] offset1:1
.LBB101_197:
	s_or_b64 exec, exec, s[4:5]
	s_waitcnt lgkmcnt(0)
	s_barrier
	ds_read2_b64 v[204:207], v252 offset1:1
	v_cmp_lt_u32_e32 vcc, 21, v254
	s_waitcnt lgkmcnt(0)
	scratch_store_dwordx4 off, v[204:207], off offset:744 ; 16-byte Folded Spill
	s_and_saveexec_b64 s[2:3], vcc
	s_cbranch_execz .LBB101_199
; %bb.198:
	scratch_load_dwordx4 v[206:209], off, off offset:744 ; 16-byte Folded Reload
	s_waitcnt vmcnt(0)
	v_mul_f64 v[204:205], v[208:209], v[114:115]
	v_mul_f64 v[114:115], v[206:207], v[114:115]
	v_fma_f64 v[204:205], v[206:207], v[112:113], -v[204:205]
	v_fmac_f64_e32 v[114:115], v[208:209], v[112:113]
	ds_read2_b64 v[206:209], v253 offset0:44 offset1:45
	s_waitcnt lgkmcnt(0)
	v_mul_f64 v[112:113], v[208:209], v[114:115]
	v_fma_f64 v[112:113], v[206:207], v[204:205], -v[112:113]
	v_mul_f64 v[206:207], v[206:207], v[114:115]
	v_fmac_f64_e32 v[206:207], v[208:209], v[204:205]
	v_add_f64 v[110:111], v[110:111], -v[206:207]
	ds_read2_b64 v[206:209], v253 offset0:46 offset1:47
	v_add_f64 v[108:109], v[108:109], -v[112:113]
	s_waitcnt lgkmcnt(0)
	v_mul_f64 v[112:113], v[208:209], v[114:115]
	v_fma_f64 v[112:113], v[206:207], v[204:205], -v[112:113]
	v_mul_f64 v[206:207], v[206:207], v[114:115]
	v_fmac_f64_e32 v[206:207], v[208:209], v[204:205]
	v_add_f64 v[106:107], v[106:107], -v[206:207]
	ds_read2_b64 v[206:209], v253 offset0:48 offset1:49
	v_add_f64 v[104:105], v[104:105], -v[112:113]
	s_waitcnt lgkmcnt(0)
	v_mul_f64 v[112:113], v[208:209], v[114:115]
	v_fma_f64 v[112:113], v[206:207], v[204:205], -v[112:113]
	v_mul_f64 v[206:207], v[206:207], v[114:115]
	v_fmac_f64_e32 v[206:207], v[208:209], v[204:205]
	v_add_f64 v[102:103], v[102:103], -v[206:207]
	ds_read2_b64 v[206:209], v253 offset0:50 offset1:51
	v_add_f64 v[100:101], v[100:101], -v[112:113]
	s_waitcnt lgkmcnt(0)
	v_mul_f64 v[112:113], v[208:209], v[114:115]
	v_fma_f64 v[112:113], v[206:207], v[204:205], -v[112:113]
	v_mul_f64 v[206:207], v[206:207], v[114:115]
	v_fmac_f64_e32 v[206:207], v[208:209], v[204:205]
	v_add_f64 v[98:99], v[98:99], -v[206:207]
	ds_read2_b64 v[206:209], v253 offset0:52 offset1:53
	v_add_f64 v[96:97], v[96:97], -v[112:113]
	s_waitcnt lgkmcnt(0)
	v_mul_f64 v[112:113], v[208:209], v[114:115]
	v_fma_f64 v[112:113], v[206:207], v[204:205], -v[112:113]
	v_mul_f64 v[206:207], v[206:207], v[114:115]
	v_fmac_f64_e32 v[206:207], v[208:209], v[204:205]
	v_add_f64 v[94:95], v[94:95], -v[206:207]
	ds_read2_b64 v[206:209], v253 offset0:54 offset1:55
	v_add_f64 v[92:93], v[92:93], -v[112:113]
	s_waitcnt lgkmcnt(0)
	v_mul_f64 v[112:113], v[208:209], v[114:115]
	v_fma_f64 v[112:113], v[206:207], v[204:205], -v[112:113]
	v_mul_f64 v[206:207], v[206:207], v[114:115]
	v_fmac_f64_e32 v[206:207], v[208:209], v[204:205]
	v_add_f64 v[90:91], v[90:91], -v[206:207]
	ds_read2_b64 v[206:209], v253 offset0:56 offset1:57
	v_add_f64 v[88:89], v[88:89], -v[112:113]
	s_waitcnt lgkmcnt(0)
	v_mul_f64 v[112:113], v[208:209], v[114:115]
	v_fma_f64 v[112:113], v[206:207], v[204:205], -v[112:113]
	v_mul_f64 v[206:207], v[206:207], v[114:115]
	v_fmac_f64_e32 v[206:207], v[208:209], v[204:205]
	v_add_f64 v[86:87], v[86:87], -v[206:207]
	ds_read2_b64 v[206:209], v253 offset0:58 offset1:59
	v_add_f64 v[84:85], v[84:85], -v[112:113]
	s_waitcnt lgkmcnt(0)
	v_mul_f64 v[112:113], v[208:209], v[114:115]
	v_fma_f64 v[112:113], v[206:207], v[204:205], -v[112:113]
	v_mul_f64 v[206:207], v[206:207], v[114:115]
	v_fmac_f64_e32 v[206:207], v[208:209], v[204:205]
	v_add_f64 v[82:83], v[82:83], -v[206:207]
	ds_read2_b64 v[206:209], v253 offset0:60 offset1:61
	v_add_f64 v[80:81], v[80:81], -v[112:113]
	s_waitcnt lgkmcnt(0)
	v_mul_f64 v[112:113], v[208:209], v[114:115]
	v_fma_f64 v[112:113], v[206:207], v[204:205], -v[112:113]
	v_mul_f64 v[206:207], v[206:207], v[114:115]
	v_fmac_f64_e32 v[206:207], v[208:209], v[204:205]
	v_add_f64 v[78:79], v[78:79], -v[206:207]
	ds_read2_b64 v[206:209], v253 offset0:62 offset1:63
	v_add_f64 v[76:77], v[76:77], -v[112:113]
	s_waitcnt lgkmcnt(0)
	v_mul_f64 v[112:113], v[208:209], v[114:115]
	v_fma_f64 v[112:113], v[206:207], v[204:205], -v[112:113]
	v_mul_f64 v[206:207], v[206:207], v[114:115]
	v_fmac_f64_e32 v[206:207], v[208:209], v[204:205]
	v_add_f64 v[74:75], v[74:75], -v[206:207]
	ds_read2_b64 v[206:209], v253 offset0:64 offset1:65
	v_add_f64 v[72:73], v[72:73], -v[112:113]
	s_waitcnt lgkmcnt(0)
	v_mul_f64 v[112:113], v[208:209], v[114:115]
	v_fma_f64 v[112:113], v[206:207], v[204:205], -v[112:113]
	v_mul_f64 v[206:207], v[206:207], v[114:115]
	v_fmac_f64_e32 v[206:207], v[208:209], v[204:205]
	v_add_f64 v[70:71], v[70:71], -v[206:207]
	ds_read2_b64 v[206:209], v253 offset0:66 offset1:67
	v_add_f64 v[68:69], v[68:69], -v[112:113]
	s_waitcnt lgkmcnt(0)
	v_mul_f64 v[112:113], v[208:209], v[114:115]
	v_fma_f64 v[112:113], v[206:207], v[204:205], -v[112:113]
	v_mul_f64 v[206:207], v[206:207], v[114:115]
	v_fmac_f64_e32 v[206:207], v[208:209], v[204:205]
	v_add_f64 v[66:67], v[66:67], -v[206:207]
	ds_read2_b64 v[206:209], v253 offset0:68 offset1:69
	v_add_f64 v[64:65], v[64:65], -v[112:113]
	s_waitcnt lgkmcnt(0)
	v_mul_f64 v[112:113], v[208:209], v[114:115]
	v_fma_f64 v[112:113], v[206:207], v[204:205], -v[112:113]
	v_mul_f64 v[206:207], v[206:207], v[114:115]
	v_fmac_f64_e32 v[206:207], v[208:209], v[204:205]
	v_add_f64 v[62:63], v[62:63], -v[206:207]
	ds_read2_b64 v[206:209], v253 offset0:70 offset1:71
	v_add_f64 v[60:61], v[60:61], -v[112:113]
	s_waitcnt lgkmcnt(0)
	v_mul_f64 v[112:113], v[208:209], v[114:115]
	v_fma_f64 v[112:113], v[206:207], v[204:205], -v[112:113]
	v_mul_f64 v[206:207], v[206:207], v[114:115]
	v_fmac_f64_e32 v[206:207], v[208:209], v[204:205]
	v_add_f64 v[58:59], v[58:59], -v[206:207]
	ds_read2_b64 v[206:209], v253 offset0:72 offset1:73
	v_add_f64 v[56:57], v[56:57], -v[112:113]
	s_waitcnt lgkmcnt(0)
	v_mul_f64 v[112:113], v[208:209], v[114:115]
	v_fma_f64 v[112:113], v[206:207], v[204:205], -v[112:113]
	v_mul_f64 v[206:207], v[206:207], v[114:115]
	v_fmac_f64_e32 v[206:207], v[208:209], v[204:205]
	v_add_f64 v[54:55], v[54:55], -v[206:207]
	ds_read2_b64 v[206:209], v253 offset0:74 offset1:75
	v_add_f64 v[52:53], v[52:53], -v[112:113]
	s_waitcnt lgkmcnt(0)
	v_mul_f64 v[112:113], v[208:209], v[114:115]
	v_fma_f64 v[112:113], v[206:207], v[204:205], -v[112:113]
	v_mul_f64 v[206:207], v[206:207], v[114:115]
	v_fmac_f64_e32 v[206:207], v[208:209], v[204:205]
	v_add_f64 v[50:51], v[50:51], -v[206:207]
	ds_read2_b64 v[206:209], v253 offset0:76 offset1:77
	v_add_f64 v[48:49], v[48:49], -v[112:113]
	s_waitcnt lgkmcnt(0)
	v_mul_f64 v[112:113], v[208:209], v[114:115]
	v_fma_f64 v[112:113], v[206:207], v[204:205], -v[112:113]
	v_mul_f64 v[206:207], v[206:207], v[114:115]
	v_fmac_f64_e32 v[206:207], v[208:209], v[204:205]
	v_add_f64 v[46:47], v[46:47], -v[206:207]
	ds_read2_b64 v[206:209], v253 offset0:78 offset1:79
	v_add_f64 v[44:45], v[44:45], -v[112:113]
	s_waitcnt lgkmcnt(0)
	v_mul_f64 v[112:113], v[208:209], v[114:115]
	v_fma_f64 v[112:113], v[206:207], v[204:205], -v[112:113]
	v_mul_f64 v[206:207], v[206:207], v[114:115]
	v_fmac_f64_e32 v[206:207], v[208:209], v[204:205]
	v_add_f64 v[42:43], v[42:43], -v[206:207]
	ds_read2_b64 v[206:209], v253 offset0:80 offset1:81
	v_add_f64 v[40:41], v[40:41], -v[112:113]
	s_waitcnt lgkmcnt(0)
	v_mul_f64 v[112:113], v[208:209], v[114:115]
	v_fma_f64 v[112:113], v[206:207], v[204:205], -v[112:113]
	v_mul_f64 v[206:207], v[206:207], v[114:115]
	v_fmac_f64_e32 v[206:207], v[208:209], v[204:205]
	v_add_f64 v[38:39], v[38:39], -v[206:207]
	ds_read2_b64 v[206:209], v253 offset0:82 offset1:83
	v_add_f64 v[36:37], v[36:37], -v[112:113]
	s_waitcnt lgkmcnt(0)
	v_mul_f64 v[112:113], v[208:209], v[114:115]
	v_fma_f64 v[112:113], v[206:207], v[204:205], -v[112:113]
	v_mul_f64 v[206:207], v[206:207], v[114:115]
	v_fmac_f64_e32 v[206:207], v[208:209], v[204:205]
	v_add_f64 v[34:35], v[34:35], -v[206:207]
	ds_read2_b64 v[206:209], v253 offset0:84 offset1:85
	v_add_f64 v[32:33], v[32:33], -v[112:113]
	s_waitcnt lgkmcnt(0)
	v_mul_f64 v[112:113], v[208:209], v[114:115]
	v_fma_f64 v[112:113], v[206:207], v[204:205], -v[112:113]
	v_mul_f64 v[206:207], v[206:207], v[114:115]
	v_fmac_f64_e32 v[206:207], v[208:209], v[204:205]
	v_add_f64 v[30:31], v[30:31], -v[206:207]
	ds_read2_b64 v[206:209], v253 offset0:86 offset1:87
	v_add_f64 v[28:29], v[28:29], -v[112:113]
	s_waitcnt lgkmcnt(0)
	v_mul_f64 v[112:113], v[208:209], v[114:115]
	v_fma_f64 v[112:113], v[206:207], v[204:205], -v[112:113]
	v_mul_f64 v[206:207], v[206:207], v[114:115]
	v_fmac_f64_e32 v[206:207], v[208:209], v[204:205]
	v_add_f64 v[26:27], v[26:27], -v[206:207]
	ds_read2_b64 v[206:209], v253 offset0:88 offset1:89
	v_add_f64 v[24:25], v[24:25], -v[112:113]
	s_waitcnt lgkmcnt(0)
	v_mul_f64 v[112:113], v[208:209], v[114:115]
	v_fma_f64 v[112:113], v[206:207], v[204:205], -v[112:113]
	v_mul_f64 v[206:207], v[206:207], v[114:115]
	v_fmac_f64_e32 v[206:207], v[208:209], v[204:205]
	v_add_f64 v[22:23], v[22:23], -v[206:207]
	ds_read2_b64 v[206:209], v253 offset0:90 offset1:91
	v_add_f64 v[20:21], v[20:21], -v[112:113]
	s_waitcnt lgkmcnt(0)
	v_mul_f64 v[112:113], v[208:209], v[114:115]
	v_fma_f64 v[112:113], v[206:207], v[204:205], -v[112:113]
	v_mul_f64 v[206:207], v[206:207], v[114:115]
	v_fmac_f64_e32 v[206:207], v[208:209], v[204:205]
	v_add_f64 v[18:19], v[18:19], -v[206:207]
	ds_read2_b64 v[206:209], v253 offset0:92 offset1:93
	v_add_f64 v[16:17], v[16:17], -v[112:113]
	s_waitcnt lgkmcnt(0)
	v_mul_f64 v[112:113], v[208:209], v[114:115]
	v_fma_f64 v[112:113], v[206:207], v[204:205], -v[112:113]
	v_mul_f64 v[206:207], v[206:207], v[114:115]
	v_fmac_f64_e32 v[206:207], v[208:209], v[204:205]
	v_add_f64 v[14:15], v[14:15], -v[206:207]
	ds_read2_b64 v[206:209], v253 offset0:94 offset1:95
	v_add_f64 v[12:13], v[12:13], -v[112:113]
	s_waitcnt lgkmcnt(0)
	v_mul_f64 v[112:113], v[208:209], v[114:115]
	v_fma_f64 v[112:113], v[206:207], v[204:205], -v[112:113]
	v_mul_f64 v[206:207], v[206:207], v[114:115]
	v_fmac_f64_e32 v[206:207], v[208:209], v[204:205]
	v_add_f64 v[10:11], v[10:11], -v[206:207]
	ds_read2_b64 v[206:209], v253 offset0:96 offset1:97
	v_add_f64 v[8:9], v[8:9], -v[112:113]
	s_waitcnt lgkmcnt(0)
	v_mul_f64 v[112:113], v[208:209], v[114:115]
	v_fma_f64 v[112:113], v[206:207], v[204:205], -v[112:113]
	v_mul_f64 v[206:207], v[206:207], v[114:115]
	v_fmac_f64_e32 v[206:207], v[208:209], v[204:205]
	v_add_f64 v[6:7], v[6:7], -v[206:207]
	ds_read2_b64 v[206:209], v253 offset0:98 offset1:99
	v_add_f64 v[4:5], v[4:5], -v[112:113]
	s_waitcnt lgkmcnt(0)
	v_mul_f64 v[112:113], v[208:209], v[114:115]
	v_fma_f64 v[112:113], v[206:207], v[204:205], -v[112:113]
	v_mul_f64 v[206:207], v[206:207], v[114:115]
	v_fmac_f64_e32 v[206:207], v[208:209], v[204:205]
	v_add_f64 v[2:3], v[2:3], -v[206:207]
	ds_read2_b64 v[206:209], v253 offset0:100 offset1:101
	v_add_f64 v[0:1], v[0:1], -v[112:113]
	s_waitcnt lgkmcnt(0)
	v_mul_f64 v[112:113], v[208:209], v[114:115]
	v_fma_f64 v[112:113], v[206:207], v[204:205], -v[112:113]
	v_mul_f64 v[206:207], v[206:207], v[114:115]
	v_fmac_f64_e32 v[206:207], v[208:209], v[204:205]
	v_add_f64 v[200:201], v[200:201], -v[112:113]
	v_add_f64 v[202:203], v[202:203], -v[206:207]
	v_mov_b64_e32 v[112:113], v[204:205]
.LBB101_199:
	s_or_b64 exec, exec, s[2:3]
	v_cmp_eq_u32_e32 vcc, 22, v254
	s_waitcnt vmcnt(63) expcnt(7) lgkmcnt(15)
	s_barrier
	s_and_saveexec_b64 s[4:5], vcc
	s_cbranch_execz .LBB101_206
; %bb.200:
	ds_write2_b64 v252, v[108:109], v[110:111] offset1:1
	ds_write2_b64 v253, v[104:105], v[106:107] offset0:46 offset1:47
	ds_write2_b64 v253, v[100:101], v[102:103] offset0:48 offset1:49
	ds_write2_b64 v253, v[96:97], v[98:99] offset0:50 offset1:51
	ds_write2_b64 v253, v[92:93], v[94:95] offset0:52 offset1:53
	ds_write2_b64 v253, v[88:89], v[90:91] offset0:54 offset1:55
	ds_write2_b64 v253, v[84:85], v[86:87] offset0:56 offset1:57
	ds_write2_b64 v253, v[80:81], v[82:83] offset0:58 offset1:59
	ds_write2_b64 v253, v[76:77], v[78:79] offset0:60 offset1:61
	ds_write2_b64 v253, v[72:73], v[74:75] offset0:62 offset1:63
	s_waitcnt vmcnt(55)
	ds_write2_b64 v253, v[68:69], v[70:71] offset0:64 offset1:65
	s_waitcnt vmcnt(54)
	ds_write2_b64 v253, v[64:65], v[66:67] offset0:66 offset1:67
	;; [unrolled: 2-line block ×16, first 2 shown]
	ds_write2_b64 v253, v[4:5], v[6:7] offset0:96 offset1:97
	ds_write2_b64 v253, v[0:1], v[2:3] offset0:98 offset1:99
	s_waitcnt vmcnt(37)
	ds_write2_b64 v253, v[200:201], v[202:203] offset0:100 offset1:101
	ds_read2_b64 v[204:207], v252 offset1:1
	s_waitcnt lgkmcnt(0)
	v_cmp_neq_f64_e32 vcc, 0, v[204:205]
	v_cmp_neq_f64_e64 s[2:3], 0, v[206:207]
	s_or_b64 s[2:3], vcc, s[2:3]
	s_and_b64 exec, exec, s[2:3]
	s_cbranch_execz .LBB101_206
; %bb.201:
	v_cmp_ngt_f64_e64 s[2:3], |v[204:205]|, |v[206:207]|
                                        ; implicit-def: $vgpr208_vgpr209
	s_and_saveexec_b64 s[10:11], s[2:3]
	s_xor_b64 s[2:3], exec, s[10:11]
                                        ; implicit-def: $vgpr210_vgpr211
	s_cbranch_execz .LBB101_203
; %bb.202:
	v_div_scale_f64 v[208:209], s[10:11], v[206:207], v[206:207], v[204:205]
	v_rcp_f64_e32 v[210:211], v[208:209]
	v_div_scale_f64 v[212:213], vcc, v[204:205], v[206:207], v[204:205]
	v_fma_f64 v[214:215], -v[208:209], v[210:211], 1.0
	v_fmac_f64_e32 v[210:211], v[210:211], v[214:215]
	v_fma_f64 v[214:215], -v[208:209], v[210:211], 1.0
	v_fmac_f64_e32 v[210:211], v[210:211], v[214:215]
	v_mul_f64 v[214:215], v[212:213], v[210:211]
	v_fma_f64 v[208:209], -v[208:209], v[214:215], v[212:213]
	v_div_fmas_f64 v[208:209], v[208:209], v[210:211], v[214:215]
	v_div_fixup_f64 v[208:209], v[208:209], v[206:207], v[204:205]
	v_fmac_f64_e32 v[206:207], v[204:205], v[208:209]
	v_div_scale_f64 v[204:205], s[10:11], v[206:207], v[206:207], 1.0
	v_rcp_f64_e32 v[210:211], v[204:205]
	s_nop 0
	v_fma_f64 v[212:213], -v[204:205], v[210:211], 1.0
	v_fmac_f64_e32 v[210:211], v[210:211], v[212:213]
	v_fma_f64 v[212:213], -v[204:205], v[210:211], 1.0
	v_fmac_f64_e32 v[210:211], v[210:211], v[212:213]
	v_div_scale_f64 v[212:213], vcc, 1.0, v[206:207], 1.0
	v_mul_f64 v[214:215], v[212:213], v[210:211]
	v_fma_f64 v[204:205], -v[204:205], v[214:215], v[212:213]
	s_nop 1
	v_div_fmas_f64 v[204:205], v[204:205], v[210:211], v[214:215]
	v_div_fixup_f64 v[210:211], v[204:205], v[206:207], 1.0
	v_mul_f64 v[208:209], v[208:209], v[210:211]
	v_xor_b32_e32 v211, 0x80000000, v211
                                        ; implicit-def: $vgpr204_vgpr205
.LBB101_203:
	s_andn2_saveexec_b64 s[2:3], s[2:3]
	s_cbranch_execz .LBB101_205
; %bb.204:
	v_div_scale_f64 v[208:209], s[10:11], v[204:205], v[204:205], v[206:207]
	v_rcp_f64_e32 v[210:211], v[208:209]
	v_div_scale_f64 v[212:213], vcc, v[206:207], v[204:205], v[206:207]
	v_fma_f64 v[214:215], -v[208:209], v[210:211], 1.0
	v_fmac_f64_e32 v[210:211], v[210:211], v[214:215]
	v_fma_f64 v[214:215], -v[208:209], v[210:211], 1.0
	v_fmac_f64_e32 v[210:211], v[210:211], v[214:215]
	v_mul_f64 v[214:215], v[212:213], v[210:211]
	v_fma_f64 v[208:209], -v[208:209], v[214:215], v[212:213]
	v_div_fmas_f64 v[208:209], v[208:209], v[210:211], v[214:215]
	v_div_fixup_f64 v[210:211], v[208:209], v[204:205], v[206:207]
	v_fmac_f64_e32 v[204:205], v[206:207], v[210:211]
	v_div_scale_f64 v[206:207], s[10:11], v[204:205], v[204:205], 1.0
	v_rcp_f64_e32 v[208:209], v[206:207]
	s_nop 0
	v_fma_f64 v[212:213], -v[206:207], v[208:209], 1.0
	v_fmac_f64_e32 v[208:209], v[208:209], v[212:213]
	v_fma_f64 v[212:213], -v[206:207], v[208:209], 1.0
	v_fmac_f64_e32 v[208:209], v[208:209], v[212:213]
	v_div_scale_f64 v[212:213], vcc, 1.0, v[204:205], 1.0
	v_mul_f64 v[214:215], v[212:213], v[208:209]
	v_fma_f64 v[206:207], -v[206:207], v[214:215], v[212:213]
	s_nop 1
	v_div_fmas_f64 v[206:207], v[206:207], v[208:209], v[214:215]
	v_div_fixup_f64 v[208:209], v[206:207], v[204:205], 1.0
	v_mul_f64 v[210:211], v[210:211], -v[208:209]
.LBB101_205:
	s_or_b64 exec, exec, s[2:3]
	ds_write2_b64 v252, v[208:209], v[210:211] offset1:1
.LBB101_206:
	s_or_b64 exec, exec, s[4:5]
	s_waitcnt lgkmcnt(0)
	s_barrier
	ds_read2_b64 v[204:207], v252 offset1:1
	v_cmp_lt_u32_e32 vcc, 22, v254
	s_waitcnt lgkmcnt(0)
	scratch_store_dwordx4 off, v[204:207], off offset:760 ; 16-byte Folded Spill
	s_and_saveexec_b64 s[2:3], vcc
	s_cbranch_execz .LBB101_208
; %bb.207:
	scratch_load_dwordx4 v[206:209], off, off offset:760 ; 16-byte Folded Reload
	s_waitcnt vmcnt(0)
	v_mul_f64 v[204:205], v[208:209], v[110:111]
	v_mul_f64 v[110:111], v[206:207], v[110:111]
	v_fma_f64 v[204:205], v[206:207], v[108:109], -v[204:205]
	v_fmac_f64_e32 v[110:111], v[208:209], v[108:109]
	ds_read2_b64 v[206:209], v253 offset0:46 offset1:47
	s_waitcnt lgkmcnt(0)
	v_mul_f64 v[108:109], v[208:209], v[110:111]
	v_fma_f64 v[108:109], v[206:207], v[204:205], -v[108:109]
	v_mul_f64 v[206:207], v[206:207], v[110:111]
	v_fmac_f64_e32 v[206:207], v[208:209], v[204:205]
	v_add_f64 v[106:107], v[106:107], -v[206:207]
	ds_read2_b64 v[206:209], v253 offset0:48 offset1:49
	v_add_f64 v[104:105], v[104:105], -v[108:109]
	s_waitcnt lgkmcnt(0)
	v_mul_f64 v[108:109], v[208:209], v[110:111]
	v_fma_f64 v[108:109], v[206:207], v[204:205], -v[108:109]
	v_mul_f64 v[206:207], v[206:207], v[110:111]
	v_fmac_f64_e32 v[206:207], v[208:209], v[204:205]
	v_add_f64 v[102:103], v[102:103], -v[206:207]
	ds_read2_b64 v[206:209], v253 offset0:50 offset1:51
	v_add_f64 v[100:101], v[100:101], -v[108:109]
	;; [unrolled: 8-line block ×27, first 2 shown]
	s_waitcnt lgkmcnt(0)
	v_mul_f64 v[108:109], v[208:209], v[110:111]
	v_fma_f64 v[108:109], v[206:207], v[204:205], -v[108:109]
	v_mul_f64 v[206:207], v[206:207], v[110:111]
	v_fmac_f64_e32 v[206:207], v[208:209], v[204:205]
	v_add_f64 v[200:201], v[200:201], -v[108:109]
	v_add_f64 v[202:203], v[202:203], -v[206:207]
	v_mov_b64_e32 v[108:109], v[204:205]
.LBB101_208:
	s_or_b64 exec, exec, s[2:3]
	v_cmp_eq_u32_e32 vcc, 23, v254
	s_waitcnt vmcnt(63) expcnt(7) lgkmcnt(15)
	s_barrier
	s_and_saveexec_b64 s[4:5], vcc
	s_cbranch_execz .LBB101_215
; %bb.209:
	ds_write2_b64 v252, v[104:105], v[106:107] offset1:1
	ds_write2_b64 v253, v[100:101], v[102:103] offset0:48 offset1:49
	ds_write2_b64 v253, v[96:97], v[98:99] offset0:50 offset1:51
	;; [unrolled: 1-line block ×8, first 2 shown]
	s_waitcnt vmcnt(56)
	ds_write2_b64 v253, v[68:69], v[70:71] offset0:64 offset1:65
	s_waitcnt vmcnt(55)
	ds_write2_b64 v253, v[64:65], v[66:67] offset0:66 offset1:67
	;; [unrolled: 2-line block ×16, first 2 shown]
	ds_write2_b64 v253, v[4:5], v[6:7] offset0:96 offset1:97
	ds_write2_b64 v253, v[0:1], v[2:3] offset0:98 offset1:99
	s_waitcnt vmcnt(38)
	ds_write2_b64 v253, v[200:201], v[202:203] offset0:100 offset1:101
	ds_read2_b64 v[204:207], v252 offset1:1
	s_waitcnt lgkmcnt(0)
	v_cmp_neq_f64_e32 vcc, 0, v[204:205]
	v_cmp_neq_f64_e64 s[2:3], 0, v[206:207]
	s_or_b64 s[2:3], vcc, s[2:3]
	s_and_b64 exec, exec, s[2:3]
	s_cbranch_execz .LBB101_215
; %bb.210:
	v_cmp_ngt_f64_e64 s[2:3], |v[204:205]|, |v[206:207]|
                                        ; implicit-def: $vgpr208_vgpr209
	s_and_saveexec_b64 s[10:11], s[2:3]
	s_xor_b64 s[2:3], exec, s[10:11]
                                        ; implicit-def: $vgpr210_vgpr211
	s_cbranch_execz .LBB101_212
; %bb.211:
	v_div_scale_f64 v[208:209], s[10:11], v[206:207], v[206:207], v[204:205]
	v_rcp_f64_e32 v[210:211], v[208:209]
	v_div_scale_f64 v[212:213], vcc, v[204:205], v[206:207], v[204:205]
	v_fma_f64 v[214:215], -v[208:209], v[210:211], 1.0
	v_fmac_f64_e32 v[210:211], v[210:211], v[214:215]
	v_fma_f64 v[214:215], -v[208:209], v[210:211], 1.0
	v_fmac_f64_e32 v[210:211], v[210:211], v[214:215]
	v_mul_f64 v[214:215], v[212:213], v[210:211]
	v_fma_f64 v[208:209], -v[208:209], v[214:215], v[212:213]
	v_div_fmas_f64 v[208:209], v[208:209], v[210:211], v[214:215]
	v_div_fixup_f64 v[208:209], v[208:209], v[206:207], v[204:205]
	v_fmac_f64_e32 v[206:207], v[204:205], v[208:209]
	v_div_scale_f64 v[204:205], s[10:11], v[206:207], v[206:207], 1.0
	v_rcp_f64_e32 v[210:211], v[204:205]
	s_nop 0
	v_fma_f64 v[212:213], -v[204:205], v[210:211], 1.0
	v_fmac_f64_e32 v[210:211], v[210:211], v[212:213]
	v_fma_f64 v[212:213], -v[204:205], v[210:211], 1.0
	v_fmac_f64_e32 v[210:211], v[210:211], v[212:213]
	v_div_scale_f64 v[212:213], vcc, 1.0, v[206:207], 1.0
	v_mul_f64 v[214:215], v[212:213], v[210:211]
	v_fma_f64 v[204:205], -v[204:205], v[214:215], v[212:213]
	s_nop 1
	v_div_fmas_f64 v[204:205], v[204:205], v[210:211], v[214:215]
	v_div_fixup_f64 v[210:211], v[204:205], v[206:207], 1.0
	v_mul_f64 v[208:209], v[208:209], v[210:211]
	v_xor_b32_e32 v211, 0x80000000, v211
                                        ; implicit-def: $vgpr204_vgpr205
.LBB101_212:
	s_andn2_saveexec_b64 s[2:3], s[2:3]
	s_cbranch_execz .LBB101_214
; %bb.213:
	v_div_scale_f64 v[208:209], s[10:11], v[204:205], v[204:205], v[206:207]
	v_rcp_f64_e32 v[210:211], v[208:209]
	v_div_scale_f64 v[212:213], vcc, v[206:207], v[204:205], v[206:207]
	v_fma_f64 v[214:215], -v[208:209], v[210:211], 1.0
	v_fmac_f64_e32 v[210:211], v[210:211], v[214:215]
	v_fma_f64 v[214:215], -v[208:209], v[210:211], 1.0
	v_fmac_f64_e32 v[210:211], v[210:211], v[214:215]
	v_mul_f64 v[214:215], v[212:213], v[210:211]
	v_fma_f64 v[208:209], -v[208:209], v[214:215], v[212:213]
	v_div_fmas_f64 v[208:209], v[208:209], v[210:211], v[214:215]
	v_div_fixup_f64 v[210:211], v[208:209], v[204:205], v[206:207]
	v_fmac_f64_e32 v[204:205], v[206:207], v[210:211]
	v_div_scale_f64 v[206:207], s[10:11], v[204:205], v[204:205], 1.0
	v_rcp_f64_e32 v[208:209], v[206:207]
	s_nop 0
	v_fma_f64 v[212:213], -v[206:207], v[208:209], 1.0
	v_fmac_f64_e32 v[208:209], v[208:209], v[212:213]
	v_fma_f64 v[212:213], -v[206:207], v[208:209], 1.0
	v_fmac_f64_e32 v[208:209], v[208:209], v[212:213]
	v_div_scale_f64 v[212:213], vcc, 1.0, v[204:205], 1.0
	v_mul_f64 v[214:215], v[212:213], v[208:209]
	v_fma_f64 v[206:207], -v[206:207], v[214:215], v[212:213]
	s_nop 1
	v_div_fmas_f64 v[206:207], v[206:207], v[208:209], v[214:215]
	v_div_fixup_f64 v[208:209], v[206:207], v[204:205], 1.0
	v_mul_f64 v[210:211], v[210:211], -v[208:209]
.LBB101_214:
	s_or_b64 exec, exec, s[2:3]
	ds_write2_b64 v252, v[208:209], v[210:211] offset1:1
.LBB101_215:
	s_or_b64 exec, exec, s[4:5]
	s_waitcnt lgkmcnt(0)
	s_barrier
	ds_read2_b64 v[204:207], v252 offset1:1
	v_cmp_lt_u32_e32 vcc, 23, v254
	s_waitcnt lgkmcnt(0)
	scratch_store_dwordx4 off, v[204:207], off offset:776 ; 16-byte Folded Spill
	s_and_saveexec_b64 s[2:3], vcc
	s_cbranch_execz .LBB101_217
; %bb.216:
	scratch_load_dwordx4 v[206:209], off, off offset:776 ; 16-byte Folded Reload
	s_waitcnt vmcnt(0)
	v_mul_f64 v[204:205], v[208:209], v[106:107]
	v_mul_f64 v[106:107], v[206:207], v[106:107]
	v_fma_f64 v[204:205], v[206:207], v[104:105], -v[204:205]
	v_fmac_f64_e32 v[106:107], v[208:209], v[104:105]
	ds_read2_b64 v[206:209], v253 offset0:48 offset1:49
	s_waitcnt lgkmcnt(0)
	v_mul_f64 v[104:105], v[208:209], v[106:107]
	v_fma_f64 v[104:105], v[206:207], v[204:205], -v[104:105]
	v_mul_f64 v[206:207], v[206:207], v[106:107]
	v_fmac_f64_e32 v[206:207], v[208:209], v[204:205]
	v_add_f64 v[102:103], v[102:103], -v[206:207]
	ds_read2_b64 v[206:209], v253 offset0:50 offset1:51
	v_add_f64 v[100:101], v[100:101], -v[104:105]
	s_waitcnt lgkmcnt(0)
	v_mul_f64 v[104:105], v[208:209], v[106:107]
	v_fma_f64 v[104:105], v[206:207], v[204:205], -v[104:105]
	v_mul_f64 v[206:207], v[206:207], v[106:107]
	v_fmac_f64_e32 v[206:207], v[208:209], v[204:205]
	v_add_f64 v[98:99], v[98:99], -v[206:207]
	ds_read2_b64 v[206:209], v253 offset0:52 offset1:53
	v_add_f64 v[96:97], v[96:97], -v[104:105]
	;; [unrolled: 8-line block ×26, first 2 shown]
	s_waitcnt lgkmcnt(0)
	v_mul_f64 v[104:105], v[208:209], v[106:107]
	v_fma_f64 v[104:105], v[206:207], v[204:205], -v[104:105]
	v_mul_f64 v[206:207], v[206:207], v[106:107]
	v_fmac_f64_e32 v[206:207], v[208:209], v[204:205]
	v_add_f64 v[200:201], v[200:201], -v[104:105]
	v_add_f64 v[202:203], v[202:203], -v[206:207]
	v_mov_b64_e32 v[104:105], v[204:205]
.LBB101_217:
	s_or_b64 exec, exec, s[2:3]
	v_cmp_eq_u32_e32 vcc, 24, v254
	s_waitcnt vmcnt(63) expcnt(7) lgkmcnt(15)
	s_barrier
	s_and_saveexec_b64 s[4:5], vcc
	s_cbranch_execz .LBB101_224
; %bb.218:
	ds_write2_b64 v252, v[100:101], v[102:103] offset1:1
	ds_write2_b64 v253, v[96:97], v[98:99] offset0:50 offset1:51
	ds_write2_b64 v253, v[92:93], v[94:95] offset0:52 offset1:53
	;; [unrolled: 1-line block ×7, first 2 shown]
	s_waitcnt vmcnt(57)
	ds_write2_b64 v253, v[68:69], v[70:71] offset0:64 offset1:65
	s_waitcnt vmcnt(56)
	ds_write2_b64 v253, v[64:65], v[66:67] offset0:66 offset1:67
	;; [unrolled: 2-line block ×16, first 2 shown]
	ds_write2_b64 v253, v[4:5], v[6:7] offset0:96 offset1:97
	ds_write2_b64 v253, v[0:1], v[2:3] offset0:98 offset1:99
	s_waitcnt vmcnt(39)
	ds_write2_b64 v253, v[200:201], v[202:203] offset0:100 offset1:101
	ds_read2_b64 v[204:207], v252 offset1:1
	s_waitcnt lgkmcnt(0)
	v_cmp_neq_f64_e32 vcc, 0, v[204:205]
	v_cmp_neq_f64_e64 s[2:3], 0, v[206:207]
	s_or_b64 s[2:3], vcc, s[2:3]
	s_and_b64 exec, exec, s[2:3]
	s_cbranch_execz .LBB101_224
; %bb.219:
	v_cmp_ngt_f64_e64 s[2:3], |v[204:205]|, |v[206:207]|
                                        ; implicit-def: $vgpr208_vgpr209
	s_and_saveexec_b64 s[10:11], s[2:3]
	s_xor_b64 s[2:3], exec, s[10:11]
                                        ; implicit-def: $vgpr210_vgpr211
	s_cbranch_execz .LBB101_221
; %bb.220:
	v_div_scale_f64 v[208:209], s[10:11], v[206:207], v[206:207], v[204:205]
	v_rcp_f64_e32 v[210:211], v[208:209]
	v_div_scale_f64 v[212:213], vcc, v[204:205], v[206:207], v[204:205]
	v_fma_f64 v[214:215], -v[208:209], v[210:211], 1.0
	v_fmac_f64_e32 v[210:211], v[210:211], v[214:215]
	v_fma_f64 v[214:215], -v[208:209], v[210:211], 1.0
	v_fmac_f64_e32 v[210:211], v[210:211], v[214:215]
	v_mul_f64 v[214:215], v[212:213], v[210:211]
	v_fma_f64 v[208:209], -v[208:209], v[214:215], v[212:213]
	v_div_fmas_f64 v[208:209], v[208:209], v[210:211], v[214:215]
	v_div_fixup_f64 v[208:209], v[208:209], v[206:207], v[204:205]
	v_fmac_f64_e32 v[206:207], v[204:205], v[208:209]
	v_div_scale_f64 v[204:205], s[10:11], v[206:207], v[206:207], 1.0
	v_rcp_f64_e32 v[210:211], v[204:205]
	s_nop 0
	v_fma_f64 v[212:213], -v[204:205], v[210:211], 1.0
	v_fmac_f64_e32 v[210:211], v[210:211], v[212:213]
	v_fma_f64 v[212:213], -v[204:205], v[210:211], 1.0
	v_fmac_f64_e32 v[210:211], v[210:211], v[212:213]
	v_div_scale_f64 v[212:213], vcc, 1.0, v[206:207], 1.0
	v_mul_f64 v[214:215], v[212:213], v[210:211]
	v_fma_f64 v[204:205], -v[204:205], v[214:215], v[212:213]
	s_nop 1
	v_div_fmas_f64 v[204:205], v[204:205], v[210:211], v[214:215]
	v_div_fixup_f64 v[210:211], v[204:205], v[206:207], 1.0
	v_mul_f64 v[208:209], v[208:209], v[210:211]
	v_xor_b32_e32 v211, 0x80000000, v211
                                        ; implicit-def: $vgpr204_vgpr205
.LBB101_221:
	s_andn2_saveexec_b64 s[2:3], s[2:3]
	s_cbranch_execz .LBB101_223
; %bb.222:
	v_div_scale_f64 v[208:209], s[10:11], v[204:205], v[204:205], v[206:207]
	v_rcp_f64_e32 v[210:211], v[208:209]
	v_div_scale_f64 v[212:213], vcc, v[206:207], v[204:205], v[206:207]
	v_fma_f64 v[214:215], -v[208:209], v[210:211], 1.0
	v_fmac_f64_e32 v[210:211], v[210:211], v[214:215]
	v_fma_f64 v[214:215], -v[208:209], v[210:211], 1.0
	v_fmac_f64_e32 v[210:211], v[210:211], v[214:215]
	v_mul_f64 v[214:215], v[212:213], v[210:211]
	v_fma_f64 v[208:209], -v[208:209], v[214:215], v[212:213]
	v_div_fmas_f64 v[208:209], v[208:209], v[210:211], v[214:215]
	v_div_fixup_f64 v[210:211], v[208:209], v[204:205], v[206:207]
	v_fmac_f64_e32 v[204:205], v[206:207], v[210:211]
	v_div_scale_f64 v[206:207], s[10:11], v[204:205], v[204:205], 1.0
	v_rcp_f64_e32 v[208:209], v[206:207]
	s_nop 0
	v_fma_f64 v[212:213], -v[206:207], v[208:209], 1.0
	v_fmac_f64_e32 v[208:209], v[208:209], v[212:213]
	v_fma_f64 v[212:213], -v[206:207], v[208:209], 1.0
	v_fmac_f64_e32 v[208:209], v[208:209], v[212:213]
	v_div_scale_f64 v[212:213], vcc, 1.0, v[204:205], 1.0
	v_mul_f64 v[214:215], v[212:213], v[208:209]
	v_fma_f64 v[206:207], -v[206:207], v[214:215], v[212:213]
	s_nop 1
	v_div_fmas_f64 v[206:207], v[206:207], v[208:209], v[214:215]
	v_div_fixup_f64 v[208:209], v[206:207], v[204:205], 1.0
	v_mul_f64 v[210:211], v[210:211], -v[208:209]
.LBB101_223:
	s_or_b64 exec, exec, s[2:3]
	ds_write2_b64 v252, v[208:209], v[210:211] offset1:1
.LBB101_224:
	s_or_b64 exec, exec, s[4:5]
	s_waitcnt lgkmcnt(0)
	s_barrier
	ds_read2_b64 v[204:207], v252 offset1:1
	v_cmp_lt_u32_e32 vcc, 24, v254
	s_waitcnt lgkmcnt(0)
	scratch_store_dwordx4 off, v[204:207], off offset:792 ; 16-byte Folded Spill
	s_and_saveexec_b64 s[2:3], vcc
	s_cbranch_execz .LBB101_226
; %bb.225:
	scratch_load_dwordx4 v[206:209], off, off offset:792 ; 16-byte Folded Reload
	s_waitcnt vmcnt(0)
	v_mul_f64 v[204:205], v[208:209], v[102:103]
	v_mul_f64 v[102:103], v[206:207], v[102:103]
	v_fma_f64 v[204:205], v[206:207], v[100:101], -v[204:205]
	v_fmac_f64_e32 v[102:103], v[208:209], v[100:101]
	ds_read2_b64 v[206:209], v253 offset0:50 offset1:51
	s_waitcnt lgkmcnt(0)
	v_mul_f64 v[100:101], v[208:209], v[102:103]
	v_fma_f64 v[100:101], v[206:207], v[204:205], -v[100:101]
	v_mul_f64 v[206:207], v[206:207], v[102:103]
	v_fmac_f64_e32 v[206:207], v[208:209], v[204:205]
	v_add_f64 v[98:99], v[98:99], -v[206:207]
	ds_read2_b64 v[206:209], v253 offset0:52 offset1:53
	v_add_f64 v[96:97], v[96:97], -v[100:101]
	s_waitcnt lgkmcnt(0)
	v_mul_f64 v[100:101], v[208:209], v[102:103]
	v_fma_f64 v[100:101], v[206:207], v[204:205], -v[100:101]
	v_mul_f64 v[206:207], v[206:207], v[102:103]
	v_fmac_f64_e32 v[206:207], v[208:209], v[204:205]
	v_add_f64 v[94:95], v[94:95], -v[206:207]
	ds_read2_b64 v[206:209], v253 offset0:54 offset1:55
	v_add_f64 v[92:93], v[92:93], -v[100:101]
	;; [unrolled: 8-line block ×25, first 2 shown]
	s_waitcnt lgkmcnt(0)
	v_mul_f64 v[100:101], v[208:209], v[102:103]
	v_fma_f64 v[100:101], v[206:207], v[204:205], -v[100:101]
	v_mul_f64 v[206:207], v[206:207], v[102:103]
	v_fmac_f64_e32 v[206:207], v[208:209], v[204:205]
	v_add_f64 v[200:201], v[200:201], -v[100:101]
	v_add_f64 v[202:203], v[202:203], -v[206:207]
	v_mov_b64_e32 v[100:101], v[204:205]
.LBB101_226:
	s_or_b64 exec, exec, s[2:3]
	v_cmp_eq_u32_e32 vcc, 25, v254
	s_waitcnt vmcnt(63) expcnt(7) lgkmcnt(15)
	s_barrier
	s_and_saveexec_b64 s[4:5], vcc
	s_cbranch_execz .LBB101_233
; %bb.227:
	ds_write2_b64 v252, v[96:97], v[98:99] offset1:1
	ds_write2_b64 v253, v[92:93], v[94:95] offset0:52 offset1:53
	ds_write2_b64 v253, v[88:89], v[90:91] offset0:54 offset1:55
	;; [unrolled: 1-line block ×6, first 2 shown]
	s_waitcnt vmcnt(58)
	ds_write2_b64 v253, v[68:69], v[70:71] offset0:64 offset1:65
	s_waitcnt vmcnt(57)
	ds_write2_b64 v253, v[64:65], v[66:67] offset0:66 offset1:67
	;; [unrolled: 2-line block ×16, first 2 shown]
	ds_write2_b64 v253, v[4:5], v[6:7] offset0:96 offset1:97
	ds_write2_b64 v253, v[0:1], v[2:3] offset0:98 offset1:99
	s_waitcnt vmcnt(40)
	ds_write2_b64 v253, v[200:201], v[202:203] offset0:100 offset1:101
	ds_read2_b64 v[204:207], v252 offset1:1
	s_waitcnt lgkmcnt(0)
	v_cmp_neq_f64_e32 vcc, 0, v[204:205]
	v_cmp_neq_f64_e64 s[2:3], 0, v[206:207]
	s_or_b64 s[2:3], vcc, s[2:3]
	s_and_b64 exec, exec, s[2:3]
	s_cbranch_execz .LBB101_233
; %bb.228:
	v_cmp_ngt_f64_e64 s[2:3], |v[204:205]|, |v[206:207]|
                                        ; implicit-def: $vgpr208_vgpr209
	s_and_saveexec_b64 s[10:11], s[2:3]
	s_xor_b64 s[2:3], exec, s[10:11]
                                        ; implicit-def: $vgpr210_vgpr211
	s_cbranch_execz .LBB101_230
; %bb.229:
	v_div_scale_f64 v[208:209], s[10:11], v[206:207], v[206:207], v[204:205]
	v_rcp_f64_e32 v[210:211], v[208:209]
	v_div_scale_f64 v[212:213], vcc, v[204:205], v[206:207], v[204:205]
	v_fma_f64 v[214:215], -v[208:209], v[210:211], 1.0
	v_fmac_f64_e32 v[210:211], v[210:211], v[214:215]
	v_fma_f64 v[214:215], -v[208:209], v[210:211], 1.0
	v_fmac_f64_e32 v[210:211], v[210:211], v[214:215]
	v_mul_f64 v[214:215], v[212:213], v[210:211]
	v_fma_f64 v[208:209], -v[208:209], v[214:215], v[212:213]
	v_div_fmas_f64 v[208:209], v[208:209], v[210:211], v[214:215]
	v_div_fixup_f64 v[208:209], v[208:209], v[206:207], v[204:205]
	v_fmac_f64_e32 v[206:207], v[204:205], v[208:209]
	v_div_scale_f64 v[204:205], s[10:11], v[206:207], v[206:207], 1.0
	v_rcp_f64_e32 v[210:211], v[204:205]
	s_nop 0
	v_fma_f64 v[212:213], -v[204:205], v[210:211], 1.0
	v_fmac_f64_e32 v[210:211], v[210:211], v[212:213]
	v_fma_f64 v[212:213], -v[204:205], v[210:211], 1.0
	v_fmac_f64_e32 v[210:211], v[210:211], v[212:213]
	v_div_scale_f64 v[212:213], vcc, 1.0, v[206:207], 1.0
	v_mul_f64 v[214:215], v[212:213], v[210:211]
	v_fma_f64 v[204:205], -v[204:205], v[214:215], v[212:213]
	s_nop 1
	v_div_fmas_f64 v[204:205], v[204:205], v[210:211], v[214:215]
	v_div_fixup_f64 v[210:211], v[204:205], v[206:207], 1.0
	v_mul_f64 v[208:209], v[208:209], v[210:211]
	v_xor_b32_e32 v211, 0x80000000, v211
                                        ; implicit-def: $vgpr204_vgpr205
.LBB101_230:
	s_andn2_saveexec_b64 s[2:3], s[2:3]
	s_cbranch_execz .LBB101_232
; %bb.231:
	v_div_scale_f64 v[208:209], s[10:11], v[204:205], v[204:205], v[206:207]
	v_rcp_f64_e32 v[210:211], v[208:209]
	v_div_scale_f64 v[212:213], vcc, v[206:207], v[204:205], v[206:207]
	v_fma_f64 v[214:215], -v[208:209], v[210:211], 1.0
	v_fmac_f64_e32 v[210:211], v[210:211], v[214:215]
	v_fma_f64 v[214:215], -v[208:209], v[210:211], 1.0
	v_fmac_f64_e32 v[210:211], v[210:211], v[214:215]
	v_mul_f64 v[214:215], v[212:213], v[210:211]
	v_fma_f64 v[208:209], -v[208:209], v[214:215], v[212:213]
	v_div_fmas_f64 v[208:209], v[208:209], v[210:211], v[214:215]
	v_div_fixup_f64 v[210:211], v[208:209], v[204:205], v[206:207]
	v_fmac_f64_e32 v[204:205], v[206:207], v[210:211]
	v_div_scale_f64 v[206:207], s[10:11], v[204:205], v[204:205], 1.0
	v_rcp_f64_e32 v[208:209], v[206:207]
	s_nop 0
	v_fma_f64 v[212:213], -v[206:207], v[208:209], 1.0
	v_fmac_f64_e32 v[208:209], v[208:209], v[212:213]
	v_fma_f64 v[212:213], -v[206:207], v[208:209], 1.0
	v_fmac_f64_e32 v[208:209], v[208:209], v[212:213]
	v_div_scale_f64 v[212:213], vcc, 1.0, v[204:205], 1.0
	v_mul_f64 v[214:215], v[212:213], v[208:209]
	v_fma_f64 v[206:207], -v[206:207], v[214:215], v[212:213]
	s_nop 1
	v_div_fmas_f64 v[206:207], v[206:207], v[208:209], v[214:215]
	v_div_fixup_f64 v[208:209], v[206:207], v[204:205], 1.0
	v_mul_f64 v[210:211], v[210:211], -v[208:209]
.LBB101_232:
	s_or_b64 exec, exec, s[2:3]
	ds_write2_b64 v252, v[208:209], v[210:211] offset1:1
.LBB101_233:
	s_or_b64 exec, exec, s[4:5]
	s_waitcnt lgkmcnt(0)
	s_barrier
	ds_read2_b64 v[204:207], v252 offset1:1
	v_cmp_lt_u32_e32 vcc, 25, v254
	s_waitcnt lgkmcnt(0)
	scratch_store_dwordx4 off, v[204:207], off offset:808 ; 16-byte Folded Spill
	s_and_saveexec_b64 s[2:3], vcc
	s_cbranch_execz .LBB101_235
; %bb.234:
	scratch_load_dwordx4 v[206:209], off, off offset:808 ; 16-byte Folded Reload
	s_waitcnt vmcnt(0)
	v_mul_f64 v[204:205], v[208:209], v[98:99]
	v_mul_f64 v[98:99], v[206:207], v[98:99]
	v_fma_f64 v[204:205], v[206:207], v[96:97], -v[204:205]
	v_fmac_f64_e32 v[98:99], v[208:209], v[96:97]
	ds_read2_b64 v[206:209], v253 offset0:52 offset1:53
	s_waitcnt lgkmcnt(0)
	v_mul_f64 v[96:97], v[208:209], v[98:99]
	v_fma_f64 v[96:97], v[206:207], v[204:205], -v[96:97]
	v_mul_f64 v[206:207], v[206:207], v[98:99]
	v_fmac_f64_e32 v[206:207], v[208:209], v[204:205]
	v_add_f64 v[94:95], v[94:95], -v[206:207]
	ds_read2_b64 v[206:209], v253 offset0:54 offset1:55
	v_add_f64 v[92:93], v[92:93], -v[96:97]
	s_waitcnt lgkmcnt(0)
	v_mul_f64 v[96:97], v[208:209], v[98:99]
	v_fma_f64 v[96:97], v[206:207], v[204:205], -v[96:97]
	v_mul_f64 v[206:207], v[206:207], v[98:99]
	v_fmac_f64_e32 v[206:207], v[208:209], v[204:205]
	v_add_f64 v[90:91], v[90:91], -v[206:207]
	ds_read2_b64 v[206:209], v253 offset0:56 offset1:57
	v_add_f64 v[88:89], v[88:89], -v[96:97]
	;; [unrolled: 8-line block ×24, first 2 shown]
	s_waitcnt lgkmcnt(0)
	v_mul_f64 v[96:97], v[208:209], v[98:99]
	v_fma_f64 v[96:97], v[206:207], v[204:205], -v[96:97]
	v_mul_f64 v[206:207], v[206:207], v[98:99]
	v_fmac_f64_e32 v[206:207], v[208:209], v[204:205]
	v_add_f64 v[200:201], v[200:201], -v[96:97]
	v_add_f64 v[202:203], v[202:203], -v[206:207]
	v_mov_b64_e32 v[96:97], v[204:205]
.LBB101_235:
	s_or_b64 exec, exec, s[2:3]
	v_cmp_eq_u32_e32 vcc, 26, v254
	s_waitcnt vmcnt(63) expcnt(7) lgkmcnt(15)
	s_barrier
	s_and_saveexec_b64 s[4:5], vcc
	s_cbranch_execz .LBB101_242
; %bb.236:
	ds_write2_b64 v252, v[92:93], v[94:95] offset1:1
	ds_write2_b64 v253, v[88:89], v[90:91] offset0:54 offset1:55
	ds_write2_b64 v253, v[84:85], v[86:87] offset0:56 offset1:57
	;; [unrolled: 1-line block ×5, first 2 shown]
	s_waitcnt vmcnt(59)
	ds_write2_b64 v253, v[68:69], v[70:71] offset0:64 offset1:65
	s_waitcnt vmcnt(58)
	ds_write2_b64 v253, v[64:65], v[66:67] offset0:66 offset1:67
	;; [unrolled: 2-line block ×16, first 2 shown]
	ds_write2_b64 v253, v[4:5], v[6:7] offset0:96 offset1:97
	ds_write2_b64 v253, v[0:1], v[2:3] offset0:98 offset1:99
	s_waitcnt vmcnt(41)
	ds_write2_b64 v253, v[200:201], v[202:203] offset0:100 offset1:101
	ds_read2_b64 v[204:207], v252 offset1:1
	s_waitcnt lgkmcnt(0)
	v_cmp_neq_f64_e32 vcc, 0, v[204:205]
	v_cmp_neq_f64_e64 s[2:3], 0, v[206:207]
	s_or_b64 s[2:3], vcc, s[2:3]
	s_and_b64 exec, exec, s[2:3]
	s_cbranch_execz .LBB101_242
; %bb.237:
	v_cmp_ngt_f64_e64 s[2:3], |v[204:205]|, |v[206:207]|
                                        ; implicit-def: $vgpr208_vgpr209
	s_and_saveexec_b64 s[10:11], s[2:3]
	s_xor_b64 s[2:3], exec, s[10:11]
                                        ; implicit-def: $vgpr210_vgpr211
	s_cbranch_execz .LBB101_239
; %bb.238:
	v_div_scale_f64 v[208:209], s[10:11], v[206:207], v[206:207], v[204:205]
	v_rcp_f64_e32 v[210:211], v[208:209]
	v_div_scale_f64 v[212:213], vcc, v[204:205], v[206:207], v[204:205]
	v_fma_f64 v[214:215], -v[208:209], v[210:211], 1.0
	v_fmac_f64_e32 v[210:211], v[210:211], v[214:215]
	v_fma_f64 v[214:215], -v[208:209], v[210:211], 1.0
	v_fmac_f64_e32 v[210:211], v[210:211], v[214:215]
	v_mul_f64 v[214:215], v[212:213], v[210:211]
	v_fma_f64 v[208:209], -v[208:209], v[214:215], v[212:213]
	v_div_fmas_f64 v[208:209], v[208:209], v[210:211], v[214:215]
	v_div_fixup_f64 v[208:209], v[208:209], v[206:207], v[204:205]
	v_fmac_f64_e32 v[206:207], v[204:205], v[208:209]
	v_div_scale_f64 v[204:205], s[10:11], v[206:207], v[206:207], 1.0
	v_rcp_f64_e32 v[210:211], v[204:205]
	s_nop 0
	v_fma_f64 v[212:213], -v[204:205], v[210:211], 1.0
	v_fmac_f64_e32 v[210:211], v[210:211], v[212:213]
	v_fma_f64 v[212:213], -v[204:205], v[210:211], 1.0
	v_fmac_f64_e32 v[210:211], v[210:211], v[212:213]
	v_div_scale_f64 v[212:213], vcc, 1.0, v[206:207], 1.0
	v_mul_f64 v[214:215], v[212:213], v[210:211]
	v_fma_f64 v[204:205], -v[204:205], v[214:215], v[212:213]
	s_nop 1
	v_div_fmas_f64 v[204:205], v[204:205], v[210:211], v[214:215]
	v_div_fixup_f64 v[210:211], v[204:205], v[206:207], 1.0
	v_mul_f64 v[208:209], v[208:209], v[210:211]
	v_xor_b32_e32 v211, 0x80000000, v211
                                        ; implicit-def: $vgpr204_vgpr205
.LBB101_239:
	s_andn2_saveexec_b64 s[2:3], s[2:3]
	s_cbranch_execz .LBB101_241
; %bb.240:
	v_div_scale_f64 v[208:209], s[10:11], v[204:205], v[204:205], v[206:207]
	v_rcp_f64_e32 v[210:211], v[208:209]
	v_div_scale_f64 v[212:213], vcc, v[206:207], v[204:205], v[206:207]
	v_fma_f64 v[214:215], -v[208:209], v[210:211], 1.0
	v_fmac_f64_e32 v[210:211], v[210:211], v[214:215]
	v_fma_f64 v[214:215], -v[208:209], v[210:211], 1.0
	v_fmac_f64_e32 v[210:211], v[210:211], v[214:215]
	v_mul_f64 v[214:215], v[212:213], v[210:211]
	v_fma_f64 v[208:209], -v[208:209], v[214:215], v[212:213]
	v_div_fmas_f64 v[208:209], v[208:209], v[210:211], v[214:215]
	v_div_fixup_f64 v[210:211], v[208:209], v[204:205], v[206:207]
	v_fmac_f64_e32 v[204:205], v[206:207], v[210:211]
	v_div_scale_f64 v[206:207], s[10:11], v[204:205], v[204:205], 1.0
	v_rcp_f64_e32 v[208:209], v[206:207]
	s_nop 0
	v_fma_f64 v[212:213], -v[206:207], v[208:209], 1.0
	v_fmac_f64_e32 v[208:209], v[208:209], v[212:213]
	v_fma_f64 v[212:213], -v[206:207], v[208:209], 1.0
	v_fmac_f64_e32 v[208:209], v[208:209], v[212:213]
	v_div_scale_f64 v[212:213], vcc, 1.0, v[204:205], 1.0
	v_mul_f64 v[214:215], v[212:213], v[208:209]
	v_fma_f64 v[206:207], -v[206:207], v[214:215], v[212:213]
	s_nop 1
	v_div_fmas_f64 v[206:207], v[206:207], v[208:209], v[214:215]
	v_div_fixup_f64 v[208:209], v[206:207], v[204:205], 1.0
	v_mul_f64 v[210:211], v[210:211], -v[208:209]
.LBB101_241:
	s_or_b64 exec, exec, s[2:3]
	ds_write2_b64 v252, v[208:209], v[210:211] offset1:1
.LBB101_242:
	s_or_b64 exec, exec, s[4:5]
	s_waitcnt lgkmcnt(0)
	s_barrier
	ds_read2_b64 v[204:207], v252 offset1:1
	v_cmp_lt_u32_e32 vcc, 26, v254
	s_waitcnt lgkmcnt(0)
	scratch_store_dwordx4 off, v[204:207], off offset:824 ; 16-byte Folded Spill
	s_and_saveexec_b64 s[2:3], vcc
	s_cbranch_execz .LBB101_244
; %bb.243:
	scratch_load_dwordx4 v[206:209], off, off offset:824 ; 16-byte Folded Reload
	s_waitcnt vmcnt(0)
	v_mul_f64 v[204:205], v[208:209], v[94:95]
	v_mul_f64 v[94:95], v[206:207], v[94:95]
	v_fma_f64 v[204:205], v[206:207], v[92:93], -v[204:205]
	v_fmac_f64_e32 v[94:95], v[208:209], v[92:93]
	ds_read2_b64 v[206:209], v253 offset0:54 offset1:55
	s_waitcnt lgkmcnt(0)
	v_mul_f64 v[92:93], v[208:209], v[94:95]
	v_fma_f64 v[92:93], v[206:207], v[204:205], -v[92:93]
	v_mul_f64 v[206:207], v[206:207], v[94:95]
	v_fmac_f64_e32 v[206:207], v[208:209], v[204:205]
	v_add_f64 v[90:91], v[90:91], -v[206:207]
	ds_read2_b64 v[206:209], v253 offset0:56 offset1:57
	v_add_f64 v[88:89], v[88:89], -v[92:93]
	s_waitcnt lgkmcnt(0)
	v_mul_f64 v[92:93], v[208:209], v[94:95]
	v_fma_f64 v[92:93], v[206:207], v[204:205], -v[92:93]
	v_mul_f64 v[206:207], v[206:207], v[94:95]
	v_fmac_f64_e32 v[206:207], v[208:209], v[204:205]
	v_add_f64 v[86:87], v[86:87], -v[206:207]
	ds_read2_b64 v[206:209], v253 offset0:58 offset1:59
	v_add_f64 v[84:85], v[84:85], -v[92:93]
	;; [unrolled: 8-line block ×23, first 2 shown]
	s_waitcnt lgkmcnt(0)
	v_mul_f64 v[92:93], v[208:209], v[94:95]
	v_fma_f64 v[92:93], v[206:207], v[204:205], -v[92:93]
	v_mul_f64 v[206:207], v[206:207], v[94:95]
	v_fmac_f64_e32 v[206:207], v[208:209], v[204:205]
	v_add_f64 v[200:201], v[200:201], -v[92:93]
	v_add_f64 v[202:203], v[202:203], -v[206:207]
	v_mov_b64_e32 v[92:93], v[204:205]
.LBB101_244:
	s_or_b64 exec, exec, s[2:3]
	v_cmp_eq_u32_e32 vcc, 27, v254
	s_waitcnt vmcnt(63) expcnt(7) lgkmcnt(15)
	s_barrier
	s_and_saveexec_b64 s[4:5], vcc
	s_cbranch_execz .LBB101_251
; %bb.245:
	ds_write2_b64 v252, v[88:89], v[90:91] offset1:1
	ds_write2_b64 v253, v[84:85], v[86:87] offset0:56 offset1:57
	ds_write2_b64 v253, v[80:81], v[82:83] offset0:58 offset1:59
	;; [unrolled: 1-line block ×4, first 2 shown]
	s_waitcnt vmcnt(60)
	ds_write2_b64 v253, v[68:69], v[70:71] offset0:64 offset1:65
	s_waitcnt vmcnt(59)
	ds_write2_b64 v253, v[64:65], v[66:67] offset0:66 offset1:67
	;; [unrolled: 2-line block ×16, first 2 shown]
	ds_write2_b64 v253, v[4:5], v[6:7] offset0:96 offset1:97
	ds_write2_b64 v253, v[0:1], v[2:3] offset0:98 offset1:99
	s_waitcnt vmcnt(42)
	ds_write2_b64 v253, v[200:201], v[202:203] offset0:100 offset1:101
	ds_read2_b64 v[204:207], v252 offset1:1
	s_waitcnt lgkmcnt(0)
	v_cmp_neq_f64_e32 vcc, 0, v[204:205]
	v_cmp_neq_f64_e64 s[2:3], 0, v[206:207]
	s_or_b64 s[2:3], vcc, s[2:3]
	s_and_b64 exec, exec, s[2:3]
	s_cbranch_execz .LBB101_251
; %bb.246:
	v_cmp_ngt_f64_e64 s[2:3], |v[204:205]|, |v[206:207]|
                                        ; implicit-def: $vgpr208_vgpr209
	s_and_saveexec_b64 s[10:11], s[2:3]
	s_xor_b64 s[2:3], exec, s[10:11]
                                        ; implicit-def: $vgpr210_vgpr211
	s_cbranch_execz .LBB101_248
; %bb.247:
	v_div_scale_f64 v[208:209], s[10:11], v[206:207], v[206:207], v[204:205]
	v_rcp_f64_e32 v[210:211], v[208:209]
	v_div_scale_f64 v[212:213], vcc, v[204:205], v[206:207], v[204:205]
	v_fma_f64 v[214:215], -v[208:209], v[210:211], 1.0
	v_fmac_f64_e32 v[210:211], v[210:211], v[214:215]
	v_fma_f64 v[214:215], -v[208:209], v[210:211], 1.0
	v_fmac_f64_e32 v[210:211], v[210:211], v[214:215]
	v_mul_f64 v[214:215], v[212:213], v[210:211]
	v_fma_f64 v[208:209], -v[208:209], v[214:215], v[212:213]
	v_div_fmas_f64 v[208:209], v[208:209], v[210:211], v[214:215]
	v_div_fixup_f64 v[208:209], v[208:209], v[206:207], v[204:205]
	v_fmac_f64_e32 v[206:207], v[204:205], v[208:209]
	v_div_scale_f64 v[204:205], s[10:11], v[206:207], v[206:207], 1.0
	v_rcp_f64_e32 v[210:211], v[204:205]
	s_nop 0
	v_fma_f64 v[212:213], -v[204:205], v[210:211], 1.0
	v_fmac_f64_e32 v[210:211], v[210:211], v[212:213]
	v_fma_f64 v[212:213], -v[204:205], v[210:211], 1.0
	v_fmac_f64_e32 v[210:211], v[210:211], v[212:213]
	v_div_scale_f64 v[212:213], vcc, 1.0, v[206:207], 1.0
	v_mul_f64 v[214:215], v[212:213], v[210:211]
	v_fma_f64 v[204:205], -v[204:205], v[214:215], v[212:213]
	s_nop 1
	v_div_fmas_f64 v[204:205], v[204:205], v[210:211], v[214:215]
	v_div_fixup_f64 v[210:211], v[204:205], v[206:207], 1.0
	v_mul_f64 v[208:209], v[208:209], v[210:211]
	v_xor_b32_e32 v211, 0x80000000, v211
                                        ; implicit-def: $vgpr204_vgpr205
.LBB101_248:
	s_andn2_saveexec_b64 s[2:3], s[2:3]
	s_cbranch_execz .LBB101_250
; %bb.249:
	v_div_scale_f64 v[208:209], s[10:11], v[204:205], v[204:205], v[206:207]
	v_rcp_f64_e32 v[210:211], v[208:209]
	v_div_scale_f64 v[212:213], vcc, v[206:207], v[204:205], v[206:207]
	v_fma_f64 v[214:215], -v[208:209], v[210:211], 1.0
	v_fmac_f64_e32 v[210:211], v[210:211], v[214:215]
	v_fma_f64 v[214:215], -v[208:209], v[210:211], 1.0
	v_fmac_f64_e32 v[210:211], v[210:211], v[214:215]
	v_mul_f64 v[214:215], v[212:213], v[210:211]
	v_fma_f64 v[208:209], -v[208:209], v[214:215], v[212:213]
	v_div_fmas_f64 v[208:209], v[208:209], v[210:211], v[214:215]
	v_div_fixup_f64 v[210:211], v[208:209], v[204:205], v[206:207]
	v_fmac_f64_e32 v[204:205], v[206:207], v[210:211]
	v_div_scale_f64 v[206:207], s[10:11], v[204:205], v[204:205], 1.0
	v_rcp_f64_e32 v[208:209], v[206:207]
	s_nop 0
	v_fma_f64 v[212:213], -v[206:207], v[208:209], 1.0
	v_fmac_f64_e32 v[208:209], v[208:209], v[212:213]
	v_fma_f64 v[212:213], -v[206:207], v[208:209], 1.0
	v_fmac_f64_e32 v[208:209], v[208:209], v[212:213]
	v_div_scale_f64 v[212:213], vcc, 1.0, v[204:205], 1.0
	v_mul_f64 v[214:215], v[212:213], v[208:209]
	v_fma_f64 v[206:207], -v[206:207], v[214:215], v[212:213]
	s_nop 1
	v_div_fmas_f64 v[206:207], v[206:207], v[208:209], v[214:215]
	v_div_fixup_f64 v[208:209], v[206:207], v[204:205], 1.0
	v_mul_f64 v[210:211], v[210:211], -v[208:209]
.LBB101_250:
	s_or_b64 exec, exec, s[2:3]
	ds_write2_b64 v252, v[208:209], v[210:211] offset1:1
.LBB101_251:
	s_or_b64 exec, exec, s[4:5]
	s_waitcnt lgkmcnt(0)
	s_barrier
	ds_read2_b64 v[204:207], v252 offset1:1
	v_cmp_lt_u32_e32 vcc, 27, v254
	s_waitcnt lgkmcnt(0)
	scratch_store_dwordx4 off, v[204:207], off offset:840 ; 16-byte Folded Spill
	s_and_saveexec_b64 s[2:3], vcc
	s_cbranch_execz .LBB101_253
; %bb.252:
	scratch_load_dwordx4 v[206:209], off, off offset:840 ; 16-byte Folded Reload
	s_waitcnt vmcnt(0)
	v_mul_f64 v[204:205], v[208:209], v[90:91]
	v_mul_f64 v[90:91], v[206:207], v[90:91]
	v_fma_f64 v[204:205], v[206:207], v[88:89], -v[204:205]
	v_fmac_f64_e32 v[90:91], v[208:209], v[88:89]
	ds_read2_b64 v[206:209], v253 offset0:56 offset1:57
	s_waitcnt lgkmcnt(0)
	v_mul_f64 v[88:89], v[208:209], v[90:91]
	v_fma_f64 v[88:89], v[206:207], v[204:205], -v[88:89]
	v_mul_f64 v[206:207], v[206:207], v[90:91]
	v_fmac_f64_e32 v[206:207], v[208:209], v[204:205]
	v_add_f64 v[86:87], v[86:87], -v[206:207]
	ds_read2_b64 v[206:209], v253 offset0:58 offset1:59
	v_add_f64 v[84:85], v[84:85], -v[88:89]
	s_waitcnt lgkmcnt(0)
	v_mul_f64 v[88:89], v[208:209], v[90:91]
	v_fma_f64 v[88:89], v[206:207], v[204:205], -v[88:89]
	v_mul_f64 v[206:207], v[206:207], v[90:91]
	v_fmac_f64_e32 v[206:207], v[208:209], v[204:205]
	v_add_f64 v[82:83], v[82:83], -v[206:207]
	ds_read2_b64 v[206:209], v253 offset0:60 offset1:61
	v_add_f64 v[80:81], v[80:81], -v[88:89]
	;; [unrolled: 8-line block ×22, first 2 shown]
	s_waitcnt lgkmcnt(0)
	v_mul_f64 v[88:89], v[208:209], v[90:91]
	v_fma_f64 v[88:89], v[206:207], v[204:205], -v[88:89]
	v_mul_f64 v[206:207], v[206:207], v[90:91]
	v_fmac_f64_e32 v[206:207], v[208:209], v[204:205]
	v_add_f64 v[200:201], v[200:201], -v[88:89]
	v_add_f64 v[202:203], v[202:203], -v[206:207]
	v_mov_b64_e32 v[88:89], v[204:205]
.LBB101_253:
	s_or_b64 exec, exec, s[2:3]
	v_cmp_eq_u32_e32 vcc, 28, v254
	s_waitcnt vmcnt(63) expcnt(7) lgkmcnt(15)
	s_barrier
	s_and_saveexec_b64 s[4:5], vcc
	s_cbranch_execz .LBB101_260
; %bb.254:
	ds_write2_b64 v252, v[84:85], v[86:87] offset1:1
	ds_write2_b64 v253, v[80:81], v[82:83] offset0:58 offset1:59
	ds_write2_b64 v253, v[76:77], v[78:79] offset0:60 offset1:61
	;; [unrolled: 1-line block ×3, first 2 shown]
	s_waitcnt vmcnt(61)
	ds_write2_b64 v253, v[68:69], v[70:71] offset0:64 offset1:65
	s_waitcnt vmcnt(60)
	ds_write2_b64 v253, v[64:65], v[66:67] offset0:66 offset1:67
	;; [unrolled: 2-line block ×16, first 2 shown]
	ds_write2_b64 v253, v[4:5], v[6:7] offset0:96 offset1:97
	ds_write2_b64 v253, v[0:1], v[2:3] offset0:98 offset1:99
	s_waitcnt vmcnt(43)
	ds_write2_b64 v253, v[200:201], v[202:203] offset0:100 offset1:101
	ds_read2_b64 v[204:207], v252 offset1:1
	s_waitcnt lgkmcnt(0)
	v_cmp_neq_f64_e32 vcc, 0, v[204:205]
	v_cmp_neq_f64_e64 s[2:3], 0, v[206:207]
	s_or_b64 s[2:3], vcc, s[2:3]
	s_and_b64 exec, exec, s[2:3]
	s_cbranch_execz .LBB101_260
; %bb.255:
	v_cmp_ngt_f64_e64 s[2:3], |v[204:205]|, |v[206:207]|
                                        ; implicit-def: $vgpr208_vgpr209
	s_and_saveexec_b64 s[10:11], s[2:3]
	s_xor_b64 s[2:3], exec, s[10:11]
                                        ; implicit-def: $vgpr210_vgpr211
	s_cbranch_execz .LBB101_257
; %bb.256:
	v_div_scale_f64 v[208:209], s[10:11], v[206:207], v[206:207], v[204:205]
	v_rcp_f64_e32 v[210:211], v[208:209]
	v_div_scale_f64 v[212:213], vcc, v[204:205], v[206:207], v[204:205]
	v_fma_f64 v[214:215], -v[208:209], v[210:211], 1.0
	v_fmac_f64_e32 v[210:211], v[210:211], v[214:215]
	v_fma_f64 v[214:215], -v[208:209], v[210:211], 1.0
	v_fmac_f64_e32 v[210:211], v[210:211], v[214:215]
	v_mul_f64 v[214:215], v[212:213], v[210:211]
	v_fma_f64 v[208:209], -v[208:209], v[214:215], v[212:213]
	v_div_fmas_f64 v[208:209], v[208:209], v[210:211], v[214:215]
	v_div_fixup_f64 v[208:209], v[208:209], v[206:207], v[204:205]
	v_fmac_f64_e32 v[206:207], v[204:205], v[208:209]
	v_div_scale_f64 v[204:205], s[10:11], v[206:207], v[206:207], 1.0
	v_rcp_f64_e32 v[210:211], v[204:205]
	s_nop 0
	v_fma_f64 v[212:213], -v[204:205], v[210:211], 1.0
	v_fmac_f64_e32 v[210:211], v[210:211], v[212:213]
	v_fma_f64 v[212:213], -v[204:205], v[210:211], 1.0
	v_fmac_f64_e32 v[210:211], v[210:211], v[212:213]
	v_div_scale_f64 v[212:213], vcc, 1.0, v[206:207], 1.0
	v_mul_f64 v[214:215], v[212:213], v[210:211]
	v_fma_f64 v[204:205], -v[204:205], v[214:215], v[212:213]
	s_nop 1
	v_div_fmas_f64 v[204:205], v[204:205], v[210:211], v[214:215]
	v_div_fixup_f64 v[210:211], v[204:205], v[206:207], 1.0
	v_mul_f64 v[208:209], v[208:209], v[210:211]
	v_xor_b32_e32 v211, 0x80000000, v211
                                        ; implicit-def: $vgpr204_vgpr205
.LBB101_257:
	s_andn2_saveexec_b64 s[2:3], s[2:3]
	s_cbranch_execz .LBB101_259
; %bb.258:
	v_div_scale_f64 v[208:209], s[10:11], v[204:205], v[204:205], v[206:207]
	v_rcp_f64_e32 v[210:211], v[208:209]
	v_div_scale_f64 v[212:213], vcc, v[206:207], v[204:205], v[206:207]
	v_fma_f64 v[214:215], -v[208:209], v[210:211], 1.0
	v_fmac_f64_e32 v[210:211], v[210:211], v[214:215]
	v_fma_f64 v[214:215], -v[208:209], v[210:211], 1.0
	v_fmac_f64_e32 v[210:211], v[210:211], v[214:215]
	v_mul_f64 v[214:215], v[212:213], v[210:211]
	v_fma_f64 v[208:209], -v[208:209], v[214:215], v[212:213]
	v_div_fmas_f64 v[208:209], v[208:209], v[210:211], v[214:215]
	v_div_fixup_f64 v[210:211], v[208:209], v[204:205], v[206:207]
	v_fmac_f64_e32 v[204:205], v[206:207], v[210:211]
	v_div_scale_f64 v[206:207], s[10:11], v[204:205], v[204:205], 1.0
	v_rcp_f64_e32 v[208:209], v[206:207]
	s_nop 0
	v_fma_f64 v[212:213], -v[206:207], v[208:209], 1.0
	v_fmac_f64_e32 v[208:209], v[208:209], v[212:213]
	v_fma_f64 v[212:213], -v[206:207], v[208:209], 1.0
	v_fmac_f64_e32 v[208:209], v[208:209], v[212:213]
	v_div_scale_f64 v[212:213], vcc, 1.0, v[204:205], 1.0
	v_mul_f64 v[214:215], v[212:213], v[208:209]
	v_fma_f64 v[206:207], -v[206:207], v[214:215], v[212:213]
	s_nop 1
	v_div_fmas_f64 v[206:207], v[206:207], v[208:209], v[214:215]
	v_div_fixup_f64 v[208:209], v[206:207], v[204:205], 1.0
	v_mul_f64 v[210:211], v[210:211], -v[208:209]
.LBB101_259:
	s_or_b64 exec, exec, s[2:3]
	ds_write2_b64 v252, v[208:209], v[210:211] offset1:1
.LBB101_260:
	s_or_b64 exec, exec, s[4:5]
	s_waitcnt lgkmcnt(0)
	s_barrier
	ds_read2_b64 v[204:207], v252 offset1:1
	v_cmp_lt_u32_e32 vcc, 28, v254
	s_waitcnt lgkmcnt(0)
	scratch_store_dwordx4 off, v[204:207], off offset:856 ; 16-byte Folded Spill
	s_and_saveexec_b64 s[2:3], vcc
	s_cbranch_execz .LBB101_262
; %bb.261:
	scratch_load_dwordx4 v[206:209], off, off offset:856 ; 16-byte Folded Reload
	s_waitcnt vmcnt(0)
	v_mul_f64 v[204:205], v[208:209], v[86:87]
	v_mul_f64 v[86:87], v[206:207], v[86:87]
	v_fma_f64 v[204:205], v[206:207], v[84:85], -v[204:205]
	v_fmac_f64_e32 v[86:87], v[208:209], v[84:85]
	ds_read2_b64 v[206:209], v253 offset0:58 offset1:59
	s_waitcnt lgkmcnt(0)
	v_mul_f64 v[84:85], v[208:209], v[86:87]
	v_fma_f64 v[84:85], v[206:207], v[204:205], -v[84:85]
	v_mul_f64 v[206:207], v[206:207], v[86:87]
	v_fmac_f64_e32 v[206:207], v[208:209], v[204:205]
	v_add_f64 v[82:83], v[82:83], -v[206:207]
	ds_read2_b64 v[206:209], v253 offset0:60 offset1:61
	v_add_f64 v[80:81], v[80:81], -v[84:85]
	s_waitcnt lgkmcnt(0)
	v_mul_f64 v[84:85], v[208:209], v[86:87]
	v_fma_f64 v[84:85], v[206:207], v[204:205], -v[84:85]
	v_mul_f64 v[206:207], v[206:207], v[86:87]
	v_fmac_f64_e32 v[206:207], v[208:209], v[204:205]
	v_add_f64 v[78:79], v[78:79], -v[206:207]
	ds_read2_b64 v[206:209], v253 offset0:62 offset1:63
	v_add_f64 v[76:77], v[76:77], -v[84:85]
	;; [unrolled: 8-line block ×21, first 2 shown]
	s_waitcnt lgkmcnt(0)
	v_mul_f64 v[84:85], v[208:209], v[86:87]
	v_fma_f64 v[84:85], v[206:207], v[204:205], -v[84:85]
	v_mul_f64 v[206:207], v[206:207], v[86:87]
	v_fmac_f64_e32 v[206:207], v[208:209], v[204:205]
	v_add_f64 v[200:201], v[200:201], -v[84:85]
	v_add_f64 v[202:203], v[202:203], -v[206:207]
	v_mov_b64_e32 v[84:85], v[204:205]
.LBB101_262:
	s_or_b64 exec, exec, s[2:3]
	v_cmp_eq_u32_e32 vcc, 29, v254
	s_waitcnt vmcnt(63) expcnt(7) lgkmcnt(15)
	s_barrier
	s_and_saveexec_b64 s[4:5], vcc
	s_cbranch_execz .LBB101_269
; %bb.263:
	ds_write2_b64 v252, v[80:81], v[82:83] offset1:1
	ds_write2_b64 v253, v[76:77], v[78:79] offset0:60 offset1:61
	ds_write2_b64 v253, v[72:73], v[74:75] offset0:62 offset1:63
	s_waitcnt vmcnt(62)
	ds_write2_b64 v253, v[68:69], v[70:71] offset0:64 offset1:65
	s_waitcnt vmcnt(61)
	;; [unrolled: 2-line block ×16, first 2 shown]
	ds_write2_b64 v253, v[8:9], v[10:11] offset0:94 offset1:95
	ds_write2_b64 v253, v[4:5], v[6:7] offset0:96 offset1:97
	;; [unrolled: 1-line block ×3, first 2 shown]
	s_waitcnt vmcnt(44)
	ds_write2_b64 v253, v[200:201], v[202:203] offset0:100 offset1:101
	ds_read2_b64 v[204:207], v252 offset1:1
	s_waitcnt lgkmcnt(0)
	v_cmp_neq_f64_e32 vcc, 0, v[204:205]
	v_cmp_neq_f64_e64 s[2:3], 0, v[206:207]
	s_or_b64 s[2:3], vcc, s[2:3]
	s_and_b64 exec, exec, s[2:3]
	s_cbranch_execz .LBB101_269
; %bb.264:
	v_cmp_ngt_f64_e64 s[2:3], |v[204:205]|, |v[206:207]|
                                        ; implicit-def: $vgpr208_vgpr209
	s_and_saveexec_b64 s[10:11], s[2:3]
	s_xor_b64 s[2:3], exec, s[10:11]
                                        ; implicit-def: $vgpr210_vgpr211
	s_cbranch_execz .LBB101_266
; %bb.265:
	v_div_scale_f64 v[208:209], s[10:11], v[206:207], v[206:207], v[204:205]
	v_rcp_f64_e32 v[210:211], v[208:209]
	v_div_scale_f64 v[212:213], vcc, v[204:205], v[206:207], v[204:205]
	v_fma_f64 v[214:215], -v[208:209], v[210:211], 1.0
	v_fmac_f64_e32 v[210:211], v[210:211], v[214:215]
	v_fma_f64 v[214:215], -v[208:209], v[210:211], 1.0
	v_fmac_f64_e32 v[210:211], v[210:211], v[214:215]
	v_mul_f64 v[214:215], v[212:213], v[210:211]
	v_fma_f64 v[208:209], -v[208:209], v[214:215], v[212:213]
	v_div_fmas_f64 v[208:209], v[208:209], v[210:211], v[214:215]
	v_div_fixup_f64 v[208:209], v[208:209], v[206:207], v[204:205]
	v_fmac_f64_e32 v[206:207], v[204:205], v[208:209]
	v_div_scale_f64 v[204:205], s[10:11], v[206:207], v[206:207], 1.0
	v_rcp_f64_e32 v[210:211], v[204:205]
	s_nop 0
	v_fma_f64 v[212:213], -v[204:205], v[210:211], 1.0
	v_fmac_f64_e32 v[210:211], v[210:211], v[212:213]
	v_fma_f64 v[212:213], -v[204:205], v[210:211], 1.0
	v_fmac_f64_e32 v[210:211], v[210:211], v[212:213]
	v_div_scale_f64 v[212:213], vcc, 1.0, v[206:207], 1.0
	v_mul_f64 v[214:215], v[212:213], v[210:211]
	v_fma_f64 v[204:205], -v[204:205], v[214:215], v[212:213]
	s_nop 1
	v_div_fmas_f64 v[204:205], v[204:205], v[210:211], v[214:215]
	v_div_fixup_f64 v[210:211], v[204:205], v[206:207], 1.0
	v_mul_f64 v[208:209], v[208:209], v[210:211]
	v_xor_b32_e32 v211, 0x80000000, v211
                                        ; implicit-def: $vgpr204_vgpr205
.LBB101_266:
	s_andn2_saveexec_b64 s[2:3], s[2:3]
	s_cbranch_execz .LBB101_268
; %bb.267:
	v_div_scale_f64 v[208:209], s[10:11], v[204:205], v[204:205], v[206:207]
	v_rcp_f64_e32 v[210:211], v[208:209]
	v_div_scale_f64 v[212:213], vcc, v[206:207], v[204:205], v[206:207]
	v_fma_f64 v[214:215], -v[208:209], v[210:211], 1.0
	v_fmac_f64_e32 v[210:211], v[210:211], v[214:215]
	v_fma_f64 v[214:215], -v[208:209], v[210:211], 1.0
	v_fmac_f64_e32 v[210:211], v[210:211], v[214:215]
	v_mul_f64 v[214:215], v[212:213], v[210:211]
	v_fma_f64 v[208:209], -v[208:209], v[214:215], v[212:213]
	v_div_fmas_f64 v[208:209], v[208:209], v[210:211], v[214:215]
	v_div_fixup_f64 v[210:211], v[208:209], v[204:205], v[206:207]
	v_fmac_f64_e32 v[204:205], v[206:207], v[210:211]
	v_div_scale_f64 v[206:207], s[10:11], v[204:205], v[204:205], 1.0
	v_rcp_f64_e32 v[208:209], v[206:207]
	s_nop 0
	v_fma_f64 v[212:213], -v[206:207], v[208:209], 1.0
	v_fmac_f64_e32 v[208:209], v[208:209], v[212:213]
	v_fma_f64 v[212:213], -v[206:207], v[208:209], 1.0
	v_fmac_f64_e32 v[208:209], v[208:209], v[212:213]
	v_div_scale_f64 v[212:213], vcc, 1.0, v[204:205], 1.0
	v_mul_f64 v[214:215], v[212:213], v[208:209]
	v_fma_f64 v[206:207], -v[206:207], v[214:215], v[212:213]
	s_nop 1
	v_div_fmas_f64 v[206:207], v[206:207], v[208:209], v[214:215]
	v_div_fixup_f64 v[208:209], v[206:207], v[204:205], 1.0
	v_mul_f64 v[210:211], v[210:211], -v[208:209]
.LBB101_268:
	s_or_b64 exec, exec, s[2:3]
	ds_write2_b64 v252, v[208:209], v[210:211] offset1:1
.LBB101_269:
	s_or_b64 exec, exec, s[4:5]
	s_waitcnt lgkmcnt(0)
	s_barrier
	ds_read2_b64 v[204:207], v252 offset1:1
	v_cmp_lt_u32_e32 vcc, 29, v254
	s_waitcnt lgkmcnt(0)
	scratch_store_dwordx4 off, v[204:207], off offset:872 ; 16-byte Folded Spill
	s_and_saveexec_b64 s[2:3], vcc
	s_cbranch_execz .LBB101_271
; %bb.270:
	scratch_load_dwordx4 v[206:209], off, off offset:872 ; 16-byte Folded Reload
	s_waitcnt vmcnt(0)
	v_mul_f64 v[204:205], v[208:209], v[82:83]
	v_mul_f64 v[82:83], v[206:207], v[82:83]
	v_fma_f64 v[204:205], v[206:207], v[80:81], -v[204:205]
	v_fmac_f64_e32 v[82:83], v[208:209], v[80:81]
	ds_read2_b64 v[206:209], v253 offset0:60 offset1:61
	s_waitcnt lgkmcnt(0)
	v_mul_f64 v[80:81], v[208:209], v[82:83]
	v_fma_f64 v[80:81], v[206:207], v[204:205], -v[80:81]
	v_mul_f64 v[206:207], v[206:207], v[82:83]
	v_fmac_f64_e32 v[206:207], v[208:209], v[204:205]
	v_add_f64 v[78:79], v[78:79], -v[206:207]
	ds_read2_b64 v[206:209], v253 offset0:62 offset1:63
	v_add_f64 v[76:77], v[76:77], -v[80:81]
	s_waitcnt lgkmcnt(0)
	v_mul_f64 v[80:81], v[208:209], v[82:83]
	v_fma_f64 v[80:81], v[206:207], v[204:205], -v[80:81]
	v_mul_f64 v[206:207], v[206:207], v[82:83]
	v_fmac_f64_e32 v[206:207], v[208:209], v[204:205]
	v_add_f64 v[74:75], v[74:75], -v[206:207]
	ds_read2_b64 v[206:209], v253 offset0:64 offset1:65
	v_add_f64 v[72:73], v[72:73], -v[80:81]
	s_waitcnt lgkmcnt(0)
	v_mul_f64 v[80:81], v[208:209], v[82:83]
	v_fma_f64 v[80:81], v[206:207], v[204:205], -v[80:81]
	v_mul_f64 v[206:207], v[206:207], v[82:83]
	v_fmac_f64_e32 v[206:207], v[208:209], v[204:205]
	v_add_f64 v[70:71], v[70:71], -v[206:207]
	ds_read2_b64 v[206:209], v253 offset0:66 offset1:67
	v_add_f64 v[68:69], v[68:69], -v[80:81]
	s_waitcnt lgkmcnt(0)
	v_mul_f64 v[80:81], v[208:209], v[82:83]
	v_fma_f64 v[80:81], v[206:207], v[204:205], -v[80:81]
	v_mul_f64 v[206:207], v[206:207], v[82:83]
	v_fmac_f64_e32 v[206:207], v[208:209], v[204:205]
	v_add_f64 v[66:67], v[66:67], -v[206:207]
	ds_read2_b64 v[206:209], v253 offset0:68 offset1:69
	v_add_f64 v[64:65], v[64:65], -v[80:81]
	s_waitcnt lgkmcnt(0)
	v_mul_f64 v[80:81], v[208:209], v[82:83]
	v_fma_f64 v[80:81], v[206:207], v[204:205], -v[80:81]
	v_mul_f64 v[206:207], v[206:207], v[82:83]
	v_fmac_f64_e32 v[206:207], v[208:209], v[204:205]
	v_add_f64 v[62:63], v[62:63], -v[206:207]
	ds_read2_b64 v[206:209], v253 offset0:70 offset1:71
	v_add_f64 v[60:61], v[60:61], -v[80:81]
	s_waitcnt lgkmcnt(0)
	v_mul_f64 v[80:81], v[208:209], v[82:83]
	v_fma_f64 v[80:81], v[206:207], v[204:205], -v[80:81]
	v_mul_f64 v[206:207], v[206:207], v[82:83]
	v_fmac_f64_e32 v[206:207], v[208:209], v[204:205]
	v_add_f64 v[58:59], v[58:59], -v[206:207]
	ds_read2_b64 v[206:209], v253 offset0:72 offset1:73
	v_add_f64 v[56:57], v[56:57], -v[80:81]
	s_waitcnt lgkmcnt(0)
	v_mul_f64 v[80:81], v[208:209], v[82:83]
	v_fma_f64 v[80:81], v[206:207], v[204:205], -v[80:81]
	v_mul_f64 v[206:207], v[206:207], v[82:83]
	v_fmac_f64_e32 v[206:207], v[208:209], v[204:205]
	v_add_f64 v[54:55], v[54:55], -v[206:207]
	ds_read2_b64 v[206:209], v253 offset0:74 offset1:75
	v_add_f64 v[52:53], v[52:53], -v[80:81]
	s_waitcnt lgkmcnt(0)
	v_mul_f64 v[80:81], v[208:209], v[82:83]
	v_fma_f64 v[80:81], v[206:207], v[204:205], -v[80:81]
	v_mul_f64 v[206:207], v[206:207], v[82:83]
	v_fmac_f64_e32 v[206:207], v[208:209], v[204:205]
	v_add_f64 v[50:51], v[50:51], -v[206:207]
	ds_read2_b64 v[206:209], v253 offset0:76 offset1:77
	v_add_f64 v[48:49], v[48:49], -v[80:81]
	s_waitcnt lgkmcnt(0)
	v_mul_f64 v[80:81], v[208:209], v[82:83]
	v_fma_f64 v[80:81], v[206:207], v[204:205], -v[80:81]
	v_mul_f64 v[206:207], v[206:207], v[82:83]
	v_fmac_f64_e32 v[206:207], v[208:209], v[204:205]
	v_add_f64 v[46:47], v[46:47], -v[206:207]
	ds_read2_b64 v[206:209], v253 offset0:78 offset1:79
	v_add_f64 v[44:45], v[44:45], -v[80:81]
	s_waitcnt lgkmcnt(0)
	v_mul_f64 v[80:81], v[208:209], v[82:83]
	v_fma_f64 v[80:81], v[206:207], v[204:205], -v[80:81]
	v_mul_f64 v[206:207], v[206:207], v[82:83]
	v_fmac_f64_e32 v[206:207], v[208:209], v[204:205]
	v_add_f64 v[42:43], v[42:43], -v[206:207]
	ds_read2_b64 v[206:209], v253 offset0:80 offset1:81
	v_add_f64 v[40:41], v[40:41], -v[80:81]
	s_waitcnt lgkmcnt(0)
	v_mul_f64 v[80:81], v[208:209], v[82:83]
	v_fma_f64 v[80:81], v[206:207], v[204:205], -v[80:81]
	v_mul_f64 v[206:207], v[206:207], v[82:83]
	v_fmac_f64_e32 v[206:207], v[208:209], v[204:205]
	v_add_f64 v[38:39], v[38:39], -v[206:207]
	ds_read2_b64 v[206:209], v253 offset0:82 offset1:83
	v_add_f64 v[36:37], v[36:37], -v[80:81]
	s_waitcnt lgkmcnt(0)
	v_mul_f64 v[80:81], v[208:209], v[82:83]
	v_fma_f64 v[80:81], v[206:207], v[204:205], -v[80:81]
	v_mul_f64 v[206:207], v[206:207], v[82:83]
	v_fmac_f64_e32 v[206:207], v[208:209], v[204:205]
	v_add_f64 v[34:35], v[34:35], -v[206:207]
	ds_read2_b64 v[206:209], v253 offset0:84 offset1:85
	v_add_f64 v[32:33], v[32:33], -v[80:81]
	s_waitcnt lgkmcnt(0)
	v_mul_f64 v[80:81], v[208:209], v[82:83]
	v_fma_f64 v[80:81], v[206:207], v[204:205], -v[80:81]
	v_mul_f64 v[206:207], v[206:207], v[82:83]
	v_fmac_f64_e32 v[206:207], v[208:209], v[204:205]
	v_add_f64 v[30:31], v[30:31], -v[206:207]
	ds_read2_b64 v[206:209], v253 offset0:86 offset1:87
	v_add_f64 v[28:29], v[28:29], -v[80:81]
	s_waitcnt lgkmcnt(0)
	v_mul_f64 v[80:81], v[208:209], v[82:83]
	v_fma_f64 v[80:81], v[206:207], v[204:205], -v[80:81]
	v_mul_f64 v[206:207], v[206:207], v[82:83]
	v_fmac_f64_e32 v[206:207], v[208:209], v[204:205]
	v_add_f64 v[26:27], v[26:27], -v[206:207]
	ds_read2_b64 v[206:209], v253 offset0:88 offset1:89
	v_add_f64 v[24:25], v[24:25], -v[80:81]
	s_waitcnt lgkmcnt(0)
	v_mul_f64 v[80:81], v[208:209], v[82:83]
	v_fma_f64 v[80:81], v[206:207], v[204:205], -v[80:81]
	v_mul_f64 v[206:207], v[206:207], v[82:83]
	v_fmac_f64_e32 v[206:207], v[208:209], v[204:205]
	v_add_f64 v[22:23], v[22:23], -v[206:207]
	ds_read2_b64 v[206:209], v253 offset0:90 offset1:91
	v_add_f64 v[20:21], v[20:21], -v[80:81]
	s_waitcnt lgkmcnt(0)
	v_mul_f64 v[80:81], v[208:209], v[82:83]
	v_fma_f64 v[80:81], v[206:207], v[204:205], -v[80:81]
	v_mul_f64 v[206:207], v[206:207], v[82:83]
	v_fmac_f64_e32 v[206:207], v[208:209], v[204:205]
	v_add_f64 v[18:19], v[18:19], -v[206:207]
	ds_read2_b64 v[206:209], v253 offset0:92 offset1:93
	v_add_f64 v[16:17], v[16:17], -v[80:81]
	s_waitcnt lgkmcnt(0)
	v_mul_f64 v[80:81], v[208:209], v[82:83]
	v_fma_f64 v[80:81], v[206:207], v[204:205], -v[80:81]
	v_mul_f64 v[206:207], v[206:207], v[82:83]
	v_fmac_f64_e32 v[206:207], v[208:209], v[204:205]
	v_add_f64 v[14:15], v[14:15], -v[206:207]
	ds_read2_b64 v[206:209], v253 offset0:94 offset1:95
	v_add_f64 v[12:13], v[12:13], -v[80:81]
	s_waitcnt lgkmcnt(0)
	v_mul_f64 v[80:81], v[208:209], v[82:83]
	v_fma_f64 v[80:81], v[206:207], v[204:205], -v[80:81]
	v_mul_f64 v[206:207], v[206:207], v[82:83]
	v_fmac_f64_e32 v[206:207], v[208:209], v[204:205]
	v_add_f64 v[10:11], v[10:11], -v[206:207]
	ds_read2_b64 v[206:209], v253 offset0:96 offset1:97
	v_add_f64 v[8:9], v[8:9], -v[80:81]
	s_waitcnt lgkmcnt(0)
	v_mul_f64 v[80:81], v[208:209], v[82:83]
	v_fma_f64 v[80:81], v[206:207], v[204:205], -v[80:81]
	v_mul_f64 v[206:207], v[206:207], v[82:83]
	v_fmac_f64_e32 v[206:207], v[208:209], v[204:205]
	v_add_f64 v[6:7], v[6:7], -v[206:207]
	ds_read2_b64 v[206:209], v253 offset0:98 offset1:99
	v_add_f64 v[4:5], v[4:5], -v[80:81]
	s_waitcnt lgkmcnt(0)
	v_mul_f64 v[80:81], v[208:209], v[82:83]
	v_fma_f64 v[80:81], v[206:207], v[204:205], -v[80:81]
	v_mul_f64 v[206:207], v[206:207], v[82:83]
	v_fmac_f64_e32 v[206:207], v[208:209], v[204:205]
	v_add_f64 v[2:3], v[2:3], -v[206:207]
	ds_read2_b64 v[206:209], v253 offset0:100 offset1:101
	v_add_f64 v[0:1], v[0:1], -v[80:81]
	s_waitcnt lgkmcnt(0)
	v_mul_f64 v[80:81], v[208:209], v[82:83]
	v_fma_f64 v[80:81], v[206:207], v[204:205], -v[80:81]
	v_mul_f64 v[206:207], v[206:207], v[82:83]
	v_fmac_f64_e32 v[206:207], v[208:209], v[204:205]
	v_add_f64 v[200:201], v[200:201], -v[80:81]
	v_add_f64 v[202:203], v[202:203], -v[206:207]
	v_mov_b64_e32 v[80:81], v[204:205]
.LBB101_271:
	s_or_b64 exec, exec, s[2:3]
	v_cmp_eq_u32_e32 vcc, 30, v254
	s_waitcnt vmcnt(63) expcnt(7) lgkmcnt(15)
	s_barrier
	s_and_saveexec_b64 s[4:5], vcc
	s_cbranch_execz .LBB101_278
; %bb.272:
	ds_write2_b64 v252, v[76:77], v[78:79] offset1:1
	ds_write2_b64 v253, v[72:73], v[74:75] offset0:62 offset1:63
	ds_write2_b64 v253, v[68:69], v[70:71] offset0:64 offset1:65
	s_waitcnt vmcnt(62)
	ds_write2_b64 v253, v[64:65], v[66:67] offset0:66 offset1:67
	s_waitcnt vmcnt(61)
	;; [unrolled: 2-line block ×15, first 2 shown]
	ds_write2_b64 v253, v[8:9], v[10:11] offset0:94 offset1:95
	ds_write2_b64 v253, v[4:5], v[6:7] offset0:96 offset1:97
	;; [unrolled: 1-line block ×3, first 2 shown]
	s_waitcnt vmcnt(45)
	ds_write2_b64 v253, v[200:201], v[202:203] offset0:100 offset1:101
	ds_read2_b64 v[204:207], v252 offset1:1
	s_waitcnt lgkmcnt(0)
	v_cmp_neq_f64_e32 vcc, 0, v[204:205]
	v_cmp_neq_f64_e64 s[2:3], 0, v[206:207]
	s_or_b64 s[2:3], vcc, s[2:3]
	s_and_b64 exec, exec, s[2:3]
	s_cbranch_execz .LBB101_278
; %bb.273:
	v_cmp_ngt_f64_e64 s[2:3], |v[204:205]|, |v[206:207]|
                                        ; implicit-def: $vgpr208_vgpr209
	s_and_saveexec_b64 s[10:11], s[2:3]
	s_xor_b64 s[2:3], exec, s[10:11]
                                        ; implicit-def: $vgpr210_vgpr211
	s_cbranch_execz .LBB101_275
; %bb.274:
	v_div_scale_f64 v[208:209], s[10:11], v[206:207], v[206:207], v[204:205]
	v_rcp_f64_e32 v[210:211], v[208:209]
	v_div_scale_f64 v[212:213], vcc, v[204:205], v[206:207], v[204:205]
	v_fma_f64 v[214:215], -v[208:209], v[210:211], 1.0
	v_fmac_f64_e32 v[210:211], v[210:211], v[214:215]
	v_fma_f64 v[214:215], -v[208:209], v[210:211], 1.0
	v_fmac_f64_e32 v[210:211], v[210:211], v[214:215]
	v_mul_f64 v[214:215], v[212:213], v[210:211]
	v_fma_f64 v[208:209], -v[208:209], v[214:215], v[212:213]
	v_div_fmas_f64 v[208:209], v[208:209], v[210:211], v[214:215]
	v_div_fixup_f64 v[208:209], v[208:209], v[206:207], v[204:205]
	v_fmac_f64_e32 v[206:207], v[204:205], v[208:209]
	v_div_scale_f64 v[204:205], s[10:11], v[206:207], v[206:207], 1.0
	v_rcp_f64_e32 v[210:211], v[204:205]
	s_nop 0
	v_fma_f64 v[212:213], -v[204:205], v[210:211], 1.0
	v_fmac_f64_e32 v[210:211], v[210:211], v[212:213]
	v_fma_f64 v[212:213], -v[204:205], v[210:211], 1.0
	v_fmac_f64_e32 v[210:211], v[210:211], v[212:213]
	v_div_scale_f64 v[212:213], vcc, 1.0, v[206:207], 1.0
	v_mul_f64 v[214:215], v[212:213], v[210:211]
	v_fma_f64 v[204:205], -v[204:205], v[214:215], v[212:213]
	s_nop 1
	v_div_fmas_f64 v[204:205], v[204:205], v[210:211], v[214:215]
	v_div_fixup_f64 v[210:211], v[204:205], v[206:207], 1.0
	v_mul_f64 v[208:209], v[208:209], v[210:211]
	v_xor_b32_e32 v211, 0x80000000, v211
                                        ; implicit-def: $vgpr204_vgpr205
.LBB101_275:
	s_andn2_saveexec_b64 s[2:3], s[2:3]
	s_cbranch_execz .LBB101_277
; %bb.276:
	v_div_scale_f64 v[208:209], s[10:11], v[204:205], v[204:205], v[206:207]
	v_rcp_f64_e32 v[210:211], v[208:209]
	v_div_scale_f64 v[212:213], vcc, v[206:207], v[204:205], v[206:207]
	v_fma_f64 v[214:215], -v[208:209], v[210:211], 1.0
	v_fmac_f64_e32 v[210:211], v[210:211], v[214:215]
	v_fma_f64 v[214:215], -v[208:209], v[210:211], 1.0
	v_fmac_f64_e32 v[210:211], v[210:211], v[214:215]
	v_mul_f64 v[214:215], v[212:213], v[210:211]
	v_fma_f64 v[208:209], -v[208:209], v[214:215], v[212:213]
	v_div_fmas_f64 v[208:209], v[208:209], v[210:211], v[214:215]
	v_div_fixup_f64 v[210:211], v[208:209], v[204:205], v[206:207]
	v_fmac_f64_e32 v[204:205], v[206:207], v[210:211]
	v_div_scale_f64 v[206:207], s[10:11], v[204:205], v[204:205], 1.0
	v_rcp_f64_e32 v[208:209], v[206:207]
	s_nop 0
	v_fma_f64 v[212:213], -v[206:207], v[208:209], 1.0
	v_fmac_f64_e32 v[208:209], v[208:209], v[212:213]
	v_fma_f64 v[212:213], -v[206:207], v[208:209], 1.0
	v_fmac_f64_e32 v[208:209], v[208:209], v[212:213]
	v_div_scale_f64 v[212:213], vcc, 1.0, v[204:205], 1.0
	v_mul_f64 v[214:215], v[212:213], v[208:209]
	v_fma_f64 v[206:207], -v[206:207], v[214:215], v[212:213]
	s_nop 1
	v_div_fmas_f64 v[206:207], v[206:207], v[208:209], v[214:215]
	v_div_fixup_f64 v[208:209], v[206:207], v[204:205], 1.0
	v_mul_f64 v[210:211], v[210:211], -v[208:209]
.LBB101_277:
	s_or_b64 exec, exec, s[2:3]
	ds_write2_b64 v252, v[208:209], v[210:211] offset1:1
.LBB101_278:
	s_or_b64 exec, exec, s[4:5]
	s_waitcnt lgkmcnt(0)
	s_barrier
	ds_read2_b64 v[204:207], v252 offset1:1
	v_cmp_lt_u32_e32 vcc, 30, v254
	s_waitcnt lgkmcnt(0)
	scratch_store_dwordx4 off, v[204:207], off offset:888 ; 16-byte Folded Spill
	s_and_saveexec_b64 s[2:3], vcc
	s_cbranch_execz .LBB101_280
; %bb.279:
	scratch_load_dwordx4 v[206:209], off, off offset:888 ; 16-byte Folded Reload
	s_waitcnt vmcnt(0)
	v_mul_f64 v[204:205], v[208:209], v[78:79]
	v_mul_f64 v[78:79], v[206:207], v[78:79]
	v_fma_f64 v[204:205], v[206:207], v[76:77], -v[204:205]
	v_fmac_f64_e32 v[78:79], v[208:209], v[76:77]
	ds_read2_b64 v[206:209], v253 offset0:62 offset1:63
	s_waitcnt lgkmcnt(0)
	v_mul_f64 v[76:77], v[208:209], v[78:79]
	v_fma_f64 v[76:77], v[206:207], v[204:205], -v[76:77]
	v_mul_f64 v[206:207], v[206:207], v[78:79]
	v_fmac_f64_e32 v[206:207], v[208:209], v[204:205]
	v_add_f64 v[74:75], v[74:75], -v[206:207]
	ds_read2_b64 v[206:209], v253 offset0:64 offset1:65
	v_add_f64 v[72:73], v[72:73], -v[76:77]
	s_waitcnt lgkmcnt(0)
	v_mul_f64 v[76:77], v[208:209], v[78:79]
	v_fma_f64 v[76:77], v[206:207], v[204:205], -v[76:77]
	v_mul_f64 v[206:207], v[206:207], v[78:79]
	v_fmac_f64_e32 v[206:207], v[208:209], v[204:205]
	v_add_f64 v[70:71], v[70:71], -v[206:207]
	ds_read2_b64 v[206:209], v253 offset0:66 offset1:67
	v_add_f64 v[68:69], v[68:69], -v[76:77]
	;; [unrolled: 8-line block ×19, first 2 shown]
	s_waitcnt lgkmcnt(0)
	v_mul_f64 v[76:77], v[208:209], v[78:79]
	v_fma_f64 v[76:77], v[206:207], v[204:205], -v[76:77]
	v_mul_f64 v[206:207], v[206:207], v[78:79]
	v_fmac_f64_e32 v[206:207], v[208:209], v[204:205]
	v_add_f64 v[200:201], v[200:201], -v[76:77]
	v_add_f64 v[202:203], v[202:203], -v[206:207]
	v_mov_b64_e32 v[76:77], v[204:205]
.LBB101_280:
	s_or_b64 exec, exec, s[2:3]
	v_cmp_eq_u32_e32 vcc, 31, v254
	s_waitcnt vmcnt(63) expcnt(7) lgkmcnt(15)
	s_barrier
	s_and_saveexec_b64 s[4:5], vcc
	s_cbranch_execz .LBB101_287
; %bb.281:
	ds_write2_b64 v252, v[72:73], v[74:75] offset1:1
	ds_write2_b64 v253, v[68:69], v[70:71] offset0:64 offset1:65
	ds_write2_b64 v253, v[64:65], v[66:67] offset0:66 offset1:67
	s_waitcnt vmcnt(62)
	ds_write2_b64 v253, v[60:61], v[62:63] offset0:68 offset1:69
	s_waitcnt vmcnt(61)
	;; [unrolled: 2-line block ×14, first 2 shown]
	ds_write2_b64 v253, v[8:9], v[10:11] offset0:94 offset1:95
	ds_write2_b64 v253, v[4:5], v[6:7] offset0:96 offset1:97
	;; [unrolled: 1-line block ×3, first 2 shown]
	s_waitcnt vmcnt(46)
	ds_write2_b64 v253, v[200:201], v[202:203] offset0:100 offset1:101
	ds_read2_b64 v[204:207], v252 offset1:1
	s_waitcnt lgkmcnt(0)
	v_cmp_neq_f64_e32 vcc, 0, v[204:205]
	v_cmp_neq_f64_e64 s[2:3], 0, v[206:207]
	s_or_b64 s[2:3], vcc, s[2:3]
	s_and_b64 exec, exec, s[2:3]
	s_cbranch_execz .LBB101_287
; %bb.282:
	v_cmp_ngt_f64_e64 s[2:3], |v[204:205]|, |v[206:207]|
                                        ; implicit-def: $vgpr208_vgpr209
	s_and_saveexec_b64 s[10:11], s[2:3]
	s_xor_b64 s[2:3], exec, s[10:11]
                                        ; implicit-def: $vgpr210_vgpr211
	s_cbranch_execz .LBB101_284
; %bb.283:
	v_div_scale_f64 v[208:209], s[10:11], v[206:207], v[206:207], v[204:205]
	v_rcp_f64_e32 v[210:211], v[208:209]
	v_div_scale_f64 v[212:213], vcc, v[204:205], v[206:207], v[204:205]
	v_fma_f64 v[214:215], -v[208:209], v[210:211], 1.0
	v_fmac_f64_e32 v[210:211], v[210:211], v[214:215]
	v_fma_f64 v[214:215], -v[208:209], v[210:211], 1.0
	v_fmac_f64_e32 v[210:211], v[210:211], v[214:215]
	v_mul_f64 v[214:215], v[212:213], v[210:211]
	v_fma_f64 v[208:209], -v[208:209], v[214:215], v[212:213]
	v_div_fmas_f64 v[208:209], v[208:209], v[210:211], v[214:215]
	v_div_fixup_f64 v[208:209], v[208:209], v[206:207], v[204:205]
	v_fmac_f64_e32 v[206:207], v[204:205], v[208:209]
	v_div_scale_f64 v[204:205], s[10:11], v[206:207], v[206:207], 1.0
	v_rcp_f64_e32 v[210:211], v[204:205]
	s_nop 0
	v_fma_f64 v[212:213], -v[204:205], v[210:211], 1.0
	v_fmac_f64_e32 v[210:211], v[210:211], v[212:213]
	v_fma_f64 v[212:213], -v[204:205], v[210:211], 1.0
	v_fmac_f64_e32 v[210:211], v[210:211], v[212:213]
	v_div_scale_f64 v[212:213], vcc, 1.0, v[206:207], 1.0
	v_mul_f64 v[214:215], v[212:213], v[210:211]
	v_fma_f64 v[204:205], -v[204:205], v[214:215], v[212:213]
	s_nop 1
	v_div_fmas_f64 v[204:205], v[204:205], v[210:211], v[214:215]
	v_div_fixup_f64 v[210:211], v[204:205], v[206:207], 1.0
	v_mul_f64 v[208:209], v[208:209], v[210:211]
	v_xor_b32_e32 v211, 0x80000000, v211
                                        ; implicit-def: $vgpr204_vgpr205
.LBB101_284:
	s_andn2_saveexec_b64 s[2:3], s[2:3]
	s_cbranch_execz .LBB101_286
; %bb.285:
	v_div_scale_f64 v[208:209], s[10:11], v[204:205], v[204:205], v[206:207]
	v_rcp_f64_e32 v[210:211], v[208:209]
	v_div_scale_f64 v[212:213], vcc, v[206:207], v[204:205], v[206:207]
	v_fma_f64 v[214:215], -v[208:209], v[210:211], 1.0
	v_fmac_f64_e32 v[210:211], v[210:211], v[214:215]
	v_fma_f64 v[214:215], -v[208:209], v[210:211], 1.0
	v_fmac_f64_e32 v[210:211], v[210:211], v[214:215]
	v_mul_f64 v[214:215], v[212:213], v[210:211]
	v_fma_f64 v[208:209], -v[208:209], v[214:215], v[212:213]
	v_div_fmas_f64 v[208:209], v[208:209], v[210:211], v[214:215]
	v_div_fixup_f64 v[210:211], v[208:209], v[204:205], v[206:207]
	v_fmac_f64_e32 v[204:205], v[206:207], v[210:211]
	v_div_scale_f64 v[206:207], s[10:11], v[204:205], v[204:205], 1.0
	v_rcp_f64_e32 v[208:209], v[206:207]
	s_nop 0
	v_fma_f64 v[212:213], -v[206:207], v[208:209], 1.0
	v_fmac_f64_e32 v[208:209], v[208:209], v[212:213]
	v_fma_f64 v[212:213], -v[206:207], v[208:209], 1.0
	v_fmac_f64_e32 v[208:209], v[208:209], v[212:213]
	v_div_scale_f64 v[212:213], vcc, 1.0, v[204:205], 1.0
	v_mul_f64 v[214:215], v[212:213], v[208:209]
	v_fma_f64 v[206:207], -v[206:207], v[214:215], v[212:213]
	s_nop 1
	v_div_fmas_f64 v[206:207], v[206:207], v[208:209], v[214:215]
	v_div_fixup_f64 v[208:209], v[206:207], v[204:205], 1.0
	v_mul_f64 v[210:211], v[210:211], -v[208:209]
.LBB101_286:
	s_or_b64 exec, exec, s[2:3]
	ds_write2_b64 v252, v[208:209], v[210:211] offset1:1
.LBB101_287:
	s_or_b64 exec, exec, s[4:5]
	s_waitcnt lgkmcnt(0)
	s_barrier
	ds_read2_b64 v[204:207], v252 offset1:1
	v_cmp_lt_u32_e32 vcc, 31, v254
	s_waitcnt lgkmcnt(0)
	scratch_store_dwordx4 off, v[204:207], off offset:904 ; 16-byte Folded Spill
	s_and_saveexec_b64 s[2:3], vcc
	s_cbranch_execz .LBB101_289
; %bb.288:
	scratch_load_dwordx4 v[206:209], off, off offset:904 ; 16-byte Folded Reload
	s_waitcnt vmcnt(0)
	v_mul_f64 v[204:205], v[208:209], v[74:75]
	v_mul_f64 v[74:75], v[206:207], v[74:75]
	v_fma_f64 v[204:205], v[206:207], v[72:73], -v[204:205]
	v_fmac_f64_e32 v[74:75], v[208:209], v[72:73]
	ds_read2_b64 v[206:209], v253 offset0:64 offset1:65
	s_waitcnt lgkmcnt(0)
	v_mul_f64 v[72:73], v[208:209], v[74:75]
	v_fma_f64 v[72:73], v[206:207], v[204:205], -v[72:73]
	v_mul_f64 v[206:207], v[206:207], v[74:75]
	v_fmac_f64_e32 v[206:207], v[208:209], v[204:205]
	v_add_f64 v[70:71], v[70:71], -v[206:207]
	ds_read2_b64 v[206:209], v253 offset0:66 offset1:67
	v_add_f64 v[68:69], v[68:69], -v[72:73]
	s_waitcnt lgkmcnt(0)
	v_mul_f64 v[72:73], v[208:209], v[74:75]
	v_fma_f64 v[72:73], v[206:207], v[204:205], -v[72:73]
	v_mul_f64 v[206:207], v[206:207], v[74:75]
	v_fmac_f64_e32 v[206:207], v[208:209], v[204:205]
	v_add_f64 v[66:67], v[66:67], -v[206:207]
	ds_read2_b64 v[206:209], v253 offset0:68 offset1:69
	v_add_f64 v[64:65], v[64:65], -v[72:73]
	;; [unrolled: 8-line block ×18, first 2 shown]
	s_waitcnt lgkmcnt(0)
	v_mul_f64 v[72:73], v[208:209], v[74:75]
	v_fma_f64 v[72:73], v[206:207], v[204:205], -v[72:73]
	v_mul_f64 v[206:207], v[206:207], v[74:75]
	v_fmac_f64_e32 v[206:207], v[208:209], v[204:205]
	v_add_f64 v[200:201], v[200:201], -v[72:73]
	v_add_f64 v[202:203], v[202:203], -v[206:207]
	v_mov_b64_e32 v[72:73], v[204:205]
.LBB101_289:
	s_or_b64 exec, exec, s[2:3]
	v_cmp_eq_u32_e32 vcc, 32, v254
	s_waitcnt vmcnt(63) expcnt(7) lgkmcnt(15)
	s_barrier
	s_and_saveexec_b64 s[4:5], vcc
	s_cbranch_execz .LBB101_296
; %bb.290:
	ds_write2_b64 v252, v[68:69], v[70:71] offset1:1
	ds_write2_b64 v253, v[64:65], v[66:67] offset0:66 offset1:67
	ds_write2_b64 v253, v[60:61], v[62:63] offset0:68 offset1:69
	s_waitcnt vmcnt(62)
	ds_write2_b64 v253, v[56:57], v[58:59] offset0:70 offset1:71
	s_waitcnt vmcnt(61)
	ds_write2_b64 v253, v[52:53], v[54:55] offset0:72 offset1:73
	s_waitcnt vmcnt(60)
	ds_write2_b64 v253, v[48:49], v[50:51] offset0:74 offset1:75
	s_waitcnt vmcnt(59)
	ds_write2_b64 v253, v[44:45], v[46:47] offset0:76 offset1:77
	s_waitcnt vmcnt(58)
	ds_write2_b64 v253, v[40:41], v[42:43] offset0:78 offset1:79
	s_waitcnt vmcnt(57)
	ds_write2_b64 v253, v[36:37], v[38:39] offset0:80 offset1:81
	s_waitcnt vmcnt(56)
	ds_write2_b64 v253, v[32:33], v[34:35] offset0:82 offset1:83
	s_waitcnt vmcnt(55)
	ds_write2_b64 v253, v[28:29], v[30:31] offset0:84 offset1:85
	s_waitcnt vmcnt(54)
	ds_write2_b64 v253, v[24:25], v[26:27] offset0:86 offset1:87
	s_waitcnt vmcnt(53)
	ds_write2_b64 v253, v[20:21], v[22:23] offset0:88 offset1:89
	s_waitcnt vmcnt(52)
	ds_write2_b64 v253, v[16:17], v[18:19] offset0:90 offset1:91
	s_waitcnt vmcnt(51)
	ds_write2_b64 v253, v[12:13], v[14:15] offset0:92 offset1:93
	s_waitcnt vmcnt(50)
	ds_write2_b64 v253, v[8:9], v[10:11] offset0:94 offset1:95
	ds_write2_b64 v253, v[4:5], v[6:7] offset0:96 offset1:97
	;; [unrolled: 1-line block ×3, first 2 shown]
	s_waitcnt vmcnt(47)
	ds_write2_b64 v253, v[200:201], v[202:203] offset0:100 offset1:101
	ds_read2_b64 v[204:207], v252 offset1:1
	s_waitcnt lgkmcnt(0)
	v_cmp_neq_f64_e32 vcc, 0, v[204:205]
	v_cmp_neq_f64_e64 s[2:3], 0, v[206:207]
	s_or_b64 s[2:3], vcc, s[2:3]
	s_and_b64 exec, exec, s[2:3]
	s_cbranch_execz .LBB101_296
; %bb.291:
	v_cmp_ngt_f64_e64 s[2:3], |v[204:205]|, |v[206:207]|
                                        ; implicit-def: $vgpr208_vgpr209
	s_and_saveexec_b64 s[10:11], s[2:3]
	s_xor_b64 s[2:3], exec, s[10:11]
                                        ; implicit-def: $vgpr210_vgpr211
	s_cbranch_execz .LBB101_293
; %bb.292:
	v_div_scale_f64 v[208:209], s[10:11], v[206:207], v[206:207], v[204:205]
	v_rcp_f64_e32 v[210:211], v[208:209]
	v_div_scale_f64 v[212:213], vcc, v[204:205], v[206:207], v[204:205]
	v_fma_f64 v[214:215], -v[208:209], v[210:211], 1.0
	v_fmac_f64_e32 v[210:211], v[210:211], v[214:215]
	v_fma_f64 v[214:215], -v[208:209], v[210:211], 1.0
	v_fmac_f64_e32 v[210:211], v[210:211], v[214:215]
	v_mul_f64 v[214:215], v[212:213], v[210:211]
	v_fma_f64 v[208:209], -v[208:209], v[214:215], v[212:213]
	v_div_fmas_f64 v[208:209], v[208:209], v[210:211], v[214:215]
	v_div_fixup_f64 v[208:209], v[208:209], v[206:207], v[204:205]
	v_fmac_f64_e32 v[206:207], v[204:205], v[208:209]
	v_div_scale_f64 v[204:205], s[10:11], v[206:207], v[206:207], 1.0
	v_rcp_f64_e32 v[210:211], v[204:205]
	s_nop 0
	v_fma_f64 v[212:213], -v[204:205], v[210:211], 1.0
	v_fmac_f64_e32 v[210:211], v[210:211], v[212:213]
	v_fma_f64 v[212:213], -v[204:205], v[210:211], 1.0
	v_fmac_f64_e32 v[210:211], v[210:211], v[212:213]
	v_div_scale_f64 v[212:213], vcc, 1.0, v[206:207], 1.0
	v_mul_f64 v[214:215], v[212:213], v[210:211]
	v_fma_f64 v[204:205], -v[204:205], v[214:215], v[212:213]
	s_nop 1
	v_div_fmas_f64 v[204:205], v[204:205], v[210:211], v[214:215]
	v_div_fixup_f64 v[210:211], v[204:205], v[206:207], 1.0
	v_mul_f64 v[208:209], v[208:209], v[210:211]
	v_xor_b32_e32 v211, 0x80000000, v211
                                        ; implicit-def: $vgpr204_vgpr205
.LBB101_293:
	s_andn2_saveexec_b64 s[2:3], s[2:3]
	s_cbranch_execz .LBB101_295
; %bb.294:
	v_div_scale_f64 v[208:209], s[10:11], v[204:205], v[204:205], v[206:207]
	v_rcp_f64_e32 v[210:211], v[208:209]
	v_div_scale_f64 v[212:213], vcc, v[206:207], v[204:205], v[206:207]
	v_fma_f64 v[214:215], -v[208:209], v[210:211], 1.0
	v_fmac_f64_e32 v[210:211], v[210:211], v[214:215]
	v_fma_f64 v[214:215], -v[208:209], v[210:211], 1.0
	v_fmac_f64_e32 v[210:211], v[210:211], v[214:215]
	v_mul_f64 v[214:215], v[212:213], v[210:211]
	v_fma_f64 v[208:209], -v[208:209], v[214:215], v[212:213]
	v_div_fmas_f64 v[208:209], v[208:209], v[210:211], v[214:215]
	v_div_fixup_f64 v[210:211], v[208:209], v[204:205], v[206:207]
	v_fmac_f64_e32 v[204:205], v[206:207], v[210:211]
	v_div_scale_f64 v[206:207], s[10:11], v[204:205], v[204:205], 1.0
	v_rcp_f64_e32 v[208:209], v[206:207]
	s_nop 0
	v_fma_f64 v[212:213], -v[206:207], v[208:209], 1.0
	v_fmac_f64_e32 v[208:209], v[208:209], v[212:213]
	v_fma_f64 v[212:213], -v[206:207], v[208:209], 1.0
	v_fmac_f64_e32 v[208:209], v[208:209], v[212:213]
	v_div_scale_f64 v[212:213], vcc, 1.0, v[204:205], 1.0
	v_mul_f64 v[214:215], v[212:213], v[208:209]
	v_fma_f64 v[206:207], -v[206:207], v[214:215], v[212:213]
	s_nop 1
	v_div_fmas_f64 v[206:207], v[206:207], v[208:209], v[214:215]
	v_div_fixup_f64 v[208:209], v[206:207], v[204:205], 1.0
	v_mul_f64 v[210:211], v[210:211], -v[208:209]
.LBB101_295:
	s_or_b64 exec, exec, s[2:3]
	ds_write2_b64 v252, v[208:209], v[210:211] offset1:1
.LBB101_296:
	s_or_b64 exec, exec, s[4:5]
	s_waitcnt lgkmcnt(0)
	s_barrier
	ds_read2_b64 v[204:207], v252 offset1:1
	v_cmp_lt_u32_e32 vcc, 32, v254
	s_waitcnt lgkmcnt(0)
	scratch_store_dwordx4 off, v[204:207], off offset:920 ; 16-byte Folded Spill
	s_and_saveexec_b64 s[2:3], vcc
	s_cbranch_execz .LBB101_298
; %bb.297:
	scratch_load_dwordx4 v[206:209], off, off offset:920 ; 16-byte Folded Reload
	s_waitcnt vmcnt(0)
	v_mul_f64 v[204:205], v[208:209], v[70:71]
	v_mul_f64 v[70:71], v[206:207], v[70:71]
	v_fma_f64 v[204:205], v[206:207], v[68:69], -v[204:205]
	v_fmac_f64_e32 v[70:71], v[208:209], v[68:69]
	ds_read2_b64 v[206:209], v253 offset0:66 offset1:67
	s_waitcnt lgkmcnt(0)
	v_mul_f64 v[68:69], v[208:209], v[70:71]
	v_fma_f64 v[68:69], v[206:207], v[204:205], -v[68:69]
	v_mul_f64 v[206:207], v[206:207], v[70:71]
	v_fmac_f64_e32 v[206:207], v[208:209], v[204:205]
	v_add_f64 v[66:67], v[66:67], -v[206:207]
	ds_read2_b64 v[206:209], v253 offset0:68 offset1:69
	v_add_f64 v[64:65], v[64:65], -v[68:69]
	s_waitcnt lgkmcnt(0)
	v_mul_f64 v[68:69], v[208:209], v[70:71]
	v_fma_f64 v[68:69], v[206:207], v[204:205], -v[68:69]
	v_mul_f64 v[206:207], v[206:207], v[70:71]
	v_fmac_f64_e32 v[206:207], v[208:209], v[204:205]
	v_add_f64 v[62:63], v[62:63], -v[206:207]
	ds_read2_b64 v[206:209], v253 offset0:70 offset1:71
	v_add_f64 v[60:61], v[60:61], -v[68:69]
	;; [unrolled: 8-line block ×17, first 2 shown]
	s_waitcnt lgkmcnt(0)
	v_mul_f64 v[68:69], v[208:209], v[70:71]
	v_fma_f64 v[68:69], v[206:207], v[204:205], -v[68:69]
	v_mul_f64 v[206:207], v[206:207], v[70:71]
	v_fmac_f64_e32 v[206:207], v[208:209], v[204:205]
	v_add_f64 v[200:201], v[200:201], -v[68:69]
	v_add_f64 v[202:203], v[202:203], -v[206:207]
	v_mov_b64_e32 v[68:69], v[204:205]
.LBB101_298:
	s_or_b64 exec, exec, s[2:3]
	v_cmp_eq_u32_e32 vcc, 33, v254
	s_waitcnt vmcnt(63) expcnt(7) lgkmcnt(15)
	s_barrier
	s_and_saveexec_b64 s[4:5], vcc
	s_cbranch_execz .LBB101_305
; %bb.299:
	ds_write2_b64 v252, v[64:65], v[66:67] offset1:1
	ds_write2_b64 v253, v[60:61], v[62:63] offset0:68 offset1:69
	ds_write2_b64 v253, v[56:57], v[58:59] offset0:70 offset1:71
	s_waitcnt vmcnt(62)
	ds_write2_b64 v253, v[52:53], v[54:55] offset0:72 offset1:73
	s_waitcnt vmcnt(61)
	;; [unrolled: 2-line block ×12, first 2 shown]
	ds_write2_b64 v253, v[8:9], v[10:11] offset0:94 offset1:95
	ds_write2_b64 v253, v[4:5], v[6:7] offset0:96 offset1:97
	;; [unrolled: 1-line block ×3, first 2 shown]
	s_waitcnt vmcnt(48)
	ds_write2_b64 v253, v[200:201], v[202:203] offset0:100 offset1:101
	ds_read2_b64 v[204:207], v252 offset1:1
	s_waitcnt lgkmcnt(0)
	v_cmp_neq_f64_e32 vcc, 0, v[204:205]
	v_cmp_neq_f64_e64 s[2:3], 0, v[206:207]
	s_or_b64 s[2:3], vcc, s[2:3]
	s_and_b64 exec, exec, s[2:3]
	s_cbranch_execz .LBB101_305
; %bb.300:
	v_cmp_ngt_f64_e64 s[2:3], |v[204:205]|, |v[206:207]|
                                        ; implicit-def: $vgpr208_vgpr209
	s_and_saveexec_b64 s[10:11], s[2:3]
	s_xor_b64 s[2:3], exec, s[10:11]
                                        ; implicit-def: $vgpr210_vgpr211
	s_cbranch_execz .LBB101_302
; %bb.301:
	v_div_scale_f64 v[208:209], s[10:11], v[206:207], v[206:207], v[204:205]
	v_rcp_f64_e32 v[210:211], v[208:209]
	v_div_scale_f64 v[212:213], vcc, v[204:205], v[206:207], v[204:205]
	v_fma_f64 v[214:215], -v[208:209], v[210:211], 1.0
	v_fmac_f64_e32 v[210:211], v[210:211], v[214:215]
	v_fma_f64 v[214:215], -v[208:209], v[210:211], 1.0
	v_fmac_f64_e32 v[210:211], v[210:211], v[214:215]
	v_mul_f64 v[214:215], v[212:213], v[210:211]
	v_fma_f64 v[208:209], -v[208:209], v[214:215], v[212:213]
	v_div_fmas_f64 v[208:209], v[208:209], v[210:211], v[214:215]
	v_div_fixup_f64 v[208:209], v[208:209], v[206:207], v[204:205]
	v_fmac_f64_e32 v[206:207], v[204:205], v[208:209]
	v_div_scale_f64 v[204:205], s[10:11], v[206:207], v[206:207], 1.0
	v_rcp_f64_e32 v[210:211], v[204:205]
	s_nop 0
	v_fma_f64 v[212:213], -v[204:205], v[210:211], 1.0
	v_fmac_f64_e32 v[210:211], v[210:211], v[212:213]
	v_fma_f64 v[212:213], -v[204:205], v[210:211], 1.0
	v_fmac_f64_e32 v[210:211], v[210:211], v[212:213]
	v_div_scale_f64 v[212:213], vcc, 1.0, v[206:207], 1.0
	v_mul_f64 v[214:215], v[212:213], v[210:211]
	v_fma_f64 v[204:205], -v[204:205], v[214:215], v[212:213]
	s_nop 1
	v_div_fmas_f64 v[204:205], v[204:205], v[210:211], v[214:215]
	v_div_fixup_f64 v[210:211], v[204:205], v[206:207], 1.0
	v_mul_f64 v[208:209], v[208:209], v[210:211]
	v_xor_b32_e32 v211, 0x80000000, v211
                                        ; implicit-def: $vgpr204_vgpr205
.LBB101_302:
	s_andn2_saveexec_b64 s[2:3], s[2:3]
	s_cbranch_execz .LBB101_304
; %bb.303:
	v_div_scale_f64 v[208:209], s[10:11], v[204:205], v[204:205], v[206:207]
	v_rcp_f64_e32 v[210:211], v[208:209]
	v_div_scale_f64 v[212:213], vcc, v[206:207], v[204:205], v[206:207]
	v_fma_f64 v[214:215], -v[208:209], v[210:211], 1.0
	v_fmac_f64_e32 v[210:211], v[210:211], v[214:215]
	v_fma_f64 v[214:215], -v[208:209], v[210:211], 1.0
	v_fmac_f64_e32 v[210:211], v[210:211], v[214:215]
	v_mul_f64 v[214:215], v[212:213], v[210:211]
	v_fma_f64 v[208:209], -v[208:209], v[214:215], v[212:213]
	v_div_fmas_f64 v[208:209], v[208:209], v[210:211], v[214:215]
	v_div_fixup_f64 v[210:211], v[208:209], v[204:205], v[206:207]
	v_fmac_f64_e32 v[204:205], v[206:207], v[210:211]
	v_div_scale_f64 v[206:207], s[10:11], v[204:205], v[204:205], 1.0
	v_rcp_f64_e32 v[208:209], v[206:207]
	s_nop 0
	v_fma_f64 v[212:213], -v[206:207], v[208:209], 1.0
	v_fmac_f64_e32 v[208:209], v[208:209], v[212:213]
	v_fma_f64 v[212:213], -v[206:207], v[208:209], 1.0
	v_fmac_f64_e32 v[208:209], v[208:209], v[212:213]
	v_div_scale_f64 v[212:213], vcc, 1.0, v[204:205], 1.0
	v_mul_f64 v[214:215], v[212:213], v[208:209]
	v_fma_f64 v[206:207], -v[206:207], v[214:215], v[212:213]
	s_nop 1
	v_div_fmas_f64 v[206:207], v[206:207], v[208:209], v[214:215]
	v_div_fixup_f64 v[208:209], v[206:207], v[204:205], 1.0
	v_mul_f64 v[210:211], v[210:211], -v[208:209]
.LBB101_304:
	s_or_b64 exec, exec, s[2:3]
	ds_write2_b64 v252, v[208:209], v[210:211] offset1:1
.LBB101_305:
	s_or_b64 exec, exec, s[4:5]
	s_waitcnt lgkmcnt(0)
	s_barrier
	ds_read2_b64 v[204:207], v252 offset1:1
	v_cmp_lt_u32_e32 vcc, 33, v254
	s_waitcnt lgkmcnt(0)
	scratch_store_dwordx4 off, v[204:207], off offset:936 ; 16-byte Folded Spill
	s_and_saveexec_b64 s[2:3], vcc
	s_cbranch_execz .LBB101_307
; %bb.306:
	scratch_load_dwordx4 v[206:209], off, off offset:936 ; 16-byte Folded Reload
	s_waitcnt vmcnt(0)
	v_mul_f64 v[204:205], v[208:209], v[66:67]
	v_mul_f64 v[66:67], v[206:207], v[66:67]
	v_fma_f64 v[204:205], v[206:207], v[64:65], -v[204:205]
	v_fmac_f64_e32 v[66:67], v[208:209], v[64:65]
	ds_read2_b64 v[206:209], v253 offset0:68 offset1:69
	s_waitcnt lgkmcnt(0)
	v_mul_f64 v[64:65], v[208:209], v[66:67]
	v_fma_f64 v[64:65], v[206:207], v[204:205], -v[64:65]
	v_mul_f64 v[206:207], v[206:207], v[66:67]
	v_fmac_f64_e32 v[206:207], v[208:209], v[204:205]
	v_add_f64 v[62:63], v[62:63], -v[206:207]
	ds_read2_b64 v[206:209], v253 offset0:70 offset1:71
	v_add_f64 v[60:61], v[60:61], -v[64:65]
	s_waitcnt lgkmcnt(0)
	v_mul_f64 v[64:65], v[208:209], v[66:67]
	v_fma_f64 v[64:65], v[206:207], v[204:205], -v[64:65]
	v_mul_f64 v[206:207], v[206:207], v[66:67]
	v_fmac_f64_e32 v[206:207], v[208:209], v[204:205]
	v_add_f64 v[58:59], v[58:59], -v[206:207]
	ds_read2_b64 v[206:209], v253 offset0:72 offset1:73
	v_add_f64 v[56:57], v[56:57], -v[64:65]
	;; [unrolled: 8-line block ×16, first 2 shown]
	s_waitcnt lgkmcnt(0)
	v_mul_f64 v[64:65], v[208:209], v[66:67]
	v_fma_f64 v[64:65], v[206:207], v[204:205], -v[64:65]
	v_mul_f64 v[206:207], v[206:207], v[66:67]
	v_fmac_f64_e32 v[206:207], v[208:209], v[204:205]
	v_add_f64 v[200:201], v[200:201], -v[64:65]
	v_add_f64 v[202:203], v[202:203], -v[206:207]
	v_mov_b64_e32 v[64:65], v[204:205]
.LBB101_307:
	s_or_b64 exec, exec, s[2:3]
	v_cmp_eq_u32_e32 vcc, 34, v254
	s_waitcnt vmcnt(63) expcnt(7) lgkmcnt(15)
	s_barrier
	s_and_saveexec_b64 s[4:5], vcc
	s_cbranch_execz .LBB101_314
; %bb.308:
	ds_write2_b64 v252, v[60:61], v[62:63] offset1:1
	ds_write2_b64 v253, v[56:57], v[58:59] offset0:70 offset1:71
	ds_write2_b64 v253, v[52:53], v[54:55] offset0:72 offset1:73
	s_waitcnt vmcnt(62)
	ds_write2_b64 v253, v[48:49], v[50:51] offset0:74 offset1:75
	s_waitcnt vmcnt(61)
	;; [unrolled: 2-line block ×11, first 2 shown]
	ds_write2_b64 v253, v[8:9], v[10:11] offset0:94 offset1:95
	ds_write2_b64 v253, v[4:5], v[6:7] offset0:96 offset1:97
	;; [unrolled: 1-line block ×3, first 2 shown]
	s_waitcnt vmcnt(49)
	ds_write2_b64 v253, v[200:201], v[202:203] offset0:100 offset1:101
	ds_read2_b64 v[204:207], v252 offset1:1
	s_waitcnt lgkmcnt(0)
	v_cmp_neq_f64_e32 vcc, 0, v[204:205]
	v_cmp_neq_f64_e64 s[2:3], 0, v[206:207]
	s_or_b64 s[2:3], vcc, s[2:3]
	s_and_b64 exec, exec, s[2:3]
	s_cbranch_execz .LBB101_314
; %bb.309:
	v_cmp_ngt_f64_e64 s[2:3], |v[204:205]|, |v[206:207]|
                                        ; implicit-def: $vgpr208_vgpr209
	s_and_saveexec_b64 s[10:11], s[2:3]
	s_xor_b64 s[2:3], exec, s[10:11]
                                        ; implicit-def: $vgpr210_vgpr211
	s_cbranch_execz .LBB101_311
; %bb.310:
	v_div_scale_f64 v[208:209], s[10:11], v[206:207], v[206:207], v[204:205]
	v_rcp_f64_e32 v[210:211], v[208:209]
	v_div_scale_f64 v[212:213], vcc, v[204:205], v[206:207], v[204:205]
	v_fma_f64 v[214:215], -v[208:209], v[210:211], 1.0
	v_fmac_f64_e32 v[210:211], v[210:211], v[214:215]
	v_fma_f64 v[214:215], -v[208:209], v[210:211], 1.0
	v_fmac_f64_e32 v[210:211], v[210:211], v[214:215]
	v_mul_f64 v[214:215], v[212:213], v[210:211]
	v_fma_f64 v[208:209], -v[208:209], v[214:215], v[212:213]
	v_div_fmas_f64 v[208:209], v[208:209], v[210:211], v[214:215]
	v_div_fixup_f64 v[208:209], v[208:209], v[206:207], v[204:205]
	v_fmac_f64_e32 v[206:207], v[204:205], v[208:209]
	v_div_scale_f64 v[204:205], s[10:11], v[206:207], v[206:207], 1.0
	v_rcp_f64_e32 v[210:211], v[204:205]
	s_nop 0
	v_fma_f64 v[212:213], -v[204:205], v[210:211], 1.0
	v_fmac_f64_e32 v[210:211], v[210:211], v[212:213]
	v_fma_f64 v[212:213], -v[204:205], v[210:211], 1.0
	v_fmac_f64_e32 v[210:211], v[210:211], v[212:213]
	v_div_scale_f64 v[212:213], vcc, 1.0, v[206:207], 1.0
	v_mul_f64 v[214:215], v[212:213], v[210:211]
	v_fma_f64 v[204:205], -v[204:205], v[214:215], v[212:213]
	s_nop 1
	v_div_fmas_f64 v[204:205], v[204:205], v[210:211], v[214:215]
	v_div_fixup_f64 v[210:211], v[204:205], v[206:207], 1.0
	v_mul_f64 v[208:209], v[208:209], v[210:211]
	v_xor_b32_e32 v211, 0x80000000, v211
                                        ; implicit-def: $vgpr204_vgpr205
.LBB101_311:
	s_andn2_saveexec_b64 s[2:3], s[2:3]
	s_cbranch_execz .LBB101_313
; %bb.312:
	v_div_scale_f64 v[208:209], s[10:11], v[204:205], v[204:205], v[206:207]
	v_rcp_f64_e32 v[210:211], v[208:209]
	v_div_scale_f64 v[212:213], vcc, v[206:207], v[204:205], v[206:207]
	v_fma_f64 v[214:215], -v[208:209], v[210:211], 1.0
	v_fmac_f64_e32 v[210:211], v[210:211], v[214:215]
	v_fma_f64 v[214:215], -v[208:209], v[210:211], 1.0
	v_fmac_f64_e32 v[210:211], v[210:211], v[214:215]
	v_mul_f64 v[214:215], v[212:213], v[210:211]
	v_fma_f64 v[208:209], -v[208:209], v[214:215], v[212:213]
	v_div_fmas_f64 v[208:209], v[208:209], v[210:211], v[214:215]
	v_div_fixup_f64 v[210:211], v[208:209], v[204:205], v[206:207]
	v_fmac_f64_e32 v[204:205], v[206:207], v[210:211]
	v_div_scale_f64 v[206:207], s[10:11], v[204:205], v[204:205], 1.0
	v_rcp_f64_e32 v[208:209], v[206:207]
	s_nop 0
	v_fma_f64 v[212:213], -v[206:207], v[208:209], 1.0
	v_fmac_f64_e32 v[208:209], v[208:209], v[212:213]
	v_fma_f64 v[212:213], -v[206:207], v[208:209], 1.0
	v_fmac_f64_e32 v[208:209], v[208:209], v[212:213]
	v_div_scale_f64 v[212:213], vcc, 1.0, v[204:205], 1.0
	v_mul_f64 v[214:215], v[212:213], v[208:209]
	v_fma_f64 v[206:207], -v[206:207], v[214:215], v[212:213]
	s_nop 1
	v_div_fmas_f64 v[206:207], v[206:207], v[208:209], v[214:215]
	v_div_fixup_f64 v[208:209], v[206:207], v[204:205], 1.0
	v_mul_f64 v[210:211], v[210:211], -v[208:209]
.LBB101_313:
	s_or_b64 exec, exec, s[2:3]
	ds_write2_b64 v252, v[208:209], v[210:211] offset1:1
.LBB101_314:
	s_or_b64 exec, exec, s[4:5]
	s_waitcnt lgkmcnt(0)
	s_barrier
	ds_read2_b64 v[204:207], v252 offset1:1
	v_cmp_lt_u32_e32 vcc, 34, v254
	s_waitcnt lgkmcnt(0)
	scratch_store_dwordx4 off, v[204:207], off offset:952 ; 16-byte Folded Spill
	s_and_saveexec_b64 s[2:3], vcc
	s_cbranch_execz .LBB101_316
; %bb.315:
	scratch_load_dwordx4 v[206:209], off, off offset:952 ; 16-byte Folded Reload
	s_waitcnt vmcnt(0)
	v_mul_f64 v[204:205], v[206:207], v[62:63]
	v_mul_f64 v[62:63], v[208:209], v[62:63]
	v_fmac_f64_e32 v[204:205], v[208:209], v[60:61]
	v_fma_f64 v[60:61], v[206:207], v[60:61], -v[62:63]
	ds_read2_b64 v[206:209], v253 offset0:70 offset1:71
	s_waitcnt lgkmcnt(0)
	v_mul_f64 v[62:63], v[208:209], v[204:205]
	v_fma_f64 v[62:63], v[206:207], v[60:61], -v[62:63]
	v_mul_f64 v[206:207], v[206:207], v[204:205]
	v_fmac_f64_e32 v[206:207], v[208:209], v[60:61]
	v_add_f64 v[58:59], v[58:59], -v[206:207]
	ds_read2_b64 v[206:209], v253 offset0:72 offset1:73
	v_add_f64 v[56:57], v[56:57], -v[62:63]
	s_waitcnt lgkmcnt(0)
	v_mul_f64 v[62:63], v[208:209], v[204:205]
	v_fma_f64 v[62:63], v[206:207], v[60:61], -v[62:63]
	v_mul_f64 v[206:207], v[206:207], v[204:205]
	v_fmac_f64_e32 v[206:207], v[208:209], v[60:61]
	v_add_f64 v[54:55], v[54:55], -v[206:207]
	ds_read2_b64 v[206:209], v253 offset0:74 offset1:75
	v_add_f64 v[52:53], v[52:53], -v[62:63]
	;; [unrolled: 8-line block ×15, first 2 shown]
	s_waitcnt lgkmcnt(0)
	v_mul_f64 v[62:63], v[208:209], v[204:205]
	v_fma_f64 v[62:63], v[206:207], v[60:61], -v[62:63]
	v_mul_f64 v[206:207], v[206:207], v[204:205]
	v_fmac_f64_e32 v[206:207], v[208:209], v[60:61]
	v_add_f64 v[200:201], v[200:201], -v[62:63]
	v_add_f64 v[202:203], v[202:203], -v[206:207]
	v_mov_b64_e32 v[62:63], v[204:205]
.LBB101_316:
	s_or_b64 exec, exec, s[2:3]
	v_cmp_eq_u32_e32 vcc, 35, v254
	s_waitcnt vmcnt(63) expcnt(7) lgkmcnt(15)
	s_barrier
	s_and_saveexec_b64 s[4:5], vcc
	s_cbranch_execz .LBB101_323
; %bb.317:
	ds_write2_b64 v252, v[56:57], v[58:59] offset1:1
	ds_write2_b64 v253, v[52:53], v[54:55] offset0:72 offset1:73
	ds_write2_b64 v253, v[48:49], v[50:51] offset0:74 offset1:75
	s_waitcnt vmcnt(62)
	ds_write2_b64 v253, v[44:45], v[46:47] offset0:76 offset1:77
	s_waitcnt vmcnt(61)
	;; [unrolled: 2-line block ×10, first 2 shown]
	ds_write2_b64 v253, v[8:9], v[10:11] offset0:94 offset1:95
	ds_write2_b64 v253, v[4:5], v[6:7] offset0:96 offset1:97
	;; [unrolled: 1-line block ×3, first 2 shown]
	s_waitcnt vmcnt(50)
	ds_write2_b64 v253, v[200:201], v[202:203] offset0:100 offset1:101
	ds_read2_b64 v[204:207], v252 offset1:1
	s_waitcnt lgkmcnt(0)
	v_cmp_neq_f64_e32 vcc, 0, v[204:205]
	v_cmp_neq_f64_e64 s[2:3], 0, v[206:207]
	s_or_b64 s[2:3], vcc, s[2:3]
	s_and_b64 exec, exec, s[2:3]
	s_cbranch_execz .LBB101_323
; %bb.318:
	v_cmp_ngt_f64_e64 s[2:3], |v[204:205]|, |v[206:207]|
                                        ; implicit-def: $vgpr208_vgpr209
	s_and_saveexec_b64 s[10:11], s[2:3]
	s_xor_b64 s[2:3], exec, s[10:11]
                                        ; implicit-def: $vgpr210_vgpr211
	s_cbranch_execz .LBB101_320
; %bb.319:
	v_div_scale_f64 v[208:209], s[10:11], v[206:207], v[206:207], v[204:205]
	v_rcp_f64_e32 v[210:211], v[208:209]
	v_div_scale_f64 v[212:213], vcc, v[204:205], v[206:207], v[204:205]
	v_fma_f64 v[214:215], -v[208:209], v[210:211], 1.0
	v_fmac_f64_e32 v[210:211], v[210:211], v[214:215]
	v_fma_f64 v[214:215], -v[208:209], v[210:211], 1.0
	v_fmac_f64_e32 v[210:211], v[210:211], v[214:215]
	v_mul_f64 v[214:215], v[212:213], v[210:211]
	v_fma_f64 v[208:209], -v[208:209], v[214:215], v[212:213]
	v_div_fmas_f64 v[208:209], v[208:209], v[210:211], v[214:215]
	v_div_fixup_f64 v[208:209], v[208:209], v[206:207], v[204:205]
	v_fmac_f64_e32 v[206:207], v[204:205], v[208:209]
	v_div_scale_f64 v[204:205], s[10:11], v[206:207], v[206:207], 1.0
	v_rcp_f64_e32 v[210:211], v[204:205]
	s_nop 0
	v_fma_f64 v[212:213], -v[204:205], v[210:211], 1.0
	v_fmac_f64_e32 v[210:211], v[210:211], v[212:213]
	v_fma_f64 v[212:213], -v[204:205], v[210:211], 1.0
	v_fmac_f64_e32 v[210:211], v[210:211], v[212:213]
	v_div_scale_f64 v[212:213], vcc, 1.0, v[206:207], 1.0
	v_mul_f64 v[214:215], v[212:213], v[210:211]
	v_fma_f64 v[204:205], -v[204:205], v[214:215], v[212:213]
	s_nop 1
	v_div_fmas_f64 v[204:205], v[204:205], v[210:211], v[214:215]
	v_div_fixup_f64 v[210:211], v[204:205], v[206:207], 1.0
	v_mul_f64 v[208:209], v[208:209], v[210:211]
	v_xor_b32_e32 v211, 0x80000000, v211
                                        ; implicit-def: $vgpr204_vgpr205
.LBB101_320:
	s_andn2_saveexec_b64 s[2:3], s[2:3]
	s_cbranch_execz .LBB101_322
; %bb.321:
	v_div_scale_f64 v[208:209], s[10:11], v[204:205], v[204:205], v[206:207]
	v_rcp_f64_e32 v[210:211], v[208:209]
	v_div_scale_f64 v[212:213], vcc, v[206:207], v[204:205], v[206:207]
	v_fma_f64 v[214:215], -v[208:209], v[210:211], 1.0
	v_fmac_f64_e32 v[210:211], v[210:211], v[214:215]
	v_fma_f64 v[214:215], -v[208:209], v[210:211], 1.0
	v_fmac_f64_e32 v[210:211], v[210:211], v[214:215]
	v_mul_f64 v[214:215], v[212:213], v[210:211]
	v_fma_f64 v[208:209], -v[208:209], v[214:215], v[212:213]
	v_div_fmas_f64 v[208:209], v[208:209], v[210:211], v[214:215]
	v_div_fixup_f64 v[210:211], v[208:209], v[204:205], v[206:207]
	v_fmac_f64_e32 v[204:205], v[206:207], v[210:211]
	v_div_scale_f64 v[206:207], s[10:11], v[204:205], v[204:205], 1.0
	v_rcp_f64_e32 v[208:209], v[206:207]
	s_nop 0
	v_fma_f64 v[212:213], -v[206:207], v[208:209], 1.0
	v_fmac_f64_e32 v[208:209], v[208:209], v[212:213]
	v_fma_f64 v[212:213], -v[206:207], v[208:209], 1.0
	v_fmac_f64_e32 v[208:209], v[208:209], v[212:213]
	v_div_scale_f64 v[212:213], vcc, 1.0, v[204:205], 1.0
	v_mul_f64 v[214:215], v[212:213], v[208:209]
	v_fma_f64 v[206:207], -v[206:207], v[214:215], v[212:213]
	s_nop 1
	v_div_fmas_f64 v[206:207], v[206:207], v[208:209], v[214:215]
	v_div_fixup_f64 v[208:209], v[206:207], v[204:205], 1.0
	v_mul_f64 v[210:211], v[210:211], -v[208:209]
.LBB101_322:
	s_or_b64 exec, exec, s[2:3]
	ds_write2_b64 v252, v[208:209], v[210:211] offset1:1
.LBB101_323:
	s_or_b64 exec, exec, s[4:5]
	s_waitcnt lgkmcnt(0)
	s_barrier
	ds_read2_b64 v[204:207], v252 offset1:1
	v_cmp_lt_u32_e32 vcc, 35, v254
	s_waitcnt lgkmcnt(0)
	scratch_store_dwordx4 off, v[204:207], off offset:968 ; 16-byte Folded Spill
	s_and_saveexec_b64 s[2:3], vcc
	s_cbranch_execz .LBB101_325
; %bb.324:
	scratch_load_dwordx4 v[206:209], off, off offset:968 ; 16-byte Folded Reload
	s_waitcnt vmcnt(0)
	v_mul_f64 v[204:205], v[206:207], v[58:59]
	v_mul_f64 v[58:59], v[208:209], v[58:59]
	v_fmac_f64_e32 v[204:205], v[208:209], v[56:57]
	v_fma_f64 v[56:57], v[206:207], v[56:57], -v[58:59]
	ds_read2_b64 v[206:209], v253 offset0:72 offset1:73
	s_waitcnt lgkmcnt(0)
	v_mul_f64 v[58:59], v[208:209], v[204:205]
	v_fma_f64 v[58:59], v[206:207], v[56:57], -v[58:59]
	v_mul_f64 v[206:207], v[206:207], v[204:205]
	v_fmac_f64_e32 v[206:207], v[208:209], v[56:57]
	v_add_f64 v[54:55], v[54:55], -v[206:207]
	ds_read2_b64 v[206:209], v253 offset0:74 offset1:75
	v_add_f64 v[52:53], v[52:53], -v[58:59]
	s_waitcnt lgkmcnt(0)
	v_mul_f64 v[58:59], v[208:209], v[204:205]
	v_fma_f64 v[58:59], v[206:207], v[56:57], -v[58:59]
	v_mul_f64 v[206:207], v[206:207], v[204:205]
	v_fmac_f64_e32 v[206:207], v[208:209], v[56:57]
	v_add_f64 v[50:51], v[50:51], -v[206:207]
	ds_read2_b64 v[206:209], v253 offset0:76 offset1:77
	v_add_f64 v[48:49], v[48:49], -v[58:59]
	s_waitcnt lgkmcnt(0)
	v_mul_f64 v[58:59], v[208:209], v[204:205]
	v_fma_f64 v[58:59], v[206:207], v[56:57], -v[58:59]
	v_mul_f64 v[206:207], v[206:207], v[204:205]
	v_fmac_f64_e32 v[206:207], v[208:209], v[56:57]
	v_add_f64 v[46:47], v[46:47], -v[206:207]
	ds_read2_b64 v[206:209], v253 offset0:78 offset1:79
	v_add_f64 v[44:45], v[44:45], -v[58:59]
	s_waitcnt lgkmcnt(0)
	v_mul_f64 v[58:59], v[208:209], v[204:205]
	v_fma_f64 v[58:59], v[206:207], v[56:57], -v[58:59]
	v_mul_f64 v[206:207], v[206:207], v[204:205]
	v_fmac_f64_e32 v[206:207], v[208:209], v[56:57]
	v_add_f64 v[42:43], v[42:43], -v[206:207]
	ds_read2_b64 v[206:209], v253 offset0:80 offset1:81
	v_add_f64 v[40:41], v[40:41], -v[58:59]
	s_waitcnt lgkmcnt(0)
	v_mul_f64 v[58:59], v[208:209], v[204:205]
	v_fma_f64 v[58:59], v[206:207], v[56:57], -v[58:59]
	v_mul_f64 v[206:207], v[206:207], v[204:205]
	v_fmac_f64_e32 v[206:207], v[208:209], v[56:57]
	v_add_f64 v[38:39], v[38:39], -v[206:207]
	ds_read2_b64 v[206:209], v253 offset0:82 offset1:83
	v_add_f64 v[36:37], v[36:37], -v[58:59]
	s_waitcnt lgkmcnt(0)
	v_mul_f64 v[58:59], v[208:209], v[204:205]
	v_fma_f64 v[58:59], v[206:207], v[56:57], -v[58:59]
	v_mul_f64 v[206:207], v[206:207], v[204:205]
	v_fmac_f64_e32 v[206:207], v[208:209], v[56:57]
	v_add_f64 v[34:35], v[34:35], -v[206:207]
	ds_read2_b64 v[206:209], v253 offset0:84 offset1:85
	v_add_f64 v[32:33], v[32:33], -v[58:59]
	s_waitcnt lgkmcnt(0)
	v_mul_f64 v[58:59], v[208:209], v[204:205]
	v_fma_f64 v[58:59], v[206:207], v[56:57], -v[58:59]
	v_mul_f64 v[206:207], v[206:207], v[204:205]
	v_fmac_f64_e32 v[206:207], v[208:209], v[56:57]
	v_add_f64 v[30:31], v[30:31], -v[206:207]
	ds_read2_b64 v[206:209], v253 offset0:86 offset1:87
	v_add_f64 v[28:29], v[28:29], -v[58:59]
	s_waitcnt lgkmcnt(0)
	v_mul_f64 v[58:59], v[208:209], v[204:205]
	v_fma_f64 v[58:59], v[206:207], v[56:57], -v[58:59]
	v_mul_f64 v[206:207], v[206:207], v[204:205]
	v_fmac_f64_e32 v[206:207], v[208:209], v[56:57]
	v_add_f64 v[26:27], v[26:27], -v[206:207]
	ds_read2_b64 v[206:209], v253 offset0:88 offset1:89
	v_add_f64 v[24:25], v[24:25], -v[58:59]
	s_waitcnt lgkmcnt(0)
	v_mul_f64 v[58:59], v[208:209], v[204:205]
	v_fma_f64 v[58:59], v[206:207], v[56:57], -v[58:59]
	v_mul_f64 v[206:207], v[206:207], v[204:205]
	v_fmac_f64_e32 v[206:207], v[208:209], v[56:57]
	v_add_f64 v[22:23], v[22:23], -v[206:207]
	ds_read2_b64 v[206:209], v253 offset0:90 offset1:91
	v_add_f64 v[20:21], v[20:21], -v[58:59]
	s_waitcnt lgkmcnt(0)
	v_mul_f64 v[58:59], v[208:209], v[204:205]
	v_fma_f64 v[58:59], v[206:207], v[56:57], -v[58:59]
	v_mul_f64 v[206:207], v[206:207], v[204:205]
	v_fmac_f64_e32 v[206:207], v[208:209], v[56:57]
	v_add_f64 v[18:19], v[18:19], -v[206:207]
	ds_read2_b64 v[206:209], v253 offset0:92 offset1:93
	v_add_f64 v[16:17], v[16:17], -v[58:59]
	s_waitcnt lgkmcnt(0)
	v_mul_f64 v[58:59], v[208:209], v[204:205]
	v_fma_f64 v[58:59], v[206:207], v[56:57], -v[58:59]
	v_mul_f64 v[206:207], v[206:207], v[204:205]
	v_fmac_f64_e32 v[206:207], v[208:209], v[56:57]
	v_add_f64 v[14:15], v[14:15], -v[206:207]
	ds_read2_b64 v[206:209], v253 offset0:94 offset1:95
	v_add_f64 v[12:13], v[12:13], -v[58:59]
	s_waitcnt lgkmcnt(0)
	v_mul_f64 v[58:59], v[208:209], v[204:205]
	v_fma_f64 v[58:59], v[206:207], v[56:57], -v[58:59]
	v_mul_f64 v[206:207], v[206:207], v[204:205]
	v_fmac_f64_e32 v[206:207], v[208:209], v[56:57]
	v_add_f64 v[10:11], v[10:11], -v[206:207]
	ds_read2_b64 v[206:209], v253 offset0:96 offset1:97
	v_add_f64 v[8:9], v[8:9], -v[58:59]
	s_waitcnt lgkmcnt(0)
	v_mul_f64 v[58:59], v[208:209], v[204:205]
	v_fma_f64 v[58:59], v[206:207], v[56:57], -v[58:59]
	v_mul_f64 v[206:207], v[206:207], v[204:205]
	v_fmac_f64_e32 v[206:207], v[208:209], v[56:57]
	v_add_f64 v[6:7], v[6:7], -v[206:207]
	ds_read2_b64 v[206:209], v253 offset0:98 offset1:99
	v_add_f64 v[4:5], v[4:5], -v[58:59]
	s_waitcnt lgkmcnt(0)
	v_mul_f64 v[58:59], v[208:209], v[204:205]
	v_fma_f64 v[58:59], v[206:207], v[56:57], -v[58:59]
	v_mul_f64 v[206:207], v[206:207], v[204:205]
	v_fmac_f64_e32 v[206:207], v[208:209], v[56:57]
	v_add_f64 v[2:3], v[2:3], -v[206:207]
	ds_read2_b64 v[206:209], v253 offset0:100 offset1:101
	v_add_f64 v[0:1], v[0:1], -v[58:59]
	s_waitcnt lgkmcnt(0)
	v_mul_f64 v[58:59], v[208:209], v[204:205]
	v_fma_f64 v[58:59], v[206:207], v[56:57], -v[58:59]
	v_mul_f64 v[206:207], v[206:207], v[204:205]
	v_fmac_f64_e32 v[206:207], v[208:209], v[56:57]
	v_add_f64 v[200:201], v[200:201], -v[58:59]
	v_add_f64 v[202:203], v[202:203], -v[206:207]
	v_mov_b64_e32 v[58:59], v[204:205]
.LBB101_325:
	s_or_b64 exec, exec, s[2:3]
	v_cmp_eq_u32_e32 vcc, 36, v254
	s_waitcnt vmcnt(63) expcnt(7) lgkmcnt(15)
	s_barrier
	s_and_saveexec_b64 s[4:5], vcc
	s_cbranch_execz .LBB101_332
; %bb.326:
	ds_write2_b64 v252, v[52:53], v[54:55] offset1:1
	ds_write2_b64 v253, v[48:49], v[50:51] offset0:74 offset1:75
	ds_write2_b64 v253, v[44:45], v[46:47] offset0:76 offset1:77
	s_waitcnt vmcnt(62)
	ds_write2_b64 v253, v[40:41], v[42:43] offset0:78 offset1:79
	s_waitcnt vmcnt(61)
	;; [unrolled: 2-line block ×9, first 2 shown]
	ds_write2_b64 v253, v[8:9], v[10:11] offset0:94 offset1:95
	ds_write2_b64 v253, v[4:5], v[6:7] offset0:96 offset1:97
	;; [unrolled: 1-line block ×3, first 2 shown]
	s_waitcnt vmcnt(51)
	ds_write2_b64 v253, v[200:201], v[202:203] offset0:100 offset1:101
	ds_read2_b64 v[204:207], v252 offset1:1
	s_waitcnt lgkmcnt(0)
	v_cmp_neq_f64_e32 vcc, 0, v[204:205]
	v_cmp_neq_f64_e64 s[2:3], 0, v[206:207]
	s_or_b64 s[2:3], vcc, s[2:3]
	s_and_b64 exec, exec, s[2:3]
	s_cbranch_execz .LBB101_332
; %bb.327:
	v_cmp_ngt_f64_e64 s[2:3], |v[204:205]|, |v[206:207]|
                                        ; implicit-def: $vgpr208_vgpr209
	s_and_saveexec_b64 s[10:11], s[2:3]
	s_xor_b64 s[2:3], exec, s[10:11]
                                        ; implicit-def: $vgpr210_vgpr211
	s_cbranch_execz .LBB101_329
; %bb.328:
	v_div_scale_f64 v[208:209], s[10:11], v[206:207], v[206:207], v[204:205]
	v_rcp_f64_e32 v[210:211], v[208:209]
	v_div_scale_f64 v[212:213], vcc, v[204:205], v[206:207], v[204:205]
	v_fma_f64 v[214:215], -v[208:209], v[210:211], 1.0
	v_fmac_f64_e32 v[210:211], v[210:211], v[214:215]
	v_fma_f64 v[214:215], -v[208:209], v[210:211], 1.0
	v_fmac_f64_e32 v[210:211], v[210:211], v[214:215]
	v_mul_f64 v[214:215], v[212:213], v[210:211]
	v_fma_f64 v[208:209], -v[208:209], v[214:215], v[212:213]
	v_div_fmas_f64 v[208:209], v[208:209], v[210:211], v[214:215]
	v_div_fixup_f64 v[208:209], v[208:209], v[206:207], v[204:205]
	v_fmac_f64_e32 v[206:207], v[204:205], v[208:209]
	v_div_scale_f64 v[204:205], s[10:11], v[206:207], v[206:207], 1.0
	v_rcp_f64_e32 v[210:211], v[204:205]
	s_nop 0
	v_fma_f64 v[212:213], -v[204:205], v[210:211], 1.0
	v_fmac_f64_e32 v[210:211], v[210:211], v[212:213]
	v_fma_f64 v[212:213], -v[204:205], v[210:211], 1.0
	v_fmac_f64_e32 v[210:211], v[210:211], v[212:213]
	v_div_scale_f64 v[212:213], vcc, 1.0, v[206:207], 1.0
	v_mul_f64 v[214:215], v[212:213], v[210:211]
	v_fma_f64 v[204:205], -v[204:205], v[214:215], v[212:213]
	s_nop 1
	v_div_fmas_f64 v[204:205], v[204:205], v[210:211], v[214:215]
	v_div_fixup_f64 v[210:211], v[204:205], v[206:207], 1.0
	v_mul_f64 v[208:209], v[208:209], v[210:211]
	v_xor_b32_e32 v211, 0x80000000, v211
                                        ; implicit-def: $vgpr204_vgpr205
.LBB101_329:
	s_andn2_saveexec_b64 s[2:3], s[2:3]
	s_cbranch_execz .LBB101_331
; %bb.330:
	v_div_scale_f64 v[208:209], s[10:11], v[204:205], v[204:205], v[206:207]
	v_rcp_f64_e32 v[210:211], v[208:209]
	v_div_scale_f64 v[212:213], vcc, v[206:207], v[204:205], v[206:207]
	v_fma_f64 v[214:215], -v[208:209], v[210:211], 1.0
	v_fmac_f64_e32 v[210:211], v[210:211], v[214:215]
	v_fma_f64 v[214:215], -v[208:209], v[210:211], 1.0
	v_fmac_f64_e32 v[210:211], v[210:211], v[214:215]
	v_mul_f64 v[214:215], v[212:213], v[210:211]
	v_fma_f64 v[208:209], -v[208:209], v[214:215], v[212:213]
	v_div_fmas_f64 v[208:209], v[208:209], v[210:211], v[214:215]
	v_div_fixup_f64 v[210:211], v[208:209], v[204:205], v[206:207]
	v_fmac_f64_e32 v[204:205], v[206:207], v[210:211]
	v_div_scale_f64 v[206:207], s[10:11], v[204:205], v[204:205], 1.0
	v_rcp_f64_e32 v[208:209], v[206:207]
	s_nop 0
	v_fma_f64 v[212:213], -v[206:207], v[208:209], 1.0
	v_fmac_f64_e32 v[208:209], v[208:209], v[212:213]
	v_fma_f64 v[212:213], -v[206:207], v[208:209], 1.0
	v_fmac_f64_e32 v[208:209], v[208:209], v[212:213]
	v_div_scale_f64 v[212:213], vcc, 1.0, v[204:205], 1.0
	v_mul_f64 v[214:215], v[212:213], v[208:209]
	v_fma_f64 v[206:207], -v[206:207], v[214:215], v[212:213]
	s_nop 1
	v_div_fmas_f64 v[206:207], v[206:207], v[208:209], v[214:215]
	v_div_fixup_f64 v[208:209], v[206:207], v[204:205], 1.0
	v_mul_f64 v[210:211], v[210:211], -v[208:209]
.LBB101_331:
	s_or_b64 exec, exec, s[2:3]
	ds_write2_b64 v252, v[208:209], v[210:211] offset1:1
.LBB101_332:
	s_or_b64 exec, exec, s[4:5]
	s_waitcnt lgkmcnt(0)
	s_barrier
	ds_read2_b64 v[204:207], v252 offset1:1
	v_cmp_lt_u32_e32 vcc, 36, v254
	s_waitcnt lgkmcnt(0)
	scratch_store_dwordx4 off, v[204:207], off offset:984 ; 16-byte Folded Spill
	s_and_saveexec_b64 s[2:3], vcc
	s_cbranch_execz .LBB101_334
; %bb.333:
	scratch_load_dwordx4 v[206:209], off, off offset:984 ; 16-byte Folded Reload
	s_waitcnt vmcnt(0)
	v_mul_f64 v[204:205], v[206:207], v[54:55]
	v_mul_f64 v[54:55], v[208:209], v[54:55]
	v_fmac_f64_e32 v[204:205], v[208:209], v[52:53]
	v_fma_f64 v[52:53], v[206:207], v[52:53], -v[54:55]
	ds_read2_b64 v[206:209], v253 offset0:74 offset1:75
	s_waitcnt lgkmcnt(0)
	v_mul_f64 v[54:55], v[208:209], v[204:205]
	v_fma_f64 v[54:55], v[206:207], v[52:53], -v[54:55]
	v_mul_f64 v[206:207], v[206:207], v[204:205]
	v_fmac_f64_e32 v[206:207], v[208:209], v[52:53]
	v_add_f64 v[50:51], v[50:51], -v[206:207]
	ds_read2_b64 v[206:209], v253 offset0:76 offset1:77
	v_add_f64 v[48:49], v[48:49], -v[54:55]
	s_waitcnt lgkmcnt(0)
	v_mul_f64 v[54:55], v[208:209], v[204:205]
	v_fma_f64 v[54:55], v[206:207], v[52:53], -v[54:55]
	v_mul_f64 v[206:207], v[206:207], v[204:205]
	v_fmac_f64_e32 v[206:207], v[208:209], v[52:53]
	v_add_f64 v[46:47], v[46:47], -v[206:207]
	ds_read2_b64 v[206:209], v253 offset0:78 offset1:79
	v_add_f64 v[44:45], v[44:45], -v[54:55]
	;; [unrolled: 8-line block ×13, first 2 shown]
	s_waitcnt lgkmcnt(0)
	v_mul_f64 v[54:55], v[208:209], v[204:205]
	v_fma_f64 v[54:55], v[206:207], v[52:53], -v[54:55]
	v_mul_f64 v[206:207], v[206:207], v[204:205]
	v_fmac_f64_e32 v[206:207], v[208:209], v[52:53]
	v_add_f64 v[200:201], v[200:201], -v[54:55]
	v_add_f64 v[202:203], v[202:203], -v[206:207]
	v_mov_b64_e32 v[54:55], v[204:205]
.LBB101_334:
	s_or_b64 exec, exec, s[2:3]
	v_cmp_eq_u32_e32 vcc, 37, v254
	s_waitcnt vmcnt(63) expcnt(7) lgkmcnt(15)
	s_barrier
	s_and_saveexec_b64 s[4:5], vcc
	s_cbranch_execz .LBB101_341
; %bb.335:
	ds_write2_b64 v252, v[48:49], v[50:51] offset1:1
	ds_write2_b64 v253, v[44:45], v[46:47] offset0:76 offset1:77
	ds_write2_b64 v253, v[40:41], v[42:43] offset0:78 offset1:79
	s_waitcnt vmcnt(62)
	ds_write2_b64 v253, v[36:37], v[38:39] offset0:80 offset1:81
	s_waitcnt vmcnt(61)
	;; [unrolled: 2-line block ×8, first 2 shown]
	ds_write2_b64 v253, v[8:9], v[10:11] offset0:94 offset1:95
	ds_write2_b64 v253, v[4:5], v[6:7] offset0:96 offset1:97
	;; [unrolled: 1-line block ×3, first 2 shown]
	s_waitcnt vmcnt(52)
	ds_write2_b64 v253, v[200:201], v[202:203] offset0:100 offset1:101
	ds_read2_b64 v[204:207], v252 offset1:1
	s_waitcnt lgkmcnt(0)
	v_cmp_neq_f64_e32 vcc, 0, v[204:205]
	v_cmp_neq_f64_e64 s[2:3], 0, v[206:207]
	s_or_b64 s[2:3], vcc, s[2:3]
	s_and_b64 exec, exec, s[2:3]
	s_cbranch_execz .LBB101_341
; %bb.336:
	v_cmp_ngt_f64_e64 s[2:3], |v[204:205]|, |v[206:207]|
                                        ; implicit-def: $vgpr208_vgpr209
	s_and_saveexec_b64 s[10:11], s[2:3]
	s_xor_b64 s[2:3], exec, s[10:11]
                                        ; implicit-def: $vgpr210_vgpr211
	s_cbranch_execz .LBB101_338
; %bb.337:
	v_div_scale_f64 v[208:209], s[10:11], v[206:207], v[206:207], v[204:205]
	v_rcp_f64_e32 v[210:211], v[208:209]
	v_div_scale_f64 v[212:213], vcc, v[204:205], v[206:207], v[204:205]
	v_fma_f64 v[214:215], -v[208:209], v[210:211], 1.0
	v_fmac_f64_e32 v[210:211], v[210:211], v[214:215]
	v_fma_f64 v[214:215], -v[208:209], v[210:211], 1.0
	v_fmac_f64_e32 v[210:211], v[210:211], v[214:215]
	v_mul_f64 v[214:215], v[212:213], v[210:211]
	v_fma_f64 v[208:209], -v[208:209], v[214:215], v[212:213]
	v_div_fmas_f64 v[208:209], v[208:209], v[210:211], v[214:215]
	v_div_fixup_f64 v[208:209], v[208:209], v[206:207], v[204:205]
	v_fmac_f64_e32 v[206:207], v[204:205], v[208:209]
	v_div_scale_f64 v[204:205], s[10:11], v[206:207], v[206:207], 1.0
	v_rcp_f64_e32 v[210:211], v[204:205]
	s_nop 0
	v_fma_f64 v[212:213], -v[204:205], v[210:211], 1.0
	v_fmac_f64_e32 v[210:211], v[210:211], v[212:213]
	v_fma_f64 v[212:213], -v[204:205], v[210:211], 1.0
	v_fmac_f64_e32 v[210:211], v[210:211], v[212:213]
	v_div_scale_f64 v[212:213], vcc, 1.0, v[206:207], 1.0
	v_mul_f64 v[214:215], v[212:213], v[210:211]
	v_fma_f64 v[204:205], -v[204:205], v[214:215], v[212:213]
	s_nop 1
	v_div_fmas_f64 v[204:205], v[204:205], v[210:211], v[214:215]
	v_div_fixup_f64 v[210:211], v[204:205], v[206:207], 1.0
	v_mul_f64 v[208:209], v[208:209], v[210:211]
	v_xor_b32_e32 v211, 0x80000000, v211
                                        ; implicit-def: $vgpr204_vgpr205
.LBB101_338:
	s_andn2_saveexec_b64 s[2:3], s[2:3]
	s_cbranch_execz .LBB101_340
; %bb.339:
	v_div_scale_f64 v[208:209], s[10:11], v[204:205], v[204:205], v[206:207]
	v_rcp_f64_e32 v[210:211], v[208:209]
	v_div_scale_f64 v[212:213], vcc, v[206:207], v[204:205], v[206:207]
	v_fma_f64 v[214:215], -v[208:209], v[210:211], 1.0
	v_fmac_f64_e32 v[210:211], v[210:211], v[214:215]
	v_fma_f64 v[214:215], -v[208:209], v[210:211], 1.0
	v_fmac_f64_e32 v[210:211], v[210:211], v[214:215]
	v_mul_f64 v[214:215], v[212:213], v[210:211]
	v_fma_f64 v[208:209], -v[208:209], v[214:215], v[212:213]
	v_div_fmas_f64 v[208:209], v[208:209], v[210:211], v[214:215]
	v_div_fixup_f64 v[210:211], v[208:209], v[204:205], v[206:207]
	v_fmac_f64_e32 v[204:205], v[206:207], v[210:211]
	v_div_scale_f64 v[206:207], s[10:11], v[204:205], v[204:205], 1.0
	v_rcp_f64_e32 v[208:209], v[206:207]
	s_nop 0
	v_fma_f64 v[212:213], -v[206:207], v[208:209], 1.0
	v_fmac_f64_e32 v[208:209], v[208:209], v[212:213]
	v_fma_f64 v[212:213], -v[206:207], v[208:209], 1.0
	v_fmac_f64_e32 v[208:209], v[208:209], v[212:213]
	v_div_scale_f64 v[212:213], vcc, 1.0, v[204:205], 1.0
	v_mul_f64 v[214:215], v[212:213], v[208:209]
	v_fma_f64 v[206:207], -v[206:207], v[214:215], v[212:213]
	s_nop 1
	v_div_fmas_f64 v[206:207], v[206:207], v[208:209], v[214:215]
	v_div_fixup_f64 v[208:209], v[206:207], v[204:205], 1.0
	v_mul_f64 v[210:211], v[210:211], -v[208:209]
.LBB101_340:
	s_or_b64 exec, exec, s[2:3]
	ds_write2_b64 v252, v[208:209], v[210:211] offset1:1
.LBB101_341:
	s_or_b64 exec, exec, s[4:5]
	s_waitcnt lgkmcnt(0)
	s_barrier
	ds_read2_b64 v[204:207], v252 offset1:1
	v_cmp_lt_u32_e32 vcc, 37, v254
	s_waitcnt lgkmcnt(0)
	scratch_store_dwordx4 off, v[204:207], off offset:1000 ; 16-byte Folded Spill
	s_and_saveexec_b64 s[2:3], vcc
	s_cbranch_execz .LBB101_343
; %bb.342:
	scratch_load_dwordx4 v[206:209], off, off offset:1000 ; 16-byte Folded Reload
	s_waitcnt vmcnt(0)
	v_mul_f64 v[204:205], v[206:207], v[50:51]
	v_mul_f64 v[50:51], v[208:209], v[50:51]
	v_fmac_f64_e32 v[204:205], v[208:209], v[48:49]
	v_fma_f64 v[48:49], v[206:207], v[48:49], -v[50:51]
	ds_read2_b64 v[206:209], v253 offset0:76 offset1:77
	s_waitcnt lgkmcnt(0)
	v_mul_f64 v[50:51], v[208:209], v[204:205]
	v_fma_f64 v[50:51], v[206:207], v[48:49], -v[50:51]
	v_mul_f64 v[206:207], v[206:207], v[204:205]
	v_fmac_f64_e32 v[206:207], v[208:209], v[48:49]
	v_add_f64 v[46:47], v[46:47], -v[206:207]
	ds_read2_b64 v[206:209], v253 offset0:78 offset1:79
	v_add_f64 v[44:45], v[44:45], -v[50:51]
	s_waitcnt lgkmcnt(0)
	v_mul_f64 v[50:51], v[208:209], v[204:205]
	v_fma_f64 v[50:51], v[206:207], v[48:49], -v[50:51]
	v_mul_f64 v[206:207], v[206:207], v[204:205]
	v_fmac_f64_e32 v[206:207], v[208:209], v[48:49]
	v_add_f64 v[42:43], v[42:43], -v[206:207]
	ds_read2_b64 v[206:209], v253 offset0:80 offset1:81
	v_add_f64 v[40:41], v[40:41], -v[50:51]
	;; [unrolled: 8-line block ×12, first 2 shown]
	s_waitcnt lgkmcnt(0)
	v_mul_f64 v[50:51], v[208:209], v[204:205]
	v_fma_f64 v[50:51], v[206:207], v[48:49], -v[50:51]
	v_mul_f64 v[206:207], v[206:207], v[204:205]
	v_fmac_f64_e32 v[206:207], v[208:209], v[48:49]
	v_add_f64 v[200:201], v[200:201], -v[50:51]
	v_add_f64 v[202:203], v[202:203], -v[206:207]
	v_mov_b64_e32 v[50:51], v[204:205]
.LBB101_343:
	s_or_b64 exec, exec, s[2:3]
	v_cmp_eq_u32_e32 vcc, 38, v254
	s_waitcnt vmcnt(63) expcnt(7) lgkmcnt(15)
	s_barrier
	s_and_saveexec_b64 s[4:5], vcc
	s_cbranch_execz .LBB101_350
; %bb.344:
	ds_write2_b64 v252, v[44:45], v[46:47] offset1:1
	ds_write2_b64 v253, v[40:41], v[42:43] offset0:78 offset1:79
	ds_write2_b64 v253, v[36:37], v[38:39] offset0:80 offset1:81
	s_waitcnt vmcnt(62)
	ds_write2_b64 v253, v[32:33], v[34:35] offset0:82 offset1:83
	s_waitcnt vmcnt(61)
	;; [unrolled: 2-line block ×7, first 2 shown]
	ds_write2_b64 v253, v[8:9], v[10:11] offset0:94 offset1:95
	ds_write2_b64 v253, v[4:5], v[6:7] offset0:96 offset1:97
	;; [unrolled: 1-line block ×3, first 2 shown]
	s_waitcnt vmcnt(53)
	ds_write2_b64 v253, v[200:201], v[202:203] offset0:100 offset1:101
	ds_read2_b64 v[204:207], v252 offset1:1
	s_waitcnt lgkmcnt(0)
	v_cmp_neq_f64_e32 vcc, 0, v[204:205]
	v_cmp_neq_f64_e64 s[2:3], 0, v[206:207]
	s_or_b64 s[2:3], vcc, s[2:3]
	s_and_b64 exec, exec, s[2:3]
	s_cbranch_execz .LBB101_350
; %bb.345:
	v_cmp_ngt_f64_e64 s[2:3], |v[204:205]|, |v[206:207]|
                                        ; implicit-def: $vgpr208_vgpr209
	s_and_saveexec_b64 s[10:11], s[2:3]
	s_xor_b64 s[2:3], exec, s[10:11]
                                        ; implicit-def: $vgpr210_vgpr211
	s_cbranch_execz .LBB101_347
; %bb.346:
	v_div_scale_f64 v[208:209], s[10:11], v[206:207], v[206:207], v[204:205]
	v_rcp_f64_e32 v[210:211], v[208:209]
	v_div_scale_f64 v[212:213], vcc, v[204:205], v[206:207], v[204:205]
	v_fma_f64 v[214:215], -v[208:209], v[210:211], 1.0
	v_fmac_f64_e32 v[210:211], v[210:211], v[214:215]
	v_fma_f64 v[214:215], -v[208:209], v[210:211], 1.0
	v_fmac_f64_e32 v[210:211], v[210:211], v[214:215]
	v_mul_f64 v[214:215], v[212:213], v[210:211]
	v_fma_f64 v[208:209], -v[208:209], v[214:215], v[212:213]
	v_div_fmas_f64 v[208:209], v[208:209], v[210:211], v[214:215]
	v_div_fixup_f64 v[208:209], v[208:209], v[206:207], v[204:205]
	v_fmac_f64_e32 v[206:207], v[204:205], v[208:209]
	v_div_scale_f64 v[204:205], s[10:11], v[206:207], v[206:207], 1.0
	v_rcp_f64_e32 v[210:211], v[204:205]
	s_nop 0
	v_fma_f64 v[212:213], -v[204:205], v[210:211], 1.0
	v_fmac_f64_e32 v[210:211], v[210:211], v[212:213]
	v_fma_f64 v[212:213], -v[204:205], v[210:211], 1.0
	v_fmac_f64_e32 v[210:211], v[210:211], v[212:213]
	v_div_scale_f64 v[212:213], vcc, 1.0, v[206:207], 1.0
	v_mul_f64 v[214:215], v[212:213], v[210:211]
	v_fma_f64 v[204:205], -v[204:205], v[214:215], v[212:213]
	s_nop 1
	v_div_fmas_f64 v[204:205], v[204:205], v[210:211], v[214:215]
	v_div_fixup_f64 v[210:211], v[204:205], v[206:207], 1.0
	v_mul_f64 v[208:209], v[208:209], v[210:211]
	v_xor_b32_e32 v211, 0x80000000, v211
                                        ; implicit-def: $vgpr204_vgpr205
.LBB101_347:
	s_andn2_saveexec_b64 s[2:3], s[2:3]
	s_cbranch_execz .LBB101_349
; %bb.348:
	v_div_scale_f64 v[208:209], s[10:11], v[204:205], v[204:205], v[206:207]
	v_rcp_f64_e32 v[210:211], v[208:209]
	v_div_scale_f64 v[212:213], vcc, v[206:207], v[204:205], v[206:207]
	v_fma_f64 v[214:215], -v[208:209], v[210:211], 1.0
	v_fmac_f64_e32 v[210:211], v[210:211], v[214:215]
	v_fma_f64 v[214:215], -v[208:209], v[210:211], 1.0
	v_fmac_f64_e32 v[210:211], v[210:211], v[214:215]
	v_mul_f64 v[214:215], v[212:213], v[210:211]
	v_fma_f64 v[208:209], -v[208:209], v[214:215], v[212:213]
	v_div_fmas_f64 v[208:209], v[208:209], v[210:211], v[214:215]
	v_div_fixup_f64 v[210:211], v[208:209], v[204:205], v[206:207]
	v_fmac_f64_e32 v[204:205], v[206:207], v[210:211]
	v_div_scale_f64 v[206:207], s[10:11], v[204:205], v[204:205], 1.0
	v_rcp_f64_e32 v[208:209], v[206:207]
	s_nop 0
	v_fma_f64 v[212:213], -v[206:207], v[208:209], 1.0
	v_fmac_f64_e32 v[208:209], v[208:209], v[212:213]
	v_fma_f64 v[212:213], -v[206:207], v[208:209], 1.0
	v_fmac_f64_e32 v[208:209], v[208:209], v[212:213]
	v_div_scale_f64 v[212:213], vcc, 1.0, v[204:205], 1.0
	v_mul_f64 v[214:215], v[212:213], v[208:209]
	v_fma_f64 v[206:207], -v[206:207], v[214:215], v[212:213]
	s_nop 1
	v_div_fmas_f64 v[206:207], v[206:207], v[208:209], v[214:215]
	v_div_fixup_f64 v[208:209], v[206:207], v[204:205], 1.0
	v_mul_f64 v[210:211], v[210:211], -v[208:209]
.LBB101_349:
	s_or_b64 exec, exec, s[2:3]
	ds_write2_b64 v252, v[208:209], v[210:211] offset1:1
.LBB101_350:
	s_or_b64 exec, exec, s[4:5]
	s_waitcnt lgkmcnt(0)
	s_barrier
	ds_read2_b64 v[204:207], v252 offset1:1
	v_cmp_lt_u32_e32 vcc, 38, v254
	s_waitcnt lgkmcnt(0)
	scratch_store_dwordx4 off, v[204:207], off offset:1016 ; 16-byte Folded Spill
	s_and_saveexec_b64 s[2:3], vcc
	s_cbranch_execz .LBB101_352
; %bb.351:
	scratch_load_dwordx4 v[206:209], off, off offset:1016 ; 16-byte Folded Reload
	s_waitcnt vmcnt(0)
	v_mul_f64 v[204:205], v[206:207], v[46:47]
	v_mul_f64 v[46:47], v[208:209], v[46:47]
	v_fmac_f64_e32 v[204:205], v[208:209], v[44:45]
	v_fma_f64 v[44:45], v[206:207], v[44:45], -v[46:47]
	ds_read2_b64 v[206:209], v253 offset0:78 offset1:79
	s_waitcnt lgkmcnt(0)
	v_mul_f64 v[46:47], v[208:209], v[204:205]
	v_fma_f64 v[46:47], v[206:207], v[44:45], -v[46:47]
	v_mul_f64 v[206:207], v[206:207], v[204:205]
	v_fmac_f64_e32 v[206:207], v[208:209], v[44:45]
	v_add_f64 v[42:43], v[42:43], -v[206:207]
	ds_read2_b64 v[206:209], v253 offset0:80 offset1:81
	v_add_f64 v[40:41], v[40:41], -v[46:47]
	s_waitcnt lgkmcnt(0)
	v_mul_f64 v[46:47], v[208:209], v[204:205]
	v_fma_f64 v[46:47], v[206:207], v[44:45], -v[46:47]
	v_mul_f64 v[206:207], v[206:207], v[204:205]
	v_fmac_f64_e32 v[206:207], v[208:209], v[44:45]
	v_add_f64 v[38:39], v[38:39], -v[206:207]
	ds_read2_b64 v[206:209], v253 offset0:82 offset1:83
	v_add_f64 v[36:37], v[36:37], -v[46:47]
	s_waitcnt lgkmcnt(0)
	v_mul_f64 v[46:47], v[208:209], v[204:205]
	v_fma_f64 v[46:47], v[206:207], v[44:45], -v[46:47]
	v_mul_f64 v[206:207], v[206:207], v[204:205]
	v_fmac_f64_e32 v[206:207], v[208:209], v[44:45]
	v_add_f64 v[34:35], v[34:35], -v[206:207]
	ds_read2_b64 v[206:209], v253 offset0:84 offset1:85
	v_add_f64 v[32:33], v[32:33], -v[46:47]
	s_waitcnt lgkmcnt(0)
	v_mul_f64 v[46:47], v[208:209], v[204:205]
	v_fma_f64 v[46:47], v[206:207], v[44:45], -v[46:47]
	v_mul_f64 v[206:207], v[206:207], v[204:205]
	v_fmac_f64_e32 v[206:207], v[208:209], v[44:45]
	v_add_f64 v[30:31], v[30:31], -v[206:207]
	ds_read2_b64 v[206:209], v253 offset0:86 offset1:87
	v_add_f64 v[28:29], v[28:29], -v[46:47]
	s_waitcnt lgkmcnt(0)
	v_mul_f64 v[46:47], v[208:209], v[204:205]
	v_fma_f64 v[46:47], v[206:207], v[44:45], -v[46:47]
	v_mul_f64 v[206:207], v[206:207], v[204:205]
	v_fmac_f64_e32 v[206:207], v[208:209], v[44:45]
	v_add_f64 v[26:27], v[26:27], -v[206:207]
	ds_read2_b64 v[206:209], v253 offset0:88 offset1:89
	v_add_f64 v[24:25], v[24:25], -v[46:47]
	s_waitcnt lgkmcnt(0)
	v_mul_f64 v[46:47], v[208:209], v[204:205]
	v_fma_f64 v[46:47], v[206:207], v[44:45], -v[46:47]
	v_mul_f64 v[206:207], v[206:207], v[204:205]
	v_fmac_f64_e32 v[206:207], v[208:209], v[44:45]
	v_add_f64 v[22:23], v[22:23], -v[206:207]
	ds_read2_b64 v[206:209], v253 offset0:90 offset1:91
	v_add_f64 v[20:21], v[20:21], -v[46:47]
	s_waitcnt lgkmcnt(0)
	v_mul_f64 v[46:47], v[208:209], v[204:205]
	v_fma_f64 v[46:47], v[206:207], v[44:45], -v[46:47]
	v_mul_f64 v[206:207], v[206:207], v[204:205]
	v_fmac_f64_e32 v[206:207], v[208:209], v[44:45]
	v_add_f64 v[18:19], v[18:19], -v[206:207]
	ds_read2_b64 v[206:209], v253 offset0:92 offset1:93
	v_add_f64 v[16:17], v[16:17], -v[46:47]
	s_waitcnt lgkmcnt(0)
	v_mul_f64 v[46:47], v[208:209], v[204:205]
	v_fma_f64 v[46:47], v[206:207], v[44:45], -v[46:47]
	v_mul_f64 v[206:207], v[206:207], v[204:205]
	v_fmac_f64_e32 v[206:207], v[208:209], v[44:45]
	v_add_f64 v[14:15], v[14:15], -v[206:207]
	ds_read2_b64 v[206:209], v253 offset0:94 offset1:95
	v_add_f64 v[12:13], v[12:13], -v[46:47]
	s_waitcnt lgkmcnt(0)
	v_mul_f64 v[46:47], v[208:209], v[204:205]
	v_fma_f64 v[46:47], v[206:207], v[44:45], -v[46:47]
	v_mul_f64 v[206:207], v[206:207], v[204:205]
	v_fmac_f64_e32 v[206:207], v[208:209], v[44:45]
	v_add_f64 v[10:11], v[10:11], -v[206:207]
	ds_read2_b64 v[206:209], v253 offset0:96 offset1:97
	v_add_f64 v[8:9], v[8:9], -v[46:47]
	s_waitcnt lgkmcnt(0)
	v_mul_f64 v[46:47], v[208:209], v[204:205]
	v_fma_f64 v[46:47], v[206:207], v[44:45], -v[46:47]
	v_mul_f64 v[206:207], v[206:207], v[204:205]
	v_fmac_f64_e32 v[206:207], v[208:209], v[44:45]
	v_add_f64 v[6:7], v[6:7], -v[206:207]
	ds_read2_b64 v[206:209], v253 offset0:98 offset1:99
	v_add_f64 v[4:5], v[4:5], -v[46:47]
	s_waitcnt lgkmcnt(0)
	v_mul_f64 v[46:47], v[208:209], v[204:205]
	v_fma_f64 v[46:47], v[206:207], v[44:45], -v[46:47]
	v_mul_f64 v[206:207], v[206:207], v[204:205]
	v_fmac_f64_e32 v[206:207], v[208:209], v[44:45]
	v_add_f64 v[2:3], v[2:3], -v[206:207]
	ds_read2_b64 v[206:209], v253 offset0:100 offset1:101
	v_add_f64 v[0:1], v[0:1], -v[46:47]
	s_waitcnt lgkmcnt(0)
	v_mul_f64 v[46:47], v[208:209], v[204:205]
	v_fma_f64 v[46:47], v[206:207], v[44:45], -v[46:47]
	v_mul_f64 v[206:207], v[206:207], v[204:205]
	v_fmac_f64_e32 v[206:207], v[208:209], v[44:45]
	v_add_f64 v[200:201], v[200:201], -v[46:47]
	v_add_f64 v[202:203], v[202:203], -v[206:207]
	v_mov_b64_e32 v[46:47], v[204:205]
.LBB101_352:
	s_or_b64 exec, exec, s[2:3]
	v_cmp_eq_u32_e32 vcc, 39, v254
	s_waitcnt vmcnt(63) expcnt(7) lgkmcnt(15)
	s_barrier
	s_and_saveexec_b64 s[4:5], vcc
	s_cbranch_execz .LBB101_359
; %bb.353:
	ds_write2_b64 v252, v[40:41], v[42:43] offset1:1
	ds_write2_b64 v253, v[36:37], v[38:39] offset0:80 offset1:81
	ds_write2_b64 v253, v[32:33], v[34:35] offset0:82 offset1:83
	s_waitcnt vmcnt(62)
	ds_write2_b64 v253, v[28:29], v[30:31] offset0:84 offset1:85
	s_waitcnt vmcnt(61)
	;; [unrolled: 2-line block ×6, first 2 shown]
	ds_write2_b64 v253, v[8:9], v[10:11] offset0:94 offset1:95
	ds_write2_b64 v253, v[4:5], v[6:7] offset0:96 offset1:97
	;; [unrolled: 1-line block ×3, first 2 shown]
	s_waitcnt vmcnt(54)
	ds_write2_b64 v253, v[200:201], v[202:203] offset0:100 offset1:101
	ds_read2_b64 v[204:207], v252 offset1:1
	s_waitcnt lgkmcnt(0)
	v_cmp_neq_f64_e32 vcc, 0, v[204:205]
	v_cmp_neq_f64_e64 s[2:3], 0, v[206:207]
	s_or_b64 s[2:3], vcc, s[2:3]
	s_and_b64 exec, exec, s[2:3]
	s_cbranch_execz .LBB101_359
; %bb.354:
	v_cmp_ngt_f64_e64 s[2:3], |v[204:205]|, |v[206:207]|
                                        ; implicit-def: $vgpr208_vgpr209
	s_and_saveexec_b64 s[10:11], s[2:3]
	s_xor_b64 s[2:3], exec, s[10:11]
                                        ; implicit-def: $vgpr210_vgpr211
	s_cbranch_execz .LBB101_356
; %bb.355:
	v_div_scale_f64 v[208:209], s[10:11], v[206:207], v[206:207], v[204:205]
	v_rcp_f64_e32 v[210:211], v[208:209]
	v_div_scale_f64 v[212:213], vcc, v[204:205], v[206:207], v[204:205]
	v_fma_f64 v[214:215], -v[208:209], v[210:211], 1.0
	v_fmac_f64_e32 v[210:211], v[210:211], v[214:215]
	v_fma_f64 v[214:215], -v[208:209], v[210:211], 1.0
	v_fmac_f64_e32 v[210:211], v[210:211], v[214:215]
	v_mul_f64 v[214:215], v[212:213], v[210:211]
	v_fma_f64 v[208:209], -v[208:209], v[214:215], v[212:213]
	v_div_fmas_f64 v[208:209], v[208:209], v[210:211], v[214:215]
	v_div_fixup_f64 v[208:209], v[208:209], v[206:207], v[204:205]
	v_fmac_f64_e32 v[206:207], v[204:205], v[208:209]
	v_div_scale_f64 v[204:205], s[10:11], v[206:207], v[206:207], 1.0
	v_rcp_f64_e32 v[210:211], v[204:205]
	s_nop 0
	v_fma_f64 v[212:213], -v[204:205], v[210:211], 1.0
	v_fmac_f64_e32 v[210:211], v[210:211], v[212:213]
	v_fma_f64 v[212:213], -v[204:205], v[210:211], 1.0
	v_fmac_f64_e32 v[210:211], v[210:211], v[212:213]
	v_div_scale_f64 v[212:213], vcc, 1.0, v[206:207], 1.0
	v_mul_f64 v[214:215], v[212:213], v[210:211]
	v_fma_f64 v[204:205], -v[204:205], v[214:215], v[212:213]
	s_nop 1
	v_div_fmas_f64 v[204:205], v[204:205], v[210:211], v[214:215]
	v_div_fixup_f64 v[210:211], v[204:205], v[206:207], 1.0
	v_mul_f64 v[208:209], v[208:209], v[210:211]
	v_xor_b32_e32 v211, 0x80000000, v211
                                        ; implicit-def: $vgpr204_vgpr205
.LBB101_356:
	s_andn2_saveexec_b64 s[2:3], s[2:3]
	s_cbranch_execz .LBB101_358
; %bb.357:
	v_div_scale_f64 v[208:209], s[10:11], v[204:205], v[204:205], v[206:207]
	v_rcp_f64_e32 v[210:211], v[208:209]
	v_div_scale_f64 v[212:213], vcc, v[206:207], v[204:205], v[206:207]
	v_fma_f64 v[214:215], -v[208:209], v[210:211], 1.0
	v_fmac_f64_e32 v[210:211], v[210:211], v[214:215]
	v_fma_f64 v[214:215], -v[208:209], v[210:211], 1.0
	v_fmac_f64_e32 v[210:211], v[210:211], v[214:215]
	v_mul_f64 v[214:215], v[212:213], v[210:211]
	v_fma_f64 v[208:209], -v[208:209], v[214:215], v[212:213]
	v_div_fmas_f64 v[208:209], v[208:209], v[210:211], v[214:215]
	v_div_fixup_f64 v[210:211], v[208:209], v[204:205], v[206:207]
	v_fmac_f64_e32 v[204:205], v[206:207], v[210:211]
	v_div_scale_f64 v[206:207], s[10:11], v[204:205], v[204:205], 1.0
	v_rcp_f64_e32 v[208:209], v[206:207]
	s_nop 0
	v_fma_f64 v[212:213], -v[206:207], v[208:209], 1.0
	v_fmac_f64_e32 v[208:209], v[208:209], v[212:213]
	v_fma_f64 v[212:213], -v[206:207], v[208:209], 1.0
	v_fmac_f64_e32 v[208:209], v[208:209], v[212:213]
	v_div_scale_f64 v[212:213], vcc, 1.0, v[204:205], 1.0
	v_mul_f64 v[214:215], v[212:213], v[208:209]
	v_fma_f64 v[206:207], -v[206:207], v[214:215], v[212:213]
	s_nop 1
	v_div_fmas_f64 v[206:207], v[206:207], v[208:209], v[214:215]
	v_div_fixup_f64 v[208:209], v[206:207], v[204:205], 1.0
	v_mul_f64 v[210:211], v[210:211], -v[208:209]
.LBB101_358:
	s_or_b64 exec, exec, s[2:3]
	ds_write2_b64 v252, v[208:209], v[210:211] offset1:1
.LBB101_359:
	s_or_b64 exec, exec, s[4:5]
	s_waitcnt lgkmcnt(0)
	s_barrier
	ds_read2_b64 v[204:207], v252 offset1:1
	v_cmp_lt_u32_e32 vcc, 39, v254
	s_waitcnt lgkmcnt(0)
	scratch_store_dwordx4 off, v[204:207], off offset:1032 ; 16-byte Folded Spill
	s_and_saveexec_b64 s[2:3], vcc
	s_cbranch_execz .LBB101_361
; %bb.360:
	scratch_load_dwordx4 v[204:207], off, off offset:1032 ; 16-byte Folded Reload
	ds_read2_b64 v[210:213], v253 offset0:80 offset1:81
	s_waitcnt vmcnt(0)
	v_mul_f64 v[208:209], v[204:205], v[42:43]
	v_fmac_f64_e32 v[208:209], v[206:207], v[40:41]
	v_mul_f64 v[42:43], v[206:207], v[42:43]
	v_fma_f64 v[40:41], v[204:205], v[40:41], -v[42:43]
	s_waitcnt lgkmcnt(0)
	v_mul_f64 v[42:43], v[212:213], v[208:209]
	v_fma_f64 v[42:43], v[210:211], v[40:41], -v[42:43]
	v_mul_f64 v[210:211], v[210:211], v[208:209]
	v_fmac_f64_e32 v[210:211], v[212:213], v[40:41]
	v_add_f64 v[38:39], v[38:39], -v[210:211]
	ds_read2_b64 v[210:213], v253 offset0:82 offset1:83
	v_add_f64 v[36:37], v[36:37], -v[42:43]
	s_waitcnt lgkmcnt(0)
	v_mul_f64 v[42:43], v[212:213], v[208:209]
	v_fma_f64 v[42:43], v[210:211], v[40:41], -v[42:43]
	v_mul_f64 v[210:211], v[210:211], v[208:209]
	v_fmac_f64_e32 v[210:211], v[212:213], v[40:41]
	v_add_f64 v[34:35], v[34:35], -v[210:211]
	ds_read2_b64 v[210:213], v253 offset0:84 offset1:85
	v_add_f64 v[32:33], v[32:33], -v[42:43]
	;; [unrolled: 8-line block ×10, first 2 shown]
	s_waitcnt lgkmcnt(0)
	v_mul_f64 v[42:43], v[212:213], v[208:209]
	v_fma_f64 v[42:43], v[210:211], v[40:41], -v[42:43]
	v_mul_f64 v[210:211], v[210:211], v[208:209]
	v_fmac_f64_e32 v[210:211], v[212:213], v[40:41]
	v_add_f64 v[200:201], v[200:201], -v[42:43]
	v_add_f64 v[202:203], v[202:203], -v[210:211]
	v_mov_b64_e32 v[42:43], v[208:209]
.LBB101_361:
	s_or_b64 exec, exec, s[2:3]
	v_cmp_eq_u32_e32 vcc, 40, v254
	s_waitcnt vmcnt(63) expcnt(7) lgkmcnt(15)
	s_barrier
	s_and_saveexec_b64 s[4:5], vcc
	s_cbranch_execz .LBB101_368
; %bb.362:
	ds_write2_b64 v252, v[36:37], v[38:39] offset1:1
	ds_write2_b64 v253, v[32:33], v[34:35] offset0:82 offset1:83
	ds_write2_b64 v253, v[28:29], v[30:31] offset0:84 offset1:85
	s_waitcnt vmcnt(62)
	ds_write2_b64 v253, v[24:25], v[26:27] offset0:86 offset1:87
	s_waitcnt vmcnt(61)
	;; [unrolled: 2-line block ×5, first 2 shown]
	ds_write2_b64 v253, v[8:9], v[10:11] offset0:94 offset1:95
	ds_write2_b64 v253, v[4:5], v[6:7] offset0:96 offset1:97
	;; [unrolled: 1-line block ×3, first 2 shown]
	s_waitcnt vmcnt(55)
	ds_write2_b64 v253, v[200:201], v[202:203] offset0:100 offset1:101
	ds_read2_b64 v[208:211], v252 offset1:1
	s_waitcnt lgkmcnt(0)
	v_cmp_neq_f64_e32 vcc, 0, v[208:209]
	v_cmp_neq_f64_e64 s[2:3], 0, v[210:211]
	s_or_b64 s[2:3], vcc, s[2:3]
	s_and_b64 exec, exec, s[2:3]
	s_cbranch_execz .LBB101_368
; %bb.363:
	v_cmp_ngt_f64_e64 s[2:3], |v[208:209]|, |v[210:211]|
                                        ; implicit-def: $vgpr212_vgpr213
	s_and_saveexec_b64 s[10:11], s[2:3]
	s_xor_b64 s[2:3], exec, s[10:11]
                                        ; implicit-def: $vgpr214_vgpr215
	s_cbranch_execz .LBB101_365
; %bb.364:
	v_div_scale_f64 v[212:213], s[10:11], v[210:211], v[210:211], v[208:209]
	v_rcp_f64_e32 v[214:215], v[212:213]
	v_div_scale_f64 v[216:217], vcc, v[208:209], v[210:211], v[208:209]
	v_fma_f64 v[218:219], -v[212:213], v[214:215], 1.0
	v_fmac_f64_e32 v[214:215], v[214:215], v[218:219]
	v_fma_f64 v[218:219], -v[212:213], v[214:215], 1.0
	v_fmac_f64_e32 v[214:215], v[214:215], v[218:219]
	v_mul_f64 v[218:219], v[216:217], v[214:215]
	v_fma_f64 v[212:213], -v[212:213], v[218:219], v[216:217]
	v_div_fmas_f64 v[212:213], v[212:213], v[214:215], v[218:219]
	v_div_fixup_f64 v[212:213], v[212:213], v[210:211], v[208:209]
	v_fmac_f64_e32 v[210:211], v[208:209], v[212:213]
	v_div_scale_f64 v[208:209], s[10:11], v[210:211], v[210:211], 1.0
	v_rcp_f64_e32 v[214:215], v[208:209]
	s_nop 0
	v_fma_f64 v[216:217], -v[208:209], v[214:215], 1.0
	v_fmac_f64_e32 v[214:215], v[214:215], v[216:217]
	v_fma_f64 v[216:217], -v[208:209], v[214:215], 1.0
	v_fmac_f64_e32 v[214:215], v[214:215], v[216:217]
	v_div_scale_f64 v[216:217], vcc, 1.0, v[210:211], 1.0
	v_mul_f64 v[218:219], v[216:217], v[214:215]
	v_fma_f64 v[208:209], -v[208:209], v[218:219], v[216:217]
	s_nop 1
	v_div_fmas_f64 v[208:209], v[208:209], v[214:215], v[218:219]
	v_div_fixup_f64 v[214:215], v[208:209], v[210:211], 1.0
	v_mul_f64 v[212:213], v[212:213], v[214:215]
	v_xor_b32_e32 v215, 0x80000000, v215
                                        ; implicit-def: $vgpr208_vgpr209
.LBB101_365:
	s_andn2_saveexec_b64 s[2:3], s[2:3]
	s_cbranch_execz .LBB101_367
; %bb.366:
	v_div_scale_f64 v[212:213], s[10:11], v[208:209], v[208:209], v[210:211]
	v_rcp_f64_e32 v[214:215], v[212:213]
	v_div_scale_f64 v[216:217], vcc, v[210:211], v[208:209], v[210:211]
	v_fma_f64 v[218:219], -v[212:213], v[214:215], 1.0
	v_fmac_f64_e32 v[214:215], v[214:215], v[218:219]
	v_fma_f64 v[218:219], -v[212:213], v[214:215], 1.0
	v_fmac_f64_e32 v[214:215], v[214:215], v[218:219]
	v_mul_f64 v[218:219], v[216:217], v[214:215]
	v_fma_f64 v[212:213], -v[212:213], v[218:219], v[216:217]
	v_div_fmas_f64 v[212:213], v[212:213], v[214:215], v[218:219]
	v_div_fixup_f64 v[214:215], v[212:213], v[208:209], v[210:211]
	v_fmac_f64_e32 v[208:209], v[210:211], v[214:215]
	v_div_scale_f64 v[210:211], s[10:11], v[208:209], v[208:209], 1.0
	v_rcp_f64_e32 v[212:213], v[210:211]
	s_nop 0
	v_fma_f64 v[216:217], -v[210:211], v[212:213], 1.0
	v_fmac_f64_e32 v[212:213], v[212:213], v[216:217]
	v_fma_f64 v[216:217], -v[210:211], v[212:213], 1.0
	v_fmac_f64_e32 v[212:213], v[212:213], v[216:217]
	v_div_scale_f64 v[216:217], vcc, 1.0, v[208:209], 1.0
	v_mul_f64 v[218:219], v[216:217], v[212:213]
	v_fma_f64 v[210:211], -v[210:211], v[218:219], v[216:217]
	s_nop 1
	v_div_fmas_f64 v[210:211], v[210:211], v[212:213], v[218:219]
	v_div_fixup_f64 v[212:213], v[210:211], v[208:209], 1.0
	v_mul_f64 v[214:215], v[214:215], -v[212:213]
.LBB101_367:
	s_or_b64 exec, exec, s[2:3]
	ds_write2_b64 v252, v[212:213], v[214:215] offset1:1
.LBB101_368:
	s_or_b64 exec, exec, s[4:5]
	s_waitcnt lgkmcnt(0)
	s_barrier
	ds_read2_b64 v[208:211], v252 offset1:1
	v_cmp_lt_u32_e32 vcc, 40, v254
	s_and_saveexec_b64 s[2:3], vcc
	s_cbranch_execz .LBB101_370
; %bb.369:
	ds_read2_b64 v[214:217], v253 offset0:82 offset1:83
	s_waitcnt lgkmcnt(1)
	v_mul_f64 v[212:213], v[208:209], v[38:39]
	v_fmac_f64_e32 v[212:213], v[210:211], v[36:37]
	v_mul_f64 v[38:39], v[210:211], v[38:39]
	v_fma_f64 v[36:37], v[208:209], v[36:37], -v[38:39]
	s_waitcnt lgkmcnt(0)
	v_mul_f64 v[38:39], v[216:217], v[212:213]
	v_fma_f64 v[38:39], v[214:215], v[36:37], -v[38:39]
	v_mul_f64 v[214:215], v[214:215], v[212:213]
	v_fmac_f64_e32 v[214:215], v[216:217], v[36:37]
	v_add_f64 v[34:35], v[34:35], -v[214:215]
	ds_read2_b64 v[214:217], v253 offset0:84 offset1:85
	v_add_f64 v[32:33], v[32:33], -v[38:39]
	s_waitcnt lgkmcnt(0)
	v_mul_f64 v[38:39], v[216:217], v[212:213]
	v_fma_f64 v[38:39], v[214:215], v[36:37], -v[38:39]
	v_mul_f64 v[214:215], v[214:215], v[212:213]
	v_fmac_f64_e32 v[214:215], v[216:217], v[36:37]
	v_add_f64 v[30:31], v[30:31], -v[214:215]
	ds_read2_b64 v[214:217], v253 offset0:86 offset1:87
	v_add_f64 v[28:29], v[28:29], -v[38:39]
	s_waitcnt lgkmcnt(0)
	v_mul_f64 v[38:39], v[216:217], v[212:213]
	v_fma_f64 v[38:39], v[214:215], v[36:37], -v[38:39]
	v_mul_f64 v[214:215], v[214:215], v[212:213]
	v_fmac_f64_e32 v[214:215], v[216:217], v[36:37]
	s_waitcnt vmcnt(62)
	v_add_f64 v[26:27], v[26:27], -v[214:215]
	ds_read2_b64 v[214:217], v253 offset0:88 offset1:89
	v_add_f64 v[24:25], v[24:25], -v[38:39]
	s_waitcnt lgkmcnt(0)
	v_mul_f64 v[38:39], v[216:217], v[212:213]
	v_fma_f64 v[38:39], v[214:215], v[36:37], -v[38:39]
	v_mul_f64 v[214:215], v[214:215], v[212:213]
	v_fmac_f64_e32 v[214:215], v[216:217], v[36:37]
	s_waitcnt vmcnt(61)
	;; [unrolled: 9-line block ×5, first 2 shown]
	v_add_f64 v[10:11], v[10:11], -v[214:215]
	ds_read2_b64 v[214:217], v253 offset0:96 offset1:97
	v_add_f64 v[8:9], v[8:9], -v[38:39]
	s_waitcnt lgkmcnt(0)
	v_mul_f64 v[38:39], v[216:217], v[212:213]
	v_fma_f64 v[38:39], v[214:215], v[36:37], -v[38:39]
	v_mul_f64 v[214:215], v[214:215], v[212:213]
	v_fmac_f64_e32 v[214:215], v[216:217], v[36:37]
	v_add_f64 v[6:7], v[6:7], -v[214:215]
	ds_read2_b64 v[214:217], v253 offset0:98 offset1:99
	v_add_f64 v[4:5], v[4:5], -v[38:39]
	s_waitcnt lgkmcnt(0)
	v_mul_f64 v[38:39], v[216:217], v[212:213]
	v_fma_f64 v[38:39], v[214:215], v[36:37], -v[38:39]
	v_mul_f64 v[214:215], v[214:215], v[212:213]
	v_fmac_f64_e32 v[214:215], v[216:217], v[36:37]
	;; [unrolled: 8-line block ×3, first 2 shown]
	s_waitcnt vmcnt(55)
	v_add_f64 v[200:201], v[200:201], -v[38:39]
	v_add_f64 v[202:203], v[202:203], -v[214:215]
	v_mov_b64_e32 v[38:39], v[212:213]
.LBB101_370:
	s_or_b64 exec, exec, s[2:3]
	v_cmp_eq_u32_e32 vcc, 41, v254
	s_waitcnt lgkmcnt(0)
	s_barrier
	s_and_saveexec_b64 s[4:5], vcc
	s_cbranch_execz .LBB101_377
; %bb.371:
	ds_write2_b64 v252, v[32:33], v[34:35] offset1:1
	ds_write2_b64 v253, v[28:29], v[30:31] offset0:84 offset1:85
	s_waitcnt vmcnt(62)
	ds_write2_b64 v253, v[24:25], v[26:27] offset0:86 offset1:87
	s_waitcnt vmcnt(61)
	;; [unrolled: 2-line block ×5, first 2 shown]
	ds_write2_b64 v253, v[8:9], v[10:11] offset0:94 offset1:95
	ds_write2_b64 v253, v[4:5], v[6:7] offset0:96 offset1:97
	;; [unrolled: 1-line block ×3, first 2 shown]
	s_waitcnt vmcnt(55)
	ds_write2_b64 v253, v[200:201], v[202:203] offset0:100 offset1:101
	ds_read2_b64 v[212:215], v252 offset1:1
	s_waitcnt lgkmcnt(0)
	v_cmp_neq_f64_e32 vcc, 0, v[212:213]
	v_cmp_neq_f64_e64 s[2:3], 0, v[214:215]
	s_or_b64 s[2:3], vcc, s[2:3]
	s_and_b64 exec, exec, s[2:3]
	s_cbranch_execz .LBB101_377
; %bb.372:
	v_cmp_ngt_f64_e64 s[2:3], |v[212:213]|, |v[214:215]|
                                        ; implicit-def: $vgpr216_vgpr217
	s_and_saveexec_b64 s[10:11], s[2:3]
	s_xor_b64 s[2:3], exec, s[10:11]
                                        ; implicit-def: $vgpr218_vgpr219
	s_cbranch_execz .LBB101_374
; %bb.373:
	v_div_scale_f64 v[216:217], s[10:11], v[214:215], v[214:215], v[212:213]
	v_rcp_f64_e32 v[218:219], v[216:217]
	v_div_scale_f64 v[220:221], vcc, v[212:213], v[214:215], v[212:213]
	v_fma_f64 v[222:223], -v[216:217], v[218:219], 1.0
	v_fmac_f64_e32 v[218:219], v[218:219], v[222:223]
	v_fma_f64 v[222:223], -v[216:217], v[218:219], 1.0
	v_fmac_f64_e32 v[218:219], v[218:219], v[222:223]
	v_mul_f64 v[222:223], v[220:221], v[218:219]
	v_fma_f64 v[216:217], -v[216:217], v[222:223], v[220:221]
	v_div_fmas_f64 v[216:217], v[216:217], v[218:219], v[222:223]
	v_div_fixup_f64 v[216:217], v[216:217], v[214:215], v[212:213]
	v_fmac_f64_e32 v[214:215], v[212:213], v[216:217]
	v_div_scale_f64 v[212:213], s[10:11], v[214:215], v[214:215], 1.0
	v_rcp_f64_e32 v[218:219], v[212:213]
	s_nop 0
	v_fma_f64 v[220:221], -v[212:213], v[218:219], 1.0
	v_fmac_f64_e32 v[218:219], v[218:219], v[220:221]
	v_fma_f64 v[220:221], -v[212:213], v[218:219], 1.0
	v_fmac_f64_e32 v[218:219], v[218:219], v[220:221]
	v_div_scale_f64 v[220:221], vcc, 1.0, v[214:215], 1.0
	v_mul_f64 v[222:223], v[220:221], v[218:219]
	v_fma_f64 v[212:213], -v[212:213], v[222:223], v[220:221]
	s_nop 1
	v_div_fmas_f64 v[212:213], v[212:213], v[218:219], v[222:223]
	v_div_fixup_f64 v[218:219], v[212:213], v[214:215], 1.0
	v_mul_f64 v[216:217], v[216:217], v[218:219]
	v_xor_b32_e32 v219, 0x80000000, v219
                                        ; implicit-def: $vgpr212_vgpr213
.LBB101_374:
	s_andn2_saveexec_b64 s[2:3], s[2:3]
	s_cbranch_execz .LBB101_376
; %bb.375:
	v_div_scale_f64 v[216:217], s[10:11], v[212:213], v[212:213], v[214:215]
	v_rcp_f64_e32 v[218:219], v[216:217]
	v_div_scale_f64 v[220:221], vcc, v[214:215], v[212:213], v[214:215]
	v_fma_f64 v[222:223], -v[216:217], v[218:219], 1.0
	v_fmac_f64_e32 v[218:219], v[218:219], v[222:223]
	v_fma_f64 v[222:223], -v[216:217], v[218:219], 1.0
	v_fmac_f64_e32 v[218:219], v[218:219], v[222:223]
	v_mul_f64 v[222:223], v[220:221], v[218:219]
	v_fma_f64 v[216:217], -v[216:217], v[222:223], v[220:221]
	v_div_fmas_f64 v[216:217], v[216:217], v[218:219], v[222:223]
	v_div_fixup_f64 v[218:219], v[216:217], v[212:213], v[214:215]
	v_fmac_f64_e32 v[212:213], v[214:215], v[218:219]
	v_div_scale_f64 v[214:215], s[10:11], v[212:213], v[212:213], 1.0
	v_rcp_f64_e32 v[216:217], v[214:215]
	s_nop 0
	v_fma_f64 v[220:221], -v[214:215], v[216:217], 1.0
	v_fmac_f64_e32 v[216:217], v[216:217], v[220:221]
	v_fma_f64 v[220:221], -v[214:215], v[216:217], 1.0
	v_fmac_f64_e32 v[216:217], v[216:217], v[220:221]
	v_div_scale_f64 v[220:221], vcc, 1.0, v[212:213], 1.0
	v_mul_f64 v[222:223], v[220:221], v[216:217]
	v_fma_f64 v[214:215], -v[214:215], v[222:223], v[220:221]
	s_nop 1
	v_div_fmas_f64 v[214:215], v[214:215], v[216:217], v[222:223]
	v_div_fixup_f64 v[216:217], v[214:215], v[212:213], 1.0
	v_mul_f64 v[218:219], v[218:219], -v[216:217]
.LBB101_376:
	s_or_b64 exec, exec, s[2:3]
	ds_write2_b64 v252, v[216:217], v[218:219] offset1:1
.LBB101_377:
	s_or_b64 exec, exec, s[4:5]
	s_waitcnt lgkmcnt(0)
	s_barrier
	ds_read2_b64 v[212:215], v252 offset1:1
	v_cmp_lt_u32_e32 vcc, 41, v254
	s_and_saveexec_b64 s[2:3], vcc
	s_cbranch_execz .LBB101_379
; %bb.378:
	ds_read2_b64 v[218:221], v253 offset0:84 offset1:85
	s_waitcnt lgkmcnt(1)
	v_mul_f64 v[216:217], v[212:213], v[34:35]
	v_fmac_f64_e32 v[216:217], v[214:215], v[32:33]
	v_mul_f64 v[34:35], v[214:215], v[34:35]
	v_fma_f64 v[32:33], v[212:213], v[32:33], -v[34:35]
	s_waitcnt lgkmcnt(0)
	v_mul_f64 v[34:35], v[220:221], v[216:217]
	v_fma_f64 v[34:35], v[218:219], v[32:33], -v[34:35]
	v_mul_f64 v[218:219], v[218:219], v[216:217]
	v_fmac_f64_e32 v[218:219], v[220:221], v[32:33]
	v_add_f64 v[30:31], v[30:31], -v[218:219]
	ds_read2_b64 v[218:221], v253 offset0:86 offset1:87
	v_add_f64 v[28:29], v[28:29], -v[34:35]
	s_waitcnt lgkmcnt(0)
	v_mul_f64 v[34:35], v[220:221], v[216:217]
	v_fma_f64 v[34:35], v[218:219], v[32:33], -v[34:35]
	v_mul_f64 v[218:219], v[218:219], v[216:217]
	v_fmac_f64_e32 v[218:219], v[220:221], v[32:33]
	s_waitcnt vmcnt(62)
	v_add_f64 v[26:27], v[26:27], -v[218:219]
	ds_read2_b64 v[218:221], v253 offset0:88 offset1:89
	v_add_f64 v[24:25], v[24:25], -v[34:35]
	s_waitcnt lgkmcnt(0)
	v_mul_f64 v[34:35], v[220:221], v[216:217]
	v_fma_f64 v[34:35], v[218:219], v[32:33], -v[34:35]
	v_mul_f64 v[218:219], v[218:219], v[216:217]
	v_fmac_f64_e32 v[218:219], v[220:221], v[32:33]
	s_waitcnt vmcnt(61)
	;; [unrolled: 9-line block ×5, first 2 shown]
	v_add_f64 v[10:11], v[10:11], -v[218:219]
	ds_read2_b64 v[218:221], v253 offset0:96 offset1:97
	v_add_f64 v[8:9], v[8:9], -v[34:35]
	s_waitcnt lgkmcnt(0)
	v_mul_f64 v[34:35], v[220:221], v[216:217]
	v_fma_f64 v[34:35], v[218:219], v[32:33], -v[34:35]
	v_mul_f64 v[218:219], v[218:219], v[216:217]
	v_fmac_f64_e32 v[218:219], v[220:221], v[32:33]
	v_add_f64 v[6:7], v[6:7], -v[218:219]
	ds_read2_b64 v[218:221], v253 offset0:98 offset1:99
	v_add_f64 v[4:5], v[4:5], -v[34:35]
	s_waitcnt lgkmcnt(0)
	v_mul_f64 v[34:35], v[220:221], v[216:217]
	v_fma_f64 v[34:35], v[218:219], v[32:33], -v[34:35]
	v_mul_f64 v[218:219], v[218:219], v[216:217]
	v_fmac_f64_e32 v[218:219], v[220:221], v[32:33]
	;; [unrolled: 8-line block ×3, first 2 shown]
	s_waitcnt vmcnt(55)
	v_add_f64 v[200:201], v[200:201], -v[34:35]
	v_add_f64 v[202:203], v[202:203], -v[218:219]
	v_mov_b64_e32 v[34:35], v[216:217]
.LBB101_379:
	s_or_b64 exec, exec, s[2:3]
	v_cmp_eq_u32_e32 vcc, 42, v254
	s_waitcnt lgkmcnt(0)
	s_barrier
	s_and_saveexec_b64 s[4:5], vcc
	s_cbranch_execz .LBB101_386
; %bb.380:
	ds_write2_b64 v252, v[28:29], v[30:31] offset1:1
	s_waitcnt vmcnt(62)
	ds_write2_b64 v253, v[24:25], v[26:27] offset0:86 offset1:87
	s_waitcnt vmcnt(61)
	ds_write2_b64 v253, v[20:21], v[22:23] offset0:88 offset1:89
	;; [unrolled: 2-line block ×5, first 2 shown]
	ds_write2_b64 v253, v[4:5], v[6:7] offset0:96 offset1:97
	ds_write2_b64 v253, v[0:1], v[2:3] offset0:98 offset1:99
	s_waitcnt vmcnt(55)
	ds_write2_b64 v253, v[200:201], v[202:203] offset0:100 offset1:101
	ds_read2_b64 v[216:219], v252 offset1:1
	s_waitcnt lgkmcnt(0)
	v_cmp_neq_f64_e32 vcc, 0, v[216:217]
	v_cmp_neq_f64_e64 s[2:3], 0, v[218:219]
	s_or_b64 s[2:3], vcc, s[2:3]
	s_and_b64 exec, exec, s[2:3]
	s_cbranch_execz .LBB101_386
; %bb.381:
	v_cmp_ngt_f64_e64 s[2:3], |v[216:217]|, |v[218:219]|
                                        ; implicit-def: $vgpr220_vgpr221
	s_and_saveexec_b64 s[10:11], s[2:3]
	s_xor_b64 s[2:3], exec, s[10:11]
                                        ; implicit-def: $vgpr222_vgpr223
	s_cbranch_execz .LBB101_383
; %bb.382:
	v_div_scale_f64 v[220:221], s[10:11], v[218:219], v[218:219], v[216:217]
	v_rcp_f64_e32 v[222:223], v[220:221]
	v_div_scale_f64 v[224:225], vcc, v[216:217], v[218:219], v[216:217]
	v_fma_f64 v[226:227], -v[220:221], v[222:223], 1.0
	v_fmac_f64_e32 v[222:223], v[222:223], v[226:227]
	v_fma_f64 v[226:227], -v[220:221], v[222:223], 1.0
	v_fmac_f64_e32 v[222:223], v[222:223], v[226:227]
	v_mul_f64 v[226:227], v[224:225], v[222:223]
	v_fma_f64 v[220:221], -v[220:221], v[226:227], v[224:225]
	v_div_fmas_f64 v[220:221], v[220:221], v[222:223], v[226:227]
	v_div_fixup_f64 v[220:221], v[220:221], v[218:219], v[216:217]
	v_fmac_f64_e32 v[218:219], v[216:217], v[220:221]
	v_div_scale_f64 v[216:217], s[10:11], v[218:219], v[218:219], 1.0
	v_rcp_f64_e32 v[222:223], v[216:217]
	s_nop 0
	v_fma_f64 v[224:225], -v[216:217], v[222:223], 1.0
	v_fmac_f64_e32 v[222:223], v[222:223], v[224:225]
	v_fma_f64 v[224:225], -v[216:217], v[222:223], 1.0
	v_fmac_f64_e32 v[222:223], v[222:223], v[224:225]
	v_div_scale_f64 v[224:225], vcc, 1.0, v[218:219], 1.0
	v_mul_f64 v[226:227], v[224:225], v[222:223]
	v_fma_f64 v[216:217], -v[216:217], v[226:227], v[224:225]
	s_nop 1
	v_div_fmas_f64 v[216:217], v[216:217], v[222:223], v[226:227]
	v_div_fixup_f64 v[222:223], v[216:217], v[218:219], 1.0
	v_mul_f64 v[220:221], v[220:221], v[222:223]
	v_xor_b32_e32 v223, 0x80000000, v223
                                        ; implicit-def: $vgpr216_vgpr217
.LBB101_383:
	s_andn2_saveexec_b64 s[2:3], s[2:3]
	s_cbranch_execz .LBB101_385
; %bb.384:
	v_div_scale_f64 v[220:221], s[10:11], v[216:217], v[216:217], v[218:219]
	v_rcp_f64_e32 v[222:223], v[220:221]
	v_div_scale_f64 v[224:225], vcc, v[218:219], v[216:217], v[218:219]
	v_fma_f64 v[226:227], -v[220:221], v[222:223], 1.0
	v_fmac_f64_e32 v[222:223], v[222:223], v[226:227]
	v_fma_f64 v[226:227], -v[220:221], v[222:223], 1.0
	v_fmac_f64_e32 v[222:223], v[222:223], v[226:227]
	v_mul_f64 v[226:227], v[224:225], v[222:223]
	v_fma_f64 v[220:221], -v[220:221], v[226:227], v[224:225]
	v_div_fmas_f64 v[220:221], v[220:221], v[222:223], v[226:227]
	v_div_fixup_f64 v[222:223], v[220:221], v[216:217], v[218:219]
	v_fmac_f64_e32 v[216:217], v[218:219], v[222:223]
	v_div_scale_f64 v[218:219], s[10:11], v[216:217], v[216:217], 1.0
	v_rcp_f64_e32 v[220:221], v[218:219]
	s_nop 0
	v_fma_f64 v[224:225], -v[218:219], v[220:221], 1.0
	v_fmac_f64_e32 v[220:221], v[220:221], v[224:225]
	v_fma_f64 v[224:225], -v[218:219], v[220:221], 1.0
	v_fmac_f64_e32 v[220:221], v[220:221], v[224:225]
	v_div_scale_f64 v[224:225], vcc, 1.0, v[216:217], 1.0
	v_mul_f64 v[226:227], v[224:225], v[220:221]
	v_fma_f64 v[218:219], -v[218:219], v[226:227], v[224:225]
	s_nop 1
	v_div_fmas_f64 v[218:219], v[218:219], v[220:221], v[226:227]
	v_div_fixup_f64 v[220:221], v[218:219], v[216:217], 1.0
	v_mul_f64 v[222:223], v[222:223], -v[220:221]
.LBB101_385:
	s_or_b64 exec, exec, s[2:3]
	ds_write2_b64 v252, v[220:221], v[222:223] offset1:1
.LBB101_386:
	s_or_b64 exec, exec, s[4:5]
	s_waitcnt lgkmcnt(0)
	s_barrier
	ds_read2_b64 v[216:219], v252 offset1:1
	v_cmp_lt_u32_e32 vcc, 42, v254
	s_and_saveexec_b64 s[2:3], vcc
	s_cbranch_execz .LBB101_388
; %bb.387:
	ds_read2_b64 v[222:225], v253 offset0:86 offset1:87
	s_waitcnt lgkmcnt(1)
	v_mul_f64 v[220:221], v[216:217], v[30:31]
	v_fmac_f64_e32 v[220:221], v[218:219], v[28:29]
	v_mul_f64 v[30:31], v[218:219], v[30:31]
	v_fma_f64 v[28:29], v[216:217], v[28:29], -v[30:31]
	s_waitcnt lgkmcnt(0)
	v_mul_f64 v[30:31], v[224:225], v[220:221]
	v_fma_f64 v[30:31], v[222:223], v[28:29], -v[30:31]
	v_mul_f64 v[222:223], v[222:223], v[220:221]
	v_fmac_f64_e32 v[222:223], v[224:225], v[28:29]
	s_waitcnt vmcnt(62)
	v_add_f64 v[26:27], v[26:27], -v[222:223]
	ds_read2_b64 v[222:225], v253 offset0:88 offset1:89
	v_add_f64 v[24:25], v[24:25], -v[30:31]
	s_waitcnt lgkmcnt(0)
	v_mul_f64 v[30:31], v[224:225], v[220:221]
	v_fma_f64 v[30:31], v[222:223], v[28:29], -v[30:31]
	v_mul_f64 v[222:223], v[222:223], v[220:221]
	v_fmac_f64_e32 v[222:223], v[224:225], v[28:29]
	s_waitcnt vmcnt(61)
	v_add_f64 v[22:23], v[22:23], -v[222:223]
	ds_read2_b64 v[222:225], v253 offset0:90 offset1:91
	v_add_f64 v[20:21], v[20:21], -v[30:31]
	;; [unrolled: 9-line block ×5, first 2 shown]
	s_waitcnt lgkmcnt(0)
	v_mul_f64 v[30:31], v[224:225], v[220:221]
	v_fma_f64 v[30:31], v[222:223], v[28:29], -v[30:31]
	v_mul_f64 v[222:223], v[222:223], v[220:221]
	v_fmac_f64_e32 v[222:223], v[224:225], v[28:29]
	v_add_f64 v[6:7], v[6:7], -v[222:223]
	ds_read2_b64 v[222:225], v253 offset0:98 offset1:99
	v_add_f64 v[4:5], v[4:5], -v[30:31]
	s_waitcnt lgkmcnt(0)
	v_mul_f64 v[30:31], v[224:225], v[220:221]
	v_fma_f64 v[30:31], v[222:223], v[28:29], -v[30:31]
	v_mul_f64 v[222:223], v[222:223], v[220:221]
	v_fmac_f64_e32 v[222:223], v[224:225], v[28:29]
	v_add_f64 v[2:3], v[2:3], -v[222:223]
	ds_read2_b64 v[222:225], v253 offset0:100 offset1:101
	v_add_f64 v[0:1], v[0:1], -v[30:31]
	s_waitcnt lgkmcnt(0)
	v_mul_f64 v[30:31], v[224:225], v[220:221]
	v_fma_f64 v[30:31], v[222:223], v[28:29], -v[30:31]
	v_mul_f64 v[222:223], v[222:223], v[220:221]
	v_fmac_f64_e32 v[222:223], v[224:225], v[28:29]
	s_waitcnt vmcnt(55)
	v_add_f64 v[200:201], v[200:201], -v[30:31]
	v_add_f64 v[202:203], v[202:203], -v[222:223]
	v_mov_b64_e32 v[30:31], v[220:221]
.LBB101_388:
	s_or_b64 exec, exec, s[2:3]
	v_cmp_eq_u32_e32 vcc, 43, v254
	s_waitcnt lgkmcnt(0)
	s_barrier
	s_and_saveexec_b64 s[4:5], vcc
	s_cbranch_execz .LBB101_395
; %bb.389:
	s_waitcnt vmcnt(62)
	ds_write2_b64 v252, v[24:25], v[26:27] offset1:1
	s_waitcnt vmcnt(61)
	ds_write2_b64 v253, v[20:21], v[22:23] offset0:88 offset1:89
	s_waitcnt vmcnt(60)
	ds_write2_b64 v253, v[16:17], v[18:19] offset0:90 offset1:91
	;; [unrolled: 2-line block ×4, first 2 shown]
	ds_write2_b64 v253, v[4:5], v[6:7] offset0:96 offset1:97
	ds_write2_b64 v253, v[0:1], v[2:3] offset0:98 offset1:99
	s_waitcnt vmcnt(55)
	ds_write2_b64 v253, v[200:201], v[202:203] offset0:100 offset1:101
	ds_read2_b64 v[220:223], v252 offset1:1
	s_waitcnt lgkmcnt(0)
	v_cmp_neq_f64_e32 vcc, 0, v[220:221]
	v_cmp_neq_f64_e64 s[2:3], 0, v[222:223]
	s_or_b64 s[2:3], vcc, s[2:3]
	s_and_b64 exec, exec, s[2:3]
	s_cbranch_execz .LBB101_395
; %bb.390:
	v_cmp_ngt_f64_e64 s[2:3], |v[220:221]|, |v[222:223]|
                                        ; implicit-def: $vgpr224_vgpr225
	s_and_saveexec_b64 s[10:11], s[2:3]
	s_xor_b64 s[2:3], exec, s[10:11]
                                        ; implicit-def: $vgpr226_vgpr227
	s_cbranch_execz .LBB101_392
; %bb.391:
	v_div_scale_f64 v[224:225], s[10:11], v[222:223], v[222:223], v[220:221]
	v_rcp_f64_e32 v[226:227], v[224:225]
	v_div_scale_f64 v[228:229], vcc, v[220:221], v[222:223], v[220:221]
	v_fma_f64 v[230:231], -v[224:225], v[226:227], 1.0
	v_fmac_f64_e32 v[226:227], v[226:227], v[230:231]
	v_fma_f64 v[230:231], -v[224:225], v[226:227], 1.0
	v_fmac_f64_e32 v[226:227], v[226:227], v[230:231]
	v_mul_f64 v[230:231], v[228:229], v[226:227]
	v_fma_f64 v[224:225], -v[224:225], v[230:231], v[228:229]
	v_div_fmas_f64 v[224:225], v[224:225], v[226:227], v[230:231]
	v_div_fixup_f64 v[224:225], v[224:225], v[222:223], v[220:221]
	v_fmac_f64_e32 v[222:223], v[220:221], v[224:225]
	v_div_scale_f64 v[220:221], s[10:11], v[222:223], v[222:223], 1.0
	v_rcp_f64_e32 v[226:227], v[220:221]
	s_nop 0
	v_fma_f64 v[228:229], -v[220:221], v[226:227], 1.0
	v_fmac_f64_e32 v[226:227], v[226:227], v[228:229]
	v_fma_f64 v[228:229], -v[220:221], v[226:227], 1.0
	v_fmac_f64_e32 v[226:227], v[226:227], v[228:229]
	v_div_scale_f64 v[228:229], vcc, 1.0, v[222:223], 1.0
	v_mul_f64 v[230:231], v[228:229], v[226:227]
	v_fma_f64 v[220:221], -v[220:221], v[230:231], v[228:229]
	s_nop 1
	v_div_fmas_f64 v[220:221], v[220:221], v[226:227], v[230:231]
	v_div_fixup_f64 v[226:227], v[220:221], v[222:223], 1.0
	v_mul_f64 v[224:225], v[224:225], v[226:227]
	v_xor_b32_e32 v227, 0x80000000, v227
                                        ; implicit-def: $vgpr220_vgpr221
.LBB101_392:
	s_andn2_saveexec_b64 s[2:3], s[2:3]
	s_cbranch_execz .LBB101_394
; %bb.393:
	v_div_scale_f64 v[224:225], s[10:11], v[220:221], v[220:221], v[222:223]
	v_rcp_f64_e32 v[226:227], v[224:225]
	v_div_scale_f64 v[228:229], vcc, v[222:223], v[220:221], v[222:223]
	v_fma_f64 v[230:231], -v[224:225], v[226:227], 1.0
	v_fmac_f64_e32 v[226:227], v[226:227], v[230:231]
	v_fma_f64 v[230:231], -v[224:225], v[226:227], 1.0
	v_fmac_f64_e32 v[226:227], v[226:227], v[230:231]
	v_mul_f64 v[230:231], v[228:229], v[226:227]
	v_fma_f64 v[224:225], -v[224:225], v[230:231], v[228:229]
	v_div_fmas_f64 v[224:225], v[224:225], v[226:227], v[230:231]
	v_div_fixup_f64 v[226:227], v[224:225], v[220:221], v[222:223]
	v_fmac_f64_e32 v[220:221], v[222:223], v[226:227]
	v_div_scale_f64 v[222:223], s[10:11], v[220:221], v[220:221], 1.0
	v_rcp_f64_e32 v[224:225], v[222:223]
	s_nop 0
	v_fma_f64 v[228:229], -v[222:223], v[224:225], 1.0
	v_fmac_f64_e32 v[224:225], v[224:225], v[228:229]
	v_fma_f64 v[228:229], -v[222:223], v[224:225], 1.0
	v_fmac_f64_e32 v[224:225], v[224:225], v[228:229]
	v_div_scale_f64 v[228:229], vcc, 1.0, v[220:221], 1.0
	v_mul_f64 v[230:231], v[228:229], v[224:225]
	v_fma_f64 v[222:223], -v[222:223], v[230:231], v[228:229]
	s_nop 1
	v_div_fmas_f64 v[222:223], v[222:223], v[224:225], v[230:231]
	v_div_fixup_f64 v[224:225], v[222:223], v[220:221], 1.0
	v_mul_f64 v[226:227], v[226:227], -v[224:225]
.LBB101_394:
	s_or_b64 exec, exec, s[2:3]
	ds_write2_b64 v252, v[224:225], v[226:227] offset1:1
.LBB101_395:
	s_or_b64 exec, exec, s[4:5]
	s_waitcnt lgkmcnt(0)
	s_barrier
	ds_read2_b64 v[220:223], v252 offset1:1
	v_cmp_lt_u32_e32 vcc, 43, v254
	s_and_saveexec_b64 s[2:3], vcc
	s_cbranch_execz .LBB101_397
; %bb.396:
	ds_read2_b64 v[226:229], v253 offset0:88 offset1:89
	s_waitcnt vmcnt(62) lgkmcnt(1)
	v_mul_f64 v[224:225], v[220:221], v[26:27]
	v_fmac_f64_e32 v[224:225], v[222:223], v[24:25]
	v_mul_f64 v[26:27], v[222:223], v[26:27]
	v_fma_f64 v[24:25], v[220:221], v[24:25], -v[26:27]
	s_waitcnt lgkmcnt(0)
	v_mul_f64 v[26:27], v[228:229], v[224:225]
	v_fma_f64 v[26:27], v[226:227], v[24:25], -v[26:27]
	v_mul_f64 v[226:227], v[226:227], v[224:225]
	v_fmac_f64_e32 v[226:227], v[228:229], v[24:25]
	s_waitcnt vmcnt(61)
	v_add_f64 v[22:23], v[22:23], -v[226:227]
	ds_read2_b64 v[226:229], v253 offset0:90 offset1:91
	v_add_f64 v[20:21], v[20:21], -v[26:27]
	s_waitcnt lgkmcnt(0)
	v_mul_f64 v[26:27], v[228:229], v[224:225]
	v_fma_f64 v[26:27], v[226:227], v[24:25], -v[26:27]
	v_mul_f64 v[226:227], v[226:227], v[224:225]
	v_fmac_f64_e32 v[226:227], v[228:229], v[24:25]
	s_waitcnt vmcnt(60)
	v_add_f64 v[18:19], v[18:19], -v[226:227]
	ds_read2_b64 v[226:229], v253 offset0:92 offset1:93
	v_add_f64 v[16:17], v[16:17], -v[26:27]
	;; [unrolled: 9-line block ×4, first 2 shown]
	s_waitcnt lgkmcnt(0)
	v_mul_f64 v[26:27], v[228:229], v[224:225]
	v_fma_f64 v[26:27], v[226:227], v[24:25], -v[26:27]
	v_mul_f64 v[226:227], v[226:227], v[224:225]
	v_fmac_f64_e32 v[226:227], v[228:229], v[24:25]
	v_add_f64 v[6:7], v[6:7], -v[226:227]
	ds_read2_b64 v[226:229], v253 offset0:98 offset1:99
	v_add_f64 v[4:5], v[4:5], -v[26:27]
	s_waitcnt lgkmcnt(0)
	v_mul_f64 v[26:27], v[228:229], v[224:225]
	v_fma_f64 v[26:27], v[226:227], v[24:25], -v[26:27]
	v_mul_f64 v[226:227], v[226:227], v[224:225]
	v_fmac_f64_e32 v[226:227], v[228:229], v[24:25]
	v_add_f64 v[2:3], v[2:3], -v[226:227]
	ds_read2_b64 v[226:229], v253 offset0:100 offset1:101
	v_add_f64 v[0:1], v[0:1], -v[26:27]
	s_waitcnt lgkmcnt(0)
	v_mul_f64 v[26:27], v[228:229], v[224:225]
	v_fma_f64 v[26:27], v[226:227], v[24:25], -v[26:27]
	v_mul_f64 v[226:227], v[226:227], v[224:225]
	v_fmac_f64_e32 v[226:227], v[228:229], v[24:25]
	s_waitcnt vmcnt(55)
	v_add_f64 v[200:201], v[200:201], -v[26:27]
	v_add_f64 v[202:203], v[202:203], -v[226:227]
	v_mov_b64_e32 v[26:27], v[224:225]
.LBB101_397:
	s_or_b64 exec, exec, s[2:3]
	v_cmp_eq_u32_e32 vcc, 44, v254
	s_waitcnt lgkmcnt(0)
	s_barrier
	s_and_saveexec_b64 s[4:5], vcc
	s_cbranch_execz .LBB101_404
; %bb.398:
	s_waitcnt vmcnt(61)
	ds_write2_b64 v252, v[20:21], v[22:23] offset1:1
	s_waitcnt vmcnt(60)
	ds_write2_b64 v253, v[16:17], v[18:19] offset0:90 offset1:91
	s_waitcnt vmcnt(59)
	ds_write2_b64 v253, v[12:13], v[14:15] offset0:92 offset1:93
	;; [unrolled: 2-line block ×3, first 2 shown]
	ds_write2_b64 v253, v[4:5], v[6:7] offset0:96 offset1:97
	ds_write2_b64 v253, v[0:1], v[2:3] offset0:98 offset1:99
	s_waitcnt vmcnt(55)
	ds_write2_b64 v253, v[200:201], v[202:203] offset0:100 offset1:101
	ds_read2_b64 v[224:227], v252 offset1:1
	s_waitcnt lgkmcnt(0)
	v_cmp_neq_f64_e32 vcc, 0, v[224:225]
	v_cmp_neq_f64_e64 s[2:3], 0, v[226:227]
	s_or_b64 s[2:3], vcc, s[2:3]
	s_and_b64 exec, exec, s[2:3]
	s_cbranch_execz .LBB101_404
; %bb.399:
	v_cmp_ngt_f64_e64 s[2:3], |v[224:225]|, |v[226:227]|
                                        ; implicit-def: $vgpr228_vgpr229
	s_and_saveexec_b64 s[10:11], s[2:3]
	s_xor_b64 s[2:3], exec, s[10:11]
                                        ; implicit-def: $vgpr230_vgpr231
	s_cbranch_execz .LBB101_401
; %bb.400:
	v_div_scale_f64 v[228:229], s[10:11], v[226:227], v[226:227], v[224:225]
	v_rcp_f64_e32 v[230:231], v[228:229]
	v_div_scale_f64 v[232:233], vcc, v[224:225], v[226:227], v[224:225]
	v_fma_f64 v[234:235], -v[228:229], v[230:231], 1.0
	v_fmac_f64_e32 v[230:231], v[230:231], v[234:235]
	v_fma_f64 v[234:235], -v[228:229], v[230:231], 1.0
	v_fmac_f64_e32 v[230:231], v[230:231], v[234:235]
	v_mul_f64 v[234:235], v[232:233], v[230:231]
	v_fma_f64 v[228:229], -v[228:229], v[234:235], v[232:233]
	v_div_fmas_f64 v[228:229], v[228:229], v[230:231], v[234:235]
	v_div_fixup_f64 v[228:229], v[228:229], v[226:227], v[224:225]
	v_fmac_f64_e32 v[226:227], v[224:225], v[228:229]
	v_div_scale_f64 v[224:225], s[10:11], v[226:227], v[226:227], 1.0
	v_rcp_f64_e32 v[230:231], v[224:225]
	s_nop 0
	v_fma_f64 v[232:233], -v[224:225], v[230:231], 1.0
	v_fmac_f64_e32 v[230:231], v[230:231], v[232:233]
	v_fma_f64 v[232:233], -v[224:225], v[230:231], 1.0
	v_fmac_f64_e32 v[230:231], v[230:231], v[232:233]
	v_div_scale_f64 v[232:233], vcc, 1.0, v[226:227], 1.0
	v_mul_f64 v[234:235], v[232:233], v[230:231]
	v_fma_f64 v[224:225], -v[224:225], v[234:235], v[232:233]
	s_nop 1
	v_div_fmas_f64 v[224:225], v[224:225], v[230:231], v[234:235]
	v_div_fixup_f64 v[230:231], v[224:225], v[226:227], 1.0
	v_mul_f64 v[228:229], v[228:229], v[230:231]
	v_xor_b32_e32 v231, 0x80000000, v231
                                        ; implicit-def: $vgpr224_vgpr225
.LBB101_401:
	s_andn2_saveexec_b64 s[2:3], s[2:3]
	s_cbranch_execz .LBB101_403
; %bb.402:
	v_div_scale_f64 v[228:229], s[10:11], v[224:225], v[224:225], v[226:227]
	v_rcp_f64_e32 v[230:231], v[228:229]
	v_div_scale_f64 v[232:233], vcc, v[226:227], v[224:225], v[226:227]
	v_fma_f64 v[234:235], -v[228:229], v[230:231], 1.0
	v_fmac_f64_e32 v[230:231], v[230:231], v[234:235]
	v_fma_f64 v[234:235], -v[228:229], v[230:231], 1.0
	v_fmac_f64_e32 v[230:231], v[230:231], v[234:235]
	v_mul_f64 v[234:235], v[232:233], v[230:231]
	v_fma_f64 v[228:229], -v[228:229], v[234:235], v[232:233]
	v_div_fmas_f64 v[228:229], v[228:229], v[230:231], v[234:235]
	v_div_fixup_f64 v[230:231], v[228:229], v[224:225], v[226:227]
	v_fmac_f64_e32 v[224:225], v[226:227], v[230:231]
	v_div_scale_f64 v[226:227], s[10:11], v[224:225], v[224:225], 1.0
	v_rcp_f64_e32 v[228:229], v[226:227]
	s_nop 0
	v_fma_f64 v[232:233], -v[226:227], v[228:229], 1.0
	v_fmac_f64_e32 v[228:229], v[228:229], v[232:233]
	v_fma_f64 v[232:233], -v[226:227], v[228:229], 1.0
	v_fmac_f64_e32 v[228:229], v[228:229], v[232:233]
	v_div_scale_f64 v[232:233], vcc, 1.0, v[224:225], 1.0
	v_mul_f64 v[234:235], v[232:233], v[228:229]
	v_fma_f64 v[226:227], -v[226:227], v[234:235], v[232:233]
	s_nop 1
	v_div_fmas_f64 v[226:227], v[226:227], v[228:229], v[234:235]
	v_div_fixup_f64 v[228:229], v[226:227], v[224:225], 1.0
	v_mul_f64 v[230:231], v[230:231], -v[228:229]
.LBB101_403:
	s_or_b64 exec, exec, s[2:3]
	ds_write2_b64 v252, v[228:229], v[230:231] offset1:1
.LBB101_404:
	s_or_b64 exec, exec, s[4:5]
	s_waitcnt lgkmcnt(0)
	s_barrier
	ds_read2_b64 v[224:227], v252 offset1:1
	v_cmp_lt_u32_e32 vcc, 44, v254
	s_and_saveexec_b64 s[2:3], vcc
	s_cbranch_execz .LBB101_406
; %bb.405:
	ds_read2_b64 v[228:231], v253 offset0:90 offset1:91
	s_waitcnt vmcnt(61) lgkmcnt(1)
	v_mul_f64 v[232:233], v[224:225], v[22:23]
	v_fmac_f64_e32 v[232:233], v[226:227], v[20:21]
	v_mul_f64 v[22:23], v[226:227], v[22:23]
	v_fma_f64 v[20:21], v[224:225], v[20:21], -v[22:23]
	s_waitcnt lgkmcnt(0)
	v_mul_f64 v[22:23], v[230:231], v[232:233]
	v_fma_f64 v[22:23], v[228:229], v[20:21], -v[22:23]
	v_mul_f64 v[228:229], v[228:229], v[232:233]
	v_fmac_f64_e32 v[228:229], v[230:231], v[20:21]
	s_waitcnt vmcnt(60)
	v_add_f64 v[18:19], v[18:19], -v[228:229]
	ds_read2_b64 v[228:231], v253 offset0:92 offset1:93
	v_add_f64 v[16:17], v[16:17], -v[22:23]
	s_waitcnt lgkmcnt(0)
	v_mul_f64 v[22:23], v[230:231], v[232:233]
	v_fma_f64 v[22:23], v[228:229], v[20:21], -v[22:23]
	v_mul_f64 v[228:229], v[228:229], v[232:233]
	v_fmac_f64_e32 v[228:229], v[230:231], v[20:21]
	s_waitcnt vmcnt(59)
	v_add_f64 v[14:15], v[14:15], -v[228:229]
	ds_read2_b64 v[228:231], v253 offset0:94 offset1:95
	v_add_f64 v[12:13], v[12:13], -v[22:23]
	;; [unrolled: 9-line block ×3, first 2 shown]
	s_waitcnt lgkmcnt(0)
	v_mul_f64 v[22:23], v[230:231], v[232:233]
	v_fma_f64 v[22:23], v[228:229], v[20:21], -v[22:23]
	v_mul_f64 v[228:229], v[228:229], v[232:233]
	v_fmac_f64_e32 v[228:229], v[230:231], v[20:21]
	v_add_f64 v[6:7], v[6:7], -v[228:229]
	ds_read2_b64 v[228:231], v253 offset0:98 offset1:99
	v_add_f64 v[4:5], v[4:5], -v[22:23]
	s_waitcnt lgkmcnt(0)
	v_mul_f64 v[22:23], v[230:231], v[232:233]
	v_fma_f64 v[22:23], v[228:229], v[20:21], -v[22:23]
	v_mul_f64 v[228:229], v[228:229], v[232:233]
	v_fmac_f64_e32 v[228:229], v[230:231], v[20:21]
	v_add_f64 v[2:3], v[2:3], -v[228:229]
	ds_read2_b64 v[228:231], v253 offset0:100 offset1:101
	v_add_f64 v[0:1], v[0:1], -v[22:23]
	s_waitcnt lgkmcnt(0)
	v_mul_f64 v[22:23], v[230:231], v[232:233]
	v_fma_f64 v[22:23], v[228:229], v[20:21], -v[22:23]
	v_mul_f64 v[228:229], v[228:229], v[232:233]
	v_fmac_f64_e32 v[228:229], v[230:231], v[20:21]
	s_waitcnt vmcnt(55)
	v_add_f64 v[200:201], v[200:201], -v[22:23]
	v_add_f64 v[202:203], v[202:203], -v[228:229]
	v_mov_b64_e32 v[22:23], v[232:233]
.LBB101_406:
	s_or_b64 exec, exec, s[2:3]
	v_cmp_eq_u32_e32 vcc, 45, v254
	s_waitcnt lgkmcnt(0)
	s_barrier
	s_and_saveexec_b64 s[4:5], vcc
	s_cbranch_execz .LBB101_413
; %bb.407:
	s_waitcnt vmcnt(60)
	ds_write2_b64 v252, v[16:17], v[18:19] offset1:1
	s_waitcnt vmcnt(59)
	ds_write2_b64 v253, v[12:13], v[14:15] offset0:92 offset1:93
	s_waitcnt vmcnt(58)
	ds_write2_b64 v253, v[8:9], v[10:11] offset0:94 offset1:95
	ds_write2_b64 v253, v[4:5], v[6:7] offset0:96 offset1:97
	;; [unrolled: 1-line block ×3, first 2 shown]
	s_waitcnt vmcnt(55)
	ds_write2_b64 v253, v[200:201], v[202:203] offset0:100 offset1:101
	ds_read2_b64 v[228:231], v252 offset1:1
	s_waitcnt lgkmcnt(0)
	v_cmp_neq_f64_e32 vcc, 0, v[228:229]
	v_cmp_neq_f64_e64 s[2:3], 0, v[230:231]
	s_or_b64 s[2:3], vcc, s[2:3]
	s_and_b64 exec, exec, s[2:3]
	s_cbranch_execz .LBB101_413
; %bb.408:
	v_cmp_ngt_f64_e64 s[2:3], |v[228:229]|, |v[230:231]|
                                        ; implicit-def: $vgpr232_vgpr233
	s_and_saveexec_b64 s[10:11], s[2:3]
	s_xor_b64 s[2:3], exec, s[10:11]
                                        ; implicit-def: $vgpr234_vgpr235
	s_cbranch_execz .LBB101_410
; %bb.409:
	v_div_scale_f64 v[232:233], s[10:11], v[230:231], v[230:231], v[228:229]
	v_rcp_f64_e32 v[234:235], v[232:233]
	v_div_scale_f64 v[236:237], vcc, v[228:229], v[230:231], v[228:229]
	v_fma_f64 v[238:239], -v[232:233], v[234:235], 1.0
	v_fmac_f64_e32 v[234:235], v[234:235], v[238:239]
	v_fma_f64 v[238:239], -v[232:233], v[234:235], 1.0
	v_fmac_f64_e32 v[234:235], v[234:235], v[238:239]
	v_mul_f64 v[238:239], v[236:237], v[234:235]
	v_fma_f64 v[232:233], -v[232:233], v[238:239], v[236:237]
	v_div_fmas_f64 v[232:233], v[232:233], v[234:235], v[238:239]
	v_div_fixup_f64 v[232:233], v[232:233], v[230:231], v[228:229]
	v_fmac_f64_e32 v[230:231], v[228:229], v[232:233]
	v_div_scale_f64 v[228:229], s[10:11], v[230:231], v[230:231], 1.0
	v_rcp_f64_e32 v[234:235], v[228:229]
	s_nop 0
	v_fma_f64 v[236:237], -v[228:229], v[234:235], 1.0
	v_fmac_f64_e32 v[234:235], v[234:235], v[236:237]
	v_fma_f64 v[236:237], -v[228:229], v[234:235], 1.0
	v_fmac_f64_e32 v[234:235], v[234:235], v[236:237]
	v_div_scale_f64 v[236:237], vcc, 1.0, v[230:231], 1.0
	v_mul_f64 v[238:239], v[236:237], v[234:235]
	v_fma_f64 v[228:229], -v[228:229], v[238:239], v[236:237]
	s_nop 1
	v_div_fmas_f64 v[228:229], v[228:229], v[234:235], v[238:239]
	v_div_fixup_f64 v[234:235], v[228:229], v[230:231], 1.0
	v_mul_f64 v[232:233], v[232:233], v[234:235]
	v_xor_b32_e32 v235, 0x80000000, v235
                                        ; implicit-def: $vgpr228_vgpr229
.LBB101_410:
	s_andn2_saveexec_b64 s[2:3], s[2:3]
	s_cbranch_execz .LBB101_412
; %bb.411:
	v_div_scale_f64 v[232:233], s[10:11], v[228:229], v[228:229], v[230:231]
	v_rcp_f64_e32 v[234:235], v[232:233]
	v_div_scale_f64 v[236:237], vcc, v[230:231], v[228:229], v[230:231]
	v_fma_f64 v[238:239], -v[232:233], v[234:235], 1.0
	v_fmac_f64_e32 v[234:235], v[234:235], v[238:239]
	v_fma_f64 v[238:239], -v[232:233], v[234:235], 1.0
	v_fmac_f64_e32 v[234:235], v[234:235], v[238:239]
	v_mul_f64 v[238:239], v[236:237], v[234:235]
	v_fma_f64 v[232:233], -v[232:233], v[238:239], v[236:237]
	v_div_fmas_f64 v[232:233], v[232:233], v[234:235], v[238:239]
	v_div_fixup_f64 v[234:235], v[232:233], v[228:229], v[230:231]
	v_fmac_f64_e32 v[228:229], v[230:231], v[234:235]
	v_div_scale_f64 v[230:231], s[10:11], v[228:229], v[228:229], 1.0
	v_rcp_f64_e32 v[232:233], v[230:231]
	s_nop 0
	v_fma_f64 v[236:237], -v[230:231], v[232:233], 1.0
	v_fmac_f64_e32 v[232:233], v[232:233], v[236:237]
	v_fma_f64 v[236:237], -v[230:231], v[232:233], 1.0
	v_fmac_f64_e32 v[232:233], v[232:233], v[236:237]
	v_div_scale_f64 v[236:237], vcc, 1.0, v[228:229], 1.0
	v_mul_f64 v[238:239], v[236:237], v[232:233]
	v_fma_f64 v[230:231], -v[230:231], v[238:239], v[236:237]
	s_nop 1
	v_div_fmas_f64 v[230:231], v[230:231], v[232:233], v[238:239]
	v_div_fixup_f64 v[232:233], v[230:231], v[228:229], 1.0
	v_mul_f64 v[234:235], v[234:235], -v[232:233]
.LBB101_412:
	s_or_b64 exec, exec, s[2:3]
	ds_write2_b64 v252, v[232:233], v[234:235] offset1:1
.LBB101_413:
	s_or_b64 exec, exec, s[4:5]
	s_waitcnt lgkmcnt(0)
	s_barrier
	ds_read2_b64 v[228:231], v252 offset1:1
	v_cmp_lt_u32_e32 vcc, 45, v254
	s_and_saveexec_b64 s[2:3], vcc
	s_cbranch_execz .LBB101_415
; %bb.414:
	ds_read2_b64 v[232:235], v253 offset0:92 offset1:93
	s_waitcnt vmcnt(60) lgkmcnt(1)
	v_mul_f64 v[236:237], v[228:229], v[18:19]
	v_fmac_f64_e32 v[236:237], v[230:231], v[16:17]
	v_mul_f64 v[18:19], v[230:231], v[18:19]
	v_fma_f64 v[16:17], v[228:229], v[16:17], -v[18:19]
	s_waitcnt lgkmcnt(0)
	v_mul_f64 v[18:19], v[234:235], v[236:237]
	v_fma_f64 v[18:19], v[232:233], v[16:17], -v[18:19]
	v_mul_f64 v[232:233], v[232:233], v[236:237]
	v_fmac_f64_e32 v[232:233], v[234:235], v[16:17]
	s_waitcnt vmcnt(59)
	v_add_f64 v[14:15], v[14:15], -v[232:233]
	ds_read2_b64 v[232:235], v253 offset0:94 offset1:95
	v_add_f64 v[12:13], v[12:13], -v[18:19]
	s_waitcnt lgkmcnt(0)
	v_mul_f64 v[18:19], v[234:235], v[236:237]
	v_fma_f64 v[18:19], v[232:233], v[16:17], -v[18:19]
	v_mul_f64 v[232:233], v[232:233], v[236:237]
	v_fmac_f64_e32 v[232:233], v[234:235], v[16:17]
	s_waitcnt vmcnt(58)
	v_add_f64 v[10:11], v[10:11], -v[232:233]
	ds_read2_b64 v[232:235], v253 offset0:96 offset1:97
	v_add_f64 v[8:9], v[8:9], -v[18:19]
	s_waitcnt lgkmcnt(0)
	v_mul_f64 v[18:19], v[234:235], v[236:237]
	v_fma_f64 v[18:19], v[232:233], v[16:17], -v[18:19]
	v_mul_f64 v[232:233], v[232:233], v[236:237]
	v_fmac_f64_e32 v[232:233], v[234:235], v[16:17]
	v_add_f64 v[6:7], v[6:7], -v[232:233]
	ds_read2_b64 v[232:235], v253 offset0:98 offset1:99
	v_add_f64 v[4:5], v[4:5], -v[18:19]
	s_waitcnt lgkmcnt(0)
	v_mul_f64 v[18:19], v[234:235], v[236:237]
	v_fma_f64 v[18:19], v[232:233], v[16:17], -v[18:19]
	v_mul_f64 v[232:233], v[232:233], v[236:237]
	v_fmac_f64_e32 v[232:233], v[234:235], v[16:17]
	;; [unrolled: 8-line block ×3, first 2 shown]
	s_waitcnt vmcnt(55)
	v_add_f64 v[200:201], v[200:201], -v[18:19]
	v_add_f64 v[202:203], v[202:203], -v[232:233]
	v_mov_b64_e32 v[18:19], v[236:237]
.LBB101_415:
	s_or_b64 exec, exec, s[2:3]
	v_cmp_eq_u32_e32 vcc, 46, v254
	s_waitcnt lgkmcnt(0)
	s_barrier
	s_and_saveexec_b64 s[4:5], vcc
	s_cbranch_execz .LBB101_422
; %bb.416:
	s_waitcnt vmcnt(59)
	ds_write2_b64 v252, v[12:13], v[14:15] offset1:1
	s_waitcnt vmcnt(58)
	ds_write2_b64 v253, v[8:9], v[10:11] offset0:94 offset1:95
	ds_write2_b64 v253, v[4:5], v[6:7] offset0:96 offset1:97
	;; [unrolled: 1-line block ×3, first 2 shown]
	s_waitcnt vmcnt(55)
	ds_write2_b64 v253, v[200:201], v[202:203] offset0:100 offset1:101
	ds_read2_b64 v[232:235], v252 offset1:1
	s_waitcnt lgkmcnt(0)
	v_cmp_neq_f64_e32 vcc, 0, v[232:233]
	v_cmp_neq_f64_e64 s[2:3], 0, v[234:235]
	s_or_b64 s[2:3], vcc, s[2:3]
	s_and_b64 exec, exec, s[2:3]
	s_cbranch_execz .LBB101_422
; %bb.417:
	v_cmp_ngt_f64_e64 s[2:3], |v[232:233]|, |v[234:235]|
                                        ; implicit-def: $vgpr236_vgpr237
	s_and_saveexec_b64 s[10:11], s[2:3]
	s_xor_b64 s[2:3], exec, s[10:11]
                                        ; implicit-def: $vgpr238_vgpr239
	s_cbranch_execz .LBB101_419
; %bb.418:
	v_div_scale_f64 v[236:237], s[10:11], v[234:235], v[234:235], v[232:233]
	v_rcp_f64_e32 v[238:239], v[236:237]
	v_div_scale_f64 v[240:241], vcc, v[232:233], v[234:235], v[232:233]
	v_fma_f64 v[242:243], -v[236:237], v[238:239], 1.0
	v_fmac_f64_e32 v[238:239], v[238:239], v[242:243]
	v_fma_f64 v[242:243], -v[236:237], v[238:239], 1.0
	v_fmac_f64_e32 v[238:239], v[238:239], v[242:243]
	v_mul_f64 v[242:243], v[240:241], v[238:239]
	v_fma_f64 v[236:237], -v[236:237], v[242:243], v[240:241]
	v_div_fmas_f64 v[236:237], v[236:237], v[238:239], v[242:243]
	v_div_fixup_f64 v[236:237], v[236:237], v[234:235], v[232:233]
	v_fmac_f64_e32 v[234:235], v[232:233], v[236:237]
	v_div_scale_f64 v[232:233], s[10:11], v[234:235], v[234:235], 1.0
	v_rcp_f64_e32 v[238:239], v[232:233]
	s_nop 0
	v_fma_f64 v[240:241], -v[232:233], v[238:239], 1.0
	v_fmac_f64_e32 v[238:239], v[238:239], v[240:241]
	v_fma_f64 v[240:241], -v[232:233], v[238:239], 1.0
	v_fmac_f64_e32 v[238:239], v[238:239], v[240:241]
	v_div_scale_f64 v[240:241], vcc, 1.0, v[234:235], 1.0
	v_mul_f64 v[242:243], v[240:241], v[238:239]
	v_fma_f64 v[232:233], -v[232:233], v[242:243], v[240:241]
	s_nop 1
	v_div_fmas_f64 v[232:233], v[232:233], v[238:239], v[242:243]
	v_div_fixup_f64 v[238:239], v[232:233], v[234:235], 1.0
	v_mul_f64 v[236:237], v[236:237], v[238:239]
	v_xor_b32_e32 v239, 0x80000000, v239
                                        ; implicit-def: $vgpr232_vgpr233
.LBB101_419:
	s_andn2_saveexec_b64 s[2:3], s[2:3]
	s_cbranch_execz .LBB101_421
; %bb.420:
	v_div_scale_f64 v[236:237], s[10:11], v[232:233], v[232:233], v[234:235]
	v_rcp_f64_e32 v[238:239], v[236:237]
	v_div_scale_f64 v[240:241], vcc, v[234:235], v[232:233], v[234:235]
	v_fma_f64 v[242:243], -v[236:237], v[238:239], 1.0
	v_fmac_f64_e32 v[238:239], v[238:239], v[242:243]
	v_fma_f64 v[242:243], -v[236:237], v[238:239], 1.0
	v_fmac_f64_e32 v[238:239], v[238:239], v[242:243]
	v_mul_f64 v[242:243], v[240:241], v[238:239]
	v_fma_f64 v[236:237], -v[236:237], v[242:243], v[240:241]
	v_div_fmas_f64 v[236:237], v[236:237], v[238:239], v[242:243]
	v_div_fixup_f64 v[238:239], v[236:237], v[232:233], v[234:235]
	v_fmac_f64_e32 v[232:233], v[234:235], v[238:239]
	v_div_scale_f64 v[234:235], s[10:11], v[232:233], v[232:233], 1.0
	v_rcp_f64_e32 v[236:237], v[234:235]
	s_nop 0
	v_fma_f64 v[240:241], -v[234:235], v[236:237], 1.0
	v_fmac_f64_e32 v[236:237], v[236:237], v[240:241]
	v_fma_f64 v[240:241], -v[234:235], v[236:237], 1.0
	v_fmac_f64_e32 v[236:237], v[236:237], v[240:241]
	v_div_scale_f64 v[240:241], vcc, 1.0, v[232:233], 1.0
	v_mul_f64 v[242:243], v[240:241], v[236:237]
	v_fma_f64 v[234:235], -v[234:235], v[242:243], v[240:241]
	s_nop 1
	v_div_fmas_f64 v[234:235], v[234:235], v[236:237], v[242:243]
	v_div_fixup_f64 v[236:237], v[234:235], v[232:233], 1.0
	v_mul_f64 v[238:239], v[238:239], -v[236:237]
.LBB101_421:
	s_or_b64 exec, exec, s[2:3]
	ds_write2_b64 v252, v[236:237], v[238:239] offset1:1
.LBB101_422:
	s_or_b64 exec, exec, s[4:5]
	s_waitcnt lgkmcnt(0)
	s_barrier
	ds_read2_b64 v[232:235], v252 offset1:1
	v_cmp_lt_u32_e32 vcc, 46, v254
	s_and_saveexec_b64 s[2:3], vcc
	s_cbranch_execz .LBB101_424
; %bb.423:
	ds_read2_b64 v[236:239], v253 offset0:94 offset1:95
	s_waitcnt vmcnt(59) lgkmcnt(1)
	v_mul_f64 v[240:241], v[232:233], v[14:15]
	v_fmac_f64_e32 v[240:241], v[234:235], v[12:13]
	v_mul_f64 v[14:15], v[234:235], v[14:15]
	v_fma_f64 v[12:13], v[232:233], v[12:13], -v[14:15]
	s_waitcnt lgkmcnt(0)
	v_mul_f64 v[14:15], v[238:239], v[240:241]
	v_fma_f64 v[14:15], v[236:237], v[12:13], -v[14:15]
	v_mul_f64 v[236:237], v[236:237], v[240:241]
	v_fmac_f64_e32 v[236:237], v[238:239], v[12:13]
	s_waitcnt vmcnt(58)
	v_add_f64 v[10:11], v[10:11], -v[236:237]
	ds_read2_b64 v[236:239], v253 offset0:96 offset1:97
	v_add_f64 v[8:9], v[8:9], -v[14:15]
	s_waitcnt lgkmcnt(0)
	v_mul_f64 v[14:15], v[238:239], v[240:241]
	v_fma_f64 v[14:15], v[236:237], v[12:13], -v[14:15]
	v_mul_f64 v[236:237], v[236:237], v[240:241]
	v_fmac_f64_e32 v[236:237], v[238:239], v[12:13]
	v_add_f64 v[6:7], v[6:7], -v[236:237]
	ds_read2_b64 v[236:239], v253 offset0:98 offset1:99
	v_add_f64 v[4:5], v[4:5], -v[14:15]
	s_waitcnt lgkmcnt(0)
	v_mul_f64 v[14:15], v[238:239], v[240:241]
	v_fma_f64 v[14:15], v[236:237], v[12:13], -v[14:15]
	v_mul_f64 v[236:237], v[236:237], v[240:241]
	v_fmac_f64_e32 v[236:237], v[238:239], v[12:13]
	;; [unrolled: 8-line block ×3, first 2 shown]
	s_waitcnt vmcnt(55)
	v_add_f64 v[200:201], v[200:201], -v[14:15]
	v_add_f64 v[202:203], v[202:203], -v[236:237]
	v_mov_b64_e32 v[14:15], v[240:241]
.LBB101_424:
	s_or_b64 exec, exec, s[2:3]
	v_cmp_eq_u32_e32 vcc, 47, v254
	s_waitcnt lgkmcnt(0)
	s_barrier
	s_and_saveexec_b64 s[4:5], vcc
	s_cbranch_execz .LBB101_431
; %bb.425:
	s_waitcnt vmcnt(58)
	ds_write2_b64 v252, v[8:9], v[10:11] offset1:1
	ds_write2_b64 v253, v[4:5], v[6:7] offset0:96 offset1:97
	ds_write2_b64 v253, v[0:1], v[2:3] offset0:98 offset1:99
	s_waitcnt vmcnt(55)
	ds_write2_b64 v253, v[200:201], v[202:203] offset0:100 offset1:101
	ds_read2_b64 v[236:239], v252 offset1:1
	s_waitcnt lgkmcnt(0)
	v_cmp_neq_f64_e32 vcc, 0, v[236:237]
	v_cmp_neq_f64_e64 s[2:3], 0, v[238:239]
	s_or_b64 s[2:3], vcc, s[2:3]
	s_and_b64 exec, exec, s[2:3]
	s_cbranch_execz .LBB101_431
; %bb.426:
	v_cmp_ngt_f64_e64 s[2:3], |v[236:237]|, |v[238:239]|
                                        ; implicit-def: $vgpr240_vgpr241
	s_and_saveexec_b64 s[10:11], s[2:3]
	s_xor_b64 s[2:3], exec, s[10:11]
                                        ; implicit-def: $vgpr242_vgpr243
	s_cbranch_execz .LBB101_428
; %bb.427:
	v_div_scale_f64 v[240:241], s[10:11], v[238:239], v[238:239], v[236:237]
	v_rcp_f64_e32 v[242:243], v[240:241]
	v_div_scale_f64 v[244:245], vcc, v[236:237], v[238:239], v[236:237]
	v_fma_f64 v[246:247], -v[240:241], v[242:243], 1.0
	v_fmac_f64_e32 v[242:243], v[242:243], v[246:247]
	v_fma_f64 v[246:247], -v[240:241], v[242:243], 1.0
	v_fmac_f64_e32 v[242:243], v[242:243], v[246:247]
	v_mul_f64 v[246:247], v[244:245], v[242:243]
	v_fma_f64 v[240:241], -v[240:241], v[246:247], v[244:245]
	v_div_fmas_f64 v[240:241], v[240:241], v[242:243], v[246:247]
	v_div_fixup_f64 v[240:241], v[240:241], v[238:239], v[236:237]
	v_fmac_f64_e32 v[238:239], v[236:237], v[240:241]
	v_div_scale_f64 v[236:237], s[10:11], v[238:239], v[238:239], 1.0
	v_rcp_f64_e32 v[242:243], v[236:237]
	s_nop 0
	v_fma_f64 v[244:245], -v[236:237], v[242:243], 1.0
	v_fmac_f64_e32 v[242:243], v[242:243], v[244:245]
	v_fma_f64 v[244:245], -v[236:237], v[242:243], 1.0
	v_fmac_f64_e32 v[242:243], v[242:243], v[244:245]
	v_div_scale_f64 v[244:245], vcc, 1.0, v[238:239], 1.0
	v_mul_f64 v[246:247], v[244:245], v[242:243]
	v_fma_f64 v[236:237], -v[236:237], v[246:247], v[244:245]
	s_nop 1
	v_div_fmas_f64 v[236:237], v[236:237], v[242:243], v[246:247]
	v_div_fixup_f64 v[242:243], v[236:237], v[238:239], 1.0
	v_mul_f64 v[240:241], v[240:241], v[242:243]
	v_xor_b32_e32 v243, 0x80000000, v243
                                        ; implicit-def: $vgpr236_vgpr237
.LBB101_428:
	s_andn2_saveexec_b64 s[2:3], s[2:3]
	s_cbranch_execz .LBB101_430
; %bb.429:
	v_div_scale_f64 v[240:241], s[10:11], v[236:237], v[236:237], v[238:239]
	v_rcp_f64_e32 v[242:243], v[240:241]
	v_div_scale_f64 v[244:245], vcc, v[238:239], v[236:237], v[238:239]
	v_fma_f64 v[246:247], -v[240:241], v[242:243], 1.0
	v_fmac_f64_e32 v[242:243], v[242:243], v[246:247]
	v_fma_f64 v[246:247], -v[240:241], v[242:243], 1.0
	v_fmac_f64_e32 v[242:243], v[242:243], v[246:247]
	v_mul_f64 v[246:247], v[244:245], v[242:243]
	v_fma_f64 v[240:241], -v[240:241], v[246:247], v[244:245]
	v_div_fmas_f64 v[240:241], v[240:241], v[242:243], v[246:247]
	v_div_fixup_f64 v[242:243], v[240:241], v[236:237], v[238:239]
	v_fmac_f64_e32 v[236:237], v[238:239], v[242:243]
	v_div_scale_f64 v[238:239], s[10:11], v[236:237], v[236:237], 1.0
	v_rcp_f64_e32 v[240:241], v[238:239]
	s_nop 0
	v_fma_f64 v[244:245], -v[238:239], v[240:241], 1.0
	v_fmac_f64_e32 v[240:241], v[240:241], v[244:245]
	v_fma_f64 v[244:245], -v[238:239], v[240:241], 1.0
	v_fmac_f64_e32 v[240:241], v[240:241], v[244:245]
	v_div_scale_f64 v[244:245], vcc, 1.0, v[236:237], 1.0
	v_mul_f64 v[246:247], v[244:245], v[240:241]
	v_fma_f64 v[238:239], -v[238:239], v[246:247], v[244:245]
	s_nop 1
	v_div_fmas_f64 v[238:239], v[238:239], v[240:241], v[246:247]
	v_div_fixup_f64 v[240:241], v[238:239], v[236:237], 1.0
	v_mul_f64 v[242:243], v[242:243], -v[240:241]
.LBB101_430:
	s_or_b64 exec, exec, s[2:3]
	ds_write2_b64 v252, v[240:241], v[242:243] offset1:1
.LBB101_431:
	s_or_b64 exec, exec, s[4:5]
	s_waitcnt lgkmcnt(0)
	s_barrier
	ds_read2_b64 v[236:239], v252 offset1:1
	v_cmp_lt_u32_e32 vcc, 47, v254
	s_and_saveexec_b64 s[2:3], vcc
	s_cbranch_execz .LBB101_433
; %bb.432:
	ds_read2_b64 v[240:243], v253 offset0:96 offset1:97
	s_waitcnt vmcnt(58) lgkmcnt(1)
	v_mul_f64 v[244:245], v[236:237], v[10:11]
	v_fmac_f64_e32 v[244:245], v[238:239], v[8:9]
	v_mul_f64 v[10:11], v[238:239], v[10:11]
	v_fma_f64 v[8:9], v[236:237], v[8:9], -v[10:11]
	s_waitcnt lgkmcnt(0)
	v_mul_f64 v[10:11], v[242:243], v[244:245]
	v_fma_f64 v[10:11], v[240:241], v[8:9], -v[10:11]
	v_mul_f64 v[240:241], v[240:241], v[244:245]
	v_fmac_f64_e32 v[240:241], v[242:243], v[8:9]
	v_add_f64 v[6:7], v[6:7], -v[240:241]
	ds_read2_b64 v[240:243], v253 offset0:98 offset1:99
	v_add_f64 v[4:5], v[4:5], -v[10:11]
	s_waitcnt lgkmcnt(0)
	v_mul_f64 v[10:11], v[242:243], v[244:245]
	v_fma_f64 v[10:11], v[240:241], v[8:9], -v[10:11]
	v_mul_f64 v[240:241], v[240:241], v[244:245]
	v_fmac_f64_e32 v[240:241], v[242:243], v[8:9]
	v_add_f64 v[2:3], v[2:3], -v[240:241]
	ds_read2_b64 v[240:243], v253 offset0:100 offset1:101
	v_add_f64 v[0:1], v[0:1], -v[10:11]
	s_waitcnt lgkmcnt(0)
	v_mul_f64 v[10:11], v[242:243], v[244:245]
	v_fma_f64 v[10:11], v[240:241], v[8:9], -v[10:11]
	v_mul_f64 v[240:241], v[240:241], v[244:245]
	v_fmac_f64_e32 v[240:241], v[242:243], v[8:9]
	s_waitcnt vmcnt(55)
	v_add_f64 v[200:201], v[200:201], -v[10:11]
	v_add_f64 v[202:203], v[202:203], -v[240:241]
	v_mov_b64_e32 v[10:11], v[244:245]
.LBB101_433:
	s_or_b64 exec, exec, s[2:3]
	v_cmp_eq_u32_e32 vcc, 48, v254
	s_waitcnt lgkmcnt(0)
	s_barrier
	s_and_saveexec_b64 s[4:5], vcc
	s_cbranch_execz .LBB101_440
; %bb.434:
	ds_write2_b64 v252, v[4:5], v[6:7] offset1:1
	ds_write2_b64 v253, v[0:1], v[2:3] offset0:98 offset1:99
	s_waitcnt vmcnt(55)
	ds_write2_b64 v253, v[200:201], v[202:203] offset0:100 offset1:101
	ds_read2_b64 v[240:243], v252 offset1:1
	s_waitcnt lgkmcnt(0)
	v_cmp_neq_f64_e32 vcc, 0, v[240:241]
	v_cmp_neq_f64_e64 s[2:3], 0, v[242:243]
	s_or_b64 s[2:3], vcc, s[2:3]
	s_and_b64 exec, exec, s[2:3]
	s_cbranch_execz .LBB101_440
; %bb.435:
	v_cmp_ngt_f64_e64 s[2:3], |v[240:241]|, |v[242:243]|
                                        ; implicit-def: $vgpr244_vgpr245
	s_and_saveexec_b64 s[10:11], s[2:3]
	s_xor_b64 s[2:3], exec, s[10:11]
                                        ; implicit-def: $vgpr246_vgpr247
	s_cbranch_execz .LBB101_437
; %bb.436:
	v_div_scale_f64 v[244:245], s[10:11], v[242:243], v[242:243], v[240:241]
	v_rcp_f64_e32 v[246:247], v[244:245]
	v_div_scale_f64 v[248:249], vcc, v[240:241], v[242:243], v[240:241]
	v_fma_f64 v[250:251], -v[244:245], v[246:247], 1.0
	v_fmac_f64_e32 v[246:247], v[246:247], v[250:251]
	v_fma_f64 v[250:251], -v[244:245], v[246:247], 1.0
	v_fmac_f64_e32 v[246:247], v[246:247], v[250:251]
	v_mul_f64 v[250:251], v[248:249], v[246:247]
	v_fma_f64 v[244:245], -v[244:245], v[250:251], v[248:249]
	v_div_fmas_f64 v[244:245], v[244:245], v[246:247], v[250:251]
	v_div_fixup_f64 v[244:245], v[244:245], v[242:243], v[240:241]
	v_fmac_f64_e32 v[242:243], v[240:241], v[244:245]
	v_div_scale_f64 v[240:241], s[10:11], v[242:243], v[242:243], 1.0
	v_rcp_f64_e32 v[246:247], v[240:241]
	s_nop 0
	v_fma_f64 v[248:249], -v[240:241], v[246:247], 1.0
	v_fmac_f64_e32 v[246:247], v[246:247], v[248:249]
	v_fma_f64 v[248:249], -v[240:241], v[246:247], 1.0
	v_fmac_f64_e32 v[246:247], v[246:247], v[248:249]
	v_div_scale_f64 v[248:249], vcc, 1.0, v[242:243], 1.0
	v_mul_f64 v[250:251], v[248:249], v[246:247]
	v_fma_f64 v[240:241], -v[240:241], v[250:251], v[248:249]
	s_nop 1
	v_div_fmas_f64 v[240:241], v[240:241], v[246:247], v[250:251]
	v_div_fixup_f64 v[246:247], v[240:241], v[242:243], 1.0
	v_mul_f64 v[244:245], v[244:245], v[246:247]
	v_xor_b32_e32 v247, 0x80000000, v247
                                        ; implicit-def: $vgpr240_vgpr241
.LBB101_437:
	s_andn2_saveexec_b64 s[2:3], s[2:3]
	s_cbranch_execz .LBB101_439
; %bb.438:
	v_div_scale_f64 v[244:245], s[10:11], v[240:241], v[240:241], v[242:243]
	v_rcp_f64_e32 v[246:247], v[244:245]
	v_div_scale_f64 v[248:249], vcc, v[242:243], v[240:241], v[242:243]
	v_fma_f64 v[250:251], -v[244:245], v[246:247], 1.0
	v_fmac_f64_e32 v[246:247], v[246:247], v[250:251]
	v_fma_f64 v[250:251], -v[244:245], v[246:247], 1.0
	v_fmac_f64_e32 v[246:247], v[246:247], v[250:251]
	v_mul_f64 v[250:251], v[248:249], v[246:247]
	v_fma_f64 v[244:245], -v[244:245], v[250:251], v[248:249]
	v_div_fmas_f64 v[244:245], v[244:245], v[246:247], v[250:251]
	v_div_fixup_f64 v[246:247], v[244:245], v[240:241], v[242:243]
	v_fmac_f64_e32 v[240:241], v[242:243], v[246:247]
	v_div_scale_f64 v[242:243], s[10:11], v[240:241], v[240:241], 1.0
	v_rcp_f64_e32 v[244:245], v[242:243]
	s_nop 0
	v_fma_f64 v[248:249], -v[242:243], v[244:245], 1.0
	v_fmac_f64_e32 v[244:245], v[244:245], v[248:249]
	v_fma_f64 v[248:249], -v[242:243], v[244:245], 1.0
	v_fmac_f64_e32 v[244:245], v[244:245], v[248:249]
	v_div_scale_f64 v[248:249], vcc, 1.0, v[240:241], 1.0
	v_mul_f64 v[250:251], v[248:249], v[244:245]
	v_fma_f64 v[242:243], -v[242:243], v[250:251], v[248:249]
	s_nop 1
	v_div_fmas_f64 v[242:243], v[242:243], v[244:245], v[250:251]
	v_div_fixup_f64 v[244:245], v[242:243], v[240:241], 1.0
	v_mul_f64 v[246:247], v[246:247], -v[244:245]
.LBB101_439:
	s_or_b64 exec, exec, s[2:3]
	ds_write2_b64 v252, v[244:245], v[246:247] offset1:1
.LBB101_440:
	s_or_b64 exec, exec, s[4:5]
	s_waitcnt lgkmcnt(0)
	s_barrier
	ds_read2_b64 v[240:243], v252 offset1:1
	v_cmp_lt_u32_e32 vcc, 48, v254
	s_and_saveexec_b64 s[2:3], vcc
	s_cbranch_execz .LBB101_442
; %bb.441:
	ds_read2_b64 v[244:247], v253 offset0:98 offset1:99
	s_waitcnt lgkmcnt(1)
	v_mul_f64 v[248:249], v[240:241], v[6:7]
	v_fmac_f64_e32 v[248:249], v[242:243], v[4:5]
	v_mul_f64 v[6:7], v[242:243], v[6:7]
	v_fma_f64 v[4:5], v[240:241], v[4:5], -v[6:7]
	s_waitcnt lgkmcnt(0)
	v_mul_f64 v[6:7], v[246:247], v[248:249]
	v_fma_f64 v[6:7], v[244:245], v[4:5], -v[6:7]
	v_mul_f64 v[244:245], v[244:245], v[248:249]
	v_fmac_f64_e32 v[244:245], v[246:247], v[4:5]
	v_add_f64 v[2:3], v[2:3], -v[244:245]
	ds_read2_b64 v[244:247], v253 offset0:100 offset1:101
	v_add_f64 v[0:1], v[0:1], -v[6:7]
	s_waitcnt lgkmcnt(0)
	v_mul_f64 v[6:7], v[246:247], v[248:249]
	v_fma_f64 v[6:7], v[244:245], v[4:5], -v[6:7]
	v_mul_f64 v[244:245], v[244:245], v[248:249]
	v_fmac_f64_e32 v[244:245], v[246:247], v[4:5]
	s_waitcnt vmcnt(55)
	v_add_f64 v[200:201], v[200:201], -v[6:7]
	v_add_f64 v[202:203], v[202:203], -v[244:245]
	v_mov_b64_e32 v[6:7], v[248:249]
.LBB101_442:
	s_or_b64 exec, exec, s[2:3]
	v_cmp_eq_u32_e32 vcc, 49, v254
	s_waitcnt lgkmcnt(0)
	s_barrier
	s_and_saveexec_b64 s[4:5], vcc
	s_cbranch_execz .LBB101_449
; %bb.443:
	ds_write2_b64 v252, v[0:1], v[2:3] offset1:1
	s_waitcnt vmcnt(55)
	ds_write2_b64 v253, v[200:201], v[202:203] offset0:100 offset1:101
	ds_read2_b64 v[244:247], v252 offset1:1
	s_waitcnt lgkmcnt(0)
	v_cmp_neq_f64_e32 vcc, 0, v[244:245]
	v_cmp_neq_f64_e64 s[2:3], 0, v[246:247]
	s_or_b64 s[2:3], vcc, s[2:3]
	s_and_b64 exec, exec, s[2:3]
	s_cbranch_execz .LBB101_449
; %bb.444:
	v_cmp_ngt_f64_e64 s[2:3], |v[244:245]|, |v[246:247]|
                                        ; implicit-def: $vgpr248_vgpr249
	s_and_saveexec_b64 s[10:11], s[2:3]
	s_xor_b64 s[2:3], exec, s[10:11]
                                        ; implicit-def: $vgpr250_vgpr251
	s_cbranch_execz .LBB101_446
; %bb.445:
	v_div_scale_f64 v[248:249], s[10:11], v[246:247], v[246:247], v[244:245]
	v_rcp_f64_e32 v[250:251], v[248:249]
	v_div_scale_f64 v[204:205], vcc, v[244:245], v[246:247], v[244:245]
	v_fma_f64 v[206:207], -v[248:249], v[250:251], 1.0
	v_fmac_f64_e32 v[250:251], v[250:251], v[206:207]
	v_fma_f64 v[206:207], -v[248:249], v[250:251], 1.0
	v_fmac_f64_e32 v[250:251], v[250:251], v[206:207]
	v_mul_f64 v[206:207], v[204:205], v[250:251]
	v_fma_f64 v[204:205], -v[248:249], v[206:207], v[204:205]
	v_div_fmas_f64 v[204:205], v[204:205], v[250:251], v[206:207]
	v_div_fixup_f64 v[204:205], v[204:205], v[246:247], v[244:245]
	v_fmac_f64_e32 v[246:247], v[244:245], v[204:205]
	v_div_scale_f64 v[206:207], s[10:11], v[246:247], v[246:247], 1.0
	v_rcp_f64_e32 v[244:245], v[206:207]
	s_nop 0
	v_fma_f64 v[248:249], -v[206:207], v[244:245], 1.0
	v_fmac_f64_e32 v[244:245], v[244:245], v[248:249]
	v_fma_f64 v[248:249], -v[206:207], v[244:245], 1.0
	v_fmac_f64_e32 v[244:245], v[244:245], v[248:249]
	v_div_scale_f64 v[248:249], vcc, 1.0, v[246:247], 1.0
	v_mul_f64 v[250:251], v[248:249], v[244:245]
	v_fma_f64 v[206:207], -v[206:207], v[250:251], v[248:249]
	s_nop 1
	v_div_fmas_f64 v[206:207], v[206:207], v[244:245], v[250:251]
	v_div_fixup_f64 v[250:251], v[206:207], v[246:247], 1.0
	v_mul_f64 v[248:249], v[204:205], v[250:251]
	v_xor_b32_e32 v251, 0x80000000, v251
                                        ; implicit-def: $vgpr244_vgpr245
.LBB101_446:
	s_andn2_saveexec_b64 s[2:3], s[2:3]
	s_cbranch_execz .LBB101_448
; %bb.447:
	v_div_scale_f64 v[204:205], s[10:11], v[244:245], v[244:245], v[246:247]
	v_rcp_f64_e32 v[206:207], v[204:205]
	v_div_scale_f64 v[248:249], vcc, v[246:247], v[244:245], v[246:247]
	v_fma_f64 v[250:251], -v[204:205], v[206:207], 1.0
	v_fmac_f64_e32 v[206:207], v[206:207], v[250:251]
	v_fma_f64 v[250:251], -v[204:205], v[206:207], 1.0
	v_fmac_f64_e32 v[206:207], v[206:207], v[250:251]
	v_mul_f64 v[250:251], v[248:249], v[206:207]
	v_fma_f64 v[204:205], -v[204:205], v[250:251], v[248:249]
	v_div_fmas_f64 v[204:205], v[204:205], v[206:207], v[250:251]
	v_div_fixup_f64 v[204:205], v[204:205], v[244:245], v[246:247]
	v_fmac_f64_e32 v[244:245], v[246:247], v[204:205]
	v_div_scale_f64 v[206:207], s[10:11], v[244:245], v[244:245], 1.0
	v_rcp_f64_e32 v[246:247], v[206:207]
	s_nop 0
	v_fma_f64 v[248:249], -v[206:207], v[246:247], 1.0
	v_fmac_f64_e32 v[246:247], v[246:247], v[248:249]
	v_fma_f64 v[248:249], -v[206:207], v[246:247], 1.0
	v_fmac_f64_e32 v[246:247], v[246:247], v[248:249]
	v_div_scale_f64 v[248:249], vcc, 1.0, v[244:245], 1.0
	v_mul_f64 v[250:251], v[248:249], v[246:247]
	v_fma_f64 v[206:207], -v[206:207], v[250:251], v[248:249]
	s_nop 1
	v_div_fmas_f64 v[206:207], v[206:207], v[246:247], v[250:251]
	v_div_fixup_f64 v[248:249], v[206:207], v[244:245], 1.0
	v_mul_f64 v[250:251], v[204:205], -v[248:249]
.LBB101_448:
	s_or_b64 exec, exec, s[2:3]
	ds_write2_b64 v252, v[248:249], v[250:251] offset1:1
.LBB101_449:
	s_or_b64 exec, exec, s[4:5]
	s_waitcnt lgkmcnt(0)
	s_barrier
	ds_read2_b64 v[244:247], v252 offset1:1
	v_cmp_lt_u32_e32 vcc, 49, v254
	s_and_saveexec_b64 s[2:3], vcc
	s_cbranch_execz .LBB101_451
; %bb.450:
	ds_read2_b64 v[248:251], v253 offset0:100 offset1:101
	s_waitcnt lgkmcnt(1)
	v_mul_f64 v[204:205], v[244:245], v[2:3]
	v_mul_f64 v[2:3], v[246:247], v[2:3]
	v_fmac_f64_e32 v[204:205], v[246:247], v[0:1]
	v_fma_f64 v[0:1], v[244:245], v[0:1], -v[2:3]
	s_waitcnt lgkmcnt(0)
	v_mul_f64 v[2:3], v[250:251], v[204:205]
	v_mul_f64 v[206:207], v[248:249], v[204:205]
	v_fma_f64 v[2:3], v[248:249], v[0:1], -v[2:3]
	v_fmac_f64_e32 v[206:207], v[250:251], v[0:1]
	s_waitcnt vmcnt(55)
	v_add_f64 v[200:201], v[200:201], -v[2:3]
	v_add_f64 v[202:203], v[202:203], -v[206:207]
	v_mov_b64_e32 v[2:3], v[204:205]
.LBB101_451:
	s_or_b64 exec, exec, s[2:3]
	v_cmp_eq_u32_e32 vcc, 50, v254
	s_waitcnt lgkmcnt(0)
	s_barrier
	s_and_saveexec_b64 s[4:5], vcc
	s_cbranch_execz .LBB101_458
; %bb.452:
	s_waitcnt vmcnt(55)
	v_cmp_neq_f64_e32 vcc, 0, v[200:201]
	v_cmp_neq_f64_e64 s[2:3], 0, v[202:203]
	s_or_b64 s[2:3], vcc, s[2:3]
	ds_write2_b64 v252, v[200:201], v[202:203] offset1:1
	s_and_b64 exec, exec, s[2:3]
	s_cbranch_execz .LBB101_458
; %bb.453:
	v_cmp_ngt_f64_e64 s[2:3], |v[200:201]|, |v[202:203]|
                                        ; implicit-def: $vgpr248_vgpr249
	s_mov_b64 s[10:11], exec
	s_and_b64 s[12:13], s[10:11], s[2:3]
	s_xor_b64 s[2:3], s[12:13], s[10:11]
                                        ; implicit-def: $vgpr250_vgpr251
	scratch_store_dwordx4 off, v[232:235], off offset:1056 ; 16-byte Folded Spill
	s_mov_b64 exec, s[12:13]
	s_cbranch_execz .LBB101_455
; %bb.454:
	v_div_scale_f64 v[204:205], s[10:11], v[202:203], v[202:203], v[200:201]
	v_rcp_f64_e32 v[206:207], v[204:205]
	v_div_scale_f64 v[248:249], vcc, v[200:201], v[202:203], v[200:201]
	v_mov_b64_e32 v[234:235], v[230:231]
	v_fma_f64 v[250:251], -v[204:205], v[206:207], 1.0
	v_fmac_f64_e32 v[206:207], v[206:207], v[250:251]
	v_fma_f64 v[250:251], -v[204:205], v[206:207], 1.0
	v_fmac_f64_e32 v[206:207], v[206:207], v[250:251]
	v_mul_f64 v[250:251], v[248:249], v[206:207]
	v_fma_f64 v[204:205], -v[204:205], v[250:251], v[248:249]
	v_div_fmas_f64 v[204:205], v[204:205], v[206:207], v[250:251]
	v_div_fixup_f64 v[204:205], v[204:205], v[202:203], v[200:201]
	v_mov_b64_e32 v[232:233], v[228:229]
	v_mov_b64_e32 v[230:231], v[202:203]
	v_fma_f64 v[206:207], v[200:201], v[204:205], v[202:203]
	v_mov_b64_e32 v[228:229], v[200:201]
	v_mov_b64_e32 v[202:203], v[2:3]
	;; [unrolled: 1-line block ×21, first 2 shown]
	v_mov_b32_e32 v32, v254
	v_mov_b32_e32 v33, v252
	v_mov_b64_e32 v[254:255], v[38:39]
	v_mov_b64_e32 v[252:253], v[36:37]
	;; [unrolled: 1-line block ×79, first 2 shown]
	v_div_scale_f64 v[248:249], s[10:11], v[206:207], v[206:207], 1.0
	v_mov_b64_e32 v[178:179], v[182:183]
	v_mov_b64_e32 v[180:181], v[184:185]
	v_rcp_f64_e32 v[250:251], v[248:249]
	v_mov_b64_e32 v[182:183], v[186:187]
	v_mov_b64_e32 v[184:185], v[208:209]
	;; [unrolled: 1-line block ×9, first 2 shown]
	v_fma_f64 v[196:197], -v[248:249], v[250:251], 1.0
	v_fmac_f64_e32 v[250:251], v[250:251], v[196:197]
	v_fma_f64 v[196:197], -v[248:249], v[250:251], 1.0
	v_fmac_f64_e32 v[250:251], v[250:251], v[196:197]
	v_div_scale_f64 v[196:197], vcc, 1.0, v[206:207], 1.0
	v_mul_f64 v[198:199], v[196:197], v[250:251]
	v_fma_f64 v[196:197], -v[248:249], v[198:199], v[196:197]
	s_nop 1
	v_div_fmas_f64 v[196:197], v[196:197], v[250:251], v[198:199]
	v_div_fixup_f64 v[250:251], v[196:197], v[206:207], 1.0
	v_mov_b64_e32 v[198:199], v[194:195]
	v_mov_b64_e32 v[196:197], v[192:193]
	;; [unrolled: 1-line block ×90, first 2 shown]
	v_mov_b32_e32 v252, v33
	v_mov_b32_e32 v254, v32
	v_mov_b64_e32 v[34:35], v[30:31]
	v_mov_b64_e32 v[32:33], v[28:29]
	;; [unrolled: 1-line block ×24, first 2 shown]
	scratch_load_dwordx4 v[232:235], off, off offset:1056 ; 16-byte Folded Reload
	v_mul_f64 v[248:249], v[204:205], v[250:251]
	v_xor_b32_e32 v251, 0x80000000, v251
.LBB101_455:
	s_andn2_saveexec_b64 s[2:3], s[2:3]
	s_cbranch_execz .LBB101_457
; %bb.456:
	s_waitcnt vmcnt(0)
	v_mov_b64_e32 v[234:235], v[230:231]
	v_mov_b64_e32 v[232:233], v[228:229]
	;; [unrolled: 1-line block ×22, first 2 shown]
	v_mov_b32_e32 v32, v254
	v_mov_b32_e32 v33, v252
	v_mov_b64_e32 v[254:255], v[38:39]
	v_mov_b64_e32 v[252:253], v[36:37]
	v_mov_b64_e32 v[36:37], v[40:41]
	v_mov_b64_e32 v[38:39], v[42:43]
	v_mov_b64_e32 v[40:41], v[44:45]
	v_mov_b64_e32 v[42:43], v[46:47]
	v_mov_b64_e32 v[44:45], v[48:49]
	v_mov_b64_e32 v[46:47], v[50:51]
	v_mov_b64_e32 v[48:49], v[52:53]
	v_mov_b64_e32 v[50:51], v[54:55]
	v_mov_b64_e32 v[52:53], v[56:57]
	v_mov_b64_e32 v[54:55], v[58:59]
	v_mov_b64_e32 v[56:57], v[60:61]
	v_mov_b64_e32 v[58:59], v[62:63]
	v_mov_b64_e32 v[60:61], v[64:65]
	v_mov_b64_e32 v[62:63], v[66:67]
	v_mov_b64_e32 v[64:65], v[68:69]
	v_mov_b64_e32 v[66:67], v[70:71]
	v_mov_b64_e32 v[68:69], v[72:73]
	v_mov_b64_e32 v[70:71], v[74:75]
	v_mov_b64_e32 v[72:73], v[76:77]
	v_mov_b64_e32 v[74:75], v[78:79]
	v_mov_b64_e32 v[76:77], v[80:81]
	v_mov_b64_e32 v[78:79], v[82:83]
	v_mov_b64_e32 v[80:81], v[220:221]
	v_mov_b64_e32 v[82:83], v[222:223]
	v_mov_b64_e32 v[222:223], v[86:87]
	v_mov_b64_e32 v[220:221], v[84:85]
	v_mov_b64_e32 v[84:85], v[88:89]
	v_mov_b64_e32 v[86:87], v[90:91]
	v_mov_b64_e32 v[88:89], v[92:93]
	v_mov_b64_e32 v[90:91], v[94:95]
	v_mov_b64_e32 v[92:93], v[96:97]
	v_mov_b64_e32 v[94:95], v[98:99]
	v_mov_b64_e32 v[96:97], v[144:145]
	v_mov_b64_e32 v[98:99], v[146:147]
	v_mov_b64_e32 v[144:145], v[148:149]
	v_mov_b64_e32 v[146:147], v[150:151]
	v_mov_b64_e32 v[148:149], v[152:153]
	v_mov_b64_e32 v[150:151], v[154:155]
	v_mov_b64_e32 v[152:153], v[156:157]
	v_mov_b64_e32 v[154:155], v[158:159]
	v_mov_b64_e32 v[156:157], v[212:213]
	v_mov_b64_e32 v[158:159], v[214:215]
	v_mov_b64_e32 v[214:215], v[162:163]
	v_mov_b64_e32 v[212:213], v[160:161]
	v_mov_b64_e32 v[160:161], v[164:165]
	v_mov_b64_e32 v[162:163], v[166:167]
	v_mov_b64_e32 v[164:165], v[168:169]
	v_mov_b64_e32 v[166:167], v[170:171]
	v_mov_b64_e32 v[168:169], v[172:173]
	v_mov_b64_e32 v[170:171], v[174:175]
	v_mov_b64_e32 v[172:173], v[176:177]
	v_mov_b64_e32 v[174:175], v[178:179]
	v_mov_b64_e32 v[176:177], v[180:181]
	v_mov_b64_e32 v[178:179], v[182:183]
	v_mov_b64_e32 v[180:181], v[184:185]
	v_mov_b64_e32 v[182:183], v[186:187]
	v_mov_b64_e32 v[184:185], v[208:209]
	v_mov_b64_e32 v[186:187], v[210:211]
	v_mov_b64_e32 v[210:211], v[190:191]
	v_mov_b64_e32 v[208:209], v[188:189]
	v_mov_b64_e32 v[188:189], v[192:193]
	v_mov_b64_e32 v[190:191], v[194:195]
	v_mov_b64_e32 v[192:193], v[196:197]
	v_mov_b64_e32 v[194:195], v[198:199]
	v_div_scale_f64 v[196:197], s[10:11], v[200:201], v[200:201], v[202:203]
	v_rcp_f64_e32 v[198:199], v[196:197]
	v_div_scale_f64 v[204:205], vcc, v[202:203], v[200:201], v[202:203]
	v_fma_f64 v[206:207], -v[196:197], v[198:199], 1.0
	v_fmac_f64_e32 v[198:199], v[198:199], v[206:207]
	v_fma_f64 v[206:207], -v[196:197], v[198:199], 1.0
	v_fmac_f64_e32 v[198:199], v[198:199], v[206:207]
	v_mul_f64 v[206:207], v[204:205], v[198:199]
	v_fma_f64 v[196:197], -v[196:197], v[206:207], v[204:205]
	v_div_fmas_f64 v[196:197], v[196:197], v[198:199], v[206:207]
	v_div_fixup_f64 v[196:197], v[196:197], v[200:201], v[202:203]
	v_fma_f64 v[198:199], v[202:203], v[196:197], v[200:201]
	v_div_scale_f64 v[204:205], s[10:11], v[198:199], v[198:199], 1.0
	v_rcp_f64_e32 v[206:207], v[204:205]
	s_nop 0
	v_fma_f64 v[248:249], -v[204:205], v[206:207], 1.0
	v_fmac_f64_e32 v[206:207], v[206:207], v[248:249]
	v_fma_f64 v[248:249], -v[204:205], v[206:207], 1.0
	v_fmac_f64_e32 v[206:207], v[206:207], v[248:249]
	v_div_scale_f64 v[248:249], vcc, 1.0, v[198:199], 1.0
	v_mul_f64 v[250:251], v[248:249], v[206:207]
	v_fma_f64 v[204:205], -v[204:205], v[250:251], v[248:249]
	s_nop 1
	v_div_fmas_f64 v[204:205], v[204:205], v[206:207], v[250:251]
	v_div_fixup_f64 v[248:249], v[204:205], v[198:199], 1.0
	v_mul_f64 v[250:251], v[196:197], -v[248:249]
	v_mov_b64_e32 v[198:199], v[194:195]
	v_mov_b64_e32 v[196:197], v[192:193]
	;; [unrolled: 1-line block ×66, first 2 shown]
	v_mov_b32_e32 v252, v33
	v_mov_b32_e32 v254, v32
	v_mov_b64_e32 v[34:35], v[30:31]
	v_mov_b64_e32 v[32:33], v[28:29]
	v_mov_b64_e32 v[28:29], v[224:225]
	v_mov_b64_e32 v[30:31], v[226:227]
	v_mov_b64_e32 v[226:227], v[26:27]
	v_mov_b64_e32 v[224:225], v[24:25]
	v_mov_b64_e32 v[26:27], v[22:23]
	v_mov_b64_e32 v[24:25], v[20:21]
	v_mov_b64_e32 v[22:23], v[18:19]
	v_mov_b64_e32 v[20:21], v[16:17]
	v_mov_b64_e32 v[18:19], v[14:15]
	v_mov_b64_e32 v[16:17], v[12:13]
	v_mov_b64_e32 v[14:15], v[10:11]
	v_mov_b64_e32 v[12:13], v[8:9]
	v_mov_b64_e32 v[10:11], v[6:7]
	v_mov_b64_e32 v[8:9], v[4:5]
	v_mov_b64_e32 v[6:7], v[2:3]
	v_mov_b64_e32 v[4:5], v[0:1]
	v_mov_b64_e32 v[0:1], v[228:229]
	v_mov_b64_e32 v[2:3], v[230:231]
	v_mov_b64_e32 v[228:229], v[232:233]
	v_mov_b64_e32 v[230:231], v[234:235]
	scratch_load_dwordx4 v[232:235], off, off offset:1056 ; 16-byte Folded Reload
.LBB101_457:
	s_or_b64 exec, exec, s[2:3]
	ds_write2_b64 v252, v[248:249], v[250:251] offset1:1
.LBB101_458:
	s_or_b64 exec, exec, s[4:5]
	s_waitcnt lgkmcnt(0)
	s_barrier
	ds_read2_b64 v[248:251], v252 offset1:1
	s_waitcnt lgkmcnt(0)
	s_barrier
	s_and_saveexec_b64 s[2:3], s[0:1]
	s_cbranch_execz .LBB101_461
; %bb.459:
	v_mov_b64_e32 v[206:207], v[190:191]
	v_mov_b64_e32 v[204:205], v[188:189]
	;; [unrolled: 1-line block ×6, first 2 shown]
	scratch_load_dwordx4 v[196:199], off, off offset:424 ; 16-byte Folded Reload
	s_waitcnt vmcnt(0)
	v_cmp_eq_f64_e32 vcc, 0, v[196:197]
	v_cmp_eq_f64_e64 s[0:1], 0, v[198:199]
	s_and_b64 s[4:5], vcc, s[0:1]
	v_cmp_neq_f64_e32 vcc, 0, v[192:193]
	v_cmp_neq_f64_e64 s[0:1], 0, v[194:195]
	v_mov_b64_e32 v[194:195], v[190:191]
	v_mov_b64_e32 v[192:193], v[188:189]
	;; [unrolled: 1-line block ×4, first 2 shown]
	scratch_load_dwordx4 v[204:207], off, off offset:440 ; 16-byte Folded Reload
	s_or_b64 s[0:1], vcc, s[0:1]
	v_cndmask_b32_e64 v196, 0, 1, s[4:5]
	s_or_b64 vcc, s[0:1], s[4:5]
	v_cndmask_b32_e32 v196, 2, v196, vcc
	v_mov_b32_e32 v197, s7
	s_waitcnt vmcnt(0)
	v_cmp_eq_f64_e32 vcc, 0, v[204:205]
	v_cmp_eq_f64_e64 s[0:1], 0, v[206:207]
	scratch_load_dwordx4 v[204:207], off, off offset:456 ; 16-byte Folded Reload
	s_and_b64 s[0:1], vcc, s[0:1]
	v_cmp_eq_u32_e32 vcc, 0, v196
	s_and_b64 s[0:1], s[0:1], vcc
	v_cndmask_b32_e64 v196, v196, 3, s[0:1]
	s_waitcnt vmcnt(0)
	v_cmp_eq_f64_e32 vcc, 0, v[204:205]
	v_cmp_eq_f64_e64 s[0:1], 0, v[206:207]
	scratch_load_dwordx4 v[204:207], off, off offset:472 ; 16-byte Folded Reload
	s_and_b64 s[0:1], vcc, s[0:1]
	v_cmp_eq_u32_e32 vcc, 0, v196
	s_and_b64 s[0:1], s[0:1], vcc
	v_cndmask_b32_e64 v196, v196, 4, s[0:1]
	;; [unrolled: 8-line block ×35, first 2 shown]
	v_mov_b32_e32 v196, s6
	s_waitcnt vmcnt(0)
	v_cmp_eq_f64_e32 vcc, 0, v[204:205]
	scratch_load_dwordx2 v[204:205], off, off offset:1048 ; 8-byte Folded Reload
	v_cmp_eq_f64_e64 s[0:1], 0, v[206:207]
	s_and_b64 s[0:1], vcc, s[0:1]
	v_cmp_eq_u32_e32 vcc, 0, v198
	s_and_b64 s[0:1], s[0:1], vcc
	s_waitcnt vmcnt(0)
	v_lshl_add_u64 v[252:253], v[204:205], 2, v[196:197]
	scratch_load_dwordx4 v[204:207], off, off offset:1016 ; 16-byte Folded Reload
	v_cndmask_b32_e64 v197, v198, 38, s[0:1]
	global_load_dword v196, v[252:253], off
	s_waitcnt vmcnt(1)
	v_cmp_eq_f64_e32 vcc, 0, v[204:205]
	v_cmp_eq_f64_e64 s[0:1], 0, v[206:207]
	scratch_load_dwordx4 v[204:207], off, off offset:1032 ; 16-byte Folded Reload
	s_and_b64 s[0:1], vcc, s[0:1]
	v_cmp_eq_u32_e32 vcc, 0, v197
	s_and_b64 s[0:1], s[0:1], vcc
	v_cndmask_b32_e64 v197, v197, 39, s[0:1]
	s_waitcnt vmcnt(0)
	v_cmp_eq_f64_e32 vcc, 0, v[204:205]
	v_cmp_eq_f64_e64 s[0:1], 0, v[206:207]
	s_and_b64 s[0:1], vcc, s[0:1]
	v_cmp_eq_u32_e32 vcc, 0, v197
	s_and_b64 s[0:1], s[0:1], vcc
	v_cndmask_b32_e64 v197, v197, 40, s[0:1]
	v_cmp_eq_f64_e32 vcc, 0, v[208:209]
	v_cmp_eq_f64_e64 s[0:1], 0, v[210:211]
	s_and_b64 s[0:1], vcc, s[0:1]
	v_cmp_eq_u32_e32 vcc, 0, v197
	s_and_b64 s[0:1], s[0:1], vcc
	v_cndmask_b32_e64 v197, v197, 41, s[0:1]
	;; [unrolled: 6-line block ×12, first 2 shown]
	v_cmp_eq_u32_e32 vcc, 0, v196
	v_cmp_ne_u32_e64 s[0:1], 0, v204
	s_and_b64 s[0:1], vcc, s[0:1]
	s_and_b64 exec, exec, s[0:1]
	s_cbranch_execz .LBB101_461
; %bb.460:
	v_add_u32_e32 v196, s9, v204
	global_store_dword v[252:253], v196, off
.LBB101_461:
	s_or_b64 exec, exec, s[2:3]
	s_waitcnt vmcnt(55)
	v_mul_f64 v[196:197], v[250:251], v[202:203]
	v_cmp_lt_u32_e32 vcc, 50, v254
	v_fma_f64 v[196:197], v[248:249], v[200:201], -v[196:197]
	v_mul_f64 v[198:199], v[248:249], v[202:203]
	v_fmac_f64_e32 v[198:199], v[250:251], v[200:201]
	v_cndmask_b32_e32 v201, v201, v197, vcc
	v_cndmask_b32_e32 v200, v200, v196, vcc
	scratch_load_dwordx2 v[196:197], off, off offset:16 ; 8-byte Folded Reload
	scratch_load_dwordx4 v[204:207], off, off ; 16-byte Folded Reload
	v_cndmask_b32_e32 v203, v203, v199, vcc
	v_cndmask_b32_e32 v202, v202, v198, vcc
	s_waitcnt vmcnt(0)
	global_store_dwordx4 v[196:197], v[204:207], off
	scratch_load_dwordx2 v[196:197], off, off offset:416 ; 8-byte Folded Reload
	s_waitcnt vmcnt(0)
	global_store_dwordx4 v[196:197], v[192:195], off
	scratch_load_dwordx2 v[192:193], off, off offset:24 ; 8-byte Folded Reload
	;; [unrolled: 3-line block ×50, first 2 shown]
	s_waitcnt vmcnt(0)
	global_store_dwordx4 v[0:1], v[200:203], off
.LBB101_462:
	s_endpgm
	.section	.rodata,"a",@progbits
	.p2align	6, 0x0
	.amdhsa_kernel _ZN9rocsolver6v33100L23getf2_npvt_small_kernelILi51E19rocblas_complex_numIdEiiPS3_EEvT1_T3_lS5_lPT2_S5_S5_
		.amdhsa_group_segment_fixed_size 0
		.amdhsa_private_segment_fixed_size 1076
		.amdhsa_kernarg_size 312
		.amdhsa_user_sgpr_count 2
		.amdhsa_user_sgpr_dispatch_ptr 0
		.amdhsa_user_sgpr_queue_ptr 0
		.amdhsa_user_sgpr_kernarg_segment_ptr 1
		.amdhsa_user_sgpr_dispatch_id 0
		.amdhsa_user_sgpr_kernarg_preload_length 0
		.amdhsa_user_sgpr_kernarg_preload_offset 0
		.amdhsa_user_sgpr_private_segment_size 0
		.amdhsa_uses_dynamic_stack 0
		.amdhsa_enable_private_segment 1
		.amdhsa_system_sgpr_workgroup_id_x 1
		.amdhsa_system_sgpr_workgroup_id_y 1
		.amdhsa_system_sgpr_workgroup_id_z 0
		.amdhsa_system_sgpr_workgroup_info 0
		.amdhsa_system_vgpr_workitem_id 1
		.amdhsa_next_free_vgpr 256
		.amdhsa_next_free_sgpr 16
		.amdhsa_accum_offset 256
		.amdhsa_reserve_vcc 1
		.amdhsa_float_round_mode_32 0
		.amdhsa_float_round_mode_16_64 0
		.amdhsa_float_denorm_mode_32 3
		.amdhsa_float_denorm_mode_16_64 3
		.amdhsa_dx10_clamp 1
		.amdhsa_ieee_mode 1
		.amdhsa_fp16_overflow 0
		.amdhsa_tg_split 0
		.amdhsa_exception_fp_ieee_invalid_op 0
		.amdhsa_exception_fp_denorm_src 0
		.amdhsa_exception_fp_ieee_div_zero 0
		.amdhsa_exception_fp_ieee_overflow 0
		.amdhsa_exception_fp_ieee_underflow 0
		.amdhsa_exception_fp_ieee_inexact 0
		.amdhsa_exception_int_div_zero 0
	.end_amdhsa_kernel
	.section	.text._ZN9rocsolver6v33100L23getf2_npvt_small_kernelILi51E19rocblas_complex_numIdEiiPS3_EEvT1_T3_lS5_lPT2_S5_S5_,"axG",@progbits,_ZN9rocsolver6v33100L23getf2_npvt_small_kernelILi51E19rocblas_complex_numIdEiiPS3_EEvT1_T3_lS5_lPT2_S5_S5_,comdat
.Lfunc_end101:
	.size	_ZN9rocsolver6v33100L23getf2_npvt_small_kernelILi51E19rocblas_complex_numIdEiiPS3_EEvT1_T3_lS5_lPT2_S5_S5_, .Lfunc_end101-_ZN9rocsolver6v33100L23getf2_npvt_small_kernelILi51E19rocblas_complex_numIdEiiPS3_EEvT1_T3_lS5_lPT2_S5_S5_
                                        ; -- End function
	.set _ZN9rocsolver6v33100L23getf2_npvt_small_kernelILi51E19rocblas_complex_numIdEiiPS3_EEvT1_T3_lS5_lPT2_S5_S5_.num_vgpr, 256
	.set _ZN9rocsolver6v33100L23getf2_npvt_small_kernelILi51E19rocblas_complex_numIdEiiPS3_EEvT1_T3_lS5_lPT2_S5_S5_.num_agpr, 0
	.set _ZN9rocsolver6v33100L23getf2_npvt_small_kernelILi51E19rocblas_complex_numIdEiiPS3_EEvT1_T3_lS5_lPT2_S5_S5_.numbered_sgpr, 16
	.set _ZN9rocsolver6v33100L23getf2_npvt_small_kernelILi51E19rocblas_complex_numIdEiiPS3_EEvT1_T3_lS5_lPT2_S5_S5_.num_named_barrier, 0
	.set _ZN9rocsolver6v33100L23getf2_npvt_small_kernelILi51E19rocblas_complex_numIdEiiPS3_EEvT1_T3_lS5_lPT2_S5_S5_.private_seg_size, 1076
	.set _ZN9rocsolver6v33100L23getf2_npvt_small_kernelILi51E19rocblas_complex_numIdEiiPS3_EEvT1_T3_lS5_lPT2_S5_S5_.uses_vcc, 1
	.set _ZN9rocsolver6v33100L23getf2_npvt_small_kernelILi51E19rocblas_complex_numIdEiiPS3_EEvT1_T3_lS5_lPT2_S5_S5_.uses_flat_scratch, 0
	.set _ZN9rocsolver6v33100L23getf2_npvt_small_kernelILi51E19rocblas_complex_numIdEiiPS3_EEvT1_T3_lS5_lPT2_S5_S5_.has_dyn_sized_stack, 0
	.set _ZN9rocsolver6v33100L23getf2_npvt_small_kernelILi51E19rocblas_complex_numIdEiiPS3_EEvT1_T3_lS5_lPT2_S5_S5_.has_recursion, 0
	.set _ZN9rocsolver6v33100L23getf2_npvt_small_kernelILi51E19rocblas_complex_numIdEiiPS3_EEvT1_T3_lS5_lPT2_S5_S5_.has_indirect_call, 0
	.section	.AMDGPU.csdata,"",@progbits
; Kernel info:
; codeLenInByte = 118908
; TotalNumSgprs: 22
; NumVgprs: 256
; NumAgprs: 0
; TotalNumVgprs: 256
; ScratchSize: 1076
; MemoryBound: 1
; FloatMode: 240
; IeeeMode: 1
; LDSByteSize: 0 bytes/workgroup (compile time only)
; SGPRBlocks: 2
; VGPRBlocks: 31
; NumSGPRsForWavesPerEU: 22
; NumVGPRsForWavesPerEU: 256
; AccumOffset: 256
; Occupancy: 2
; WaveLimiterHint : 0
; COMPUTE_PGM_RSRC2:SCRATCH_EN: 1
; COMPUTE_PGM_RSRC2:USER_SGPR: 2
; COMPUTE_PGM_RSRC2:TRAP_HANDLER: 0
; COMPUTE_PGM_RSRC2:TGID_X_EN: 1
; COMPUTE_PGM_RSRC2:TGID_Y_EN: 1
; COMPUTE_PGM_RSRC2:TGID_Z_EN: 0
; COMPUTE_PGM_RSRC2:TIDIG_COMP_CNT: 1
; COMPUTE_PGM_RSRC3_GFX90A:ACCUM_OFFSET: 63
; COMPUTE_PGM_RSRC3_GFX90A:TG_SPLIT: 0
	.section	.text._ZN9rocsolver6v33100L18getf2_small_kernelILi52E19rocblas_complex_numIdEiiPS3_EEvT1_T3_lS5_lPS5_llPT2_S5_S5_S7_l,"axG",@progbits,_ZN9rocsolver6v33100L18getf2_small_kernelILi52E19rocblas_complex_numIdEiiPS3_EEvT1_T3_lS5_lPS5_llPT2_S5_S5_S7_l,comdat
	.globl	_ZN9rocsolver6v33100L18getf2_small_kernelILi52E19rocblas_complex_numIdEiiPS3_EEvT1_T3_lS5_lPS5_llPT2_S5_S5_S7_l ; -- Begin function _ZN9rocsolver6v33100L18getf2_small_kernelILi52E19rocblas_complex_numIdEiiPS3_EEvT1_T3_lS5_lPS5_llPT2_S5_S5_S7_l
	.p2align	8
	.type	_ZN9rocsolver6v33100L18getf2_small_kernelILi52E19rocblas_complex_numIdEiiPS3_EEvT1_T3_lS5_lPS5_llPT2_S5_S5_S7_l,@function
_ZN9rocsolver6v33100L18getf2_small_kernelILi52E19rocblas_complex_numIdEiiPS3_EEvT1_T3_lS5_lPS5_llPT2_S5_S5_S7_l: ; @_ZN9rocsolver6v33100L18getf2_small_kernelILi52E19rocblas_complex_numIdEiiPS3_EEvT1_T3_lS5_lPS5_llPT2_S5_S5_S7_l
; %bb.0:
	s_load_dword s2, s[0:1], 0x6c
	s_load_dwordx2 s[12:13], s[0:1], 0x48
	v_bfe_u32 v208, v0, 10, 10
	s_waitcnt lgkmcnt(0)
	s_lshr_b32 s2, s2, 16
	s_mul_i32 s3, s3, s2
	v_add_u32_e32 v214, s3, v208
	v_cmp_gt_i32_e32 vcc, s12, v214
	s_and_saveexec_b64 s[2:3], vcc
	s_cbranch_execnz .LBB102_1
; %bb.1094:
	s_getpc_b64 s[24:25]
.Lpost_getpc2:
	s_add_u32 s24, s24, (.LBB102_1093-.Lpost_getpc2)&4294967295
	s_addc_u32 s25, s25, (.LBB102_1093-.Lpost_getpc2)>>32
	s_setpc_b64 s[24:25]
.LBB102_1:
	s_load_dwordx4 s[4:7], s[0:1], 0x50
	v_ashrrev_i32_e32 v215, 31, v214
	v_mov_b64_e32 v[216:217], 0
	s_waitcnt lgkmcnt(0)
	s_cmp_eq_u64 s[4:5], 0
	s_cselect_b64 s[14:15], -1, 0
	s_and_b64 vcc, exec, s[14:15]
	s_cbranch_vccnz .LBB102_3
; %bb.2:
	v_mul_lo_u32 v1, s7, v214
	v_mul_lo_u32 v4, s6, v215
	v_mad_u64_u32 v[2:3], s[2:3], s6, v214, 0
	v_add3_u32 v3, v3, v4, v1
	v_lshl_add_u64 v[216:217], v[2:3], 2, s[4:5]
.LBB102_3:
	s_load_dwordx4 s[16:19], s[0:1], 0x8
	s_load_dwordx8 s[4:11], s[0:1], 0x20
	s_load_dword s2, s[0:1], 0x18
	s_load_dword s20, s[0:1], 0x0
	v_and_b32_e32 v223, 0x3ff, v0
	s_waitcnt lgkmcnt(0)
	v_mov_b32_e32 v2, s16
	v_mul_lo_u32 v1, s5, v214
	v_mul_lo_u32 v6, s4, v215
	v_mad_u64_u32 v[4:5], s[4:5], s4, v214, 0
	v_mov_b32_e32 v3, s17
	v_add3_u32 v5, v5, v6, v1
	v_lshl_add_u64 v[2:3], v[4:5], 4, v[2:3]
	s_add_i32 s12, s2, s2
	v_lshl_add_u64 v[212:213], s[18:19], 4, v[2:3]
	v_add_u32_e32 v2, s12, v223
	v_add_u32_e32 v4, s2, v2
	;; [unrolled: 1-line block ×3, first 2 shown]
	v_lshlrev_b32_e32 v218, 4, v223
	v_mov_b32_e32 v219, 0
	v_add_u32_e32 v8, s2, v6
	v_lshl_add_u64 v[0:1], v[212:213], 0, v[218:219]
	s_ashr_i32 s3, s2, 31
	v_ashrrev_i32_e32 v9, 31, v8
	v_add_u32_e32 v12, s2, v8
	v_lshl_add_u64 v[10:11], s[2:3], 4, v[0:1]
	global_load_dwordx4 v[140:143], v[0:1], off
	global_load_dwordx4 v[136:139], v[10:11], off
	v_lshl_add_u64 v[0:1], v[8:9], 4, v[212:213]
	v_ashrrev_i32_e32 v13, 31, v12
	v_add_u32_e32 v8, s2, v12
	v_lshl_add_u64 v[10:11], v[12:13], 4, v[212:213]
	v_add_u32_e32 v12, s2, v8
	v_add_u32_e32 v14, s2, v12
	;; [unrolled: 1-line block ×15, first 2 shown]
	v_ashrrev_i32_e32 v41, 31, v40
	v_lshl_add_u64 v[42:43], v[40:41], 4, v[212:213]
	v_add_u32_e32 v40, s2, v40
	v_ashrrev_i32_e32 v41, 31, v40
	v_lshl_add_u64 v[44:45], v[40:41], 4, v[212:213]
	v_add_u32_e32 v40, s2, v40
	;; [unrolled: 3-line block ×28, first 2 shown]
	v_ashrrev_i32_e32 v41, 31, v40
	v_ashrrev_i32_e32 v3, 31, v2
	;; [unrolled: 1-line block ×19, first 2 shown]
	v_lshl_add_u64 v[246:247], v[40:41], 4, v[212:213]
	v_add_u32_e32 v40, s2, v40
	v_lshl_add_u64 v[2:3], v[2:3], 4, v[212:213]
	v_lshl_add_u64 v[4:5], v[4:5], 4, v[212:213]
	;; [unrolled: 1-line block ×18, first 2 shown]
	v_ashrrev_i32_e32 v41, 31, v40
	v_lshl_add_u64 v[248:249], v[40:41], 4, v[212:213]
	global_load_dwordx4 v[200:203], v[2:3], off
	global_load_dwordx4 v[196:199], v[4:5], off
                                        ; kill: killed $vgpr2_vgpr3
                                        ; kill: killed $vgpr4_vgpr5
	global_load_dwordx4 v[192:195], v[6:7], off
	global_load_dwordx4 v[188:191], v[0:1], off
	;; [unrolled: 1-line block ×30, first 2 shown]
	s_nop 0
	global_load_dwordx4 v[64:67], v[66:67], off
	s_nop 0
	global_load_dwordx4 v[60:63], v[204:205], off
	global_load_dwordx4 v[56:59], v[206:207], off
	;; [unrolled: 1-line block ×17, first 2 shown]
	s_load_dwordx2 s[4:5], s[0:1], 0x40
	s_max_i32 s0, s20, 52
	v_mul_lo_u32 v221, s0, v208
	v_lshl_add_u32 v220, v221, 4, 0
	v_add_u32_e32 v208, v220, v218
	s_waitcnt vmcnt(51)
	ds_write2_b64 v208, v[140:141], v[142:143] offset1:1
	s_waitcnt lgkmcnt(0)
	s_barrier
	ds_read2_b64 v[208:211], v220 offset1:1
	s_cmp_lt_i32 s20, 2
	v_lshlrev_b32_e32 v224, 4, v221
	s_cbranch_scc1 .LBB102_6
; %bb.4:
	v_add3_u32 v218, v224, 0, 16
	s_mov_b32 s16, 1
	v_mov_b32_e32 v219, 0
.LBB102_5:                              ; =>This Inner Loop Header: Depth=1
	ds_read2_b64 v[226:229], v218 offset1:1
	s_waitcnt lgkmcnt(1)
	v_xor_b32_e32 v221, 0x80000000, v209
	v_xor_b32_e32 v222, 0x80000000, v211
	v_cmp_gt_f64_e32 vcc, 0, v[210:211]
	v_cmp_gt_f64_e64 s[0:1], 0, v[208:209]
	v_mov_b32_e32 v230, v208
	v_mov_b32_e32 v232, v210
	v_cndmask_b32_e64 v231, v209, v221, s[0:1]
	v_cndmask_b32_e32 v233, v211, v222, vcc
	s_waitcnt lgkmcnt(0)
	v_xor_b32_e32 v221, 0x80000000, v227
	v_xor_b32_e32 v222, 0x80000000, v229
	v_cmp_gt_f64_e32 vcc, 0, v[228:229]
	v_cmp_gt_f64_e64 s[0:1], 0, v[226:227]
	v_add_f64 v[230:231], v[230:231], v[232:233]
	v_mov_b32_e32 v232, v226
	v_mov_b32_e32 v234, v228
	v_cndmask_b32_e64 v233, v227, v221, s[0:1]
	v_cndmask_b32_e32 v235, v229, v222, vcc
	v_add_f64 v[232:233], v[232:233], v[234:235]
	v_mov_b32_e32 v225, s16
	s_add_i32 s16, s16, 1
	v_cmp_lt_f64_e32 vcc, v[230:231], v[232:233]
	v_add_u32_e32 v218, 16, v218
	s_cmp_eq_u32 s20, s16
	v_cndmask_b32_e32 v209, v209, v227, vcc
	v_cndmask_b32_e32 v208, v208, v226, vcc
	;; [unrolled: 1-line block ×5, first 2 shown]
	s_cbranch_scc0 .LBB102_5
.LBB102_6:
	s_waitcnt lgkmcnt(0)
	v_cmp_neq_f64_e32 vcc, 0, v[208:209]
	v_cmp_neq_f64_e64 s[0:1], 0, v[210:211]
	s_or_b64 s[16:17], vcc, s[0:1]
	v_mov_b32_e32 v222, 1
	v_mov_b32_e32 v225, 1
	s_and_saveexec_b64 s[0:1], s[16:17]
	s_cbranch_execz .LBB102_12
; %bb.7:
	v_cmp_ngt_f64_e64 s[16:17], |v[208:209]|, |v[210:211]|
	s_and_saveexec_b64 s[18:19], s[16:17]
	s_xor_b64 s[16:17], exec, s[18:19]
	s_cbranch_execz .LBB102_9
; %bb.8:
	v_div_scale_f64 v[226:227], s[18:19], v[210:211], v[210:211], v[208:209]
	v_rcp_f64_e32 v[228:229], v[226:227]
	v_div_scale_f64 v[230:231], vcc, v[208:209], v[210:211], v[208:209]
	v_fma_f64 v[232:233], -v[226:227], v[228:229], 1.0
	v_fmac_f64_e32 v[228:229], v[228:229], v[232:233]
	v_fma_f64 v[232:233], -v[226:227], v[228:229], 1.0
	v_fmac_f64_e32 v[228:229], v[228:229], v[232:233]
	v_mul_f64 v[232:233], v[230:231], v[228:229]
	v_fma_f64 v[226:227], -v[226:227], v[232:233], v[230:231]
	v_div_fmas_f64 v[226:227], v[226:227], v[228:229], v[232:233]
	v_div_fixup_f64 v[226:227], v[226:227], v[210:211], v[208:209]
	v_fmac_f64_e32 v[210:211], v[208:209], v[226:227]
	v_div_scale_f64 v[208:209], s[18:19], v[210:211], v[210:211], 1.0
	v_rcp_f64_e32 v[228:229], v[208:209]
	s_nop 0
	v_fma_f64 v[230:231], -v[208:209], v[228:229], 1.0
	v_fmac_f64_e32 v[228:229], v[228:229], v[230:231]
	v_fma_f64 v[230:231], -v[208:209], v[228:229], 1.0
	v_fmac_f64_e32 v[228:229], v[228:229], v[230:231]
	v_div_scale_f64 v[230:231], vcc, 1.0, v[210:211], 1.0
	v_mul_f64 v[232:233], v[230:231], v[228:229]
	v_fma_f64 v[208:209], -v[208:209], v[232:233], v[230:231]
	s_nop 1
	v_div_fmas_f64 v[208:209], v[208:209], v[228:229], v[232:233]
	v_div_fixup_f64 v[210:211], v[208:209], v[210:211], 1.0
	v_mul_f64 v[208:209], v[226:227], v[210:211]
	v_xor_b32_e32 v211, 0x80000000, v211
.LBB102_9:
	s_andn2_saveexec_b64 s[16:17], s[16:17]
	s_cbranch_execz .LBB102_11
; %bb.10:
	v_div_scale_f64 v[226:227], s[18:19], v[208:209], v[208:209], v[210:211]
	v_rcp_f64_e32 v[228:229], v[226:227]
	v_div_scale_f64 v[230:231], vcc, v[210:211], v[208:209], v[210:211]
	v_fma_f64 v[232:233], -v[226:227], v[228:229], 1.0
	v_fmac_f64_e32 v[228:229], v[228:229], v[232:233]
	v_fma_f64 v[232:233], -v[226:227], v[228:229], 1.0
	v_fmac_f64_e32 v[228:229], v[228:229], v[232:233]
	v_mul_f64 v[232:233], v[230:231], v[228:229]
	v_fma_f64 v[226:227], -v[226:227], v[232:233], v[230:231]
	v_div_fmas_f64 v[226:227], v[226:227], v[228:229], v[232:233]
	v_div_fixup_f64 v[226:227], v[226:227], v[208:209], v[210:211]
	v_fmac_f64_e32 v[208:209], v[210:211], v[226:227]
	v_div_scale_f64 v[210:211], s[18:19], v[208:209], v[208:209], 1.0
	v_rcp_f64_e32 v[228:229], v[210:211]
	s_nop 0
	v_fma_f64 v[230:231], -v[210:211], v[228:229], 1.0
	v_fmac_f64_e32 v[228:229], v[228:229], v[230:231]
	v_fma_f64 v[230:231], -v[210:211], v[228:229], 1.0
	v_fmac_f64_e32 v[228:229], v[228:229], v[230:231]
	v_div_scale_f64 v[230:231], vcc, 1.0, v[208:209], 1.0
	v_mul_f64 v[232:233], v[230:231], v[228:229]
	v_fma_f64 v[210:211], -v[210:211], v[232:233], v[230:231]
	s_nop 1
	v_div_fmas_f64 v[210:211], v[210:211], v[228:229], v[232:233]
	v_div_fixup_f64 v[208:209], v[210:211], v[208:209], 1.0
	v_mul_f64 v[210:211], v[226:227], -v[208:209]
.LBB102_11:
	s_or_b64 exec, exec, s[16:17]
	v_mov_b32_e32 v225, 0
	v_mov_b32_e32 v222, 2
.LBB102_12:
	s_or_b64 exec, exec, s[0:1]
	v_cmp_ne_u32_e32 vcc, v223, v219
	s_and_saveexec_b64 s[0:1], vcc
	s_xor_b64 s[0:1], exec, s[0:1]
	s_cbranch_execz .LBB102_18
; %bb.13:
	v_cmp_eq_u32_e32 vcc, 0, v223
	s_and_saveexec_b64 s[16:17], vcc
	s_cbranch_execz .LBB102_17
; %bb.14:
	v_cmp_ne_u32_e32 vcc, 0, v219
	s_xor_b64 s[18:19], s[14:15], -1
	s_and_b64 s[22:23], s[18:19], vcc
	s_and_saveexec_b64 s[18:19], s[22:23]
	s_cbranch_execz .LBB102_16
; %bb.15:
	v_ashrrev_i32_e32 v227, 31, v219
	v_mov_b32_e32 v226, v219
	v_lshl_add_u64 v[226:227], v[226:227], 2, v[216:217]
	global_load_dword v218, v[226:227], off
	global_load_dword v221, v[216:217], off
	s_waitcnt vmcnt(1)
	global_store_dword v[216:217], v218, off
	s_waitcnt vmcnt(1)
	global_store_dword v[226:227], v221, off
.LBB102_16:
	s_or_b64 exec, exec, s[18:19]
	v_mov_b32_e32 v223, v219
.LBB102_17:
	s_or_b64 exec, exec, s[16:17]
.LBB102_18:
	s_or_saveexec_b64 s[0:1], s[0:1]
	v_mov_b32_e32 v221, v223
	s_xor_b64 exec, exec, s[0:1]
	s_cbranch_execz .LBB102_20
; %bb.19:
	v_mov_b32_e32 v221, 0
	s_waitcnt vmcnt(50)
	ds_write2_b64 v220, v[136:137], v[138:139] offset0:2 offset1:3
	s_waitcnt vmcnt(49)
	ds_write2_b64 v220, v[200:201], v[202:203] offset0:4 offset1:5
	;; [unrolled: 2-line block ×51, first 2 shown]
.LBB102_20:
	s_or_b64 exec, exec, s[0:1]
	v_cmp_lt_i32_e32 vcc, 0, v221
	s_waitcnt lgkmcnt(0)
	s_barrier
	s_and_saveexec_b64 s[0:1], vcc
	s_cbranch_execz .LBB102_22
; %bb.21:
	ds_read2_b64 v[226:229], v220 offset0:2 offset1:3
	v_mul_f64 v[218:219], v[210:211], v[142:143]
	v_mul_f64 v[142:143], v[208:209], v[142:143]
	v_fmac_f64_e32 v[142:143], v[210:211], v[140:141]
	v_fma_f64 v[218:219], v[208:209], v[140:141], -v[218:219]
	ds_read2_b64 v[208:211], v220 offset0:4 offset1:5
	s_waitcnt lgkmcnt(1)
	v_mul_f64 v[140:141], v[228:229], v[142:143]
	v_fma_f64 v[140:141], v[226:227], v[218:219], -v[140:141]
	v_mul_f64 v[226:227], v[226:227], v[142:143]
	v_fmac_f64_e32 v[226:227], v[228:229], v[218:219]
	s_waitcnt vmcnt(50)
	v_add_f64 v[138:139], v[138:139], -v[226:227]
	ds_read2_b64 v[226:229], v220 offset0:6 offset1:7
	v_add_f64 v[136:137], v[136:137], -v[140:141]
	s_waitcnt lgkmcnt(1)
	v_mul_f64 v[140:141], v[210:211], v[142:143]
	v_fma_f64 v[140:141], v[208:209], v[218:219], -v[140:141]
	v_mul_f64 v[208:209], v[208:209], v[142:143]
	v_fmac_f64_e32 v[208:209], v[210:211], v[218:219]
	s_waitcnt vmcnt(49)
	v_add_f64 v[200:201], v[200:201], -v[140:141]
	v_add_f64 v[202:203], v[202:203], -v[208:209]
	ds_read2_b64 v[208:211], v220 offset0:8 offset1:9
	s_waitcnt lgkmcnt(1)
	v_mul_f64 v[140:141], v[228:229], v[142:143]
	v_fma_f64 v[140:141], v[226:227], v[218:219], -v[140:141]
	v_mul_f64 v[226:227], v[226:227], v[142:143]
	v_fmac_f64_e32 v[226:227], v[228:229], v[218:219]
	s_waitcnt vmcnt(48)
	v_add_f64 v[198:199], v[198:199], -v[226:227]
	ds_read2_b64 v[226:229], v220 offset0:10 offset1:11
	v_add_f64 v[196:197], v[196:197], -v[140:141]
	s_waitcnt lgkmcnt(1)
	v_mul_f64 v[140:141], v[210:211], v[142:143]
	v_fma_f64 v[140:141], v[208:209], v[218:219], -v[140:141]
	v_mul_f64 v[208:209], v[208:209], v[142:143]
	v_fmac_f64_e32 v[208:209], v[210:211], v[218:219]
	s_waitcnt vmcnt(47)
	v_add_f64 v[192:193], v[192:193], -v[140:141]
	v_add_f64 v[194:195], v[194:195], -v[208:209]
	;; [unrolled: 18-line block ×25, first 2 shown]
	s_waitcnt lgkmcnt(0)
	v_mul_f64 v[140:141], v[228:229], v[142:143]
	v_mul_f64 v[208:209], v[226:227], v[142:143]
	v_fma_f64 v[140:141], v[226:227], v[218:219], -v[140:141]
	v_fmac_f64_e32 v[208:209], v[228:229], v[218:219]
	s_waitcnt vmcnt(0)
	v_add_f64 v[204:205], v[204:205], -v[140:141]
	v_add_f64 v[206:207], v[206:207], -v[208:209]
	v_mov_b64_e32 v[140:141], v[218:219]
.LBB102_22:
	s_or_b64 exec, exec, s[0:1]
	v_lshl_add_u32 v208, v221, 4, v220
	s_barrier
	s_waitcnt vmcnt(50)
	ds_write2_b64 v208, v[136:137], v[138:139] offset1:1
	s_waitcnt lgkmcnt(0)
	s_barrier
	ds_read2_b64 v[208:211], v220 offset0:2 offset1:3
	s_cmp_lt_i32 s20, 3
	v_mov_b32_e32 v218, 1
	s_cbranch_scc1 .LBB102_25
; %bb.23:
	v_add3_u32 v219, v224, 0, 32
	s_mov_b32 s16, 2
	v_mov_b32_e32 v218, 1
.LBB102_24:                             ; =>This Inner Loop Header: Depth=1
	ds_read2_b64 v[226:229], v219 offset1:1
	s_waitcnt lgkmcnt(1)
	v_xor_b32_e32 v231, 0x80000000, v209
	v_xor_b32_e32 v233, 0x80000000, v211
	v_cmp_gt_f64_e32 vcc, 0, v[210:211]
	v_cmp_gt_f64_e64 s[0:1], 0, v[208:209]
	v_mov_b32_e32 v230, v208
	v_mov_b32_e32 v232, v210
	v_cndmask_b32_e64 v231, v209, v231, s[0:1]
	v_cndmask_b32_e32 v233, v211, v233, vcc
	v_add_f64 v[230:231], v[230:231], v[232:233]
	s_waitcnt lgkmcnt(0)
	v_xor_b32_e32 v233, 0x80000000, v227
	v_xor_b32_e32 v235, 0x80000000, v229
	v_cmp_gt_f64_e32 vcc, 0, v[228:229]
	v_cmp_gt_f64_e64 s[0:1], 0, v[226:227]
	v_mov_b32_e32 v232, v226
	v_mov_b32_e32 v234, v228
	v_cndmask_b32_e64 v233, v227, v233, s[0:1]
	v_cndmask_b32_e32 v235, v229, v235, vcc
	v_add_f64 v[232:233], v[232:233], v[234:235]
	v_mov_b32_e32 v236, s16
	s_add_i32 s16, s16, 1
	v_cmp_lt_f64_e32 vcc, v[230:231], v[232:233]
	v_add_u32_e32 v219, 16, v219
	s_cmp_lg_u32 s20, s16
	v_cndmask_b32_e32 v209, v209, v227, vcc
	v_cndmask_b32_e32 v208, v208, v226, vcc
	;; [unrolled: 1-line block ×5, first 2 shown]
	s_cbranch_scc1 .LBB102_24
.LBB102_25:
	s_waitcnt lgkmcnt(0)
	v_cmp_neq_f64_e32 vcc, 0, v[208:209]
	v_cmp_neq_f64_e64 s[0:1], 0, v[210:211]
	s_or_b64 s[16:17], vcc, s[0:1]
	s_and_saveexec_b64 s[0:1], s[16:17]
	s_cbranch_execz .LBB102_31
; %bb.26:
	v_cmp_ngt_f64_e64 s[16:17], |v[208:209]|, |v[210:211]|
	s_and_saveexec_b64 s[18:19], s[16:17]
	s_xor_b64 s[16:17], exec, s[18:19]
	s_cbranch_execz .LBB102_28
; %bb.27:
	v_div_scale_f64 v[226:227], s[18:19], v[210:211], v[210:211], v[208:209]
	v_rcp_f64_e32 v[228:229], v[226:227]
	v_div_scale_f64 v[230:231], vcc, v[208:209], v[210:211], v[208:209]
	v_fma_f64 v[232:233], -v[226:227], v[228:229], 1.0
	v_fmac_f64_e32 v[228:229], v[228:229], v[232:233]
	v_fma_f64 v[232:233], -v[226:227], v[228:229], 1.0
	v_fmac_f64_e32 v[228:229], v[228:229], v[232:233]
	v_mul_f64 v[232:233], v[230:231], v[228:229]
	v_fma_f64 v[226:227], -v[226:227], v[232:233], v[230:231]
	v_div_fmas_f64 v[226:227], v[226:227], v[228:229], v[232:233]
	v_div_fixup_f64 v[226:227], v[226:227], v[210:211], v[208:209]
	v_fmac_f64_e32 v[210:211], v[208:209], v[226:227]
	v_div_scale_f64 v[208:209], s[18:19], v[210:211], v[210:211], 1.0
	v_rcp_f64_e32 v[228:229], v[208:209]
	s_nop 0
	v_fma_f64 v[230:231], -v[208:209], v[228:229], 1.0
	v_fmac_f64_e32 v[228:229], v[228:229], v[230:231]
	v_fma_f64 v[230:231], -v[208:209], v[228:229], 1.0
	v_fmac_f64_e32 v[228:229], v[228:229], v[230:231]
	v_div_scale_f64 v[230:231], vcc, 1.0, v[210:211], 1.0
	v_mul_f64 v[232:233], v[230:231], v[228:229]
	v_fma_f64 v[208:209], -v[208:209], v[232:233], v[230:231]
	s_nop 1
	v_div_fmas_f64 v[208:209], v[208:209], v[228:229], v[232:233]
	v_div_fixup_f64 v[210:211], v[208:209], v[210:211], 1.0
	v_mul_f64 v[208:209], v[226:227], v[210:211]
	v_xor_b32_e32 v211, 0x80000000, v211
.LBB102_28:
	s_andn2_saveexec_b64 s[16:17], s[16:17]
	s_cbranch_execz .LBB102_30
; %bb.29:
	v_div_scale_f64 v[226:227], s[18:19], v[208:209], v[208:209], v[210:211]
	v_rcp_f64_e32 v[228:229], v[226:227]
	v_div_scale_f64 v[230:231], vcc, v[210:211], v[208:209], v[210:211]
	v_fma_f64 v[232:233], -v[226:227], v[228:229], 1.0
	v_fmac_f64_e32 v[228:229], v[228:229], v[232:233]
	v_fma_f64 v[232:233], -v[226:227], v[228:229], 1.0
	v_fmac_f64_e32 v[228:229], v[228:229], v[232:233]
	v_mul_f64 v[232:233], v[230:231], v[228:229]
	v_fma_f64 v[226:227], -v[226:227], v[232:233], v[230:231]
	v_div_fmas_f64 v[226:227], v[226:227], v[228:229], v[232:233]
	v_div_fixup_f64 v[226:227], v[226:227], v[208:209], v[210:211]
	v_fmac_f64_e32 v[208:209], v[210:211], v[226:227]
	v_div_scale_f64 v[210:211], s[18:19], v[208:209], v[208:209], 1.0
	v_rcp_f64_e32 v[228:229], v[210:211]
	s_nop 0
	v_fma_f64 v[230:231], -v[210:211], v[228:229], 1.0
	v_fmac_f64_e32 v[228:229], v[228:229], v[230:231]
	v_fma_f64 v[230:231], -v[210:211], v[228:229], 1.0
	v_fmac_f64_e32 v[228:229], v[228:229], v[230:231]
	v_div_scale_f64 v[230:231], vcc, 1.0, v[208:209], 1.0
	v_mul_f64 v[232:233], v[230:231], v[228:229]
	v_fma_f64 v[210:211], -v[210:211], v[232:233], v[230:231]
	s_nop 1
	v_div_fmas_f64 v[210:211], v[210:211], v[228:229], v[232:233]
	v_div_fixup_f64 v[208:209], v[210:211], v[208:209], 1.0
	v_mul_f64 v[210:211], v[226:227], -v[208:209]
.LBB102_30:
	s_or_b64 exec, exec, s[16:17]
	v_mov_b32_e32 v222, v225
.LBB102_31:
	s_or_b64 exec, exec, s[0:1]
	v_cmp_ne_u32_e32 vcc, v221, v218
	s_and_saveexec_b64 s[0:1], vcc
	s_xor_b64 s[0:1], exec, s[0:1]
	s_cbranch_execz .LBB102_37
; %bb.32:
	v_cmp_eq_u32_e32 vcc, 1, v221
	s_and_saveexec_b64 s[16:17], vcc
	s_cbranch_execz .LBB102_36
; %bb.33:
	v_cmp_ne_u32_e32 vcc, 1, v218
	s_xor_b64 s[18:19], s[14:15], -1
	s_and_b64 s[22:23], s[18:19], vcc
	s_and_saveexec_b64 s[18:19], s[22:23]
	s_cbranch_execz .LBB102_35
; %bb.34:
	v_ashrrev_i32_e32 v219, 31, v218
	v_lshl_add_u64 v[226:227], v[218:219], 2, v[216:217]
	global_load_dword v219, v[226:227], off
	global_load_dword v221, v[216:217], off offset:4
	s_waitcnt vmcnt(1)
	global_store_dword v[216:217], v219, off offset:4
	s_waitcnt vmcnt(1)
	global_store_dword v[226:227], v221, off
.LBB102_35:
	s_or_b64 exec, exec, s[18:19]
	v_mov_b32_e32 v221, v218
	v_mov_b32_e32 v223, v218
.LBB102_36:
	s_or_b64 exec, exec, s[16:17]
.LBB102_37:
	s_andn2_saveexec_b64 s[0:1], s[0:1]
	s_cbranch_execz .LBB102_39
; %bb.38:
	v_mov_b32_e32 v221, 1
	s_waitcnt vmcnt(49)
	ds_write2_b64 v220, v[200:201], v[202:203] offset0:4 offset1:5
	s_waitcnt vmcnt(48)
	ds_write2_b64 v220, v[196:197], v[198:199] offset0:6 offset1:7
	;; [unrolled: 2-line block ×50, first 2 shown]
.LBB102_39:
	s_or_b64 exec, exec, s[0:1]
	v_cmp_lt_i32_e32 vcc, 1, v221
	s_waitcnt lgkmcnt(0)
	s_barrier
	s_and_saveexec_b64 s[0:1], vcc
	s_cbranch_execz .LBB102_41
; %bb.40:
	ds_read2_b64 v[226:229], v220 offset0:4 offset1:5
	v_mul_f64 v[218:219], v[210:211], v[138:139]
	v_mul_f64 v[138:139], v[208:209], v[138:139]
	v_fma_f64 v[218:219], v[208:209], v[136:137], -v[218:219]
	v_fmac_f64_e32 v[138:139], v[210:211], v[136:137]
	ds_read2_b64 v[208:211], v220 offset0:6 offset1:7
	s_waitcnt lgkmcnt(1)
	v_mul_f64 v[136:137], v[228:229], v[138:139]
	v_fma_f64 v[136:137], v[226:227], v[218:219], -v[136:137]
	v_mul_f64 v[226:227], v[226:227], v[138:139]
	v_fmac_f64_e32 v[226:227], v[228:229], v[218:219]
	s_waitcnt vmcnt(49)
	v_add_f64 v[200:201], v[200:201], -v[136:137]
	s_waitcnt lgkmcnt(0)
	v_mul_f64 v[136:137], v[210:211], v[138:139]
	v_add_f64 v[202:203], v[202:203], -v[226:227]
	v_fma_f64 v[136:137], v[208:209], v[218:219], -v[136:137]
	v_mul_f64 v[208:209], v[208:209], v[138:139]
	ds_read2_b64 v[226:229], v220 offset0:8 offset1:9
	v_fmac_f64_e32 v[208:209], v[210:211], v[218:219]
	s_waitcnt vmcnt(48)
	v_add_f64 v[198:199], v[198:199], -v[208:209]
	ds_read2_b64 v[208:211], v220 offset0:10 offset1:11
	v_add_f64 v[196:197], v[196:197], -v[136:137]
	s_waitcnt lgkmcnt(1)
	v_mul_f64 v[136:137], v[228:229], v[138:139]
	v_fma_f64 v[136:137], v[226:227], v[218:219], -v[136:137]
	v_mul_f64 v[226:227], v[226:227], v[138:139]
	v_fmac_f64_e32 v[226:227], v[228:229], v[218:219]
	s_waitcnt vmcnt(47)
	v_add_f64 v[192:193], v[192:193], -v[136:137]
	s_waitcnt lgkmcnt(0)
	v_mul_f64 v[136:137], v[210:211], v[138:139]
	v_add_f64 v[194:195], v[194:195], -v[226:227]
	v_fma_f64 v[136:137], v[208:209], v[218:219], -v[136:137]
	v_mul_f64 v[208:209], v[208:209], v[138:139]
	ds_read2_b64 v[226:229], v220 offset0:12 offset1:13
	v_fmac_f64_e32 v[208:209], v[210:211], v[218:219]
	s_waitcnt vmcnt(46)
	v_add_f64 v[190:191], v[190:191], -v[208:209]
	ds_read2_b64 v[208:211], v220 offset0:14 offset1:15
	v_add_f64 v[188:189], v[188:189], -v[136:137]
	;; [unrolled: 18-line block ×24, first 2 shown]
	s_waitcnt lgkmcnt(1)
	v_mul_f64 v[136:137], v[228:229], v[138:139]
	v_fma_f64 v[136:137], v[226:227], v[218:219], -v[136:137]
	s_waitcnt vmcnt(1)
	v_add_f64 v[0:1], v[0:1], -v[136:137]
	s_waitcnt lgkmcnt(0)
	v_mul_f64 v[136:137], v[210:211], v[138:139]
	v_mul_f64 v[226:227], v[226:227], v[138:139]
	v_fma_f64 v[136:137], v[208:209], v[218:219], -v[136:137]
	v_mul_f64 v[208:209], v[208:209], v[138:139]
	v_fmac_f64_e32 v[226:227], v[228:229], v[218:219]
	v_fmac_f64_e32 v[208:209], v[210:211], v[218:219]
	v_add_f64 v[2:3], v[2:3], -v[226:227]
	s_waitcnt vmcnt(0)
	v_add_f64 v[204:205], v[204:205], -v[136:137]
	v_add_f64 v[206:207], v[206:207], -v[208:209]
	v_mov_b64_e32 v[136:137], v[218:219]
.LBB102_41:
	s_or_b64 exec, exec, s[0:1]
	v_lshl_add_u32 v208, v221, 4, v220
	s_barrier
	s_waitcnt vmcnt(49)
	ds_write2_b64 v208, v[200:201], v[202:203] offset1:1
	s_waitcnt lgkmcnt(0)
	s_barrier
	ds_read2_b64 v[208:211], v220 offset0:4 offset1:5
	s_cmp_lt_i32 s20, 4
	v_mov_b32_e32 v218, 2
	s_cbranch_scc1 .LBB102_44
; %bb.42:
	v_add3_u32 v219, v224, 0, 48
	s_mov_b32 s16, 3
	v_mov_b32_e32 v218, 2
.LBB102_43:                             ; =>This Inner Loop Header: Depth=1
	ds_read2_b64 v[226:229], v219 offset1:1
	s_waitcnt lgkmcnt(1)
	v_xor_b32_e32 v225, 0x80000000, v209
	v_xor_b32_e32 v233, 0x80000000, v211
	v_cmp_gt_f64_e32 vcc, 0, v[210:211]
	v_cmp_gt_f64_e64 s[0:1], 0, v[208:209]
	v_mov_b32_e32 v230, v208
	v_mov_b32_e32 v232, v210
	v_cndmask_b32_e64 v231, v209, v225, s[0:1]
	v_cndmask_b32_e32 v233, v211, v233, vcc
	s_waitcnt lgkmcnt(0)
	v_xor_b32_e32 v225, 0x80000000, v227
	v_xor_b32_e32 v235, 0x80000000, v229
	v_cmp_gt_f64_e32 vcc, 0, v[228:229]
	v_cmp_gt_f64_e64 s[0:1], 0, v[226:227]
	v_add_f64 v[230:231], v[230:231], v[232:233]
	v_mov_b32_e32 v232, v226
	v_mov_b32_e32 v234, v228
	v_cndmask_b32_e64 v233, v227, v225, s[0:1]
	v_cndmask_b32_e32 v235, v229, v235, vcc
	v_add_f64 v[232:233], v[232:233], v[234:235]
	v_mov_b32_e32 v236, s16
	s_add_i32 s16, s16, 1
	v_cmp_lt_f64_e32 vcc, v[230:231], v[232:233]
	v_add_u32_e32 v219, 16, v219
	s_cmp_lg_u32 s20, s16
	v_cndmask_b32_e32 v209, v209, v227, vcc
	v_cndmask_b32_e32 v208, v208, v226, vcc
	;; [unrolled: 1-line block ×5, first 2 shown]
	s_cbranch_scc1 .LBB102_43
.LBB102_44:
	s_waitcnt lgkmcnt(0)
	v_cmp_eq_f64_e32 vcc, 0, v[208:209]
	v_cmp_eq_f64_e64 s[0:1], 0, v[210:211]
	s_and_b64 s[0:1], vcc, s[0:1]
	s_and_saveexec_b64 s[16:17], s[0:1]
	s_xor_b64 s[0:1], exec, s[16:17]
; %bb.45:
	v_cmp_ne_u32_e32 vcc, 0, v222
	s_nop 1
	v_cndmask_b32_e32 v222, 3, v222, vcc
; %bb.46:
	s_andn2_saveexec_b64 s[0:1], s[0:1]
	s_cbranch_execz .LBB102_52
; %bb.47:
	v_cmp_ngt_f64_e64 s[16:17], |v[208:209]|, |v[210:211]|
	s_and_saveexec_b64 s[18:19], s[16:17]
	s_xor_b64 s[16:17], exec, s[18:19]
	s_cbranch_execz .LBB102_49
; %bb.48:
	v_div_scale_f64 v[226:227], s[18:19], v[210:211], v[210:211], v[208:209]
	v_rcp_f64_e32 v[228:229], v[226:227]
	v_div_scale_f64 v[230:231], vcc, v[208:209], v[210:211], v[208:209]
	v_fma_f64 v[232:233], -v[226:227], v[228:229], 1.0
	v_fmac_f64_e32 v[228:229], v[228:229], v[232:233]
	v_fma_f64 v[232:233], -v[226:227], v[228:229], 1.0
	v_fmac_f64_e32 v[228:229], v[228:229], v[232:233]
	v_mul_f64 v[232:233], v[230:231], v[228:229]
	v_fma_f64 v[226:227], -v[226:227], v[232:233], v[230:231]
	v_div_fmas_f64 v[226:227], v[226:227], v[228:229], v[232:233]
	v_div_fixup_f64 v[226:227], v[226:227], v[210:211], v[208:209]
	v_fmac_f64_e32 v[210:211], v[208:209], v[226:227]
	v_div_scale_f64 v[208:209], s[18:19], v[210:211], v[210:211], 1.0
	v_rcp_f64_e32 v[228:229], v[208:209]
	s_nop 0
	v_fma_f64 v[230:231], -v[208:209], v[228:229], 1.0
	v_fmac_f64_e32 v[228:229], v[228:229], v[230:231]
	v_fma_f64 v[230:231], -v[208:209], v[228:229], 1.0
	v_fmac_f64_e32 v[228:229], v[228:229], v[230:231]
	v_div_scale_f64 v[230:231], vcc, 1.0, v[210:211], 1.0
	v_mul_f64 v[232:233], v[230:231], v[228:229]
	v_fma_f64 v[208:209], -v[208:209], v[232:233], v[230:231]
	s_nop 1
	v_div_fmas_f64 v[208:209], v[208:209], v[228:229], v[232:233]
	v_div_fixup_f64 v[210:211], v[208:209], v[210:211], 1.0
	v_mul_f64 v[208:209], v[226:227], v[210:211]
	v_xor_b32_e32 v211, 0x80000000, v211
.LBB102_49:
	s_andn2_saveexec_b64 s[16:17], s[16:17]
	s_cbranch_execz .LBB102_51
; %bb.50:
	v_div_scale_f64 v[226:227], s[18:19], v[208:209], v[208:209], v[210:211]
	v_rcp_f64_e32 v[228:229], v[226:227]
	v_div_scale_f64 v[230:231], vcc, v[210:211], v[208:209], v[210:211]
	v_fma_f64 v[232:233], -v[226:227], v[228:229], 1.0
	v_fmac_f64_e32 v[228:229], v[228:229], v[232:233]
	v_fma_f64 v[232:233], -v[226:227], v[228:229], 1.0
	v_fmac_f64_e32 v[228:229], v[228:229], v[232:233]
	v_mul_f64 v[232:233], v[230:231], v[228:229]
	v_fma_f64 v[226:227], -v[226:227], v[232:233], v[230:231]
	v_div_fmas_f64 v[226:227], v[226:227], v[228:229], v[232:233]
	v_div_fixup_f64 v[226:227], v[226:227], v[208:209], v[210:211]
	v_fmac_f64_e32 v[208:209], v[210:211], v[226:227]
	v_div_scale_f64 v[210:211], s[18:19], v[208:209], v[208:209], 1.0
	v_rcp_f64_e32 v[228:229], v[210:211]
	s_nop 0
	v_fma_f64 v[230:231], -v[210:211], v[228:229], 1.0
	v_fmac_f64_e32 v[228:229], v[228:229], v[230:231]
	v_fma_f64 v[230:231], -v[210:211], v[228:229], 1.0
	v_fmac_f64_e32 v[228:229], v[228:229], v[230:231]
	v_div_scale_f64 v[230:231], vcc, 1.0, v[208:209], 1.0
	v_mul_f64 v[232:233], v[230:231], v[228:229]
	v_fma_f64 v[210:211], -v[210:211], v[232:233], v[230:231]
	s_nop 1
	v_div_fmas_f64 v[210:211], v[210:211], v[228:229], v[232:233]
	v_div_fixup_f64 v[208:209], v[210:211], v[208:209], 1.0
	v_mul_f64 v[210:211], v[226:227], -v[208:209]
.LBB102_51:
	s_or_b64 exec, exec, s[16:17]
.LBB102_52:
	s_or_b64 exec, exec, s[0:1]
	v_cmp_ne_u32_e32 vcc, v221, v218
	s_and_saveexec_b64 s[0:1], vcc
	s_xor_b64 s[0:1], exec, s[0:1]
	s_cbranch_execz .LBB102_58
; %bb.53:
	v_cmp_eq_u32_e32 vcc, 2, v221
	s_and_saveexec_b64 s[16:17], vcc
	s_cbranch_execz .LBB102_57
; %bb.54:
	v_cmp_ne_u32_e32 vcc, 2, v218
	s_xor_b64 s[18:19], s[14:15], -1
	s_and_b64 s[22:23], s[18:19], vcc
	s_and_saveexec_b64 s[18:19], s[22:23]
	s_cbranch_execz .LBB102_56
; %bb.55:
	v_ashrrev_i32_e32 v219, 31, v218
	v_lshl_add_u64 v[226:227], v[218:219], 2, v[216:217]
	global_load_dword v219, v[226:227], off
	global_load_dword v221, v[216:217], off offset:8
	s_waitcnt vmcnt(1)
	global_store_dword v[216:217], v219, off offset:8
	s_waitcnt vmcnt(1)
	global_store_dword v[226:227], v221, off
.LBB102_56:
	s_or_b64 exec, exec, s[18:19]
	v_mov_b32_e32 v221, v218
	v_mov_b32_e32 v223, v218
.LBB102_57:
	s_or_b64 exec, exec, s[16:17]
.LBB102_58:
	s_andn2_saveexec_b64 s[0:1], s[0:1]
	s_cbranch_execz .LBB102_60
; %bb.59:
	v_mov_b32_e32 v221, 2
	s_waitcnt vmcnt(48)
	ds_write2_b64 v220, v[196:197], v[198:199] offset0:6 offset1:7
	s_waitcnt vmcnt(47)
	ds_write2_b64 v220, v[192:193], v[194:195] offset0:8 offset1:9
	;; [unrolled: 2-line block ×49, first 2 shown]
.LBB102_60:
	s_or_b64 exec, exec, s[0:1]
	v_cmp_lt_i32_e32 vcc, 2, v221
	s_waitcnt lgkmcnt(0)
	s_barrier
	s_and_saveexec_b64 s[0:1], vcc
	s_cbranch_execz .LBB102_62
; %bb.61:
	ds_read2_b64 v[226:229], v220 offset0:6 offset1:7
	v_mul_f64 v[218:219], v[210:211], v[202:203]
	v_mul_f64 v[202:203], v[208:209], v[202:203]
	v_fmac_f64_e32 v[202:203], v[210:211], v[200:201]
	v_fma_f64 v[218:219], v[208:209], v[200:201], -v[218:219]
	ds_read2_b64 v[208:211], v220 offset0:8 offset1:9
	s_waitcnt lgkmcnt(1)
	v_mul_f64 v[200:201], v[228:229], v[202:203]
	v_fma_f64 v[200:201], v[226:227], v[218:219], -v[200:201]
	v_mul_f64 v[226:227], v[226:227], v[202:203]
	v_fmac_f64_e32 v[226:227], v[228:229], v[218:219]
	s_waitcnt vmcnt(48)
	v_add_f64 v[198:199], v[198:199], -v[226:227]
	ds_read2_b64 v[226:229], v220 offset0:10 offset1:11
	v_add_f64 v[196:197], v[196:197], -v[200:201]
	s_waitcnt lgkmcnt(1)
	v_mul_f64 v[200:201], v[210:211], v[202:203]
	v_fma_f64 v[200:201], v[208:209], v[218:219], -v[200:201]
	v_mul_f64 v[208:209], v[208:209], v[202:203]
	v_fmac_f64_e32 v[208:209], v[210:211], v[218:219]
	s_waitcnt vmcnt(47)
	v_add_f64 v[192:193], v[192:193], -v[200:201]
	v_add_f64 v[194:195], v[194:195], -v[208:209]
	ds_read2_b64 v[208:211], v220 offset0:12 offset1:13
	s_waitcnt lgkmcnt(1)
	v_mul_f64 v[200:201], v[228:229], v[202:203]
	v_fma_f64 v[200:201], v[226:227], v[218:219], -v[200:201]
	v_mul_f64 v[226:227], v[226:227], v[202:203]
	v_fmac_f64_e32 v[226:227], v[228:229], v[218:219]
	s_waitcnt vmcnt(46)
	v_add_f64 v[190:191], v[190:191], -v[226:227]
	ds_read2_b64 v[226:229], v220 offset0:14 offset1:15
	v_add_f64 v[188:189], v[188:189], -v[200:201]
	s_waitcnt lgkmcnt(1)
	v_mul_f64 v[200:201], v[210:211], v[202:203]
	v_fma_f64 v[200:201], v[208:209], v[218:219], -v[200:201]
	v_mul_f64 v[208:209], v[208:209], v[202:203]
	v_fmac_f64_e32 v[208:209], v[210:211], v[218:219]
	s_waitcnt vmcnt(45)
	v_add_f64 v[184:185], v[184:185], -v[200:201]
	v_add_f64 v[186:187], v[186:187], -v[208:209]
	;; [unrolled: 18-line block ×24, first 2 shown]
	s_waitcnt lgkmcnt(0)
	v_mul_f64 v[200:201], v[228:229], v[202:203]
	v_mul_f64 v[208:209], v[226:227], v[202:203]
	v_fma_f64 v[200:201], v[226:227], v[218:219], -v[200:201]
	v_fmac_f64_e32 v[208:209], v[228:229], v[218:219]
	s_waitcnt vmcnt(0)
	v_add_f64 v[204:205], v[204:205], -v[200:201]
	v_add_f64 v[206:207], v[206:207], -v[208:209]
	v_mov_b64_e32 v[200:201], v[218:219]
.LBB102_62:
	s_or_b64 exec, exec, s[0:1]
	v_lshl_add_u32 v208, v221, 4, v220
	s_barrier
	s_waitcnt vmcnt(48)
	ds_write2_b64 v208, v[196:197], v[198:199] offset1:1
	s_waitcnt lgkmcnt(0)
	s_barrier
	ds_read2_b64 v[208:211], v220 offset0:6 offset1:7
	s_mov_b32 s16, 4
	s_cmp_lt_i32 s20, 5
	v_mov_b32_e32 v218, 3
	s_cbranch_scc1 .LBB102_65
; %bb.63:
	v_add3_u32 v219, v224, 0, 64
	v_mov_b32_e32 v218, 3
.LBB102_64:                             ; =>This Inner Loop Header: Depth=1
	ds_read2_b64 v[224:227], v219 offset1:1
	s_waitcnt lgkmcnt(1)
	v_xor_b32_e32 v229, 0x80000000, v209
	v_xor_b32_e32 v231, 0x80000000, v211
	v_cmp_gt_f64_e32 vcc, 0, v[210:211]
	v_cmp_gt_f64_e64 s[0:1], 0, v[208:209]
	v_mov_b32_e32 v228, v208
	v_mov_b32_e32 v230, v210
	v_cndmask_b32_e64 v229, v209, v229, s[0:1]
	v_cndmask_b32_e32 v231, v211, v231, vcc
	v_add_f64 v[228:229], v[228:229], v[230:231]
	s_waitcnt lgkmcnt(0)
	v_xor_b32_e32 v231, 0x80000000, v225
	v_xor_b32_e32 v233, 0x80000000, v227
	v_cmp_gt_f64_e32 vcc, 0, v[226:227]
	v_cmp_gt_f64_e64 s[0:1], 0, v[224:225]
	v_mov_b32_e32 v230, v224
	v_mov_b32_e32 v232, v226
	v_cndmask_b32_e64 v231, v225, v231, s[0:1]
	v_cndmask_b32_e32 v233, v227, v233, vcc
	v_add_f64 v[230:231], v[230:231], v[232:233]
	v_mov_b32_e32 v234, s16
	s_add_i32 s16, s16, 1
	v_cmp_lt_f64_e32 vcc, v[228:229], v[230:231]
	v_add_u32_e32 v219, 16, v219
	s_cmp_lg_u32 s20, s16
	v_cndmask_b32_e32 v209, v209, v225, vcc
	v_cndmask_b32_e32 v208, v208, v224, vcc
	;; [unrolled: 1-line block ×5, first 2 shown]
	s_cbranch_scc1 .LBB102_64
.LBB102_65:
	s_waitcnt lgkmcnt(0)
	v_cmp_eq_f64_e32 vcc, 0, v[208:209]
	v_cmp_eq_f64_e64 s[0:1], 0, v[210:211]
	s_and_b64 s[0:1], vcc, s[0:1]
	s_and_saveexec_b64 s[16:17], s[0:1]
	s_xor_b64 s[0:1], exec, s[16:17]
; %bb.66:
	v_cmp_ne_u32_e32 vcc, 0, v222
	s_nop 1
	v_cndmask_b32_e32 v222, 4, v222, vcc
; %bb.67:
	s_andn2_saveexec_b64 s[0:1], s[0:1]
	s_cbranch_execz .LBB102_73
; %bb.68:
	v_cmp_ngt_f64_e64 s[16:17], |v[208:209]|, |v[210:211]|
	s_and_saveexec_b64 s[18:19], s[16:17]
	s_xor_b64 s[16:17], exec, s[18:19]
	s_cbranch_execz .LBB102_70
; %bb.69:
	v_div_scale_f64 v[224:225], s[18:19], v[210:211], v[210:211], v[208:209]
	v_rcp_f64_e32 v[226:227], v[224:225]
	v_div_scale_f64 v[228:229], vcc, v[208:209], v[210:211], v[208:209]
	v_fma_f64 v[230:231], -v[224:225], v[226:227], 1.0
	v_fmac_f64_e32 v[226:227], v[226:227], v[230:231]
	v_fma_f64 v[230:231], -v[224:225], v[226:227], 1.0
	v_fmac_f64_e32 v[226:227], v[226:227], v[230:231]
	v_mul_f64 v[230:231], v[228:229], v[226:227]
	v_fma_f64 v[224:225], -v[224:225], v[230:231], v[228:229]
	v_div_fmas_f64 v[224:225], v[224:225], v[226:227], v[230:231]
	v_div_fixup_f64 v[224:225], v[224:225], v[210:211], v[208:209]
	v_fmac_f64_e32 v[210:211], v[208:209], v[224:225]
	v_div_scale_f64 v[208:209], s[18:19], v[210:211], v[210:211], 1.0
	v_rcp_f64_e32 v[226:227], v[208:209]
	s_nop 0
	v_fma_f64 v[228:229], -v[208:209], v[226:227], 1.0
	v_fmac_f64_e32 v[226:227], v[226:227], v[228:229]
	v_fma_f64 v[228:229], -v[208:209], v[226:227], 1.0
	v_fmac_f64_e32 v[226:227], v[226:227], v[228:229]
	v_div_scale_f64 v[228:229], vcc, 1.0, v[210:211], 1.0
	v_mul_f64 v[230:231], v[228:229], v[226:227]
	v_fma_f64 v[208:209], -v[208:209], v[230:231], v[228:229]
	s_nop 1
	v_div_fmas_f64 v[208:209], v[208:209], v[226:227], v[230:231]
	v_div_fixup_f64 v[210:211], v[208:209], v[210:211], 1.0
	v_mul_f64 v[208:209], v[224:225], v[210:211]
	v_xor_b32_e32 v211, 0x80000000, v211
.LBB102_70:
	s_andn2_saveexec_b64 s[16:17], s[16:17]
	s_cbranch_execz .LBB102_72
; %bb.71:
	v_div_scale_f64 v[224:225], s[18:19], v[208:209], v[208:209], v[210:211]
	v_rcp_f64_e32 v[226:227], v[224:225]
	v_div_scale_f64 v[228:229], vcc, v[210:211], v[208:209], v[210:211]
	v_fma_f64 v[230:231], -v[224:225], v[226:227], 1.0
	v_fmac_f64_e32 v[226:227], v[226:227], v[230:231]
	v_fma_f64 v[230:231], -v[224:225], v[226:227], 1.0
	v_fmac_f64_e32 v[226:227], v[226:227], v[230:231]
	v_mul_f64 v[230:231], v[228:229], v[226:227]
	v_fma_f64 v[224:225], -v[224:225], v[230:231], v[228:229]
	v_div_fmas_f64 v[224:225], v[224:225], v[226:227], v[230:231]
	v_div_fixup_f64 v[224:225], v[224:225], v[208:209], v[210:211]
	v_fmac_f64_e32 v[208:209], v[210:211], v[224:225]
	v_div_scale_f64 v[210:211], s[18:19], v[208:209], v[208:209], 1.0
	v_rcp_f64_e32 v[226:227], v[210:211]
	s_nop 0
	v_fma_f64 v[228:229], -v[210:211], v[226:227], 1.0
	v_fmac_f64_e32 v[226:227], v[226:227], v[228:229]
	v_fma_f64 v[228:229], -v[210:211], v[226:227], 1.0
	v_fmac_f64_e32 v[226:227], v[226:227], v[228:229]
	v_div_scale_f64 v[228:229], vcc, 1.0, v[208:209], 1.0
	v_mul_f64 v[230:231], v[228:229], v[226:227]
	v_fma_f64 v[210:211], -v[210:211], v[230:231], v[228:229]
	s_nop 1
	v_div_fmas_f64 v[210:211], v[210:211], v[226:227], v[230:231]
	v_div_fixup_f64 v[208:209], v[210:211], v[208:209], 1.0
	v_mul_f64 v[210:211], v[224:225], -v[208:209]
.LBB102_72:
	s_or_b64 exec, exec, s[16:17]
.LBB102_73:
	s_or_b64 exec, exec, s[0:1]
	v_cmp_ne_u32_e32 vcc, v221, v218
	s_and_saveexec_b64 s[0:1], vcc
	s_xor_b64 s[0:1], exec, s[0:1]
	s_cbranch_execz .LBB102_79
; %bb.74:
	v_cmp_eq_u32_e32 vcc, 3, v221
	s_and_saveexec_b64 s[16:17], vcc
	s_cbranch_execz .LBB102_78
; %bb.75:
	v_cmp_ne_u32_e32 vcc, 3, v218
	s_xor_b64 s[18:19], s[14:15], -1
	s_and_b64 s[22:23], s[18:19], vcc
	s_and_saveexec_b64 s[18:19], s[22:23]
	s_cbranch_execz .LBB102_77
; %bb.76:
	v_ashrrev_i32_e32 v219, 31, v218
	v_lshl_add_u64 v[224:225], v[218:219], 2, v[216:217]
	global_load_dword v219, v[224:225], off
	global_load_dword v221, v[216:217], off offset:12
	s_waitcnt vmcnt(1)
	global_store_dword v[216:217], v219, off offset:12
	s_waitcnt vmcnt(1)
	global_store_dword v[224:225], v221, off
.LBB102_77:
	s_or_b64 exec, exec, s[18:19]
	v_mov_b32_e32 v221, v218
	v_mov_b32_e32 v223, v218
.LBB102_78:
	s_or_b64 exec, exec, s[16:17]
.LBB102_79:
	s_andn2_saveexec_b64 s[0:1], s[0:1]
	s_cbranch_execz .LBB102_81
; %bb.80:
	v_mov_b32_e32 v221, 3
	s_waitcnt vmcnt(47)
	ds_write2_b64 v220, v[192:193], v[194:195] offset0:8 offset1:9
	s_waitcnt vmcnt(46)
	ds_write2_b64 v220, v[188:189], v[190:191] offset0:10 offset1:11
	;; [unrolled: 2-line block ×48, first 2 shown]
.LBB102_81:
	s_or_b64 exec, exec, s[0:1]
	v_cmp_lt_i32_e32 vcc, 3, v221
	s_waitcnt lgkmcnt(0)
	s_barrier
	s_and_saveexec_b64 s[0:1], vcc
	s_cbranch_execz .LBB102_83
; %bb.82:
	ds_read2_b64 v[224:227], v220 offset0:8 offset1:9
	v_mul_f64 v[218:219], v[210:211], v[198:199]
	v_mul_f64 v[198:199], v[208:209], v[198:199]
	v_fma_f64 v[218:219], v[208:209], v[196:197], -v[218:219]
	v_fmac_f64_e32 v[198:199], v[210:211], v[196:197]
	ds_read2_b64 v[208:211], v220 offset0:10 offset1:11
	s_waitcnt lgkmcnt(1)
	v_mul_f64 v[196:197], v[226:227], v[198:199]
	v_fma_f64 v[196:197], v[224:225], v[218:219], -v[196:197]
	v_mul_f64 v[224:225], v[224:225], v[198:199]
	v_fmac_f64_e32 v[224:225], v[226:227], v[218:219]
	s_waitcnt vmcnt(47)
	v_add_f64 v[192:193], v[192:193], -v[196:197]
	s_waitcnt lgkmcnt(0)
	v_mul_f64 v[196:197], v[210:211], v[198:199]
	v_add_f64 v[194:195], v[194:195], -v[224:225]
	v_fma_f64 v[196:197], v[208:209], v[218:219], -v[196:197]
	v_mul_f64 v[208:209], v[208:209], v[198:199]
	ds_read2_b64 v[224:227], v220 offset0:12 offset1:13
	v_fmac_f64_e32 v[208:209], v[210:211], v[218:219]
	s_waitcnt vmcnt(46)
	v_add_f64 v[190:191], v[190:191], -v[208:209]
	ds_read2_b64 v[208:211], v220 offset0:14 offset1:15
	v_add_f64 v[188:189], v[188:189], -v[196:197]
	s_waitcnt lgkmcnt(1)
	v_mul_f64 v[196:197], v[226:227], v[198:199]
	v_fma_f64 v[196:197], v[224:225], v[218:219], -v[196:197]
	v_mul_f64 v[224:225], v[224:225], v[198:199]
	v_fmac_f64_e32 v[224:225], v[226:227], v[218:219]
	s_waitcnt vmcnt(45)
	v_add_f64 v[184:185], v[184:185], -v[196:197]
	s_waitcnt lgkmcnt(0)
	v_mul_f64 v[196:197], v[210:211], v[198:199]
	v_add_f64 v[186:187], v[186:187], -v[224:225]
	v_fma_f64 v[196:197], v[208:209], v[218:219], -v[196:197]
	v_mul_f64 v[208:209], v[208:209], v[198:199]
	ds_read2_b64 v[224:227], v220 offset0:16 offset1:17
	v_fmac_f64_e32 v[208:209], v[210:211], v[218:219]
	s_waitcnt vmcnt(44)
	v_add_f64 v[182:183], v[182:183], -v[208:209]
	ds_read2_b64 v[208:211], v220 offset0:18 offset1:19
	v_add_f64 v[180:181], v[180:181], -v[196:197]
	;; [unrolled: 18-line block ×23, first 2 shown]
	s_waitcnt lgkmcnt(1)
	v_mul_f64 v[196:197], v[226:227], v[198:199]
	v_fma_f64 v[196:197], v[224:225], v[218:219], -v[196:197]
	s_waitcnt vmcnt(1)
	v_add_f64 v[0:1], v[0:1], -v[196:197]
	s_waitcnt lgkmcnt(0)
	v_mul_f64 v[196:197], v[210:211], v[198:199]
	v_mul_f64 v[224:225], v[224:225], v[198:199]
	v_fma_f64 v[196:197], v[208:209], v[218:219], -v[196:197]
	v_mul_f64 v[208:209], v[208:209], v[198:199]
	v_fmac_f64_e32 v[224:225], v[226:227], v[218:219]
	v_fmac_f64_e32 v[208:209], v[210:211], v[218:219]
	v_add_f64 v[2:3], v[2:3], -v[224:225]
	s_waitcnt vmcnt(0)
	v_add_f64 v[204:205], v[204:205], -v[196:197]
	v_add_f64 v[206:207], v[206:207], -v[208:209]
	v_mov_b64_e32 v[196:197], v[218:219]
.LBB102_83:
	s_or_b64 exec, exec, s[0:1]
	v_lshl_add_u32 v208, v221, 4, v220
	s_barrier
	s_waitcnt vmcnt(47)
	ds_write2_b64 v208, v[192:193], v[194:195] offset1:1
	s_waitcnt lgkmcnt(0)
	s_barrier
	ds_read2_b64 v[208:211], v220 offset0:8 offset1:9
	s_cmp_lt_i32 s20, 6
	v_mov_b32_e32 v218, 4
	s_cbranch_scc1 .LBB102_86
; %bb.84:
	v_mov_b32_e32 v218, 4
	v_add_u32_e32 v219, 0x50, v220
	s_mov_b32 s16, 5
.LBB102_85:                             ; =>This Inner Loop Header: Depth=1
	ds_read2_b64 v[224:227], v219 offset1:1
	s_waitcnt lgkmcnt(1)
	v_xor_b32_e32 v229, 0x80000000, v209
	v_xor_b32_e32 v231, 0x80000000, v211
	v_cmp_gt_f64_e32 vcc, 0, v[210:211]
	v_cmp_gt_f64_e64 s[0:1], 0, v[208:209]
	v_mov_b32_e32 v228, v208
	v_mov_b32_e32 v230, v210
	v_cndmask_b32_e64 v229, v209, v229, s[0:1]
	v_cndmask_b32_e32 v231, v211, v231, vcc
	v_add_f64 v[228:229], v[228:229], v[230:231]
	s_waitcnt lgkmcnt(0)
	v_xor_b32_e32 v231, 0x80000000, v225
	v_xor_b32_e32 v233, 0x80000000, v227
	v_cmp_gt_f64_e32 vcc, 0, v[226:227]
	v_cmp_gt_f64_e64 s[0:1], 0, v[224:225]
	v_mov_b32_e32 v230, v224
	v_mov_b32_e32 v232, v226
	v_cndmask_b32_e64 v231, v225, v231, s[0:1]
	v_cndmask_b32_e32 v233, v227, v233, vcc
	v_add_f64 v[230:231], v[230:231], v[232:233]
	v_mov_b32_e32 v234, s16
	s_add_i32 s16, s16, 1
	v_cmp_lt_f64_e32 vcc, v[228:229], v[230:231]
	v_add_u32_e32 v219, 16, v219
	s_cmp_lg_u32 s20, s16
	v_cndmask_b32_e32 v209, v209, v225, vcc
	v_cndmask_b32_e32 v208, v208, v224, vcc
	;; [unrolled: 1-line block ×5, first 2 shown]
	s_cbranch_scc1 .LBB102_85
.LBB102_86:
	s_waitcnt lgkmcnt(0)
	v_cmp_eq_f64_e32 vcc, 0, v[208:209]
	v_cmp_eq_f64_e64 s[0:1], 0, v[210:211]
	s_and_b64 s[0:1], vcc, s[0:1]
	s_and_saveexec_b64 s[16:17], s[0:1]
	s_xor_b64 s[0:1], exec, s[16:17]
; %bb.87:
	v_cmp_ne_u32_e32 vcc, 0, v222
	s_nop 1
	v_cndmask_b32_e32 v222, 5, v222, vcc
; %bb.88:
	s_andn2_saveexec_b64 s[0:1], s[0:1]
	s_cbranch_execz .LBB102_94
; %bb.89:
	v_cmp_ngt_f64_e64 s[16:17], |v[208:209]|, |v[210:211]|
	s_and_saveexec_b64 s[18:19], s[16:17]
	s_xor_b64 s[16:17], exec, s[18:19]
	s_cbranch_execz .LBB102_91
; %bb.90:
	v_div_scale_f64 v[224:225], s[18:19], v[210:211], v[210:211], v[208:209]
	v_rcp_f64_e32 v[226:227], v[224:225]
	v_div_scale_f64 v[228:229], vcc, v[208:209], v[210:211], v[208:209]
	v_fma_f64 v[230:231], -v[224:225], v[226:227], 1.0
	v_fmac_f64_e32 v[226:227], v[226:227], v[230:231]
	v_fma_f64 v[230:231], -v[224:225], v[226:227], 1.0
	v_fmac_f64_e32 v[226:227], v[226:227], v[230:231]
	v_mul_f64 v[230:231], v[228:229], v[226:227]
	v_fma_f64 v[224:225], -v[224:225], v[230:231], v[228:229]
	v_div_fmas_f64 v[224:225], v[224:225], v[226:227], v[230:231]
	v_div_fixup_f64 v[224:225], v[224:225], v[210:211], v[208:209]
	v_fmac_f64_e32 v[210:211], v[208:209], v[224:225]
	v_div_scale_f64 v[208:209], s[18:19], v[210:211], v[210:211], 1.0
	v_rcp_f64_e32 v[226:227], v[208:209]
	s_nop 0
	v_fma_f64 v[228:229], -v[208:209], v[226:227], 1.0
	v_fmac_f64_e32 v[226:227], v[226:227], v[228:229]
	v_fma_f64 v[228:229], -v[208:209], v[226:227], 1.0
	v_fmac_f64_e32 v[226:227], v[226:227], v[228:229]
	v_div_scale_f64 v[228:229], vcc, 1.0, v[210:211], 1.0
	v_mul_f64 v[230:231], v[228:229], v[226:227]
	v_fma_f64 v[208:209], -v[208:209], v[230:231], v[228:229]
	s_nop 1
	v_div_fmas_f64 v[208:209], v[208:209], v[226:227], v[230:231]
	v_div_fixup_f64 v[210:211], v[208:209], v[210:211], 1.0
	v_mul_f64 v[208:209], v[224:225], v[210:211]
	v_xor_b32_e32 v211, 0x80000000, v211
.LBB102_91:
	s_andn2_saveexec_b64 s[16:17], s[16:17]
	s_cbranch_execz .LBB102_93
; %bb.92:
	v_div_scale_f64 v[224:225], s[18:19], v[208:209], v[208:209], v[210:211]
	v_rcp_f64_e32 v[226:227], v[224:225]
	v_div_scale_f64 v[228:229], vcc, v[210:211], v[208:209], v[210:211]
	v_fma_f64 v[230:231], -v[224:225], v[226:227], 1.0
	v_fmac_f64_e32 v[226:227], v[226:227], v[230:231]
	v_fma_f64 v[230:231], -v[224:225], v[226:227], 1.0
	v_fmac_f64_e32 v[226:227], v[226:227], v[230:231]
	v_mul_f64 v[230:231], v[228:229], v[226:227]
	v_fma_f64 v[224:225], -v[224:225], v[230:231], v[228:229]
	v_div_fmas_f64 v[224:225], v[224:225], v[226:227], v[230:231]
	v_div_fixup_f64 v[224:225], v[224:225], v[208:209], v[210:211]
	v_fmac_f64_e32 v[208:209], v[210:211], v[224:225]
	v_div_scale_f64 v[210:211], s[18:19], v[208:209], v[208:209], 1.0
	v_rcp_f64_e32 v[226:227], v[210:211]
	s_nop 0
	v_fma_f64 v[228:229], -v[210:211], v[226:227], 1.0
	v_fmac_f64_e32 v[226:227], v[226:227], v[228:229]
	v_fma_f64 v[228:229], -v[210:211], v[226:227], 1.0
	v_fmac_f64_e32 v[226:227], v[226:227], v[228:229]
	v_div_scale_f64 v[228:229], vcc, 1.0, v[208:209], 1.0
	v_mul_f64 v[230:231], v[228:229], v[226:227]
	v_fma_f64 v[210:211], -v[210:211], v[230:231], v[228:229]
	s_nop 1
	v_div_fmas_f64 v[210:211], v[210:211], v[226:227], v[230:231]
	v_div_fixup_f64 v[208:209], v[210:211], v[208:209], 1.0
	v_mul_f64 v[210:211], v[224:225], -v[208:209]
.LBB102_93:
	s_or_b64 exec, exec, s[16:17]
.LBB102_94:
	s_or_b64 exec, exec, s[0:1]
	v_cmp_ne_u32_e32 vcc, v221, v218
	s_and_saveexec_b64 s[0:1], vcc
	s_xor_b64 s[0:1], exec, s[0:1]
	s_cbranch_execz .LBB102_100
; %bb.95:
	v_cmp_eq_u32_e32 vcc, 4, v221
	s_and_saveexec_b64 s[16:17], vcc
	s_cbranch_execz .LBB102_99
; %bb.96:
	v_cmp_ne_u32_e32 vcc, 4, v218
	s_xor_b64 s[18:19], s[14:15], -1
	s_and_b64 s[22:23], s[18:19], vcc
	s_and_saveexec_b64 s[18:19], s[22:23]
	s_cbranch_execz .LBB102_98
; %bb.97:
	v_ashrrev_i32_e32 v219, 31, v218
	v_lshl_add_u64 v[224:225], v[218:219], 2, v[216:217]
	global_load_dword v219, v[224:225], off
	global_load_dword v221, v[216:217], off offset:16
	s_waitcnt vmcnt(1)
	global_store_dword v[216:217], v219, off offset:16
	s_waitcnt vmcnt(1)
	global_store_dword v[224:225], v221, off
.LBB102_98:
	s_or_b64 exec, exec, s[18:19]
	v_mov_b32_e32 v221, v218
	v_mov_b32_e32 v223, v218
.LBB102_99:
	s_or_b64 exec, exec, s[16:17]
.LBB102_100:
	s_andn2_saveexec_b64 s[0:1], s[0:1]
	s_cbranch_execz .LBB102_102
; %bb.101:
	v_mov_b32_e32 v221, 4
	s_waitcnt vmcnt(46)
	ds_write2_b64 v220, v[188:189], v[190:191] offset0:10 offset1:11
	s_waitcnt vmcnt(45)
	ds_write2_b64 v220, v[184:185], v[186:187] offset0:12 offset1:13
	;; [unrolled: 2-line block ×47, first 2 shown]
.LBB102_102:
	s_or_b64 exec, exec, s[0:1]
	v_cmp_lt_i32_e32 vcc, 4, v221
	s_waitcnt lgkmcnt(0)
	s_barrier
	s_and_saveexec_b64 s[0:1], vcc
	s_cbranch_execz .LBB102_104
; %bb.103:
	ds_read2_b64 v[224:227], v220 offset0:10 offset1:11
	v_mul_f64 v[218:219], v[210:211], v[194:195]
	v_mul_f64 v[194:195], v[208:209], v[194:195]
	v_fmac_f64_e32 v[194:195], v[210:211], v[192:193]
	v_fma_f64 v[218:219], v[208:209], v[192:193], -v[218:219]
	ds_read2_b64 v[208:211], v220 offset0:12 offset1:13
	s_waitcnt lgkmcnt(1)
	v_mul_f64 v[192:193], v[226:227], v[194:195]
	v_fma_f64 v[192:193], v[224:225], v[218:219], -v[192:193]
	v_mul_f64 v[224:225], v[224:225], v[194:195]
	v_fmac_f64_e32 v[224:225], v[226:227], v[218:219]
	s_waitcnt vmcnt(46)
	v_add_f64 v[190:191], v[190:191], -v[224:225]
	ds_read2_b64 v[224:227], v220 offset0:14 offset1:15
	v_add_f64 v[188:189], v[188:189], -v[192:193]
	s_waitcnt lgkmcnt(1)
	v_mul_f64 v[192:193], v[210:211], v[194:195]
	v_fma_f64 v[192:193], v[208:209], v[218:219], -v[192:193]
	v_mul_f64 v[208:209], v[208:209], v[194:195]
	v_fmac_f64_e32 v[208:209], v[210:211], v[218:219]
	s_waitcnt vmcnt(45)
	v_add_f64 v[184:185], v[184:185], -v[192:193]
	v_add_f64 v[186:187], v[186:187], -v[208:209]
	ds_read2_b64 v[208:211], v220 offset0:16 offset1:17
	s_waitcnt lgkmcnt(1)
	v_mul_f64 v[192:193], v[226:227], v[194:195]
	v_fma_f64 v[192:193], v[224:225], v[218:219], -v[192:193]
	v_mul_f64 v[224:225], v[224:225], v[194:195]
	v_fmac_f64_e32 v[224:225], v[226:227], v[218:219]
	s_waitcnt vmcnt(44)
	v_add_f64 v[182:183], v[182:183], -v[224:225]
	ds_read2_b64 v[224:227], v220 offset0:18 offset1:19
	v_add_f64 v[180:181], v[180:181], -v[192:193]
	s_waitcnt lgkmcnt(1)
	v_mul_f64 v[192:193], v[210:211], v[194:195]
	v_fma_f64 v[192:193], v[208:209], v[218:219], -v[192:193]
	v_mul_f64 v[208:209], v[208:209], v[194:195]
	v_fmac_f64_e32 v[208:209], v[210:211], v[218:219]
	s_waitcnt vmcnt(43)
	v_add_f64 v[176:177], v[176:177], -v[192:193]
	v_add_f64 v[178:179], v[178:179], -v[208:209]
	;; [unrolled: 18-line block ×23, first 2 shown]
	s_waitcnt lgkmcnt(0)
	v_mul_f64 v[192:193], v[226:227], v[194:195]
	v_mul_f64 v[208:209], v[224:225], v[194:195]
	v_fma_f64 v[192:193], v[224:225], v[218:219], -v[192:193]
	v_fmac_f64_e32 v[208:209], v[226:227], v[218:219]
	s_waitcnt vmcnt(0)
	v_add_f64 v[204:205], v[204:205], -v[192:193]
	v_add_f64 v[206:207], v[206:207], -v[208:209]
	v_mov_b64_e32 v[192:193], v[218:219]
.LBB102_104:
	s_or_b64 exec, exec, s[0:1]
	v_lshl_add_u32 v208, v221, 4, v220
	s_barrier
	s_waitcnt vmcnt(46)
	ds_write2_b64 v208, v[188:189], v[190:191] offset1:1
	s_waitcnt lgkmcnt(0)
	s_barrier
	ds_read2_b64 v[208:211], v220 offset0:10 offset1:11
	s_cmp_lt_i32 s20, 7
	v_mov_b32_e32 v218, 5
	s_cbranch_scc1 .LBB102_107
; %bb.105:
	v_add_u32_e32 v219, 0x60, v220
	s_mov_b32 s16, 6
	v_mov_b32_e32 v218, 5
.LBB102_106:                            ; =>This Inner Loop Header: Depth=1
	ds_read2_b64 v[224:227], v219 offset1:1
	s_waitcnt lgkmcnt(1)
	v_xor_b32_e32 v229, 0x80000000, v209
	v_xor_b32_e32 v231, 0x80000000, v211
	v_cmp_gt_f64_e32 vcc, 0, v[210:211]
	v_cmp_gt_f64_e64 s[0:1], 0, v[208:209]
	v_mov_b32_e32 v228, v208
	v_mov_b32_e32 v230, v210
	v_cndmask_b32_e64 v229, v209, v229, s[0:1]
	v_cndmask_b32_e32 v231, v211, v231, vcc
	v_add_f64 v[228:229], v[228:229], v[230:231]
	s_waitcnt lgkmcnt(0)
	v_xor_b32_e32 v231, 0x80000000, v225
	v_xor_b32_e32 v233, 0x80000000, v227
	v_cmp_gt_f64_e32 vcc, 0, v[226:227]
	v_cmp_gt_f64_e64 s[0:1], 0, v[224:225]
	v_mov_b32_e32 v230, v224
	v_mov_b32_e32 v232, v226
	v_cndmask_b32_e64 v231, v225, v231, s[0:1]
	v_cndmask_b32_e32 v233, v227, v233, vcc
	v_add_f64 v[230:231], v[230:231], v[232:233]
	v_mov_b32_e32 v234, s16
	s_add_i32 s16, s16, 1
	v_cmp_lt_f64_e32 vcc, v[228:229], v[230:231]
	v_add_u32_e32 v219, 16, v219
	s_cmp_lg_u32 s20, s16
	v_cndmask_b32_e32 v209, v209, v225, vcc
	v_cndmask_b32_e32 v208, v208, v224, vcc
	;; [unrolled: 1-line block ×5, first 2 shown]
	s_cbranch_scc1 .LBB102_106
.LBB102_107:
	s_waitcnt lgkmcnt(0)
	v_cmp_eq_f64_e32 vcc, 0, v[208:209]
	v_cmp_eq_f64_e64 s[0:1], 0, v[210:211]
	s_and_b64 s[0:1], vcc, s[0:1]
	s_and_saveexec_b64 s[16:17], s[0:1]
	s_xor_b64 s[0:1], exec, s[16:17]
; %bb.108:
	v_cmp_ne_u32_e32 vcc, 0, v222
	s_nop 1
	v_cndmask_b32_e32 v222, 6, v222, vcc
; %bb.109:
	s_andn2_saveexec_b64 s[0:1], s[0:1]
	s_cbranch_execz .LBB102_115
; %bb.110:
	v_cmp_ngt_f64_e64 s[16:17], |v[208:209]|, |v[210:211]|
	s_and_saveexec_b64 s[18:19], s[16:17]
	s_xor_b64 s[16:17], exec, s[18:19]
	s_cbranch_execz .LBB102_112
; %bb.111:
	v_div_scale_f64 v[224:225], s[18:19], v[210:211], v[210:211], v[208:209]
	v_rcp_f64_e32 v[226:227], v[224:225]
	v_div_scale_f64 v[228:229], vcc, v[208:209], v[210:211], v[208:209]
	v_fma_f64 v[230:231], -v[224:225], v[226:227], 1.0
	v_fmac_f64_e32 v[226:227], v[226:227], v[230:231]
	v_fma_f64 v[230:231], -v[224:225], v[226:227], 1.0
	v_fmac_f64_e32 v[226:227], v[226:227], v[230:231]
	v_mul_f64 v[230:231], v[228:229], v[226:227]
	v_fma_f64 v[224:225], -v[224:225], v[230:231], v[228:229]
	v_div_fmas_f64 v[224:225], v[224:225], v[226:227], v[230:231]
	v_div_fixup_f64 v[224:225], v[224:225], v[210:211], v[208:209]
	v_fmac_f64_e32 v[210:211], v[208:209], v[224:225]
	v_div_scale_f64 v[208:209], s[18:19], v[210:211], v[210:211], 1.0
	v_rcp_f64_e32 v[226:227], v[208:209]
	s_nop 0
	v_fma_f64 v[228:229], -v[208:209], v[226:227], 1.0
	v_fmac_f64_e32 v[226:227], v[226:227], v[228:229]
	v_fma_f64 v[228:229], -v[208:209], v[226:227], 1.0
	v_fmac_f64_e32 v[226:227], v[226:227], v[228:229]
	v_div_scale_f64 v[228:229], vcc, 1.0, v[210:211], 1.0
	v_mul_f64 v[230:231], v[228:229], v[226:227]
	v_fma_f64 v[208:209], -v[208:209], v[230:231], v[228:229]
	s_nop 1
	v_div_fmas_f64 v[208:209], v[208:209], v[226:227], v[230:231]
	v_div_fixup_f64 v[210:211], v[208:209], v[210:211], 1.0
	v_mul_f64 v[208:209], v[224:225], v[210:211]
	v_xor_b32_e32 v211, 0x80000000, v211
.LBB102_112:
	s_andn2_saveexec_b64 s[16:17], s[16:17]
	s_cbranch_execz .LBB102_114
; %bb.113:
	v_div_scale_f64 v[224:225], s[18:19], v[208:209], v[208:209], v[210:211]
	v_rcp_f64_e32 v[226:227], v[224:225]
	v_div_scale_f64 v[228:229], vcc, v[210:211], v[208:209], v[210:211]
	v_fma_f64 v[230:231], -v[224:225], v[226:227], 1.0
	v_fmac_f64_e32 v[226:227], v[226:227], v[230:231]
	v_fma_f64 v[230:231], -v[224:225], v[226:227], 1.0
	v_fmac_f64_e32 v[226:227], v[226:227], v[230:231]
	v_mul_f64 v[230:231], v[228:229], v[226:227]
	v_fma_f64 v[224:225], -v[224:225], v[230:231], v[228:229]
	v_div_fmas_f64 v[224:225], v[224:225], v[226:227], v[230:231]
	v_div_fixup_f64 v[224:225], v[224:225], v[208:209], v[210:211]
	v_fmac_f64_e32 v[208:209], v[210:211], v[224:225]
	v_div_scale_f64 v[210:211], s[18:19], v[208:209], v[208:209], 1.0
	v_rcp_f64_e32 v[226:227], v[210:211]
	s_nop 0
	v_fma_f64 v[228:229], -v[210:211], v[226:227], 1.0
	v_fmac_f64_e32 v[226:227], v[226:227], v[228:229]
	v_fma_f64 v[228:229], -v[210:211], v[226:227], 1.0
	v_fmac_f64_e32 v[226:227], v[226:227], v[228:229]
	v_div_scale_f64 v[228:229], vcc, 1.0, v[208:209], 1.0
	v_mul_f64 v[230:231], v[228:229], v[226:227]
	v_fma_f64 v[210:211], -v[210:211], v[230:231], v[228:229]
	s_nop 1
	v_div_fmas_f64 v[210:211], v[210:211], v[226:227], v[230:231]
	v_div_fixup_f64 v[208:209], v[210:211], v[208:209], 1.0
	v_mul_f64 v[210:211], v[224:225], -v[208:209]
.LBB102_114:
	s_or_b64 exec, exec, s[16:17]
.LBB102_115:
	s_or_b64 exec, exec, s[0:1]
	v_cmp_ne_u32_e32 vcc, v221, v218
	s_and_saveexec_b64 s[0:1], vcc
	s_xor_b64 s[0:1], exec, s[0:1]
	s_cbranch_execz .LBB102_121
; %bb.116:
	v_cmp_eq_u32_e32 vcc, 5, v221
	s_and_saveexec_b64 s[16:17], vcc
	s_cbranch_execz .LBB102_120
; %bb.117:
	v_cmp_ne_u32_e32 vcc, 5, v218
	s_xor_b64 s[18:19], s[14:15], -1
	s_and_b64 s[22:23], s[18:19], vcc
	s_and_saveexec_b64 s[18:19], s[22:23]
	s_cbranch_execz .LBB102_119
; %bb.118:
	v_ashrrev_i32_e32 v219, 31, v218
	v_lshl_add_u64 v[224:225], v[218:219], 2, v[216:217]
	global_load_dword v219, v[224:225], off
	global_load_dword v221, v[216:217], off offset:20
	s_waitcnt vmcnt(1)
	global_store_dword v[216:217], v219, off offset:20
	s_waitcnt vmcnt(1)
	global_store_dword v[224:225], v221, off
.LBB102_119:
	s_or_b64 exec, exec, s[18:19]
	v_mov_b32_e32 v221, v218
	v_mov_b32_e32 v223, v218
.LBB102_120:
	s_or_b64 exec, exec, s[16:17]
.LBB102_121:
	s_andn2_saveexec_b64 s[0:1], s[0:1]
	s_cbranch_execz .LBB102_123
; %bb.122:
	v_mov_b32_e32 v221, 5
	s_waitcnt vmcnt(45)
	ds_write2_b64 v220, v[184:185], v[186:187] offset0:12 offset1:13
	s_waitcnt vmcnt(44)
	ds_write2_b64 v220, v[180:181], v[182:183] offset0:14 offset1:15
	s_waitcnt vmcnt(43)
	ds_write2_b64 v220, v[176:177], v[178:179] offset0:16 offset1:17
	s_waitcnt vmcnt(42)
	ds_write2_b64 v220, v[172:173], v[174:175] offset0:18 offset1:19
	s_waitcnt vmcnt(41)
	ds_write2_b64 v220, v[168:169], v[170:171] offset0:20 offset1:21
	s_waitcnt vmcnt(40)
	ds_write2_b64 v220, v[164:165], v[166:167] offset0:22 offset1:23
	s_waitcnt vmcnt(39)
	ds_write2_b64 v220, v[160:161], v[162:163] offset0:24 offset1:25
	s_waitcnt vmcnt(38)
	ds_write2_b64 v220, v[156:157], v[158:159] offset0:26 offset1:27
	s_waitcnt vmcnt(37)
	ds_write2_b64 v220, v[152:153], v[154:155] offset0:28 offset1:29
	s_waitcnt vmcnt(36)
	ds_write2_b64 v220, v[148:149], v[150:151] offset0:30 offset1:31
	s_waitcnt vmcnt(35)
	ds_write2_b64 v220, v[144:145], v[146:147] offset0:32 offset1:33
	s_waitcnt vmcnt(34)
	ds_write2_b64 v220, v[132:133], v[134:135] offset0:34 offset1:35
	s_waitcnt vmcnt(33)
	ds_write2_b64 v220, v[128:129], v[130:131] offset0:36 offset1:37
	s_waitcnt vmcnt(32)
	ds_write2_b64 v220, v[124:125], v[126:127] offset0:38 offset1:39
	s_waitcnt vmcnt(31)
	ds_write2_b64 v220, v[120:121], v[122:123] offset0:40 offset1:41
	s_waitcnt vmcnt(30)
	ds_write2_b64 v220, v[116:117], v[118:119] offset0:42 offset1:43
	s_waitcnt vmcnt(29)
	ds_write2_b64 v220, v[112:113], v[114:115] offset0:44 offset1:45
	s_waitcnt vmcnt(28)
	ds_write2_b64 v220, v[108:109], v[110:111] offset0:46 offset1:47
	s_waitcnt vmcnt(27)
	ds_write2_b64 v220, v[104:105], v[106:107] offset0:48 offset1:49
	s_waitcnt vmcnt(26)
	ds_write2_b64 v220, v[100:101], v[102:103] offset0:50 offset1:51
	s_waitcnt vmcnt(25)
	ds_write2_b64 v220, v[96:97], v[98:99] offset0:52 offset1:53
	s_waitcnt vmcnt(24)
	ds_write2_b64 v220, v[92:93], v[94:95] offset0:54 offset1:55
	s_waitcnt vmcnt(23)
	ds_write2_b64 v220, v[88:89], v[90:91] offset0:56 offset1:57
	s_waitcnt vmcnt(22)
	ds_write2_b64 v220, v[84:85], v[86:87] offset0:58 offset1:59
	s_waitcnt vmcnt(21)
	ds_write2_b64 v220, v[80:81], v[82:83] offset0:60 offset1:61
	s_waitcnt vmcnt(20)
	ds_write2_b64 v220, v[76:77], v[78:79] offset0:62 offset1:63
	s_waitcnt vmcnt(19)
	ds_write2_b64 v220, v[72:73], v[74:75] offset0:64 offset1:65
	s_waitcnt vmcnt(18)
	ds_write2_b64 v220, v[68:69], v[70:71] offset0:66 offset1:67
	s_waitcnt vmcnt(17)
	ds_write2_b64 v220, v[64:65], v[66:67] offset0:68 offset1:69
	s_waitcnt vmcnt(16)
	ds_write2_b64 v220, v[60:61], v[62:63] offset0:70 offset1:71
	s_waitcnt vmcnt(15)
	ds_write2_b64 v220, v[56:57], v[58:59] offset0:72 offset1:73
	s_waitcnt vmcnt(14)
	ds_write2_b64 v220, v[52:53], v[54:55] offset0:74 offset1:75
	s_waitcnt vmcnt(13)
	ds_write2_b64 v220, v[48:49], v[50:51] offset0:76 offset1:77
	s_waitcnt vmcnt(12)
	ds_write2_b64 v220, v[44:45], v[46:47] offset0:78 offset1:79
	s_waitcnt vmcnt(11)
	ds_write2_b64 v220, v[40:41], v[42:43] offset0:80 offset1:81
	s_waitcnt vmcnt(10)
	ds_write2_b64 v220, v[36:37], v[38:39] offset0:82 offset1:83
	s_waitcnt vmcnt(9)
	ds_write2_b64 v220, v[32:33], v[34:35] offset0:84 offset1:85
	s_waitcnt vmcnt(8)
	ds_write2_b64 v220, v[28:29], v[30:31] offset0:86 offset1:87
	s_waitcnt vmcnt(7)
	ds_write2_b64 v220, v[24:25], v[26:27] offset0:88 offset1:89
	s_waitcnt vmcnt(6)
	ds_write2_b64 v220, v[20:21], v[22:23] offset0:90 offset1:91
	s_waitcnt vmcnt(5)
	ds_write2_b64 v220, v[16:17], v[18:19] offset0:92 offset1:93
	s_waitcnt vmcnt(4)
	ds_write2_b64 v220, v[12:13], v[14:15] offset0:94 offset1:95
	s_waitcnt vmcnt(3)
	ds_write2_b64 v220, v[8:9], v[10:11] offset0:96 offset1:97
	s_waitcnt vmcnt(2)
	ds_write2_b64 v220, v[4:5], v[6:7] offset0:98 offset1:99
	s_waitcnt vmcnt(1)
	ds_write2_b64 v220, v[0:1], v[2:3] offset0:100 offset1:101
	s_waitcnt vmcnt(0)
	ds_write2_b64 v220, v[204:205], v[206:207] offset0:102 offset1:103
.LBB102_123:
	s_or_b64 exec, exec, s[0:1]
	v_cmp_lt_i32_e32 vcc, 5, v221
	s_waitcnt lgkmcnt(0)
	s_barrier
	s_and_saveexec_b64 s[0:1], vcc
	s_cbranch_execz .LBB102_125
; %bb.124:
	ds_read2_b64 v[224:227], v220 offset0:12 offset1:13
	v_mul_f64 v[218:219], v[210:211], v[190:191]
	v_mul_f64 v[190:191], v[208:209], v[190:191]
	v_fma_f64 v[218:219], v[208:209], v[188:189], -v[218:219]
	v_fmac_f64_e32 v[190:191], v[210:211], v[188:189]
	ds_read2_b64 v[208:211], v220 offset0:14 offset1:15
	s_waitcnt lgkmcnt(1)
	v_mul_f64 v[188:189], v[226:227], v[190:191]
	v_fma_f64 v[188:189], v[224:225], v[218:219], -v[188:189]
	v_mul_f64 v[224:225], v[224:225], v[190:191]
	v_fmac_f64_e32 v[224:225], v[226:227], v[218:219]
	s_waitcnt vmcnt(45)
	v_add_f64 v[184:185], v[184:185], -v[188:189]
	s_waitcnt lgkmcnt(0)
	v_mul_f64 v[188:189], v[210:211], v[190:191]
	v_add_f64 v[186:187], v[186:187], -v[224:225]
	v_fma_f64 v[188:189], v[208:209], v[218:219], -v[188:189]
	v_mul_f64 v[208:209], v[208:209], v[190:191]
	ds_read2_b64 v[224:227], v220 offset0:16 offset1:17
	v_fmac_f64_e32 v[208:209], v[210:211], v[218:219]
	s_waitcnt vmcnt(44)
	v_add_f64 v[182:183], v[182:183], -v[208:209]
	ds_read2_b64 v[208:211], v220 offset0:18 offset1:19
	v_add_f64 v[180:181], v[180:181], -v[188:189]
	s_waitcnt lgkmcnt(1)
	v_mul_f64 v[188:189], v[226:227], v[190:191]
	v_fma_f64 v[188:189], v[224:225], v[218:219], -v[188:189]
	v_mul_f64 v[224:225], v[224:225], v[190:191]
	v_fmac_f64_e32 v[224:225], v[226:227], v[218:219]
	s_waitcnt vmcnt(43)
	v_add_f64 v[176:177], v[176:177], -v[188:189]
	s_waitcnt lgkmcnt(0)
	v_mul_f64 v[188:189], v[210:211], v[190:191]
	v_add_f64 v[178:179], v[178:179], -v[224:225]
	v_fma_f64 v[188:189], v[208:209], v[218:219], -v[188:189]
	v_mul_f64 v[208:209], v[208:209], v[190:191]
	ds_read2_b64 v[224:227], v220 offset0:20 offset1:21
	v_fmac_f64_e32 v[208:209], v[210:211], v[218:219]
	s_waitcnt vmcnt(42)
	v_add_f64 v[174:175], v[174:175], -v[208:209]
	ds_read2_b64 v[208:211], v220 offset0:22 offset1:23
	v_add_f64 v[172:173], v[172:173], -v[188:189]
	;; [unrolled: 18-line block ×22, first 2 shown]
	s_waitcnt lgkmcnt(1)
	v_mul_f64 v[188:189], v[226:227], v[190:191]
	v_fma_f64 v[188:189], v[224:225], v[218:219], -v[188:189]
	s_waitcnt vmcnt(1)
	v_add_f64 v[0:1], v[0:1], -v[188:189]
	s_waitcnt lgkmcnt(0)
	v_mul_f64 v[188:189], v[210:211], v[190:191]
	v_mul_f64 v[224:225], v[224:225], v[190:191]
	v_fma_f64 v[188:189], v[208:209], v[218:219], -v[188:189]
	v_mul_f64 v[208:209], v[208:209], v[190:191]
	v_fmac_f64_e32 v[224:225], v[226:227], v[218:219]
	v_fmac_f64_e32 v[208:209], v[210:211], v[218:219]
	v_add_f64 v[2:3], v[2:3], -v[224:225]
	s_waitcnt vmcnt(0)
	v_add_f64 v[204:205], v[204:205], -v[188:189]
	v_add_f64 v[206:207], v[206:207], -v[208:209]
	v_mov_b64_e32 v[188:189], v[218:219]
.LBB102_125:
	s_or_b64 exec, exec, s[0:1]
	v_lshl_add_u32 v208, v221, 4, v220
	s_barrier
	s_waitcnt vmcnt(45)
	ds_write2_b64 v208, v[184:185], v[186:187] offset1:1
	s_waitcnt lgkmcnt(0)
	s_barrier
	ds_read2_b64 v[208:211], v220 offset0:12 offset1:13
	s_cmp_lt_i32 s20, 8
	v_mov_b32_e32 v218, 6
	s_cbranch_scc1 .LBB102_128
; %bb.126:
	v_add_u32_e32 v219, 0x70, v220
	s_mov_b32 s16, 7
	v_mov_b32_e32 v218, 6
.LBB102_127:                            ; =>This Inner Loop Header: Depth=1
	ds_read2_b64 v[224:227], v219 offset1:1
	s_waitcnt lgkmcnt(1)
	v_xor_b32_e32 v229, 0x80000000, v209
	v_xor_b32_e32 v231, 0x80000000, v211
	v_cmp_gt_f64_e32 vcc, 0, v[210:211]
	v_cmp_gt_f64_e64 s[0:1], 0, v[208:209]
	v_mov_b32_e32 v228, v208
	v_mov_b32_e32 v230, v210
	v_cndmask_b32_e64 v229, v209, v229, s[0:1]
	v_cndmask_b32_e32 v231, v211, v231, vcc
	v_add_f64 v[228:229], v[228:229], v[230:231]
	s_waitcnt lgkmcnt(0)
	v_xor_b32_e32 v231, 0x80000000, v225
	v_xor_b32_e32 v233, 0x80000000, v227
	v_cmp_gt_f64_e32 vcc, 0, v[226:227]
	v_cmp_gt_f64_e64 s[0:1], 0, v[224:225]
	v_mov_b32_e32 v230, v224
	v_mov_b32_e32 v232, v226
	v_cndmask_b32_e64 v231, v225, v231, s[0:1]
	v_cndmask_b32_e32 v233, v227, v233, vcc
	v_add_f64 v[230:231], v[230:231], v[232:233]
	v_mov_b32_e32 v234, s16
	s_add_i32 s16, s16, 1
	v_cmp_lt_f64_e32 vcc, v[228:229], v[230:231]
	v_add_u32_e32 v219, 16, v219
	s_cmp_lg_u32 s20, s16
	v_cndmask_b32_e32 v209, v209, v225, vcc
	v_cndmask_b32_e32 v208, v208, v224, vcc
	;; [unrolled: 1-line block ×5, first 2 shown]
	s_cbranch_scc1 .LBB102_127
.LBB102_128:
	s_waitcnt lgkmcnt(0)
	v_cmp_eq_f64_e32 vcc, 0, v[208:209]
	v_cmp_eq_f64_e64 s[0:1], 0, v[210:211]
	s_and_b64 s[0:1], vcc, s[0:1]
	s_and_saveexec_b64 s[16:17], s[0:1]
	s_xor_b64 s[0:1], exec, s[16:17]
; %bb.129:
	v_cmp_ne_u32_e32 vcc, 0, v222
	s_nop 1
	v_cndmask_b32_e32 v222, 7, v222, vcc
; %bb.130:
	s_andn2_saveexec_b64 s[0:1], s[0:1]
	s_cbranch_execz .LBB102_136
; %bb.131:
	v_cmp_ngt_f64_e64 s[16:17], |v[208:209]|, |v[210:211]|
	s_and_saveexec_b64 s[18:19], s[16:17]
	s_xor_b64 s[16:17], exec, s[18:19]
	s_cbranch_execz .LBB102_133
; %bb.132:
	v_div_scale_f64 v[224:225], s[18:19], v[210:211], v[210:211], v[208:209]
	v_rcp_f64_e32 v[226:227], v[224:225]
	v_div_scale_f64 v[228:229], vcc, v[208:209], v[210:211], v[208:209]
	v_fma_f64 v[230:231], -v[224:225], v[226:227], 1.0
	v_fmac_f64_e32 v[226:227], v[226:227], v[230:231]
	v_fma_f64 v[230:231], -v[224:225], v[226:227], 1.0
	v_fmac_f64_e32 v[226:227], v[226:227], v[230:231]
	v_mul_f64 v[230:231], v[228:229], v[226:227]
	v_fma_f64 v[224:225], -v[224:225], v[230:231], v[228:229]
	v_div_fmas_f64 v[224:225], v[224:225], v[226:227], v[230:231]
	v_div_fixup_f64 v[224:225], v[224:225], v[210:211], v[208:209]
	v_fmac_f64_e32 v[210:211], v[208:209], v[224:225]
	v_div_scale_f64 v[208:209], s[18:19], v[210:211], v[210:211], 1.0
	v_rcp_f64_e32 v[226:227], v[208:209]
	s_nop 0
	v_fma_f64 v[228:229], -v[208:209], v[226:227], 1.0
	v_fmac_f64_e32 v[226:227], v[226:227], v[228:229]
	v_fma_f64 v[228:229], -v[208:209], v[226:227], 1.0
	v_fmac_f64_e32 v[226:227], v[226:227], v[228:229]
	v_div_scale_f64 v[228:229], vcc, 1.0, v[210:211], 1.0
	v_mul_f64 v[230:231], v[228:229], v[226:227]
	v_fma_f64 v[208:209], -v[208:209], v[230:231], v[228:229]
	s_nop 1
	v_div_fmas_f64 v[208:209], v[208:209], v[226:227], v[230:231]
	v_div_fixup_f64 v[210:211], v[208:209], v[210:211], 1.0
	v_mul_f64 v[208:209], v[224:225], v[210:211]
	v_xor_b32_e32 v211, 0x80000000, v211
.LBB102_133:
	s_andn2_saveexec_b64 s[16:17], s[16:17]
	s_cbranch_execz .LBB102_135
; %bb.134:
	v_div_scale_f64 v[224:225], s[18:19], v[208:209], v[208:209], v[210:211]
	v_rcp_f64_e32 v[226:227], v[224:225]
	v_div_scale_f64 v[228:229], vcc, v[210:211], v[208:209], v[210:211]
	v_fma_f64 v[230:231], -v[224:225], v[226:227], 1.0
	v_fmac_f64_e32 v[226:227], v[226:227], v[230:231]
	v_fma_f64 v[230:231], -v[224:225], v[226:227], 1.0
	v_fmac_f64_e32 v[226:227], v[226:227], v[230:231]
	v_mul_f64 v[230:231], v[228:229], v[226:227]
	v_fma_f64 v[224:225], -v[224:225], v[230:231], v[228:229]
	v_div_fmas_f64 v[224:225], v[224:225], v[226:227], v[230:231]
	v_div_fixup_f64 v[224:225], v[224:225], v[208:209], v[210:211]
	v_fmac_f64_e32 v[208:209], v[210:211], v[224:225]
	v_div_scale_f64 v[210:211], s[18:19], v[208:209], v[208:209], 1.0
	v_rcp_f64_e32 v[226:227], v[210:211]
	s_nop 0
	v_fma_f64 v[228:229], -v[210:211], v[226:227], 1.0
	v_fmac_f64_e32 v[226:227], v[226:227], v[228:229]
	v_fma_f64 v[228:229], -v[210:211], v[226:227], 1.0
	v_fmac_f64_e32 v[226:227], v[226:227], v[228:229]
	v_div_scale_f64 v[228:229], vcc, 1.0, v[208:209], 1.0
	v_mul_f64 v[230:231], v[228:229], v[226:227]
	v_fma_f64 v[210:211], -v[210:211], v[230:231], v[228:229]
	s_nop 1
	v_div_fmas_f64 v[210:211], v[210:211], v[226:227], v[230:231]
	v_div_fixup_f64 v[208:209], v[210:211], v[208:209], 1.0
	v_mul_f64 v[210:211], v[224:225], -v[208:209]
.LBB102_135:
	s_or_b64 exec, exec, s[16:17]
.LBB102_136:
	s_or_b64 exec, exec, s[0:1]
	v_cmp_ne_u32_e32 vcc, v221, v218
	s_and_saveexec_b64 s[0:1], vcc
	s_xor_b64 s[0:1], exec, s[0:1]
	s_cbranch_execz .LBB102_142
; %bb.137:
	v_cmp_eq_u32_e32 vcc, 6, v221
	s_and_saveexec_b64 s[16:17], vcc
	s_cbranch_execz .LBB102_141
; %bb.138:
	v_cmp_ne_u32_e32 vcc, 6, v218
	s_xor_b64 s[18:19], s[14:15], -1
	s_and_b64 s[22:23], s[18:19], vcc
	s_and_saveexec_b64 s[18:19], s[22:23]
	s_cbranch_execz .LBB102_140
; %bb.139:
	v_ashrrev_i32_e32 v219, 31, v218
	v_lshl_add_u64 v[224:225], v[218:219], 2, v[216:217]
	global_load_dword v219, v[224:225], off
	global_load_dword v221, v[216:217], off offset:24
	s_waitcnt vmcnt(1)
	global_store_dword v[216:217], v219, off offset:24
	s_waitcnt vmcnt(1)
	global_store_dword v[224:225], v221, off
.LBB102_140:
	s_or_b64 exec, exec, s[18:19]
	v_mov_b32_e32 v221, v218
	v_mov_b32_e32 v223, v218
.LBB102_141:
	s_or_b64 exec, exec, s[16:17]
.LBB102_142:
	s_andn2_saveexec_b64 s[0:1], s[0:1]
	s_cbranch_execz .LBB102_144
; %bb.143:
	v_mov_b32_e32 v221, 6
	s_waitcnt vmcnt(44)
	ds_write2_b64 v220, v[180:181], v[182:183] offset0:14 offset1:15
	s_waitcnt vmcnt(43)
	ds_write2_b64 v220, v[176:177], v[178:179] offset0:16 offset1:17
	;; [unrolled: 2-line block ×45, first 2 shown]
.LBB102_144:
	s_or_b64 exec, exec, s[0:1]
	v_cmp_lt_i32_e32 vcc, 6, v221
	s_waitcnt lgkmcnt(0)
	s_barrier
	s_and_saveexec_b64 s[0:1], vcc
	s_cbranch_execz .LBB102_146
; %bb.145:
	ds_read2_b64 v[224:227], v220 offset0:14 offset1:15
	v_mul_f64 v[218:219], v[210:211], v[186:187]
	v_mul_f64 v[186:187], v[208:209], v[186:187]
	v_fmac_f64_e32 v[186:187], v[210:211], v[184:185]
	v_fma_f64 v[218:219], v[208:209], v[184:185], -v[218:219]
	ds_read2_b64 v[208:211], v220 offset0:16 offset1:17
	s_waitcnt lgkmcnt(1)
	v_mul_f64 v[184:185], v[226:227], v[186:187]
	v_fma_f64 v[184:185], v[224:225], v[218:219], -v[184:185]
	v_mul_f64 v[224:225], v[224:225], v[186:187]
	v_fmac_f64_e32 v[224:225], v[226:227], v[218:219]
	s_waitcnt vmcnt(44)
	v_add_f64 v[182:183], v[182:183], -v[224:225]
	ds_read2_b64 v[224:227], v220 offset0:18 offset1:19
	v_add_f64 v[180:181], v[180:181], -v[184:185]
	s_waitcnt lgkmcnt(1)
	v_mul_f64 v[184:185], v[210:211], v[186:187]
	v_fma_f64 v[184:185], v[208:209], v[218:219], -v[184:185]
	v_mul_f64 v[208:209], v[208:209], v[186:187]
	v_fmac_f64_e32 v[208:209], v[210:211], v[218:219]
	s_waitcnt vmcnt(43)
	v_add_f64 v[176:177], v[176:177], -v[184:185]
	v_add_f64 v[178:179], v[178:179], -v[208:209]
	ds_read2_b64 v[208:211], v220 offset0:20 offset1:21
	s_waitcnt lgkmcnt(1)
	v_mul_f64 v[184:185], v[226:227], v[186:187]
	v_fma_f64 v[184:185], v[224:225], v[218:219], -v[184:185]
	v_mul_f64 v[224:225], v[224:225], v[186:187]
	v_fmac_f64_e32 v[224:225], v[226:227], v[218:219]
	s_waitcnt vmcnt(42)
	v_add_f64 v[174:175], v[174:175], -v[224:225]
	ds_read2_b64 v[224:227], v220 offset0:22 offset1:23
	v_add_f64 v[172:173], v[172:173], -v[184:185]
	s_waitcnt lgkmcnt(1)
	v_mul_f64 v[184:185], v[210:211], v[186:187]
	v_fma_f64 v[184:185], v[208:209], v[218:219], -v[184:185]
	v_mul_f64 v[208:209], v[208:209], v[186:187]
	v_fmac_f64_e32 v[208:209], v[210:211], v[218:219]
	s_waitcnt vmcnt(41)
	v_add_f64 v[168:169], v[168:169], -v[184:185]
	v_add_f64 v[170:171], v[170:171], -v[208:209]
	ds_read2_b64 v[208:211], v220 offset0:24 offset1:25
	s_waitcnt lgkmcnt(1)
	v_mul_f64 v[184:185], v[226:227], v[186:187]
	v_fma_f64 v[184:185], v[224:225], v[218:219], -v[184:185]
	v_mul_f64 v[224:225], v[224:225], v[186:187]
	v_fmac_f64_e32 v[224:225], v[226:227], v[218:219]
	s_waitcnt vmcnt(40)
	v_add_f64 v[166:167], v[166:167], -v[224:225]
	ds_read2_b64 v[224:227], v220 offset0:26 offset1:27
	v_add_f64 v[164:165], v[164:165], -v[184:185]
	s_waitcnt lgkmcnt(1)
	v_mul_f64 v[184:185], v[210:211], v[186:187]
	v_fma_f64 v[184:185], v[208:209], v[218:219], -v[184:185]
	v_mul_f64 v[208:209], v[208:209], v[186:187]
	v_fmac_f64_e32 v[208:209], v[210:211], v[218:219]
	s_waitcnt vmcnt(39)
	v_add_f64 v[160:161], v[160:161], -v[184:185]
	v_add_f64 v[162:163], v[162:163], -v[208:209]
	ds_read2_b64 v[208:211], v220 offset0:28 offset1:29
	s_waitcnt lgkmcnt(1)
	v_mul_f64 v[184:185], v[226:227], v[186:187]
	v_fma_f64 v[184:185], v[224:225], v[218:219], -v[184:185]
	v_mul_f64 v[224:225], v[224:225], v[186:187]
	v_fmac_f64_e32 v[224:225], v[226:227], v[218:219]
	s_waitcnt vmcnt(38)
	v_add_f64 v[158:159], v[158:159], -v[224:225]
	ds_read2_b64 v[224:227], v220 offset0:30 offset1:31
	v_add_f64 v[156:157], v[156:157], -v[184:185]
	s_waitcnt lgkmcnt(1)
	v_mul_f64 v[184:185], v[210:211], v[186:187]
	v_fma_f64 v[184:185], v[208:209], v[218:219], -v[184:185]
	v_mul_f64 v[208:209], v[208:209], v[186:187]
	v_fmac_f64_e32 v[208:209], v[210:211], v[218:219]
	s_waitcnt vmcnt(37)
	v_add_f64 v[152:153], v[152:153], -v[184:185]
	v_add_f64 v[154:155], v[154:155], -v[208:209]
	ds_read2_b64 v[208:211], v220 offset0:32 offset1:33
	s_waitcnt lgkmcnt(1)
	v_mul_f64 v[184:185], v[226:227], v[186:187]
	v_fma_f64 v[184:185], v[224:225], v[218:219], -v[184:185]
	v_mul_f64 v[224:225], v[224:225], v[186:187]
	v_fmac_f64_e32 v[224:225], v[226:227], v[218:219]
	s_waitcnt vmcnt(36)
	v_add_f64 v[150:151], v[150:151], -v[224:225]
	ds_read2_b64 v[224:227], v220 offset0:34 offset1:35
	v_add_f64 v[148:149], v[148:149], -v[184:185]
	s_waitcnt lgkmcnt(1)
	v_mul_f64 v[184:185], v[210:211], v[186:187]
	v_fma_f64 v[184:185], v[208:209], v[218:219], -v[184:185]
	v_mul_f64 v[208:209], v[208:209], v[186:187]
	v_fmac_f64_e32 v[208:209], v[210:211], v[218:219]
	s_waitcnt vmcnt(35)
	v_add_f64 v[144:145], v[144:145], -v[184:185]
	v_add_f64 v[146:147], v[146:147], -v[208:209]
	ds_read2_b64 v[208:211], v220 offset0:36 offset1:37
	s_waitcnt lgkmcnt(1)
	v_mul_f64 v[184:185], v[226:227], v[186:187]
	v_fma_f64 v[184:185], v[224:225], v[218:219], -v[184:185]
	v_mul_f64 v[224:225], v[224:225], v[186:187]
	v_fmac_f64_e32 v[224:225], v[226:227], v[218:219]
	s_waitcnt vmcnt(34)
	v_add_f64 v[134:135], v[134:135], -v[224:225]
	ds_read2_b64 v[224:227], v220 offset0:38 offset1:39
	v_add_f64 v[132:133], v[132:133], -v[184:185]
	s_waitcnt lgkmcnt(1)
	v_mul_f64 v[184:185], v[210:211], v[186:187]
	v_fma_f64 v[184:185], v[208:209], v[218:219], -v[184:185]
	v_mul_f64 v[208:209], v[208:209], v[186:187]
	v_fmac_f64_e32 v[208:209], v[210:211], v[218:219]
	s_waitcnt vmcnt(33)
	v_add_f64 v[128:129], v[128:129], -v[184:185]
	v_add_f64 v[130:131], v[130:131], -v[208:209]
	ds_read2_b64 v[208:211], v220 offset0:40 offset1:41
	s_waitcnt lgkmcnt(1)
	v_mul_f64 v[184:185], v[226:227], v[186:187]
	v_fma_f64 v[184:185], v[224:225], v[218:219], -v[184:185]
	v_mul_f64 v[224:225], v[224:225], v[186:187]
	v_fmac_f64_e32 v[224:225], v[226:227], v[218:219]
	s_waitcnt vmcnt(32)
	v_add_f64 v[126:127], v[126:127], -v[224:225]
	ds_read2_b64 v[224:227], v220 offset0:42 offset1:43
	v_add_f64 v[124:125], v[124:125], -v[184:185]
	s_waitcnt lgkmcnt(1)
	v_mul_f64 v[184:185], v[210:211], v[186:187]
	v_fma_f64 v[184:185], v[208:209], v[218:219], -v[184:185]
	v_mul_f64 v[208:209], v[208:209], v[186:187]
	v_fmac_f64_e32 v[208:209], v[210:211], v[218:219]
	s_waitcnt vmcnt(31)
	v_add_f64 v[120:121], v[120:121], -v[184:185]
	v_add_f64 v[122:123], v[122:123], -v[208:209]
	ds_read2_b64 v[208:211], v220 offset0:44 offset1:45
	s_waitcnt lgkmcnt(1)
	v_mul_f64 v[184:185], v[226:227], v[186:187]
	v_fma_f64 v[184:185], v[224:225], v[218:219], -v[184:185]
	v_mul_f64 v[224:225], v[224:225], v[186:187]
	v_fmac_f64_e32 v[224:225], v[226:227], v[218:219]
	s_waitcnt vmcnt(30)
	v_add_f64 v[118:119], v[118:119], -v[224:225]
	ds_read2_b64 v[224:227], v220 offset0:46 offset1:47
	v_add_f64 v[116:117], v[116:117], -v[184:185]
	s_waitcnt lgkmcnt(1)
	v_mul_f64 v[184:185], v[210:211], v[186:187]
	v_fma_f64 v[184:185], v[208:209], v[218:219], -v[184:185]
	v_mul_f64 v[208:209], v[208:209], v[186:187]
	v_fmac_f64_e32 v[208:209], v[210:211], v[218:219]
	s_waitcnt vmcnt(29)
	v_add_f64 v[112:113], v[112:113], -v[184:185]
	v_add_f64 v[114:115], v[114:115], -v[208:209]
	ds_read2_b64 v[208:211], v220 offset0:48 offset1:49
	s_waitcnt lgkmcnt(1)
	v_mul_f64 v[184:185], v[226:227], v[186:187]
	v_fma_f64 v[184:185], v[224:225], v[218:219], -v[184:185]
	v_mul_f64 v[224:225], v[224:225], v[186:187]
	v_fmac_f64_e32 v[224:225], v[226:227], v[218:219]
	s_waitcnt vmcnt(28)
	v_add_f64 v[110:111], v[110:111], -v[224:225]
	ds_read2_b64 v[224:227], v220 offset0:50 offset1:51
	v_add_f64 v[108:109], v[108:109], -v[184:185]
	s_waitcnt lgkmcnt(1)
	v_mul_f64 v[184:185], v[210:211], v[186:187]
	v_fma_f64 v[184:185], v[208:209], v[218:219], -v[184:185]
	v_mul_f64 v[208:209], v[208:209], v[186:187]
	v_fmac_f64_e32 v[208:209], v[210:211], v[218:219]
	s_waitcnt vmcnt(27)
	v_add_f64 v[104:105], v[104:105], -v[184:185]
	v_add_f64 v[106:107], v[106:107], -v[208:209]
	ds_read2_b64 v[208:211], v220 offset0:52 offset1:53
	s_waitcnt lgkmcnt(1)
	v_mul_f64 v[184:185], v[226:227], v[186:187]
	v_fma_f64 v[184:185], v[224:225], v[218:219], -v[184:185]
	v_mul_f64 v[224:225], v[224:225], v[186:187]
	v_fmac_f64_e32 v[224:225], v[226:227], v[218:219]
	s_waitcnt vmcnt(26)
	v_add_f64 v[102:103], v[102:103], -v[224:225]
	ds_read2_b64 v[224:227], v220 offset0:54 offset1:55
	v_add_f64 v[100:101], v[100:101], -v[184:185]
	s_waitcnt lgkmcnt(1)
	v_mul_f64 v[184:185], v[210:211], v[186:187]
	v_fma_f64 v[184:185], v[208:209], v[218:219], -v[184:185]
	v_mul_f64 v[208:209], v[208:209], v[186:187]
	v_fmac_f64_e32 v[208:209], v[210:211], v[218:219]
	s_waitcnt vmcnt(25)
	v_add_f64 v[96:97], v[96:97], -v[184:185]
	v_add_f64 v[98:99], v[98:99], -v[208:209]
	ds_read2_b64 v[208:211], v220 offset0:56 offset1:57
	s_waitcnt lgkmcnt(1)
	v_mul_f64 v[184:185], v[226:227], v[186:187]
	v_fma_f64 v[184:185], v[224:225], v[218:219], -v[184:185]
	v_mul_f64 v[224:225], v[224:225], v[186:187]
	v_fmac_f64_e32 v[224:225], v[226:227], v[218:219]
	s_waitcnt vmcnt(24)
	v_add_f64 v[94:95], v[94:95], -v[224:225]
	ds_read2_b64 v[224:227], v220 offset0:58 offset1:59
	v_add_f64 v[92:93], v[92:93], -v[184:185]
	s_waitcnt lgkmcnt(1)
	v_mul_f64 v[184:185], v[210:211], v[186:187]
	v_fma_f64 v[184:185], v[208:209], v[218:219], -v[184:185]
	v_mul_f64 v[208:209], v[208:209], v[186:187]
	v_fmac_f64_e32 v[208:209], v[210:211], v[218:219]
	s_waitcnt vmcnt(23)
	v_add_f64 v[88:89], v[88:89], -v[184:185]
	v_add_f64 v[90:91], v[90:91], -v[208:209]
	ds_read2_b64 v[208:211], v220 offset0:60 offset1:61
	s_waitcnt lgkmcnt(1)
	v_mul_f64 v[184:185], v[226:227], v[186:187]
	v_fma_f64 v[184:185], v[224:225], v[218:219], -v[184:185]
	v_mul_f64 v[224:225], v[224:225], v[186:187]
	v_fmac_f64_e32 v[224:225], v[226:227], v[218:219]
	s_waitcnt vmcnt(22)
	v_add_f64 v[86:87], v[86:87], -v[224:225]
	ds_read2_b64 v[224:227], v220 offset0:62 offset1:63
	v_add_f64 v[84:85], v[84:85], -v[184:185]
	s_waitcnt lgkmcnt(1)
	v_mul_f64 v[184:185], v[210:211], v[186:187]
	v_fma_f64 v[184:185], v[208:209], v[218:219], -v[184:185]
	v_mul_f64 v[208:209], v[208:209], v[186:187]
	v_fmac_f64_e32 v[208:209], v[210:211], v[218:219]
	s_waitcnt vmcnt(21)
	v_add_f64 v[80:81], v[80:81], -v[184:185]
	v_add_f64 v[82:83], v[82:83], -v[208:209]
	ds_read2_b64 v[208:211], v220 offset0:64 offset1:65
	s_waitcnt lgkmcnt(1)
	v_mul_f64 v[184:185], v[226:227], v[186:187]
	v_fma_f64 v[184:185], v[224:225], v[218:219], -v[184:185]
	v_mul_f64 v[224:225], v[224:225], v[186:187]
	v_fmac_f64_e32 v[224:225], v[226:227], v[218:219]
	s_waitcnt vmcnt(20)
	v_add_f64 v[78:79], v[78:79], -v[224:225]
	ds_read2_b64 v[224:227], v220 offset0:66 offset1:67
	v_add_f64 v[76:77], v[76:77], -v[184:185]
	s_waitcnt lgkmcnt(1)
	v_mul_f64 v[184:185], v[210:211], v[186:187]
	v_fma_f64 v[184:185], v[208:209], v[218:219], -v[184:185]
	v_mul_f64 v[208:209], v[208:209], v[186:187]
	v_fmac_f64_e32 v[208:209], v[210:211], v[218:219]
	s_waitcnt vmcnt(19)
	v_add_f64 v[72:73], v[72:73], -v[184:185]
	v_add_f64 v[74:75], v[74:75], -v[208:209]
	ds_read2_b64 v[208:211], v220 offset0:68 offset1:69
	s_waitcnt lgkmcnt(1)
	v_mul_f64 v[184:185], v[226:227], v[186:187]
	v_fma_f64 v[184:185], v[224:225], v[218:219], -v[184:185]
	v_mul_f64 v[224:225], v[224:225], v[186:187]
	v_fmac_f64_e32 v[224:225], v[226:227], v[218:219]
	s_waitcnt vmcnt(18)
	v_add_f64 v[70:71], v[70:71], -v[224:225]
	ds_read2_b64 v[224:227], v220 offset0:70 offset1:71
	v_add_f64 v[68:69], v[68:69], -v[184:185]
	s_waitcnt lgkmcnt(1)
	v_mul_f64 v[184:185], v[210:211], v[186:187]
	v_fma_f64 v[184:185], v[208:209], v[218:219], -v[184:185]
	v_mul_f64 v[208:209], v[208:209], v[186:187]
	v_fmac_f64_e32 v[208:209], v[210:211], v[218:219]
	s_waitcnt vmcnt(17)
	v_add_f64 v[64:65], v[64:65], -v[184:185]
	v_add_f64 v[66:67], v[66:67], -v[208:209]
	ds_read2_b64 v[208:211], v220 offset0:72 offset1:73
	s_waitcnt lgkmcnt(1)
	v_mul_f64 v[184:185], v[226:227], v[186:187]
	v_fma_f64 v[184:185], v[224:225], v[218:219], -v[184:185]
	v_mul_f64 v[224:225], v[224:225], v[186:187]
	v_fmac_f64_e32 v[224:225], v[226:227], v[218:219]
	s_waitcnt vmcnt(16)
	v_add_f64 v[62:63], v[62:63], -v[224:225]
	ds_read2_b64 v[224:227], v220 offset0:74 offset1:75
	v_add_f64 v[60:61], v[60:61], -v[184:185]
	s_waitcnt lgkmcnt(1)
	v_mul_f64 v[184:185], v[210:211], v[186:187]
	v_fma_f64 v[184:185], v[208:209], v[218:219], -v[184:185]
	v_mul_f64 v[208:209], v[208:209], v[186:187]
	v_fmac_f64_e32 v[208:209], v[210:211], v[218:219]
	s_waitcnt vmcnt(15)
	v_add_f64 v[56:57], v[56:57], -v[184:185]
	v_add_f64 v[58:59], v[58:59], -v[208:209]
	ds_read2_b64 v[208:211], v220 offset0:76 offset1:77
	s_waitcnt lgkmcnt(1)
	v_mul_f64 v[184:185], v[226:227], v[186:187]
	v_fma_f64 v[184:185], v[224:225], v[218:219], -v[184:185]
	v_mul_f64 v[224:225], v[224:225], v[186:187]
	v_fmac_f64_e32 v[224:225], v[226:227], v[218:219]
	s_waitcnt vmcnt(14)
	v_add_f64 v[54:55], v[54:55], -v[224:225]
	ds_read2_b64 v[224:227], v220 offset0:78 offset1:79
	v_add_f64 v[52:53], v[52:53], -v[184:185]
	s_waitcnt lgkmcnt(1)
	v_mul_f64 v[184:185], v[210:211], v[186:187]
	v_fma_f64 v[184:185], v[208:209], v[218:219], -v[184:185]
	v_mul_f64 v[208:209], v[208:209], v[186:187]
	v_fmac_f64_e32 v[208:209], v[210:211], v[218:219]
	s_waitcnt vmcnt(13)
	v_add_f64 v[48:49], v[48:49], -v[184:185]
	v_add_f64 v[50:51], v[50:51], -v[208:209]
	ds_read2_b64 v[208:211], v220 offset0:80 offset1:81
	s_waitcnt lgkmcnt(1)
	v_mul_f64 v[184:185], v[226:227], v[186:187]
	v_fma_f64 v[184:185], v[224:225], v[218:219], -v[184:185]
	v_mul_f64 v[224:225], v[224:225], v[186:187]
	v_fmac_f64_e32 v[224:225], v[226:227], v[218:219]
	s_waitcnt vmcnt(12)
	v_add_f64 v[46:47], v[46:47], -v[224:225]
	ds_read2_b64 v[224:227], v220 offset0:82 offset1:83
	v_add_f64 v[44:45], v[44:45], -v[184:185]
	s_waitcnt lgkmcnt(1)
	v_mul_f64 v[184:185], v[210:211], v[186:187]
	v_fma_f64 v[184:185], v[208:209], v[218:219], -v[184:185]
	v_mul_f64 v[208:209], v[208:209], v[186:187]
	v_fmac_f64_e32 v[208:209], v[210:211], v[218:219]
	s_waitcnt vmcnt(11)
	v_add_f64 v[40:41], v[40:41], -v[184:185]
	v_add_f64 v[42:43], v[42:43], -v[208:209]
	ds_read2_b64 v[208:211], v220 offset0:84 offset1:85
	s_waitcnt lgkmcnt(1)
	v_mul_f64 v[184:185], v[226:227], v[186:187]
	v_fma_f64 v[184:185], v[224:225], v[218:219], -v[184:185]
	v_mul_f64 v[224:225], v[224:225], v[186:187]
	v_fmac_f64_e32 v[224:225], v[226:227], v[218:219]
	s_waitcnt vmcnt(10)
	v_add_f64 v[38:39], v[38:39], -v[224:225]
	ds_read2_b64 v[224:227], v220 offset0:86 offset1:87
	v_add_f64 v[36:37], v[36:37], -v[184:185]
	s_waitcnt lgkmcnt(1)
	v_mul_f64 v[184:185], v[210:211], v[186:187]
	v_fma_f64 v[184:185], v[208:209], v[218:219], -v[184:185]
	v_mul_f64 v[208:209], v[208:209], v[186:187]
	v_fmac_f64_e32 v[208:209], v[210:211], v[218:219]
	s_waitcnt vmcnt(9)
	v_add_f64 v[32:33], v[32:33], -v[184:185]
	v_add_f64 v[34:35], v[34:35], -v[208:209]
	ds_read2_b64 v[208:211], v220 offset0:88 offset1:89
	s_waitcnt lgkmcnt(1)
	v_mul_f64 v[184:185], v[226:227], v[186:187]
	v_fma_f64 v[184:185], v[224:225], v[218:219], -v[184:185]
	v_mul_f64 v[224:225], v[224:225], v[186:187]
	v_fmac_f64_e32 v[224:225], v[226:227], v[218:219]
	s_waitcnt vmcnt(8)
	v_add_f64 v[30:31], v[30:31], -v[224:225]
	ds_read2_b64 v[224:227], v220 offset0:90 offset1:91
	v_add_f64 v[28:29], v[28:29], -v[184:185]
	s_waitcnt lgkmcnt(1)
	v_mul_f64 v[184:185], v[210:211], v[186:187]
	v_fma_f64 v[184:185], v[208:209], v[218:219], -v[184:185]
	v_mul_f64 v[208:209], v[208:209], v[186:187]
	v_fmac_f64_e32 v[208:209], v[210:211], v[218:219]
	s_waitcnt vmcnt(7)
	v_add_f64 v[24:25], v[24:25], -v[184:185]
	v_add_f64 v[26:27], v[26:27], -v[208:209]
	ds_read2_b64 v[208:211], v220 offset0:92 offset1:93
	s_waitcnt lgkmcnt(1)
	v_mul_f64 v[184:185], v[226:227], v[186:187]
	v_fma_f64 v[184:185], v[224:225], v[218:219], -v[184:185]
	v_mul_f64 v[224:225], v[224:225], v[186:187]
	v_fmac_f64_e32 v[224:225], v[226:227], v[218:219]
	s_waitcnt vmcnt(6)
	v_add_f64 v[22:23], v[22:23], -v[224:225]
	ds_read2_b64 v[224:227], v220 offset0:94 offset1:95
	v_add_f64 v[20:21], v[20:21], -v[184:185]
	s_waitcnt lgkmcnt(1)
	v_mul_f64 v[184:185], v[210:211], v[186:187]
	v_fma_f64 v[184:185], v[208:209], v[218:219], -v[184:185]
	v_mul_f64 v[208:209], v[208:209], v[186:187]
	v_fmac_f64_e32 v[208:209], v[210:211], v[218:219]
	s_waitcnt vmcnt(5)
	v_add_f64 v[16:17], v[16:17], -v[184:185]
	v_add_f64 v[18:19], v[18:19], -v[208:209]
	ds_read2_b64 v[208:211], v220 offset0:96 offset1:97
	s_waitcnt lgkmcnt(1)
	v_mul_f64 v[184:185], v[226:227], v[186:187]
	v_fma_f64 v[184:185], v[224:225], v[218:219], -v[184:185]
	v_mul_f64 v[224:225], v[224:225], v[186:187]
	v_fmac_f64_e32 v[224:225], v[226:227], v[218:219]
	s_waitcnt vmcnt(4)
	v_add_f64 v[14:15], v[14:15], -v[224:225]
	ds_read2_b64 v[224:227], v220 offset0:98 offset1:99
	v_add_f64 v[12:13], v[12:13], -v[184:185]
	s_waitcnt lgkmcnt(1)
	v_mul_f64 v[184:185], v[210:211], v[186:187]
	v_fma_f64 v[184:185], v[208:209], v[218:219], -v[184:185]
	v_mul_f64 v[208:209], v[208:209], v[186:187]
	v_fmac_f64_e32 v[208:209], v[210:211], v[218:219]
	s_waitcnt vmcnt(3)
	v_add_f64 v[8:9], v[8:9], -v[184:185]
	v_add_f64 v[10:11], v[10:11], -v[208:209]
	ds_read2_b64 v[208:211], v220 offset0:100 offset1:101
	s_waitcnt lgkmcnt(1)
	v_mul_f64 v[184:185], v[226:227], v[186:187]
	v_fma_f64 v[184:185], v[224:225], v[218:219], -v[184:185]
	v_mul_f64 v[224:225], v[224:225], v[186:187]
	v_fmac_f64_e32 v[224:225], v[226:227], v[218:219]
	s_waitcnt vmcnt(2)
	v_add_f64 v[6:7], v[6:7], -v[224:225]
	ds_read2_b64 v[224:227], v220 offset0:102 offset1:103
	v_add_f64 v[4:5], v[4:5], -v[184:185]
	s_waitcnt lgkmcnt(1)
	v_mul_f64 v[184:185], v[210:211], v[186:187]
	v_fma_f64 v[184:185], v[208:209], v[218:219], -v[184:185]
	v_mul_f64 v[208:209], v[208:209], v[186:187]
	v_fmac_f64_e32 v[208:209], v[210:211], v[218:219]
	s_waitcnt vmcnt(1)
	v_add_f64 v[0:1], v[0:1], -v[184:185]
	v_add_f64 v[2:3], v[2:3], -v[208:209]
	s_waitcnt lgkmcnt(0)
	v_mul_f64 v[184:185], v[226:227], v[186:187]
	v_mul_f64 v[208:209], v[224:225], v[186:187]
	v_fma_f64 v[184:185], v[224:225], v[218:219], -v[184:185]
	v_fmac_f64_e32 v[208:209], v[226:227], v[218:219]
	s_waitcnt vmcnt(0)
	v_add_f64 v[204:205], v[204:205], -v[184:185]
	v_add_f64 v[206:207], v[206:207], -v[208:209]
	v_mov_b64_e32 v[184:185], v[218:219]
.LBB102_146:
	s_or_b64 exec, exec, s[0:1]
	v_lshl_add_u32 v208, v221, 4, v220
	s_barrier
	s_waitcnt vmcnt(44)
	ds_write2_b64 v208, v[180:181], v[182:183] offset1:1
	s_waitcnt lgkmcnt(0)
	s_barrier
	ds_read2_b64 v[208:211], v220 offset0:14 offset1:15
	s_cmp_lt_i32 s20, 9
	v_mov_b32_e32 v218, 7
	s_cbranch_scc1 .LBB102_149
; %bb.147:
	v_add_u32_e32 v219, 0x80, v220
	s_mov_b32 s16, 8
	v_mov_b32_e32 v218, 7
.LBB102_148:                            ; =>This Inner Loop Header: Depth=1
	ds_read2_b64 v[224:227], v219 offset1:1
	s_waitcnt lgkmcnt(1)
	v_xor_b32_e32 v229, 0x80000000, v209
	v_xor_b32_e32 v231, 0x80000000, v211
	v_cmp_gt_f64_e32 vcc, 0, v[210:211]
	v_cmp_gt_f64_e64 s[0:1], 0, v[208:209]
	v_mov_b32_e32 v228, v208
	v_mov_b32_e32 v230, v210
	v_cndmask_b32_e64 v229, v209, v229, s[0:1]
	v_cndmask_b32_e32 v231, v211, v231, vcc
	v_add_f64 v[228:229], v[228:229], v[230:231]
	s_waitcnt lgkmcnt(0)
	v_xor_b32_e32 v231, 0x80000000, v225
	v_xor_b32_e32 v233, 0x80000000, v227
	v_cmp_gt_f64_e32 vcc, 0, v[226:227]
	v_cmp_gt_f64_e64 s[0:1], 0, v[224:225]
	v_mov_b32_e32 v230, v224
	v_mov_b32_e32 v232, v226
	v_cndmask_b32_e64 v231, v225, v231, s[0:1]
	v_cndmask_b32_e32 v233, v227, v233, vcc
	v_add_f64 v[230:231], v[230:231], v[232:233]
	v_mov_b32_e32 v234, s16
	s_add_i32 s16, s16, 1
	v_cmp_lt_f64_e32 vcc, v[228:229], v[230:231]
	v_add_u32_e32 v219, 16, v219
	s_cmp_lg_u32 s20, s16
	v_cndmask_b32_e32 v209, v209, v225, vcc
	v_cndmask_b32_e32 v208, v208, v224, vcc
	;; [unrolled: 1-line block ×5, first 2 shown]
	s_cbranch_scc1 .LBB102_148
.LBB102_149:
	s_waitcnt lgkmcnt(0)
	v_cmp_eq_f64_e32 vcc, 0, v[208:209]
	v_cmp_eq_f64_e64 s[0:1], 0, v[210:211]
	s_and_b64 s[0:1], vcc, s[0:1]
	s_and_saveexec_b64 s[16:17], s[0:1]
	s_xor_b64 s[0:1], exec, s[16:17]
; %bb.150:
	v_cmp_ne_u32_e32 vcc, 0, v222
	s_nop 1
	v_cndmask_b32_e32 v222, 8, v222, vcc
; %bb.151:
	s_andn2_saveexec_b64 s[0:1], s[0:1]
	s_cbranch_execz .LBB102_157
; %bb.152:
	v_cmp_ngt_f64_e64 s[16:17], |v[208:209]|, |v[210:211]|
	s_and_saveexec_b64 s[18:19], s[16:17]
	s_xor_b64 s[16:17], exec, s[18:19]
	s_cbranch_execz .LBB102_154
; %bb.153:
	v_div_scale_f64 v[224:225], s[18:19], v[210:211], v[210:211], v[208:209]
	v_rcp_f64_e32 v[226:227], v[224:225]
	v_div_scale_f64 v[228:229], vcc, v[208:209], v[210:211], v[208:209]
	v_fma_f64 v[230:231], -v[224:225], v[226:227], 1.0
	v_fmac_f64_e32 v[226:227], v[226:227], v[230:231]
	v_fma_f64 v[230:231], -v[224:225], v[226:227], 1.0
	v_fmac_f64_e32 v[226:227], v[226:227], v[230:231]
	v_mul_f64 v[230:231], v[228:229], v[226:227]
	v_fma_f64 v[224:225], -v[224:225], v[230:231], v[228:229]
	v_div_fmas_f64 v[224:225], v[224:225], v[226:227], v[230:231]
	v_div_fixup_f64 v[224:225], v[224:225], v[210:211], v[208:209]
	v_fmac_f64_e32 v[210:211], v[208:209], v[224:225]
	v_div_scale_f64 v[208:209], s[18:19], v[210:211], v[210:211], 1.0
	v_rcp_f64_e32 v[226:227], v[208:209]
	s_nop 0
	v_fma_f64 v[228:229], -v[208:209], v[226:227], 1.0
	v_fmac_f64_e32 v[226:227], v[226:227], v[228:229]
	v_fma_f64 v[228:229], -v[208:209], v[226:227], 1.0
	v_fmac_f64_e32 v[226:227], v[226:227], v[228:229]
	v_div_scale_f64 v[228:229], vcc, 1.0, v[210:211], 1.0
	v_mul_f64 v[230:231], v[228:229], v[226:227]
	v_fma_f64 v[208:209], -v[208:209], v[230:231], v[228:229]
	s_nop 1
	v_div_fmas_f64 v[208:209], v[208:209], v[226:227], v[230:231]
	v_div_fixup_f64 v[210:211], v[208:209], v[210:211], 1.0
	v_mul_f64 v[208:209], v[224:225], v[210:211]
	v_xor_b32_e32 v211, 0x80000000, v211
.LBB102_154:
	s_andn2_saveexec_b64 s[16:17], s[16:17]
	s_cbranch_execz .LBB102_156
; %bb.155:
	v_div_scale_f64 v[224:225], s[18:19], v[208:209], v[208:209], v[210:211]
	v_rcp_f64_e32 v[226:227], v[224:225]
	v_div_scale_f64 v[228:229], vcc, v[210:211], v[208:209], v[210:211]
	v_fma_f64 v[230:231], -v[224:225], v[226:227], 1.0
	v_fmac_f64_e32 v[226:227], v[226:227], v[230:231]
	v_fma_f64 v[230:231], -v[224:225], v[226:227], 1.0
	v_fmac_f64_e32 v[226:227], v[226:227], v[230:231]
	v_mul_f64 v[230:231], v[228:229], v[226:227]
	v_fma_f64 v[224:225], -v[224:225], v[230:231], v[228:229]
	v_div_fmas_f64 v[224:225], v[224:225], v[226:227], v[230:231]
	v_div_fixup_f64 v[224:225], v[224:225], v[208:209], v[210:211]
	v_fmac_f64_e32 v[208:209], v[210:211], v[224:225]
	v_div_scale_f64 v[210:211], s[18:19], v[208:209], v[208:209], 1.0
	v_rcp_f64_e32 v[226:227], v[210:211]
	s_nop 0
	v_fma_f64 v[228:229], -v[210:211], v[226:227], 1.0
	v_fmac_f64_e32 v[226:227], v[226:227], v[228:229]
	v_fma_f64 v[228:229], -v[210:211], v[226:227], 1.0
	v_fmac_f64_e32 v[226:227], v[226:227], v[228:229]
	v_div_scale_f64 v[228:229], vcc, 1.0, v[208:209], 1.0
	v_mul_f64 v[230:231], v[228:229], v[226:227]
	v_fma_f64 v[210:211], -v[210:211], v[230:231], v[228:229]
	s_nop 1
	v_div_fmas_f64 v[210:211], v[210:211], v[226:227], v[230:231]
	v_div_fixup_f64 v[208:209], v[210:211], v[208:209], 1.0
	v_mul_f64 v[210:211], v[224:225], -v[208:209]
.LBB102_156:
	s_or_b64 exec, exec, s[16:17]
.LBB102_157:
	s_or_b64 exec, exec, s[0:1]
	v_cmp_ne_u32_e32 vcc, v221, v218
	s_and_saveexec_b64 s[0:1], vcc
	s_xor_b64 s[0:1], exec, s[0:1]
	s_cbranch_execz .LBB102_163
; %bb.158:
	v_cmp_eq_u32_e32 vcc, 7, v221
	s_and_saveexec_b64 s[16:17], vcc
	s_cbranch_execz .LBB102_162
; %bb.159:
	v_cmp_ne_u32_e32 vcc, 7, v218
	s_xor_b64 s[18:19], s[14:15], -1
	s_and_b64 s[22:23], s[18:19], vcc
	s_and_saveexec_b64 s[18:19], s[22:23]
	s_cbranch_execz .LBB102_161
; %bb.160:
	v_ashrrev_i32_e32 v219, 31, v218
	v_lshl_add_u64 v[224:225], v[218:219], 2, v[216:217]
	global_load_dword v219, v[224:225], off
	global_load_dword v221, v[216:217], off offset:28
	s_waitcnt vmcnt(1)
	global_store_dword v[216:217], v219, off offset:28
	s_waitcnt vmcnt(1)
	global_store_dword v[224:225], v221, off
.LBB102_161:
	s_or_b64 exec, exec, s[18:19]
	v_mov_b32_e32 v221, v218
	v_mov_b32_e32 v223, v218
.LBB102_162:
	s_or_b64 exec, exec, s[16:17]
.LBB102_163:
	s_andn2_saveexec_b64 s[0:1], s[0:1]
	s_cbranch_execz .LBB102_165
; %bb.164:
	v_mov_b32_e32 v221, 7
	s_waitcnt vmcnt(43)
	ds_write2_b64 v220, v[176:177], v[178:179] offset0:16 offset1:17
	s_waitcnt vmcnt(42)
	ds_write2_b64 v220, v[172:173], v[174:175] offset0:18 offset1:19
	;; [unrolled: 2-line block ×44, first 2 shown]
.LBB102_165:
	s_or_b64 exec, exec, s[0:1]
	v_cmp_lt_i32_e32 vcc, 7, v221
	s_waitcnt lgkmcnt(0)
	s_barrier
	s_and_saveexec_b64 s[0:1], vcc
	s_cbranch_execz .LBB102_167
; %bb.166:
	ds_read2_b64 v[224:227], v220 offset0:16 offset1:17
	v_mul_f64 v[218:219], v[210:211], v[182:183]
	v_mul_f64 v[182:183], v[208:209], v[182:183]
	v_fma_f64 v[218:219], v[208:209], v[180:181], -v[218:219]
	v_fmac_f64_e32 v[182:183], v[210:211], v[180:181]
	ds_read2_b64 v[208:211], v220 offset0:18 offset1:19
	s_waitcnt lgkmcnt(1)
	v_mul_f64 v[180:181], v[226:227], v[182:183]
	v_fma_f64 v[180:181], v[224:225], v[218:219], -v[180:181]
	v_mul_f64 v[224:225], v[224:225], v[182:183]
	v_fmac_f64_e32 v[224:225], v[226:227], v[218:219]
	s_waitcnt vmcnt(43)
	v_add_f64 v[176:177], v[176:177], -v[180:181]
	s_waitcnt lgkmcnt(0)
	v_mul_f64 v[180:181], v[210:211], v[182:183]
	v_add_f64 v[178:179], v[178:179], -v[224:225]
	v_fma_f64 v[180:181], v[208:209], v[218:219], -v[180:181]
	v_mul_f64 v[208:209], v[208:209], v[182:183]
	ds_read2_b64 v[224:227], v220 offset0:20 offset1:21
	v_fmac_f64_e32 v[208:209], v[210:211], v[218:219]
	s_waitcnt vmcnt(42)
	v_add_f64 v[174:175], v[174:175], -v[208:209]
	ds_read2_b64 v[208:211], v220 offset0:22 offset1:23
	v_add_f64 v[172:173], v[172:173], -v[180:181]
	s_waitcnt lgkmcnt(1)
	v_mul_f64 v[180:181], v[226:227], v[182:183]
	v_fma_f64 v[180:181], v[224:225], v[218:219], -v[180:181]
	v_mul_f64 v[224:225], v[224:225], v[182:183]
	v_fmac_f64_e32 v[224:225], v[226:227], v[218:219]
	s_waitcnt vmcnt(41)
	v_add_f64 v[168:169], v[168:169], -v[180:181]
	s_waitcnt lgkmcnt(0)
	v_mul_f64 v[180:181], v[210:211], v[182:183]
	v_add_f64 v[170:171], v[170:171], -v[224:225]
	v_fma_f64 v[180:181], v[208:209], v[218:219], -v[180:181]
	v_mul_f64 v[208:209], v[208:209], v[182:183]
	ds_read2_b64 v[224:227], v220 offset0:24 offset1:25
	v_fmac_f64_e32 v[208:209], v[210:211], v[218:219]
	s_waitcnt vmcnt(40)
	v_add_f64 v[166:167], v[166:167], -v[208:209]
	ds_read2_b64 v[208:211], v220 offset0:26 offset1:27
	v_add_f64 v[164:165], v[164:165], -v[180:181]
	;; [unrolled: 18-line block ×21, first 2 shown]
	s_waitcnt lgkmcnt(1)
	v_mul_f64 v[180:181], v[226:227], v[182:183]
	v_fma_f64 v[180:181], v[224:225], v[218:219], -v[180:181]
	s_waitcnt vmcnt(1)
	v_add_f64 v[0:1], v[0:1], -v[180:181]
	s_waitcnt lgkmcnt(0)
	v_mul_f64 v[180:181], v[210:211], v[182:183]
	v_mul_f64 v[224:225], v[224:225], v[182:183]
	v_fma_f64 v[180:181], v[208:209], v[218:219], -v[180:181]
	v_mul_f64 v[208:209], v[208:209], v[182:183]
	v_fmac_f64_e32 v[224:225], v[226:227], v[218:219]
	v_fmac_f64_e32 v[208:209], v[210:211], v[218:219]
	v_add_f64 v[2:3], v[2:3], -v[224:225]
	s_waitcnt vmcnt(0)
	v_add_f64 v[204:205], v[204:205], -v[180:181]
	v_add_f64 v[206:207], v[206:207], -v[208:209]
	v_mov_b64_e32 v[180:181], v[218:219]
.LBB102_167:
	s_or_b64 exec, exec, s[0:1]
	v_lshl_add_u32 v208, v221, 4, v220
	s_barrier
	s_waitcnt vmcnt(43)
	ds_write2_b64 v208, v[176:177], v[178:179] offset1:1
	s_waitcnt lgkmcnt(0)
	s_barrier
	ds_read2_b64 v[208:211], v220 offset0:16 offset1:17
	s_cmp_lt_i32 s20, 10
	v_mov_b32_e32 v218, 8
	s_cbranch_scc1 .LBB102_170
; %bb.168:
	v_add_u32_e32 v219, 0x90, v220
	s_mov_b32 s16, 9
	v_mov_b32_e32 v218, 8
.LBB102_169:                            ; =>This Inner Loop Header: Depth=1
	ds_read2_b64 v[224:227], v219 offset1:1
	s_waitcnt lgkmcnt(1)
	v_xor_b32_e32 v229, 0x80000000, v209
	v_xor_b32_e32 v231, 0x80000000, v211
	v_cmp_gt_f64_e32 vcc, 0, v[210:211]
	v_cmp_gt_f64_e64 s[0:1], 0, v[208:209]
	v_mov_b32_e32 v228, v208
	v_mov_b32_e32 v230, v210
	v_cndmask_b32_e64 v229, v209, v229, s[0:1]
	v_cndmask_b32_e32 v231, v211, v231, vcc
	v_add_f64 v[228:229], v[228:229], v[230:231]
	s_waitcnt lgkmcnt(0)
	v_xor_b32_e32 v231, 0x80000000, v225
	v_xor_b32_e32 v233, 0x80000000, v227
	v_cmp_gt_f64_e32 vcc, 0, v[226:227]
	v_cmp_gt_f64_e64 s[0:1], 0, v[224:225]
	v_mov_b32_e32 v230, v224
	v_mov_b32_e32 v232, v226
	v_cndmask_b32_e64 v231, v225, v231, s[0:1]
	v_cndmask_b32_e32 v233, v227, v233, vcc
	v_add_f64 v[230:231], v[230:231], v[232:233]
	v_mov_b32_e32 v234, s16
	s_add_i32 s16, s16, 1
	v_cmp_lt_f64_e32 vcc, v[228:229], v[230:231]
	v_add_u32_e32 v219, 16, v219
	s_cmp_lg_u32 s20, s16
	v_cndmask_b32_e32 v209, v209, v225, vcc
	v_cndmask_b32_e32 v208, v208, v224, vcc
	;; [unrolled: 1-line block ×5, first 2 shown]
	s_cbranch_scc1 .LBB102_169
.LBB102_170:
	s_waitcnt lgkmcnt(0)
	v_cmp_eq_f64_e32 vcc, 0, v[208:209]
	v_cmp_eq_f64_e64 s[0:1], 0, v[210:211]
	s_and_b64 s[0:1], vcc, s[0:1]
	s_and_saveexec_b64 s[16:17], s[0:1]
	s_xor_b64 s[0:1], exec, s[16:17]
; %bb.171:
	v_cmp_ne_u32_e32 vcc, 0, v222
	s_nop 1
	v_cndmask_b32_e32 v222, 9, v222, vcc
; %bb.172:
	s_andn2_saveexec_b64 s[0:1], s[0:1]
	s_cbranch_execz .LBB102_178
; %bb.173:
	v_cmp_ngt_f64_e64 s[16:17], |v[208:209]|, |v[210:211]|
	s_and_saveexec_b64 s[18:19], s[16:17]
	s_xor_b64 s[16:17], exec, s[18:19]
	s_cbranch_execz .LBB102_175
; %bb.174:
	v_div_scale_f64 v[224:225], s[18:19], v[210:211], v[210:211], v[208:209]
	v_rcp_f64_e32 v[226:227], v[224:225]
	v_div_scale_f64 v[228:229], vcc, v[208:209], v[210:211], v[208:209]
	v_fma_f64 v[230:231], -v[224:225], v[226:227], 1.0
	v_fmac_f64_e32 v[226:227], v[226:227], v[230:231]
	v_fma_f64 v[230:231], -v[224:225], v[226:227], 1.0
	v_fmac_f64_e32 v[226:227], v[226:227], v[230:231]
	v_mul_f64 v[230:231], v[228:229], v[226:227]
	v_fma_f64 v[224:225], -v[224:225], v[230:231], v[228:229]
	v_div_fmas_f64 v[224:225], v[224:225], v[226:227], v[230:231]
	v_div_fixup_f64 v[224:225], v[224:225], v[210:211], v[208:209]
	v_fmac_f64_e32 v[210:211], v[208:209], v[224:225]
	v_div_scale_f64 v[208:209], s[18:19], v[210:211], v[210:211], 1.0
	v_rcp_f64_e32 v[226:227], v[208:209]
	s_nop 0
	v_fma_f64 v[228:229], -v[208:209], v[226:227], 1.0
	v_fmac_f64_e32 v[226:227], v[226:227], v[228:229]
	v_fma_f64 v[228:229], -v[208:209], v[226:227], 1.0
	v_fmac_f64_e32 v[226:227], v[226:227], v[228:229]
	v_div_scale_f64 v[228:229], vcc, 1.0, v[210:211], 1.0
	v_mul_f64 v[230:231], v[228:229], v[226:227]
	v_fma_f64 v[208:209], -v[208:209], v[230:231], v[228:229]
	s_nop 1
	v_div_fmas_f64 v[208:209], v[208:209], v[226:227], v[230:231]
	v_div_fixup_f64 v[210:211], v[208:209], v[210:211], 1.0
	v_mul_f64 v[208:209], v[224:225], v[210:211]
	v_xor_b32_e32 v211, 0x80000000, v211
.LBB102_175:
	s_andn2_saveexec_b64 s[16:17], s[16:17]
	s_cbranch_execz .LBB102_177
; %bb.176:
	v_div_scale_f64 v[224:225], s[18:19], v[208:209], v[208:209], v[210:211]
	v_rcp_f64_e32 v[226:227], v[224:225]
	v_div_scale_f64 v[228:229], vcc, v[210:211], v[208:209], v[210:211]
	v_fma_f64 v[230:231], -v[224:225], v[226:227], 1.0
	v_fmac_f64_e32 v[226:227], v[226:227], v[230:231]
	v_fma_f64 v[230:231], -v[224:225], v[226:227], 1.0
	v_fmac_f64_e32 v[226:227], v[226:227], v[230:231]
	v_mul_f64 v[230:231], v[228:229], v[226:227]
	v_fma_f64 v[224:225], -v[224:225], v[230:231], v[228:229]
	v_div_fmas_f64 v[224:225], v[224:225], v[226:227], v[230:231]
	v_div_fixup_f64 v[224:225], v[224:225], v[208:209], v[210:211]
	v_fmac_f64_e32 v[208:209], v[210:211], v[224:225]
	v_div_scale_f64 v[210:211], s[18:19], v[208:209], v[208:209], 1.0
	v_rcp_f64_e32 v[226:227], v[210:211]
	s_nop 0
	v_fma_f64 v[228:229], -v[210:211], v[226:227], 1.0
	v_fmac_f64_e32 v[226:227], v[226:227], v[228:229]
	v_fma_f64 v[228:229], -v[210:211], v[226:227], 1.0
	v_fmac_f64_e32 v[226:227], v[226:227], v[228:229]
	v_div_scale_f64 v[228:229], vcc, 1.0, v[208:209], 1.0
	v_mul_f64 v[230:231], v[228:229], v[226:227]
	v_fma_f64 v[210:211], -v[210:211], v[230:231], v[228:229]
	s_nop 1
	v_div_fmas_f64 v[210:211], v[210:211], v[226:227], v[230:231]
	v_div_fixup_f64 v[208:209], v[210:211], v[208:209], 1.0
	v_mul_f64 v[210:211], v[224:225], -v[208:209]
.LBB102_177:
	s_or_b64 exec, exec, s[16:17]
.LBB102_178:
	s_or_b64 exec, exec, s[0:1]
	v_cmp_ne_u32_e32 vcc, v221, v218
	s_and_saveexec_b64 s[0:1], vcc
	s_xor_b64 s[0:1], exec, s[0:1]
	s_cbranch_execz .LBB102_184
; %bb.179:
	v_cmp_eq_u32_e32 vcc, 8, v221
	s_and_saveexec_b64 s[16:17], vcc
	s_cbranch_execz .LBB102_183
; %bb.180:
	v_cmp_ne_u32_e32 vcc, 8, v218
	s_xor_b64 s[18:19], s[14:15], -1
	s_and_b64 s[22:23], s[18:19], vcc
	s_and_saveexec_b64 s[18:19], s[22:23]
	s_cbranch_execz .LBB102_182
; %bb.181:
	v_ashrrev_i32_e32 v219, 31, v218
	v_lshl_add_u64 v[224:225], v[218:219], 2, v[216:217]
	global_load_dword v219, v[224:225], off
	global_load_dword v221, v[216:217], off offset:32
	s_waitcnt vmcnt(1)
	global_store_dword v[216:217], v219, off offset:32
	s_waitcnt vmcnt(1)
	global_store_dword v[224:225], v221, off
.LBB102_182:
	s_or_b64 exec, exec, s[18:19]
	v_mov_b32_e32 v221, v218
	v_mov_b32_e32 v223, v218
.LBB102_183:
	s_or_b64 exec, exec, s[16:17]
.LBB102_184:
	s_andn2_saveexec_b64 s[0:1], s[0:1]
	s_cbranch_execz .LBB102_186
; %bb.185:
	v_mov_b32_e32 v221, 8
	s_waitcnt vmcnt(42)
	ds_write2_b64 v220, v[172:173], v[174:175] offset0:18 offset1:19
	s_waitcnt vmcnt(41)
	ds_write2_b64 v220, v[168:169], v[170:171] offset0:20 offset1:21
	;; [unrolled: 2-line block ×43, first 2 shown]
.LBB102_186:
	s_or_b64 exec, exec, s[0:1]
	v_cmp_lt_i32_e32 vcc, 8, v221
	s_waitcnt lgkmcnt(0)
	s_barrier
	s_and_saveexec_b64 s[0:1], vcc
	s_cbranch_execz .LBB102_188
; %bb.187:
	ds_read2_b64 v[224:227], v220 offset0:18 offset1:19
	v_mul_f64 v[218:219], v[210:211], v[178:179]
	v_mul_f64 v[178:179], v[208:209], v[178:179]
	v_fmac_f64_e32 v[178:179], v[210:211], v[176:177]
	v_fma_f64 v[218:219], v[208:209], v[176:177], -v[218:219]
	ds_read2_b64 v[208:211], v220 offset0:20 offset1:21
	s_waitcnt lgkmcnt(1)
	v_mul_f64 v[176:177], v[226:227], v[178:179]
	v_fma_f64 v[176:177], v[224:225], v[218:219], -v[176:177]
	v_mul_f64 v[224:225], v[224:225], v[178:179]
	v_fmac_f64_e32 v[224:225], v[226:227], v[218:219]
	s_waitcnt vmcnt(42)
	v_add_f64 v[174:175], v[174:175], -v[224:225]
	ds_read2_b64 v[224:227], v220 offset0:22 offset1:23
	v_add_f64 v[172:173], v[172:173], -v[176:177]
	s_waitcnt lgkmcnt(1)
	v_mul_f64 v[176:177], v[210:211], v[178:179]
	v_fma_f64 v[176:177], v[208:209], v[218:219], -v[176:177]
	v_mul_f64 v[208:209], v[208:209], v[178:179]
	v_fmac_f64_e32 v[208:209], v[210:211], v[218:219]
	s_waitcnt vmcnt(41)
	v_add_f64 v[168:169], v[168:169], -v[176:177]
	v_add_f64 v[170:171], v[170:171], -v[208:209]
	ds_read2_b64 v[208:211], v220 offset0:24 offset1:25
	s_waitcnt lgkmcnt(1)
	v_mul_f64 v[176:177], v[226:227], v[178:179]
	v_fma_f64 v[176:177], v[224:225], v[218:219], -v[176:177]
	v_mul_f64 v[224:225], v[224:225], v[178:179]
	v_fmac_f64_e32 v[224:225], v[226:227], v[218:219]
	s_waitcnt vmcnt(40)
	v_add_f64 v[166:167], v[166:167], -v[224:225]
	ds_read2_b64 v[224:227], v220 offset0:26 offset1:27
	v_add_f64 v[164:165], v[164:165], -v[176:177]
	s_waitcnt lgkmcnt(1)
	v_mul_f64 v[176:177], v[210:211], v[178:179]
	v_fma_f64 v[176:177], v[208:209], v[218:219], -v[176:177]
	v_mul_f64 v[208:209], v[208:209], v[178:179]
	v_fmac_f64_e32 v[208:209], v[210:211], v[218:219]
	s_waitcnt vmcnt(39)
	v_add_f64 v[160:161], v[160:161], -v[176:177]
	v_add_f64 v[162:163], v[162:163], -v[208:209]
	;; [unrolled: 18-line block ×21, first 2 shown]
	s_waitcnt lgkmcnt(0)
	v_mul_f64 v[176:177], v[226:227], v[178:179]
	v_mul_f64 v[208:209], v[224:225], v[178:179]
	v_fma_f64 v[176:177], v[224:225], v[218:219], -v[176:177]
	v_fmac_f64_e32 v[208:209], v[226:227], v[218:219]
	s_waitcnt vmcnt(0)
	v_add_f64 v[204:205], v[204:205], -v[176:177]
	v_add_f64 v[206:207], v[206:207], -v[208:209]
	v_mov_b64_e32 v[176:177], v[218:219]
.LBB102_188:
	s_or_b64 exec, exec, s[0:1]
	v_lshl_add_u32 v208, v221, 4, v220
	s_barrier
	s_waitcnt vmcnt(42)
	ds_write2_b64 v208, v[172:173], v[174:175] offset1:1
	s_waitcnt lgkmcnt(0)
	s_barrier
	ds_read2_b64 v[208:211], v220 offset0:18 offset1:19
	s_cmp_lt_i32 s20, 11
	v_mov_b32_e32 v218, 9
	s_cbranch_scc1 .LBB102_191
; %bb.189:
	v_add_u32_e32 v219, 0xa0, v220
	s_mov_b32 s16, 10
	v_mov_b32_e32 v218, 9
.LBB102_190:                            ; =>This Inner Loop Header: Depth=1
	ds_read2_b64 v[224:227], v219 offset1:1
	s_waitcnt lgkmcnt(1)
	v_xor_b32_e32 v229, 0x80000000, v209
	v_xor_b32_e32 v231, 0x80000000, v211
	v_cmp_gt_f64_e32 vcc, 0, v[210:211]
	v_cmp_gt_f64_e64 s[0:1], 0, v[208:209]
	v_mov_b32_e32 v228, v208
	v_mov_b32_e32 v230, v210
	v_cndmask_b32_e64 v229, v209, v229, s[0:1]
	v_cndmask_b32_e32 v231, v211, v231, vcc
	v_add_f64 v[228:229], v[228:229], v[230:231]
	s_waitcnt lgkmcnt(0)
	v_xor_b32_e32 v231, 0x80000000, v225
	v_xor_b32_e32 v233, 0x80000000, v227
	v_cmp_gt_f64_e32 vcc, 0, v[226:227]
	v_cmp_gt_f64_e64 s[0:1], 0, v[224:225]
	v_mov_b32_e32 v230, v224
	v_mov_b32_e32 v232, v226
	v_cndmask_b32_e64 v231, v225, v231, s[0:1]
	v_cndmask_b32_e32 v233, v227, v233, vcc
	v_add_f64 v[230:231], v[230:231], v[232:233]
	v_mov_b32_e32 v234, s16
	s_add_i32 s16, s16, 1
	v_cmp_lt_f64_e32 vcc, v[228:229], v[230:231]
	v_add_u32_e32 v219, 16, v219
	s_cmp_lg_u32 s20, s16
	v_cndmask_b32_e32 v209, v209, v225, vcc
	v_cndmask_b32_e32 v208, v208, v224, vcc
	;; [unrolled: 1-line block ×5, first 2 shown]
	s_cbranch_scc1 .LBB102_190
.LBB102_191:
	s_waitcnt lgkmcnt(0)
	v_cmp_eq_f64_e32 vcc, 0, v[208:209]
	v_cmp_eq_f64_e64 s[0:1], 0, v[210:211]
	s_and_b64 s[0:1], vcc, s[0:1]
	s_and_saveexec_b64 s[16:17], s[0:1]
	s_xor_b64 s[0:1], exec, s[16:17]
; %bb.192:
	v_cmp_ne_u32_e32 vcc, 0, v222
	s_nop 1
	v_cndmask_b32_e32 v222, 10, v222, vcc
; %bb.193:
	s_andn2_saveexec_b64 s[0:1], s[0:1]
	s_cbranch_execz .LBB102_199
; %bb.194:
	v_cmp_ngt_f64_e64 s[16:17], |v[208:209]|, |v[210:211]|
	s_and_saveexec_b64 s[18:19], s[16:17]
	s_xor_b64 s[16:17], exec, s[18:19]
	s_cbranch_execz .LBB102_196
; %bb.195:
	v_div_scale_f64 v[224:225], s[18:19], v[210:211], v[210:211], v[208:209]
	v_rcp_f64_e32 v[226:227], v[224:225]
	v_div_scale_f64 v[228:229], vcc, v[208:209], v[210:211], v[208:209]
	v_fma_f64 v[230:231], -v[224:225], v[226:227], 1.0
	v_fmac_f64_e32 v[226:227], v[226:227], v[230:231]
	v_fma_f64 v[230:231], -v[224:225], v[226:227], 1.0
	v_fmac_f64_e32 v[226:227], v[226:227], v[230:231]
	v_mul_f64 v[230:231], v[228:229], v[226:227]
	v_fma_f64 v[224:225], -v[224:225], v[230:231], v[228:229]
	v_div_fmas_f64 v[224:225], v[224:225], v[226:227], v[230:231]
	v_div_fixup_f64 v[224:225], v[224:225], v[210:211], v[208:209]
	v_fmac_f64_e32 v[210:211], v[208:209], v[224:225]
	v_div_scale_f64 v[208:209], s[18:19], v[210:211], v[210:211], 1.0
	v_rcp_f64_e32 v[226:227], v[208:209]
	s_nop 0
	v_fma_f64 v[228:229], -v[208:209], v[226:227], 1.0
	v_fmac_f64_e32 v[226:227], v[226:227], v[228:229]
	v_fma_f64 v[228:229], -v[208:209], v[226:227], 1.0
	v_fmac_f64_e32 v[226:227], v[226:227], v[228:229]
	v_div_scale_f64 v[228:229], vcc, 1.0, v[210:211], 1.0
	v_mul_f64 v[230:231], v[228:229], v[226:227]
	v_fma_f64 v[208:209], -v[208:209], v[230:231], v[228:229]
	s_nop 1
	v_div_fmas_f64 v[208:209], v[208:209], v[226:227], v[230:231]
	v_div_fixup_f64 v[210:211], v[208:209], v[210:211], 1.0
	v_mul_f64 v[208:209], v[224:225], v[210:211]
	v_xor_b32_e32 v211, 0x80000000, v211
.LBB102_196:
	s_andn2_saveexec_b64 s[16:17], s[16:17]
	s_cbranch_execz .LBB102_198
; %bb.197:
	v_div_scale_f64 v[224:225], s[18:19], v[208:209], v[208:209], v[210:211]
	v_rcp_f64_e32 v[226:227], v[224:225]
	v_div_scale_f64 v[228:229], vcc, v[210:211], v[208:209], v[210:211]
	v_fma_f64 v[230:231], -v[224:225], v[226:227], 1.0
	v_fmac_f64_e32 v[226:227], v[226:227], v[230:231]
	v_fma_f64 v[230:231], -v[224:225], v[226:227], 1.0
	v_fmac_f64_e32 v[226:227], v[226:227], v[230:231]
	v_mul_f64 v[230:231], v[228:229], v[226:227]
	v_fma_f64 v[224:225], -v[224:225], v[230:231], v[228:229]
	v_div_fmas_f64 v[224:225], v[224:225], v[226:227], v[230:231]
	v_div_fixup_f64 v[224:225], v[224:225], v[208:209], v[210:211]
	v_fmac_f64_e32 v[208:209], v[210:211], v[224:225]
	v_div_scale_f64 v[210:211], s[18:19], v[208:209], v[208:209], 1.0
	v_rcp_f64_e32 v[226:227], v[210:211]
	s_nop 0
	v_fma_f64 v[228:229], -v[210:211], v[226:227], 1.0
	v_fmac_f64_e32 v[226:227], v[226:227], v[228:229]
	v_fma_f64 v[228:229], -v[210:211], v[226:227], 1.0
	v_fmac_f64_e32 v[226:227], v[226:227], v[228:229]
	v_div_scale_f64 v[228:229], vcc, 1.0, v[208:209], 1.0
	v_mul_f64 v[230:231], v[228:229], v[226:227]
	v_fma_f64 v[210:211], -v[210:211], v[230:231], v[228:229]
	s_nop 1
	v_div_fmas_f64 v[210:211], v[210:211], v[226:227], v[230:231]
	v_div_fixup_f64 v[208:209], v[210:211], v[208:209], 1.0
	v_mul_f64 v[210:211], v[224:225], -v[208:209]
.LBB102_198:
	s_or_b64 exec, exec, s[16:17]
.LBB102_199:
	s_or_b64 exec, exec, s[0:1]
	v_cmp_ne_u32_e32 vcc, v221, v218
	s_and_saveexec_b64 s[0:1], vcc
	s_xor_b64 s[0:1], exec, s[0:1]
	s_cbranch_execz .LBB102_205
; %bb.200:
	v_cmp_eq_u32_e32 vcc, 9, v221
	s_and_saveexec_b64 s[16:17], vcc
	s_cbranch_execz .LBB102_204
; %bb.201:
	v_cmp_ne_u32_e32 vcc, 9, v218
	s_xor_b64 s[18:19], s[14:15], -1
	s_and_b64 s[22:23], s[18:19], vcc
	s_and_saveexec_b64 s[18:19], s[22:23]
	s_cbranch_execz .LBB102_203
; %bb.202:
	v_ashrrev_i32_e32 v219, 31, v218
	v_lshl_add_u64 v[224:225], v[218:219], 2, v[216:217]
	global_load_dword v219, v[224:225], off
	global_load_dword v221, v[216:217], off offset:36
	s_waitcnt vmcnt(1)
	global_store_dword v[216:217], v219, off offset:36
	s_waitcnt vmcnt(1)
	global_store_dword v[224:225], v221, off
.LBB102_203:
	s_or_b64 exec, exec, s[18:19]
	v_mov_b32_e32 v221, v218
	v_mov_b32_e32 v223, v218
.LBB102_204:
	s_or_b64 exec, exec, s[16:17]
.LBB102_205:
	s_andn2_saveexec_b64 s[0:1], s[0:1]
	s_cbranch_execz .LBB102_207
; %bb.206:
	v_mov_b32_e32 v221, 9
	s_waitcnt vmcnt(41)
	ds_write2_b64 v220, v[168:169], v[170:171] offset0:20 offset1:21
	s_waitcnt vmcnt(40)
	ds_write2_b64 v220, v[164:165], v[166:167] offset0:22 offset1:23
	s_waitcnt vmcnt(39)
	ds_write2_b64 v220, v[160:161], v[162:163] offset0:24 offset1:25
	s_waitcnt vmcnt(38)
	ds_write2_b64 v220, v[156:157], v[158:159] offset0:26 offset1:27
	s_waitcnt vmcnt(37)
	ds_write2_b64 v220, v[152:153], v[154:155] offset0:28 offset1:29
	s_waitcnt vmcnt(36)
	ds_write2_b64 v220, v[148:149], v[150:151] offset0:30 offset1:31
	s_waitcnt vmcnt(35)
	ds_write2_b64 v220, v[144:145], v[146:147] offset0:32 offset1:33
	s_waitcnt vmcnt(34)
	ds_write2_b64 v220, v[132:133], v[134:135] offset0:34 offset1:35
	s_waitcnt vmcnt(33)
	ds_write2_b64 v220, v[128:129], v[130:131] offset0:36 offset1:37
	s_waitcnt vmcnt(32)
	ds_write2_b64 v220, v[124:125], v[126:127] offset0:38 offset1:39
	s_waitcnt vmcnt(31)
	ds_write2_b64 v220, v[120:121], v[122:123] offset0:40 offset1:41
	s_waitcnt vmcnt(30)
	ds_write2_b64 v220, v[116:117], v[118:119] offset0:42 offset1:43
	s_waitcnt vmcnt(29)
	ds_write2_b64 v220, v[112:113], v[114:115] offset0:44 offset1:45
	s_waitcnt vmcnt(28)
	ds_write2_b64 v220, v[108:109], v[110:111] offset0:46 offset1:47
	s_waitcnt vmcnt(27)
	ds_write2_b64 v220, v[104:105], v[106:107] offset0:48 offset1:49
	s_waitcnt vmcnt(26)
	ds_write2_b64 v220, v[100:101], v[102:103] offset0:50 offset1:51
	s_waitcnt vmcnt(25)
	ds_write2_b64 v220, v[96:97], v[98:99] offset0:52 offset1:53
	s_waitcnt vmcnt(24)
	ds_write2_b64 v220, v[92:93], v[94:95] offset0:54 offset1:55
	s_waitcnt vmcnt(23)
	ds_write2_b64 v220, v[88:89], v[90:91] offset0:56 offset1:57
	s_waitcnt vmcnt(22)
	ds_write2_b64 v220, v[84:85], v[86:87] offset0:58 offset1:59
	s_waitcnt vmcnt(21)
	ds_write2_b64 v220, v[80:81], v[82:83] offset0:60 offset1:61
	s_waitcnt vmcnt(20)
	ds_write2_b64 v220, v[76:77], v[78:79] offset0:62 offset1:63
	s_waitcnt vmcnt(19)
	ds_write2_b64 v220, v[72:73], v[74:75] offset0:64 offset1:65
	s_waitcnt vmcnt(18)
	ds_write2_b64 v220, v[68:69], v[70:71] offset0:66 offset1:67
	s_waitcnt vmcnt(17)
	ds_write2_b64 v220, v[64:65], v[66:67] offset0:68 offset1:69
	s_waitcnt vmcnt(16)
	ds_write2_b64 v220, v[60:61], v[62:63] offset0:70 offset1:71
	s_waitcnt vmcnt(15)
	ds_write2_b64 v220, v[56:57], v[58:59] offset0:72 offset1:73
	s_waitcnt vmcnt(14)
	ds_write2_b64 v220, v[52:53], v[54:55] offset0:74 offset1:75
	s_waitcnt vmcnt(13)
	ds_write2_b64 v220, v[48:49], v[50:51] offset0:76 offset1:77
	s_waitcnt vmcnt(12)
	ds_write2_b64 v220, v[44:45], v[46:47] offset0:78 offset1:79
	s_waitcnt vmcnt(11)
	ds_write2_b64 v220, v[40:41], v[42:43] offset0:80 offset1:81
	s_waitcnt vmcnt(10)
	ds_write2_b64 v220, v[36:37], v[38:39] offset0:82 offset1:83
	s_waitcnt vmcnt(9)
	ds_write2_b64 v220, v[32:33], v[34:35] offset0:84 offset1:85
	s_waitcnt vmcnt(8)
	ds_write2_b64 v220, v[28:29], v[30:31] offset0:86 offset1:87
	s_waitcnt vmcnt(7)
	ds_write2_b64 v220, v[24:25], v[26:27] offset0:88 offset1:89
	s_waitcnt vmcnt(6)
	ds_write2_b64 v220, v[20:21], v[22:23] offset0:90 offset1:91
	s_waitcnt vmcnt(5)
	ds_write2_b64 v220, v[16:17], v[18:19] offset0:92 offset1:93
	s_waitcnt vmcnt(4)
	ds_write2_b64 v220, v[12:13], v[14:15] offset0:94 offset1:95
	s_waitcnt vmcnt(3)
	ds_write2_b64 v220, v[8:9], v[10:11] offset0:96 offset1:97
	s_waitcnt vmcnt(2)
	ds_write2_b64 v220, v[4:5], v[6:7] offset0:98 offset1:99
	s_waitcnt vmcnt(1)
	ds_write2_b64 v220, v[0:1], v[2:3] offset0:100 offset1:101
	s_waitcnt vmcnt(0)
	ds_write2_b64 v220, v[204:205], v[206:207] offset0:102 offset1:103
.LBB102_207:
	s_or_b64 exec, exec, s[0:1]
	v_cmp_lt_i32_e32 vcc, 9, v221
	s_waitcnt lgkmcnt(0)
	s_barrier
	s_and_saveexec_b64 s[0:1], vcc
	s_cbranch_execz .LBB102_209
; %bb.208:
	ds_read2_b64 v[224:227], v220 offset0:20 offset1:21
	v_mul_f64 v[218:219], v[210:211], v[174:175]
	v_mul_f64 v[174:175], v[208:209], v[174:175]
	v_fma_f64 v[218:219], v[208:209], v[172:173], -v[218:219]
	v_fmac_f64_e32 v[174:175], v[210:211], v[172:173]
	ds_read2_b64 v[208:211], v220 offset0:22 offset1:23
	s_waitcnt lgkmcnt(1)
	v_mul_f64 v[172:173], v[226:227], v[174:175]
	v_fma_f64 v[172:173], v[224:225], v[218:219], -v[172:173]
	v_mul_f64 v[224:225], v[224:225], v[174:175]
	v_fmac_f64_e32 v[224:225], v[226:227], v[218:219]
	s_waitcnt vmcnt(41)
	v_add_f64 v[168:169], v[168:169], -v[172:173]
	s_waitcnt lgkmcnt(0)
	v_mul_f64 v[172:173], v[210:211], v[174:175]
	v_add_f64 v[170:171], v[170:171], -v[224:225]
	v_fma_f64 v[172:173], v[208:209], v[218:219], -v[172:173]
	v_mul_f64 v[208:209], v[208:209], v[174:175]
	ds_read2_b64 v[224:227], v220 offset0:24 offset1:25
	v_fmac_f64_e32 v[208:209], v[210:211], v[218:219]
	s_waitcnt vmcnt(40)
	v_add_f64 v[166:167], v[166:167], -v[208:209]
	ds_read2_b64 v[208:211], v220 offset0:26 offset1:27
	v_add_f64 v[164:165], v[164:165], -v[172:173]
	s_waitcnt lgkmcnt(1)
	v_mul_f64 v[172:173], v[226:227], v[174:175]
	v_fma_f64 v[172:173], v[224:225], v[218:219], -v[172:173]
	v_mul_f64 v[224:225], v[224:225], v[174:175]
	v_fmac_f64_e32 v[224:225], v[226:227], v[218:219]
	s_waitcnt vmcnt(39)
	v_add_f64 v[160:161], v[160:161], -v[172:173]
	s_waitcnt lgkmcnt(0)
	v_mul_f64 v[172:173], v[210:211], v[174:175]
	v_add_f64 v[162:163], v[162:163], -v[224:225]
	v_fma_f64 v[172:173], v[208:209], v[218:219], -v[172:173]
	v_mul_f64 v[208:209], v[208:209], v[174:175]
	ds_read2_b64 v[224:227], v220 offset0:28 offset1:29
	v_fmac_f64_e32 v[208:209], v[210:211], v[218:219]
	s_waitcnt vmcnt(38)
	v_add_f64 v[158:159], v[158:159], -v[208:209]
	ds_read2_b64 v[208:211], v220 offset0:30 offset1:31
	v_add_f64 v[156:157], v[156:157], -v[172:173]
	;; [unrolled: 18-line block ×20, first 2 shown]
	s_waitcnt lgkmcnt(1)
	v_mul_f64 v[172:173], v[226:227], v[174:175]
	v_fma_f64 v[172:173], v[224:225], v[218:219], -v[172:173]
	s_waitcnt vmcnt(1)
	v_add_f64 v[0:1], v[0:1], -v[172:173]
	s_waitcnt lgkmcnt(0)
	v_mul_f64 v[172:173], v[210:211], v[174:175]
	v_mul_f64 v[224:225], v[224:225], v[174:175]
	v_fma_f64 v[172:173], v[208:209], v[218:219], -v[172:173]
	v_mul_f64 v[208:209], v[208:209], v[174:175]
	v_fmac_f64_e32 v[224:225], v[226:227], v[218:219]
	v_fmac_f64_e32 v[208:209], v[210:211], v[218:219]
	v_add_f64 v[2:3], v[2:3], -v[224:225]
	s_waitcnt vmcnt(0)
	v_add_f64 v[204:205], v[204:205], -v[172:173]
	v_add_f64 v[206:207], v[206:207], -v[208:209]
	v_mov_b64_e32 v[172:173], v[218:219]
.LBB102_209:
	s_or_b64 exec, exec, s[0:1]
	v_lshl_add_u32 v208, v221, 4, v220
	s_barrier
	s_waitcnt vmcnt(41)
	ds_write2_b64 v208, v[168:169], v[170:171] offset1:1
	s_waitcnt lgkmcnt(0)
	s_barrier
	ds_read2_b64 v[208:211], v220 offset0:20 offset1:21
	s_cmp_lt_i32 s20, 12
	v_mov_b32_e32 v218, 10
	s_cbranch_scc1 .LBB102_212
; %bb.210:
	v_add_u32_e32 v219, 0xb0, v220
	s_mov_b32 s16, 11
	v_mov_b32_e32 v218, 10
.LBB102_211:                            ; =>This Inner Loop Header: Depth=1
	ds_read2_b64 v[224:227], v219 offset1:1
	s_waitcnt lgkmcnt(1)
	v_xor_b32_e32 v229, 0x80000000, v209
	v_xor_b32_e32 v231, 0x80000000, v211
	v_cmp_gt_f64_e32 vcc, 0, v[210:211]
	v_cmp_gt_f64_e64 s[0:1], 0, v[208:209]
	v_mov_b32_e32 v228, v208
	v_mov_b32_e32 v230, v210
	v_cndmask_b32_e64 v229, v209, v229, s[0:1]
	v_cndmask_b32_e32 v231, v211, v231, vcc
	v_add_f64 v[228:229], v[228:229], v[230:231]
	s_waitcnt lgkmcnt(0)
	v_xor_b32_e32 v231, 0x80000000, v225
	v_xor_b32_e32 v233, 0x80000000, v227
	v_cmp_gt_f64_e32 vcc, 0, v[226:227]
	v_cmp_gt_f64_e64 s[0:1], 0, v[224:225]
	v_mov_b32_e32 v230, v224
	v_mov_b32_e32 v232, v226
	v_cndmask_b32_e64 v231, v225, v231, s[0:1]
	v_cndmask_b32_e32 v233, v227, v233, vcc
	v_add_f64 v[230:231], v[230:231], v[232:233]
	v_mov_b32_e32 v234, s16
	s_add_i32 s16, s16, 1
	v_cmp_lt_f64_e32 vcc, v[228:229], v[230:231]
	v_add_u32_e32 v219, 16, v219
	s_cmp_lg_u32 s20, s16
	v_cndmask_b32_e32 v209, v209, v225, vcc
	v_cndmask_b32_e32 v208, v208, v224, vcc
	;; [unrolled: 1-line block ×5, first 2 shown]
	s_cbranch_scc1 .LBB102_211
.LBB102_212:
	s_waitcnt lgkmcnt(0)
	v_cmp_eq_f64_e32 vcc, 0, v[208:209]
	v_cmp_eq_f64_e64 s[0:1], 0, v[210:211]
	s_and_b64 s[0:1], vcc, s[0:1]
	s_and_saveexec_b64 s[16:17], s[0:1]
	s_xor_b64 s[0:1], exec, s[16:17]
; %bb.213:
	v_cmp_ne_u32_e32 vcc, 0, v222
	s_nop 1
	v_cndmask_b32_e32 v222, 11, v222, vcc
; %bb.214:
	s_andn2_saveexec_b64 s[0:1], s[0:1]
	s_cbranch_execz .LBB102_220
; %bb.215:
	v_cmp_ngt_f64_e64 s[16:17], |v[208:209]|, |v[210:211]|
	s_and_saveexec_b64 s[18:19], s[16:17]
	s_xor_b64 s[16:17], exec, s[18:19]
	s_cbranch_execz .LBB102_217
; %bb.216:
	v_div_scale_f64 v[224:225], s[18:19], v[210:211], v[210:211], v[208:209]
	v_rcp_f64_e32 v[226:227], v[224:225]
	v_div_scale_f64 v[228:229], vcc, v[208:209], v[210:211], v[208:209]
	v_fma_f64 v[230:231], -v[224:225], v[226:227], 1.0
	v_fmac_f64_e32 v[226:227], v[226:227], v[230:231]
	v_fma_f64 v[230:231], -v[224:225], v[226:227], 1.0
	v_fmac_f64_e32 v[226:227], v[226:227], v[230:231]
	v_mul_f64 v[230:231], v[228:229], v[226:227]
	v_fma_f64 v[224:225], -v[224:225], v[230:231], v[228:229]
	v_div_fmas_f64 v[224:225], v[224:225], v[226:227], v[230:231]
	v_div_fixup_f64 v[224:225], v[224:225], v[210:211], v[208:209]
	v_fmac_f64_e32 v[210:211], v[208:209], v[224:225]
	v_div_scale_f64 v[208:209], s[18:19], v[210:211], v[210:211], 1.0
	v_rcp_f64_e32 v[226:227], v[208:209]
	s_nop 0
	v_fma_f64 v[228:229], -v[208:209], v[226:227], 1.0
	v_fmac_f64_e32 v[226:227], v[226:227], v[228:229]
	v_fma_f64 v[228:229], -v[208:209], v[226:227], 1.0
	v_fmac_f64_e32 v[226:227], v[226:227], v[228:229]
	v_div_scale_f64 v[228:229], vcc, 1.0, v[210:211], 1.0
	v_mul_f64 v[230:231], v[228:229], v[226:227]
	v_fma_f64 v[208:209], -v[208:209], v[230:231], v[228:229]
	s_nop 1
	v_div_fmas_f64 v[208:209], v[208:209], v[226:227], v[230:231]
	v_div_fixup_f64 v[210:211], v[208:209], v[210:211], 1.0
	v_mul_f64 v[208:209], v[224:225], v[210:211]
	v_xor_b32_e32 v211, 0x80000000, v211
.LBB102_217:
	s_andn2_saveexec_b64 s[16:17], s[16:17]
	s_cbranch_execz .LBB102_219
; %bb.218:
	v_div_scale_f64 v[224:225], s[18:19], v[208:209], v[208:209], v[210:211]
	v_rcp_f64_e32 v[226:227], v[224:225]
	v_div_scale_f64 v[228:229], vcc, v[210:211], v[208:209], v[210:211]
	v_fma_f64 v[230:231], -v[224:225], v[226:227], 1.0
	v_fmac_f64_e32 v[226:227], v[226:227], v[230:231]
	v_fma_f64 v[230:231], -v[224:225], v[226:227], 1.0
	v_fmac_f64_e32 v[226:227], v[226:227], v[230:231]
	v_mul_f64 v[230:231], v[228:229], v[226:227]
	v_fma_f64 v[224:225], -v[224:225], v[230:231], v[228:229]
	v_div_fmas_f64 v[224:225], v[224:225], v[226:227], v[230:231]
	v_div_fixup_f64 v[224:225], v[224:225], v[208:209], v[210:211]
	v_fmac_f64_e32 v[208:209], v[210:211], v[224:225]
	v_div_scale_f64 v[210:211], s[18:19], v[208:209], v[208:209], 1.0
	v_rcp_f64_e32 v[226:227], v[210:211]
	s_nop 0
	v_fma_f64 v[228:229], -v[210:211], v[226:227], 1.0
	v_fmac_f64_e32 v[226:227], v[226:227], v[228:229]
	v_fma_f64 v[228:229], -v[210:211], v[226:227], 1.0
	v_fmac_f64_e32 v[226:227], v[226:227], v[228:229]
	v_div_scale_f64 v[228:229], vcc, 1.0, v[208:209], 1.0
	v_mul_f64 v[230:231], v[228:229], v[226:227]
	v_fma_f64 v[210:211], -v[210:211], v[230:231], v[228:229]
	s_nop 1
	v_div_fmas_f64 v[210:211], v[210:211], v[226:227], v[230:231]
	v_div_fixup_f64 v[208:209], v[210:211], v[208:209], 1.0
	v_mul_f64 v[210:211], v[224:225], -v[208:209]
.LBB102_219:
	s_or_b64 exec, exec, s[16:17]
.LBB102_220:
	s_or_b64 exec, exec, s[0:1]
	v_cmp_ne_u32_e32 vcc, v221, v218
	s_and_saveexec_b64 s[0:1], vcc
	s_xor_b64 s[0:1], exec, s[0:1]
	s_cbranch_execz .LBB102_226
; %bb.221:
	v_cmp_eq_u32_e32 vcc, 10, v221
	s_and_saveexec_b64 s[16:17], vcc
	s_cbranch_execz .LBB102_225
; %bb.222:
	v_cmp_ne_u32_e32 vcc, 10, v218
	s_xor_b64 s[18:19], s[14:15], -1
	s_and_b64 s[22:23], s[18:19], vcc
	s_and_saveexec_b64 s[18:19], s[22:23]
	s_cbranch_execz .LBB102_224
; %bb.223:
	v_ashrrev_i32_e32 v219, 31, v218
	v_lshl_add_u64 v[224:225], v[218:219], 2, v[216:217]
	global_load_dword v219, v[224:225], off
	global_load_dword v221, v[216:217], off offset:40
	s_waitcnt vmcnt(1)
	global_store_dword v[216:217], v219, off offset:40
	s_waitcnt vmcnt(1)
	global_store_dword v[224:225], v221, off
.LBB102_224:
	s_or_b64 exec, exec, s[18:19]
	v_mov_b32_e32 v221, v218
	v_mov_b32_e32 v223, v218
.LBB102_225:
	s_or_b64 exec, exec, s[16:17]
.LBB102_226:
	s_andn2_saveexec_b64 s[0:1], s[0:1]
	s_cbranch_execz .LBB102_228
; %bb.227:
	v_mov_b32_e32 v221, 10
	s_waitcnt vmcnt(40)
	ds_write2_b64 v220, v[164:165], v[166:167] offset0:22 offset1:23
	s_waitcnt vmcnt(39)
	ds_write2_b64 v220, v[160:161], v[162:163] offset0:24 offset1:25
	;; [unrolled: 2-line block ×41, first 2 shown]
.LBB102_228:
	s_or_b64 exec, exec, s[0:1]
	v_cmp_lt_i32_e32 vcc, 10, v221
	s_waitcnt lgkmcnt(0)
	s_barrier
	s_and_saveexec_b64 s[0:1], vcc
	s_cbranch_execz .LBB102_230
; %bb.229:
	ds_read2_b64 v[224:227], v220 offset0:22 offset1:23
	v_mul_f64 v[218:219], v[210:211], v[170:171]
	v_mul_f64 v[170:171], v[208:209], v[170:171]
	v_fmac_f64_e32 v[170:171], v[210:211], v[168:169]
	v_fma_f64 v[218:219], v[208:209], v[168:169], -v[218:219]
	ds_read2_b64 v[208:211], v220 offset0:24 offset1:25
	s_waitcnt lgkmcnt(1)
	v_mul_f64 v[168:169], v[226:227], v[170:171]
	v_fma_f64 v[168:169], v[224:225], v[218:219], -v[168:169]
	v_mul_f64 v[224:225], v[224:225], v[170:171]
	v_fmac_f64_e32 v[224:225], v[226:227], v[218:219]
	s_waitcnt vmcnt(40)
	v_add_f64 v[166:167], v[166:167], -v[224:225]
	ds_read2_b64 v[224:227], v220 offset0:26 offset1:27
	v_add_f64 v[164:165], v[164:165], -v[168:169]
	s_waitcnt lgkmcnt(1)
	v_mul_f64 v[168:169], v[210:211], v[170:171]
	v_fma_f64 v[168:169], v[208:209], v[218:219], -v[168:169]
	v_mul_f64 v[208:209], v[208:209], v[170:171]
	v_fmac_f64_e32 v[208:209], v[210:211], v[218:219]
	s_waitcnt vmcnt(39)
	v_add_f64 v[160:161], v[160:161], -v[168:169]
	v_add_f64 v[162:163], v[162:163], -v[208:209]
	ds_read2_b64 v[208:211], v220 offset0:28 offset1:29
	s_waitcnt lgkmcnt(1)
	v_mul_f64 v[168:169], v[226:227], v[170:171]
	v_fma_f64 v[168:169], v[224:225], v[218:219], -v[168:169]
	v_mul_f64 v[224:225], v[224:225], v[170:171]
	v_fmac_f64_e32 v[224:225], v[226:227], v[218:219]
	s_waitcnt vmcnt(38)
	v_add_f64 v[158:159], v[158:159], -v[224:225]
	ds_read2_b64 v[224:227], v220 offset0:30 offset1:31
	v_add_f64 v[156:157], v[156:157], -v[168:169]
	s_waitcnt lgkmcnt(1)
	v_mul_f64 v[168:169], v[210:211], v[170:171]
	v_fma_f64 v[168:169], v[208:209], v[218:219], -v[168:169]
	v_mul_f64 v[208:209], v[208:209], v[170:171]
	v_fmac_f64_e32 v[208:209], v[210:211], v[218:219]
	s_waitcnt vmcnt(37)
	v_add_f64 v[152:153], v[152:153], -v[168:169]
	v_add_f64 v[154:155], v[154:155], -v[208:209]
	;; [unrolled: 18-line block ×20, first 2 shown]
	s_waitcnt lgkmcnt(0)
	v_mul_f64 v[168:169], v[226:227], v[170:171]
	v_mul_f64 v[208:209], v[224:225], v[170:171]
	v_fma_f64 v[168:169], v[224:225], v[218:219], -v[168:169]
	v_fmac_f64_e32 v[208:209], v[226:227], v[218:219]
	s_waitcnt vmcnt(0)
	v_add_f64 v[204:205], v[204:205], -v[168:169]
	v_add_f64 v[206:207], v[206:207], -v[208:209]
	v_mov_b64_e32 v[168:169], v[218:219]
.LBB102_230:
	s_or_b64 exec, exec, s[0:1]
	v_lshl_add_u32 v208, v221, 4, v220
	s_barrier
	s_waitcnt vmcnt(40)
	ds_write2_b64 v208, v[164:165], v[166:167] offset1:1
	s_waitcnt lgkmcnt(0)
	s_barrier
	ds_read2_b64 v[208:211], v220 offset0:22 offset1:23
	s_cmp_lt_i32 s20, 13
	v_mov_b32_e32 v218, 11
	s_cbranch_scc1 .LBB102_233
; %bb.231:
	v_add_u32_e32 v219, 0xc0, v220
	s_mov_b32 s16, 12
	v_mov_b32_e32 v218, 11
.LBB102_232:                            ; =>This Inner Loop Header: Depth=1
	ds_read2_b64 v[224:227], v219 offset1:1
	s_waitcnt lgkmcnt(1)
	v_xor_b32_e32 v229, 0x80000000, v209
	v_xor_b32_e32 v231, 0x80000000, v211
	v_cmp_gt_f64_e32 vcc, 0, v[210:211]
	v_cmp_gt_f64_e64 s[0:1], 0, v[208:209]
	v_mov_b32_e32 v228, v208
	v_mov_b32_e32 v230, v210
	v_cndmask_b32_e64 v229, v209, v229, s[0:1]
	v_cndmask_b32_e32 v231, v211, v231, vcc
	v_add_f64 v[228:229], v[228:229], v[230:231]
	s_waitcnt lgkmcnt(0)
	v_xor_b32_e32 v231, 0x80000000, v225
	v_xor_b32_e32 v233, 0x80000000, v227
	v_cmp_gt_f64_e32 vcc, 0, v[226:227]
	v_cmp_gt_f64_e64 s[0:1], 0, v[224:225]
	v_mov_b32_e32 v230, v224
	v_mov_b32_e32 v232, v226
	v_cndmask_b32_e64 v231, v225, v231, s[0:1]
	v_cndmask_b32_e32 v233, v227, v233, vcc
	v_add_f64 v[230:231], v[230:231], v[232:233]
	v_mov_b32_e32 v234, s16
	s_add_i32 s16, s16, 1
	v_cmp_lt_f64_e32 vcc, v[228:229], v[230:231]
	v_add_u32_e32 v219, 16, v219
	s_cmp_lg_u32 s20, s16
	v_cndmask_b32_e32 v209, v209, v225, vcc
	v_cndmask_b32_e32 v208, v208, v224, vcc
	;; [unrolled: 1-line block ×5, first 2 shown]
	s_cbranch_scc1 .LBB102_232
.LBB102_233:
	s_waitcnt lgkmcnt(0)
	v_cmp_eq_f64_e32 vcc, 0, v[208:209]
	v_cmp_eq_f64_e64 s[0:1], 0, v[210:211]
	s_and_b64 s[0:1], vcc, s[0:1]
	s_and_saveexec_b64 s[16:17], s[0:1]
	s_xor_b64 s[0:1], exec, s[16:17]
; %bb.234:
	v_cmp_ne_u32_e32 vcc, 0, v222
	s_nop 1
	v_cndmask_b32_e32 v222, 12, v222, vcc
; %bb.235:
	s_andn2_saveexec_b64 s[0:1], s[0:1]
	s_cbranch_execz .LBB102_241
; %bb.236:
	v_cmp_ngt_f64_e64 s[16:17], |v[208:209]|, |v[210:211]|
	s_and_saveexec_b64 s[18:19], s[16:17]
	s_xor_b64 s[16:17], exec, s[18:19]
	s_cbranch_execz .LBB102_238
; %bb.237:
	v_div_scale_f64 v[224:225], s[18:19], v[210:211], v[210:211], v[208:209]
	v_rcp_f64_e32 v[226:227], v[224:225]
	v_div_scale_f64 v[228:229], vcc, v[208:209], v[210:211], v[208:209]
	v_fma_f64 v[230:231], -v[224:225], v[226:227], 1.0
	v_fmac_f64_e32 v[226:227], v[226:227], v[230:231]
	v_fma_f64 v[230:231], -v[224:225], v[226:227], 1.0
	v_fmac_f64_e32 v[226:227], v[226:227], v[230:231]
	v_mul_f64 v[230:231], v[228:229], v[226:227]
	v_fma_f64 v[224:225], -v[224:225], v[230:231], v[228:229]
	v_div_fmas_f64 v[224:225], v[224:225], v[226:227], v[230:231]
	v_div_fixup_f64 v[224:225], v[224:225], v[210:211], v[208:209]
	v_fmac_f64_e32 v[210:211], v[208:209], v[224:225]
	v_div_scale_f64 v[208:209], s[18:19], v[210:211], v[210:211], 1.0
	v_rcp_f64_e32 v[226:227], v[208:209]
	s_nop 0
	v_fma_f64 v[228:229], -v[208:209], v[226:227], 1.0
	v_fmac_f64_e32 v[226:227], v[226:227], v[228:229]
	v_fma_f64 v[228:229], -v[208:209], v[226:227], 1.0
	v_fmac_f64_e32 v[226:227], v[226:227], v[228:229]
	v_div_scale_f64 v[228:229], vcc, 1.0, v[210:211], 1.0
	v_mul_f64 v[230:231], v[228:229], v[226:227]
	v_fma_f64 v[208:209], -v[208:209], v[230:231], v[228:229]
	s_nop 1
	v_div_fmas_f64 v[208:209], v[208:209], v[226:227], v[230:231]
	v_div_fixup_f64 v[210:211], v[208:209], v[210:211], 1.0
	v_mul_f64 v[208:209], v[224:225], v[210:211]
	v_xor_b32_e32 v211, 0x80000000, v211
.LBB102_238:
	s_andn2_saveexec_b64 s[16:17], s[16:17]
	s_cbranch_execz .LBB102_240
; %bb.239:
	v_div_scale_f64 v[224:225], s[18:19], v[208:209], v[208:209], v[210:211]
	v_rcp_f64_e32 v[226:227], v[224:225]
	v_div_scale_f64 v[228:229], vcc, v[210:211], v[208:209], v[210:211]
	v_fma_f64 v[230:231], -v[224:225], v[226:227], 1.0
	v_fmac_f64_e32 v[226:227], v[226:227], v[230:231]
	v_fma_f64 v[230:231], -v[224:225], v[226:227], 1.0
	v_fmac_f64_e32 v[226:227], v[226:227], v[230:231]
	v_mul_f64 v[230:231], v[228:229], v[226:227]
	v_fma_f64 v[224:225], -v[224:225], v[230:231], v[228:229]
	v_div_fmas_f64 v[224:225], v[224:225], v[226:227], v[230:231]
	v_div_fixup_f64 v[224:225], v[224:225], v[208:209], v[210:211]
	v_fmac_f64_e32 v[208:209], v[210:211], v[224:225]
	v_div_scale_f64 v[210:211], s[18:19], v[208:209], v[208:209], 1.0
	v_rcp_f64_e32 v[226:227], v[210:211]
	s_nop 0
	v_fma_f64 v[228:229], -v[210:211], v[226:227], 1.0
	v_fmac_f64_e32 v[226:227], v[226:227], v[228:229]
	v_fma_f64 v[228:229], -v[210:211], v[226:227], 1.0
	v_fmac_f64_e32 v[226:227], v[226:227], v[228:229]
	v_div_scale_f64 v[228:229], vcc, 1.0, v[208:209], 1.0
	v_mul_f64 v[230:231], v[228:229], v[226:227]
	v_fma_f64 v[210:211], -v[210:211], v[230:231], v[228:229]
	s_nop 1
	v_div_fmas_f64 v[210:211], v[210:211], v[226:227], v[230:231]
	v_div_fixup_f64 v[208:209], v[210:211], v[208:209], 1.0
	v_mul_f64 v[210:211], v[224:225], -v[208:209]
.LBB102_240:
	s_or_b64 exec, exec, s[16:17]
.LBB102_241:
	s_or_b64 exec, exec, s[0:1]
	v_cmp_ne_u32_e32 vcc, v221, v218
	s_and_saveexec_b64 s[0:1], vcc
	s_xor_b64 s[0:1], exec, s[0:1]
	s_cbranch_execz .LBB102_247
; %bb.242:
	v_cmp_eq_u32_e32 vcc, 11, v221
	s_and_saveexec_b64 s[16:17], vcc
	s_cbranch_execz .LBB102_246
; %bb.243:
	v_cmp_ne_u32_e32 vcc, 11, v218
	s_xor_b64 s[18:19], s[14:15], -1
	s_and_b64 s[22:23], s[18:19], vcc
	s_and_saveexec_b64 s[18:19], s[22:23]
	s_cbranch_execz .LBB102_245
; %bb.244:
	v_ashrrev_i32_e32 v219, 31, v218
	v_lshl_add_u64 v[224:225], v[218:219], 2, v[216:217]
	global_load_dword v219, v[224:225], off
	global_load_dword v221, v[216:217], off offset:44
	s_waitcnt vmcnt(1)
	global_store_dword v[216:217], v219, off offset:44
	s_waitcnt vmcnt(1)
	global_store_dword v[224:225], v221, off
.LBB102_245:
	s_or_b64 exec, exec, s[18:19]
	v_mov_b32_e32 v221, v218
	v_mov_b32_e32 v223, v218
.LBB102_246:
	s_or_b64 exec, exec, s[16:17]
.LBB102_247:
	s_andn2_saveexec_b64 s[0:1], s[0:1]
	s_cbranch_execz .LBB102_249
; %bb.248:
	v_mov_b32_e32 v221, 11
	s_waitcnt vmcnt(39)
	ds_write2_b64 v220, v[160:161], v[162:163] offset0:24 offset1:25
	s_waitcnt vmcnt(38)
	ds_write2_b64 v220, v[156:157], v[158:159] offset0:26 offset1:27
	;; [unrolled: 2-line block ×40, first 2 shown]
.LBB102_249:
	s_or_b64 exec, exec, s[0:1]
	v_cmp_lt_i32_e32 vcc, 11, v221
	s_waitcnt lgkmcnt(0)
	s_barrier
	s_and_saveexec_b64 s[0:1], vcc
	s_cbranch_execz .LBB102_251
; %bb.250:
	ds_read2_b64 v[224:227], v220 offset0:24 offset1:25
	v_mul_f64 v[218:219], v[210:211], v[166:167]
	v_mul_f64 v[166:167], v[208:209], v[166:167]
	v_fma_f64 v[218:219], v[208:209], v[164:165], -v[218:219]
	v_fmac_f64_e32 v[166:167], v[210:211], v[164:165]
	ds_read2_b64 v[208:211], v220 offset0:26 offset1:27
	s_waitcnt lgkmcnt(1)
	v_mul_f64 v[164:165], v[226:227], v[166:167]
	v_fma_f64 v[164:165], v[224:225], v[218:219], -v[164:165]
	v_mul_f64 v[224:225], v[224:225], v[166:167]
	v_fmac_f64_e32 v[224:225], v[226:227], v[218:219]
	s_waitcnt vmcnt(39)
	v_add_f64 v[160:161], v[160:161], -v[164:165]
	s_waitcnt lgkmcnt(0)
	v_mul_f64 v[164:165], v[210:211], v[166:167]
	v_add_f64 v[162:163], v[162:163], -v[224:225]
	v_fma_f64 v[164:165], v[208:209], v[218:219], -v[164:165]
	v_mul_f64 v[208:209], v[208:209], v[166:167]
	ds_read2_b64 v[224:227], v220 offset0:28 offset1:29
	v_fmac_f64_e32 v[208:209], v[210:211], v[218:219]
	s_waitcnt vmcnt(38)
	v_add_f64 v[158:159], v[158:159], -v[208:209]
	ds_read2_b64 v[208:211], v220 offset0:30 offset1:31
	v_add_f64 v[156:157], v[156:157], -v[164:165]
	s_waitcnt lgkmcnt(1)
	v_mul_f64 v[164:165], v[226:227], v[166:167]
	v_fma_f64 v[164:165], v[224:225], v[218:219], -v[164:165]
	v_mul_f64 v[224:225], v[224:225], v[166:167]
	v_fmac_f64_e32 v[224:225], v[226:227], v[218:219]
	s_waitcnt vmcnt(37)
	v_add_f64 v[152:153], v[152:153], -v[164:165]
	s_waitcnt lgkmcnt(0)
	v_mul_f64 v[164:165], v[210:211], v[166:167]
	v_add_f64 v[154:155], v[154:155], -v[224:225]
	v_fma_f64 v[164:165], v[208:209], v[218:219], -v[164:165]
	v_mul_f64 v[208:209], v[208:209], v[166:167]
	ds_read2_b64 v[224:227], v220 offset0:32 offset1:33
	v_fmac_f64_e32 v[208:209], v[210:211], v[218:219]
	s_waitcnt vmcnt(36)
	v_add_f64 v[150:151], v[150:151], -v[208:209]
	ds_read2_b64 v[208:211], v220 offset0:34 offset1:35
	v_add_f64 v[148:149], v[148:149], -v[164:165]
	s_waitcnt lgkmcnt(1)
	v_mul_f64 v[164:165], v[226:227], v[166:167]
	v_fma_f64 v[164:165], v[224:225], v[218:219], -v[164:165]
	v_mul_f64 v[224:225], v[224:225], v[166:167]
	v_fmac_f64_e32 v[224:225], v[226:227], v[218:219]
	s_waitcnt vmcnt(35)
	v_add_f64 v[144:145], v[144:145], -v[164:165]
	s_waitcnt lgkmcnt(0)
	v_mul_f64 v[164:165], v[210:211], v[166:167]
	v_add_f64 v[146:147], v[146:147], -v[224:225]
	v_fma_f64 v[164:165], v[208:209], v[218:219], -v[164:165]
	v_mul_f64 v[208:209], v[208:209], v[166:167]
	ds_read2_b64 v[224:227], v220 offset0:36 offset1:37
	v_fmac_f64_e32 v[208:209], v[210:211], v[218:219]
	s_waitcnt vmcnt(34)
	v_add_f64 v[134:135], v[134:135], -v[208:209]
	ds_read2_b64 v[208:211], v220 offset0:38 offset1:39
	v_add_f64 v[132:133], v[132:133], -v[164:165]
	s_waitcnt lgkmcnt(1)
	v_mul_f64 v[164:165], v[226:227], v[166:167]
	v_fma_f64 v[164:165], v[224:225], v[218:219], -v[164:165]
	v_mul_f64 v[224:225], v[224:225], v[166:167]
	v_fmac_f64_e32 v[224:225], v[226:227], v[218:219]
	s_waitcnt vmcnt(33)
	v_add_f64 v[128:129], v[128:129], -v[164:165]
	s_waitcnt lgkmcnt(0)
	v_mul_f64 v[164:165], v[210:211], v[166:167]
	v_add_f64 v[130:131], v[130:131], -v[224:225]
	v_fma_f64 v[164:165], v[208:209], v[218:219], -v[164:165]
	v_mul_f64 v[208:209], v[208:209], v[166:167]
	ds_read2_b64 v[224:227], v220 offset0:40 offset1:41
	v_fmac_f64_e32 v[208:209], v[210:211], v[218:219]
	s_waitcnt vmcnt(32)
	v_add_f64 v[126:127], v[126:127], -v[208:209]
	ds_read2_b64 v[208:211], v220 offset0:42 offset1:43
	v_add_f64 v[124:125], v[124:125], -v[164:165]
	s_waitcnt lgkmcnt(1)
	v_mul_f64 v[164:165], v[226:227], v[166:167]
	v_fma_f64 v[164:165], v[224:225], v[218:219], -v[164:165]
	v_mul_f64 v[224:225], v[224:225], v[166:167]
	v_fmac_f64_e32 v[224:225], v[226:227], v[218:219]
	s_waitcnt vmcnt(31)
	v_add_f64 v[120:121], v[120:121], -v[164:165]
	s_waitcnt lgkmcnt(0)
	v_mul_f64 v[164:165], v[210:211], v[166:167]
	v_add_f64 v[122:123], v[122:123], -v[224:225]
	v_fma_f64 v[164:165], v[208:209], v[218:219], -v[164:165]
	v_mul_f64 v[208:209], v[208:209], v[166:167]
	ds_read2_b64 v[224:227], v220 offset0:44 offset1:45
	v_fmac_f64_e32 v[208:209], v[210:211], v[218:219]
	s_waitcnt vmcnt(30)
	v_add_f64 v[118:119], v[118:119], -v[208:209]
	ds_read2_b64 v[208:211], v220 offset0:46 offset1:47
	v_add_f64 v[116:117], v[116:117], -v[164:165]
	s_waitcnt lgkmcnt(1)
	v_mul_f64 v[164:165], v[226:227], v[166:167]
	v_fma_f64 v[164:165], v[224:225], v[218:219], -v[164:165]
	v_mul_f64 v[224:225], v[224:225], v[166:167]
	v_fmac_f64_e32 v[224:225], v[226:227], v[218:219]
	s_waitcnt vmcnt(29)
	v_add_f64 v[112:113], v[112:113], -v[164:165]
	s_waitcnt lgkmcnt(0)
	v_mul_f64 v[164:165], v[210:211], v[166:167]
	v_add_f64 v[114:115], v[114:115], -v[224:225]
	v_fma_f64 v[164:165], v[208:209], v[218:219], -v[164:165]
	v_mul_f64 v[208:209], v[208:209], v[166:167]
	ds_read2_b64 v[224:227], v220 offset0:48 offset1:49
	v_fmac_f64_e32 v[208:209], v[210:211], v[218:219]
	s_waitcnt vmcnt(28)
	v_add_f64 v[110:111], v[110:111], -v[208:209]
	ds_read2_b64 v[208:211], v220 offset0:50 offset1:51
	v_add_f64 v[108:109], v[108:109], -v[164:165]
	s_waitcnt lgkmcnt(1)
	v_mul_f64 v[164:165], v[226:227], v[166:167]
	v_fma_f64 v[164:165], v[224:225], v[218:219], -v[164:165]
	v_mul_f64 v[224:225], v[224:225], v[166:167]
	v_fmac_f64_e32 v[224:225], v[226:227], v[218:219]
	s_waitcnt vmcnt(27)
	v_add_f64 v[104:105], v[104:105], -v[164:165]
	s_waitcnt lgkmcnt(0)
	v_mul_f64 v[164:165], v[210:211], v[166:167]
	v_add_f64 v[106:107], v[106:107], -v[224:225]
	v_fma_f64 v[164:165], v[208:209], v[218:219], -v[164:165]
	v_mul_f64 v[208:209], v[208:209], v[166:167]
	ds_read2_b64 v[224:227], v220 offset0:52 offset1:53
	v_fmac_f64_e32 v[208:209], v[210:211], v[218:219]
	s_waitcnt vmcnt(26)
	v_add_f64 v[102:103], v[102:103], -v[208:209]
	ds_read2_b64 v[208:211], v220 offset0:54 offset1:55
	v_add_f64 v[100:101], v[100:101], -v[164:165]
	s_waitcnt lgkmcnt(1)
	v_mul_f64 v[164:165], v[226:227], v[166:167]
	v_fma_f64 v[164:165], v[224:225], v[218:219], -v[164:165]
	v_mul_f64 v[224:225], v[224:225], v[166:167]
	v_fmac_f64_e32 v[224:225], v[226:227], v[218:219]
	s_waitcnt vmcnt(25)
	v_add_f64 v[96:97], v[96:97], -v[164:165]
	s_waitcnt lgkmcnt(0)
	v_mul_f64 v[164:165], v[210:211], v[166:167]
	v_add_f64 v[98:99], v[98:99], -v[224:225]
	v_fma_f64 v[164:165], v[208:209], v[218:219], -v[164:165]
	v_mul_f64 v[208:209], v[208:209], v[166:167]
	ds_read2_b64 v[224:227], v220 offset0:56 offset1:57
	v_fmac_f64_e32 v[208:209], v[210:211], v[218:219]
	s_waitcnt vmcnt(24)
	v_add_f64 v[94:95], v[94:95], -v[208:209]
	ds_read2_b64 v[208:211], v220 offset0:58 offset1:59
	v_add_f64 v[92:93], v[92:93], -v[164:165]
	s_waitcnt lgkmcnt(1)
	v_mul_f64 v[164:165], v[226:227], v[166:167]
	v_fma_f64 v[164:165], v[224:225], v[218:219], -v[164:165]
	v_mul_f64 v[224:225], v[224:225], v[166:167]
	v_fmac_f64_e32 v[224:225], v[226:227], v[218:219]
	s_waitcnt vmcnt(23)
	v_add_f64 v[88:89], v[88:89], -v[164:165]
	s_waitcnt lgkmcnt(0)
	v_mul_f64 v[164:165], v[210:211], v[166:167]
	v_add_f64 v[90:91], v[90:91], -v[224:225]
	v_fma_f64 v[164:165], v[208:209], v[218:219], -v[164:165]
	v_mul_f64 v[208:209], v[208:209], v[166:167]
	ds_read2_b64 v[224:227], v220 offset0:60 offset1:61
	v_fmac_f64_e32 v[208:209], v[210:211], v[218:219]
	s_waitcnt vmcnt(22)
	v_add_f64 v[86:87], v[86:87], -v[208:209]
	ds_read2_b64 v[208:211], v220 offset0:62 offset1:63
	v_add_f64 v[84:85], v[84:85], -v[164:165]
	s_waitcnt lgkmcnt(1)
	v_mul_f64 v[164:165], v[226:227], v[166:167]
	v_fma_f64 v[164:165], v[224:225], v[218:219], -v[164:165]
	v_mul_f64 v[224:225], v[224:225], v[166:167]
	v_fmac_f64_e32 v[224:225], v[226:227], v[218:219]
	s_waitcnt vmcnt(21)
	v_add_f64 v[80:81], v[80:81], -v[164:165]
	s_waitcnt lgkmcnt(0)
	v_mul_f64 v[164:165], v[210:211], v[166:167]
	v_add_f64 v[82:83], v[82:83], -v[224:225]
	v_fma_f64 v[164:165], v[208:209], v[218:219], -v[164:165]
	v_mul_f64 v[208:209], v[208:209], v[166:167]
	ds_read2_b64 v[224:227], v220 offset0:64 offset1:65
	v_fmac_f64_e32 v[208:209], v[210:211], v[218:219]
	s_waitcnt vmcnt(20)
	v_add_f64 v[78:79], v[78:79], -v[208:209]
	ds_read2_b64 v[208:211], v220 offset0:66 offset1:67
	v_add_f64 v[76:77], v[76:77], -v[164:165]
	s_waitcnt lgkmcnt(1)
	v_mul_f64 v[164:165], v[226:227], v[166:167]
	v_fma_f64 v[164:165], v[224:225], v[218:219], -v[164:165]
	v_mul_f64 v[224:225], v[224:225], v[166:167]
	v_fmac_f64_e32 v[224:225], v[226:227], v[218:219]
	s_waitcnt vmcnt(19)
	v_add_f64 v[72:73], v[72:73], -v[164:165]
	s_waitcnt lgkmcnt(0)
	v_mul_f64 v[164:165], v[210:211], v[166:167]
	v_add_f64 v[74:75], v[74:75], -v[224:225]
	v_fma_f64 v[164:165], v[208:209], v[218:219], -v[164:165]
	v_mul_f64 v[208:209], v[208:209], v[166:167]
	ds_read2_b64 v[224:227], v220 offset0:68 offset1:69
	v_fmac_f64_e32 v[208:209], v[210:211], v[218:219]
	s_waitcnt vmcnt(18)
	v_add_f64 v[70:71], v[70:71], -v[208:209]
	ds_read2_b64 v[208:211], v220 offset0:70 offset1:71
	v_add_f64 v[68:69], v[68:69], -v[164:165]
	s_waitcnt lgkmcnt(1)
	v_mul_f64 v[164:165], v[226:227], v[166:167]
	v_fma_f64 v[164:165], v[224:225], v[218:219], -v[164:165]
	v_mul_f64 v[224:225], v[224:225], v[166:167]
	v_fmac_f64_e32 v[224:225], v[226:227], v[218:219]
	s_waitcnt vmcnt(17)
	v_add_f64 v[64:65], v[64:65], -v[164:165]
	s_waitcnt lgkmcnt(0)
	v_mul_f64 v[164:165], v[210:211], v[166:167]
	v_add_f64 v[66:67], v[66:67], -v[224:225]
	v_fma_f64 v[164:165], v[208:209], v[218:219], -v[164:165]
	v_mul_f64 v[208:209], v[208:209], v[166:167]
	ds_read2_b64 v[224:227], v220 offset0:72 offset1:73
	v_fmac_f64_e32 v[208:209], v[210:211], v[218:219]
	s_waitcnt vmcnt(16)
	v_add_f64 v[62:63], v[62:63], -v[208:209]
	ds_read2_b64 v[208:211], v220 offset0:74 offset1:75
	v_add_f64 v[60:61], v[60:61], -v[164:165]
	s_waitcnt lgkmcnt(1)
	v_mul_f64 v[164:165], v[226:227], v[166:167]
	v_fma_f64 v[164:165], v[224:225], v[218:219], -v[164:165]
	v_mul_f64 v[224:225], v[224:225], v[166:167]
	v_fmac_f64_e32 v[224:225], v[226:227], v[218:219]
	s_waitcnt vmcnt(15)
	v_add_f64 v[56:57], v[56:57], -v[164:165]
	s_waitcnt lgkmcnt(0)
	v_mul_f64 v[164:165], v[210:211], v[166:167]
	v_add_f64 v[58:59], v[58:59], -v[224:225]
	v_fma_f64 v[164:165], v[208:209], v[218:219], -v[164:165]
	v_mul_f64 v[208:209], v[208:209], v[166:167]
	ds_read2_b64 v[224:227], v220 offset0:76 offset1:77
	v_fmac_f64_e32 v[208:209], v[210:211], v[218:219]
	s_waitcnt vmcnt(14)
	v_add_f64 v[54:55], v[54:55], -v[208:209]
	ds_read2_b64 v[208:211], v220 offset0:78 offset1:79
	v_add_f64 v[52:53], v[52:53], -v[164:165]
	s_waitcnt lgkmcnt(1)
	v_mul_f64 v[164:165], v[226:227], v[166:167]
	v_fma_f64 v[164:165], v[224:225], v[218:219], -v[164:165]
	v_mul_f64 v[224:225], v[224:225], v[166:167]
	v_fmac_f64_e32 v[224:225], v[226:227], v[218:219]
	s_waitcnt vmcnt(13)
	v_add_f64 v[48:49], v[48:49], -v[164:165]
	s_waitcnt lgkmcnt(0)
	v_mul_f64 v[164:165], v[210:211], v[166:167]
	v_add_f64 v[50:51], v[50:51], -v[224:225]
	v_fma_f64 v[164:165], v[208:209], v[218:219], -v[164:165]
	v_mul_f64 v[208:209], v[208:209], v[166:167]
	ds_read2_b64 v[224:227], v220 offset0:80 offset1:81
	v_fmac_f64_e32 v[208:209], v[210:211], v[218:219]
	s_waitcnt vmcnt(12)
	v_add_f64 v[46:47], v[46:47], -v[208:209]
	ds_read2_b64 v[208:211], v220 offset0:82 offset1:83
	v_add_f64 v[44:45], v[44:45], -v[164:165]
	s_waitcnt lgkmcnt(1)
	v_mul_f64 v[164:165], v[226:227], v[166:167]
	v_fma_f64 v[164:165], v[224:225], v[218:219], -v[164:165]
	v_mul_f64 v[224:225], v[224:225], v[166:167]
	v_fmac_f64_e32 v[224:225], v[226:227], v[218:219]
	s_waitcnt vmcnt(11)
	v_add_f64 v[40:41], v[40:41], -v[164:165]
	s_waitcnt lgkmcnt(0)
	v_mul_f64 v[164:165], v[210:211], v[166:167]
	v_add_f64 v[42:43], v[42:43], -v[224:225]
	v_fma_f64 v[164:165], v[208:209], v[218:219], -v[164:165]
	v_mul_f64 v[208:209], v[208:209], v[166:167]
	ds_read2_b64 v[224:227], v220 offset0:84 offset1:85
	v_fmac_f64_e32 v[208:209], v[210:211], v[218:219]
	s_waitcnt vmcnt(10)
	v_add_f64 v[38:39], v[38:39], -v[208:209]
	ds_read2_b64 v[208:211], v220 offset0:86 offset1:87
	v_add_f64 v[36:37], v[36:37], -v[164:165]
	s_waitcnt lgkmcnt(1)
	v_mul_f64 v[164:165], v[226:227], v[166:167]
	v_fma_f64 v[164:165], v[224:225], v[218:219], -v[164:165]
	v_mul_f64 v[224:225], v[224:225], v[166:167]
	v_fmac_f64_e32 v[224:225], v[226:227], v[218:219]
	s_waitcnt vmcnt(9)
	v_add_f64 v[32:33], v[32:33], -v[164:165]
	s_waitcnt lgkmcnt(0)
	v_mul_f64 v[164:165], v[210:211], v[166:167]
	v_add_f64 v[34:35], v[34:35], -v[224:225]
	v_fma_f64 v[164:165], v[208:209], v[218:219], -v[164:165]
	v_mul_f64 v[208:209], v[208:209], v[166:167]
	ds_read2_b64 v[224:227], v220 offset0:88 offset1:89
	v_fmac_f64_e32 v[208:209], v[210:211], v[218:219]
	s_waitcnt vmcnt(8)
	v_add_f64 v[30:31], v[30:31], -v[208:209]
	ds_read2_b64 v[208:211], v220 offset0:90 offset1:91
	v_add_f64 v[28:29], v[28:29], -v[164:165]
	s_waitcnt lgkmcnt(1)
	v_mul_f64 v[164:165], v[226:227], v[166:167]
	v_fma_f64 v[164:165], v[224:225], v[218:219], -v[164:165]
	v_mul_f64 v[224:225], v[224:225], v[166:167]
	v_fmac_f64_e32 v[224:225], v[226:227], v[218:219]
	s_waitcnt vmcnt(7)
	v_add_f64 v[24:25], v[24:25], -v[164:165]
	s_waitcnt lgkmcnt(0)
	v_mul_f64 v[164:165], v[210:211], v[166:167]
	v_add_f64 v[26:27], v[26:27], -v[224:225]
	v_fma_f64 v[164:165], v[208:209], v[218:219], -v[164:165]
	v_mul_f64 v[208:209], v[208:209], v[166:167]
	ds_read2_b64 v[224:227], v220 offset0:92 offset1:93
	v_fmac_f64_e32 v[208:209], v[210:211], v[218:219]
	s_waitcnt vmcnt(6)
	v_add_f64 v[22:23], v[22:23], -v[208:209]
	ds_read2_b64 v[208:211], v220 offset0:94 offset1:95
	v_add_f64 v[20:21], v[20:21], -v[164:165]
	s_waitcnt lgkmcnt(1)
	v_mul_f64 v[164:165], v[226:227], v[166:167]
	v_fma_f64 v[164:165], v[224:225], v[218:219], -v[164:165]
	v_mul_f64 v[224:225], v[224:225], v[166:167]
	v_fmac_f64_e32 v[224:225], v[226:227], v[218:219]
	s_waitcnt vmcnt(5)
	v_add_f64 v[16:17], v[16:17], -v[164:165]
	s_waitcnt lgkmcnt(0)
	v_mul_f64 v[164:165], v[210:211], v[166:167]
	v_add_f64 v[18:19], v[18:19], -v[224:225]
	v_fma_f64 v[164:165], v[208:209], v[218:219], -v[164:165]
	v_mul_f64 v[208:209], v[208:209], v[166:167]
	ds_read2_b64 v[224:227], v220 offset0:96 offset1:97
	v_fmac_f64_e32 v[208:209], v[210:211], v[218:219]
	s_waitcnt vmcnt(4)
	v_add_f64 v[14:15], v[14:15], -v[208:209]
	ds_read2_b64 v[208:211], v220 offset0:98 offset1:99
	v_add_f64 v[12:13], v[12:13], -v[164:165]
	s_waitcnt lgkmcnt(1)
	v_mul_f64 v[164:165], v[226:227], v[166:167]
	v_fma_f64 v[164:165], v[224:225], v[218:219], -v[164:165]
	v_mul_f64 v[224:225], v[224:225], v[166:167]
	v_fmac_f64_e32 v[224:225], v[226:227], v[218:219]
	s_waitcnt vmcnt(3)
	v_add_f64 v[8:9], v[8:9], -v[164:165]
	s_waitcnt lgkmcnt(0)
	v_mul_f64 v[164:165], v[210:211], v[166:167]
	v_add_f64 v[10:11], v[10:11], -v[224:225]
	v_fma_f64 v[164:165], v[208:209], v[218:219], -v[164:165]
	v_mul_f64 v[208:209], v[208:209], v[166:167]
	ds_read2_b64 v[224:227], v220 offset0:100 offset1:101
	v_fmac_f64_e32 v[208:209], v[210:211], v[218:219]
	s_waitcnt vmcnt(2)
	v_add_f64 v[6:7], v[6:7], -v[208:209]
	ds_read2_b64 v[208:211], v220 offset0:102 offset1:103
	v_add_f64 v[4:5], v[4:5], -v[164:165]
	s_waitcnt lgkmcnt(1)
	v_mul_f64 v[164:165], v[226:227], v[166:167]
	v_fma_f64 v[164:165], v[224:225], v[218:219], -v[164:165]
	s_waitcnt vmcnt(1)
	v_add_f64 v[0:1], v[0:1], -v[164:165]
	s_waitcnt lgkmcnt(0)
	v_mul_f64 v[164:165], v[210:211], v[166:167]
	v_mul_f64 v[224:225], v[224:225], v[166:167]
	v_fma_f64 v[164:165], v[208:209], v[218:219], -v[164:165]
	v_mul_f64 v[208:209], v[208:209], v[166:167]
	v_fmac_f64_e32 v[224:225], v[226:227], v[218:219]
	v_fmac_f64_e32 v[208:209], v[210:211], v[218:219]
	v_add_f64 v[2:3], v[2:3], -v[224:225]
	s_waitcnt vmcnt(0)
	v_add_f64 v[204:205], v[204:205], -v[164:165]
	v_add_f64 v[206:207], v[206:207], -v[208:209]
	v_mov_b64_e32 v[164:165], v[218:219]
.LBB102_251:
	s_or_b64 exec, exec, s[0:1]
	v_lshl_add_u32 v208, v221, 4, v220
	s_barrier
	s_waitcnt vmcnt(39)
	ds_write2_b64 v208, v[160:161], v[162:163] offset1:1
	s_waitcnt lgkmcnt(0)
	s_barrier
	ds_read2_b64 v[208:211], v220 offset0:24 offset1:25
	s_cmp_lt_i32 s20, 14
	v_mov_b32_e32 v218, 12
	s_cbranch_scc1 .LBB102_254
; %bb.252:
	v_add_u32_e32 v219, 0xd0, v220
	s_mov_b32 s16, 13
	v_mov_b32_e32 v218, 12
.LBB102_253:                            ; =>This Inner Loop Header: Depth=1
	ds_read2_b64 v[224:227], v219 offset1:1
	s_waitcnt lgkmcnt(1)
	v_xor_b32_e32 v229, 0x80000000, v209
	v_xor_b32_e32 v231, 0x80000000, v211
	v_cmp_gt_f64_e32 vcc, 0, v[210:211]
	v_cmp_gt_f64_e64 s[0:1], 0, v[208:209]
	v_mov_b32_e32 v228, v208
	v_mov_b32_e32 v230, v210
	v_cndmask_b32_e64 v229, v209, v229, s[0:1]
	v_cndmask_b32_e32 v231, v211, v231, vcc
	v_add_f64 v[228:229], v[228:229], v[230:231]
	s_waitcnt lgkmcnt(0)
	v_xor_b32_e32 v231, 0x80000000, v225
	v_xor_b32_e32 v233, 0x80000000, v227
	v_cmp_gt_f64_e32 vcc, 0, v[226:227]
	v_cmp_gt_f64_e64 s[0:1], 0, v[224:225]
	v_mov_b32_e32 v230, v224
	v_mov_b32_e32 v232, v226
	v_cndmask_b32_e64 v231, v225, v231, s[0:1]
	v_cndmask_b32_e32 v233, v227, v233, vcc
	v_add_f64 v[230:231], v[230:231], v[232:233]
	v_mov_b32_e32 v234, s16
	s_add_i32 s16, s16, 1
	v_cmp_lt_f64_e32 vcc, v[228:229], v[230:231]
	v_add_u32_e32 v219, 16, v219
	s_cmp_lg_u32 s20, s16
	v_cndmask_b32_e32 v209, v209, v225, vcc
	v_cndmask_b32_e32 v208, v208, v224, vcc
	;; [unrolled: 1-line block ×5, first 2 shown]
	s_cbranch_scc1 .LBB102_253
.LBB102_254:
	s_waitcnt lgkmcnt(0)
	v_cmp_eq_f64_e32 vcc, 0, v[208:209]
	v_cmp_eq_f64_e64 s[0:1], 0, v[210:211]
	s_and_b64 s[0:1], vcc, s[0:1]
	s_and_saveexec_b64 s[16:17], s[0:1]
	s_xor_b64 s[0:1], exec, s[16:17]
; %bb.255:
	v_cmp_ne_u32_e32 vcc, 0, v222
	s_nop 1
	v_cndmask_b32_e32 v222, 13, v222, vcc
; %bb.256:
	s_andn2_saveexec_b64 s[0:1], s[0:1]
	s_cbranch_execz .LBB102_262
; %bb.257:
	v_cmp_ngt_f64_e64 s[16:17], |v[208:209]|, |v[210:211]|
	s_and_saveexec_b64 s[18:19], s[16:17]
	s_xor_b64 s[16:17], exec, s[18:19]
	s_cbranch_execz .LBB102_259
; %bb.258:
	v_div_scale_f64 v[224:225], s[18:19], v[210:211], v[210:211], v[208:209]
	v_rcp_f64_e32 v[226:227], v[224:225]
	v_div_scale_f64 v[228:229], vcc, v[208:209], v[210:211], v[208:209]
	v_fma_f64 v[230:231], -v[224:225], v[226:227], 1.0
	v_fmac_f64_e32 v[226:227], v[226:227], v[230:231]
	v_fma_f64 v[230:231], -v[224:225], v[226:227], 1.0
	v_fmac_f64_e32 v[226:227], v[226:227], v[230:231]
	v_mul_f64 v[230:231], v[228:229], v[226:227]
	v_fma_f64 v[224:225], -v[224:225], v[230:231], v[228:229]
	v_div_fmas_f64 v[224:225], v[224:225], v[226:227], v[230:231]
	v_div_fixup_f64 v[224:225], v[224:225], v[210:211], v[208:209]
	v_fmac_f64_e32 v[210:211], v[208:209], v[224:225]
	v_div_scale_f64 v[208:209], s[18:19], v[210:211], v[210:211], 1.0
	v_rcp_f64_e32 v[226:227], v[208:209]
	s_nop 0
	v_fma_f64 v[228:229], -v[208:209], v[226:227], 1.0
	v_fmac_f64_e32 v[226:227], v[226:227], v[228:229]
	v_fma_f64 v[228:229], -v[208:209], v[226:227], 1.0
	v_fmac_f64_e32 v[226:227], v[226:227], v[228:229]
	v_div_scale_f64 v[228:229], vcc, 1.0, v[210:211], 1.0
	v_mul_f64 v[230:231], v[228:229], v[226:227]
	v_fma_f64 v[208:209], -v[208:209], v[230:231], v[228:229]
	s_nop 1
	v_div_fmas_f64 v[208:209], v[208:209], v[226:227], v[230:231]
	v_div_fixup_f64 v[210:211], v[208:209], v[210:211], 1.0
	v_mul_f64 v[208:209], v[224:225], v[210:211]
	v_xor_b32_e32 v211, 0x80000000, v211
.LBB102_259:
	s_andn2_saveexec_b64 s[16:17], s[16:17]
	s_cbranch_execz .LBB102_261
; %bb.260:
	v_div_scale_f64 v[224:225], s[18:19], v[208:209], v[208:209], v[210:211]
	v_rcp_f64_e32 v[226:227], v[224:225]
	v_div_scale_f64 v[228:229], vcc, v[210:211], v[208:209], v[210:211]
	v_fma_f64 v[230:231], -v[224:225], v[226:227], 1.0
	v_fmac_f64_e32 v[226:227], v[226:227], v[230:231]
	v_fma_f64 v[230:231], -v[224:225], v[226:227], 1.0
	v_fmac_f64_e32 v[226:227], v[226:227], v[230:231]
	v_mul_f64 v[230:231], v[228:229], v[226:227]
	v_fma_f64 v[224:225], -v[224:225], v[230:231], v[228:229]
	v_div_fmas_f64 v[224:225], v[224:225], v[226:227], v[230:231]
	v_div_fixup_f64 v[224:225], v[224:225], v[208:209], v[210:211]
	v_fmac_f64_e32 v[208:209], v[210:211], v[224:225]
	v_div_scale_f64 v[210:211], s[18:19], v[208:209], v[208:209], 1.0
	v_rcp_f64_e32 v[226:227], v[210:211]
	s_nop 0
	v_fma_f64 v[228:229], -v[210:211], v[226:227], 1.0
	v_fmac_f64_e32 v[226:227], v[226:227], v[228:229]
	v_fma_f64 v[228:229], -v[210:211], v[226:227], 1.0
	v_fmac_f64_e32 v[226:227], v[226:227], v[228:229]
	v_div_scale_f64 v[228:229], vcc, 1.0, v[208:209], 1.0
	v_mul_f64 v[230:231], v[228:229], v[226:227]
	v_fma_f64 v[210:211], -v[210:211], v[230:231], v[228:229]
	s_nop 1
	v_div_fmas_f64 v[210:211], v[210:211], v[226:227], v[230:231]
	v_div_fixup_f64 v[208:209], v[210:211], v[208:209], 1.0
	v_mul_f64 v[210:211], v[224:225], -v[208:209]
.LBB102_261:
	s_or_b64 exec, exec, s[16:17]
.LBB102_262:
	s_or_b64 exec, exec, s[0:1]
	v_cmp_ne_u32_e32 vcc, v221, v218
	s_and_saveexec_b64 s[0:1], vcc
	s_xor_b64 s[0:1], exec, s[0:1]
	s_cbranch_execz .LBB102_268
; %bb.263:
	v_cmp_eq_u32_e32 vcc, 12, v221
	s_and_saveexec_b64 s[16:17], vcc
	s_cbranch_execz .LBB102_267
; %bb.264:
	v_cmp_ne_u32_e32 vcc, 12, v218
	s_xor_b64 s[18:19], s[14:15], -1
	s_and_b64 s[22:23], s[18:19], vcc
	s_and_saveexec_b64 s[18:19], s[22:23]
	s_cbranch_execz .LBB102_266
; %bb.265:
	v_ashrrev_i32_e32 v219, 31, v218
	v_lshl_add_u64 v[224:225], v[218:219], 2, v[216:217]
	global_load_dword v219, v[224:225], off
	global_load_dword v221, v[216:217], off offset:48
	s_waitcnt vmcnt(1)
	global_store_dword v[216:217], v219, off offset:48
	s_waitcnt vmcnt(1)
	global_store_dword v[224:225], v221, off
.LBB102_266:
	s_or_b64 exec, exec, s[18:19]
	v_mov_b32_e32 v221, v218
	v_mov_b32_e32 v223, v218
.LBB102_267:
	s_or_b64 exec, exec, s[16:17]
.LBB102_268:
	s_andn2_saveexec_b64 s[0:1], s[0:1]
	s_cbranch_execz .LBB102_270
; %bb.269:
	v_mov_b32_e32 v221, 12
	s_waitcnt vmcnt(38)
	ds_write2_b64 v220, v[156:157], v[158:159] offset0:26 offset1:27
	s_waitcnt vmcnt(37)
	ds_write2_b64 v220, v[152:153], v[154:155] offset0:28 offset1:29
	;; [unrolled: 2-line block ×39, first 2 shown]
.LBB102_270:
	s_or_b64 exec, exec, s[0:1]
	v_cmp_lt_i32_e32 vcc, 12, v221
	s_waitcnt lgkmcnt(0)
	s_barrier
	s_and_saveexec_b64 s[0:1], vcc
	s_cbranch_execz .LBB102_272
; %bb.271:
	ds_read2_b64 v[224:227], v220 offset0:26 offset1:27
	v_mul_f64 v[218:219], v[210:211], v[162:163]
	v_mul_f64 v[162:163], v[208:209], v[162:163]
	v_fmac_f64_e32 v[162:163], v[210:211], v[160:161]
	v_fma_f64 v[218:219], v[208:209], v[160:161], -v[218:219]
	ds_read2_b64 v[208:211], v220 offset0:28 offset1:29
	s_waitcnt lgkmcnt(1)
	v_mul_f64 v[160:161], v[226:227], v[162:163]
	v_fma_f64 v[160:161], v[224:225], v[218:219], -v[160:161]
	v_mul_f64 v[224:225], v[224:225], v[162:163]
	v_fmac_f64_e32 v[224:225], v[226:227], v[218:219]
	s_waitcnt vmcnt(38)
	v_add_f64 v[158:159], v[158:159], -v[224:225]
	ds_read2_b64 v[224:227], v220 offset0:30 offset1:31
	v_add_f64 v[156:157], v[156:157], -v[160:161]
	s_waitcnt lgkmcnt(1)
	v_mul_f64 v[160:161], v[210:211], v[162:163]
	v_fma_f64 v[160:161], v[208:209], v[218:219], -v[160:161]
	v_mul_f64 v[208:209], v[208:209], v[162:163]
	v_fmac_f64_e32 v[208:209], v[210:211], v[218:219]
	s_waitcnt vmcnt(37)
	v_add_f64 v[152:153], v[152:153], -v[160:161]
	v_add_f64 v[154:155], v[154:155], -v[208:209]
	ds_read2_b64 v[208:211], v220 offset0:32 offset1:33
	s_waitcnt lgkmcnt(1)
	v_mul_f64 v[160:161], v[226:227], v[162:163]
	v_fma_f64 v[160:161], v[224:225], v[218:219], -v[160:161]
	v_mul_f64 v[224:225], v[224:225], v[162:163]
	v_fmac_f64_e32 v[224:225], v[226:227], v[218:219]
	s_waitcnt vmcnt(36)
	v_add_f64 v[150:151], v[150:151], -v[224:225]
	ds_read2_b64 v[224:227], v220 offset0:34 offset1:35
	v_add_f64 v[148:149], v[148:149], -v[160:161]
	s_waitcnt lgkmcnt(1)
	v_mul_f64 v[160:161], v[210:211], v[162:163]
	v_fma_f64 v[160:161], v[208:209], v[218:219], -v[160:161]
	v_mul_f64 v[208:209], v[208:209], v[162:163]
	v_fmac_f64_e32 v[208:209], v[210:211], v[218:219]
	s_waitcnt vmcnt(35)
	v_add_f64 v[144:145], v[144:145], -v[160:161]
	v_add_f64 v[146:147], v[146:147], -v[208:209]
	;; [unrolled: 18-line block ×19, first 2 shown]
	s_waitcnt lgkmcnt(0)
	v_mul_f64 v[160:161], v[226:227], v[162:163]
	v_mul_f64 v[208:209], v[224:225], v[162:163]
	v_fma_f64 v[160:161], v[224:225], v[218:219], -v[160:161]
	v_fmac_f64_e32 v[208:209], v[226:227], v[218:219]
	s_waitcnt vmcnt(0)
	v_add_f64 v[204:205], v[204:205], -v[160:161]
	v_add_f64 v[206:207], v[206:207], -v[208:209]
	v_mov_b64_e32 v[160:161], v[218:219]
.LBB102_272:
	s_or_b64 exec, exec, s[0:1]
	v_lshl_add_u32 v208, v221, 4, v220
	s_barrier
	s_waitcnt vmcnt(38)
	ds_write2_b64 v208, v[156:157], v[158:159] offset1:1
	s_waitcnt lgkmcnt(0)
	s_barrier
	ds_read2_b64 v[208:211], v220 offset0:26 offset1:27
	s_cmp_lt_i32 s20, 15
	v_mov_b32_e32 v218, 13
	s_cbranch_scc1 .LBB102_275
; %bb.273:
	v_add_u32_e32 v219, 0xe0, v220
	s_mov_b32 s16, 14
	v_mov_b32_e32 v218, 13
.LBB102_274:                            ; =>This Inner Loop Header: Depth=1
	ds_read2_b64 v[224:227], v219 offset1:1
	s_waitcnt lgkmcnt(1)
	v_xor_b32_e32 v229, 0x80000000, v209
	v_xor_b32_e32 v231, 0x80000000, v211
	v_cmp_gt_f64_e32 vcc, 0, v[210:211]
	v_cmp_gt_f64_e64 s[0:1], 0, v[208:209]
	v_mov_b32_e32 v228, v208
	v_mov_b32_e32 v230, v210
	v_cndmask_b32_e64 v229, v209, v229, s[0:1]
	v_cndmask_b32_e32 v231, v211, v231, vcc
	v_add_f64 v[228:229], v[228:229], v[230:231]
	s_waitcnt lgkmcnt(0)
	v_xor_b32_e32 v231, 0x80000000, v225
	v_xor_b32_e32 v233, 0x80000000, v227
	v_cmp_gt_f64_e32 vcc, 0, v[226:227]
	v_cmp_gt_f64_e64 s[0:1], 0, v[224:225]
	v_mov_b32_e32 v230, v224
	v_mov_b32_e32 v232, v226
	v_cndmask_b32_e64 v231, v225, v231, s[0:1]
	v_cndmask_b32_e32 v233, v227, v233, vcc
	v_add_f64 v[230:231], v[230:231], v[232:233]
	v_mov_b32_e32 v234, s16
	s_add_i32 s16, s16, 1
	v_cmp_lt_f64_e32 vcc, v[228:229], v[230:231]
	v_add_u32_e32 v219, 16, v219
	s_cmp_lg_u32 s20, s16
	v_cndmask_b32_e32 v209, v209, v225, vcc
	v_cndmask_b32_e32 v208, v208, v224, vcc
	;; [unrolled: 1-line block ×5, first 2 shown]
	s_cbranch_scc1 .LBB102_274
.LBB102_275:
	s_waitcnt lgkmcnt(0)
	v_cmp_eq_f64_e32 vcc, 0, v[208:209]
	v_cmp_eq_f64_e64 s[0:1], 0, v[210:211]
	s_and_b64 s[0:1], vcc, s[0:1]
	s_and_saveexec_b64 s[16:17], s[0:1]
	s_xor_b64 s[0:1], exec, s[16:17]
; %bb.276:
	v_cmp_ne_u32_e32 vcc, 0, v222
	s_nop 1
	v_cndmask_b32_e32 v222, 14, v222, vcc
; %bb.277:
	s_andn2_saveexec_b64 s[0:1], s[0:1]
	s_cbranch_execz .LBB102_283
; %bb.278:
	v_cmp_ngt_f64_e64 s[16:17], |v[208:209]|, |v[210:211]|
	s_and_saveexec_b64 s[18:19], s[16:17]
	s_xor_b64 s[16:17], exec, s[18:19]
	s_cbranch_execz .LBB102_280
; %bb.279:
	v_div_scale_f64 v[224:225], s[18:19], v[210:211], v[210:211], v[208:209]
	v_rcp_f64_e32 v[226:227], v[224:225]
	v_div_scale_f64 v[228:229], vcc, v[208:209], v[210:211], v[208:209]
	v_fma_f64 v[230:231], -v[224:225], v[226:227], 1.0
	v_fmac_f64_e32 v[226:227], v[226:227], v[230:231]
	v_fma_f64 v[230:231], -v[224:225], v[226:227], 1.0
	v_fmac_f64_e32 v[226:227], v[226:227], v[230:231]
	v_mul_f64 v[230:231], v[228:229], v[226:227]
	v_fma_f64 v[224:225], -v[224:225], v[230:231], v[228:229]
	v_div_fmas_f64 v[224:225], v[224:225], v[226:227], v[230:231]
	v_div_fixup_f64 v[224:225], v[224:225], v[210:211], v[208:209]
	v_fmac_f64_e32 v[210:211], v[208:209], v[224:225]
	v_div_scale_f64 v[208:209], s[18:19], v[210:211], v[210:211], 1.0
	v_rcp_f64_e32 v[226:227], v[208:209]
	s_nop 0
	v_fma_f64 v[228:229], -v[208:209], v[226:227], 1.0
	v_fmac_f64_e32 v[226:227], v[226:227], v[228:229]
	v_fma_f64 v[228:229], -v[208:209], v[226:227], 1.0
	v_fmac_f64_e32 v[226:227], v[226:227], v[228:229]
	v_div_scale_f64 v[228:229], vcc, 1.0, v[210:211], 1.0
	v_mul_f64 v[230:231], v[228:229], v[226:227]
	v_fma_f64 v[208:209], -v[208:209], v[230:231], v[228:229]
	s_nop 1
	v_div_fmas_f64 v[208:209], v[208:209], v[226:227], v[230:231]
	v_div_fixup_f64 v[210:211], v[208:209], v[210:211], 1.0
	v_mul_f64 v[208:209], v[224:225], v[210:211]
	v_xor_b32_e32 v211, 0x80000000, v211
.LBB102_280:
	s_andn2_saveexec_b64 s[16:17], s[16:17]
	s_cbranch_execz .LBB102_282
; %bb.281:
	v_div_scale_f64 v[224:225], s[18:19], v[208:209], v[208:209], v[210:211]
	v_rcp_f64_e32 v[226:227], v[224:225]
	v_div_scale_f64 v[228:229], vcc, v[210:211], v[208:209], v[210:211]
	v_fma_f64 v[230:231], -v[224:225], v[226:227], 1.0
	v_fmac_f64_e32 v[226:227], v[226:227], v[230:231]
	v_fma_f64 v[230:231], -v[224:225], v[226:227], 1.0
	v_fmac_f64_e32 v[226:227], v[226:227], v[230:231]
	v_mul_f64 v[230:231], v[228:229], v[226:227]
	v_fma_f64 v[224:225], -v[224:225], v[230:231], v[228:229]
	v_div_fmas_f64 v[224:225], v[224:225], v[226:227], v[230:231]
	v_div_fixup_f64 v[224:225], v[224:225], v[208:209], v[210:211]
	v_fmac_f64_e32 v[208:209], v[210:211], v[224:225]
	v_div_scale_f64 v[210:211], s[18:19], v[208:209], v[208:209], 1.0
	v_rcp_f64_e32 v[226:227], v[210:211]
	s_nop 0
	v_fma_f64 v[228:229], -v[210:211], v[226:227], 1.0
	v_fmac_f64_e32 v[226:227], v[226:227], v[228:229]
	v_fma_f64 v[228:229], -v[210:211], v[226:227], 1.0
	v_fmac_f64_e32 v[226:227], v[226:227], v[228:229]
	v_div_scale_f64 v[228:229], vcc, 1.0, v[208:209], 1.0
	v_mul_f64 v[230:231], v[228:229], v[226:227]
	v_fma_f64 v[210:211], -v[210:211], v[230:231], v[228:229]
	s_nop 1
	v_div_fmas_f64 v[210:211], v[210:211], v[226:227], v[230:231]
	v_div_fixup_f64 v[208:209], v[210:211], v[208:209], 1.0
	v_mul_f64 v[210:211], v[224:225], -v[208:209]
.LBB102_282:
	s_or_b64 exec, exec, s[16:17]
.LBB102_283:
	s_or_b64 exec, exec, s[0:1]
	v_cmp_ne_u32_e32 vcc, v221, v218
	s_and_saveexec_b64 s[0:1], vcc
	s_xor_b64 s[0:1], exec, s[0:1]
	s_cbranch_execz .LBB102_289
; %bb.284:
	v_cmp_eq_u32_e32 vcc, 13, v221
	s_and_saveexec_b64 s[16:17], vcc
	s_cbranch_execz .LBB102_288
; %bb.285:
	v_cmp_ne_u32_e32 vcc, 13, v218
	s_xor_b64 s[18:19], s[14:15], -1
	s_and_b64 s[22:23], s[18:19], vcc
	s_and_saveexec_b64 s[18:19], s[22:23]
	s_cbranch_execz .LBB102_287
; %bb.286:
	v_ashrrev_i32_e32 v219, 31, v218
	v_lshl_add_u64 v[224:225], v[218:219], 2, v[216:217]
	global_load_dword v219, v[224:225], off
	global_load_dword v221, v[216:217], off offset:52
	s_waitcnt vmcnt(1)
	global_store_dword v[216:217], v219, off offset:52
	s_waitcnt vmcnt(1)
	global_store_dword v[224:225], v221, off
.LBB102_287:
	s_or_b64 exec, exec, s[18:19]
	v_mov_b32_e32 v221, v218
	v_mov_b32_e32 v223, v218
.LBB102_288:
	s_or_b64 exec, exec, s[16:17]
.LBB102_289:
	s_andn2_saveexec_b64 s[0:1], s[0:1]
	s_cbranch_execz .LBB102_291
; %bb.290:
	v_mov_b32_e32 v221, 13
	s_waitcnt vmcnt(37)
	ds_write2_b64 v220, v[152:153], v[154:155] offset0:28 offset1:29
	s_waitcnt vmcnt(36)
	ds_write2_b64 v220, v[148:149], v[150:151] offset0:30 offset1:31
	;; [unrolled: 2-line block ×38, first 2 shown]
.LBB102_291:
	s_or_b64 exec, exec, s[0:1]
	v_cmp_lt_i32_e32 vcc, 13, v221
	s_waitcnt lgkmcnt(0)
	s_barrier
	s_and_saveexec_b64 s[0:1], vcc
	s_cbranch_execz .LBB102_293
; %bb.292:
	ds_read2_b64 v[224:227], v220 offset0:28 offset1:29
	v_mul_f64 v[218:219], v[210:211], v[158:159]
	v_mul_f64 v[158:159], v[208:209], v[158:159]
	v_fma_f64 v[218:219], v[208:209], v[156:157], -v[218:219]
	v_fmac_f64_e32 v[158:159], v[210:211], v[156:157]
	ds_read2_b64 v[208:211], v220 offset0:30 offset1:31
	s_waitcnt lgkmcnt(1)
	v_mul_f64 v[156:157], v[226:227], v[158:159]
	v_fma_f64 v[156:157], v[224:225], v[218:219], -v[156:157]
	v_mul_f64 v[224:225], v[224:225], v[158:159]
	v_fmac_f64_e32 v[224:225], v[226:227], v[218:219]
	s_waitcnt vmcnt(37)
	v_add_f64 v[152:153], v[152:153], -v[156:157]
	s_waitcnt lgkmcnt(0)
	v_mul_f64 v[156:157], v[210:211], v[158:159]
	v_add_f64 v[154:155], v[154:155], -v[224:225]
	v_fma_f64 v[156:157], v[208:209], v[218:219], -v[156:157]
	v_mul_f64 v[208:209], v[208:209], v[158:159]
	ds_read2_b64 v[224:227], v220 offset0:32 offset1:33
	v_fmac_f64_e32 v[208:209], v[210:211], v[218:219]
	s_waitcnt vmcnt(36)
	v_add_f64 v[150:151], v[150:151], -v[208:209]
	ds_read2_b64 v[208:211], v220 offset0:34 offset1:35
	v_add_f64 v[148:149], v[148:149], -v[156:157]
	s_waitcnt lgkmcnt(1)
	v_mul_f64 v[156:157], v[226:227], v[158:159]
	v_fma_f64 v[156:157], v[224:225], v[218:219], -v[156:157]
	v_mul_f64 v[224:225], v[224:225], v[158:159]
	v_fmac_f64_e32 v[224:225], v[226:227], v[218:219]
	s_waitcnt vmcnt(35)
	v_add_f64 v[144:145], v[144:145], -v[156:157]
	s_waitcnt lgkmcnt(0)
	v_mul_f64 v[156:157], v[210:211], v[158:159]
	v_add_f64 v[146:147], v[146:147], -v[224:225]
	v_fma_f64 v[156:157], v[208:209], v[218:219], -v[156:157]
	v_mul_f64 v[208:209], v[208:209], v[158:159]
	ds_read2_b64 v[224:227], v220 offset0:36 offset1:37
	v_fmac_f64_e32 v[208:209], v[210:211], v[218:219]
	s_waitcnt vmcnt(34)
	v_add_f64 v[134:135], v[134:135], -v[208:209]
	ds_read2_b64 v[208:211], v220 offset0:38 offset1:39
	v_add_f64 v[132:133], v[132:133], -v[156:157]
	;; [unrolled: 18-line block ×18, first 2 shown]
	s_waitcnt lgkmcnt(1)
	v_mul_f64 v[156:157], v[226:227], v[158:159]
	v_fma_f64 v[156:157], v[224:225], v[218:219], -v[156:157]
	s_waitcnt vmcnt(1)
	v_add_f64 v[0:1], v[0:1], -v[156:157]
	s_waitcnt lgkmcnt(0)
	v_mul_f64 v[156:157], v[210:211], v[158:159]
	v_mul_f64 v[224:225], v[224:225], v[158:159]
	v_fma_f64 v[156:157], v[208:209], v[218:219], -v[156:157]
	v_mul_f64 v[208:209], v[208:209], v[158:159]
	v_fmac_f64_e32 v[224:225], v[226:227], v[218:219]
	v_fmac_f64_e32 v[208:209], v[210:211], v[218:219]
	v_add_f64 v[2:3], v[2:3], -v[224:225]
	s_waitcnt vmcnt(0)
	v_add_f64 v[204:205], v[204:205], -v[156:157]
	v_add_f64 v[206:207], v[206:207], -v[208:209]
	v_mov_b64_e32 v[156:157], v[218:219]
.LBB102_293:
	s_or_b64 exec, exec, s[0:1]
	v_lshl_add_u32 v208, v221, 4, v220
	s_barrier
	s_waitcnt vmcnt(37)
	ds_write2_b64 v208, v[152:153], v[154:155] offset1:1
	s_waitcnt lgkmcnt(0)
	s_barrier
	ds_read2_b64 v[208:211], v220 offset0:28 offset1:29
	s_cmp_lt_i32 s20, 16
	v_mov_b32_e32 v218, 14
	s_cbranch_scc1 .LBB102_296
; %bb.294:
	v_add_u32_e32 v219, 0xf0, v220
	s_mov_b32 s16, 15
	v_mov_b32_e32 v218, 14
.LBB102_295:                            ; =>This Inner Loop Header: Depth=1
	ds_read2_b64 v[224:227], v219 offset1:1
	s_waitcnt lgkmcnt(1)
	v_xor_b32_e32 v229, 0x80000000, v209
	v_xor_b32_e32 v231, 0x80000000, v211
	v_cmp_gt_f64_e32 vcc, 0, v[210:211]
	v_cmp_gt_f64_e64 s[0:1], 0, v[208:209]
	v_mov_b32_e32 v228, v208
	v_mov_b32_e32 v230, v210
	v_cndmask_b32_e64 v229, v209, v229, s[0:1]
	v_cndmask_b32_e32 v231, v211, v231, vcc
	v_add_f64 v[228:229], v[228:229], v[230:231]
	s_waitcnt lgkmcnt(0)
	v_xor_b32_e32 v231, 0x80000000, v225
	v_xor_b32_e32 v233, 0x80000000, v227
	v_cmp_gt_f64_e32 vcc, 0, v[226:227]
	v_cmp_gt_f64_e64 s[0:1], 0, v[224:225]
	v_mov_b32_e32 v230, v224
	v_mov_b32_e32 v232, v226
	v_cndmask_b32_e64 v231, v225, v231, s[0:1]
	v_cndmask_b32_e32 v233, v227, v233, vcc
	v_add_f64 v[230:231], v[230:231], v[232:233]
	v_mov_b32_e32 v234, s16
	s_add_i32 s16, s16, 1
	v_cmp_lt_f64_e32 vcc, v[228:229], v[230:231]
	v_add_u32_e32 v219, 16, v219
	s_cmp_lg_u32 s20, s16
	v_cndmask_b32_e32 v209, v209, v225, vcc
	v_cndmask_b32_e32 v208, v208, v224, vcc
	;; [unrolled: 1-line block ×5, first 2 shown]
	s_cbranch_scc1 .LBB102_295
.LBB102_296:
	s_waitcnt lgkmcnt(0)
	v_cmp_eq_f64_e32 vcc, 0, v[208:209]
	v_cmp_eq_f64_e64 s[0:1], 0, v[210:211]
	s_and_b64 s[0:1], vcc, s[0:1]
	s_and_saveexec_b64 s[16:17], s[0:1]
	s_xor_b64 s[0:1], exec, s[16:17]
; %bb.297:
	v_cmp_ne_u32_e32 vcc, 0, v222
	s_nop 1
	v_cndmask_b32_e32 v222, 15, v222, vcc
; %bb.298:
	s_andn2_saveexec_b64 s[0:1], s[0:1]
	s_cbranch_execz .LBB102_304
; %bb.299:
	v_cmp_ngt_f64_e64 s[16:17], |v[208:209]|, |v[210:211]|
	s_and_saveexec_b64 s[18:19], s[16:17]
	s_xor_b64 s[16:17], exec, s[18:19]
	s_cbranch_execz .LBB102_301
; %bb.300:
	v_div_scale_f64 v[224:225], s[18:19], v[210:211], v[210:211], v[208:209]
	v_rcp_f64_e32 v[226:227], v[224:225]
	v_div_scale_f64 v[228:229], vcc, v[208:209], v[210:211], v[208:209]
	v_fma_f64 v[230:231], -v[224:225], v[226:227], 1.0
	v_fmac_f64_e32 v[226:227], v[226:227], v[230:231]
	v_fma_f64 v[230:231], -v[224:225], v[226:227], 1.0
	v_fmac_f64_e32 v[226:227], v[226:227], v[230:231]
	v_mul_f64 v[230:231], v[228:229], v[226:227]
	v_fma_f64 v[224:225], -v[224:225], v[230:231], v[228:229]
	v_div_fmas_f64 v[224:225], v[224:225], v[226:227], v[230:231]
	v_div_fixup_f64 v[224:225], v[224:225], v[210:211], v[208:209]
	v_fmac_f64_e32 v[210:211], v[208:209], v[224:225]
	v_div_scale_f64 v[208:209], s[18:19], v[210:211], v[210:211], 1.0
	v_rcp_f64_e32 v[226:227], v[208:209]
	s_nop 0
	v_fma_f64 v[228:229], -v[208:209], v[226:227], 1.0
	v_fmac_f64_e32 v[226:227], v[226:227], v[228:229]
	v_fma_f64 v[228:229], -v[208:209], v[226:227], 1.0
	v_fmac_f64_e32 v[226:227], v[226:227], v[228:229]
	v_div_scale_f64 v[228:229], vcc, 1.0, v[210:211], 1.0
	v_mul_f64 v[230:231], v[228:229], v[226:227]
	v_fma_f64 v[208:209], -v[208:209], v[230:231], v[228:229]
	s_nop 1
	v_div_fmas_f64 v[208:209], v[208:209], v[226:227], v[230:231]
	v_div_fixup_f64 v[210:211], v[208:209], v[210:211], 1.0
	v_mul_f64 v[208:209], v[224:225], v[210:211]
	v_xor_b32_e32 v211, 0x80000000, v211
.LBB102_301:
	s_andn2_saveexec_b64 s[16:17], s[16:17]
	s_cbranch_execz .LBB102_303
; %bb.302:
	v_div_scale_f64 v[224:225], s[18:19], v[208:209], v[208:209], v[210:211]
	v_rcp_f64_e32 v[226:227], v[224:225]
	v_div_scale_f64 v[228:229], vcc, v[210:211], v[208:209], v[210:211]
	v_fma_f64 v[230:231], -v[224:225], v[226:227], 1.0
	v_fmac_f64_e32 v[226:227], v[226:227], v[230:231]
	v_fma_f64 v[230:231], -v[224:225], v[226:227], 1.0
	v_fmac_f64_e32 v[226:227], v[226:227], v[230:231]
	v_mul_f64 v[230:231], v[228:229], v[226:227]
	v_fma_f64 v[224:225], -v[224:225], v[230:231], v[228:229]
	v_div_fmas_f64 v[224:225], v[224:225], v[226:227], v[230:231]
	v_div_fixup_f64 v[224:225], v[224:225], v[208:209], v[210:211]
	v_fmac_f64_e32 v[208:209], v[210:211], v[224:225]
	v_div_scale_f64 v[210:211], s[18:19], v[208:209], v[208:209], 1.0
	v_rcp_f64_e32 v[226:227], v[210:211]
	s_nop 0
	v_fma_f64 v[228:229], -v[210:211], v[226:227], 1.0
	v_fmac_f64_e32 v[226:227], v[226:227], v[228:229]
	v_fma_f64 v[228:229], -v[210:211], v[226:227], 1.0
	v_fmac_f64_e32 v[226:227], v[226:227], v[228:229]
	v_div_scale_f64 v[228:229], vcc, 1.0, v[208:209], 1.0
	v_mul_f64 v[230:231], v[228:229], v[226:227]
	v_fma_f64 v[210:211], -v[210:211], v[230:231], v[228:229]
	s_nop 1
	v_div_fmas_f64 v[210:211], v[210:211], v[226:227], v[230:231]
	v_div_fixup_f64 v[208:209], v[210:211], v[208:209], 1.0
	v_mul_f64 v[210:211], v[224:225], -v[208:209]
.LBB102_303:
	s_or_b64 exec, exec, s[16:17]
.LBB102_304:
	s_or_b64 exec, exec, s[0:1]
	v_cmp_ne_u32_e32 vcc, v221, v218
	s_and_saveexec_b64 s[0:1], vcc
	s_xor_b64 s[0:1], exec, s[0:1]
	s_cbranch_execz .LBB102_310
; %bb.305:
	v_cmp_eq_u32_e32 vcc, 14, v221
	s_and_saveexec_b64 s[16:17], vcc
	s_cbranch_execz .LBB102_309
; %bb.306:
	v_cmp_ne_u32_e32 vcc, 14, v218
	s_xor_b64 s[18:19], s[14:15], -1
	s_and_b64 s[22:23], s[18:19], vcc
	s_and_saveexec_b64 s[18:19], s[22:23]
	s_cbranch_execz .LBB102_308
; %bb.307:
	v_ashrrev_i32_e32 v219, 31, v218
	v_lshl_add_u64 v[224:225], v[218:219], 2, v[216:217]
	global_load_dword v219, v[224:225], off
	global_load_dword v221, v[216:217], off offset:56
	s_waitcnt vmcnt(1)
	global_store_dword v[216:217], v219, off offset:56
	s_waitcnt vmcnt(1)
	global_store_dword v[224:225], v221, off
.LBB102_308:
	s_or_b64 exec, exec, s[18:19]
	v_mov_b32_e32 v221, v218
	v_mov_b32_e32 v223, v218
.LBB102_309:
	s_or_b64 exec, exec, s[16:17]
.LBB102_310:
	s_andn2_saveexec_b64 s[0:1], s[0:1]
	s_cbranch_execz .LBB102_312
; %bb.311:
	v_mov_b32_e32 v221, 14
	s_waitcnt vmcnt(36)
	ds_write2_b64 v220, v[148:149], v[150:151] offset0:30 offset1:31
	s_waitcnt vmcnt(35)
	ds_write2_b64 v220, v[144:145], v[146:147] offset0:32 offset1:33
	;; [unrolled: 2-line block ×37, first 2 shown]
.LBB102_312:
	s_or_b64 exec, exec, s[0:1]
	v_cmp_lt_i32_e32 vcc, 14, v221
	s_waitcnt lgkmcnt(0)
	s_barrier
	s_and_saveexec_b64 s[0:1], vcc
	s_cbranch_execz .LBB102_314
; %bb.313:
	ds_read2_b64 v[224:227], v220 offset0:30 offset1:31
	v_mul_f64 v[218:219], v[210:211], v[154:155]
	v_mul_f64 v[154:155], v[208:209], v[154:155]
	v_fmac_f64_e32 v[154:155], v[210:211], v[152:153]
	v_fma_f64 v[218:219], v[208:209], v[152:153], -v[218:219]
	ds_read2_b64 v[208:211], v220 offset0:32 offset1:33
	s_waitcnt lgkmcnt(1)
	v_mul_f64 v[152:153], v[226:227], v[154:155]
	v_fma_f64 v[152:153], v[224:225], v[218:219], -v[152:153]
	v_mul_f64 v[224:225], v[224:225], v[154:155]
	v_fmac_f64_e32 v[224:225], v[226:227], v[218:219]
	s_waitcnt vmcnt(36)
	v_add_f64 v[150:151], v[150:151], -v[224:225]
	ds_read2_b64 v[224:227], v220 offset0:34 offset1:35
	v_add_f64 v[148:149], v[148:149], -v[152:153]
	s_waitcnt lgkmcnt(1)
	v_mul_f64 v[152:153], v[210:211], v[154:155]
	v_fma_f64 v[152:153], v[208:209], v[218:219], -v[152:153]
	v_mul_f64 v[208:209], v[208:209], v[154:155]
	v_fmac_f64_e32 v[208:209], v[210:211], v[218:219]
	s_waitcnt vmcnt(35)
	v_add_f64 v[144:145], v[144:145], -v[152:153]
	v_add_f64 v[146:147], v[146:147], -v[208:209]
	ds_read2_b64 v[208:211], v220 offset0:36 offset1:37
	s_waitcnt lgkmcnt(1)
	v_mul_f64 v[152:153], v[226:227], v[154:155]
	v_fma_f64 v[152:153], v[224:225], v[218:219], -v[152:153]
	v_mul_f64 v[224:225], v[224:225], v[154:155]
	v_fmac_f64_e32 v[224:225], v[226:227], v[218:219]
	s_waitcnt vmcnt(34)
	v_add_f64 v[134:135], v[134:135], -v[224:225]
	ds_read2_b64 v[224:227], v220 offset0:38 offset1:39
	v_add_f64 v[132:133], v[132:133], -v[152:153]
	s_waitcnt lgkmcnt(1)
	v_mul_f64 v[152:153], v[210:211], v[154:155]
	v_fma_f64 v[152:153], v[208:209], v[218:219], -v[152:153]
	v_mul_f64 v[208:209], v[208:209], v[154:155]
	v_fmac_f64_e32 v[208:209], v[210:211], v[218:219]
	s_waitcnt vmcnt(33)
	v_add_f64 v[128:129], v[128:129], -v[152:153]
	v_add_f64 v[130:131], v[130:131], -v[208:209]
	;; [unrolled: 18-line block ×18, first 2 shown]
	s_waitcnt lgkmcnt(0)
	v_mul_f64 v[152:153], v[226:227], v[154:155]
	v_mul_f64 v[208:209], v[224:225], v[154:155]
	v_fma_f64 v[152:153], v[224:225], v[218:219], -v[152:153]
	v_fmac_f64_e32 v[208:209], v[226:227], v[218:219]
	s_waitcnt vmcnt(0)
	v_add_f64 v[204:205], v[204:205], -v[152:153]
	v_add_f64 v[206:207], v[206:207], -v[208:209]
	v_mov_b64_e32 v[152:153], v[218:219]
.LBB102_314:
	s_or_b64 exec, exec, s[0:1]
	v_lshl_add_u32 v208, v221, 4, v220
	s_barrier
	s_waitcnt vmcnt(36)
	ds_write2_b64 v208, v[148:149], v[150:151] offset1:1
	s_waitcnt lgkmcnt(0)
	s_barrier
	ds_read2_b64 v[208:211], v220 offset0:30 offset1:31
	s_cmp_lt_i32 s20, 17
	v_mov_b32_e32 v218, 15
	s_cbranch_scc1 .LBB102_317
; %bb.315:
	v_add_u32_e32 v219, 0x100, v220
	s_mov_b32 s16, 16
	v_mov_b32_e32 v218, 15
.LBB102_316:                            ; =>This Inner Loop Header: Depth=1
	ds_read2_b64 v[224:227], v219 offset1:1
	s_waitcnt lgkmcnt(1)
	v_xor_b32_e32 v229, 0x80000000, v209
	v_xor_b32_e32 v231, 0x80000000, v211
	v_cmp_gt_f64_e32 vcc, 0, v[210:211]
	v_cmp_gt_f64_e64 s[0:1], 0, v[208:209]
	v_mov_b32_e32 v228, v208
	v_mov_b32_e32 v230, v210
	v_cndmask_b32_e64 v229, v209, v229, s[0:1]
	v_cndmask_b32_e32 v231, v211, v231, vcc
	v_add_f64 v[228:229], v[228:229], v[230:231]
	s_waitcnt lgkmcnt(0)
	v_xor_b32_e32 v231, 0x80000000, v225
	v_xor_b32_e32 v233, 0x80000000, v227
	v_cmp_gt_f64_e32 vcc, 0, v[226:227]
	v_cmp_gt_f64_e64 s[0:1], 0, v[224:225]
	v_mov_b32_e32 v230, v224
	v_mov_b32_e32 v232, v226
	v_cndmask_b32_e64 v231, v225, v231, s[0:1]
	v_cndmask_b32_e32 v233, v227, v233, vcc
	v_add_f64 v[230:231], v[230:231], v[232:233]
	v_mov_b32_e32 v234, s16
	s_add_i32 s16, s16, 1
	v_cmp_lt_f64_e32 vcc, v[228:229], v[230:231]
	v_add_u32_e32 v219, 16, v219
	s_cmp_lg_u32 s20, s16
	v_cndmask_b32_e32 v209, v209, v225, vcc
	v_cndmask_b32_e32 v208, v208, v224, vcc
	;; [unrolled: 1-line block ×5, first 2 shown]
	s_cbranch_scc1 .LBB102_316
.LBB102_317:
	s_waitcnt lgkmcnt(0)
	v_cmp_eq_f64_e32 vcc, 0, v[208:209]
	v_cmp_eq_f64_e64 s[0:1], 0, v[210:211]
	s_and_b64 s[0:1], vcc, s[0:1]
	s_and_saveexec_b64 s[16:17], s[0:1]
	s_xor_b64 s[0:1], exec, s[16:17]
; %bb.318:
	v_cmp_ne_u32_e32 vcc, 0, v222
	s_nop 1
	v_cndmask_b32_e32 v222, 16, v222, vcc
; %bb.319:
	s_andn2_saveexec_b64 s[0:1], s[0:1]
	s_cbranch_execz .LBB102_325
; %bb.320:
	v_cmp_ngt_f64_e64 s[16:17], |v[208:209]|, |v[210:211]|
	s_and_saveexec_b64 s[18:19], s[16:17]
	s_xor_b64 s[16:17], exec, s[18:19]
	s_cbranch_execz .LBB102_322
; %bb.321:
	v_div_scale_f64 v[224:225], s[18:19], v[210:211], v[210:211], v[208:209]
	v_rcp_f64_e32 v[226:227], v[224:225]
	v_div_scale_f64 v[228:229], vcc, v[208:209], v[210:211], v[208:209]
	v_fma_f64 v[230:231], -v[224:225], v[226:227], 1.0
	v_fmac_f64_e32 v[226:227], v[226:227], v[230:231]
	v_fma_f64 v[230:231], -v[224:225], v[226:227], 1.0
	v_fmac_f64_e32 v[226:227], v[226:227], v[230:231]
	v_mul_f64 v[230:231], v[228:229], v[226:227]
	v_fma_f64 v[224:225], -v[224:225], v[230:231], v[228:229]
	v_div_fmas_f64 v[224:225], v[224:225], v[226:227], v[230:231]
	v_div_fixup_f64 v[224:225], v[224:225], v[210:211], v[208:209]
	v_fmac_f64_e32 v[210:211], v[208:209], v[224:225]
	v_div_scale_f64 v[208:209], s[18:19], v[210:211], v[210:211], 1.0
	v_rcp_f64_e32 v[226:227], v[208:209]
	s_nop 0
	v_fma_f64 v[228:229], -v[208:209], v[226:227], 1.0
	v_fmac_f64_e32 v[226:227], v[226:227], v[228:229]
	v_fma_f64 v[228:229], -v[208:209], v[226:227], 1.0
	v_fmac_f64_e32 v[226:227], v[226:227], v[228:229]
	v_div_scale_f64 v[228:229], vcc, 1.0, v[210:211], 1.0
	v_mul_f64 v[230:231], v[228:229], v[226:227]
	v_fma_f64 v[208:209], -v[208:209], v[230:231], v[228:229]
	s_nop 1
	v_div_fmas_f64 v[208:209], v[208:209], v[226:227], v[230:231]
	v_div_fixup_f64 v[210:211], v[208:209], v[210:211], 1.0
	v_mul_f64 v[208:209], v[224:225], v[210:211]
	v_xor_b32_e32 v211, 0x80000000, v211
.LBB102_322:
	s_andn2_saveexec_b64 s[16:17], s[16:17]
	s_cbranch_execz .LBB102_324
; %bb.323:
	v_div_scale_f64 v[224:225], s[18:19], v[208:209], v[208:209], v[210:211]
	v_rcp_f64_e32 v[226:227], v[224:225]
	v_div_scale_f64 v[228:229], vcc, v[210:211], v[208:209], v[210:211]
	v_fma_f64 v[230:231], -v[224:225], v[226:227], 1.0
	v_fmac_f64_e32 v[226:227], v[226:227], v[230:231]
	v_fma_f64 v[230:231], -v[224:225], v[226:227], 1.0
	v_fmac_f64_e32 v[226:227], v[226:227], v[230:231]
	v_mul_f64 v[230:231], v[228:229], v[226:227]
	v_fma_f64 v[224:225], -v[224:225], v[230:231], v[228:229]
	v_div_fmas_f64 v[224:225], v[224:225], v[226:227], v[230:231]
	v_div_fixup_f64 v[224:225], v[224:225], v[208:209], v[210:211]
	v_fmac_f64_e32 v[208:209], v[210:211], v[224:225]
	v_div_scale_f64 v[210:211], s[18:19], v[208:209], v[208:209], 1.0
	v_rcp_f64_e32 v[226:227], v[210:211]
	s_nop 0
	v_fma_f64 v[228:229], -v[210:211], v[226:227], 1.0
	v_fmac_f64_e32 v[226:227], v[226:227], v[228:229]
	v_fma_f64 v[228:229], -v[210:211], v[226:227], 1.0
	v_fmac_f64_e32 v[226:227], v[226:227], v[228:229]
	v_div_scale_f64 v[228:229], vcc, 1.0, v[208:209], 1.0
	v_mul_f64 v[230:231], v[228:229], v[226:227]
	v_fma_f64 v[210:211], -v[210:211], v[230:231], v[228:229]
	s_nop 1
	v_div_fmas_f64 v[210:211], v[210:211], v[226:227], v[230:231]
	v_div_fixup_f64 v[208:209], v[210:211], v[208:209], 1.0
	v_mul_f64 v[210:211], v[224:225], -v[208:209]
.LBB102_324:
	s_or_b64 exec, exec, s[16:17]
.LBB102_325:
	s_or_b64 exec, exec, s[0:1]
	v_cmp_ne_u32_e32 vcc, v221, v218
	s_and_saveexec_b64 s[0:1], vcc
	s_xor_b64 s[0:1], exec, s[0:1]
	s_cbranch_execz .LBB102_331
; %bb.326:
	v_cmp_eq_u32_e32 vcc, 15, v221
	s_and_saveexec_b64 s[16:17], vcc
	s_cbranch_execz .LBB102_330
; %bb.327:
	v_cmp_ne_u32_e32 vcc, 15, v218
	s_xor_b64 s[18:19], s[14:15], -1
	s_and_b64 s[22:23], s[18:19], vcc
	s_and_saveexec_b64 s[18:19], s[22:23]
	s_cbranch_execz .LBB102_329
; %bb.328:
	v_ashrrev_i32_e32 v219, 31, v218
	v_lshl_add_u64 v[224:225], v[218:219], 2, v[216:217]
	global_load_dword v219, v[224:225], off
	global_load_dword v221, v[216:217], off offset:60
	s_waitcnt vmcnt(1)
	global_store_dword v[216:217], v219, off offset:60
	s_waitcnt vmcnt(1)
	global_store_dword v[224:225], v221, off
.LBB102_329:
	s_or_b64 exec, exec, s[18:19]
	v_mov_b32_e32 v221, v218
	v_mov_b32_e32 v223, v218
.LBB102_330:
	s_or_b64 exec, exec, s[16:17]
.LBB102_331:
	s_andn2_saveexec_b64 s[0:1], s[0:1]
	s_cbranch_execz .LBB102_333
; %bb.332:
	v_mov_b32_e32 v221, 15
	s_waitcnt vmcnt(35)
	ds_write2_b64 v220, v[144:145], v[146:147] offset0:32 offset1:33
	s_waitcnt vmcnt(34)
	ds_write2_b64 v220, v[132:133], v[134:135] offset0:34 offset1:35
	;; [unrolled: 2-line block ×36, first 2 shown]
.LBB102_333:
	s_or_b64 exec, exec, s[0:1]
	v_cmp_lt_i32_e32 vcc, 15, v221
	s_waitcnt lgkmcnt(0)
	s_barrier
	s_and_saveexec_b64 s[0:1], vcc
	s_cbranch_execz .LBB102_335
; %bb.334:
	ds_read2_b64 v[224:227], v220 offset0:32 offset1:33
	v_mul_f64 v[218:219], v[210:211], v[150:151]
	v_mul_f64 v[150:151], v[208:209], v[150:151]
	v_fma_f64 v[218:219], v[208:209], v[148:149], -v[218:219]
	v_fmac_f64_e32 v[150:151], v[210:211], v[148:149]
	ds_read2_b64 v[208:211], v220 offset0:34 offset1:35
	s_waitcnt lgkmcnt(1)
	v_mul_f64 v[148:149], v[226:227], v[150:151]
	v_fma_f64 v[148:149], v[224:225], v[218:219], -v[148:149]
	v_mul_f64 v[224:225], v[224:225], v[150:151]
	v_fmac_f64_e32 v[224:225], v[226:227], v[218:219]
	s_waitcnt vmcnt(35)
	v_add_f64 v[144:145], v[144:145], -v[148:149]
	s_waitcnt lgkmcnt(0)
	v_mul_f64 v[148:149], v[210:211], v[150:151]
	v_add_f64 v[146:147], v[146:147], -v[224:225]
	v_fma_f64 v[148:149], v[208:209], v[218:219], -v[148:149]
	v_mul_f64 v[208:209], v[208:209], v[150:151]
	ds_read2_b64 v[224:227], v220 offset0:36 offset1:37
	v_fmac_f64_e32 v[208:209], v[210:211], v[218:219]
	s_waitcnt vmcnt(34)
	v_add_f64 v[134:135], v[134:135], -v[208:209]
	ds_read2_b64 v[208:211], v220 offset0:38 offset1:39
	v_add_f64 v[132:133], v[132:133], -v[148:149]
	s_waitcnt lgkmcnt(1)
	v_mul_f64 v[148:149], v[226:227], v[150:151]
	v_fma_f64 v[148:149], v[224:225], v[218:219], -v[148:149]
	v_mul_f64 v[224:225], v[224:225], v[150:151]
	v_fmac_f64_e32 v[224:225], v[226:227], v[218:219]
	s_waitcnt vmcnt(33)
	v_add_f64 v[128:129], v[128:129], -v[148:149]
	s_waitcnt lgkmcnt(0)
	v_mul_f64 v[148:149], v[210:211], v[150:151]
	v_add_f64 v[130:131], v[130:131], -v[224:225]
	v_fma_f64 v[148:149], v[208:209], v[218:219], -v[148:149]
	v_mul_f64 v[208:209], v[208:209], v[150:151]
	ds_read2_b64 v[224:227], v220 offset0:40 offset1:41
	v_fmac_f64_e32 v[208:209], v[210:211], v[218:219]
	s_waitcnt vmcnt(32)
	v_add_f64 v[126:127], v[126:127], -v[208:209]
	ds_read2_b64 v[208:211], v220 offset0:42 offset1:43
	v_add_f64 v[124:125], v[124:125], -v[148:149]
	;; [unrolled: 18-line block ×17, first 2 shown]
	s_waitcnt lgkmcnt(1)
	v_mul_f64 v[148:149], v[226:227], v[150:151]
	v_fma_f64 v[148:149], v[224:225], v[218:219], -v[148:149]
	s_waitcnt vmcnt(1)
	v_add_f64 v[0:1], v[0:1], -v[148:149]
	s_waitcnt lgkmcnt(0)
	v_mul_f64 v[148:149], v[210:211], v[150:151]
	v_mul_f64 v[224:225], v[224:225], v[150:151]
	v_fma_f64 v[148:149], v[208:209], v[218:219], -v[148:149]
	v_mul_f64 v[208:209], v[208:209], v[150:151]
	v_fmac_f64_e32 v[224:225], v[226:227], v[218:219]
	v_fmac_f64_e32 v[208:209], v[210:211], v[218:219]
	v_add_f64 v[2:3], v[2:3], -v[224:225]
	s_waitcnt vmcnt(0)
	v_add_f64 v[204:205], v[204:205], -v[148:149]
	v_add_f64 v[206:207], v[206:207], -v[208:209]
	v_mov_b64_e32 v[148:149], v[218:219]
.LBB102_335:
	s_or_b64 exec, exec, s[0:1]
	v_lshl_add_u32 v208, v221, 4, v220
	s_barrier
	s_waitcnt vmcnt(35)
	ds_write2_b64 v208, v[144:145], v[146:147] offset1:1
	s_waitcnt lgkmcnt(0)
	s_barrier
	ds_read2_b64 v[208:211], v220 offset0:32 offset1:33
	s_cmp_lt_i32 s20, 18
	v_mov_b32_e32 v218, 16
	s_cbranch_scc1 .LBB102_338
; %bb.336:
	v_add_u32_e32 v219, 0x110, v220
	s_mov_b32 s16, 17
	v_mov_b32_e32 v218, 16
.LBB102_337:                            ; =>This Inner Loop Header: Depth=1
	ds_read2_b64 v[224:227], v219 offset1:1
	s_waitcnt lgkmcnt(1)
	v_xor_b32_e32 v229, 0x80000000, v209
	v_xor_b32_e32 v231, 0x80000000, v211
	v_cmp_gt_f64_e32 vcc, 0, v[210:211]
	v_cmp_gt_f64_e64 s[0:1], 0, v[208:209]
	v_mov_b32_e32 v228, v208
	v_mov_b32_e32 v230, v210
	v_cndmask_b32_e64 v229, v209, v229, s[0:1]
	v_cndmask_b32_e32 v231, v211, v231, vcc
	v_add_f64 v[228:229], v[228:229], v[230:231]
	s_waitcnt lgkmcnt(0)
	v_xor_b32_e32 v231, 0x80000000, v225
	v_xor_b32_e32 v233, 0x80000000, v227
	v_cmp_gt_f64_e32 vcc, 0, v[226:227]
	v_cmp_gt_f64_e64 s[0:1], 0, v[224:225]
	v_mov_b32_e32 v230, v224
	v_mov_b32_e32 v232, v226
	v_cndmask_b32_e64 v231, v225, v231, s[0:1]
	v_cndmask_b32_e32 v233, v227, v233, vcc
	v_add_f64 v[230:231], v[230:231], v[232:233]
	v_mov_b32_e32 v234, s16
	s_add_i32 s16, s16, 1
	v_cmp_lt_f64_e32 vcc, v[228:229], v[230:231]
	v_add_u32_e32 v219, 16, v219
	s_cmp_lg_u32 s20, s16
	v_cndmask_b32_e32 v209, v209, v225, vcc
	v_cndmask_b32_e32 v208, v208, v224, vcc
	;; [unrolled: 1-line block ×5, first 2 shown]
	s_cbranch_scc1 .LBB102_337
.LBB102_338:
	s_waitcnt lgkmcnt(0)
	v_cmp_eq_f64_e32 vcc, 0, v[208:209]
	v_cmp_eq_f64_e64 s[0:1], 0, v[210:211]
	s_and_b64 s[0:1], vcc, s[0:1]
	s_and_saveexec_b64 s[16:17], s[0:1]
	s_xor_b64 s[0:1], exec, s[16:17]
; %bb.339:
	v_cmp_ne_u32_e32 vcc, 0, v222
	s_nop 1
	v_cndmask_b32_e32 v222, 17, v222, vcc
; %bb.340:
	s_andn2_saveexec_b64 s[0:1], s[0:1]
	s_cbranch_execz .LBB102_346
; %bb.341:
	v_cmp_ngt_f64_e64 s[16:17], |v[208:209]|, |v[210:211]|
	s_and_saveexec_b64 s[18:19], s[16:17]
	s_xor_b64 s[16:17], exec, s[18:19]
	s_cbranch_execz .LBB102_343
; %bb.342:
	v_div_scale_f64 v[224:225], s[18:19], v[210:211], v[210:211], v[208:209]
	v_rcp_f64_e32 v[226:227], v[224:225]
	v_div_scale_f64 v[228:229], vcc, v[208:209], v[210:211], v[208:209]
	v_fma_f64 v[230:231], -v[224:225], v[226:227], 1.0
	v_fmac_f64_e32 v[226:227], v[226:227], v[230:231]
	v_fma_f64 v[230:231], -v[224:225], v[226:227], 1.0
	v_fmac_f64_e32 v[226:227], v[226:227], v[230:231]
	v_mul_f64 v[230:231], v[228:229], v[226:227]
	v_fma_f64 v[224:225], -v[224:225], v[230:231], v[228:229]
	v_div_fmas_f64 v[224:225], v[224:225], v[226:227], v[230:231]
	v_div_fixup_f64 v[224:225], v[224:225], v[210:211], v[208:209]
	v_fmac_f64_e32 v[210:211], v[208:209], v[224:225]
	v_div_scale_f64 v[208:209], s[18:19], v[210:211], v[210:211], 1.0
	v_rcp_f64_e32 v[226:227], v[208:209]
	s_nop 0
	v_fma_f64 v[228:229], -v[208:209], v[226:227], 1.0
	v_fmac_f64_e32 v[226:227], v[226:227], v[228:229]
	v_fma_f64 v[228:229], -v[208:209], v[226:227], 1.0
	v_fmac_f64_e32 v[226:227], v[226:227], v[228:229]
	v_div_scale_f64 v[228:229], vcc, 1.0, v[210:211], 1.0
	v_mul_f64 v[230:231], v[228:229], v[226:227]
	v_fma_f64 v[208:209], -v[208:209], v[230:231], v[228:229]
	s_nop 1
	v_div_fmas_f64 v[208:209], v[208:209], v[226:227], v[230:231]
	v_div_fixup_f64 v[210:211], v[208:209], v[210:211], 1.0
	v_mul_f64 v[208:209], v[224:225], v[210:211]
	v_xor_b32_e32 v211, 0x80000000, v211
.LBB102_343:
	s_andn2_saveexec_b64 s[16:17], s[16:17]
	s_cbranch_execz .LBB102_345
; %bb.344:
	v_div_scale_f64 v[224:225], s[18:19], v[208:209], v[208:209], v[210:211]
	v_rcp_f64_e32 v[226:227], v[224:225]
	v_div_scale_f64 v[228:229], vcc, v[210:211], v[208:209], v[210:211]
	v_fma_f64 v[230:231], -v[224:225], v[226:227], 1.0
	v_fmac_f64_e32 v[226:227], v[226:227], v[230:231]
	v_fma_f64 v[230:231], -v[224:225], v[226:227], 1.0
	v_fmac_f64_e32 v[226:227], v[226:227], v[230:231]
	v_mul_f64 v[230:231], v[228:229], v[226:227]
	v_fma_f64 v[224:225], -v[224:225], v[230:231], v[228:229]
	v_div_fmas_f64 v[224:225], v[224:225], v[226:227], v[230:231]
	v_div_fixup_f64 v[224:225], v[224:225], v[208:209], v[210:211]
	v_fmac_f64_e32 v[208:209], v[210:211], v[224:225]
	v_div_scale_f64 v[210:211], s[18:19], v[208:209], v[208:209], 1.0
	v_rcp_f64_e32 v[226:227], v[210:211]
	s_nop 0
	v_fma_f64 v[228:229], -v[210:211], v[226:227], 1.0
	v_fmac_f64_e32 v[226:227], v[226:227], v[228:229]
	v_fma_f64 v[228:229], -v[210:211], v[226:227], 1.0
	v_fmac_f64_e32 v[226:227], v[226:227], v[228:229]
	v_div_scale_f64 v[228:229], vcc, 1.0, v[208:209], 1.0
	v_mul_f64 v[230:231], v[228:229], v[226:227]
	v_fma_f64 v[210:211], -v[210:211], v[230:231], v[228:229]
	s_nop 1
	v_div_fmas_f64 v[210:211], v[210:211], v[226:227], v[230:231]
	v_div_fixup_f64 v[208:209], v[210:211], v[208:209], 1.0
	v_mul_f64 v[210:211], v[224:225], -v[208:209]
.LBB102_345:
	s_or_b64 exec, exec, s[16:17]
.LBB102_346:
	s_or_b64 exec, exec, s[0:1]
	v_cmp_ne_u32_e32 vcc, v221, v218
	s_and_saveexec_b64 s[0:1], vcc
	s_xor_b64 s[0:1], exec, s[0:1]
	s_cbranch_execz .LBB102_352
; %bb.347:
	v_cmp_eq_u32_e32 vcc, 16, v221
	s_and_saveexec_b64 s[16:17], vcc
	s_cbranch_execz .LBB102_351
; %bb.348:
	v_cmp_ne_u32_e32 vcc, 16, v218
	s_xor_b64 s[18:19], s[14:15], -1
	s_and_b64 s[22:23], s[18:19], vcc
	s_and_saveexec_b64 s[18:19], s[22:23]
	s_cbranch_execz .LBB102_350
; %bb.349:
	v_ashrrev_i32_e32 v219, 31, v218
	v_lshl_add_u64 v[224:225], v[218:219], 2, v[216:217]
	global_load_dword v219, v[224:225], off
	global_load_dword v221, v[216:217], off offset:64
	s_waitcnt vmcnt(1)
	global_store_dword v[216:217], v219, off offset:64
	s_waitcnt vmcnt(1)
	global_store_dword v[224:225], v221, off
.LBB102_350:
	s_or_b64 exec, exec, s[18:19]
	v_mov_b32_e32 v221, v218
	v_mov_b32_e32 v223, v218
.LBB102_351:
	s_or_b64 exec, exec, s[16:17]
.LBB102_352:
	s_andn2_saveexec_b64 s[0:1], s[0:1]
	s_cbranch_execz .LBB102_354
; %bb.353:
	v_mov_b32_e32 v221, 16
	s_waitcnt vmcnt(34)
	ds_write2_b64 v220, v[132:133], v[134:135] offset0:34 offset1:35
	s_waitcnt vmcnt(33)
	ds_write2_b64 v220, v[128:129], v[130:131] offset0:36 offset1:37
	;; [unrolled: 2-line block ×35, first 2 shown]
.LBB102_354:
	s_or_b64 exec, exec, s[0:1]
	v_cmp_lt_i32_e32 vcc, 16, v221
	s_waitcnt lgkmcnt(0)
	s_barrier
	s_and_saveexec_b64 s[0:1], vcc
	s_cbranch_execz .LBB102_356
; %bb.355:
	ds_read2_b64 v[224:227], v220 offset0:34 offset1:35
	v_mul_f64 v[218:219], v[210:211], v[146:147]
	v_mul_f64 v[146:147], v[208:209], v[146:147]
	v_fmac_f64_e32 v[146:147], v[210:211], v[144:145]
	v_fma_f64 v[218:219], v[208:209], v[144:145], -v[218:219]
	ds_read2_b64 v[208:211], v220 offset0:36 offset1:37
	s_waitcnt lgkmcnt(1)
	v_mul_f64 v[144:145], v[226:227], v[146:147]
	v_fma_f64 v[144:145], v[224:225], v[218:219], -v[144:145]
	v_mul_f64 v[224:225], v[224:225], v[146:147]
	v_fmac_f64_e32 v[224:225], v[226:227], v[218:219]
	s_waitcnt vmcnt(34)
	v_add_f64 v[134:135], v[134:135], -v[224:225]
	ds_read2_b64 v[224:227], v220 offset0:38 offset1:39
	v_add_f64 v[132:133], v[132:133], -v[144:145]
	s_waitcnt lgkmcnt(1)
	v_mul_f64 v[144:145], v[210:211], v[146:147]
	v_fma_f64 v[144:145], v[208:209], v[218:219], -v[144:145]
	v_mul_f64 v[208:209], v[208:209], v[146:147]
	v_fmac_f64_e32 v[208:209], v[210:211], v[218:219]
	s_waitcnt vmcnt(33)
	v_add_f64 v[128:129], v[128:129], -v[144:145]
	v_add_f64 v[130:131], v[130:131], -v[208:209]
	ds_read2_b64 v[208:211], v220 offset0:40 offset1:41
	s_waitcnt lgkmcnt(1)
	v_mul_f64 v[144:145], v[226:227], v[146:147]
	v_fma_f64 v[144:145], v[224:225], v[218:219], -v[144:145]
	v_mul_f64 v[224:225], v[224:225], v[146:147]
	v_fmac_f64_e32 v[224:225], v[226:227], v[218:219]
	s_waitcnt vmcnt(32)
	v_add_f64 v[126:127], v[126:127], -v[224:225]
	ds_read2_b64 v[224:227], v220 offset0:42 offset1:43
	v_add_f64 v[124:125], v[124:125], -v[144:145]
	s_waitcnt lgkmcnt(1)
	v_mul_f64 v[144:145], v[210:211], v[146:147]
	v_fma_f64 v[144:145], v[208:209], v[218:219], -v[144:145]
	v_mul_f64 v[208:209], v[208:209], v[146:147]
	v_fmac_f64_e32 v[208:209], v[210:211], v[218:219]
	s_waitcnt vmcnt(31)
	v_add_f64 v[120:121], v[120:121], -v[144:145]
	v_add_f64 v[122:123], v[122:123], -v[208:209]
	;; [unrolled: 18-line block ×17, first 2 shown]
	s_waitcnt lgkmcnt(0)
	v_mul_f64 v[144:145], v[226:227], v[146:147]
	v_mul_f64 v[208:209], v[224:225], v[146:147]
	v_fma_f64 v[144:145], v[224:225], v[218:219], -v[144:145]
	v_fmac_f64_e32 v[208:209], v[226:227], v[218:219]
	s_waitcnt vmcnt(0)
	v_add_f64 v[204:205], v[204:205], -v[144:145]
	v_add_f64 v[206:207], v[206:207], -v[208:209]
	v_mov_b64_e32 v[144:145], v[218:219]
.LBB102_356:
	s_or_b64 exec, exec, s[0:1]
	v_lshl_add_u32 v208, v221, 4, v220
	s_barrier
	s_waitcnt vmcnt(34)
	ds_write2_b64 v208, v[132:133], v[134:135] offset1:1
	s_waitcnt lgkmcnt(0)
	s_barrier
	ds_read2_b64 v[208:211], v220 offset0:34 offset1:35
	s_cmp_lt_i32 s20, 19
	v_mov_b32_e32 v218, 17
	s_cbranch_scc1 .LBB102_359
; %bb.357:
	v_add_u32_e32 v219, 0x120, v220
	s_mov_b32 s16, 18
	v_mov_b32_e32 v218, 17
.LBB102_358:                            ; =>This Inner Loop Header: Depth=1
	ds_read2_b64 v[224:227], v219 offset1:1
	s_waitcnt lgkmcnt(1)
	v_xor_b32_e32 v229, 0x80000000, v209
	v_xor_b32_e32 v231, 0x80000000, v211
	v_cmp_gt_f64_e32 vcc, 0, v[210:211]
	v_cmp_gt_f64_e64 s[0:1], 0, v[208:209]
	v_mov_b32_e32 v228, v208
	v_mov_b32_e32 v230, v210
	v_cndmask_b32_e64 v229, v209, v229, s[0:1]
	v_cndmask_b32_e32 v231, v211, v231, vcc
	v_add_f64 v[228:229], v[228:229], v[230:231]
	s_waitcnt lgkmcnt(0)
	v_xor_b32_e32 v231, 0x80000000, v225
	v_xor_b32_e32 v233, 0x80000000, v227
	v_cmp_gt_f64_e32 vcc, 0, v[226:227]
	v_cmp_gt_f64_e64 s[0:1], 0, v[224:225]
	v_mov_b32_e32 v230, v224
	v_mov_b32_e32 v232, v226
	v_cndmask_b32_e64 v231, v225, v231, s[0:1]
	v_cndmask_b32_e32 v233, v227, v233, vcc
	v_add_f64 v[230:231], v[230:231], v[232:233]
	v_mov_b32_e32 v234, s16
	s_add_i32 s16, s16, 1
	v_cmp_lt_f64_e32 vcc, v[228:229], v[230:231]
	v_add_u32_e32 v219, 16, v219
	s_cmp_lg_u32 s20, s16
	v_cndmask_b32_e32 v209, v209, v225, vcc
	v_cndmask_b32_e32 v208, v208, v224, vcc
	;; [unrolled: 1-line block ×5, first 2 shown]
	s_cbranch_scc1 .LBB102_358
.LBB102_359:
	s_waitcnt lgkmcnt(0)
	v_cmp_eq_f64_e32 vcc, 0, v[208:209]
	v_cmp_eq_f64_e64 s[0:1], 0, v[210:211]
	s_and_b64 s[0:1], vcc, s[0:1]
	s_and_saveexec_b64 s[16:17], s[0:1]
	s_xor_b64 s[0:1], exec, s[16:17]
; %bb.360:
	v_cmp_ne_u32_e32 vcc, 0, v222
	s_nop 1
	v_cndmask_b32_e32 v222, 18, v222, vcc
; %bb.361:
	s_andn2_saveexec_b64 s[0:1], s[0:1]
	s_cbranch_execz .LBB102_367
; %bb.362:
	v_cmp_ngt_f64_e64 s[16:17], |v[208:209]|, |v[210:211]|
	s_and_saveexec_b64 s[18:19], s[16:17]
	s_xor_b64 s[16:17], exec, s[18:19]
	s_cbranch_execz .LBB102_364
; %bb.363:
	v_div_scale_f64 v[224:225], s[18:19], v[210:211], v[210:211], v[208:209]
	v_rcp_f64_e32 v[226:227], v[224:225]
	v_div_scale_f64 v[228:229], vcc, v[208:209], v[210:211], v[208:209]
	v_fma_f64 v[230:231], -v[224:225], v[226:227], 1.0
	v_fmac_f64_e32 v[226:227], v[226:227], v[230:231]
	v_fma_f64 v[230:231], -v[224:225], v[226:227], 1.0
	v_fmac_f64_e32 v[226:227], v[226:227], v[230:231]
	v_mul_f64 v[230:231], v[228:229], v[226:227]
	v_fma_f64 v[224:225], -v[224:225], v[230:231], v[228:229]
	v_div_fmas_f64 v[224:225], v[224:225], v[226:227], v[230:231]
	v_div_fixup_f64 v[224:225], v[224:225], v[210:211], v[208:209]
	v_fmac_f64_e32 v[210:211], v[208:209], v[224:225]
	v_div_scale_f64 v[208:209], s[18:19], v[210:211], v[210:211], 1.0
	v_rcp_f64_e32 v[226:227], v[208:209]
	s_nop 0
	v_fma_f64 v[228:229], -v[208:209], v[226:227], 1.0
	v_fmac_f64_e32 v[226:227], v[226:227], v[228:229]
	v_fma_f64 v[228:229], -v[208:209], v[226:227], 1.0
	v_fmac_f64_e32 v[226:227], v[226:227], v[228:229]
	v_div_scale_f64 v[228:229], vcc, 1.0, v[210:211], 1.0
	v_mul_f64 v[230:231], v[228:229], v[226:227]
	v_fma_f64 v[208:209], -v[208:209], v[230:231], v[228:229]
	s_nop 1
	v_div_fmas_f64 v[208:209], v[208:209], v[226:227], v[230:231]
	v_div_fixup_f64 v[210:211], v[208:209], v[210:211], 1.0
	v_mul_f64 v[208:209], v[224:225], v[210:211]
	v_xor_b32_e32 v211, 0x80000000, v211
.LBB102_364:
	s_andn2_saveexec_b64 s[16:17], s[16:17]
	s_cbranch_execz .LBB102_366
; %bb.365:
	v_div_scale_f64 v[224:225], s[18:19], v[208:209], v[208:209], v[210:211]
	v_rcp_f64_e32 v[226:227], v[224:225]
	v_div_scale_f64 v[228:229], vcc, v[210:211], v[208:209], v[210:211]
	v_fma_f64 v[230:231], -v[224:225], v[226:227], 1.0
	v_fmac_f64_e32 v[226:227], v[226:227], v[230:231]
	v_fma_f64 v[230:231], -v[224:225], v[226:227], 1.0
	v_fmac_f64_e32 v[226:227], v[226:227], v[230:231]
	v_mul_f64 v[230:231], v[228:229], v[226:227]
	v_fma_f64 v[224:225], -v[224:225], v[230:231], v[228:229]
	v_div_fmas_f64 v[224:225], v[224:225], v[226:227], v[230:231]
	v_div_fixup_f64 v[224:225], v[224:225], v[208:209], v[210:211]
	v_fmac_f64_e32 v[208:209], v[210:211], v[224:225]
	v_div_scale_f64 v[210:211], s[18:19], v[208:209], v[208:209], 1.0
	v_rcp_f64_e32 v[226:227], v[210:211]
	s_nop 0
	v_fma_f64 v[228:229], -v[210:211], v[226:227], 1.0
	v_fmac_f64_e32 v[226:227], v[226:227], v[228:229]
	v_fma_f64 v[228:229], -v[210:211], v[226:227], 1.0
	v_fmac_f64_e32 v[226:227], v[226:227], v[228:229]
	v_div_scale_f64 v[228:229], vcc, 1.0, v[208:209], 1.0
	v_mul_f64 v[230:231], v[228:229], v[226:227]
	v_fma_f64 v[210:211], -v[210:211], v[230:231], v[228:229]
	s_nop 1
	v_div_fmas_f64 v[210:211], v[210:211], v[226:227], v[230:231]
	v_div_fixup_f64 v[208:209], v[210:211], v[208:209], 1.0
	v_mul_f64 v[210:211], v[224:225], -v[208:209]
.LBB102_366:
	s_or_b64 exec, exec, s[16:17]
.LBB102_367:
	s_or_b64 exec, exec, s[0:1]
	v_cmp_ne_u32_e32 vcc, v221, v218
	s_and_saveexec_b64 s[0:1], vcc
	s_xor_b64 s[0:1], exec, s[0:1]
	s_cbranch_execz .LBB102_373
; %bb.368:
	v_cmp_eq_u32_e32 vcc, 17, v221
	s_and_saveexec_b64 s[16:17], vcc
	s_cbranch_execz .LBB102_372
; %bb.369:
	v_cmp_ne_u32_e32 vcc, 17, v218
	s_xor_b64 s[18:19], s[14:15], -1
	s_and_b64 s[22:23], s[18:19], vcc
	s_and_saveexec_b64 s[18:19], s[22:23]
	s_cbranch_execz .LBB102_371
; %bb.370:
	v_ashrrev_i32_e32 v219, 31, v218
	v_lshl_add_u64 v[224:225], v[218:219], 2, v[216:217]
	global_load_dword v219, v[224:225], off
	global_load_dword v221, v[216:217], off offset:68
	s_waitcnt vmcnt(1)
	global_store_dword v[216:217], v219, off offset:68
	s_waitcnt vmcnt(1)
	global_store_dword v[224:225], v221, off
.LBB102_371:
	s_or_b64 exec, exec, s[18:19]
	v_mov_b32_e32 v221, v218
	v_mov_b32_e32 v223, v218
.LBB102_372:
	s_or_b64 exec, exec, s[16:17]
.LBB102_373:
	s_andn2_saveexec_b64 s[0:1], s[0:1]
	s_cbranch_execz .LBB102_375
; %bb.374:
	v_mov_b32_e32 v221, 17
	s_waitcnt vmcnt(33)
	ds_write2_b64 v220, v[128:129], v[130:131] offset0:36 offset1:37
	s_waitcnt vmcnt(32)
	ds_write2_b64 v220, v[124:125], v[126:127] offset0:38 offset1:39
	;; [unrolled: 2-line block ×34, first 2 shown]
.LBB102_375:
	s_or_b64 exec, exec, s[0:1]
	v_cmp_lt_i32_e32 vcc, 17, v221
	s_waitcnt lgkmcnt(0)
	s_barrier
	s_and_saveexec_b64 s[0:1], vcc
	s_cbranch_execz .LBB102_377
; %bb.376:
	ds_read2_b64 v[224:227], v220 offset0:36 offset1:37
	v_mul_f64 v[218:219], v[210:211], v[134:135]
	v_mul_f64 v[134:135], v[208:209], v[134:135]
	v_fma_f64 v[218:219], v[208:209], v[132:133], -v[218:219]
	v_fmac_f64_e32 v[134:135], v[210:211], v[132:133]
	ds_read2_b64 v[208:211], v220 offset0:38 offset1:39
	s_waitcnt lgkmcnt(1)
	v_mul_f64 v[132:133], v[226:227], v[134:135]
	v_fma_f64 v[132:133], v[224:225], v[218:219], -v[132:133]
	v_mul_f64 v[224:225], v[224:225], v[134:135]
	v_fmac_f64_e32 v[224:225], v[226:227], v[218:219]
	s_waitcnt vmcnt(33)
	v_add_f64 v[128:129], v[128:129], -v[132:133]
	s_waitcnt lgkmcnt(0)
	v_mul_f64 v[132:133], v[210:211], v[134:135]
	v_add_f64 v[130:131], v[130:131], -v[224:225]
	v_fma_f64 v[132:133], v[208:209], v[218:219], -v[132:133]
	v_mul_f64 v[208:209], v[208:209], v[134:135]
	ds_read2_b64 v[224:227], v220 offset0:40 offset1:41
	v_fmac_f64_e32 v[208:209], v[210:211], v[218:219]
	s_waitcnt vmcnt(32)
	v_add_f64 v[126:127], v[126:127], -v[208:209]
	ds_read2_b64 v[208:211], v220 offset0:42 offset1:43
	v_add_f64 v[124:125], v[124:125], -v[132:133]
	s_waitcnt lgkmcnt(1)
	v_mul_f64 v[132:133], v[226:227], v[134:135]
	v_fma_f64 v[132:133], v[224:225], v[218:219], -v[132:133]
	v_mul_f64 v[224:225], v[224:225], v[134:135]
	v_fmac_f64_e32 v[224:225], v[226:227], v[218:219]
	s_waitcnt vmcnt(31)
	v_add_f64 v[120:121], v[120:121], -v[132:133]
	s_waitcnt lgkmcnt(0)
	v_mul_f64 v[132:133], v[210:211], v[134:135]
	v_add_f64 v[122:123], v[122:123], -v[224:225]
	v_fma_f64 v[132:133], v[208:209], v[218:219], -v[132:133]
	v_mul_f64 v[208:209], v[208:209], v[134:135]
	ds_read2_b64 v[224:227], v220 offset0:44 offset1:45
	v_fmac_f64_e32 v[208:209], v[210:211], v[218:219]
	s_waitcnt vmcnt(30)
	v_add_f64 v[118:119], v[118:119], -v[208:209]
	ds_read2_b64 v[208:211], v220 offset0:46 offset1:47
	v_add_f64 v[116:117], v[116:117], -v[132:133]
	;; [unrolled: 18-line block ×16, first 2 shown]
	s_waitcnt lgkmcnt(1)
	v_mul_f64 v[132:133], v[226:227], v[134:135]
	v_fma_f64 v[132:133], v[224:225], v[218:219], -v[132:133]
	s_waitcnt vmcnt(1)
	v_add_f64 v[0:1], v[0:1], -v[132:133]
	s_waitcnt lgkmcnt(0)
	v_mul_f64 v[132:133], v[210:211], v[134:135]
	v_mul_f64 v[224:225], v[224:225], v[134:135]
	v_fma_f64 v[132:133], v[208:209], v[218:219], -v[132:133]
	v_mul_f64 v[208:209], v[208:209], v[134:135]
	v_fmac_f64_e32 v[224:225], v[226:227], v[218:219]
	v_fmac_f64_e32 v[208:209], v[210:211], v[218:219]
	v_add_f64 v[2:3], v[2:3], -v[224:225]
	s_waitcnt vmcnt(0)
	v_add_f64 v[204:205], v[204:205], -v[132:133]
	v_add_f64 v[206:207], v[206:207], -v[208:209]
	v_mov_b64_e32 v[132:133], v[218:219]
.LBB102_377:
	s_or_b64 exec, exec, s[0:1]
	v_lshl_add_u32 v208, v221, 4, v220
	s_barrier
	s_waitcnt vmcnt(33)
	ds_write2_b64 v208, v[128:129], v[130:131] offset1:1
	s_waitcnt lgkmcnt(0)
	s_barrier
	ds_read2_b64 v[208:211], v220 offset0:36 offset1:37
	s_cmp_lt_i32 s20, 20
	v_mov_b32_e32 v218, 18
	s_cbranch_scc1 .LBB102_380
; %bb.378:
	v_add_u32_e32 v219, 0x130, v220
	s_mov_b32 s16, 19
	v_mov_b32_e32 v218, 18
.LBB102_379:                            ; =>This Inner Loop Header: Depth=1
	ds_read2_b64 v[224:227], v219 offset1:1
	s_waitcnt lgkmcnt(1)
	v_xor_b32_e32 v229, 0x80000000, v209
	v_xor_b32_e32 v231, 0x80000000, v211
	v_cmp_gt_f64_e32 vcc, 0, v[210:211]
	v_cmp_gt_f64_e64 s[0:1], 0, v[208:209]
	v_mov_b32_e32 v228, v208
	v_mov_b32_e32 v230, v210
	v_cndmask_b32_e64 v229, v209, v229, s[0:1]
	v_cndmask_b32_e32 v231, v211, v231, vcc
	v_add_f64 v[228:229], v[228:229], v[230:231]
	s_waitcnt lgkmcnt(0)
	v_xor_b32_e32 v231, 0x80000000, v225
	v_xor_b32_e32 v233, 0x80000000, v227
	v_cmp_gt_f64_e32 vcc, 0, v[226:227]
	v_cmp_gt_f64_e64 s[0:1], 0, v[224:225]
	v_mov_b32_e32 v230, v224
	v_mov_b32_e32 v232, v226
	v_cndmask_b32_e64 v231, v225, v231, s[0:1]
	v_cndmask_b32_e32 v233, v227, v233, vcc
	v_add_f64 v[230:231], v[230:231], v[232:233]
	v_mov_b32_e32 v234, s16
	s_add_i32 s16, s16, 1
	v_cmp_lt_f64_e32 vcc, v[228:229], v[230:231]
	v_add_u32_e32 v219, 16, v219
	s_cmp_lg_u32 s20, s16
	v_cndmask_b32_e32 v209, v209, v225, vcc
	v_cndmask_b32_e32 v208, v208, v224, vcc
	v_cndmask_b32_e32 v211, v211, v227, vcc
	v_cndmask_b32_e32 v210, v210, v226, vcc
	v_cndmask_b32_e32 v218, v218, v234, vcc
	s_cbranch_scc1 .LBB102_379
.LBB102_380:
	s_waitcnt lgkmcnt(0)
	v_cmp_eq_f64_e32 vcc, 0, v[208:209]
	v_cmp_eq_f64_e64 s[0:1], 0, v[210:211]
	s_and_b64 s[0:1], vcc, s[0:1]
	s_and_saveexec_b64 s[16:17], s[0:1]
	s_xor_b64 s[0:1], exec, s[16:17]
; %bb.381:
	v_cmp_ne_u32_e32 vcc, 0, v222
	s_nop 1
	v_cndmask_b32_e32 v222, 19, v222, vcc
; %bb.382:
	s_andn2_saveexec_b64 s[0:1], s[0:1]
	s_cbranch_execz .LBB102_388
; %bb.383:
	v_cmp_ngt_f64_e64 s[16:17], |v[208:209]|, |v[210:211]|
	s_and_saveexec_b64 s[18:19], s[16:17]
	s_xor_b64 s[16:17], exec, s[18:19]
	s_cbranch_execz .LBB102_385
; %bb.384:
	v_div_scale_f64 v[224:225], s[18:19], v[210:211], v[210:211], v[208:209]
	v_rcp_f64_e32 v[226:227], v[224:225]
	v_div_scale_f64 v[228:229], vcc, v[208:209], v[210:211], v[208:209]
	v_fma_f64 v[230:231], -v[224:225], v[226:227], 1.0
	v_fmac_f64_e32 v[226:227], v[226:227], v[230:231]
	v_fma_f64 v[230:231], -v[224:225], v[226:227], 1.0
	v_fmac_f64_e32 v[226:227], v[226:227], v[230:231]
	v_mul_f64 v[230:231], v[228:229], v[226:227]
	v_fma_f64 v[224:225], -v[224:225], v[230:231], v[228:229]
	v_div_fmas_f64 v[224:225], v[224:225], v[226:227], v[230:231]
	v_div_fixup_f64 v[224:225], v[224:225], v[210:211], v[208:209]
	v_fmac_f64_e32 v[210:211], v[208:209], v[224:225]
	v_div_scale_f64 v[208:209], s[18:19], v[210:211], v[210:211], 1.0
	v_rcp_f64_e32 v[226:227], v[208:209]
	s_nop 0
	v_fma_f64 v[228:229], -v[208:209], v[226:227], 1.0
	v_fmac_f64_e32 v[226:227], v[226:227], v[228:229]
	v_fma_f64 v[228:229], -v[208:209], v[226:227], 1.0
	v_fmac_f64_e32 v[226:227], v[226:227], v[228:229]
	v_div_scale_f64 v[228:229], vcc, 1.0, v[210:211], 1.0
	v_mul_f64 v[230:231], v[228:229], v[226:227]
	v_fma_f64 v[208:209], -v[208:209], v[230:231], v[228:229]
	s_nop 1
	v_div_fmas_f64 v[208:209], v[208:209], v[226:227], v[230:231]
	v_div_fixup_f64 v[210:211], v[208:209], v[210:211], 1.0
	v_mul_f64 v[208:209], v[224:225], v[210:211]
	v_xor_b32_e32 v211, 0x80000000, v211
.LBB102_385:
	s_andn2_saveexec_b64 s[16:17], s[16:17]
	s_cbranch_execz .LBB102_387
; %bb.386:
	v_div_scale_f64 v[224:225], s[18:19], v[208:209], v[208:209], v[210:211]
	v_rcp_f64_e32 v[226:227], v[224:225]
	v_div_scale_f64 v[228:229], vcc, v[210:211], v[208:209], v[210:211]
	v_fma_f64 v[230:231], -v[224:225], v[226:227], 1.0
	v_fmac_f64_e32 v[226:227], v[226:227], v[230:231]
	v_fma_f64 v[230:231], -v[224:225], v[226:227], 1.0
	v_fmac_f64_e32 v[226:227], v[226:227], v[230:231]
	v_mul_f64 v[230:231], v[228:229], v[226:227]
	v_fma_f64 v[224:225], -v[224:225], v[230:231], v[228:229]
	v_div_fmas_f64 v[224:225], v[224:225], v[226:227], v[230:231]
	v_div_fixup_f64 v[224:225], v[224:225], v[208:209], v[210:211]
	v_fmac_f64_e32 v[208:209], v[210:211], v[224:225]
	v_div_scale_f64 v[210:211], s[18:19], v[208:209], v[208:209], 1.0
	v_rcp_f64_e32 v[226:227], v[210:211]
	s_nop 0
	v_fma_f64 v[228:229], -v[210:211], v[226:227], 1.0
	v_fmac_f64_e32 v[226:227], v[226:227], v[228:229]
	v_fma_f64 v[228:229], -v[210:211], v[226:227], 1.0
	v_fmac_f64_e32 v[226:227], v[226:227], v[228:229]
	v_div_scale_f64 v[228:229], vcc, 1.0, v[208:209], 1.0
	v_mul_f64 v[230:231], v[228:229], v[226:227]
	v_fma_f64 v[210:211], -v[210:211], v[230:231], v[228:229]
	s_nop 1
	v_div_fmas_f64 v[210:211], v[210:211], v[226:227], v[230:231]
	v_div_fixup_f64 v[208:209], v[210:211], v[208:209], 1.0
	v_mul_f64 v[210:211], v[224:225], -v[208:209]
.LBB102_387:
	s_or_b64 exec, exec, s[16:17]
.LBB102_388:
	s_or_b64 exec, exec, s[0:1]
	v_cmp_ne_u32_e32 vcc, v221, v218
	s_and_saveexec_b64 s[0:1], vcc
	s_xor_b64 s[0:1], exec, s[0:1]
	s_cbranch_execz .LBB102_394
; %bb.389:
	v_cmp_eq_u32_e32 vcc, 18, v221
	s_and_saveexec_b64 s[16:17], vcc
	s_cbranch_execz .LBB102_393
; %bb.390:
	v_cmp_ne_u32_e32 vcc, 18, v218
	s_xor_b64 s[18:19], s[14:15], -1
	s_and_b64 s[22:23], s[18:19], vcc
	s_and_saveexec_b64 s[18:19], s[22:23]
	s_cbranch_execz .LBB102_392
; %bb.391:
	v_ashrrev_i32_e32 v219, 31, v218
	v_lshl_add_u64 v[224:225], v[218:219], 2, v[216:217]
	global_load_dword v219, v[224:225], off
	global_load_dword v221, v[216:217], off offset:72
	s_waitcnt vmcnt(1)
	global_store_dword v[216:217], v219, off offset:72
	s_waitcnt vmcnt(1)
	global_store_dword v[224:225], v221, off
.LBB102_392:
	s_or_b64 exec, exec, s[18:19]
	v_mov_b32_e32 v221, v218
	v_mov_b32_e32 v223, v218
.LBB102_393:
	s_or_b64 exec, exec, s[16:17]
.LBB102_394:
	s_andn2_saveexec_b64 s[0:1], s[0:1]
	s_cbranch_execz .LBB102_396
; %bb.395:
	v_mov_b32_e32 v221, 18
	s_waitcnt vmcnt(32)
	ds_write2_b64 v220, v[124:125], v[126:127] offset0:38 offset1:39
	s_waitcnt vmcnt(31)
	ds_write2_b64 v220, v[120:121], v[122:123] offset0:40 offset1:41
	;; [unrolled: 2-line block ×33, first 2 shown]
.LBB102_396:
	s_or_b64 exec, exec, s[0:1]
	v_cmp_lt_i32_e32 vcc, 18, v221
	s_waitcnt lgkmcnt(0)
	s_barrier
	s_and_saveexec_b64 s[0:1], vcc
	s_cbranch_execz .LBB102_398
; %bb.397:
	ds_read2_b64 v[224:227], v220 offset0:38 offset1:39
	v_mul_f64 v[218:219], v[210:211], v[130:131]
	v_mul_f64 v[130:131], v[208:209], v[130:131]
	v_fmac_f64_e32 v[130:131], v[210:211], v[128:129]
	v_fma_f64 v[218:219], v[208:209], v[128:129], -v[218:219]
	ds_read2_b64 v[208:211], v220 offset0:40 offset1:41
	s_waitcnt lgkmcnt(1)
	v_mul_f64 v[128:129], v[226:227], v[130:131]
	v_fma_f64 v[128:129], v[224:225], v[218:219], -v[128:129]
	v_mul_f64 v[224:225], v[224:225], v[130:131]
	v_fmac_f64_e32 v[224:225], v[226:227], v[218:219]
	s_waitcnt vmcnt(32)
	v_add_f64 v[126:127], v[126:127], -v[224:225]
	ds_read2_b64 v[224:227], v220 offset0:42 offset1:43
	v_add_f64 v[124:125], v[124:125], -v[128:129]
	s_waitcnt lgkmcnt(1)
	v_mul_f64 v[128:129], v[210:211], v[130:131]
	v_fma_f64 v[128:129], v[208:209], v[218:219], -v[128:129]
	v_mul_f64 v[208:209], v[208:209], v[130:131]
	v_fmac_f64_e32 v[208:209], v[210:211], v[218:219]
	s_waitcnt vmcnt(31)
	v_add_f64 v[120:121], v[120:121], -v[128:129]
	v_add_f64 v[122:123], v[122:123], -v[208:209]
	ds_read2_b64 v[208:211], v220 offset0:44 offset1:45
	s_waitcnt lgkmcnt(1)
	v_mul_f64 v[128:129], v[226:227], v[130:131]
	v_fma_f64 v[128:129], v[224:225], v[218:219], -v[128:129]
	v_mul_f64 v[224:225], v[224:225], v[130:131]
	v_fmac_f64_e32 v[224:225], v[226:227], v[218:219]
	s_waitcnt vmcnt(30)
	v_add_f64 v[118:119], v[118:119], -v[224:225]
	ds_read2_b64 v[224:227], v220 offset0:46 offset1:47
	v_add_f64 v[116:117], v[116:117], -v[128:129]
	s_waitcnt lgkmcnt(1)
	v_mul_f64 v[128:129], v[210:211], v[130:131]
	v_fma_f64 v[128:129], v[208:209], v[218:219], -v[128:129]
	v_mul_f64 v[208:209], v[208:209], v[130:131]
	v_fmac_f64_e32 v[208:209], v[210:211], v[218:219]
	s_waitcnt vmcnt(29)
	v_add_f64 v[112:113], v[112:113], -v[128:129]
	v_add_f64 v[114:115], v[114:115], -v[208:209]
	;; [unrolled: 18-line block ×16, first 2 shown]
	s_waitcnt lgkmcnt(0)
	v_mul_f64 v[128:129], v[226:227], v[130:131]
	v_mul_f64 v[208:209], v[224:225], v[130:131]
	v_fma_f64 v[128:129], v[224:225], v[218:219], -v[128:129]
	v_fmac_f64_e32 v[208:209], v[226:227], v[218:219]
	s_waitcnt vmcnt(0)
	v_add_f64 v[204:205], v[204:205], -v[128:129]
	v_add_f64 v[206:207], v[206:207], -v[208:209]
	v_mov_b64_e32 v[128:129], v[218:219]
.LBB102_398:
	s_or_b64 exec, exec, s[0:1]
	v_lshl_add_u32 v208, v221, 4, v220
	s_barrier
	s_waitcnt vmcnt(32)
	ds_write2_b64 v208, v[124:125], v[126:127] offset1:1
	s_waitcnt lgkmcnt(0)
	s_barrier
	ds_read2_b64 v[208:211], v220 offset0:38 offset1:39
	s_cmp_lt_i32 s20, 21
	v_mov_b32_e32 v218, 19
	s_cbranch_scc1 .LBB102_401
; %bb.399:
	v_add_u32_e32 v219, 0x140, v220
	s_mov_b32 s16, 20
	v_mov_b32_e32 v218, 19
.LBB102_400:                            ; =>This Inner Loop Header: Depth=1
	ds_read2_b64 v[224:227], v219 offset1:1
	s_waitcnt lgkmcnt(1)
	v_xor_b32_e32 v229, 0x80000000, v209
	v_xor_b32_e32 v231, 0x80000000, v211
	v_cmp_gt_f64_e32 vcc, 0, v[210:211]
	v_cmp_gt_f64_e64 s[0:1], 0, v[208:209]
	v_mov_b32_e32 v228, v208
	v_mov_b32_e32 v230, v210
	v_cndmask_b32_e64 v229, v209, v229, s[0:1]
	v_cndmask_b32_e32 v231, v211, v231, vcc
	v_add_f64 v[228:229], v[228:229], v[230:231]
	s_waitcnt lgkmcnt(0)
	v_xor_b32_e32 v231, 0x80000000, v225
	v_xor_b32_e32 v233, 0x80000000, v227
	v_cmp_gt_f64_e32 vcc, 0, v[226:227]
	v_cmp_gt_f64_e64 s[0:1], 0, v[224:225]
	v_mov_b32_e32 v230, v224
	v_mov_b32_e32 v232, v226
	v_cndmask_b32_e64 v231, v225, v231, s[0:1]
	v_cndmask_b32_e32 v233, v227, v233, vcc
	v_add_f64 v[230:231], v[230:231], v[232:233]
	v_mov_b32_e32 v234, s16
	s_add_i32 s16, s16, 1
	v_cmp_lt_f64_e32 vcc, v[228:229], v[230:231]
	v_add_u32_e32 v219, 16, v219
	s_cmp_lg_u32 s20, s16
	v_cndmask_b32_e32 v209, v209, v225, vcc
	v_cndmask_b32_e32 v208, v208, v224, vcc
	;; [unrolled: 1-line block ×5, first 2 shown]
	s_cbranch_scc1 .LBB102_400
.LBB102_401:
	s_waitcnt lgkmcnt(0)
	v_cmp_eq_f64_e32 vcc, 0, v[208:209]
	v_cmp_eq_f64_e64 s[0:1], 0, v[210:211]
	s_and_b64 s[0:1], vcc, s[0:1]
	s_and_saveexec_b64 s[16:17], s[0:1]
	s_xor_b64 s[0:1], exec, s[16:17]
; %bb.402:
	v_cmp_ne_u32_e32 vcc, 0, v222
	s_nop 1
	v_cndmask_b32_e32 v222, 20, v222, vcc
; %bb.403:
	s_andn2_saveexec_b64 s[0:1], s[0:1]
	s_cbranch_execz .LBB102_409
; %bb.404:
	v_cmp_ngt_f64_e64 s[16:17], |v[208:209]|, |v[210:211]|
	s_and_saveexec_b64 s[18:19], s[16:17]
	s_xor_b64 s[16:17], exec, s[18:19]
	s_cbranch_execz .LBB102_406
; %bb.405:
	v_div_scale_f64 v[224:225], s[18:19], v[210:211], v[210:211], v[208:209]
	v_rcp_f64_e32 v[226:227], v[224:225]
	v_div_scale_f64 v[228:229], vcc, v[208:209], v[210:211], v[208:209]
	v_fma_f64 v[230:231], -v[224:225], v[226:227], 1.0
	v_fmac_f64_e32 v[226:227], v[226:227], v[230:231]
	v_fma_f64 v[230:231], -v[224:225], v[226:227], 1.0
	v_fmac_f64_e32 v[226:227], v[226:227], v[230:231]
	v_mul_f64 v[230:231], v[228:229], v[226:227]
	v_fma_f64 v[224:225], -v[224:225], v[230:231], v[228:229]
	v_div_fmas_f64 v[224:225], v[224:225], v[226:227], v[230:231]
	v_div_fixup_f64 v[224:225], v[224:225], v[210:211], v[208:209]
	v_fmac_f64_e32 v[210:211], v[208:209], v[224:225]
	v_div_scale_f64 v[208:209], s[18:19], v[210:211], v[210:211], 1.0
	v_rcp_f64_e32 v[226:227], v[208:209]
	s_nop 0
	v_fma_f64 v[228:229], -v[208:209], v[226:227], 1.0
	v_fmac_f64_e32 v[226:227], v[226:227], v[228:229]
	v_fma_f64 v[228:229], -v[208:209], v[226:227], 1.0
	v_fmac_f64_e32 v[226:227], v[226:227], v[228:229]
	v_div_scale_f64 v[228:229], vcc, 1.0, v[210:211], 1.0
	v_mul_f64 v[230:231], v[228:229], v[226:227]
	v_fma_f64 v[208:209], -v[208:209], v[230:231], v[228:229]
	s_nop 1
	v_div_fmas_f64 v[208:209], v[208:209], v[226:227], v[230:231]
	v_div_fixup_f64 v[210:211], v[208:209], v[210:211], 1.0
	v_mul_f64 v[208:209], v[224:225], v[210:211]
	v_xor_b32_e32 v211, 0x80000000, v211
.LBB102_406:
	s_andn2_saveexec_b64 s[16:17], s[16:17]
	s_cbranch_execz .LBB102_408
; %bb.407:
	v_div_scale_f64 v[224:225], s[18:19], v[208:209], v[208:209], v[210:211]
	v_rcp_f64_e32 v[226:227], v[224:225]
	v_div_scale_f64 v[228:229], vcc, v[210:211], v[208:209], v[210:211]
	v_fma_f64 v[230:231], -v[224:225], v[226:227], 1.0
	v_fmac_f64_e32 v[226:227], v[226:227], v[230:231]
	v_fma_f64 v[230:231], -v[224:225], v[226:227], 1.0
	v_fmac_f64_e32 v[226:227], v[226:227], v[230:231]
	v_mul_f64 v[230:231], v[228:229], v[226:227]
	v_fma_f64 v[224:225], -v[224:225], v[230:231], v[228:229]
	v_div_fmas_f64 v[224:225], v[224:225], v[226:227], v[230:231]
	v_div_fixup_f64 v[224:225], v[224:225], v[208:209], v[210:211]
	v_fmac_f64_e32 v[208:209], v[210:211], v[224:225]
	v_div_scale_f64 v[210:211], s[18:19], v[208:209], v[208:209], 1.0
	v_rcp_f64_e32 v[226:227], v[210:211]
	s_nop 0
	v_fma_f64 v[228:229], -v[210:211], v[226:227], 1.0
	v_fmac_f64_e32 v[226:227], v[226:227], v[228:229]
	v_fma_f64 v[228:229], -v[210:211], v[226:227], 1.0
	v_fmac_f64_e32 v[226:227], v[226:227], v[228:229]
	v_div_scale_f64 v[228:229], vcc, 1.0, v[208:209], 1.0
	v_mul_f64 v[230:231], v[228:229], v[226:227]
	v_fma_f64 v[210:211], -v[210:211], v[230:231], v[228:229]
	s_nop 1
	v_div_fmas_f64 v[210:211], v[210:211], v[226:227], v[230:231]
	v_div_fixup_f64 v[208:209], v[210:211], v[208:209], 1.0
	v_mul_f64 v[210:211], v[224:225], -v[208:209]
.LBB102_408:
	s_or_b64 exec, exec, s[16:17]
.LBB102_409:
	s_or_b64 exec, exec, s[0:1]
	v_cmp_ne_u32_e32 vcc, v221, v218
	s_and_saveexec_b64 s[0:1], vcc
	s_xor_b64 s[0:1], exec, s[0:1]
	s_cbranch_execz .LBB102_415
; %bb.410:
	v_cmp_eq_u32_e32 vcc, 19, v221
	s_and_saveexec_b64 s[16:17], vcc
	s_cbranch_execz .LBB102_414
; %bb.411:
	v_cmp_ne_u32_e32 vcc, 19, v218
	s_xor_b64 s[18:19], s[14:15], -1
	s_and_b64 s[22:23], s[18:19], vcc
	s_and_saveexec_b64 s[18:19], s[22:23]
	s_cbranch_execz .LBB102_413
; %bb.412:
	v_ashrrev_i32_e32 v219, 31, v218
	v_lshl_add_u64 v[224:225], v[218:219], 2, v[216:217]
	global_load_dword v219, v[224:225], off
	global_load_dword v221, v[216:217], off offset:76
	s_waitcnt vmcnt(1)
	global_store_dword v[216:217], v219, off offset:76
	s_waitcnt vmcnt(1)
	global_store_dword v[224:225], v221, off
.LBB102_413:
	s_or_b64 exec, exec, s[18:19]
	v_mov_b32_e32 v221, v218
	v_mov_b32_e32 v223, v218
.LBB102_414:
	s_or_b64 exec, exec, s[16:17]
.LBB102_415:
	s_andn2_saveexec_b64 s[0:1], s[0:1]
	s_cbranch_execz .LBB102_417
; %bb.416:
	v_mov_b32_e32 v221, 19
	s_waitcnt vmcnt(31)
	ds_write2_b64 v220, v[120:121], v[122:123] offset0:40 offset1:41
	s_waitcnt vmcnt(30)
	ds_write2_b64 v220, v[116:117], v[118:119] offset0:42 offset1:43
	;; [unrolled: 2-line block ×32, first 2 shown]
.LBB102_417:
	s_or_b64 exec, exec, s[0:1]
	v_cmp_lt_i32_e32 vcc, 19, v221
	s_waitcnt lgkmcnt(0)
	s_barrier
	s_and_saveexec_b64 s[0:1], vcc
	s_cbranch_execz .LBB102_419
; %bb.418:
	ds_read2_b64 v[224:227], v220 offset0:40 offset1:41
	v_mul_f64 v[218:219], v[210:211], v[126:127]
	v_mul_f64 v[126:127], v[208:209], v[126:127]
	v_fma_f64 v[218:219], v[208:209], v[124:125], -v[218:219]
	v_fmac_f64_e32 v[126:127], v[210:211], v[124:125]
	ds_read2_b64 v[208:211], v220 offset0:42 offset1:43
	s_waitcnt lgkmcnt(1)
	v_mul_f64 v[124:125], v[226:227], v[126:127]
	v_fma_f64 v[124:125], v[224:225], v[218:219], -v[124:125]
	v_mul_f64 v[224:225], v[224:225], v[126:127]
	v_fmac_f64_e32 v[224:225], v[226:227], v[218:219]
	s_waitcnt vmcnt(31)
	v_add_f64 v[120:121], v[120:121], -v[124:125]
	s_waitcnt lgkmcnt(0)
	v_mul_f64 v[124:125], v[210:211], v[126:127]
	v_add_f64 v[122:123], v[122:123], -v[224:225]
	v_fma_f64 v[124:125], v[208:209], v[218:219], -v[124:125]
	v_mul_f64 v[208:209], v[208:209], v[126:127]
	ds_read2_b64 v[224:227], v220 offset0:44 offset1:45
	v_fmac_f64_e32 v[208:209], v[210:211], v[218:219]
	s_waitcnt vmcnt(30)
	v_add_f64 v[118:119], v[118:119], -v[208:209]
	ds_read2_b64 v[208:211], v220 offset0:46 offset1:47
	v_add_f64 v[116:117], v[116:117], -v[124:125]
	s_waitcnt lgkmcnt(1)
	v_mul_f64 v[124:125], v[226:227], v[126:127]
	v_fma_f64 v[124:125], v[224:225], v[218:219], -v[124:125]
	v_mul_f64 v[224:225], v[224:225], v[126:127]
	v_fmac_f64_e32 v[224:225], v[226:227], v[218:219]
	s_waitcnt vmcnt(29)
	v_add_f64 v[112:113], v[112:113], -v[124:125]
	s_waitcnt lgkmcnt(0)
	v_mul_f64 v[124:125], v[210:211], v[126:127]
	v_add_f64 v[114:115], v[114:115], -v[224:225]
	v_fma_f64 v[124:125], v[208:209], v[218:219], -v[124:125]
	v_mul_f64 v[208:209], v[208:209], v[126:127]
	ds_read2_b64 v[224:227], v220 offset0:48 offset1:49
	v_fmac_f64_e32 v[208:209], v[210:211], v[218:219]
	s_waitcnt vmcnt(28)
	v_add_f64 v[110:111], v[110:111], -v[208:209]
	ds_read2_b64 v[208:211], v220 offset0:50 offset1:51
	v_add_f64 v[108:109], v[108:109], -v[124:125]
	;; [unrolled: 18-line block ×15, first 2 shown]
	s_waitcnt lgkmcnt(1)
	v_mul_f64 v[124:125], v[226:227], v[126:127]
	v_fma_f64 v[124:125], v[224:225], v[218:219], -v[124:125]
	s_waitcnt vmcnt(1)
	v_add_f64 v[0:1], v[0:1], -v[124:125]
	s_waitcnt lgkmcnt(0)
	v_mul_f64 v[124:125], v[210:211], v[126:127]
	v_mul_f64 v[224:225], v[224:225], v[126:127]
	v_fma_f64 v[124:125], v[208:209], v[218:219], -v[124:125]
	v_mul_f64 v[208:209], v[208:209], v[126:127]
	v_fmac_f64_e32 v[224:225], v[226:227], v[218:219]
	v_fmac_f64_e32 v[208:209], v[210:211], v[218:219]
	v_add_f64 v[2:3], v[2:3], -v[224:225]
	s_waitcnt vmcnt(0)
	v_add_f64 v[204:205], v[204:205], -v[124:125]
	v_add_f64 v[206:207], v[206:207], -v[208:209]
	v_mov_b64_e32 v[124:125], v[218:219]
.LBB102_419:
	s_or_b64 exec, exec, s[0:1]
	v_lshl_add_u32 v208, v221, 4, v220
	s_barrier
	s_waitcnt vmcnt(31)
	ds_write2_b64 v208, v[120:121], v[122:123] offset1:1
	s_waitcnt lgkmcnt(0)
	s_barrier
	ds_read2_b64 v[208:211], v220 offset0:40 offset1:41
	s_cmp_lt_i32 s20, 22
	v_mov_b32_e32 v218, 20
	s_cbranch_scc1 .LBB102_422
; %bb.420:
	v_add_u32_e32 v219, 0x150, v220
	s_mov_b32 s16, 21
	v_mov_b32_e32 v218, 20
.LBB102_421:                            ; =>This Inner Loop Header: Depth=1
	ds_read2_b64 v[224:227], v219 offset1:1
	s_waitcnt lgkmcnt(1)
	v_xor_b32_e32 v229, 0x80000000, v209
	v_xor_b32_e32 v231, 0x80000000, v211
	v_cmp_gt_f64_e32 vcc, 0, v[210:211]
	v_cmp_gt_f64_e64 s[0:1], 0, v[208:209]
	v_mov_b32_e32 v228, v208
	v_mov_b32_e32 v230, v210
	v_cndmask_b32_e64 v229, v209, v229, s[0:1]
	v_cndmask_b32_e32 v231, v211, v231, vcc
	v_add_f64 v[228:229], v[228:229], v[230:231]
	s_waitcnt lgkmcnt(0)
	v_xor_b32_e32 v231, 0x80000000, v225
	v_xor_b32_e32 v233, 0x80000000, v227
	v_cmp_gt_f64_e32 vcc, 0, v[226:227]
	v_cmp_gt_f64_e64 s[0:1], 0, v[224:225]
	v_mov_b32_e32 v230, v224
	v_mov_b32_e32 v232, v226
	v_cndmask_b32_e64 v231, v225, v231, s[0:1]
	v_cndmask_b32_e32 v233, v227, v233, vcc
	v_add_f64 v[230:231], v[230:231], v[232:233]
	v_mov_b32_e32 v234, s16
	s_add_i32 s16, s16, 1
	v_cmp_lt_f64_e32 vcc, v[228:229], v[230:231]
	v_add_u32_e32 v219, 16, v219
	s_cmp_lg_u32 s20, s16
	v_cndmask_b32_e32 v209, v209, v225, vcc
	v_cndmask_b32_e32 v208, v208, v224, vcc
	;; [unrolled: 1-line block ×5, first 2 shown]
	s_cbranch_scc1 .LBB102_421
.LBB102_422:
	s_waitcnt lgkmcnt(0)
	v_cmp_eq_f64_e32 vcc, 0, v[208:209]
	v_cmp_eq_f64_e64 s[0:1], 0, v[210:211]
	s_and_b64 s[0:1], vcc, s[0:1]
	s_and_saveexec_b64 s[16:17], s[0:1]
	s_xor_b64 s[0:1], exec, s[16:17]
; %bb.423:
	v_cmp_ne_u32_e32 vcc, 0, v222
	s_nop 1
	v_cndmask_b32_e32 v222, 21, v222, vcc
; %bb.424:
	s_andn2_saveexec_b64 s[0:1], s[0:1]
	s_cbranch_execz .LBB102_430
; %bb.425:
	v_cmp_ngt_f64_e64 s[16:17], |v[208:209]|, |v[210:211]|
	s_and_saveexec_b64 s[18:19], s[16:17]
	s_xor_b64 s[16:17], exec, s[18:19]
	s_cbranch_execz .LBB102_427
; %bb.426:
	v_div_scale_f64 v[224:225], s[18:19], v[210:211], v[210:211], v[208:209]
	v_rcp_f64_e32 v[226:227], v[224:225]
	v_div_scale_f64 v[228:229], vcc, v[208:209], v[210:211], v[208:209]
	v_fma_f64 v[230:231], -v[224:225], v[226:227], 1.0
	v_fmac_f64_e32 v[226:227], v[226:227], v[230:231]
	v_fma_f64 v[230:231], -v[224:225], v[226:227], 1.0
	v_fmac_f64_e32 v[226:227], v[226:227], v[230:231]
	v_mul_f64 v[230:231], v[228:229], v[226:227]
	v_fma_f64 v[224:225], -v[224:225], v[230:231], v[228:229]
	v_div_fmas_f64 v[224:225], v[224:225], v[226:227], v[230:231]
	v_div_fixup_f64 v[224:225], v[224:225], v[210:211], v[208:209]
	v_fmac_f64_e32 v[210:211], v[208:209], v[224:225]
	v_div_scale_f64 v[208:209], s[18:19], v[210:211], v[210:211], 1.0
	v_rcp_f64_e32 v[226:227], v[208:209]
	s_nop 0
	v_fma_f64 v[228:229], -v[208:209], v[226:227], 1.0
	v_fmac_f64_e32 v[226:227], v[226:227], v[228:229]
	v_fma_f64 v[228:229], -v[208:209], v[226:227], 1.0
	v_fmac_f64_e32 v[226:227], v[226:227], v[228:229]
	v_div_scale_f64 v[228:229], vcc, 1.0, v[210:211], 1.0
	v_mul_f64 v[230:231], v[228:229], v[226:227]
	v_fma_f64 v[208:209], -v[208:209], v[230:231], v[228:229]
	s_nop 1
	v_div_fmas_f64 v[208:209], v[208:209], v[226:227], v[230:231]
	v_div_fixup_f64 v[210:211], v[208:209], v[210:211], 1.0
	v_mul_f64 v[208:209], v[224:225], v[210:211]
	v_xor_b32_e32 v211, 0x80000000, v211
.LBB102_427:
	s_andn2_saveexec_b64 s[16:17], s[16:17]
	s_cbranch_execz .LBB102_429
; %bb.428:
	v_div_scale_f64 v[224:225], s[18:19], v[208:209], v[208:209], v[210:211]
	v_rcp_f64_e32 v[226:227], v[224:225]
	v_div_scale_f64 v[228:229], vcc, v[210:211], v[208:209], v[210:211]
	v_fma_f64 v[230:231], -v[224:225], v[226:227], 1.0
	v_fmac_f64_e32 v[226:227], v[226:227], v[230:231]
	v_fma_f64 v[230:231], -v[224:225], v[226:227], 1.0
	v_fmac_f64_e32 v[226:227], v[226:227], v[230:231]
	v_mul_f64 v[230:231], v[228:229], v[226:227]
	v_fma_f64 v[224:225], -v[224:225], v[230:231], v[228:229]
	v_div_fmas_f64 v[224:225], v[224:225], v[226:227], v[230:231]
	v_div_fixup_f64 v[224:225], v[224:225], v[208:209], v[210:211]
	v_fmac_f64_e32 v[208:209], v[210:211], v[224:225]
	v_div_scale_f64 v[210:211], s[18:19], v[208:209], v[208:209], 1.0
	v_rcp_f64_e32 v[226:227], v[210:211]
	s_nop 0
	v_fma_f64 v[228:229], -v[210:211], v[226:227], 1.0
	v_fmac_f64_e32 v[226:227], v[226:227], v[228:229]
	v_fma_f64 v[228:229], -v[210:211], v[226:227], 1.0
	v_fmac_f64_e32 v[226:227], v[226:227], v[228:229]
	v_div_scale_f64 v[228:229], vcc, 1.0, v[208:209], 1.0
	v_mul_f64 v[230:231], v[228:229], v[226:227]
	v_fma_f64 v[210:211], -v[210:211], v[230:231], v[228:229]
	s_nop 1
	v_div_fmas_f64 v[210:211], v[210:211], v[226:227], v[230:231]
	v_div_fixup_f64 v[208:209], v[210:211], v[208:209], 1.0
	v_mul_f64 v[210:211], v[224:225], -v[208:209]
.LBB102_429:
	s_or_b64 exec, exec, s[16:17]
.LBB102_430:
	s_or_b64 exec, exec, s[0:1]
	v_cmp_ne_u32_e32 vcc, v221, v218
	s_and_saveexec_b64 s[0:1], vcc
	s_xor_b64 s[0:1], exec, s[0:1]
	s_cbranch_execz .LBB102_436
; %bb.431:
	v_cmp_eq_u32_e32 vcc, 20, v221
	s_and_saveexec_b64 s[16:17], vcc
	s_cbranch_execz .LBB102_435
; %bb.432:
	v_cmp_ne_u32_e32 vcc, 20, v218
	s_xor_b64 s[18:19], s[14:15], -1
	s_and_b64 s[22:23], s[18:19], vcc
	s_and_saveexec_b64 s[18:19], s[22:23]
	s_cbranch_execz .LBB102_434
; %bb.433:
	v_ashrrev_i32_e32 v219, 31, v218
	v_lshl_add_u64 v[224:225], v[218:219], 2, v[216:217]
	global_load_dword v219, v[224:225], off
	global_load_dword v221, v[216:217], off offset:80
	s_waitcnt vmcnt(1)
	global_store_dword v[216:217], v219, off offset:80
	s_waitcnt vmcnt(1)
	global_store_dword v[224:225], v221, off
.LBB102_434:
	s_or_b64 exec, exec, s[18:19]
	v_mov_b32_e32 v221, v218
	v_mov_b32_e32 v223, v218
.LBB102_435:
	s_or_b64 exec, exec, s[16:17]
.LBB102_436:
	s_andn2_saveexec_b64 s[0:1], s[0:1]
	s_cbranch_execz .LBB102_438
; %bb.437:
	v_mov_b32_e32 v221, 20
	s_waitcnt vmcnt(30)
	ds_write2_b64 v220, v[116:117], v[118:119] offset0:42 offset1:43
	s_waitcnt vmcnt(29)
	ds_write2_b64 v220, v[112:113], v[114:115] offset0:44 offset1:45
	;; [unrolled: 2-line block ×31, first 2 shown]
.LBB102_438:
	s_or_b64 exec, exec, s[0:1]
	v_cmp_lt_i32_e32 vcc, 20, v221
	s_waitcnt lgkmcnt(0)
	s_barrier
	s_and_saveexec_b64 s[0:1], vcc
	s_cbranch_execz .LBB102_440
; %bb.439:
	ds_read2_b64 v[224:227], v220 offset0:42 offset1:43
	v_mul_f64 v[218:219], v[210:211], v[122:123]
	v_mul_f64 v[122:123], v[208:209], v[122:123]
	v_fmac_f64_e32 v[122:123], v[210:211], v[120:121]
	v_fma_f64 v[218:219], v[208:209], v[120:121], -v[218:219]
	ds_read2_b64 v[208:211], v220 offset0:44 offset1:45
	s_waitcnt lgkmcnt(1)
	v_mul_f64 v[120:121], v[226:227], v[122:123]
	v_fma_f64 v[120:121], v[224:225], v[218:219], -v[120:121]
	v_mul_f64 v[224:225], v[224:225], v[122:123]
	v_fmac_f64_e32 v[224:225], v[226:227], v[218:219]
	s_waitcnt vmcnt(30)
	v_add_f64 v[118:119], v[118:119], -v[224:225]
	ds_read2_b64 v[224:227], v220 offset0:46 offset1:47
	v_add_f64 v[116:117], v[116:117], -v[120:121]
	s_waitcnt lgkmcnt(1)
	v_mul_f64 v[120:121], v[210:211], v[122:123]
	v_fma_f64 v[120:121], v[208:209], v[218:219], -v[120:121]
	v_mul_f64 v[208:209], v[208:209], v[122:123]
	v_fmac_f64_e32 v[208:209], v[210:211], v[218:219]
	s_waitcnt vmcnt(29)
	v_add_f64 v[112:113], v[112:113], -v[120:121]
	v_add_f64 v[114:115], v[114:115], -v[208:209]
	ds_read2_b64 v[208:211], v220 offset0:48 offset1:49
	s_waitcnt lgkmcnt(1)
	v_mul_f64 v[120:121], v[226:227], v[122:123]
	v_fma_f64 v[120:121], v[224:225], v[218:219], -v[120:121]
	v_mul_f64 v[224:225], v[224:225], v[122:123]
	v_fmac_f64_e32 v[224:225], v[226:227], v[218:219]
	s_waitcnt vmcnt(28)
	v_add_f64 v[110:111], v[110:111], -v[224:225]
	ds_read2_b64 v[224:227], v220 offset0:50 offset1:51
	v_add_f64 v[108:109], v[108:109], -v[120:121]
	s_waitcnt lgkmcnt(1)
	v_mul_f64 v[120:121], v[210:211], v[122:123]
	v_fma_f64 v[120:121], v[208:209], v[218:219], -v[120:121]
	v_mul_f64 v[208:209], v[208:209], v[122:123]
	v_fmac_f64_e32 v[208:209], v[210:211], v[218:219]
	s_waitcnt vmcnt(27)
	v_add_f64 v[104:105], v[104:105], -v[120:121]
	v_add_f64 v[106:107], v[106:107], -v[208:209]
	;; [unrolled: 18-line block ×15, first 2 shown]
	s_waitcnt lgkmcnt(0)
	v_mul_f64 v[120:121], v[226:227], v[122:123]
	v_mul_f64 v[208:209], v[224:225], v[122:123]
	v_fma_f64 v[120:121], v[224:225], v[218:219], -v[120:121]
	v_fmac_f64_e32 v[208:209], v[226:227], v[218:219]
	s_waitcnt vmcnt(0)
	v_add_f64 v[204:205], v[204:205], -v[120:121]
	v_add_f64 v[206:207], v[206:207], -v[208:209]
	v_mov_b64_e32 v[120:121], v[218:219]
.LBB102_440:
	s_or_b64 exec, exec, s[0:1]
	v_lshl_add_u32 v208, v221, 4, v220
	s_barrier
	s_waitcnt vmcnt(30)
	ds_write2_b64 v208, v[116:117], v[118:119] offset1:1
	s_waitcnt lgkmcnt(0)
	s_barrier
	ds_read2_b64 v[208:211], v220 offset0:42 offset1:43
	s_cmp_lt_i32 s20, 23
	v_mov_b32_e32 v218, 21
	s_cbranch_scc1 .LBB102_443
; %bb.441:
	v_add_u32_e32 v219, 0x160, v220
	s_mov_b32 s16, 22
	v_mov_b32_e32 v218, 21
.LBB102_442:                            ; =>This Inner Loop Header: Depth=1
	ds_read2_b64 v[224:227], v219 offset1:1
	s_waitcnt lgkmcnt(1)
	v_xor_b32_e32 v229, 0x80000000, v209
	v_xor_b32_e32 v231, 0x80000000, v211
	v_cmp_gt_f64_e32 vcc, 0, v[210:211]
	v_cmp_gt_f64_e64 s[0:1], 0, v[208:209]
	v_mov_b32_e32 v228, v208
	v_mov_b32_e32 v230, v210
	v_cndmask_b32_e64 v229, v209, v229, s[0:1]
	v_cndmask_b32_e32 v231, v211, v231, vcc
	v_add_f64 v[228:229], v[228:229], v[230:231]
	s_waitcnt lgkmcnt(0)
	v_xor_b32_e32 v231, 0x80000000, v225
	v_xor_b32_e32 v233, 0x80000000, v227
	v_cmp_gt_f64_e32 vcc, 0, v[226:227]
	v_cmp_gt_f64_e64 s[0:1], 0, v[224:225]
	v_mov_b32_e32 v230, v224
	v_mov_b32_e32 v232, v226
	v_cndmask_b32_e64 v231, v225, v231, s[0:1]
	v_cndmask_b32_e32 v233, v227, v233, vcc
	v_add_f64 v[230:231], v[230:231], v[232:233]
	v_mov_b32_e32 v234, s16
	s_add_i32 s16, s16, 1
	v_cmp_lt_f64_e32 vcc, v[228:229], v[230:231]
	v_add_u32_e32 v219, 16, v219
	s_cmp_lg_u32 s20, s16
	v_cndmask_b32_e32 v209, v209, v225, vcc
	v_cndmask_b32_e32 v208, v208, v224, vcc
	;; [unrolled: 1-line block ×5, first 2 shown]
	s_cbranch_scc1 .LBB102_442
.LBB102_443:
	s_waitcnt lgkmcnt(0)
	v_cmp_eq_f64_e32 vcc, 0, v[208:209]
	v_cmp_eq_f64_e64 s[0:1], 0, v[210:211]
	s_and_b64 s[0:1], vcc, s[0:1]
	s_and_saveexec_b64 s[16:17], s[0:1]
	s_xor_b64 s[0:1], exec, s[16:17]
; %bb.444:
	v_cmp_ne_u32_e32 vcc, 0, v222
	s_nop 1
	v_cndmask_b32_e32 v222, 22, v222, vcc
; %bb.445:
	s_andn2_saveexec_b64 s[0:1], s[0:1]
	s_cbranch_execz .LBB102_451
; %bb.446:
	v_cmp_ngt_f64_e64 s[16:17], |v[208:209]|, |v[210:211]|
	s_and_saveexec_b64 s[18:19], s[16:17]
	s_xor_b64 s[16:17], exec, s[18:19]
	s_cbranch_execz .LBB102_448
; %bb.447:
	v_div_scale_f64 v[224:225], s[18:19], v[210:211], v[210:211], v[208:209]
	v_rcp_f64_e32 v[226:227], v[224:225]
	v_div_scale_f64 v[228:229], vcc, v[208:209], v[210:211], v[208:209]
	v_fma_f64 v[230:231], -v[224:225], v[226:227], 1.0
	v_fmac_f64_e32 v[226:227], v[226:227], v[230:231]
	v_fma_f64 v[230:231], -v[224:225], v[226:227], 1.0
	v_fmac_f64_e32 v[226:227], v[226:227], v[230:231]
	v_mul_f64 v[230:231], v[228:229], v[226:227]
	v_fma_f64 v[224:225], -v[224:225], v[230:231], v[228:229]
	v_div_fmas_f64 v[224:225], v[224:225], v[226:227], v[230:231]
	v_div_fixup_f64 v[224:225], v[224:225], v[210:211], v[208:209]
	v_fmac_f64_e32 v[210:211], v[208:209], v[224:225]
	v_div_scale_f64 v[208:209], s[18:19], v[210:211], v[210:211], 1.0
	v_rcp_f64_e32 v[226:227], v[208:209]
	s_nop 0
	v_fma_f64 v[228:229], -v[208:209], v[226:227], 1.0
	v_fmac_f64_e32 v[226:227], v[226:227], v[228:229]
	v_fma_f64 v[228:229], -v[208:209], v[226:227], 1.0
	v_fmac_f64_e32 v[226:227], v[226:227], v[228:229]
	v_div_scale_f64 v[228:229], vcc, 1.0, v[210:211], 1.0
	v_mul_f64 v[230:231], v[228:229], v[226:227]
	v_fma_f64 v[208:209], -v[208:209], v[230:231], v[228:229]
	s_nop 1
	v_div_fmas_f64 v[208:209], v[208:209], v[226:227], v[230:231]
	v_div_fixup_f64 v[210:211], v[208:209], v[210:211], 1.0
	v_mul_f64 v[208:209], v[224:225], v[210:211]
	v_xor_b32_e32 v211, 0x80000000, v211
.LBB102_448:
	s_andn2_saveexec_b64 s[16:17], s[16:17]
	s_cbranch_execz .LBB102_450
; %bb.449:
	v_div_scale_f64 v[224:225], s[18:19], v[208:209], v[208:209], v[210:211]
	v_rcp_f64_e32 v[226:227], v[224:225]
	v_div_scale_f64 v[228:229], vcc, v[210:211], v[208:209], v[210:211]
	v_fma_f64 v[230:231], -v[224:225], v[226:227], 1.0
	v_fmac_f64_e32 v[226:227], v[226:227], v[230:231]
	v_fma_f64 v[230:231], -v[224:225], v[226:227], 1.0
	v_fmac_f64_e32 v[226:227], v[226:227], v[230:231]
	v_mul_f64 v[230:231], v[228:229], v[226:227]
	v_fma_f64 v[224:225], -v[224:225], v[230:231], v[228:229]
	v_div_fmas_f64 v[224:225], v[224:225], v[226:227], v[230:231]
	v_div_fixup_f64 v[224:225], v[224:225], v[208:209], v[210:211]
	v_fmac_f64_e32 v[208:209], v[210:211], v[224:225]
	v_div_scale_f64 v[210:211], s[18:19], v[208:209], v[208:209], 1.0
	v_rcp_f64_e32 v[226:227], v[210:211]
	s_nop 0
	v_fma_f64 v[228:229], -v[210:211], v[226:227], 1.0
	v_fmac_f64_e32 v[226:227], v[226:227], v[228:229]
	v_fma_f64 v[228:229], -v[210:211], v[226:227], 1.0
	v_fmac_f64_e32 v[226:227], v[226:227], v[228:229]
	v_div_scale_f64 v[228:229], vcc, 1.0, v[208:209], 1.0
	v_mul_f64 v[230:231], v[228:229], v[226:227]
	v_fma_f64 v[210:211], -v[210:211], v[230:231], v[228:229]
	s_nop 1
	v_div_fmas_f64 v[210:211], v[210:211], v[226:227], v[230:231]
	v_div_fixup_f64 v[208:209], v[210:211], v[208:209], 1.0
	v_mul_f64 v[210:211], v[224:225], -v[208:209]
.LBB102_450:
	s_or_b64 exec, exec, s[16:17]
.LBB102_451:
	s_or_b64 exec, exec, s[0:1]
	v_cmp_ne_u32_e32 vcc, v221, v218
	s_and_saveexec_b64 s[0:1], vcc
	s_xor_b64 s[0:1], exec, s[0:1]
	s_cbranch_execz .LBB102_457
; %bb.452:
	v_cmp_eq_u32_e32 vcc, 21, v221
	s_and_saveexec_b64 s[16:17], vcc
	s_cbranch_execz .LBB102_456
; %bb.453:
	v_cmp_ne_u32_e32 vcc, 21, v218
	s_xor_b64 s[18:19], s[14:15], -1
	s_and_b64 s[22:23], s[18:19], vcc
	s_and_saveexec_b64 s[18:19], s[22:23]
	s_cbranch_execz .LBB102_455
; %bb.454:
	v_ashrrev_i32_e32 v219, 31, v218
	v_lshl_add_u64 v[224:225], v[218:219], 2, v[216:217]
	global_load_dword v219, v[224:225], off
	global_load_dword v221, v[216:217], off offset:84
	s_waitcnt vmcnt(1)
	global_store_dword v[216:217], v219, off offset:84
	s_waitcnt vmcnt(1)
	global_store_dword v[224:225], v221, off
.LBB102_455:
	s_or_b64 exec, exec, s[18:19]
	v_mov_b32_e32 v221, v218
	v_mov_b32_e32 v223, v218
.LBB102_456:
	s_or_b64 exec, exec, s[16:17]
.LBB102_457:
	s_andn2_saveexec_b64 s[0:1], s[0:1]
	s_cbranch_execz .LBB102_459
; %bb.458:
	v_mov_b32_e32 v221, 21
	s_waitcnt vmcnt(29)
	ds_write2_b64 v220, v[112:113], v[114:115] offset0:44 offset1:45
	s_waitcnt vmcnt(28)
	ds_write2_b64 v220, v[108:109], v[110:111] offset0:46 offset1:47
	;; [unrolled: 2-line block ×30, first 2 shown]
.LBB102_459:
	s_or_b64 exec, exec, s[0:1]
	v_cmp_lt_i32_e32 vcc, 21, v221
	s_waitcnt lgkmcnt(0)
	s_barrier
	s_and_saveexec_b64 s[0:1], vcc
	s_cbranch_execz .LBB102_461
; %bb.460:
	ds_read2_b64 v[224:227], v220 offset0:44 offset1:45
	v_mul_f64 v[218:219], v[210:211], v[118:119]
	v_mul_f64 v[118:119], v[208:209], v[118:119]
	v_fma_f64 v[218:219], v[208:209], v[116:117], -v[218:219]
	v_fmac_f64_e32 v[118:119], v[210:211], v[116:117]
	ds_read2_b64 v[208:211], v220 offset0:46 offset1:47
	s_waitcnt lgkmcnt(1)
	v_mul_f64 v[116:117], v[226:227], v[118:119]
	v_fma_f64 v[116:117], v[224:225], v[218:219], -v[116:117]
	v_mul_f64 v[224:225], v[224:225], v[118:119]
	v_fmac_f64_e32 v[224:225], v[226:227], v[218:219]
	s_waitcnt vmcnt(29)
	v_add_f64 v[112:113], v[112:113], -v[116:117]
	s_waitcnt lgkmcnt(0)
	v_mul_f64 v[116:117], v[210:211], v[118:119]
	v_add_f64 v[114:115], v[114:115], -v[224:225]
	v_fma_f64 v[116:117], v[208:209], v[218:219], -v[116:117]
	v_mul_f64 v[208:209], v[208:209], v[118:119]
	ds_read2_b64 v[224:227], v220 offset0:48 offset1:49
	v_fmac_f64_e32 v[208:209], v[210:211], v[218:219]
	s_waitcnt vmcnt(28)
	v_add_f64 v[110:111], v[110:111], -v[208:209]
	ds_read2_b64 v[208:211], v220 offset0:50 offset1:51
	v_add_f64 v[108:109], v[108:109], -v[116:117]
	s_waitcnt lgkmcnt(1)
	v_mul_f64 v[116:117], v[226:227], v[118:119]
	v_fma_f64 v[116:117], v[224:225], v[218:219], -v[116:117]
	v_mul_f64 v[224:225], v[224:225], v[118:119]
	v_fmac_f64_e32 v[224:225], v[226:227], v[218:219]
	s_waitcnt vmcnt(27)
	v_add_f64 v[104:105], v[104:105], -v[116:117]
	s_waitcnt lgkmcnt(0)
	v_mul_f64 v[116:117], v[210:211], v[118:119]
	v_add_f64 v[106:107], v[106:107], -v[224:225]
	v_fma_f64 v[116:117], v[208:209], v[218:219], -v[116:117]
	v_mul_f64 v[208:209], v[208:209], v[118:119]
	ds_read2_b64 v[224:227], v220 offset0:52 offset1:53
	v_fmac_f64_e32 v[208:209], v[210:211], v[218:219]
	s_waitcnt vmcnt(26)
	v_add_f64 v[102:103], v[102:103], -v[208:209]
	ds_read2_b64 v[208:211], v220 offset0:54 offset1:55
	v_add_f64 v[100:101], v[100:101], -v[116:117]
	;; [unrolled: 18-line block ×14, first 2 shown]
	s_waitcnt lgkmcnt(1)
	v_mul_f64 v[116:117], v[226:227], v[118:119]
	v_fma_f64 v[116:117], v[224:225], v[218:219], -v[116:117]
	s_waitcnt vmcnt(1)
	v_add_f64 v[0:1], v[0:1], -v[116:117]
	s_waitcnt lgkmcnt(0)
	v_mul_f64 v[116:117], v[210:211], v[118:119]
	v_mul_f64 v[224:225], v[224:225], v[118:119]
	v_fma_f64 v[116:117], v[208:209], v[218:219], -v[116:117]
	v_mul_f64 v[208:209], v[208:209], v[118:119]
	v_fmac_f64_e32 v[224:225], v[226:227], v[218:219]
	v_fmac_f64_e32 v[208:209], v[210:211], v[218:219]
	v_add_f64 v[2:3], v[2:3], -v[224:225]
	s_waitcnt vmcnt(0)
	v_add_f64 v[204:205], v[204:205], -v[116:117]
	v_add_f64 v[206:207], v[206:207], -v[208:209]
	v_mov_b64_e32 v[116:117], v[218:219]
.LBB102_461:
	s_or_b64 exec, exec, s[0:1]
	v_lshl_add_u32 v208, v221, 4, v220
	s_barrier
	s_waitcnt vmcnt(29)
	ds_write2_b64 v208, v[112:113], v[114:115] offset1:1
	s_waitcnt lgkmcnt(0)
	s_barrier
	ds_read2_b64 v[208:211], v220 offset0:44 offset1:45
	s_cmp_lt_i32 s20, 24
	v_mov_b32_e32 v218, 22
	s_cbranch_scc1 .LBB102_464
; %bb.462:
	v_add_u32_e32 v219, 0x170, v220
	s_mov_b32 s16, 23
	v_mov_b32_e32 v218, 22
.LBB102_463:                            ; =>This Inner Loop Header: Depth=1
	ds_read2_b64 v[224:227], v219 offset1:1
	s_waitcnt lgkmcnt(1)
	v_xor_b32_e32 v229, 0x80000000, v209
	v_xor_b32_e32 v231, 0x80000000, v211
	v_cmp_gt_f64_e32 vcc, 0, v[210:211]
	v_cmp_gt_f64_e64 s[0:1], 0, v[208:209]
	v_mov_b32_e32 v228, v208
	v_mov_b32_e32 v230, v210
	v_cndmask_b32_e64 v229, v209, v229, s[0:1]
	v_cndmask_b32_e32 v231, v211, v231, vcc
	v_add_f64 v[228:229], v[228:229], v[230:231]
	s_waitcnt lgkmcnt(0)
	v_xor_b32_e32 v231, 0x80000000, v225
	v_xor_b32_e32 v233, 0x80000000, v227
	v_cmp_gt_f64_e32 vcc, 0, v[226:227]
	v_cmp_gt_f64_e64 s[0:1], 0, v[224:225]
	v_mov_b32_e32 v230, v224
	v_mov_b32_e32 v232, v226
	v_cndmask_b32_e64 v231, v225, v231, s[0:1]
	v_cndmask_b32_e32 v233, v227, v233, vcc
	v_add_f64 v[230:231], v[230:231], v[232:233]
	v_mov_b32_e32 v234, s16
	s_add_i32 s16, s16, 1
	v_cmp_lt_f64_e32 vcc, v[228:229], v[230:231]
	v_add_u32_e32 v219, 16, v219
	s_cmp_lg_u32 s20, s16
	v_cndmask_b32_e32 v209, v209, v225, vcc
	v_cndmask_b32_e32 v208, v208, v224, vcc
	;; [unrolled: 1-line block ×5, first 2 shown]
	s_cbranch_scc1 .LBB102_463
.LBB102_464:
	s_waitcnt lgkmcnt(0)
	v_cmp_eq_f64_e32 vcc, 0, v[208:209]
	v_cmp_eq_f64_e64 s[0:1], 0, v[210:211]
	s_and_b64 s[0:1], vcc, s[0:1]
	s_and_saveexec_b64 s[16:17], s[0:1]
	s_xor_b64 s[0:1], exec, s[16:17]
; %bb.465:
	v_cmp_ne_u32_e32 vcc, 0, v222
	s_nop 1
	v_cndmask_b32_e32 v222, 23, v222, vcc
; %bb.466:
	s_andn2_saveexec_b64 s[0:1], s[0:1]
	s_cbranch_execz .LBB102_472
; %bb.467:
	v_cmp_ngt_f64_e64 s[16:17], |v[208:209]|, |v[210:211]|
	s_and_saveexec_b64 s[18:19], s[16:17]
	s_xor_b64 s[16:17], exec, s[18:19]
	s_cbranch_execz .LBB102_469
; %bb.468:
	v_div_scale_f64 v[224:225], s[18:19], v[210:211], v[210:211], v[208:209]
	v_rcp_f64_e32 v[226:227], v[224:225]
	v_div_scale_f64 v[228:229], vcc, v[208:209], v[210:211], v[208:209]
	v_fma_f64 v[230:231], -v[224:225], v[226:227], 1.0
	v_fmac_f64_e32 v[226:227], v[226:227], v[230:231]
	v_fma_f64 v[230:231], -v[224:225], v[226:227], 1.0
	v_fmac_f64_e32 v[226:227], v[226:227], v[230:231]
	v_mul_f64 v[230:231], v[228:229], v[226:227]
	v_fma_f64 v[224:225], -v[224:225], v[230:231], v[228:229]
	v_div_fmas_f64 v[224:225], v[224:225], v[226:227], v[230:231]
	v_div_fixup_f64 v[224:225], v[224:225], v[210:211], v[208:209]
	v_fmac_f64_e32 v[210:211], v[208:209], v[224:225]
	v_div_scale_f64 v[208:209], s[18:19], v[210:211], v[210:211], 1.0
	v_rcp_f64_e32 v[226:227], v[208:209]
	s_nop 0
	v_fma_f64 v[228:229], -v[208:209], v[226:227], 1.0
	v_fmac_f64_e32 v[226:227], v[226:227], v[228:229]
	v_fma_f64 v[228:229], -v[208:209], v[226:227], 1.0
	v_fmac_f64_e32 v[226:227], v[226:227], v[228:229]
	v_div_scale_f64 v[228:229], vcc, 1.0, v[210:211], 1.0
	v_mul_f64 v[230:231], v[228:229], v[226:227]
	v_fma_f64 v[208:209], -v[208:209], v[230:231], v[228:229]
	s_nop 1
	v_div_fmas_f64 v[208:209], v[208:209], v[226:227], v[230:231]
	v_div_fixup_f64 v[210:211], v[208:209], v[210:211], 1.0
	v_mul_f64 v[208:209], v[224:225], v[210:211]
	v_xor_b32_e32 v211, 0x80000000, v211
.LBB102_469:
	s_andn2_saveexec_b64 s[16:17], s[16:17]
	s_cbranch_execz .LBB102_471
; %bb.470:
	v_div_scale_f64 v[224:225], s[18:19], v[208:209], v[208:209], v[210:211]
	v_rcp_f64_e32 v[226:227], v[224:225]
	v_div_scale_f64 v[228:229], vcc, v[210:211], v[208:209], v[210:211]
	v_fma_f64 v[230:231], -v[224:225], v[226:227], 1.0
	v_fmac_f64_e32 v[226:227], v[226:227], v[230:231]
	v_fma_f64 v[230:231], -v[224:225], v[226:227], 1.0
	v_fmac_f64_e32 v[226:227], v[226:227], v[230:231]
	v_mul_f64 v[230:231], v[228:229], v[226:227]
	v_fma_f64 v[224:225], -v[224:225], v[230:231], v[228:229]
	v_div_fmas_f64 v[224:225], v[224:225], v[226:227], v[230:231]
	v_div_fixup_f64 v[224:225], v[224:225], v[208:209], v[210:211]
	v_fmac_f64_e32 v[208:209], v[210:211], v[224:225]
	v_div_scale_f64 v[210:211], s[18:19], v[208:209], v[208:209], 1.0
	v_rcp_f64_e32 v[226:227], v[210:211]
	s_nop 0
	v_fma_f64 v[228:229], -v[210:211], v[226:227], 1.0
	v_fmac_f64_e32 v[226:227], v[226:227], v[228:229]
	v_fma_f64 v[228:229], -v[210:211], v[226:227], 1.0
	v_fmac_f64_e32 v[226:227], v[226:227], v[228:229]
	v_div_scale_f64 v[228:229], vcc, 1.0, v[208:209], 1.0
	v_mul_f64 v[230:231], v[228:229], v[226:227]
	v_fma_f64 v[210:211], -v[210:211], v[230:231], v[228:229]
	s_nop 1
	v_div_fmas_f64 v[210:211], v[210:211], v[226:227], v[230:231]
	v_div_fixup_f64 v[208:209], v[210:211], v[208:209], 1.0
	v_mul_f64 v[210:211], v[224:225], -v[208:209]
.LBB102_471:
	s_or_b64 exec, exec, s[16:17]
.LBB102_472:
	s_or_b64 exec, exec, s[0:1]
	v_cmp_ne_u32_e32 vcc, v221, v218
	s_and_saveexec_b64 s[0:1], vcc
	s_xor_b64 s[0:1], exec, s[0:1]
	s_cbranch_execz .LBB102_478
; %bb.473:
	v_cmp_eq_u32_e32 vcc, 22, v221
	s_and_saveexec_b64 s[16:17], vcc
	s_cbranch_execz .LBB102_477
; %bb.474:
	v_cmp_ne_u32_e32 vcc, 22, v218
	s_xor_b64 s[18:19], s[14:15], -1
	s_and_b64 s[22:23], s[18:19], vcc
	s_and_saveexec_b64 s[18:19], s[22:23]
	s_cbranch_execz .LBB102_476
; %bb.475:
	v_ashrrev_i32_e32 v219, 31, v218
	v_lshl_add_u64 v[224:225], v[218:219], 2, v[216:217]
	global_load_dword v219, v[224:225], off
	global_load_dword v221, v[216:217], off offset:88
	s_waitcnt vmcnt(1)
	global_store_dword v[216:217], v219, off offset:88
	s_waitcnt vmcnt(1)
	global_store_dword v[224:225], v221, off
.LBB102_476:
	s_or_b64 exec, exec, s[18:19]
	v_mov_b32_e32 v221, v218
	v_mov_b32_e32 v223, v218
.LBB102_477:
	s_or_b64 exec, exec, s[16:17]
.LBB102_478:
	s_andn2_saveexec_b64 s[0:1], s[0:1]
	s_cbranch_execz .LBB102_480
; %bb.479:
	v_mov_b32_e32 v221, 22
	s_waitcnt vmcnt(28)
	ds_write2_b64 v220, v[108:109], v[110:111] offset0:46 offset1:47
	s_waitcnt vmcnt(27)
	ds_write2_b64 v220, v[104:105], v[106:107] offset0:48 offset1:49
	s_waitcnt vmcnt(26)
	ds_write2_b64 v220, v[100:101], v[102:103] offset0:50 offset1:51
	s_waitcnt vmcnt(25)
	ds_write2_b64 v220, v[96:97], v[98:99] offset0:52 offset1:53
	s_waitcnt vmcnt(24)
	ds_write2_b64 v220, v[92:93], v[94:95] offset0:54 offset1:55
	s_waitcnt vmcnt(23)
	ds_write2_b64 v220, v[88:89], v[90:91] offset0:56 offset1:57
	s_waitcnt vmcnt(22)
	ds_write2_b64 v220, v[84:85], v[86:87] offset0:58 offset1:59
	s_waitcnt vmcnt(21)
	ds_write2_b64 v220, v[80:81], v[82:83] offset0:60 offset1:61
	s_waitcnt vmcnt(20)
	ds_write2_b64 v220, v[76:77], v[78:79] offset0:62 offset1:63
	s_waitcnt vmcnt(19)
	ds_write2_b64 v220, v[72:73], v[74:75] offset0:64 offset1:65
	s_waitcnt vmcnt(18)
	ds_write2_b64 v220, v[68:69], v[70:71] offset0:66 offset1:67
	s_waitcnt vmcnt(17)
	ds_write2_b64 v220, v[64:65], v[66:67] offset0:68 offset1:69
	s_waitcnt vmcnt(16)
	ds_write2_b64 v220, v[60:61], v[62:63] offset0:70 offset1:71
	s_waitcnt vmcnt(15)
	ds_write2_b64 v220, v[56:57], v[58:59] offset0:72 offset1:73
	s_waitcnt vmcnt(14)
	ds_write2_b64 v220, v[52:53], v[54:55] offset0:74 offset1:75
	s_waitcnt vmcnt(13)
	ds_write2_b64 v220, v[48:49], v[50:51] offset0:76 offset1:77
	s_waitcnt vmcnt(12)
	ds_write2_b64 v220, v[44:45], v[46:47] offset0:78 offset1:79
	s_waitcnt vmcnt(11)
	ds_write2_b64 v220, v[40:41], v[42:43] offset0:80 offset1:81
	s_waitcnt vmcnt(10)
	ds_write2_b64 v220, v[36:37], v[38:39] offset0:82 offset1:83
	s_waitcnt vmcnt(9)
	ds_write2_b64 v220, v[32:33], v[34:35] offset0:84 offset1:85
	s_waitcnt vmcnt(8)
	ds_write2_b64 v220, v[28:29], v[30:31] offset0:86 offset1:87
	s_waitcnt vmcnt(7)
	ds_write2_b64 v220, v[24:25], v[26:27] offset0:88 offset1:89
	s_waitcnt vmcnt(6)
	ds_write2_b64 v220, v[20:21], v[22:23] offset0:90 offset1:91
	s_waitcnt vmcnt(5)
	ds_write2_b64 v220, v[16:17], v[18:19] offset0:92 offset1:93
	s_waitcnt vmcnt(4)
	ds_write2_b64 v220, v[12:13], v[14:15] offset0:94 offset1:95
	s_waitcnt vmcnt(3)
	ds_write2_b64 v220, v[8:9], v[10:11] offset0:96 offset1:97
	s_waitcnt vmcnt(2)
	ds_write2_b64 v220, v[4:5], v[6:7] offset0:98 offset1:99
	s_waitcnt vmcnt(1)
	ds_write2_b64 v220, v[0:1], v[2:3] offset0:100 offset1:101
	s_waitcnt vmcnt(0)
	ds_write2_b64 v220, v[204:205], v[206:207] offset0:102 offset1:103
.LBB102_480:
	s_or_b64 exec, exec, s[0:1]
	v_cmp_lt_i32_e32 vcc, 22, v221
	s_waitcnt lgkmcnt(0)
	s_barrier
	s_and_saveexec_b64 s[0:1], vcc
	s_cbranch_execz .LBB102_482
; %bb.481:
	ds_read2_b64 v[224:227], v220 offset0:46 offset1:47
	v_mul_f64 v[218:219], v[210:211], v[114:115]
	v_mul_f64 v[114:115], v[208:209], v[114:115]
	v_fmac_f64_e32 v[114:115], v[210:211], v[112:113]
	v_fma_f64 v[218:219], v[208:209], v[112:113], -v[218:219]
	ds_read2_b64 v[208:211], v220 offset0:48 offset1:49
	s_waitcnt lgkmcnt(1)
	v_mul_f64 v[112:113], v[226:227], v[114:115]
	v_fma_f64 v[112:113], v[224:225], v[218:219], -v[112:113]
	v_mul_f64 v[224:225], v[224:225], v[114:115]
	v_fmac_f64_e32 v[224:225], v[226:227], v[218:219]
	s_waitcnt vmcnt(28)
	v_add_f64 v[110:111], v[110:111], -v[224:225]
	ds_read2_b64 v[224:227], v220 offset0:50 offset1:51
	v_add_f64 v[108:109], v[108:109], -v[112:113]
	s_waitcnt lgkmcnt(1)
	v_mul_f64 v[112:113], v[210:211], v[114:115]
	v_fma_f64 v[112:113], v[208:209], v[218:219], -v[112:113]
	v_mul_f64 v[208:209], v[208:209], v[114:115]
	v_fmac_f64_e32 v[208:209], v[210:211], v[218:219]
	s_waitcnt vmcnt(27)
	v_add_f64 v[104:105], v[104:105], -v[112:113]
	v_add_f64 v[106:107], v[106:107], -v[208:209]
	ds_read2_b64 v[208:211], v220 offset0:52 offset1:53
	s_waitcnt lgkmcnt(1)
	v_mul_f64 v[112:113], v[226:227], v[114:115]
	v_fma_f64 v[112:113], v[224:225], v[218:219], -v[112:113]
	v_mul_f64 v[224:225], v[224:225], v[114:115]
	v_fmac_f64_e32 v[224:225], v[226:227], v[218:219]
	s_waitcnt vmcnt(26)
	v_add_f64 v[102:103], v[102:103], -v[224:225]
	ds_read2_b64 v[224:227], v220 offset0:54 offset1:55
	v_add_f64 v[100:101], v[100:101], -v[112:113]
	s_waitcnt lgkmcnt(1)
	v_mul_f64 v[112:113], v[210:211], v[114:115]
	v_fma_f64 v[112:113], v[208:209], v[218:219], -v[112:113]
	v_mul_f64 v[208:209], v[208:209], v[114:115]
	v_fmac_f64_e32 v[208:209], v[210:211], v[218:219]
	s_waitcnt vmcnt(25)
	v_add_f64 v[96:97], v[96:97], -v[112:113]
	v_add_f64 v[98:99], v[98:99], -v[208:209]
	;; [unrolled: 18-line block ×14, first 2 shown]
	s_waitcnt lgkmcnt(0)
	v_mul_f64 v[112:113], v[226:227], v[114:115]
	v_mul_f64 v[208:209], v[224:225], v[114:115]
	v_fma_f64 v[112:113], v[224:225], v[218:219], -v[112:113]
	v_fmac_f64_e32 v[208:209], v[226:227], v[218:219]
	s_waitcnt vmcnt(0)
	v_add_f64 v[204:205], v[204:205], -v[112:113]
	v_add_f64 v[206:207], v[206:207], -v[208:209]
	v_mov_b64_e32 v[112:113], v[218:219]
.LBB102_482:
	s_or_b64 exec, exec, s[0:1]
	v_lshl_add_u32 v208, v221, 4, v220
	s_barrier
	s_waitcnt vmcnt(28)
	ds_write2_b64 v208, v[108:109], v[110:111] offset1:1
	s_waitcnt lgkmcnt(0)
	s_barrier
	ds_read2_b64 v[208:211], v220 offset0:46 offset1:47
	s_cmp_lt_i32 s20, 25
	v_mov_b32_e32 v218, 23
	s_cbranch_scc1 .LBB102_485
; %bb.483:
	v_add_u32_e32 v219, 0x180, v220
	s_mov_b32 s16, 24
	v_mov_b32_e32 v218, 23
.LBB102_484:                            ; =>This Inner Loop Header: Depth=1
	ds_read2_b64 v[224:227], v219 offset1:1
	s_waitcnt lgkmcnt(1)
	v_xor_b32_e32 v229, 0x80000000, v209
	v_xor_b32_e32 v231, 0x80000000, v211
	v_cmp_gt_f64_e32 vcc, 0, v[210:211]
	v_cmp_gt_f64_e64 s[0:1], 0, v[208:209]
	v_mov_b32_e32 v228, v208
	v_mov_b32_e32 v230, v210
	v_cndmask_b32_e64 v229, v209, v229, s[0:1]
	v_cndmask_b32_e32 v231, v211, v231, vcc
	v_add_f64 v[228:229], v[228:229], v[230:231]
	s_waitcnt lgkmcnt(0)
	v_xor_b32_e32 v231, 0x80000000, v225
	v_xor_b32_e32 v233, 0x80000000, v227
	v_cmp_gt_f64_e32 vcc, 0, v[226:227]
	v_cmp_gt_f64_e64 s[0:1], 0, v[224:225]
	v_mov_b32_e32 v230, v224
	v_mov_b32_e32 v232, v226
	v_cndmask_b32_e64 v231, v225, v231, s[0:1]
	v_cndmask_b32_e32 v233, v227, v233, vcc
	v_add_f64 v[230:231], v[230:231], v[232:233]
	v_mov_b32_e32 v234, s16
	s_add_i32 s16, s16, 1
	v_cmp_lt_f64_e32 vcc, v[228:229], v[230:231]
	v_add_u32_e32 v219, 16, v219
	s_cmp_lg_u32 s20, s16
	v_cndmask_b32_e32 v209, v209, v225, vcc
	v_cndmask_b32_e32 v208, v208, v224, vcc
	v_cndmask_b32_e32 v211, v211, v227, vcc
	v_cndmask_b32_e32 v210, v210, v226, vcc
	v_cndmask_b32_e32 v218, v218, v234, vcc
	s_cbranch_scc1 .LBB102_484
.LBB102_485:
	s_waitcnt lgkmcnt(0)
	v_cmp_eq_f64_e32 vcc, 0, v[208:209]
	v_cmp_eq_f64_e64 s[0:1], 0, v[210:211]
	s_and_b64 s[0:1], vcc, s[0:1]
	s_and_saveexec_b64 s[16:17], s[0:1]
	s_xor_b64 s[0:1], exec, s[16:17]
; %bb.486:
	v_cmp_ne_u32_e32 vcc, 0, v222
	s_nop 1
	v_cndmask_b32_e32 v222, 24, v222, vcc
; %bb.487:
	s_andn2_saveexec_b64 s[0:1], s[0:1]
	s_cbranch_execz .LBB102_493
; %bb.488:
	v_cmp_ngt_f64_e64 s[16:17], |v[208:209]|, |v[210:211]|
	s_and_saveexec_b64 s[18:19], s[16:17]
	s_xor_b64 s[16:17], exec, s[18:19]
	s_cbranch_execz .LBB102_490
; %bb.489:
	v_div_scale_f64 v[224:225], s[18:19], v[210:211], v[210:211], v[208:209]
	v_rcp_f64_e32 v[226:227], v[224:225]
	v_div_scale_f64 v[228:229], vcc, v[208:209], v[210:211], v[208:209]
	v_fma_f64 v[230:231], -v[224:225], v[226:227], 1.0
	v_fmac_f64_e32 v[226:227], v[226:227], v[230:231]
	v_fma_f64 v[230:231], -v[224:225], v[226:227], 1.0
	v_fmac_f64_e32 v[226:227], v[226:227], v[230:231]
	v_mul_f64 v[230:231], v[228:229], v[226:227]
	v_fma_f64 v[224:225], -v[224:225], v[230:231], v[228:229]
	v_div_fmas_f64 v[224:225], v[224:225], v[226:227], v[230:231]
	v_div_fixup_f64 v[224:225], v[224:225], v[210:211], v[208:209]
	v_fmac_f64_e32 v[210:211], v[208:209], v[224:225]
	v_div_scale_f64 v[208:209], s[18:19], v[210:211], v[210:211], 1.0
	v_rcp_f64_e32 v[226:227], v[208:209]
	s_nop 0
	v_fma_f64 v[228:229], -v[208:209], v[226:227], 1.0
	v_fmac_f64_e32 v[226:227], v[226:227], v[228:229]
	v_fma_f64 v[228:229], -v[208:209], v[226:227], 1.0
	v_fmac_f64_e32 v[226:227], v[226:227], v[228:229]
	v_div_scale_f64 v[228:229], vcc, 1.0, v[210:211], 1.0
	v_mul_f64 v[230:231], v[228:229], v[226:227]
	v_fma_f64 v[208:209], -v[208:209], v[230:231], v[228:229]
	s_nop 1
	v_div_fmas_f64 v[208:209], v[208:209], v[226:227], v[230:231]
	v_div_fixup_f64 v[210:211], v[208:209], v[210:211], 1.0
	v_mul_f64 v[208:209], v[224:225], v[210:211]
	v_xor_b32_e32 v211, 0x80000000, v211
.LBB102_490:
	s_andn2_saveexec_b64 s[16:17], s[16:17]
	s_cbranch_execz .LBB102_492
; %bb.491:
	v_div_scale_f64 v[224:225], s[18:19], v[208:209], v[208:209], v[210:211]
	v_rcp_f64_e32 v[226:227], v[224:225]
	v_div_scale_f64 v[228:229], vcc, v[210:211], v[208:209], v[210:211]
	v_fma_f64 v[230:231], -v[224:225], v[226:227], 1.0
	v_fmac_f64_e32 v[226:227], v[226:227], v[230:231]
	v_fma_f64 v[230:231], -v[224:225], v[226:227], 1.0
	v_fmac_f64_e32 v[226:227], v[226:227], v[230:231]
	v_mul_f64 v[230:231], v[228:229], v[226:227]
	v_fma_f64 v[224:225], -v[224:225], v[230:231], v[228:229]
	v_div_fmas_f64 v[224:225], v[224:225], v[226:227], v[230:231]
	v_div_fixup_f64 v[224:225], v[224:225], v[208:209], v[210:211]
	v_fmac_f64_e32 v[208:209], v[210:211], v[224:225]
	v_div_scale_f64 v[210:211], s[18:19], v[208:209], v[208:209], 1.0
	v_rcp_f64_e32 v[226:227], v[210:211]
	s_nop 0
	v_fma_f64 v[228:229], -v[210:211], v[226:227], 1.0
	v_fmac_f64_e32 v[226:227], v[226:227], v[228:229]
	v_fma_f64 v[228:229], -v[210:211], v[226:227], 1.0
	v_fmac_f64_e32 v[226:227], v[226:227], v[228:229]
	v_div_scale_f64 v[228:229], vcc, 1.0, v[208:209], 1.0
	v_mul_f64 v[230:231], v[228:229], v[226:227]
	v_fma_f64 v[210:211], -v[210:211], v[230:231], v[228:229]
	s_nop 1
	v_div_fmas_f64 v[210:211], v[210:211], v[226:227], v[230:231]
	v_div_fixup_f64 v[208:209], v[210:211], v[208:209], 1.0
	v_mul_f64 v[210:211], v[224:225], -v[208:209]
.LBB102_492:
	s_or_b64 exec, exec, s[16:17]
.LBB102_493:
	s_or_b64 exec, exec, s[0:1]
	v_cmp_ne_u32_e32 vcc, v221, v218
	s_and_saveexec_b64 s[0:1], vcc
	s_xor_b64 s[0:1], exec, s[0:1]
	s_cbranch_execz .LBB102_499
; %bb.494:
	v_cmp_eq_u32_e32 vcc, 23, v221
	s_and_saveexec_b64 s[16:17], vcc
	s_cbranch_execz .LBB102_498
; %bb.495:
	v_cmp_ne_u32_e32 vcc, 23, v218
	s_xor_b64 s[18:19], s[14:15], -1
	s_and_b64 s[22:23], s[18:19], vcc
	s_and_saveexec_b64 s[18:19], s[22:23]
	s_cbranch_execz .LBB102_497
; %bb.496:
	v_ashrrev_i32_e32 v219, 31, v218
	v_lshl_add_u64 v[224:225], v[218:219], 2, v[216:217]
	global_load_dword v219, v[224:225], off
	global_load_dword v221, v[216:217], off offset:92
	s_waitcnt vmcnt(1)
	global_store_dword v[216:217], v219, off offset:92
	s_waitcnt vmcnt(1)
	global_store_dword v[224:225], v221, off
.LBB102_497:
	s_or_b64 exec, exec, s[18:19]
	v_mov_b32_e32 v221, v218
	v_mov_b32_e32 v223, v218
.LBB102_498:
	s_or_b64 exec, exec, s[16:17]
.LBB102_499:
	s_andn2_saveexec_b64 s[0:1], s[0:1]
	s_cbranch_execz .LBB102_501
; %bb.500:
	v_mov_b32_e32 v221, 23
	s_waitcnt vmcnt(27)
	ds_write2_b64 v220, v[104:105], v[106:107] offset0:48 offset1:49
	s_waitcnt vmcnt(26)
	ds_write2_b64 v220, v[100:101], v[102:103] offset0:50 offset1:51
	;; [unrolled: 2-line block ×28, first 2 shown]
.LBB102_501:
	s_or_b64 exec, exec, s[0:1]
	v_cmp_lt_i32_e32 vcc, 23, v221
	s_waitcnt lgkmcnt(0)
	s_barrier
	s_and_saveexec_b64 s[0:1], vcc
	s_cbranch_execz .LBB102_503
; %bb.502:
	ds_read2_b64 v[224:227], v220 offset0:48 offset1:49
	v_mul_f64 v[218:219], v[210:211], v[110:111]
	v_mul_f64 v[110:111], v[208:209], v[110:111]
	v_fma_f64 v[218:219], v[208:209], v[108:109], -v[218:219]
	v_fmac_f64_e32 v[110:111], v[210:211], v[108:109]
	ds_read2_b64 v[208:211], v220 offset0:50 offset1:51
	s_waitcnt lgkmcnt(1)
	v_mul_f64 v[108:109], v[226:227], v[110:111]
	v_fma_f64 v[108:109], v[224:225], v[218:219], -v[108:109]
	v_mul_f64 v[224:225], v[224:225], v[110:111]
	v_fmac_f64_e32 v[224:225], v[226:227], v[218:219]
	s_waitcnt vmcnt(27)
	v_add_f64 v[104:105], v[104:105], -v[108:109]
	s_waitcnt lgkmcnt(0)
	v_mul_f64 v[108:109], v[210:211], v[110:111]
	v_add_f64 v[106:107], v[106:107], -v[224:225]
	v_fma_f64 v[108:109], v[208:209], v[218:219], -v[108:109]
	v_mul_f64 v[208:209], v[208:209], v[110:111]
	ds_read2_b64 v[224:227], v220 offset0:52 offset1:53
	v_fmac_f64_e32 v[208:209], v[210:211], v[218:219]
	s_waitcnt vmcnt(26)
	v_add_f64 v[102:103], v[102:103], -v[208:209]
	ds_read2_b64 v[208:211], v220 offset0:54 offset1:55
	v_add_f64 v[100:101], v[100:101], -v[108:109]
	s_waitcnt lgkmcnt(1)
	v_mul_f64 v[108:109], v[226:227], v[110:111]
	v_fma_f64 v[108:109], v[224:225], v[218:219], -v[108:109]
	v_mul_f64 v[224:225], v[224:225], v[110:111]
	v_fmac_f64_e32 v[224:225], v[226:227], v[218:219]
	s_waitcnt vmcnt(25)
	v_add_f64 v[96:97], v[96:97], -v[108:109]
	s_waitcnt lgkmcnt(0)
	v_mul_f64 v[108:109], v[210:211], v[110:111]
	v_add_f64 v[98:99], v[98:99], -v[224:225]
	v_fma_f64 v[108:109], v[208:209], v[218:219], -v[108:109]
	v_mul_f64 v[208:209], v[208:209], v[110:111]
	ds_read2_b64 v[224:227], v220 offset0:56 offset1:57
	v_fmac_f64_e32 v[208:209], v[210:211], v[218:219]
	s_waitcnt vmcnt(24)
	v_add_f64 v[94:95], v[94:95], -v[208:209]
	ds_read2_b64 v[208:211], v220 offset0:58 offset1:59
	v_add_f64 v[92:93], v[92:93], -v[108:109]
	s_waitcnt lgkmcnt(1)
	v_mul_f64 v[108:109], v[226:227], v[110:111]
	v_fma_f64 v[108:109], v[224:225], v[218:219], -v[108:109]
	v_mul_f64 v[224:225], v[224:225], v[110:111]
	v_fmac_f64_e32 v[224:225], v[226:227], v[218:219]
	s_waitcnt vmcnt(23)
	v_add_f64 v[88:89], v[88:89], -v[108:109]
	s_waitcnt lgkmcnt(0)
	v_mul_f64 v[108:109], v[210:211], v[110:111]
	v_add_f64 v[90:91], v[90:91], -v[224:225]
	v_fma_f64 v[108:109], v[208:209], v[218:219], -v[108:109]
	v_mul_f64 v[208:209], v[208:209], v[110:111]
	ds_read2_b64 v[224:227], v220 offset0:60 offset1:61
	v_fmac_f64_e32 v[208:209], v[210:211], v[218:219]
	s_waitcnt vmcnt(22)
	v_add_f64 v[86:87], v[86:87], -v[208:209]
	ds_read2_b64 v[208:211], v220 offset0:62 offset1:63
	v_add_f64 v[84:85], v[84:85], -v[108:109]
	s_waitcnt lgkmcnt(1)
	v_mul_f64 v[108:109], v[226:227], v[110:111]
	v_fma_f64 v[108:109], v[224:225], v[218:219], -v[108:109]
	v_mul_f64 v[224:225], v[224:225], v[110:111]
	v_fmac_f64_e32 v[224:225], v[226:227], v[218:219]
	s_waitcnt vmcnt(21)
	v_add_f64 v[80:81], v[80:81], -v[108:109]
	s_waitcnt lgkmcnt(0)
	v_mul_f64 v[108:109], v[210:211], v[110:111]
	v_add_f64 v[82:83], v[82:83], -v[224:225]
	v_fma_f64 v[108:109], v[208:209], v[218:219], -v[108:109]
	v_mul_f64 v[208:209], v[208:209], v[110:111]
	ds_read2_b64 v[224:227], v220 offset0:64 offset1:65
	v_fmac_f64_e32 v[208:209], v[210:211], v[218:219]
	s_waitcnt vmcnt(20)
	v_add_f64 v[78:79], v[78:79], -v[208:209]
	ds_read2_b64 v[208:211], v220 offset0:66 offset1:67
	v_add_f64 v[76:77], v[76:77], -v[108:109]
	s_waitcnt lgkmcnt(1)
	v_mul_f64 v[108:109], v[226:227], v[110:111]
	v_fma_f64 v[108:109], v[224:225], v[218:219], -v[108:109]
	v_mul_f64 v[224:225], v[224:225], v[110:111]
	v_fmac_f64_e32 v[224:225], v[226:227], v[218:219]
	s_waitcnt vmcnt(19)
	v_add_f64 v[72:73], v[72:73], -v[108:109]
	s_waitcnt lgkmcnt(0)
	v_mul_f64 v[108:109], v[210:211], v[110:111]
	v_add_f64 v[74:75], v[74:75], -v[224:225]
	v_fma_f64 v[108:109], v[208:209], v[218:219], -v[108:109]
	v_mul_f64 v[208:209], v[208:209], v[110:111]
	ds_read2_b64 v[224:227], v220 offset0:68 offset1:69
	v_fmac_f64_e32 v[208:209], v[210:211], v[218:219]
	s_waitcnt vmcnt(18)
	v_add_f64 v[70:71], v[70:71], -v[208:209]
	ds_read2_b64 v[208:211], v220 offset0:70 offset1:71
	v_add_f64 v[68:69], v[68:69], -v[108:109]
	s_waitcnt lgkmcnt(1)
	v_mul_f64 v[108:109], v[226:227], v[110:111]
	v_fma_f64 v[108:109], v[224:225], v[218:219], -v[108:109]
	v_mul_f64 v[224:225], v[224:225], v[110:111]
	v_fmac_f64_e32 v[224:225], v[226:227], v[218:219]
	s_waitcnt vmcnt(17)
	v_add_f64 v[64:65], v[64:65], -v[108:109]
	s_waitcnt lgkmcnt(0)
	v_mul_f64 v[108:109], v[210:211], v[110:111]
	v_add_f64 v[66:67], v[66:67], -v[224:225]
	v_fma_f64 v[108:109], v[208:209], v[218:219], -v[108:109]
	v_mul_f64 v[208:209], v[208:209], v[110:111]
	ds_read2_b64 v[224:227], v220 offset0:72 offset1:73
	v_fmac_f64_e32 v[208:209], v[210:211], v[218:219]
	s_waitcnt vmcnt(16)
	v_add_f64 v[62:63], v[62:63], -v[208:209]
	ds_read2_b64 v[208:211], v220 offset0:74 offset1:75
	v_add_f64 v[60:61], v[60:61], -v[108:109]
	s_waitcnt lgkmcnt(1)
	v_mul_f64 v[108:109], v[226:227], v[110:111]
	v_fma_f64 v[108:109], v[224:225], v[218:219], -v[108:109]
	v_mul_f64 v[224:225], v[224:225], v[110:111]
	v_fmac_f64_e32 v[224:225], v[226:227], v[218:219]
	s_waitcnt vmcnt(15)
	v_add_f64 v[56:57], v[56:57], -v[108:109]
	s_waitcnt lgkmcnt(0)
	v_mul_f64 v[108:109], v[210:211], v[110:111]
	v_add_f64 v[58:59], v[58:59], -v[224:225]
	v_fma_f64 v[108:109], v[208:209], v[218:219], -v[108:109]
	v_mul_f64 v[208:209], v[208:209], v[110:111]
	ds_read2_b64 v[224:227], v220 offset0:76 offset1:77
	v_fmac_f64_e32 v[208:209], v[210:211], v[218:219]
	s_waitcnt vmcnt(14)
	v_add_f64 v[54:55], v[54:55], -v[208:209]
	ds_read2_b64 v[208:211], v220 offset0:78 offset1:79
	v_add_f64 v[52:53], v[52:53], -v[108:109]
	s_waitcnt lgkmcnt(1)
	v_mul_f64 v[108:109], v[226:227], v[110:111]
	v_fma_f64 v[108:109], v[224:225], v[218:219], -v[108:109]
	v_mul_f64 v[224:225], v[224:225], v[110:111]
	v_fmac_f64_e32 v[224:225], v[226:227], v[218:219]
	s_waitcnt vmcnt(13)
	v_add_f64 v[48:49], v[48:49], -v[108:109]
	s_waitcnt lgkmcnt(0)
	v_mul_f64 v[108:109], v[210:211], v[110:111]
	v_add_f64 v[50:51], v[50:51], -v[224:225]
	v_fma_f64 v[108:109], v[208:209], v[218:219], -v[108:109]
	v_mul_f64 v[208:209], v[208:209], v[110:111]
	ds_read2_b64 v[224:227], v220 offset0:80 offset1:81
	v_fmac_f64_e32 v[208:209], v[210:211], v[218:219]
	s_waitcnt vmcnt(12)
	v_add_f64 v[46:47], v[46:47], -v[208:209]
	ds_read2_b64 v[208:211], v220 offset0:82 offset1:83
	v_add_f64 v[44:45], v[44:45], -v[108:109]
	s_waitcnt lgkmcnt(1)
	v_mul_f64 v[108:109], v[226:227], v[110:111]
	v_fma_f64 v[108:109], v[224:225], v[218:219], -v[108:109]
	v_mul_f64 v[224:225], v[224:225], v[110:111]
	v_fmac_f64_e32 v[224:225], v[226:227], v[218:219]
	s_waitcnt vmcnt(11)
	v_add_f64 v[40:41], v[40:41], -v[108:109]
	s_waitcnt lgkmcnt(0)
	v_mul_f64 v[108:109], v[210:211], v[110:111]
	v_add_f64 v[42:43], v[42:43], -v[224:225]
	v_fma_f64 v[108:109], v[208:209], v[218:219], -v[108:109]
	v_mul_f64 v[208:209], v[208:209], v[110:111]
	ds_read2_b64 v[224:227], v220 offset0:84 offset1:85
	v_fmac_f64_e32 v[208:209], v[210:211], v[218:219]
	s_waitcnt vmcnt(10)
	v_add_f64 v[38:39], v[38:39], -v[208:209]
	ds_read2_b64 v[208:211], v220 offset0:86 offset1:87
	v_add_f64 v[36:37], v[36:37], -v[108:109]
	s_waitcnt lgkmcnt(1)
	v_mul_f64 v[108:109], v[226:227], v[110:111]
	v_fma_f64 v[108:109], v[224:225], v[218:219], -v[108:109]
	v_mul_f64 v[224:225], v[224:225], v[110:111]
	v_fmac_f64_e32 v[224:225], v[226:227], v[218:219]
	s_waitcnt vmcnt(9)
	v_add_f64 v[32:33], v[32:33], -v[108:109]
	s_waitcnt lgkmcnt(0)
	v_mul_f64 v[108:109], v[210:211], v[110:111]
	v_add_f64 v[34:35], v[34:35], -v[224:225]
	v_fma_f64 v[108:109], v[208:209], v[218:219], -v[108:109]
	v_mul_f64 v[208:209], v[208:209], v[110:111]
	ds_read2_b64 v[224:227], v220 offset0:88 offset1:89
	v_fmac_f64_e32 v[208:209], v[210:211], v[218:219]
	s_waitcnt vmcnt(8)
	v_add_f64 v[30:31], v[30:31], -v[208:209]
	ds_read2_b64 v[208:211], v220 offset0:90 offset1:91
	v_add_f64 v[28:29], v[28:29], -v[108:109]
	s_waitcnt lgkmcnt(1)
	v_mul_f64 v[108:109], v[226:227], v[110:111]
	v_fma_f64 v[108:109], v[224:225], v[218:219], -v[108:109]
	v_mul_f64 v[224:225], v[224:225], v[110:111]
	v_fmac_f64_e32 v[224:225], v[226:227], v[218:219]
	s_waitcnt vmcnt(7)
	v_add_f64 v[24:25], v[24:25], -v[108:109]
	s_waitcnt lgkmcnt(0)
	v_mul_f64 v[108:109], v[210:211], v[110:111]
	v_add_f64 v[26:27], v[26:27], -v[224:225]
	v_fma_f64 v[108:109], v[208:209], v[218:219], -v[108:109]
	v_mul_f64 v[208:209], v[208:209], v[110:111]
	ds_read2_b64 v[224:227], v220 offset0:92 offset1:93
	v_fmac_f64_e32 v[208:209], v[210:211], v[218:219]
	s_waitcnt vmcnt(6)
	v_add_f64 v[22:23], v[22:23], -v[208:209]
	ds_read2_b64 v[208:211], v220 offset0:94 offset1:95
	v_add_f64 v[20:21], v[20:21], -v[108:109]
	s_waitcnt lgkmcnt(1)
	v_mul_f64 v[108:109], v[226:227], v[110:111]
	v_fma_f64 v[108:109], v[224:225], v[218:219], -v[108:109]
	v_mul_f64 v[224:225], v[224:225], v[110:111]
	v_fmac_f64_e32 v[224:225], v[226:227], v[218:219]
	s_waitcnt vmcnt(5)
	v_add_f64 v[16:17], v[16:17], -v[108:109]
	s_waitcnt lgkmcnt(0)
	v_mul_f64 v[108:109], v[210:211], v[110:111]
	v_add_f64 v[18:19], v[18:19], -v[224:225]
	v_fma_f64 v[108:109], v[208:209], v[218:219], -v[108:109]
	v_mul_f64 v[208:209], v[208:209], v[110:111]
	ds_read2_b64 v[224:227], v220 offset0:96 offset1:97
	v_fmac_f64_e32 v[208:209], v[210:211], v[218:219]
	s_waitcnt vmcnt(4)
	v_add_f64 v[14:15], v[14:15], -v[208:209]
	ds_read2_b64 v[208:211], v220 offset0:98 offset1:99
	v_add_f64 v[12:13], v[12:13], -v[108:109]
	s_waitcnt lgkmcnt(1)
	v_mul_f64 v[108:109], v[226:227], v[110:111]
	v_fma_f64 v[108:109], v[224:225], v[218:219], -v[108:109]
	v_mul_f64 v[224:225], v[224:225], v[110:111]
	v_fmac_f64_e32 v[224:225], v[226:227], v[218:219]
	s_waitcnt vmcnt(3)
	v_add_f64 v[8:9], v[8:9], -v[108:109]
	s_waitcnt lgkmcnt(0)
	v_mul_f64 v[108:109], v[210:211], v[110:111]
	v_add_f64 v[10:11], v[10:11], -v[224:225]
	v_fma_f64 v[108:109], v[208:209], v[218:219], -v[108:109]
	v_mul_f64 v[208:209], v[208:209], v[110:111]
	ds_read2_b64 v[224:227], v220 offset0:100 offset1:101
	v_fmac_f64_e32 v[208:209], v[210:211], v[218:219]
	s_waitcnt vmcnt(2)
	v_add_f64 v[6:7], v[6:7], -v[208:209]
	ds_read2_b64 v[208:211], v220 offset0:102 offset1:103
	v_add_f64 v[4:5], v[4:5], -v[108:109]
	s_waitcnt lgkmcnt(1)
	v_mul_f64 v[108:109], v[226:227], v[110:111]
	v_fma_f64 v[108:109], v[224:225], v[218:219], -v[108:109]
	s_waitcnt vmcnt(1)
	v_add_f64 v[0:1], v[0:1], -v[108:109]
	s_waitcnt lgkmcnt(0)
	v_mul_f64 v[108:109], v[210:211], v[110:111]
	v_mul_f64 v[224:225], v[224:225], v[110:111]
	v_fma_f64 v[108:109], v[208:209], v[218:219], -v[108:109]
	v_mul_f64 v[208:209], v[208:209], v[110:111]
	v_fmac_f64_e32 v[224:225], v[226:227], v[218:219]
	v_fmac_f64_e32 v[208:209], v[210:211], v[218:219]
	v_add_f64 v[2:3], v[2:3], -v[224:225]
	s_waitcnt vmcnt(0)
	v_add_f64 v[204:205], v[204:205], -v[108:109]
	v_add_f64 v[206:207], v[206:207], -v[208:209]
	v_mov_b64_e32 v[108:109], v[218:219]
.LBB102_503:
	s_or_b64 exec, exec, s[0:1]
	v_lshl_add_u32 v208, v221, 4, v220
	s_barrier
	s_waitcnt vmcnt(27)
	ds_write2_b64 v208, v[104:105], v[106:107] offset1:1
	s_waitcnt lgkmcnt(0)
	s_barrier
	ds_read2_b64 v[208:211], v220 offset0:48 offset1:49
	s_cmp_lt_i32 s20, 26
	v_mov_b32_e32 v218, 24
	s_cbranch_scc1 .LBB102_506
; %bb.504:
	v_add_u32_e32 v219, 0x190, v220
	s_mov_b32 s16, 25
	v_mov_b32_e32 v218, 24
.LBB102_505:                            ; =>This Inner Loop Header: Depth=1
	ds_read2_b64 v[224:227], v219 offset1:1
	s_waitcnt lgkmcnt(1)
	v_xor_b32_e32 v229, 0x80000000, v209
	v_xor_b32_e32 v231, 0x80000000, v211
	v_cmp_gt_f64_e32 vcc, 0, v[210:211]
	v_cmp_gt_f64_e64 s[0:1], 0, v[208:209]
	v_mov_b32_e32 v228, v208
	v_mov_b32_e32 v230, v210
	v_cndmask_b32_e64 v229, v209, v229, s[0:1]
	v_cndmask_b32_e32 v231, v211, v231, vcc
	v_add_f64 v[228:229], v[228:229], v[230:231]
	s_waitcnt lgkmcnt(0)
	v_xor_b32_e32 v231, 0x80000000, v225
	v_xor_b32_e32 v233, 0x80000000, v227
	v_cmp_gt_f64_e32 vcc, 0, v[226:227]
	v_cmp_gt_f64_e64 s[0:1], 0, v[224:225]
	v_mov_b32_e32 v230, v224
	v_mov_b32_e32 v232, v226
	v_cndmask_b32_e64 v231, v225, v231, s[0:1]
	v_cndmask_b32_e32 v233, v227, v233, vcc
	v_add_f64 v[230:231], v[230:231], v[232:233]
	v_mov_b32_e32 v234, s16
	s_add_i32 s16, s16, 1
	v_cmp_lt_f64_e32 vcc, v[228:229], v[230:231]
	v_add_u32_e32 v219, 16, v219
	s_cmp_lg_u32 s20, s16
	v_cndmask_b32_e32 v209, v209, v225, vcc
	v_cndmask_b32_e32 v208, v208, v224, vcc
	;; [unrolled: 1-line block ×5, first 2 shown]
	s_cbranch_scc1 .LBB102_505
.LBB102_506:
	s_waitcnt lgkmcnt(0)
	v_cmp_eq_f64_e32 vcc, 0, v[208:209]
	v_cmp_eq_f64_e64 s[0:1], 0, v[210:211]
	s_and_b64 s[0:1], vcc, s[0:1]
	s_and_saveexec_b64 s[16:17], s[0:1]
	s_xor_b64 s[0:1], exec, s[16:17]
; %bb.507:
	v_cmp_ne_u32_e32 vcc, 0, v222
	s_nop 1
	v_cndmask_b32_e32 v222, 25, v222, vcc
; %bb.508:
	s_andn2_saveexec_b64 s[0:1], s[0:1]
	s_cbranch_execz .LBB102_514
; %bb.509:
	v_cmp_ngt_f64_e64 s[16:17], |v[208:209]|, |v[210:211]|
	s_and_saveexec_b64 s[18:19], s[16:17]
	s_xor_b64 s[16:17], exec, s[18:19]
	s_cbranch_execz .LBB102_511
; %bb.510:
	v_div_scale_f64 v[224:225], s[18:19], v[210:211], v[210:211], v[208:209]
	v_rcp_f64_e32 v[226:227], v[224:225]
	v_div_scale_f64 v[228:229], vcc, v[208:209], v[210:211], v[208:209]
	v_fma_f64 v[230:231], -v[224:225], v[226:227], 1.0
	v_fmac_f64_e32 v[226:227], v[226:227], v[230:231]
	v_fma_f64 v[230:231], -v[224:225], v[226:227], 1.0
	v_fmac_f64_e32 v[226:227], v[226:227], v[230:231]
	v_mul_f64 v[230:231], v[228:229], v[226:227]
	v_fma_f64 v[224:225], -v[224:225], v[230:231], v[228:229]
	v_div_fmas_f64 v[224:225], v[224:225], v[226:227], v[230:231]
	v_div_fixup_f64 v[224:225], v[224:225], v[210:211], v[208:209]
	v_fmac_f64_e32 v[210:211], v[208:209], v[224:225]
	v_div_scale_f64 v[208:209], s[18:19], v[210:211], v[210:211], 1.0
	v_rcp_f64_e32 v[226:227], v[208:209]
	s_nop 0
	v_fma_f64 v[228:229], -v[208:209], v[226:227], 1.0
	v_fmac_f64_e32 v[226:227], v[226:227], v[228:229]
	v_fma_f64 v[228:229], -v[208:209], v[226:227], 1.0
	v_fmac_f64_e32 v[226:227], v[226:227], v[228:229]
	v_div_scale_f64 v[228:229], vcc, 1.0, v[210:211], 1.0
	v_mul_f64 v[230:231], v[228:229], v[226:227]
	v_fma_f64 v[208:209], -v[208:209], v[230:231], v[228:229]
	s_nop 1
	v_div_fmas_f64 v[208:209], v[208:209], v[226:227], v[230:231]
	v_div_fixup_f64 v[210:211], v[208:209], v[210:211], 1.0
	v_mul_f64 v[208:209], v[224:225], v[210:211]
	v_xor_b32_e32 v211, 0x80000000, v211
.LBB102_511:
	s_andn2_saveexec_b64 s[16:17], s[16:17]
	s_cbranch_execz .LBB102_513
; %bb.512:
	v_div_scale_f64 v[224:225], s[18:19], v[208:209], v[208:209], v[210:211]
	v_rcp_f64_e32 v[226:227], v[224:225]
	v_div_scale_f64 v[228:229], vcc, v[210:211], v[208:209], v[210:211]
	v_fma_f64 v[230:231], -v[224:225], v[226:227], 1.0
	v_fmac_f64_e32 v[226:227], v[226:227], v[230:231]
	v_fma_f64 v[230:231], -v[224:225], v[226:227], 1.0
	v_fmac_f64_e32 v[226:227], v[226:227], v[230:231]
	v_mul_f64 v[230:231], v[228:229], v[226:227]
	v_fma_f64 v[224:225], -v[224:225], v[230:231], v[228:229]
	v_div_fmas_f64 v[224:225], v[224:225], v[226:227], v[230:231]
	v_div_fixup_f64 v[224:225], v[224:225], v[208:209], v[210:211]
	v_fmac_f64_e32 v[208:209], v[210:211], v[224:225]
	v_div_scale_f64 v[210:211], s[18:19], v[208:209], v[208:209], 1.0
	v_rcp_f64_e32 v[226:227], v[210:211]
	s_nop 0
	v_fma_f64 v[228:229], -v[210:211], v[226:227], 1.0
	v_fmac_f64_e32 v[226:227], v[226:227], v[228:229]
	v_fma_f64 v[228:229], -v[210:211], v[226:227], 1.0
	v_fmac_f64_e32 v[226:227], v[226:227], v[228:229]
	v_div_scale_f64 v[228:229], vcc, 1.0, v[208:209], 1.0
	v_mul_f64 v[230:231], v[228:229], v[226:227]
	v_fma_f64 v[210:211], -v[210:211], v[230:231], v[228:229]
	s_nop 1
	v_div_fmas_f64 v[210:211], v[210:211], v[226:227], v[230:231]
	v_div_fixup_f64 v[208:209], v[210:211], v[208:209], 1.0
	v_mul_f64 v[210:211], v[224:225], -v[208:209]
.LBB102_513:
	s_or_b64 exec, exec, s[16:17]
.LBB102_514:
	s_or_b64 exec, exec, s[0:1]
	v_cmp_ne_u32_e32 vcc, v221, v218
	s_and_saveexec_b64 s[0:1], vcc
	s_xor_b64 s[0:1], exec, s[0:1]
	s_cbranch_execz .LBB102_520
; %bb.515:
	v_cmp_eq_u32_e32 vcc, 24, v221
	s_and_saveexec_b64 s[16:17], vcc
	s_cbranch_execz .LBB102_519
; %bb.516:
	v_cmp_ne_u32_e32 vcc, 24, v218
	s_xor_b64 s[18:19], s[14:15], -1
	s_and_b64 s[22:23], s[18:19], vcc
	s_and_saveexec_b64 s[18:19], s[22:23]
	s_cbranch_execz .LBB102_518
; %bb.517:
	v_ashrrev_i32_e32 v219, 31, v218
	v_lshl_add_u64 v[224:225], v[218:219], 2, v[216:217]
	global_load_dword v219, v[224:225], off
	global_load_dword v221, v[216:217], off offset:96
	s_waitcnt vmcnt(1)
	global_store_dword v[216:217], v219, off offset:96
	s_waitcnt vmcnt(1)
	global_store_dword v[224:225], v221, off
.LBB102_518:
	s_or_b64 exec, exec, s[18:19]
	v_mov_b32_e32 v221, v218
	v_mov_b32_e32 v223, v218
.LBB102_519:
	s_or_b64 exec, exec, s[16:17]
.LBB102_520:
	s_andn2_saveexec_b64 s[0:1], s[0:1]
	s_cbranch_execz .LBB102_522
; %bb.521:
	v_mov_b32_e32 v221, 24
	s_waitcnt vmcnt(26)
	ds_write2_b64 v220, v[100:101], v[102:103] offset0:50 offset1:51
	s_waitcnt vmcnt(25)
	ds_write2_b64 v220, v[96:97], v[98:99] offset0:52 offset1:53
	;; [unrolled: 2-line block ×27, first 2 shown]
.LBB102_522:
	s_or_b64 exec, exec, s[0:1]
	v_cmp_lt_i32_e32 vcc, 24, v221
	s_waitcnt lgkmcnt(0)
	s_barrier
	s_and_saveexec_b64 s[0:1], vcc
	s_cbranch_execz .LBB102_524
; %bb.523:
	ds_read2_b64 v[224:227], v220 offset0:50 offset1:51
	v_mul_f64 v[218:219], v[210:211], v[106:107]
	v_mul_f64 v[106:107], v[208:209], v[106:107]
	v_fmac_f64_e32 v[106:107], v[210:211], v[104:105]
	v_fma_f64 v[218:219], v[208:209], v[104:105], -v[218:219]
	ds_read2_b64 v[208:211], v220 offset0:52 offset1:53
	s_waitcnt lgkmcnt(1)
	v_mul_f64 v[104:105], v[226:227], v[106:107]
	v_fma_f64 v[104:105], v[224:225], v[218:219], -v[104:105]
	v_mul_f64 v[224:225], v[224:225], v[106:107]
	v_fmac_f64_e32 v[224:225], v[226:227], v[218:219]
	s_waitcnt vmcnt(26)
	v_add_f64 v[102:103], v[102:103], -v[224:225]
	ds_read2_b64 v[224:227], v220 offset0:54 offset1:55
	v_add_f64 v[100:101], v[100:101], -v[104:105]
	s_waitcnt lgkmcnt(1)
	v_mul_f64 v[104:105], v[210:211], v[106:107]
	v_fma_f64 v[104:105], v[208:209], v[218:219], -v[104:105]
	v_mul_f64 v[208:209], v[208:209], v[106:107]
	v_fmac_f64_e32 v[208:209], v[210:211], v[218:219]
	s_waitcnt vmcnt(25)
	v_add_f64 v[96:97], v[96:97], -v[104:105]
	v_add_f64 v[98:99], v[98:99], -v[208:209]
	ds_read2_b64 v[208:211], v220 offset0:56 offset1:57
	s_waitcnt lgkmcnt(1)
	v_mul_f64 v[104:105], v[226:227], v[106:107]
	v_fma_f64 v[104:105], v[224:225], v[218:219], -v[104:105]
	v_mul_f64 v[224:225], v[224:225], v[106:107]
	v_fmac_f64_e32 v[224:225], v[226:227], v[218:219]
	s_waitcnt vmcnt(24)
	v_add_f64 v[94:95], v[94:95], -v[224:225]
	ds_read2_b64 v[224:227], v220 offset0:58 offset1:59
	v_add_f64 v[92:93], v[92:93], -v[104:105]
	s_waitcnt lgkmcnt(1)
	v_mul_f64 v[104:105], v[210:211], v[106:107]
	v_fma_f64 v[104:105], v[208:209], v[218:219], -v[104:105]
	v_mul_f64 v[208:209], v[208:209], v[106:107]
	v_fmac_f64_e32 v[208:209], v[210:211], v[218:219]
	s_waitcnt vmcnt(23)
	v_add_f64 v[88:89], v[88:89], -v[104:105]
	v_add_f64 v[90:91], v[90:91], -v[208:209]
	;; [unrolled: 18-line block ×13, first 2 shown]
	s_waitcnt lgkmcnt(0)
	v_mul_f64 v[104:105], v[226:227], v[106:107]
	v_mul_f64 v[208:209], v[224:225], v[106:107]
	v_fma_f64 v[104:105], v[224:225], v[218:219], -v[104:105]
	v_fmac_f64_e32 v[208:209], v[226:227], v[218:219]
	s_waitcnt vmcnt(0)
	v_add_f64 v[204:205], v[204:205], -v[104:105]
	v_add_f64 v[206:207], v[206:207], -v[208:209]
	v_mov_b64_e32 v[104:105], v[218:219]
.LBB102_524:
	s_or_b64 exec, exec, s[0:1]
	v_lshl_add_u32 v208, v221, 4, v220
	s_barrier
	s_waitcnt vmcnt(26)
	ds_write2_b64 v208, v[100:101], v[102:103] offset1:1
	s_waitcnt lgkmcnt(0)
	s_barrier
	ds_read2_b64 v[208:211], v220 offset0:50 offset1:51
	s_cmp_lt_i32 s20, 27
	v_mov_b32_e32 v218, 25
	s_cbranch_scc1 .LBB102_527
; %bb.525:
	v_add_u32_e32 v219, 0x1a0, v220
	s_mov_b32 s16, 26
	v_mov_b32_e32 v218, 25
.LBB102_526:                            ; =>This Inner Loop Header: Depth=1
	ds_read2_b64 v[224:227], v219 offset1:1
	s_waitcnt lgkmcnt(1)
	v_xor_b32_e32 v229, 0x80000000, v209
	v_xor_b32_e32 v231, 0x80000000, v211
	v_cmp_gt_f64_e32 vcc, 0, v[210:211]
	v_cmp_gt_f64_e64 s[0:1], 0, v[208:209]
	v_mov_b32_e32 v228, v208
	v_mov_b32_e32 v230, v210
	v_cndmask_b32_e64 v229, v209, v229, s[0:1]
	v_cndmask_b32_e32 v231, v211, v231, vcc
	v_add_f64 v[228:229], v[228:229], v[230:231]
	s_waitcnt lgkmcnt(0)
	v_xor_b32_e32 v231, 0x80000000, v225
	v_xor_b32_e32 v233, 0x80000000, v227
	v_cmp_gt_f64_e32 vcc, 0, v[226:227]
	v_cmp_gt_f64_e64 s[0:1], 0, v[224:225]
	v_mov_b32_e32 v230, v224
	v_mov_b32_e32 v232, v226
	v_cndmask_b32_e64 v231, v225, v231, s[0:1]
	v_cndmask_b32_e32 v233, v227, v233, vcc
	v_add_f64 v[230:231], v[230:231], v[232:233]
	v_mov_b32_e32 v234, s16
	s_add_i32 s16, s16, 1
	v_cmp_lt_f64_e32 vcc, v[228:229], v[230:231]
	v_add_u32_e32 v219, 16, v219
	s_cmp_lg_u32 s20, s16
	v_cndmask_b32_e32 v209, v209, v225, vcc
	v_cndmask_b32_e32 v208, v208, v224, vcc
	;; [unrolled: 1-line block ×5, first 2 shown]
	s_cbranch_scc1 .LBB102_526
.LBB102_527:
	s_waitcnt lgkmcnt(0)
	v_cmp_eq_f64_e32 vcc, 0, v[208:209]
	v_cmp_eq_f64_e64 s[0:1], 0, v[210:211]
	s_and_b64 s[0:1], vcc, s[0:1]
	s_and_saveexec_b64 s[16:17], s[0:1]
	s_xor_b64 s[0:1], exec, s[16:17]
; %bb.528:
	v_cmp_ne_u32_e32 vcc, 0, v222
	s_nop 1
	v_cndmask_b32_e32 v222, 26, v222, vcc
; %bb.529:
	s_andn2_saveexec_b64 s[0:1], s[0:1]
	s_cbranch_execz .LBB102_535
; %bb.530:
	v_cmp_ngt_f64_e64 s[16:17], |v[208:209]|, |v[210:211]|
	s_and_saveexec_b64 s[18:19], s[16:17]
	s_xor_b64 s[16:17], exec, s[18:19]
	s_cbranch_execz .LBB102_532
; %bb.531:
	v_div_scale_f64 v[224:225], s[18:19], v[210:211], v[210:211], v[208:209]
	v_rcp_f64_e32 v[226:227], v[224:225]
	v_div_scale_f64 v[228:229], vcc, v[208:209], v[210:211], v[208:209]
	v_fma_f64 v[230:231], -v[224:225], v[226:227], 1.0
	v_fmac_f64_e32 v[226:227], v[226:227], v[230:231]
	v_fma_f64 v[230:231], -v[224:225], v[226:227], 1.0
	v_fmac_f64_e32 v[226:227], v[226:227], v[230:231]
	v_mul_f64 v[230:231], v[228:229], v[226:227]
	v_fma_f64 v[224:225], -v[224:225], v[230:231], v[228:229]
	v_div_fmas_f64 v[224:225], v[224:225], v[226:227], v[230:231]
	v_div_fixup_f64 v[224:225], v[224:225], v[210:211], v[208:209]
	v_fmac_f64_e32 v[210:211], v[208:209], v[224:225]
	v_div_scale_f64 v[208:209], s[18:19], v[210:211], v[210:211], 1.0
	v_rcp_f64_e32 v[226:227], v[208:209]
	s_nop 0
	v_fma_f64 v[228:229], -v[208:209], v[226:227], 1.0
	v_fmac_f64_e32 v[226:227], v[226:227], v[228:229]
	v_fma_f64 v[228:229], -v[208:209], v[226:227], 1.0
	v_fmac_f64_e32 v[226:227], v[226:227], v[228:229]
	v_div_scale_f64 v[228:229], vcc, 1.0, v[210:211], 1.0
	v_mul_f64 v[230:231], v[228:229], v[226:227]
	v_fma_f64 v[208:209], -v[208:209], v[230:231], v[228:229]
	s_nop 1
	v_div_fmas_f64 v[208:209], v[208:209], v[226:227], v[230:231]
	v_div_fixup_f64 v[210:211], v[208:209], v[210:211], 1.0
	v_mul_f64 v[208:209], v[224:225], v[210:211]
	v_xor_b32_e32 v211, 0x80000000, v211
.LBB102_532:
	s_andn2_saveexec_b64 s[16:17], s[16:17]
	s_cbranch_execz .LBB102_534
; %bb.533:
	v_div_scale_f64 v[224:225], s[18:19], v[208:209], v[208:209], v[210:211]
	v_rcp_f64_e32 v[226:227], v[224:225]
	v_div_scale_f64 v[228:229], vcc, v[210:211], v[208:209], v[210:211]
	v_fma_f64 v[230:231], -v[224:225], v[226:227], 1.0
	v_fmac_f64_e32 v[226:227], v[226:227], v[230:231]
	v_fma_f64 v[230:231], -v[224:225], v[226:227], 1.0
	v_fmac_f64_e32 v[226:227], v[226:227], v[230:231]
	v_mul_f64 v[230:231], v[228:229], v[226:227]
	v_fma_f64 v[224:225], -v[224:225], v[230:231], v[228:229]
	v_div_fmas_f64 v[224:225], v[224:225], v[226:227], v[230:231]
	v_div_fixup_f64 v[224:225], v[224:225], v[208:209], v[210:211]
	v_fmac_f64_e32 v[208:209], v[210:211], v[224:225]
	v_div_scale_f64 v[210:211], s[18:19], v[208:209], v[208:209], 1.0
	v_rcp_f64_e32 v[226:227], v[210:211]
	s_nop 0
	v_fma_f64 v[228:229], -v[210:211], v[226:227], 1.0
	v_fmac_f64_e32 v[226:227], v[226:227], v[228:229]
	v_fma_f64 v[228:229], -v[210:211], v[226:227], 1.0
	v_fmac_f64_e32 v[226:227], v[226:227], v[228:229]
	v_div_scale_f64 v[228:229], vcc, 1.0, v[208:209], 1.0
	v_mul_f64 v[230:231], v[228:229], v[226:227]
	v_fma_f64 v[210:211], -v[210:211], v[230:231], v[228:229]
	s_nop 1
	v_div_fmas_f64 v[210:211], v[210:211], v[226:227], v[230:231]
	v_div_fixup_f64 v[208:209], v[210:211], v[208:209], 1.0
	v_mul_f64 v[210:211], v[224:225], -v[208:209]
.LBB102_534:
	s_or_b64 exec, exec, s[16:17]
.LBB102_535:
	s_or_b64 exec, exec, s[0:1]
	v_cmp_ne_u32_e32 vcc, v221, v218
	s_and_saveexec_b64 s[0:1], vcc
	s_xor_b64 s[0:1], exec, s[0:1]
	s_cbranch_execz .LBB102_541
; %bb.536:
	v_cmp_eq_u32_e32 vcc, 25, v221
	s_and_saveexec_b64 s[16:17], vcc
	s_cbranch_execz .LBB102_540
; %bb.537:
	v_cmp_ne_u32_e32 vcc, 25, v218
	s_xor_b64 s[18:19], s[14:15], -1
	s_and_b64 s[22:23], s[18:19], vcc
	s_and_saveexec_b64 s[18:19], s[22:23]
	s_cbranch_execz .LBB102_539
; %bb.538:
	v_ashrrev_i32_e32 v219, 31, v218
	v_lshl_add_u64 v[224:225], v[218:219], 2, v[216:217]
	global_load_dword v219, v[224:225], off
	global_load_dword v221, v[216:217], off offset:100
	s_waitcnt vmcnt(1)
	global_store_dword v[216:217], v219, off offset:100
	s_waitcnt vmcnt(1)
	global_store_dword v[224:225], v221, off
.LBB102_539:
	s_or_b64 exec, exec, s[18:19]
	v_mov_b32_e32 v221, v218
	v_mov_b32_e32 v223, v218
.LBB102_540:
	s_or_b64 exec, exec, s[16:17]
.LBB102_541:
	s_andn2_saveexec_b64 s[0:1], s[0:1]
	s_cbranch_execz .LBB102_543
; %bb.542:
	v_mov_b32_e32 v221, 25
	s_waitcnt vmcnt(25)
	ds_write2_b64 v220, v[96:97], v[98:99] offset0:52 offset1:53
	s_waitcnt vmcnt(24)
	ds_write2_b64 v220, v[92:93], v[94:95] offset0:54 offset1:55
	;; [unrolled: 2-line block ×26, first 2 shown]
.LBB102_543:
	s_or_b64 exec, exec, s[0:1]
	v_cmp_lt_i32_e32 vcc, 25, v221
	s_waitcnt lgkmcnt(0)
	s_barrier
	s_and_saveexec_b64 s[0:1], vcc
	s_cbranch_execz .LBB102_545
; %bb.544:
	ds_read2_b64 v[224:227], v220 offset0:52 offset1:53
	v_mul_f64 v[218:219], v[210:211], v[102:103]
	v_mul_f64 v[102:103], v[208:209], v[102:103]
	v_fma_f64 v[218:219], v[208:209], v[100:101], -v[218:219]
	v_fmac_f64_e32 v[102:103], v[210:211], v[100:101]
	ds_read2_b64 v[208:211], v220 offset0:54 offset1:55
	s_waitcnt lgkmcnt(1)
	v_mul_f64 v[100:101], v[226:227], v[102:103]
	v_fma_f64 v[100:101], v[224:225], v[218:219], -v[100:101]
	v_mul_f64 v[224:225], v[224:225], v[102:103]
	v_fmac_f64_e32 v[224:225], v[226:227], v[218:219]
	s_waitcnt vmcnt(25)
	v_add_f64 v[96:97], v[96:97], -v[100:101]
	s_waitcnt lgkmcnt(0)
	v_mul_f64 v[100:101], v[210:211], v[102:103]
	v_add_f64 v[98:99], v[98:99], -v[224:225]
	v_fma_f64 v[100:101], v[208:209], v[218:219], -v[100:101]
	v_mul_f64 v[208:209], v[208:209], v[102:103]
	ds_read2_b64 v[224:227], v220 offset0:56 offset1:57
	v_fmac_f64_e32 v[208:209], v[210:211], v[218:219]
	s_waitcnt vmcnt(24)
	v_add_f64 v[94:95], v[94:95], -v[208:209]
	ds_read2_b64 v[208:211], v220 offset0:58 offset1:59
	v_add_f64 v[92:93], v[92:93], -v[100:101]
	s_waitcnt lgkmcnt(1)
	v_mul_f64 v[100:101], v[226:227], v[102:103]
	v_fma_f64 v[100:101], v[224:225], v[218:219], -v[100:101]
	v_mul_f64 v[224:225], v[224:225], v[102:103]
	v_fmac_f64_e32 v[224:225], v[226:227], v[218:219]
	s_waitcnt vmcnt(23)
	v_add_f64 v[88:89], v[88:89], -v[100:101]
	s_waitcnt lgkmcnt(0)
	v_mul_f64 v[100:101], v[210:211], v[102:103]
	v_add_f64 v[90:91], v[90:91], -v[224:225]
	v_fma_f64 v[100:101], v[208:209], v[218:219], -v[100:101]
	v_mul_f64 v[208:209], v[208:209], v[102:103]
	ds_read2_b64 v[224:227], v220 offset0:60 offset1:61
	v_fmac_f64_e32 v[208:209], v[210:211], v[218:219]
	s_waitcnt vmcnt(22)
	v_add_f64 v[86:87], v[86:87], -v[208:209]
	ds_read2_b64 v[208:211], v220 offset0:62 offset1:63
	v_add_f64 v[84:85], v[84:85], -v[100:101]
	;; [unrolled: 18-line block ×12, first 2 shown]
	s_waitcnt lgkmcnt(1)
	v_mul_f64 v[100:101], v[226:227], v[102:103]
	v_fma_f64 v[100:101], v[224:225], v[218:219], -v[100:101]
	s_waitcnt vmcnt(1)
	v_add_f64 v[0:1], v[0:1], -v[100:101]
	s_waitcnt lgkmcnt(0)
	v_mul_f64 v[100:101], v[210:211], v[102:103]
	v_mul_f64 v[224:225], v[224:225], v[102:103]
	v_fma_f64 v[100:101], v[208:209], v[218:219], -v[100:101]
	v_mul_f64 v[208:209], v[208:209], v[102:103]
	v_fmac_f64_e32 v[224:225], v[226:227], v[218:219]
	v_fmac_f64_e32 v[208:209], v[210:211], v[218:219]
	v_add_f64 v[2:3], v[2:3], -v[224:225]
	s_waitcnt vmcnt(0)
	v_add_f64 v[204:205], v[204:205], -v[100:101]
	v_add_f64 v[206:207], v[206:207], -v[208:209]
	v_mov_b64_e32 v[100:101], v[218:219]
.LBB102_545:
	s_or_b64 exec, exec, s[0:1]
	v_lshl_add_u32 v208, v221, 4, v220
	s_barrier
	s_waitcnt vmcnt(25)
	ds_write2_b64 v208, v[96:97], v[98:99] offset1:1
	s_waitcnt lgkmcnt(0)
	s_barrier
	ds_read2_b64 v[208:211], v220 offset0:52 offset1:53
	s_cmp_lt_i32 s20, 28
	v_mov_b32_e32 v218, 26
	s_cbranch_scc1 .LBB102_548
; %bb.546:
	v_add_u32_e32 v219, 0x1b0, v220
	s_mov_b32 s16, 27
	v_mov_b32_e32 v218, 26
.LBB102_547:                            ; =>This Inner Loop Header: Depth=1
	ds_read2_b64 v[224:227], v219 offset1:1
	s_waitcnt lgkmcnt(1)
	v_xor_b32_e32 v229, 0x80000000, v209
	v_xor_b32_e32 v231, 0x80000000, v211
	v_cmp_gt_f64_e32 vcc, 0, v[210:211]
	v_cmp_gt_f64_e64 s[0:1], 0, v[208:209]
	v_mov_b32_e32 v228, v208
	v_mov_b32_e32 v230, v210
	v_cndmask_b32_e64 v229, v209, v229, s[0:1]
	v_cndmask_b32_e32 v231, v211, v231, vcc
	v_add_f64 v[228:229], v[228:229], v[230:231]
	s_waitcnt lgkmcnt(0)
	v_xor_b32_e32 v231, 0x80000000, v225
	v_xor_b32_e32 v233, 0x80000000, v227
	v_cmp_gt_f64_e32 vcc, 0, v[226:227]
	v_cmp_gt_f64_e64 s[0:1], 0, v[224:225]
	v_mov_b32_e32 v230, v224
	v_mov_b32_e32 v232, v226
	v_cndmask_b32_e64 v231, v225, v231, s[0:1]
	v_cndmask_b32_e32 v233, v227, v233, vcc
	v_add_f64 v[230:231], v[230:231], v[232:233]
	v_mov_b32_e32 v234, s16
	s_add_i32 s16, s16, 1
	v_cmp_lt_f64_e32 vcc, v[228:229], v[230:231]
	v_add_u32_e32 v219, 16, v219
	s_cmp_lg_u32 s20, s16
	v_cndmask_b32_e32 v209, v209, v225, vcc
	v_cndmask_b32_e32 v208, v208, v224, vcc
	;; [unrolled: 1-line block ×5, first 2 shown]
	s_cbranch_scc1 .LBB102_547
.LBB102_548:
	s_waitcnt lgkmcnt(0)
	v_cmp_eq_f64_e32 vcc, 0, v[208:209]
	v_cmp_eq_f64_e64 s[0:1], 0, v[210:211]
	s_and_b64 s[0:1], vcc, s[0:1]
	s_and_saveexec_b64 s[16:17], s[0:1]
	s_xor_b64 s[0:1], exec, s[16:17]
; %bb.549:
	v_cmp_ne_u32_e32 vcc, 0, v222
	s_nop 1
	v_cndmask_b32_e32 v222, 27, v222, vcc
; %bb.550:
	s_andn2_saveexec_b64 s[0:1], s[0:1]
	s_cbranch_execz .LBB102_556
; %bb.551:
	v_cmp_ngt_f64_e64 s[16:17], |v[208:209]|, |v[210:211]|
	s_and_saveexec_b64 s[18:19], s[16:17]
	s_xor_b64 s[16:17], exec, s[18:19]
	s_cbranch_execz .LBB102_553
; %bb.552:
	v_div_scale_f64 v[224:225], s[18:19], v[210:211], v[210:211], v[208:209]
	v_rcp_f64_e32 v[226:227], v[224:225]
	v_div_scale_f64 v[228:229], vcc, v[208:209], v[210:211], v[208:209]
	v_fma_f64 v[230:231], -v[224:225], v[226:227], 1.0
	v_fmac_f64_e32 v[226:227], v[226:227], v[230:231]
	v_fma_f64 v[230:231], -v[224:225], v[226:227], 1.0
	v_fmac_f64_e32 v[226:227], v[226:227], v[230:231]
	v_mul_f64 v[230:231], v[228:229], v[226:227]
	v_fma_f64 v[224:225], -v[224:225], v[230:231], v[228:229]
	v_div_fmas_f64 v[224:225], v[224:225], v[226:227], v[230:231]
	v_div_fixup_f64 v[224:225], v[224:225], v[210:211], v[208:209]
	v_fmac_f64_e32 v[210:211], v[208:209], v[224:225]
	v_div_scale_f64 v[208:209], s[18:19], v[210:211], v[210:211], 1.0
	v_rcp_f64_e32 v[226:227], v[208:209]
	s_nop 0
	v_fma_f64 v[228:229], -v[208:209], v[226:227], 1.0
	v_fmac_f64_e32 v[226:227], v[226:227], v[228:229]
	v_fma_f64 v[228:229], -v[208:209], v[226:227], 1.0
	v_fmac_f64_e32 v[226:227], v[226:227], v[228:229]
	v_div_scale_f64 v[228:229], vcc, 1.0, v[210:211], 1.0
	v_mul_f64 v[230:231], v[228:229], v[226:227]
	v_fma_f64 v[208:209], -v[208:209], v[230:231], v[228:229]
	s_nop 1
	v_div_fmas_f64 v[208:209], v[208:209], v[226:227], v[230:231]
	v_div_fixup_f64 v[210:211], v[208:209], v[210:211], 1.0
	v_mul_f64 v[208:209], v[224:225], v[210:211]
	v_xor_b32_e32 v211, 0x80000000, v211
.LBB102_553:
	s_andn2_saveexec_b64 s[16:17], s[16:17]
	s_cbranch_execz .LBB102_555
; %bb.554:
	v_div_scale_f64 v[224:225], s[18:19], v[208:209], v[208:209], v[210:211]
	v_rcp_f64_e32 v[226:227], v[224:225]
	v_div_scale_f64 v[228:229], vcc, v[210:211], v[208:209], v[210:211]
	v_fma_f64 v[230:231], -v[224:225], v[226:227], 1.0
	v_fmac_f64_e32 v[226:227], v[226:227], v[230:231]
	v_fma_f64 v[230:231], -v[224:225], v[226:227], 1.0
	v_fmac_f64_e32 v[226:227], v[226:227], v[230:231]
	v_mul_f64 v[230:231], v[228:229], v[226:227]
	v_fma_f64 v[224:225], -v[224:225], v[230:231], v[228:229]
	v_div_fmas_f64 v[224:225], v[224:225], v[226:227], v[230:231]
	v_div_fixup_f64 v[224:225], v[224:225], v[208:209], v[210:211]
	v_fmac_f64_e32 v[208:209], v[210:211], v[224:225]
	v_div_scale_f64 v[210:211], s[18:19], v[208:209], v[208:209], 1.0
	v_rcp_f64_e32 v[226:227], v[210:211]
	s_nop 0
	v_fma_f64 v[228:229], -v[210:211], v[226:227], 1.0
	v_fmac_f64_e32 v[226:227], v[226:227], v[228:229]
	v_fma_f64 v[228:229], -v[210:211], v[226:227], 1.0
	v_fmac_f64_e32 v[226:227], v[226:227], v[228:229]
	v_div_scale_f64 v[228:229], vcc, 1.0, v[208:209], 1.0
	v_mul_f64 v[230:231], v[228:229], v[226:227]
	v_fma_f64 v[210:211], -v[210:211], v[230:231], v[228:229]
	s_nop 1
	v_div_fmas_f64 v[210:211], v[210:211], v[226:227], v[230:231]
	v_div_fixup_f64 v[208:209], v[210:211], v[208:209], 1.0
	v_mul_f64 v[210:211], v[224:225], -v[208:209]
.LBB102_555:
	s_or_b64 exec, exec, s[16:17]
.LBB102_556:
	s_or_b64 exec, exec, s[0:1]
	v_cmp_ne_u32_e32 vcc, v221, v218
	s_and_saveexec_b64 s[0:1], vcc
	s_xor_b64 s[0:1], exec, s[0:1]
	s_cbranch_execz .LBB102_562
; %bb.557:
	v_cmp_eq_u32_e32 vcc, 26, v221
	s_and_saveexec_b64 s[16:17], vcc
	s_cbranch_execz .LBB102_561
; %bb.558:
	v_cmp_ne_u32_e32 vcc, 26, v218
	s_xor_b64 s[18:19], s[14:15], -1
	s_and_b64 s[22:23], s[18:19], vcc
	s_and_saveexec_b64 s[18:19], s[22:23]
	s_cbranch_execz .LBB102_560
; %bb.559:
	v_ashrrev_i32_e32 v219, 31, v218
	v_lshl_add_u64 v[224:225], v[218:219], 2, v[216:217]
	global_load_dword v219, v[224:225], off
	global_load_dword v221, v[216:217], off offset:104
	s_waitcnt vmcnt(1)
	global_store_dword v[216:217], v219, off offset:104
	s_waitcnt vmcnt(1)
	global_store_dword v[224:225], v221, off
.LBB102_560:
	s_or_b64 exec, exec, s[18:19]
	v_mov_b32_e32 v221, v218
	v_mov_b32_e32 v223, v218
.LBB102_561:
	s_or_b64 exec, exec, s[16:17]
.LBB102_562:
	s_andn2_saveexec_b64 s[0:1], s[0:1]
	s_cbranch_execz .LBB102_564
; %bb.563:
	v_mov_b32_e32 v221, 26
	s_waitcnt vmcnt(24)
	ds_write2_b64 v220, v[92:93], v[94:95] offset0:54 offset1:55
	s_waitcnt vmcnt(23)
	ds_write2_b64 v220, v[88:89], v[90:91] offset0:56 offset1:57
	;; [unrolled: 2-line block ×25, first 2 shown]
.LBB102_564:
	s_or_b64 exec, exec, s[0:1]
	v_cmp_lt_i32_e32 vcc, 26, v221
	s_waitcnt lgkmcnt(0)
	s_barrier
	s_and_saveexec_b64 s[0:1], vcc
	s_cbranch_execz .LBB102_566
; %bb.565:
	ds_read2_b64 v[224:227], v220 offset0:54 offset1:55
	v_mul_f64 v[218:219], v[210:211], v[98:99]
	v_mul_f64 v[98:99], v[208:209], v[98:99]
	v_fmac_f64_e32 v[98:99], v[210:211], v[96:97]
	v_fma_f64 v[218:219], v[208:209], v[96:97], -v[218:219]
	ds_read2_b64 v[208:211], v220 offset0:56 offset1:57
	s_waitcnt lgkmcnt(1)
	v_mul_f64 v[96:97], v[226:227], v[98:99]
	v_fma_f64 v[96:97], v[224:225], v[218:219], -v[96:97]
	v_mul_f64 v[224:225], v[224:225], v[98:99]
	v_fmac_f64_e32 v[224:225], v[226:227], v[218:219]
	s_waitcnt vmcnt(24)
	v_add_f64 v[94:95], v[94:95], -v[224:225]
	ds_read2_b64 v[224:227], v220 offset0:58 offset1:59
	v_add_f64 v[92:93], v[92:93], -v[96:97]
	s_waitcnt lgkmcnt(1)
	v_mul_f64 v[96:97], v[210:211], v[98:99]
	v_fma_f64 v[96:97], v[208:209], v[218:219], -v[96:97]
	v_mul_f64 v[208:209], v[208:209], v[98:99]
	v_fmac_f64_e32 v[208:209], v[210:211], v[218:219]
	s_waitcnt vmcnt(23)
	v_add_f64 v[88:89], v[88:89], -v[96:97]
	v_add_f64 v[90:91], v[90:91], -v[208:209]
	ds_read2_b64 v[208:211], v220 offset0:60 offset1:61
	s_waitcnt lgkmcnt(1)
	v_mul_f64 v[96:97], v[226:227], v[98:99]
	v_fma_f64 v[96:97], v[224:225], v[218:219], -v[96:97]
	v_mul_f64 v[224:225], v[224:225], v[98:99]
	v_fmac_f64_e32 v[224:225], v[226:227], v[218:219]
	s_waitcnt vmcnt(22)
	v_add_f64 v[86:87], v[86:87], -v[224:225]
	ds_read2_b64 v[224:227], v220 offset0:62 offset1:63
	v_add_f64 v[84:85], v[84:85], -v[96:97]
	s_waitcnt lgkmcnt(1)
	v_mul_f64 v[96:97], v[210:211], v[98:99]
	v_fma_f64 v[96:97], v[208:209], v[218:219], -v[96:97]
	v_mul_f64 v[208:209], v[208:209], v[98:99]
	v_fmac_f64_e32 v[208:209], v[210:211], v[218:219]
	s_waitcnt vmcnt(21)
	v_add_f64 v[80:81], v[80:81], -v[96:97]
	v_add_f64 v[82:83], v[82:83], -v[208:209]
	;; [unrolled: 18-line block ×12, first 2 shown]
	s_waitcnt lgkmcnt(0)
	v_mul_f64 v[96:97], v[226:227], v[98:99]
	v_mul_f64 v[208:209], v[224:225], v[98:99]
	v_fma_f64 v[96:97], v[224:225], v[218:219], -v[96:97]
	v_fmac_f64_e32 v[208:209], v[226:227], v[218:219]
	s_waitcnt vmcnt(0)
	v_add_f64 v[204:205], v[204:205], -v[96:97]
	v_add_f64 v[206:207], v[206:207], -v[208:209]
	v_mov_b64_e32 v[96:97], v[218:219]
.LBB102_566:
	s_or_b64 exec, exec, s[0:1]
	v_lshl_add_u32 v208, v221, 4, v220
	s_barrier
	s_waitcnt vmcnt(24)
	ds_write2_b64 v208, v[92:93], v[94:95] offset1:1
	s_waitcnt lgkmcnt(0)
	s_barrier
	ds_read2_b64 v[208:211], v220 offset0:54 offset1:55
	s_cmp_lt_i32 s20, 29
	v_mov_b32_e32 v218, 27
	s_cbranch_scc1 .LBB102_569
; %bb.567:
	v_add_u32_e32 v219, 0x1c0, v220
	s_mov_b32 s16, 28
	v_mov_b32_e32 v218, 27
.LBB102_568:                            ; =>This Inner Loop Header: Depth=1
	ds_read2_b64 v[224:227], v219 offset1:1
	s_waitcnt lgkmcnt(1)
	v_xor_b32_e32 v229, 0x80000000, v209
	v_xor_b32_e32 v231, 0x80000000, v211
	v_cmp_gt_f64_e32 vcc, 0, v[210:211]
	v_cmp_gt_f64_e64 s[0:1], 0, v[208:209]
	v_mov_b32_e32 v228, v208
	v_mov_b32_e32 v230, v210
	v_cndmask_b32_e64 v229, v209, v229, s[0:1]
	v_cndmask_b32_e32 v231, v211, v231, vcc
	v_add_f64 v[228:229], v[228:229], v[230:231]
	s_waitcnt lgkmcnt(0)
	v_xor_b32_e32 v231, 0x80000000, v225
	v_xor_b32_e32 v233, 0x80000000, v227
	v_cmp_gt_f64_e32 vcc, 0, v[226:227]
	v_cmp_gt_f64_e64 s[0:1], 0, v[224:225]
	v_mov_b32_e32 v230, v224
	v_mov_b32_e32 v232, v226
	v_cndmask_b32_e64 v231, v225, v231, s[0:1]
	v_cndmask_b32_e32 v233, v227, v233, vcc
	v_add_f64 v[230:231], v[230:231], v[232:233]
	v_mov_b32_e32 v234, s16
	s_add_i32 s16, s16, 1
	v_cmp_lt_f64_e32 vcc, v[228:229], v[230:231]
	v_add_u32_e32 v219, 16, v219
	s_cmp_lg_u32 s20, s16
	v_cndmask_b32_e32 v209, v209, v225, vcc
	v_cndmask_b32_e32 v208, v208, v224, vcc
	;; [unrolled: 1-line block ×5, first 2 shown]
	s_cbranch_scc1 .LBB102_568
.LBB102_569:
	s_waitcnt lgkmcnt(0)
	v_cmp_eq_f64_e32 vcc, 0, v[208:209]
	v_cmp_eq_f64_e64 s[0:1], 0, v[210:211]
	s_and_b64 s[0:1], vcc, s[0:1]
	s_and_saveexec_b64 s[16:17], s[0:1]
	s_xor_b64 s[0:1], exec, s[16:17]
; %bb.570:
	v_cmp_ne_u32_e32 vcc, 0, v222
	s_nop 1
	v_cndmask_b32_e32 v222, 28, v222, vcc
; %bb.571:
	s_andn2_saveexec_b64 s[0:1], s[0:1]
	s_cbranch_execz .LBB102_577
; %bb.572:
	v_cmp_ngt_f64_e64 s[16:17], |v[208:209]|, |v[210:211]|
	s_and_saveexec_b64 s[18:19], s[16:17]
	s_xor_b64 s[16:17], exec, s[18:19]
	s_cbranch_execz .LBB102_574
; %bb.573:
	v_div_scale_f64 v[224:225], s[18:19], v[210:211], v[210:211], v[208:209]
	v_rcp_f64_e32 v[226:227], v[224:225]
	v_div_scale_f64 v[228:229], vcc, v[208:209], v[210:211], v[208:209]
	v_fma_f64 v[230:231], -v[224:225], v[226:227], 1.0
	v_fmac_f64_e32 v[226:227], v[226:227], v[230:231]
	v_fma_f64 v[230:231], -v[224:225], v[226:227], 1.0
	v_fmac_f64_e32 v[226:227], v[226:227], v[230:231]
	v_mul_f64 v[230:231], v[228:229], v[226:227]
	v_fma_f64 v[224:225], -v[224:225], v[230:231], v[228:229]
	v_div_fmas_f64 v[224:225], v[224:225], v[226:227], v[230:231]
	v_div_fixup_f64 v[224:225], v[224:225], v[210:211], v[208:209]
	v_fmac_f64_e32 v[210:211], v[208:209], v[224:225]
	v_div_scale_f64 v[208:209], s[18:19], v[210:211], v[210:211], 1.0
	v_rcp_f64_e32 v[226:227], v[208:209]
	s_nop 0
	v_fma_f64 v[228:229], -v[208:209], v[226:227], 1.0
	v_fmac_f64_e32 v[226:227], v[226:227], v[228:229]
	v_fma_f64 v[228:229], -v[208:209], v[226:227], 1.0
	v_fmac_f64_e32 v[226:227], v[226:227], v[228:229]
	v_div_scale_f64 v[228:229], vcc, 1.0, v[210:211], 1.0
	v_mul_f64 v[230:231], v[228:229], v[226:227]
	v_fma_f64 v[208:209], -v[208:209], v[230:231], v[228:229]
	s_nop 1
	v_div_fmas_f64 v[208:209], v[208:209], v[226:227], v[230:231]
	v_div_fixup_f64 v[210:211], v[208:209], v[210:211], 1.0
	v_mul_f64 v[208:209], v[224:225], v[210:211]
	v_xor_b32_e32 v211, 0x80000000, v211
.LBB102_574:
	s_andn2_saveexec_b64 s[16:17], s[16:17]
	s_cbranch_execz .LBB102_576
; %bb.575:
	v_div_scale_f64 v[224:225], s[18:19], v[208:209], v[208:209], v[210:211]
	v_rcp_f64_e32 v[226:227], v[224:225]
	v_div_scale_f64 v[228:229], vcc, v[210:211], v[208:209], v[210:211]
	v_fma_f64 v[230:231], -v[224:225], v[226:227], 1.0
	v_fmac_f64_e32 v[226:227], v[226:227], v[230:231]
	v_fma_f64 v[230:231], -v[224:225], v[226:227], 1.0
	v_fmac_f64_e32 v[226:227], v[226:227], v[230:231]
	v_mul_f64 v[230:231], v[228:229], v[226:227]
	v_fma_f64 v[224:225], -v[224:225], v[230:231], v[228:229]
	v_div_fmas_f64 v[224:225], v[224:225], v[226:227], v[230:231]
	v_div_fixup_f64 v[224:225], v[224:225], v[208:209], v[210:211]
	v_fmac_f64_e32 v[208:209], v[210:211], v[224:225]
	v_div_scale_f64 v[210:211], s[18:19], v[208:209], v[208:209], 1.0
	v_rcp_f64_e32 v[226:227], v[210:211]
	s_nop 0
	v_fma_f64 v[228:229], -v[210:211], v[226:227], 1.0
	v_fmac_f64_e32 v[226:227], v[226:227], v[228:229]
	v_fma_f64 v[228:229], -v[210:211], v[226:227], 1.0
	v_fmac_f64_e32 v[226:227], v[226:227], v[228:229]
	v_div_scale_f64 v[228:229], vcc, 1.0, v[208:209], 1.0
	v_mul_f64 v[230:231], v[228:229], v[226:227]
	v_fma_f64 v[210:211], -v[210:211], v[230:231], v[228:229]
	s_nop 1
	v_div_fmas_f64 v[210:211], v[210:211], v[226:227], v[230:231]
	v_div_fixup_f64 v[208:209], v[210:211], v[208:209], 1.0
	v_mul_f64 v[210:211], v[224:225], -v[208:209]
.LBB102_576:
	s_or_b64 exec, exec, s[16:17]
.LBB102_577:
	s_or_b64 exec, exec, s[0:1]
	v_cmp_ne_u32_e32 vcc, v221, v218
	s_and_saveexec_b64 s[0:1], vcc
	s_xor_b64 s[0:1], exec, s[0:1]
	s_cbranch_execz .LBB102_583
; %bb.578:
	v_cmp_eq_u32_e32 vcc, 27, v221
	s_and_saveexec_b64 s[16:17], vcc
	s_cbranch_execz .LBB102_582
; %bb.579:
	v_cmp_ne_u32_e32 vcc, 27, v218
	s_xor_b64 s[18:19], s[14:15], -1
	s_and_b64 s[22:23], s[18:19], vcc
	s_and_saveexec_b64 s[18:19], s[22:23]
	s_cbranch_execz .LBB102_581
; %bb.580:
	v_ashrrev_i32_e32 v219, 31, v218
	v_lshl_add_u64 v[224:225], v[218:219], 2, v[216:217]
	global_load_dword v219, v[224:225], off
	global_load_dword v221, v[216:217], off offset:108
	s_waitcnt vmcnt(1)
	global_store_dword v[216:217], v219, off offset:108
	s_waitcnt vmcnt(1)
	global_store_dword v[224:225], v221, off
.LBB102_581:
	s_or_b64 exec, exec, s[18:19]
	v_mov_b32_e32 v221, v218
	v_mov_b32_e32 v223, v218
.LBB102_582:
	s_or_b64 exec, exec, s[16:17]
.LBB102_583:
	s_andn2_saveexec_b64 s[0:1], s[0:1]
	s_cbranch_execz .LBB102_585
; %bb.584:
	v_mov_b32_e32 v221, 27
	s_waitcnt vmcnt(23)
	ds_write2_b64 v220, v[88:89], v[90:91] offset0:56 offset1:57
	s_waitcnt vmcnt(22)
	ds_write2_b64 v220, v[84:85], v[86:87] offset0:58 offset1:59
	;; [unrolled: 2-line block ×24, first 2 shown]
.LBB102_585:
	s_or_b64 exec, exec, s[0:1]
	v_cmp_lt_i32_e32 vcc, 27, v221
	s_waitcnt lgkmcnt(0)
	s_barrier
	s_and_saveexec_b64 s[0:1], vcc
	s_cbranch_execz .LBB102_587
; %bb.586:
	ds_read2_b64 v[224:227], v220 offset0:56 offset1:57
	v_mul_f64 v[218:219], v[210:211], v[94:95]
	v_mul_f64 v[94:95], v[208:209], v[94:95]
	v_fma_f64 v[218:219], v[208:209], v[92:93], -v[218:219]
	v_fmac_f64_e32 v[94:95], v[210:211], v[92:93]
	ds_read2_b64 v[208:211], v220 offset0:58 offset1:59
	s_waitcnt lgkmcnt(1)
	v_mul_f64 v[92:93], v[226:227], v[94:95]
	v_fma_f64 v[92:93], v[224:225], v[218:219], -v[92:93]
	v_mul_f64 v[224:225], v[224:225], v[94:95]
	v_fmac_f64_e32 v[224:225], v[226:227], v[218:219]
	s_waitcnt vmcnt(23)
	v_add_f64 v[88:89], v[88:89], -v[92:93]
	s_waitcnt lgkmcnt(0)
	v_mul_f64 v[92:93], v[210:211], v[94:95]
	v_add_f64 v[90:91], v[90:91], -v[224:225]
	v_fma_f64 v[92:93], v[208:209], v[218:219], -v[92:93]
	v_mul_f64 v[208:209], v[208:209], v[94:95]
	ds_read2_b64 v[224:227], v220 offset0:60 offset1:61
	v_fmac_f64_e32 v[208:209], v[210:211], v[218:219]
	s_waitcnt vmcnt(22)
	v_add_f64 v[86:87], v[86:87], -v[208:209]
	ds_read2_b64 v[208:211], v220 offset0:62 offset1:63
	v_add_f64 v[84:85], v[84:85], -v[92:93]
	s_waitcnt lgkmcnt(1)
	v_mul_f64 v[92:93], v[226:227], v[94:95]
	v_fma_f64 v[92:93], v[224:225], v[218:219], -v[92:93]
	v_mul_f64 v[224:225], v[224:225], v[94:95]
	v_fmac_f64_e32 v[224:225], v[226:227], v[218:219]
	s_waitcnt vmcnt(21)
	v_add_f64 v[80:81], v[80:81], -v[92:93]
	s_waitcnt lgkmcnt(0)
	v_mul_f64 v[92:93], v[210:211], v[94:95]
	v_add_f64 v[82:83], v[82:83], -v[224:225]
	v_fma_f64 v[92:93], v[208:209], v[218:219], -v[92:93]
	v_mul_f64 v[208:209], v[208:209], v[94:95]
	ds_read2_b64 v[224:227], v220 offset0:64 offset1:65
	v_fmac_f64_e32 v[208:209], v[210:211], v[218:219]
	s_waitcnt vmcnt(20)
	v_add_f64 v[78:79], v[78:79], -v[208:209]
	ds_read2_b64 v[208:211], v220 offset0:66 offset1:67
	v_add_f64 v[76:77], v[76:77], -v[92:93]
	;; [unrolled: 18-line block ×11, first 2 shown]
	s_waitcnt lgkmcnt(1)
	v_mul_f64 v[92:93], v[226:227], v[94:95]
	v_fma_f64 v[92:93], v[224:225], v[218:219], -v[92:93]
	s_waitcnt vmcnt(1)
	v_add_f64 v[0:1], v[0:1], -v[92:93]
	s_waitcnt lgkmcnt(0)
	v_mul_f64 v[92:93], v[210:211], v[94:95]
	v_mul_f64 v[224:225], v[224:225], v[94:95]
	v_fma_f64 v[92:93], v[208:209], v[218:219], -v[92:93]
	v_mul_f64 v[208:209], v[208:209], v[94:95]
	v_fmac_f64_e32 v[224:225], v[226:227], v[218:219]
	v_fmac_f64_e32 v[208:209], v[210:211], v[218:219]
	v_add_f64 v[2:3], v[2:3], -v[224:225]
	s_waitcnt vmcnt(0)
	v_add_f64 v[204:205], v[204:205], -v[92:93]
	v_add_f64 v[206:207], v[206:207], -v[208:209]
	v_mov_b64_e32 v[92:93], v[218:219]
.LBB102_587:
	s_or_b64 exec, exec, s[0:1]
	v_lshl_add_u32 v208, v221, 4, v220
	s_barrier
	s_waitcnt vmcnt(23)
	ds_write2_b64 v208, v[88:89], v[90:91] offset1:1
	s_waitcnt lgkmcnt(0)
	s_barrier
	ds_read2_b64 v[208:211], v220 offset0:56 offset1:57
	s_cmp_lt_i32 s20, 30
	v_mov_b32_e32 v218, 28
	s_cbranch_scc1 .LBB102_590
; %bb.588:
	v_add_u32_e32 v219, 0x1d0, v220
	s_mov_b32 s16, 29
	v_mov_b32_e32 v218, 28
.LBB102_589:                            ; =>This Inner Loop Header: Depth=1
	ds_read2_b64 v[224:227], v219 offset1:1
	s_waitcnt lgkmcnt(1)
	v_xor_b32_e32 v229, 0x80000000, v209
	v_xor_b32_e32 v231, 0x80000000, v211
	v_cmp_gt_f64_e32 vcc, 0, v[210:211]
	v_cmp_gt_f64_e64 s[0:1], 0, v[208:209]
	v_mov_b32_e32 v228, v208
	v_mov_b32_e32 v230, v210
	v_cndmask_b32_e64 v229, v209, v229, s[0:1]
	v_cndmask_b32_e32 v231, v211, v231, vcc
	v_add_f64 v[228:229], v[228:229], v[230:231]
	s_waitcnt lgkmcnt(0)
	v_xor_b32_e32 v231, 0x80000000, v225
	v_xor_b32_e32 v233, 0x80000000, v227
	v_cmp_gt_f64_e32 vcc, 0, v[226:227]
	v_cmp_gt_f64_e64 s[0:1], 0, v[224:225]
	v_mov_b32_e32 v230, v224
	v_mov_b32_e32 v232, v226
	v_cndmask_b32_e64 v231, v225, v231, s[0:1]
	v_cndmask_b32_e32 v233, v227, v233, vcc
	v_add_f64 v[230:231], v[230:231], v[232:233]
	v_mov_b32_e32 v234, s16
	s_add_i32 s16, s16, 1
	v_cmp_lt_f64_e32 vcc, v[228:229], v[230:231]
	v_add_u32_e32 v219, 16, v219
	s_cmp_lg_u32 s20, s16
	v_cndmask_b32_e32 v209, v209, v225, vcc
	v_cndmask_b32_e32 v208, v208, v224, vcc
	;; [unrolled: 1-line block ×5, first 2 shown]
	s_cbranch_scc1 .LBB102_589
.LBB102_590:
	s_waitcnt lgkmcnt(0)
	v_cmp_eq_f64_e32 vcc, 0, v[208:209]
	v_cmp_eq_f64_e64 s[0:1], 0, v[210:211]
	s_and_b64 s[0:1], vcc, s[0:1]
	s_and_saveexec_b64 s[16:17], s[0:1]
	s_xor_b64 s[0:1], exec, s[16:17]
; %bb.591:
	v_cmp_ne_u32_e32 vcc, 0, v222
	s_nop 1
	v_cndmask_b32_e32 v222, 29, v222, vcc
; %bb.592:
	s_andn2_saveexec_b64 s[0:1], s[0:1]
	s_cbranch_execz .LBB102_598
; %bb.593:
	v_cmp_ngt_f64_e64 s[16:17], |v[208:209]|, |v[210:211]|
	s_and_saveexec_b64 s[18:19], s[16:17]
	s_xor_b64 s[16:17], exec, s[18:19]
	s_cbranch_execz .LBB102_595
; %bb.594:
	v_div_scale_f64 v[224:225], s[18:19], v[210:211], v[210:211], v[208:209]
	v_rcp_f64_e32 v[226:227], v[224:225]
	v_div_scale_f64 v[228:229], vcc, v[208:209], v[210:211], v[208:209]
	v_fma_f64 v[230:231], -v[224:225], v[226:227], 1.0
	v_fmac_f64_e32 v[226:227], v[226:227], v[230:231]
	v_fma_f64 v[230:231], -v[224:225], v[226:227], 1.0
	v_fmac_f64_e32 v[226:227], v[226:227], v[230:231]
	v_mul_f64 v[230:231], v[228:229], v[226:227]
	v_fma_f64 v[224:225], -v[224:225], v[230:231], v[228:229]
	v_div_fmas_f64 v[224:225], v[224:225], v[226:227], v[230:231]
	v_div_fixup_f64 v[224:225], v[224:225], v[210:211], v[208:209]
	v_fmac_f64_e32 v[210:211], v[208:209], v[224:225]
	v_div_scale_f64 v[208:209], s[18:19], v[210:211], v[210:211], 1.0
	v_rcp_f64_e32 v[226:227], v[208:209]
	s_nop 0
	v_fma_f64 v[228:229], -v[208:209], v[226:227], 1.0
	v_fmac_f64_e32 v[226:227], v[226:227], v[228:229]
	v_fma_f64 v[228:229], -v[208:209], v[226:227], 1.0
	v_fmac_f64_e32 v[226:227], v[226:227], v[228:229]
	v_div_scale_f64 v[228:229], vcc, 1.0, v[210:211], 1.0
	v_mul_f64 v[230:231], v[228:229], v[226:227]
	v_fma_f64 v[208:209], -v[208:209], v[230:231], v[228:229]
	s_nop 1
	v_div_fmas_f64 v[208:209], v[208:209], v[226:227], v[230:231]
	v_div_fixup_f64 v[210:211], v[208:209], v[210:211], 1.0
	v_mul_f64 v[208:209], v[224:225], v[210:211]
	v_xor_b32_e32 v211, 0x80000000, v211
.LBB102_595:
	s_andn2_saveexec_b64 s[16:17], s[16:17]
	s_cbranch_execz .LBB102_597
; %bb.596:
	v_div_scale_f64 v[224:225], s[18:19], v[208:209], v[208:209], v[210:211]
	v_rcp_f64_e32 v[226:227], v[224:225]
	v_div_scale_f64 v[228:229], vcc, v[210:211], v[208:209], v[210:211]
	v_fma_f64 v[230:231], -v[224:225], v[226:227], 1.0
	v_fmac_f64_e32 v[226:227], v[226:227], v[230:231]
	v_fma_f64 v[230:231], -v[224:225], v[226:227], 1.0
	v_fmac_f64_e32 v[226:227], v[226:227], v[230:231]
	v_mul_f64 v[230:231], v[228:229], v[226:227]
	v_fma_f64 v[224:225], -v[224:225], v[230:231], v[228:229]
	v_div_fmas_f64 v[224:225], v[224:225], v[226:227], v[230:231]
	v_div_fixup_f64 v[224:225], v[224:225], v[208:209], v[210:211]
	v_fmac_f64_e32 v[208:209], v[210:211], v[224:225]
	v_div_scale_f64 v[210:211], s[18:19], v[208:209], v[208:209], 1.0
	v_rcp_f64_e32 v[226:227], v[210:211]
	s_nop 0
	v_fma_f64 v[228:229], -v[210:211], v[226:227], 1.0
	v_fmac_f64_e32 v[226:227], v[226:227], v[228:229]
	v_fma_f64 v[228:229], -v[210:211], v[226:227], 1.0
	v_fmac_f64_e32 v[226:227], v[226:227], v[228:229]
	v_div_scale_f64 v[228:229], vcc, 1.0, v[208:209], 1.0
	v_mul_f64 v[230:231], v[228:229], v[226:227]
	v_fma_f64 v[210:211], -v[210:211], v[230:231], v[228:229]
	s_nop 1
	v_div_fmas_f64 v[210:211], v[210:211], v[226:227], v[230:231]
	v_div_fixup_f64 v[208:209], v[210:211], v[208:209], 1.0
	v_mul_f64 v[210:211], v[224:225], -v[208:209]
.LBB102_597:
	s_or_b64 exec, exec, s[16:17]
.LBB102_598:
	s_or_b64 exec, exec, s[0:1]
	v_cmp_ne_u32_e32 vcc, v221, v218
	s_and_saveexec_b64 s[0:1], vcc
	s_xor_b64 s[0:1], exec, s[0:1]
	s_cbranch_execz .LBB102_604
; %bb.599:
	v_cmp_eq_u32_e32 vcc, 28, v221
	s_and_saveexec_b64 s[16:17], vcc
	s_cbranch_execz .LBB102_603
; %bb.600:
	v_cmp_ne_u32_e32 vcc, 28, v218
	s_xor_b64 s[18:19], s[14:15], -1
	s_and_b64 s[22:23], s[18:19], vcc
	s_and_saveexec_b64 s[18:19], s[22:23]
	s_cbranch_execz .LBB102_602
; %bb.601:
	v_ashrrev_i32_e32 v219, 31, v218
	v_lshl_add_u64 v[224:225], v[218:219], 2, v[216:217]
	global_load_dword v219, v[224:225], off
	global_load_dword v221, v[216:217], off offset:112
	s_waitcnt vmcnt(1)
	global_store_dword v[216:217], v219, off offset:112
	s_waitcnt vmcnt(1)
	global_store_dword v[224:225], v221, off
.LBB102_602:
	s_or_b64 exec, exec, s[18:19]
	v_mov_b32_e32 v221, v218
	v_mov_b32_e32 v223, v218
.LBB102_603:
	s_or_b64 exec, exec, s[16:17]
.LBB102_604:
	s_andn2_saveexec_b64 s[0:1], s[0:1]
	s_cbranch_execz .LBB102_606
; %bb.605:
	v_mov_b32_e32 v221, 28
	s_waitcnt vmcnt(22)
	ds_write2_b64 v220, v[84:85], v[86:87] offset0:58 offset1:59
	s_waitcnt vmcnt(21)
	ds_write2_b64 v220, v[80:81], v[82:83] offset0:60 offset1:61
	s_waitcnt vmcnt(20)
	ds_write2_b64 v220, v[76:77], v[78:79] offset0:62 offset1:63
	s_waitcnt vmcnt(19)
	ds_write2_b64 v220, v[72:73], v[74:75] offset0:64 offset1:65
	s_waitcnt vmcnt(18)
	ds_write2_b64 v220, v[68:69], v[70:71] offset0:66 offset1:67
	s_waitcnt vmcnt(17)
	ds_write2_b64 v220, v[64:65], v[66:67] offset0:68 offset1:69
	s_waitcnt vmcnt(16)
	ds_write2_b64 v220, v[60:61], v[62:63] offset0:70 offset1:71
	s_waitcnt vmcnt(15)
	ds_write2_b64 v220, v[56:57], v[58:59] offset0:72 offset1:73
	s_waitcnt vmcnt(14)
	ds_write2_b64 v220, v[52:53], v[54:55] offset0:74 offset1:75
	s_waitcnt vmcnt(13)
	ds_write2_b64 v220, v[48:49], v[50:51] offset0:76 offset1:77
	s_waitcnt vmcnt(12)
	ds_write2_b64 v220, v[44:45], v[46:47] offset0:78 offset1:79
	s_waitcnt vmcnt(11)
	ds_write2_b64 v220, v[40:41], v[42:43] offset0:80 offset1:81
	s_waitcnt vmcnt(10)
	ds_write2_b64 v220, v[36:37], v[38:39] offset0:82 offset1:83
	s_waitcnt vmcnt(9)
	ds_write2_b64 v220, v[32:33], v[34:35] offset0:84 offset1:85
	s_waitcnt vmcnt(8)
	ds_write2_b64 v220, v[28:29], v[30:31] offset0:86 offset1:87
	s_waitcnt vmcnt(7)
	ds_write2_b64 v220, v[24:25], v[26:27] offset0:88 offset1:89
	s_waitcnt vmcnt(6)
	ds_write2_b64 v220, v[20:21], v[22:23] offset0:90 offset1:91
	s_waitcnt vmcnt(5)
	ds_write2_b64 v220, v[16:17], v[18:19] offset0:92 offset1:93
	s_waitcnt vmcnt(4)
	ds_write2_b64 v220, v[12:13], v[14:15] offset0:94 offset1:95
	s_waitcnt vmcnt(3)
	ds_write2_b64 v220, v[8:9], v[10:11] offset0:96 offset1:97
	s_waitcnt vmcnt(2)
	ds_write2_b64 v220, v[4:5], v[6:7] offset0:98 offset1:99
	s_waitcnt vmcnt(1)
	ds_write2_b64 v220, v[0:1], v[2:3] offset0:100 offset1:101
	s_waitcnt vmcnt(0)
	ds_write2_b64 v220, v[204:205], v[206:207] offset0:102 offset1:103
.LBB102_606:
	s_or_b64 exec, exec, s[0:1]
	v_cmp_lt_i32_e32 vcc, 28, v221
	s_waitcnt lgkmcnt(0)
	s_barrier
	s_and_saveexec_b64 s[0:1], vcc
	s_cbranch_execz .LBB102_608
; %bb.607:
	ds_read2_b64 v[224:227], v220 offset0:58 offset1:59
	v_mul_f64 v[218:219], v[210:211], v[90:91]
	v_mul_f64 v[90:91], v[208:209], v[90:91]
	v_fmac_f64_e32 v[90:91], v[210:211], v[88:89]
	v_fma_f64 v[218:219], v[208:209], v[88:89], -v[218:219]
	ds_read2_b64 v[208:211], v220 offset0:60 offset1:61
	s_waitcnt lgkmcnt(1)
	v_mul_f64 v[88:89], v[226:227], v[90:91]
	v_fma_f64 v[88:89], v[224:225], v[218:219], -v[88:89]
	v_mul_f64 v[224:225], v[224:225], v[90:91]
	v_fmac_f64_e32 v[224:225], v[226:227], v[218:219]
	s_waitcnt vmcnt(22)
	v_add_f64 v[86:87], v[86:87], -v[224:225]
	ds_read2_b64 v[224:227], v220 offset0:62 offset1:63
	v_add_f64 v[84:85], v[84:85], -v[88:89]
	s_waitcnt lgkmcnt(1)
	v_mul_f64 v[88:89], v[210:211], v[90:91]
	v_fma_f64 v[88:89], v[208:209], v[218:219], -v[88:89]
	v_mul_f64 v[208:209], v[208:209], v[90:91]
	v_fmac_f64_e32 v[208:209], v[210:211], v[218:219]
	s_waitcnt vmcnt(21)
	v_add_f64 v[80:81], v[80:81], -v[88:89]
	v_add_f64 v[82:83], v[82:83], -v[208:209]
	ds_read2_b64 v[208:211], v220 offset0:64 offset1:65
	s_waitcnt lgkmcnt(1)
	v_mul_f64 v[88:89], v[226:227], v[90:91]
	v_fma_f64 v[88:89], v[224:225], v[218:219], -v[88:89]
	v_mul_f64 v[224:225], v[224:225], v[90:91]
	v_fmac_f64_e32 v[224:225], v[226:227], v[218:219]
	s_waitcnt vmcnt(20)
	v_add_f64 v[78:79], v[78:79], -v[224:225]
	ds_read2_b64 v[224:227], v220 offset0:66 offset1:67
	v_add_f64 v[76:77], v[76:77], -v[88:89]
	s_waitcnt lgkmcnt(1)
	v_mul_f64 v[88:89], v[210:211], v[90:91]
	v_fma_f64 v[88:89], v[208:209], v[218:219], -v[88:89]
	v_mul_f64 v[208:209], v[208:209], v[90:91]
	v_fmac_f64_e32 v[208:209], v[210:211], v[218:219]
	s_waitcnt vmcnt(19)
	v_add_f64 v[72:73], v[72:73], -v[88:89]
	v_add_f64 v[74:75], v[74:75], -v[208:209]
	;; [unrolled: 18-line block ×11, first 2 shown]
	s_waitcnt lgkmcnt(0)
	v_mul_f64 v[88:89], v[226:227], v[90:91]
	v_mul_f64 v[208:209], v[224:225], v[90:91]
	v_fma_f64 v[88:89], v[224:225], v[218:219], -v[88:89]
	v_fmac_f64_e32 v[208:209], v[226:227], v[218:219]
	s_waitcnt vmcnt(0)
	v_add_f64 v[204:205], v[204:205], -v[88:89]
	v_add_f64 v[206:207], v[206:207], -v[208:209]
	v_mov_b64_e32 v[88:89], v[218:219]
.LBB102_608:
	s_or_b64 exec, exec, s[0:1]
	v_lshl_add_u32 v208, v221, 4, v220
	s_barrier
	s_waitcnt vmcnt(22)
	ds_write2_b64 v208, v[84:85], v[86:87] offset1:1
	s_waitcnt lgkmcnt(0)
	s_barrier
	ds_read2_b64 v[208:211], v220 offset0:58 offset1:59
	s_cmp_lt_i32 s20, 31
	v_mov_b32_e32 v218, 29
	s_cbranch_scc1 .LBB102_611
; %bb.609:
	v_add_u32_e32 v219, 0x1e0, v220
	s_mov_b32 s16, 30
	v_mov_b32_e32 v218, 29
.LBB102_610:                            ; =>This Inner Loop Header: Depth=1
	ds_read2_b64 v[224:227], v219 offset1:1
	s_waitcnt lgkmcnt(1)
	v_xor_b32_e32 v229, 0x80000000, v209
	v_xor_b32_e32 v231, 0x80000000, v211
	v_cmp_gt_f64_e32 vcc, 0, v[210:211]
	v_cmp_gt_f64_e64 s[0:1], 0, v[208:209]
	v_mov_b32_e32 v228, v208
	v_mov_b32_e32 v230, v210
	v_cndmask_b32_e64 v229, v209, v229, s[0:1]
	v_cndmask_b32_e32 v231, v211, v231, vcc
	v_add_f64 v[228:229], v[228:229], v[230:231]
	s_waitcnt lgkmcnt(0)
	v_xor_b32_e32 v231, 0x80000000, v225
	v_xor_b32_e32 v233, 0x80000000, v227
	v_cmp_gt_f64_e32 vcc, 0, v[226:227]
	v_cmp_gt_f64_e64 s[0:1], 0, v[224:225]
	v_mov_b32_e32 v230, v224
	v_mov_b32_e32 v232, v226
	v_cndmask_b32_e64 v231, v225, v231, s[0:1]
	v_cndmask_b32_e32 v233, v227, v233, vcc
	v_add_f64 v[230:231], v[230:231], v[232:233]
	v_mov_b32_e32 v234, s16
	s_add_i32 s16, s16, 1
	v_cmp_lt_f64_e32 vcc, v[228:229], v[230:231]
	v_add_u32_e32 v219, 16, v219
	s_cmp_lg_u32 s20, s16
	v_cndmask_b32_e32 v209, v209, v225, vcc
	v_cndmask_b32_e32 v208, v208, v224, vcc
	;; [unrolled: 1-line block ×5, first 2 shown]
	s_cbranch_scc1 .LBB102_610
.LBB102_611:
	s_waitcnt lgkmcnt(0)
	v_cmp_eq_f64_e32 vcc, 0, v[208:209]
	v_cmp_eq_f64_e64 s[0:1], 0, v[210:211]
	s_and_b64 s[0:1], vcc, s[0:1]
	s_and_saveexec_b64 s[16:17], s[0:1]
	s_xor_b64 s[0:1], exec, s[16:17]
; %bb.612:
	v_cmp_ne_u32_e32 vcc, 0, v222
	s_nop 1
	v_cndmask_b32_e32 v222, 30, v222, vcc
; %bb.613:
	s_andn2_saveexec_b64 s[0:1], s[0:1]
	s_cbranch_execz .LBB102_619
; %bb.614:
	v_cmp_ngt_f64_e64 s[16:17], |v[208:209]|, |v[210:211]|
	s_and_saveexec_b64 s[18:19], s[16:17]
	s_xor_b64 s[16:17], exec, s[18:19]
	s_cbranch_execz .LBB102_616
; %bb.615:
	v_div_scale_f64 v[224:225], s[18:19], v[210:211], v[210:211], v[208:209]
	v_rcp_f64_e32 v[226:227], v[224:225]
	v_div_scale_f64 v[228:229], vcc, v[208:209], v[210:211], v[208:209]
	v_fma_f64 v[230:231], -v[224:225], v[226:227], 1.0
	v_fmac_f64_e32 v[226:227], v[226:227], v[230:231]
	v_fma_f64 v[230:231], -v[224:225], v[226:227], 1.0
	v_fmac_f64_e32 v[226:227], v[226:227], v[230:231]
	v_mul_f64 v[230:231], v[228:229], v[226:227]
	v_fma_f64 v[224:225], -v[224:225], v[230:231], v[228:229]
	v_div_fmas_f64 v[224:225], v[224:225], v[226:227], v[230:231]
	v_div_fixup_f64 v[224:225], v[224:225], v[210:211], v[208:209]
	v_fmac_f64_e32 v[210:211], v[208:209], v[224:225]
	v_div_scale_f64 v[208:209], s[18:19], v[210:211], v[210:211], 1.0
	v_rcp_f64_e32 v[226:227], v[208:209]
	s_nop 0
	v_fma_f64 v[228:229], -v[208:209], v[226:227], 1.0
	v_fmac_f64_e32 v[226:227], v[226:227], v[228:229]
	v_fma_f64 v[228:229], -v[208:209], v[226:227], 1.0
	v_fmac_f64_e32 v[226:227], v[226:227], v[228:229]
	v_div_scale_f64 v[228:229], vcc, 1.0, v[210:211], 1.0
	v_mul_f64 v[230:231], v[228:229], v[226:227]
	v_fma_f64 v[208:209], -v[208:209], v[230:231], v[228:229]
	s_nop 1
	v_div_fmas_f64 v[208:209], v[208:209], v[226:227], v[230:231]
	v_div_fixup_f64 v[210:211], v[208:209], v[210:211], 1.0
	v_mul_f64 v[208:209], v[224:225], v[210:211]
	v_xor_b32_e32 v211, 0x80000000, v211
.LBB102_616:
	s_andn2_saveexec_b64 s[16:17], s[16:17]
	s_cbranch_execz .LBB102_618
; %bb.617:
	v_div_scale_f64 v[224:225], s[18:19], v[208:209], v[208:209], v[210:211]
	v_rcp_f64_e32 v[226:227], v[224:225]
	v_div_scale_f64 v[228:229], vcc, v[210:211], v[208:209], v[210:211]
	v_fma_f64 v[230:231], -v[224:225], v[226:227], 1.0
	v_fmac_f64_e32 v[226:227], v[226:227], v[230:231]
	v_fma_f64 v[230:231], -v[224:225], v[226:227], 1.0
	v_fmac_f64_e32 v[226:227], v[226:227], v[230:231]
	v_mul_f64 v[230:231], v[228:229], v[226:227]
	v_fma_f64 v[224:225], -v[224:225], v[230:231], v[228:229]
	v_div_fmas_f64 v[224:225], v[224:225], v[226:227], v[230:231]
	v_div_fixup_f64 v[224:225], v[224:225], v[208:209], v[210:211]
	v_fmac_f64_e32 v[208:209], v[210:211], v[224:225]
	v_div_scale_f64 v[210:211], s[18:19], v[208:209], v[208:209], 1.0
	v_rcp_f64_e32 v[226:227], v[210:211]
	s_nop 0
	v_fma_f64 v[228:229], -v[210:211], v[226:227], 1.0
	v_fmac_f64_e32 v[226:227], v[226:227], v[228:229]
	v_fma_f64 v[228:229], -v[210:211], v[226:227], 1.0
	v_fmac_f64_e32 v[226:227], v[226:227], v[228:229]
	v_div_scale_f64 v[228:229], vcc, 1.0, v[208:209], 1.0
	v_mul_f64 v[230:231], v[228:229], v[226:227]
	v_fma_f64 v[210:211], -v[210:211], v[230:231], v[228:229]
	s_nop 1
	v_div_fmas_f64 v[210:211], v[210:211], v[226:227], v[230:231]
	v_div_fixup_f64 v[208:209], v[210:211], v[208:209], 1.0
	v_mul_f64 v[210:211], v[224:225], -v[208:209]
.LBB102_618:
	s_or_b64 exec, exec, s[16:17]
.LBB102_619:
	s_or_b64 exec, exec, s[0:1]
	v_cmp_ne_u32_e32 vcc, v221, v218
	s_and_saveexec_b64 s[0:1], vcc
	s_xor_b64 s[0:1], exec, s[0:1]
	s_cbranch_execz .LBB102_625
; %bb.620:
	v_cmp_eq_u32_e32 vcc, 29, v221
	s_and_saveexec_b64 s[16:17], vcc
	s_cbranch_execz .LBB102_624
; %bb.621:
	v_cmp_ne_u32_e32 vcc, 29, v218
	s_xor_b64 s[18:19], s[14:15], -1
	s_and_b64 s[22:23], s[18:19], vcc
	s_and_saveexec_b64 s[18:19], s[22:23]
	s_cbranch_execz .LBB102_623
; %bb.622:
	v_ashrrev_i32_e32 v219, 31, v218
	v_lshl_add_u64 v[224:225], v[218:219], 2, v[216:217]
	global_load_dword v219, v[224:225], off
	global_load_dword v221, v[216:217], off offset:116
	s_waitcnt vmcnt(1)
	global_store_dword v[216:217], v219, off offset:116
	s_waitcnt vmcnt(1)
	global_store_dword v[224:225], v221, off
.LBB102_623:
	s_or_b64 exec, exec, s[18:19]
	v_mov_b32_e32 v221, v218
	v_mov_b32_e32 v223, v218
.LBB102_624:
	s_or_b64 exec, exec, s[16:17]
.LBB102_625:
	s_andn2_saveexec_b64 s[0:1], s[0:1]
	s_cbranch_execz .LBB102_627
; %bb.626:
	v_mov_b32_e32 v221, 29
	s_waitcnt vmcnt(21)
	ds_write2_b64 v220, v[80:81], v[82:83] offset0:60 offset1:61
	s_waitcnt vmcnt(20)
	ds_write2_b64 v220, v[76:77], v[78:79] offset0:62 offset1:63
	;; [unrolled: 2-line block ×22, first 2 shown]
.LBB102_627:
	s_or_b64 exec, exec, s[0:1]
	v_cmp_lt_i32_e32 vcc, 29, v221
	s_waitcnt lgkmcnt(0)
	s_barrier
	s_and_saveexec_b64 s[0:1], vcc
	s_cbranch_execz .LBB102_629
; %bb.628:
	ds_read2_b64 v[224:227], v220 offset0:60 offset1:61
	v_mul_f64 v[218:219], v[210:211], v[86:87]
	v_mul_f64 v[86:87], v[208:209], v[86:87]
	v_fma_f64 v[218:219], v[208:209], v[84:85], -v[218:219]
	v_fmac_f64_e32 v[86:87], v[210:211], v[84:85]
	ds_read2_b64 v[208:211], v220 offset0:62 offset1:63
	s_waitcnt lgkmcnt(1)
	v_mul_f64 v[84:85], v[226:227], v[86:87]
	v_fma_f64 v[84:85], v[224:225], v[218:219], -v[84:85]
	v_mul_f64 v[224:225], v[224:225], v[86:87]
	v_fmac_f64_e32 v[224:225], v[226:227], v[218:219]
	s_waitcnt vmcnt(21)
	v_add_f64 v[80:81], v[80:81], -v[84:85]
	s_waitcnt lgkmcnt(0)
	v_mul_f64 v[84:85], v[210:211], v[86:87]
	v_add_f64 v[82:83], v[82:83], -v[224:225]
	v_fma_f64 v[84:85], v[208:209], v[218:219], -v[84:85]
	v_mul_f64 v[208:209], v[208:209], v[86:87]
	ds_read2_b64 v[224:227], v220 offset0:64 offset1:65
	v_fmac_f64_e32 v[208:209], v[210:211], v[218:219]
	s_waitcnt vmcnt(20)
	v_add_f64 v[78:79], v[78:79], -v[208:209]
	ds_read2_b64 v[208:211], v220 offset0:66 offset1:67
	v_add_f64 v[76:77], v[76:77], -v[84:85]
	s_waitcnt lgkmcnt(1)
	v_mul_f64 v[84:85], v[226:227], v[86:87]
	v_fma_f64 v[84:85], v[224:225], v[218:219], -v[84:85]
	v_mul_f64 v[224:225], v[224:225], v[86:87]
	v_fmac_f64_e32 v[224:225], v[226:227], v[218:219]
	s_waitcnt vmcnt(19)
	v_add_f64 v[72:73], v[72:73], -v[84:85]
	s_waitcnt lgkmcnt(0)
	v_mul_f64 v[84:85], v[210:211], v[86:87]
	v_add_f64 v[74:75], v[74:75], -v[224:225]
	v_fma_f64 v[84:85], v[208:209], v[218:219], -v[84:85]
	v_mul_f64 v[208:209], v[208:209], v[86:87]
	ds_read2_b64 v[224:227], v220 offset0:68 offset1:69
	v_fmac_f64_e32 v[208:209], v[210:211], v[218:219]
	s_waitcnt vmcnt(18)
	v_add_f64 v[70:71], v[70:71], -v[208:209]
	ds_read2_b64 v[208:211], v220 offset0:70 offset1:71
	v_add_f64 v[68:69], v[68:69], -v[84:85]
	;; [unrolled: 18-line block ×10, first 2 shown]
	s_waitcnt lgkmcnt(1)
	v_mul_f64 v[84:85], v[226:227], v[86:87]
	v_fma_f64 v[84:85], v[224:225], v[218:219], -v[84:85]
	s_waitcnt vmcnt(1)
	v_add_f64 v[0:1], v[0:1], -v[84:85]
	s_waitcnt lgkmcnt(0)
	v_mul_f64 v[84:85], v[210:211], v[86:87]
	v_mul_f64 v[224:225], v[224:225], v[86:87]
	v_fma_f64 v[84:85], v[208:209], v[218:219], -v[84:85]
	v_mul_f64 v[208:209], v[208:209], v[86:87]
	v_fmac_f64_e32 v[224:225], v[226:227], v[218:219]
	v_fmac_f64_e32 v[208:209], v[210:211], v[218:219]
	v_add_f64 v[2:3], v[2:3], -v[224:225]
	s_waitcnt vmcnt(0)
	v_add_f64 v[204:205], v[204:205], -v[84:85]
	v_add_f64 v[206:207], v[206:207], -v[208:209]
	v_mov_b64_e32 v[84:85], v[218:219]
.LBB102_629:
	s_or_b64 exec, exec, s[0:1]
	v_lshl_add_u32 v208, v221, 4, v220
	s_barrier
	s_waitcnt vmcnt(21)
	ds_write2_b64 v208, v[80:81], v[82:83] offset1:1
	s_waitcnt lgkmcnt(0)
	s_barrier
	ds_read2_b64 v[208:211], v220 offset0:60 offset1:61
	s_cmp_lt_i32 s20, 32
	v_mov_b32_e32 v218, 30
	s_cbranch_scc1 .LBB102_632
; %bb.630:
	v_add_u32_e32 v219, 0x1f0, v220
	s_mov_b32 s16, 31
	v_mov_b32_e32 v218, 30
.LBB102_631:                            ; =>This Inner Loop Header: Depth=1
	ds_read2_b64 v[224:227], v219 offset1:1
	s_waitcnt lgkmcnt(1)
	v_xor_b32_e32 v229, 0x80000000, v209
	v_xor_b32_e32 v231, 0x80000000, v211
	v_cmp_gt_f64_e32 vcc, 0, v[210:211]
	v_cmp_gt_f64_e64 s[0:1], 0, v[208:209]
	v_mov_b32_e32 v228, v208
	v_mov_b32_e32 v230, v210
	v_cndmask_b32_e64 v229, v209, v229, s[0:1]
	v_cndmask_b32_e32 v231, v211, v231, vcc
	v_add_f64 v[228:229], v[228:229], v[230:231]
	s_waitcnt lgkmcnt(0)
	v_xor_b32_e32 v231, 0x80000000, v225
	v_xor_b32_e32 v233, 0x80000000, v227
	v_cmp_gt_f64_e32 vcc, 0, v[226:227]
	v_cmp_gt_f64_e64 s[0:1], 0, v[224:225]
	v_mov_b32_e32 v230, v224
	v_mov_b32_e32 v232, v226
	v_cndmask_b32_e64 v231, v225, v231, s[0:1]
	v_cndmask_b32_e32 v233, v227, v233, vcc
	v_add_f64 v[230:231], v[230:231], v[232:233]
	v_mov_b32_e32 v234, s16
	s_add_i32 s16, s16, 1
	v_cmp_lt_f64_e32 vcc, v[228:229], v[230:231]
	v_add_u32_e32 v219, 16, v219
	s_cmp_lg_u32 s20, s16
	v_cndmask_b32_e32 v209, v209, v225, vcc
	v_cndmask_b32_e32 v208, v208, v224, vcc
	;; [unrolled: 1-line block ×5, first 2 shown]
	s_cbranch_scc1 .LBB102_631
.LBB102_632:
	s_waitcnt lgkmcnt(0)
	v_cmp_eq_f64_e32 vcc, 0, v[208:209]
	v_cmp_eq_f64_e64 s[0:1], 0, v[210:211]
	s_and_b64 s[0:1], vcc, s[0:1]
	s_and_saveexec_b64 s[16:17], s[0:1]
	s_xor_b64 s[0:1], exec, s[16:17]
; %bb.633:
	v_cmp_ne_u32_e32 vcc, 0, v222
	s_nop 1
	v_cndmask_b32_e32 v222, 31, v222, vcc
; %bb.634:
	s_andn2_saveexec_b64 s[0:1], s[0:1]
	s_cbranch_execz .LBB102_640
; %bb.635:
	v_cmp_ngt_f64_e64 s[16:17], |v[208:209]|, |v[210:211]|
	s_and_saveexec_b64 s[18:19], s[16:17]
	s_xor_b64 s[16:17], exec, s[18:19]
	s_cbranch_execz .LBB102_637
; %bb.636:
	v_div_scale_f64 v[224:225], s[18:19], v[210:211], v[210:211], v[208:209]
	v_rcp_f64_e32 v[226:227], v[224:225]
	v_div_scale_f64 v[228:229], vcc, v[208:209], v[210:211], v[208:209]
	v_fma_f64 v[230:231], -v[224:225], v[226:227], 1.0
	v_fmac_f64_e32 v[226:227], v[226:227], v[230:231]
	v_fma_f64 v[230:231], -v[224:225], v[226:227], 1.0
	v_fmac_f64_e32 v[226:227], v[226:227], v[230:231]
	v_mul_f64 v[230:231], v[228:229], v[226:227]
	v_fma_f64 v[224:225], -v[224:225], v[230:231], v[228:229]
	v_div_fmas_f64 v[224:225], v[224:225], v[226:227], v[230:231]
	v_div_fixup_f64 v[224:225], v[224:225], v[210:211], v[208:209]
	v_fmac_f64_e32 v[210:211], v[208:209], v[224:225]
	v_div_scale_f64 v[208:209], s[18:19], v[210:211], v[210:211], 1.0
	v_rcp_f64_e32 v[226:227], v[208:209]
	s_nop 0
	v_fma_f64 v[228:229], -v[208:209], v[226:227], 1.0
	v_fmac_f64_e32 v[226:227], v[226:227], v[228:229]
	v_fma_f64 v[228:229], -v[208:209], v[226:227], 1.0
	v_fmac_f64_e32 v[226:227], v[226:227], v[228:229]
	v_div_scale_f64 v[228:229], vcc, 1.0, v[210:211], 1.0
	v_mul_f64 v[230:231], v[228:229], v[226:227]
	v_fma_f64 v[208:209], -v[208:209], v[230:231], v[228:229]
	s_nop 1
	v_div_fmas_f64 v[208:209], v[208:209], v[226:227], v[230:231]
	v_div_fixup_f64 v[210:211], v[208:209], v[210:211], 1.0
	v_mul_f64 v[208:209], v[224:225], v[210:211]
	v_xor_b32_e32 v211, 0x80000000, v211
.LBB102_637:
	s_andn2_saveexec_b64 s[16:17], s[16:17]
	s_cbranch_execz .LBB102_639
; %bb.638:
	v_div_scale_f64 v[224:225], s[18:19], v[208:209], v[208:209], v[210:211]
	v_rcp_f64_e32 v[226:227], v[224:225]
	v_div_scale_f64 v[228:229], vcc, v[210:211], v[208:209], v[210:211]
	v_fma_f64 v[230:231], -v[224:225], v[226:227], 1.0
	v_fmac_f64_e32 v[226:227], v[226:227], v[230:231]
	v_fma_f64 v[230:231], -v[224:225], v[226:227], 1.0
	v_fmac_f64_e32 v[226:227], v[226:227], v[230:231]
	v_mul_f64 v[230:231], v[228:229], v[226:227]
	v_fma_f64 v[224:225], -v[224:225], v[230:231], v[228:229]
	v_div_fmas_f64 v[224:225], v[224:225], v[226:227], v[230:231]
	v_div_fixup_f64 v[224:225], v[224:225], v[208:209], v[210:211]
	v_fmac_f64_e32 v[208:209], v[210:211], v[224:225]
	v_div_scale_f64 v[210:211], s[18:19], v[208:209], v[208:209], 1.0
	v_rcp_f64_e32 v[226:227], v[210:211]
	s_nop 0
	v_fma_f64 v[228:229], -v[210:211], v[226:227], 1.0
	v_fmac_f64_e32 v[226:227], v[226:227], v[228:229]
	v_fma_f64 v[228:229], -v[210:211], v[226:227], 1.0
	v_fmac_f64_e32 v[226:227], v[226:227], v[228:229]
	v_div_scale_f64 v[228:229], vcc, 1.0, v[208:209], 1.0
	v_mul_f64 v[230:231], v[228:229], v[226:227]
	v_fma_f64 v[210:211], -v[210:211], v[230:231], v[228:229]
	s_nop 1
	v_div_fmas_f64 v[210:211], v[210:211], v[226:227], v[230:231]
	v_div_fixup_f64 v[208:209], v[210:211], v[208:209], 1.0
	v_mul_f64 v[210:211], v[224:225], -v[208:209]
.LBB102_639:
	s_or_b64 exec, exec, s[16:17]
.LBB102_640:
	s_or_b64 exec, exec, s[0:1]
	v_cmp_ne_u32_e32 vcc, v221, v218
	s_and_saveexec_b64 s[0:1], vcc
	s_xor_b64 s[0:1], exec, s[0:1]
	s_cbranch_execz .LBB102_646
; %bb.641:
	v_cmp_eq_u32_e32 vcc, 30, v221
	s_and_saveexec_b64 s[16:17], vcc
	s_cbranch_execz .LBB102_645
; %bb.642:
	v_cmp_ne_u32_e32 vcc, 30, v218
	s_xor_b64 s[18:19], s[14:15], -1
	s_and_b64 s[22:23], s[18:19], vcc
	s_and_saveexec_b64 s[18:19], s[22:23]
	s_cbranch_execz .LBB102_644
; %bb.643:
	v_ashrrev_i32_e32 v219, 31, v218
	v_lshl_add_u64 v[224:225], v[218:219], 2, v[216:217]
	global_load_dword v219, v[224:225], off
	global_load_dword v221, v[216:217], off offset:120
	s_waitcnt vmcnt(1)
	global_store_dword v[216:217], v219, off offset:120
	s_waitcnt vmcnt(1)
	global_store_dword v[224:225], v221, off
.LBB102_644:
	s_or_b64 exec, exec, s[18:19]
	v_mov_b32_e32 v221, v218
	v_mov_b32_e32 v223, v218
.LBB102_645:
	s_or_b64 exec, exec, s[16:17]
.LBB102_646:
	s_andn2_saveexec_b64 s[0:1], s[0:1]
	s_cbranch_execz .LBB102_648
; %bb.647:
	v_mov_b32_e32 v221, 30
	s_waitcnt vmcnt(20)
	ds_write2_b64 v220, v[76:77], v[78:79] offset0:62 offset1:63
	s_waitcnt vmcnt(19)
	ds_write2_b64 v220, v[72:73], v[74:75] offset0:64 offset1:65
	;; [unrolled: 2-line block ×21, first 2 shown]
.LBB102_648:
	s_or_b64 exec, exec, s[0:1]
	v_cmp_lt_i32_e32 vcc, 30, v221
	s_waitcnt lgkmcnt(0)
	s_barrier
	s_and_saveexec_b64 s[0:1], vcc
	s_cbranch_execz .LBB102_650
; %bb.649:
	ds_read2_b64 v[224:227], v220 offset0:62 offset1:63
	v_mul_f64 v[218:219], v[210:211], v[82:83]
	v_mul_f64 v[82:83], v[208:209], v[82:83]
	v_fmac_f64_e32 v[82:83], v[210:211], v[80:81]
	v_fma_f64 v[218:219], v[208:209], v[80:81], -v[218:219]
	ds_read2_b64 v[208:211], v220 offset0:64 offset1:65
	s_waitcnt lgkmcnt(1)
	v_mul_f64 v[80:81], v[226:227], v[82:83]
	v_fma_f64 v[80:81], v[224:225], v[218:219], -v[80:81]
	v_mul_f64 v[224:225], v[224:225], v[82:83]
	v_fmac_f64_e32 v[224:225], v[226:227], v[218:219]
	s_waitcnt vmcnt(20)
	v_add_f64 v[78:79], v[78:79], -v[224:225]
	ds_read2_b64 v[224:227], v220 offset0:66 offset1:67
	v_add_f64 v[76:77], v[76:77], -v[80:81]
	s_waitcnt lgkmcnt(1)
	v_mul_f64 v[80:81], v[210:211], v[82:83]
	v_fma_f64 v[80:81], v[208:209], v[218:219], -v[80:81]
	v_mul_f64 v[208:209], v[208:209], v[82:83]
	v_fmac_f64_e32 v[208:209], v[210:211], v[218:219]
	s_waitcnt vmcnt(19)
	v_add_f64 v[72:73], v[72:73], -v[80:81]
	v_add_f64 v[74:75], v[74:75], -v[208:209]
	ds_read2_b64 v[208:211], v220 offset0:68 offset1:69
	s_waitcnt lgkmcnt(1)
	v_mul_f64 v[80:81], v[226:227], v[82:83]
	v_fma_f64 v[80:81], v[224:225], v[218:219], -v[80:81]
	v_mul_f64 v[224:225], v[224:225], v[82:83]
	v_fmac_f64_e32 v[224:225], v[226:227], v[218:219]
	s_waitcnt vmcnt(18)
	v_add_f64 v[70:71], v[70:71], -v[224:225]
	ds_read2_b64 v[224:227], v220 offset0:70 offset1:71
	v_add_f64 v[68:69], v[68:69], -v[80:81]
	s_waitcnt lgkmcnt(1)
	v_mul_f64 v[80:81], v[210:211], v[82:83]
	v_fma_f64 v[80:81], v[208:209], v[218:219], -v[80:81]
	v_mul_f64 v[208:209], v[208:209], v[82:83]
	v_fmac_f64_e32 v[208:209], v[210:211], v[218:219]
	s_waitcnt vmcnt(17)
	v_add_f64 v[64:65], v[64:65], -v[80:81]
	v_add_f64 v[66:67], v[66:67], -v[208:209]
	;; [unrolled: 18-line block ×10, first 2 shown]
	s_waitcnt lgkmcnt(0)
	v_mul_f64 v[80:81], v[226:227], v[82:83]
	v_mul_f64 v[208:209], v[224:225], v[82:83]
	v_fma_f64 v[80:81], v[224:225], v[218:219], -v[80:81]
	v_fmac_f64_e32 v[208:209], v[226:227], v[218:219]
	s_waitcnt vmcnt(0)
	v_add_f64 v[204:205], v[204:205], -v[80:81]
	v_add_f64 v[206:207], v[206:207], -v[208:209]
	v_mov_b64_e32 v[80:81], v[218:219]
.LBB102_650:
	s_or_b64 exec, exec, s[0:1]
	v_lshl_add_u32 v208, v221, 4, v220
	s_barrier
	s_waitcnt vmcnt(20)
	ds_write2_b64 v208, v[76:77], v[78:79] offset1:1
	s_waitcnt lgkmcnt(0)
	s_barrier
	ds_read2_b64 v[208:211], v220 offset0:62 offset1:63
	s_cmp_lt_i32 s20, 33
	v_mov_b32_e32 v218, 31
	s_cbranch_scc1 .LBB102_653
; %bb.651:
	v_add_u32_e32 v219, 0x200, v220
	s_mov_b32 s16, 32
	v_mov_b32_e32 v218, 31
.LBB102_652:                            ; =>This Inner Loop Header: Depth=1
	ds_read2_b64 v[224:227], v219 offset1:1
	s_waitcnt lgkmcnt(1)
	v_xor_b32_e32 v229, 0x80000000, v209
	v_xor_b32_e32 v231, 0x80000000, v211
	v_cmp_gt_f64_e32 vcc, 0, v[210:211]
	v_cmp_gt_f64_e64 s[0:1], 0, v[208:209]
	v_mov_b32_e32 v228, v208
	v_mov_b32_e32 v230, v210
	v_cndmask_b32_e64 v229, v209, v229, s[0:1]
	v_cndmask_b32_e32 v231, v211, v231, vcc
	v_add_f64 v[228:229], v[228:229], v[230:231]
	s_waitcnt lgkmcnt(0)
	v_xor_b32_e32 v231, 0x80000000, v225
	v_xor_b32_e32 v233, 0x80000000, v227
	v_cmp_gt_f64_e32 vcc, 0, v[226:227]
	v_cmp_gt_f64_e64 s[0:1], 0, v[224:225]
	v_mov_b32_e32 v230, v224
	v_mov_b32_e32 v232, v226
	v_cndmask_b32_e64 v231, v225, v231, s[0:1]
	v_cndmask_b32_e32 v233, v227, v233, vcc
	v_add_f64 v[230:231], v[230:231], v[232:233]
	v_mov_b32_e32 v234, s16
	s_add_i32 s16, s16, 1
	v_cmp_lt_f64_e32 vcc, v[228:229], v[230:231]
	v_add_u32_e32 v219, 16, v219
	s_cmp_lg_u32 s20, s16
	v_cndmask_b32_e32 v209, v209, v225, vcc
	v_cndmask_b32_e32 v208, v208, v224, vcc
	;; [unrolled: 1-line block ×5, first 2 shown]
	s_cbranch_scc1 .LBB102_652
.LBB102_653:
	s_waitcnt lgkmcnt(0)
	v_cmp_eq_f64_e32 vcc, 0, v[208:209]
	v_cmp_eq_f64_e64 s[0:1], 0, v[210:211]
	s_and_b64 s[0:1], vcc, s[0:1]
	s_and_saveexec_b64 s[16:17], s[0:1]
	s_xor_b64 s[0:1], exec, s[16:17]
; %bb.654:
	v_cmp_ne_u32_e32 vcc, 0, v222
	s_nop 1
	v_cndmask_b32_e32 v222, 32, v222, vcc
; %bb.655:
	s_andn2_saveexec_b64 s[0:1], s[0:1]
	s_cbranch_execz .LBB102_661
; %bb.656:
	v_cmp_ngt_f64_e64 s[16:17], |v[208:209]|, |v[210:211]|
	s_and_saveexec_b64 s[18:19], s[16:17]
	s_xor_b64 s[16:17], exec, s[18:19]
	s_cbranch_execz .LBB102_658
; %bb.657:
	v_div_scale_f64 v[224:225], s[18:19], v[210:211], v[210:211], v[208:209]
	v_rcp_f64_e32 v[226:227], v[224:225]
	v_div_scale_f64 v[228:229], vcc, v[208:209], v[210:211], v[208:209]
	v_fma_f64 v[230:231], -v[224:225], v[226:227], 1.0
	v_fmac_f64_e32 v[226:227], v[226:227], v[230:231]
	v_fma_f64 v[230:231], -v[224:225], v[226:227], 1.0
	v_fmac_f64_e32 v[226:227], v[226:227], v[230:231]
	v_mul_f64 v[230:231], v[228:229], v[226:227]
	v_fma_f64 v[224:225], -v[224:225], v[230:231], v[228:229]
	v_div_fmas_f64 v[224:225], v[224:225], v[226:227], v[230:231]
	v_div_fixup_f64 v[224:225], v[224:225], v[210:211], v[208:209]
	v_fmac_f64_e32 v[210:211], v[208:209], v[224:225]
	v_div_scale_f64 v[208:209], s[18:19], v[210:211], v[210:211], 1.0
	v_rcp_f64_e32 v[226:227], v[208:209]
	s_nop 0
	v_fma_f64 v[228:229], -v[208:209], v[226:227], 1.0
	v_fmac_f64_e32 v[226:227], v[226:227], v[228:229]
	v_fma_f64 v[228:229], -v[208:209], v[226:227], 1.0
	v_fmac_f64_e32 v[226:227], v[226:227], v[228:229]
	v_div_scale_f64 v[228:229], vcc, 1.0, v[210:211], 1.0
	v_mul_f64 v[230:231], v[228:229], v[226:227]
	v_fma_f64 v[208:209], -v[208:209], v[230:231], v[228:229]
	s_nop 1
	v_div_fmas_f64 v[208:209], v[208:209], v[226:227], v[230:231]
	v_div_fixup_f64 v[210:211], v[208:209], v[210:211], 1.0
	v_mul_f64 v[208:209], v[224:225], v[210:211]
	v_xor_b32_e32 v211, 0x80000000, v211
.LBB102_658:
	s_andn2_saveexec_b64 s[16:17], s[16:17]
	s_cbranch_execz .LBB102_660
; %bb.659:
	v_div_scale_f64 v[224:225], s[18:19], v[208:209], v[208:209], v[210:211]
	v_rcp_f64_e32 v[226:227], v[224:225]
	v_div_scale_f64 v[228:229], vcc, v[210:211], v[208:209], v[210:211]
	v_fma_f64 v[230:231], -v[224:225], v[226:227], 1.0
	v_fmac_f64_e32 v[226:227], v[226:227], v[230:231]
	v_fma_f64 v[230:231], -v[224:225], v[226:227], 1.0
	v_fmac_f64_e32 v[226:227], v[226:227], v[230:231]
	v_mul_f64 v[230:231], v[228:229], v[226:227]
	v_fma_f64 v[224:225], -v[224:225], v[230:231], v[228:229]
	v_div_fmas_f64 v[224:225], v[224:225], v[226:227], v[230:231]
	v_div_fixup_f64 v[224:225], v[224:225], v[208:209], v[210:211]
	v_fmac_f64_e32 v[208:209], v[210:211], v[224:225]
	v_div_scale_f64 v[210:211], s[18:19], v[208:209], v[208:209], 1.0
	v_rcp_f64_e32 v[226:227], v[210:211]
	s_nop 0
	v_fma_f64 v[228:229], -v[210:211], v[226:227], 1.0
	v_fmac_f64_e32 v[226:227], v[226:227], v[228:229]
	v_fma_f64 v[228:229], -v[210:211], v[226:227], 1.0
	v_fmac_f64_e32 v[226:227], v[226:227], v[228:229]
	v_div_scale_f64 v[228:229], vcc, 1.0, v[208:209], 1.0
	v_mul_f64 v[230:231], v[228:229], v[226:227]
	v_fma_f64 v[210:211], -v[210:211], v[230:231], v[228:229]
	s_nop 1
	v_div_fmas_f64 v[210:211], v[210:211], v[226:227], v[230:231]
	v_div_fixup_f64 v[208:209], v[210:211], v[208:209], 1.0
	v_mul_f64 v[210:211], v[224:225], -v[208:209]
.LBB102_660:
	s_or_b64 exec, exec, s[16:17]
.LBB102_661:
	s_or_b64 exec, exec, s[0:1]
	v_cmp_ne_u32_e32 vcc, v221, v218
	s_and_saveexec_b64 s[0:1], vcc
	s_xor_b64 s[0:1], exec, s[0:1]
	s_cbranch_execz .LBB102_667
; %bb.662:
	v_cmp_eq_u32_e32 vcc, 31, v221
	s_and_saveexec_b64 s[16:17], vcc
	s_cbranch_execz .LBB102_666
; %bb.663:
	v_cmp_ne_u32_e32 vcc, 31, v218
	s_xor_b64 s[18:19], s[14:15], -1
	s_and_b64 s[22:23], s[18:19], vcc
	s_and_saveexec_b64 s[18:19], s[22:23]
	s_cbranch_execz .LBB102_665
; %bb.664:
	v_ashrrev_i32_e32 v219, 31, v218
	v_lshl_add_u64 v[224:225], v[218:219], 2, v[216:217]
	global_load_dword v219, v[224:225], off
	global_load_dword v221, v[216:217], off offset:124
	s_waitcnt vmcnt(1)
	global_store_dword v[216:217], v219, off offset:124
	s_waitcnt vmcnt(1)
	global_store_dword v[224:225], v221, off
.LBB102_665:
	s_or_b64 exec, exec, s[18:19]
	v_mov_b32_e32 v221, v218
	v_mov_b32_e32 v223, v218
.LBB102_666:
	s_or_b64 exec, exec, s[16:17]
.LBB102_667:
	s_andn2_saveexec_b64 s[0:1], s[0:1]
	s_cbranch_execz .LBB102_669
; %bb.668:
	v_mov_b32_e32 v221, 31
	s_waitcnt vmcnt(19)
	ds_write2_b64 v220, v[72:73], v[74:75] offset0:64 offset1:65
	s_waitcnt vmcnt(18)
	ds_write2_b64 v220, v[68:69], v[70:71] offset0:66 offset1:67
	;; [unrolled: 2-line block ×20, first 2 shown]
.LBB102_669:
	s_or_b64 exec, exec, s[0:1]
	v_cmp_lt_i32_e32 vcc, 31, v221
	s_waitcnt lgkmcnt(0)
	s_barrier
	s_and_saveexec_b64 s[0:1], vcc
	s_cbranch_execz .LBB102_671
; %bb.670:
	ds_read2_b64 v[224:227], v220 offset0:64 offset1:65
	v_mul_f64 v[218:219], v[210:211], v[78:79]
	v_mul_f64 v[78:79], v[208:209], v[78:79]
	v_fma_f64 v[218:219], v[208:209], v[76:77], -v[218:219]
	v_fmac_f64_e32 v[78:79], v[210:211], v[76:77]
	ds_read2_b64 v[208:211], v220 offset0:66 offset1:67
	s_waitcnt lgkmcnt(1)
	v_mul_f64 v[76:77], v[226:227], v[78:79]
	v_fma_f64 v[76:77], v[224:225], v[218:219], -v[76:77]
	v_mul_f64 v[224:225], v[224:225], v[78:79]
	v_fmac_f64_e32 v[224:225], v[226:227], v[218:219]
	s_waitcnt vmcnt(19)
	v_add_f64 v[72:73], v[72:73], -v[76:77]
	s_waitcnt lgkmcnt(0)
	v_mul_f64 v[76:77], v[210:211], v[78:79]
	v_add_f64 v[74:75], v[74:75], -v[224:225]
	v_fma_f64 v[76:77], v[208:209], v[218:219], -v[76:77]
	v_mul_f64 v[208:209], v[208:209], v[78:79]
	ds_read2_b64 v[224:227], v220 offset0:68 offset1:69
	v_fmac_f64_e32 v[208:209], v[210:211], v[218:219]
	s_waitcnt vmcnt(18)
	v_add_f64 v[70:71], v[70:71], -v[208:209]
	ds_read2_b64 v[208:211], v220 offset0:70 offset1:71
	v_add_f64 v[68:69], v[68:69], -v[76:77]
	s_waitcnt lgkmcnt(1)
	v_mul_f64 v[76:77], v[226:227], v[78:79]
	v_fma_f64 v[76:77], v[224:225], v[218:219], -v[76:77]
	v_mul_f64 v[224:225], v[224:225], v[78:79]
	v_fmac_f64_e32 v[224:225], v[226:227], v[218:219]
	s_waitcnt vmcnt(17)
	v_add_f64 v[64:65], v[64:65], -v[76:77]
	s_waitcnt lgkmcnt(0)
	v_mul_f64 v[76:77], v[210:211], v[78:79]
	v_add_f64 v[66:67], v[66:67], -v[224:225]
	v_fma_f64 v[76:77], v[208:209], v[218:219], -v[76:77]
	v_mul_f64 v[208:209], v[208:209], v[78:79]
	ds_read2_b64 v[224:227], v220 offset0:72 offset1:73
	v_fmac_f64_e32 v[208:209], v[210:211], v[218:219]
	s_waitcnt vmcnt(16)
	v_add_f64 v[62:63], v[62:63], -v[208:209]
	ds_read2_b64 v[208:211], v220 offset0:74 offset1:75
	v_add_f64 v[60:61], v[60:61], -v[76:77]
	;; [unrolled: 18-line block ×9, first 2 shown]
	s_waitcnt lgkmcnt(1)
	v_mul_f64 v[76:77], v[226:227], v[78:79]
	v_fma_f64 v[76:77], v[224:225], v[218:219], -v[76:77]
	s_waitcnt vmcnt(1)
	v_add_f64 v[0:1], v[0:1], -v[76:77]
	s_waitcnt lgkmcnt(0)
	v_mul_f64 v[76:77], v[210:211], v[78:79]
	v_mul_f64 v[224:225], v[224:225], v[78:79]
	v_fma_f64 v[76:77], v[208:209], v[218:219], -v[76:77]
	v_mul_f64 v[208:209], v[208:209], v[78:79]
	v_fmac_f64_e32 v[224:225], v[226:227], v[218:219]
	v_fmac_f64_e32 v[208:209], v[210:211], v[218:219]
	v_add_f64 v[2:3], v[2:3], -v[224:225]
	s_waitcnt vmcnt(0)
	v_add_f64 v[204:205], v[204:205], -v[76:77]
	v_add_f64 v[206:207], v[206:207], -v[208:209]
	v_mov_b64_e32 v[76:77], v[218:219]
.LBB102_671:
	s_or_b64 exec, exec, s[0:1]
	v_lshl_add_u32 v208, v221, 4, v220
	s_barrier
	s_waitcnt vmcnt(19)
	ds_write2_b64 v208, v[72:73], v[74:75] offset1:1
	s_waitcnt lgkmcnt(0)
	s_barrier
	ds_read2_b64 v[208:211], v220 offset0:64 offset1:65
	s_cmp_lt_i32 s20, 34
	v_mov_b32_e32 v218, 32
	s_cbranch_scc1 .LBB102_674
; %bb.672:
	v_add_u32_e32 v219, 0x210, v220
	s_mov_b32 s16, 33
	v_mov_b32_e32 v218, 32
.LBB102_673:                            ; =>This Inner Loop Header: Depth=1
	ds_read2_b64 v[224:227], v219 offset1:1
	s_waitcnt lgkmcnt(1)
	v_xor_b32_e32 v229, 0x80000000, v209
	v_xor_b32_e32 v231, 0x80000000, v211
	v_cmp_gt_f64_e32 vcc, 0, v[210:211]
	v_cmp_gt_f64_e64 s[0:1], 0, v[208:209]
	v_mov_b32_e32 v228, v208
	v_mov_b32_e32 v230, v210
	v_cndmask_b32_e64 v229, v209, v229, s[0:1]
	v_cndmask_b32_e32 v231, v211, v231, vcc
	v_add_f64 v[228:229], v[228:229], v[230:231]
	s_waitcnt lgkmcnt(0)
	v_xor_b32_e32 v231, 0x80000000, v225
	v_xor_b32_e32 v233, 0x80000000, v227
	v_cmp_gt_f64_e32 vcc, 0, v[226:227]
	v_cmp_gt_f64_e64 s[0:1], 0, v[224:225]
	v_mov_b32_e32 v230, v224
	v_mov_b32_e32 v232, v226
	v_cndmask_b32_e64 v231, v225, v231, s[0:1]
	v_cndmask_b32_e32 v233, v227, v233, vcc
	v_add_f64 v[230:231], v[230:231], v[232:233]
	v_mov_b32_e32 v234, s16
	s_add_i32 s16, s16, 1
	v_cmp_lt_f64_e32 vcc, v[228:229], v[230:231]
	v_add_u32_e32 v219, 16, v219
	s_cmp_lg_u32 s20, s16
	v_cndmask_b32_e32 v209, v209, v225, vcc
	v_cndmask_b32_e32 v208, v208, v224, vcc
	;; [unrolled: 1-line block ×5, first 2 shown]
	s_cbranch_scc1 .LBB102_673
.LBB102_674:
	s_waitcnt lgkmcnt(0)
	v_cmp_eq_f64_e32 vcc, 0, v[208:209]
	v_cmp_eq_f64_e64 s[0:1], 0, v[210:211]
	s_and_b64 s[0:1], vcc, s[0:1]
	s_and_saveexec_b64 s[16:17], s[0:1]
	s_xor_b64 s[0:1], exec, s[16:17]
; %bb.675:
	v_cmp_ne_u32_e32 vcc, 0, v222
	s_nop 1
	v_cndmask_b32_e32 v222, 33, v222, vcc
; %bb.676:
	s_andn2_saveexec_b64 s[0:1], s[0:1]
	s_cbranch_execz .LBB102_682
; %bb.677:
	v_cmp_ngt_f64_e64 s[16:17], |v[208:209]|, |v[210:211]|
	s_and_saveexec_b64 s[18:19], s[16:17]
	s_xor_b64 s[16:17], exec, s[18:19]
	s_cbranch_execz .LBB102_679
; %bb.678:
	v_div_scale_f64 v[224:225], s[18:19], v[210:211], v[210:211], v[208:209]
	v_rcp_f64_e32 v[226:227], v[224:225]
	v_div_scale_f64 v[228:229], vcc, v[208:209], v[210:211], v[208:209]
	v_fma_f64 v[230:231], -v[224:225], v[226:227], 1.0
	v_fmac_f64_e32 v[226:227], v[226:227], v[230:231]
	v_fma_f64 v[230:231], -v[224:225], v[226:227], 1.0
	v_fmac_f64_e32 v[226:227], v[226:227], v[230:231]
	v_mul_f64 v[230:231], v[228:229], v[226:227]
	v_fma_f64 v[224:225], -v[224:225], v[230:231], v[228:229]
	v_div_fmas_f64 v[224:225], v[224:225], v[226:227], v[230:231]
	v_div_fixup_f64 v[224:225], v[224:225], v[210:211], v[208:209]
	v_fmac_f64_e32 v[210:211], v[208:209], v[224:225]
	v_div_scale_f64 v[208:209], s[18:19], v[210:211], v[210:211], 1.0
	v_rcp_f64_e32 v[226:227], v[208:209]
	s_nop 0
	v_fma_f64 v[228:229], -v[208:209], v[226:227], 1.0
	v_fmac_f64_e32 v[226:227], v[226:227], v[228:229]
	v_fma_f64 v[228:229], -v[208:209], v[226:227], 1.0
	v_fmac_f64_e32 v[226:227], v[226:227], v[228:229]
	v_div_scale_f64 v[228:229], vcc, 1.0, v[210:211], 1.0
	v_mul_f64 v[230:231], v[228:229], v[226:227]
	v_fma_f64 v[208:209], -v[208:209], v[230:231], v[228:229]
	s_nop 1
	v_div_fmas_f64 v[208:209], v[208:209], v[226:227], v[230:231]
	v_div_fixup_f64 v[210:211], v[208:209], v[210:211], 1.0
	v_mul_f64 v[208:209], v[224:225], v[210:211]
	v_xor_b32_e32 v211, 0x80000000, v211
.LBB102_679:
	s_andn2_saveexec_b64 s[16:17], s[16:17]
	s_cbranch_execz .LBB102_681
; %bb.680:
	v_div_scale_f64 v[224:225], s[18:19], v[208:209], v[208:209], v[210:211]
	v_rcp_f64_e32 v[226:227], v[224:225]
	v_div_scale_f64 v[228:229], vcc, v[210:211], v[208:209], v[210:211]
	v_fma_f64 v[230:231], -v[224:225], v[226:227], 1.0
	v_fmac_f64_e32 v[226:227], v[226:227], v[230:231]
	v_fma_f64 v[230:231], -v[224:225], v[226:227], 1.0
	v_fmac_f64_e32 v[226:227], v[226:227], v[230:231]
	v_mul_f64 v[230:231], v[228:229], v[226:227]
	v_fma_f64 v[224:225], -v[224:225], v[230:231], v[228:229]
	v_div_fmas_f64 v[224:225], v[224:225], v[226:227], v[230:231]
	v_div_fixup_f64 v[224:225], v[224:225], v[208:209], v[210:211]
	v_fmac_f64_e32 v[208:209], v[210:211], v[224:225]
	v_div_scale_f64 v[210:211], s[18:19], v[208:209], v[208:209], 1.0
	v_rcp_f64_e32 v[226:227], v[210:211]
	s_nop 0
	v_fma_f64 v[228:229], -v[210:211], v[226:227], 1.0
	v_fmac_f64_e32 v[226:227], v[226:227], v[228:229]
	v_fma_f64 v[228:229], -v[210:211], v[226:227], 1.0
	v_fmac_f64_e32 v[226:227], v[226:227], v[228:229]
	v_div_scale_f64 v[228:229], vcc, 1.0, v[208:209], 1.0
	v_mul_f64 v[230:231], v[228:229], v[226:227]
	v_fma_f64 v[210:211], -v[210:211], v[230:231], v[228:229]
	s_nop 1
	v_div_fmas_f64 v[210:211], v[210:211], v[226:227], v[230:231]
	v_div_fixup_f64 v[208:209], v[210:211], v[208:209], 1.0
	v_mul_f64 v[210:211], v[224:225], -v[208:209]
.LBB102_681:
	s_or_b64 exec, exec, s[16:17]
.LBB102_682:
	s_or_b64 exec, exec, s[0:1]
	v_cmp_ne_u32_e32 vcc, v221, v218
	s_and_saveexec_b64 s[0:1], vcc
	s_xor_b64 s[0:1], exec, s[0:1]
	s_cbranch_execz .LBB102_688
; %bb.683:
	v_cmp_eq_u32_e32 vcc, 32, v221
	s_and_saveexec_b64 s[16:17], vcc
	s_cbranch_execz .LBB102_687
; %bb.684:
	v_cmp_ne_u32_e32 vcc, 32, v218
	s_xor_b64 s[18:19], s[14:15], -1
	s_and_b64 s[22:23], s[18:19], vcc
	s_and_saveexec_b64 s[18:19], s[22:23]
	s_cbranch_execz .LBB102_686
; %bb.685:
	v_ashrrev_i32_e32 v219, 31, v218
	v_lshl_add_u64 v[224:225], v[218:219], 2, v[216:217]
	global_load_dword v219, v[224:225], off
	global_load_dword v221, v[216:217], off offset:128
	s_waitcnt vmcnt(1)
	global_store_dword v[216:217], v219, off offset:128
	s_waitcnt vmcnt(1)
	global_store_dword v[224:225], v221, off
.LBB102_686:
	s_or_b64 exec, exec, s[18:19]
	v_mov_b32_e32 v221, v218
	v_mov_b32_e32 v223, v218
.LBB102_687:
	s_or_b64 exec, exec, s[16:17]
.LBB102_688:
	s_andn2_saveexec_b64 s[0:1], s[0:1]
	s_cbranch_execz .LBB102_690
; %bb.689:
	v_mov_b32_e32 v221, 32
	s_waitcnt vmcnt(18)
	ds_write2_b64 v220, v[68:69], v[70:71] offset0:66 offset1:67
	s_waitcnt vmcnt(17)
	ds_write2_b64 v220, v[64:65], v[66:67] offset0:68 offset1:69
	;; [unrolled: 2-line block ×19, first 2 shown]
.LBB102_690:
	s_or_b64 exec, exec, s[0:1]
	v_cmp_lt_i32_e32 vcc, 32, v221
	s_waitcnt lgkmcnt(0)
	s_barrier
	s_and_saveexec_b64 s[0:1], vcc
	s_cbranch_execz .LBB102_692
; %bb.691:
	ds_read2_b64 v[224:227], v220 offset0:66 offset1:67
	v_mul_f64 v[218:219], v[210:211], v[74:75]
	v_mul_f64 v[74:75], v[208:209], v[74:75]
	v_fmac_f64_e32 v[74:75], v[210:211], v[72:73]
	v_fma_f64 v[218:219], v[208:209], v[72:73], -v[218:219]
	ds_read2_b64 v[208:211], v220 offset0:68 offset1:69
	s_waitcnt lgkmcnt(1)
	v_mul_f64 v[72:73], v[226:227], v[74:75]
	v_fma_f64 v[72:73], v[224:225], v[218:219], -v[72:73]
	v_mul_f64 v[224:225], v[224:225], v[74:75]
	v_fmac_f64_e32 v[224:225], v[226:227], v[218:219]
	s_waitcnt vmcnt(18)
	v_add_f64 v[70:71], v[70:71], -v[224:225]
	ds_read2_b64 v[224:227], v220 offset0:70 offset1:71
	v_add_f64 v[68:69], v[68:69], -v[72:73]
	s_waitcnt lgkmcnt(1)
	v_mul_f64 v[72:73], v[210:211], v[74:75]
	v_fma_f64 v[72:73], v[208:209], v[218:219], -v[72:73]
	v_mul_f64 v[208:209], v[208:209], v[74:75]
	v_fmac_f64_e32 v[208:209], v[210:211], v[218:219]
	s_waitcnt vmcnt(17)
	v_add_f64 v[64:65], v[64:65], -v[72:73]
	v_add_f64 v[66:67], v[66:67], -v[208:209]
	ds_read2_b64 v[208:211], v220 offset0:72 offset1:73
	s_waitcnt lgkmcnt(1)
	v_mul_f64 v[72:73], v[226:227], v[74:75]
	v_fma_f64 v[72:73], v[224:225], v[218:219], -v[72:73]
	v_mul_f64 v[224:225], v[224:225], v[74:75]
	v_fmac_f64_e32 v[224:225], v[226:227], v[218:219]
	s_waitcnt vmcnt(16)
	v_add_f64 v[62:63], v[62:63], -v[224:225]
	ds_read2_b64 v[224:227], v220 offset0:74 offset1:75
	v_add_f64 v[60:61], v[60:61], -v[72:73]
	s_waitcnt lgkmcnt(1)
	v_mul_f64 v[72:73], v[210:211], v[74:75]
	v_fma_f64 v[72:73], v[208:209], v[218:219], -v[72:73]
	v_mul_f64 v[208:209], v[208:209], v[74:75]
	v_fmac_f64_e32 v[208:209], v[210:211], v[218:219]
	s_waitcnt vmcnt(15)
	v_add_f64 v[56:57], v[56:57], -v[72:73]
	v_add_f64 v[58:59], v[58:59], -v[208:209]
	;; [unrolled: 18-line block ×9, first 2 shown]
	s_waitcnt lgkmcnt(0)
	v_mul_f64 v[72:73], v[226:227], v[74:75]
	v_mul_f64 v[208:209], v[224:225], v[74:75]
	v_fma_f64 v[72:73], v[224:225], v[218:219], -v[72:73]
	v_fmac_f64_e32 v[208:209], v[226:227], v[218:219]
	s_waitcnt vmcnt(0)
	v_add_f64 v[204:205], v[204:205], -v[72:73]
	v_add_f64 v[206:207], v[206:207], -v[208:209]
	v_mov_b64_e32 v[72:73], v[218:219]
.LBB102_692:
	s_or_b64 exec, exec, s[0:1]
	v_lshl_add_u32 v208, v221, 4, v220
	s_barrier
	s_waitcnt vmcnt(18)
	ds_write2_b64 v208, v[68:69], v[70:71] offset1:1
	s_waitcnt lgkmcnt(0)
	s_barrier
	ds_read2_b64 v[208:211], v220 offset0:66 offset1:67
	s_cmp_lt_i32 s20, 35
	v_mov_b32_e32 v218, 33
	s_cbranch_scc1 .LBB102_695
; %bb.693:
	v_add_u32_e32 v219, 0x220, v220
	s_mov_b32 s16, 34
	v_mov_b32_e32 v218, 33
.LBB102_694:                            ; =>This Inner Loop Header: Depth=1
	ds_read2_b64 v[224:227], v219 offset1:1
	s_waitcnt lgkmcnt(1)
	v_xor_b32_e32 v229, 0x80000000, v209
	v_xor_b32_e32 v231, 0x80000000, v211
	v_cmp_gt_f64_e32 vcc, 0, v[210:211]
	v_cmp_gt_f64_e64 s[0:1], 0, v[208:209]
	v_mov_b32_e32 v228, v208
	v_mov_b32_e32 v230, v210
	v_cndmask_b32_e64 v229, v209, v229, s[0:1]
	v_cndmask_b32_e32 v231, v211, v231, vcc
	v_add_f64 v[228:229], v[228:229], v[230:231]
	s_waitcnt lgkmcnt(0)
	v_xor_b32_e32 v231, 0x80000000, v225
	v_xor_b32_e32 v233, 0x80000000, v227
	v_cmp_gt_f64_e32 vcc, 0, v[226:227]
	v_cmp_gt_f64_e64 s[0:1], 0, v[224:225]
	v_mov_b32_e32 v230, v224
	v_mov_b32_e32 v232, v226
	v_cndmask_b32_e64 v231, v225, v231, s[0:1]
	v_cndmask_b32_e32 v233, v227, v233, vcc
	v_add_f64 v[230:231], v[230:231], v[232:233]
	v_mov_b32_e32 v234, s16
	s_add_i32 s16, s16, 1
	v_cmp_lt_f64_e32 vcc, v[228:229], v[230:231]
	v_add_u32_e32 v219, 16, v219
	s_cmp_lg_u32 s20, s16
	v_cndmask_b32_e32 v209, v209, v225, vcc
	v_cndmask_b32_e32 v208, v208, v224, vcc
	;; [unrolled: 1-line block ×5, first 2 shown]
	s_cbranch_scc1 .LBB102_694
.LBB102_695:
	s_waitcnt lgkmcnt(0)
	v_cmp_eq_f64_e32 vcc, 0, v[208:209]
	v_cmp_eq_f64_e64 s[0:1], 0, v[210:211]
	s_and_b64 s[0:1], vcc, s[0:1]
	s_and_saveexec_b64 s[16:17], s[0:1]
	s_xor_b64 s[0:1], exec, s[16:17]
; %bb.696:
	v_cmp_ne_u32_e32 vcc, 0, v222
	s_nop 1
	v_cndmask_b32_e32 v222, 34, v222, vcc
; %bb.697:
	s_andn2_saveexec_b64 s[0:1], s[0:1]
	s_cbranch_execz .LBB102_703
; %bb.698:
	v_cmp_ngt_f64_e64 s[16:17], |v[208:209]|, |v[210:211]|
	s_and_saveexec_b64 s[18:19], s[16:17]
	s_xor_b64 s[16:17], exec, s[18:19]
	s_cbranch_execz .LBB102_700
; %bb.699:
	v_div_scale_f64 v[224:225], s[18:19], v[210:211], v[210:211], v[208:209]
	v_rcp_f64_e32 v[226:227], v[224:225]
	v_div_scale_f64 v[228:229], vcc, v[208:209], v[210:211], v[208:209]
	v_fma_f64 v[230:231], -v[224:225], v[226:227], 1.0
	v_fmac_f64_e32 v[226:227], v[226:227], v[230:231]
	v_fma_f64 v[230:231], -v[224:225], v[226:227], 1.0
	v_fmac_f64_e32 v[226:227], v[226:227], v[230:231]
	v_mul_f64 v[230:231], v[228:229], v[226:227]
	v_fma_f64 v[224:225], -v[224:225], v[230:231], v[228:229]
	v_div_fmas_f64 v[224:225], v[224:225], v[226:227], v[230:231]
	v_div_fixup_f64 v[224:225], v[224:225], v[210:211], v[208:209]
	v_fmac_f64_e32 v[210:211], v[208:209], v[224:225]
	v_div_scale_f64 v[208:209], s[18:19], v[210:211], v[210:211], 1.0
	v_rcp_f64_e32 v[226:227], v[208:209]
	s_nop 0
	v_fma_f64 v[228:229], -v[208:209], v[226:227], 1.0
	v_fmac_f64_e32 v[226:227], v[226:227], v[228:229]
	v_fma_f64 v[228:229], -v[208:209], v[226:227], 1.0
	v_fmac_f64_e32 v[226:227], v[226:227], v[228:229]
	v_div_scale_f64 v[228:229], vcc, 1.0, v[210:211], 1.0
	v_mul_f64 v[230:231], v[228:229], v[226:227]
	v_fma_f64 v[208:209], -v[208:209], v[230:231], v[228:229]
	s_nop 1
	v_div_fmas_f64 v[208:209], v[208:209], v[226:227], v[230:231]
	v_div_fixup_f64 v[210:211], v[208:209], v[210:211], 1.0
	v_mul_f64 v[208:209], v[224:225], v[210:211]
	v_xor_b32_e32 v211, 0x80000000, v211
.LBB102_700:
	s_andn2_saveexec_b64 s[16:17], s[16:17]
	s_cbranch_execz .LBB102_702
; %bb.701:
	v_div_scale_f64 v[224:225], s[18:19], v[208:209], v[208:209], v[210:211]
	v_rcp_f64_e32 v[226:227], v[224:225]
	v_div_scale_f64 v[228:229], vcc, v[210:211], v[208:209], v[210:211]
	v_fma_f64 v[230:231], -v[224:225], v[226:227], 1.0
	v_fmac_f64_e32 v[226:227], v[226:227], v[230:231]
	v_fma_f64 v[230:231], -v[224:225], v[226:227], 1.0
	v_fmac_f64_e32 v[226:227], v[226:227], v[230:231]
	v_mul_f64 v[230:231], v[228:229], v[226:227]
	v_fma_f64 v[224:225], -v[224:225], v[230:231], v[228:229]
	v_div_fmas_f64 v[224:225], v[224:225], v[226:227], v[230:231]
	v_div_fixup_f64 v[224:225], v[224:225], v[208:209], v[210:211]
	v_fmac_f64_e32 v[208:209], v[210:211], v[224:225]
	v_div_scale_f64 v[210:211], s[18:19], v[208:209], v[208:209], 1.0
	v_rcp_f64_e32 v[226:227], v[210:211]
	s_nop 0
	v_fma_f64 v[228:229], -v[210:211], v[226:227], 1.0
	v_fmac_f64_e32 v[226:227], v[226:227], v[228:229]
	v_fma_f64 v[228:229], -v[210:211], v[226:227], 1.0
	v_fmac_f64_e32 v[226:227], v[226:227], v[228:229]
	v_div_scale_f64 v[228:229], vcc, 1.0, v[208:209], 1.0
	v_mul_f64 v[230:231], v[228:229], v[226:227]
	v_fma_f64 v[210:211], -v[210:211], v[230:231], v[228:229]
	s_nop 1
	v_div_fmas_f64 v[210:211], v[210:211], v[226:227], v[230:231]
	v_div_fixup_f64 v[208:209], v[210:211], v[208:209], 1.0
	v_mul_f64 v[210:211], v[224:225], -v[208:209]
.LBB102_702:
	s_or_b64 exec, exec, s[16:17]
.LBB102_703:
	s_or_b64 exec, exec, s[0:1]
	v_cmp_ne_u32_e32 vcc, v221, v218
	s_and_saveexec_b64 s[0:1], vcc
	s_xor_b64 s[0:1], exec, s[0:1]
	s_cbranch_execz .LBB102_709
; %bb.704:
	v_cmp_eq_u32_e32 vcc, 33, v221
	s_and_saveexec_b64 s[16:17], vcc
	s_cbranch_execz .LBB102_708
; %bb.705:
	v_cmp_ne_u32_e32 vcc, 33, v218
	s_xor_b64 s[18:19], s[14:15], -1
	s_and_b64 s[22:23], s[18:19], vcc
	s_and_saveexec_b64 s[18:19], s[22:23]
	s_cbranch_execz .LBB102_707
; %bb.706:
	v_ashrrev_i32_e32 v219, 31, v218
	v_lshl_add_u64 v[224:225], v[218:219], 2, v[216:217]
	global_load_dword v219, v[224:225], off
	global_load_dword v221, v[216:217], off offset:132
	s_waitcnt vmcnt(1)
	global_store_dword v[216:217], v219, off offset:132
	s_waitcnt vmcnt(1)
	global_store_dword v[224:225], v221, off
.LBB102_707:
	s_or_b64 exec, exec, s[18:19]
	v_mov_b32_e32 v221, v218
	v_mov_b32_e32 v223, v218
.LBB102_708:
	s_or_b64 exec, exec, s[16:17]
.LBB102_709:
	s_andn2_saveexec_b64 s[0:1], s[0:1]
	s_cbranch_execz .LBB102_711
; %bb.710:
	v_mov_b32_e32 v221, 33
	s_waitcnt vmcnt(17)
	ds_write2_b64 v220, v[64:65], v[66:67] offset0:68 offset1:69
	s_waitcnt vmcnt(16)
	ds_write2_b64 v220, v[60:61], v[62:63] offset0:70 offset1:71
	;; [unrolled: 2-line block ×18, first 2 shown]
.LBB102_711:
	s_or_b64 exec, exec, s[0:1]
	v_cmp_lt_i32_e32 vcc, 33, v221
	s_waitcnt lgkmcnt(0)
	s_barrier
	s_and_saveexec_b64 s[0:1], vcc
	s_cbranch_execz .LBB102_713
; %bb.712:
	ds_read2_b64 v[224:227], v220 offset0:68 offset1:69
	v_mul_f64 v[218:219], v[210:211], v[70:71]
	v_mul_f64 v[70:71], v[208:209], v[70:71]
	v_fma_f64 v[218:219], v[208:209], v[68:69], -v[218:219]
	v_fmac_f64_e32 v[70:71], v[210:211], v[68:69]
	ds_read2_b64 v[208:211], v220 offset0:70 offset1:71
	s_waitcnt lgkmcnt(1)
	v_mul_f64 v[68:69], v[226:227], v[70:71]
	v_fma_f64 v[68:69], v[224:225], v[218:219], -v[68:69]
	v_mul_f64 v[224:225], v[224:225], v[70:71]
	v_fmac_f64_e32 v[224:225], v[226:227], v[218:219]
	s_waitcnt vmcnt(17)
	v_add_f64 v[64:65], v[64:65], -v[68:69]
	s_waitcnt lgkmcnt(0)
	v_mul_f64 v[68:69], v[210:211], v[70:71]
	v_add_f64 v[66:67], v[66:67], -v[224:225]
	v_fma_f64 v[68:69], v[208:209], v[218:219], -v[68:69]
	v_mul_f64 v[208:209], v[208:209], v[70:71]
	ds_read2_b64 v[224:227], v220 offset0:72 offset1:73
	v_fmac_f64_e32 v[208:209], v[210:211], v[218:219]
	s_waitcnt vmcnt(16)
	v_add_f64 v[62:63], v[62:63], -v[208:209]
	ds_read2_b64 v[208:211], v220 offset0:74 offset1:75
	v_add_f64 v[60:61], v[60:61], -v[68:69]
	s_waitcnt lgkmcnt(1)
	v_mul_f64 v[68:69], v[226:227], v[70:71]
	v_fma_f64 v[68:69], v[224:225], v[218:219], -v[68:69]
	v_mul_f64 v[224:225], v[224:225], v[70:71]
	v_fmac_f64_e32 v[224:225], v[226:227], v[218:219]
	s_waitcnt vmcnt(15)
	v_add_f64 v[56:57], v[56:57], -v[68:69]
	s_waitcnt lgkmcnt(0)
	v_mul_f64 v[68:69], v[210:211], v[70:71]
	v_add_f64 v[58:59], v[58:59], -v[224:225]
	v_fma_f64 v[68:69], v[208:209], v[218:219], -v[68:69]
	v_mul_f64 v[208:209], v[208:209], v[70:71]
	ds_read2_b64 v[224:227], v220 offset0:76 offset1:77
	v_fmac_f64_e32 v[208:209], v[210:211], v[218:219]
	s_waitcnt vmcnt(14)
	v_add_f64 v[54:55], v[54:55], -v[208:209]
	ds_read2_b64 v[208:211], v220 offset0:78 offset1:79
	v_add_f64 v[52:53], v[52:53], -v[68:69]
	;; [unrolled: 18-line block ×8, first 2 shown]
	s_waitcnt lgkmcnt(1)
	v_mul_f64 v[68:69], v[226:227], v[70:71]
	v_fma_f64 v[68:69], v[224:225], v[218:219], -v[68:69]
	s_waitcnt vmcnt(1)
	v_add_f64 v[0:1], v[0:1], -v[68:69]
	s_waitcnt lgkmcnt(0)
	v_mul_f64 v[68:69], v[210:211], v[70:71]
	v_mul_f64 v[224:225], v[224:225], v[70:71]
	v_fma_f64 v[68:69], v[208:209], v[218:219], -v[68:69]
	v_mul_f64 v[208:209], v[208:209], v[70:71]
	v_fmac_f64_e32 v[224:225], v[226:227], v[218:219]
	v_fmac_f64_e32 v[208:209], v[210:211], v[218:219]
	v_add_f64 v[2:3], v[2:3], -v[224:225]
	s_waitcnt vmcnt(0)
	v_add_f64 v[204:205], v[204:205], -v[68:69]
	v_add_f64 v[206:207], v[206:207], -v[208:209]
	v_mov_b64_e32 v[68:69], v[218:219]
.LBB102_713:
	s_or_b64 exec, exec, s[0:1]
	v_lshl_add_u32 v208, v221, 4, v220
	s_barrier
	s_waitcnt vmcnt(17)
	ds_write2_b64 v208, v[64:65], v[66:67] offset1:1
	s_waitcnt lgkmcnt(0)
	s_barrier
	ds_read2_b64 v[208:211], v220 offset0:68 offset1:69
	s_cmp_lt_i32 s20, 36
	v_mov_b32_e32 v218, 34
	s_cbranch_scc1 .LBB102_716
; %bb.714:
	v_add_u32_e32 v219, 0x230, v220
	s_mov_b32 s16, 35
	v_mov_b32_e32 v218, 34
.LBB102_715:                            ; =>This Inner Loop Header: Depth=1
	ds_read2_b64 v[224:227], v219 offset1:1
	s_waitcnt lgkmcnt(1)
	v_xor_b32_e32 v229, 0x80000000, v209
	v_xor_b32_e32 v231, 0x80000000, v211
	v_cmp_gt_f64_e32 vcc, 0, v[210:211]
	v_cmp_gt_f64_e64 s[0:1], 0, v[208:209]
	v_mov_b32_e32 v228, v208
	v_mov_b32_e32 v230, v210
	v_cndmask_b32_e64 v229, v209, v229, s[0:1]
	v_cndmask_b32_e32 v231, v211, v231, vcc
	v_add_f64 v[228:229], v[228:229], v[230:231]
	s_waitcnt lgkmcnt(0)
	v_xor_b32_e32 v231, 0x80000000, v225
	v_xor_b32_e32 v233, 0x80000000, v227
	v_cmp_gt_f64_e32 vcc, 0, v[226:227]
	v_cmp_gt_f64_e64 s[0:1], 0, v[224:225]
	v_mov_b32_e32 v230, v224
	v_mov_b32_e32 v232, v226
	v_cndmask_b32_e64 v231, v225, v231, s[0:1]
	v_cndmask_b32_e32 v233, v227, v233, vcc
	v_add_f64 v[230:231], v[230:231], v[232:233]
	v_mov_b32_e32 v234, s16
	s_add_i32 s16, s16, 1
	v_cmp_lt_f64_e32 vcc, v[228:229], v[230:231]
	v_add_u32_e32 v219, 16, v219
	s_cmp_lg_u32 s20, s16
	v_cndmask_b32_e32 v209, v209, v225, vcc
	v_cndmask_b32_e32 v208, v208, v224, vcc
	;; [unrolled: 1-line block ×5, first 2 shown]
	s_cbranch_scc1 .LBB102_715
.LBB102_716:
	s_waitcnt lgkmcnt(0)
	v_cmp_eq_f64_e32 vcc, 0, v[208:209]
	v_cmp_eq_f64_e64 s[0:1], 0, v[210:211]
	s_and_b64 s[0:1], vcc, s[0:1]
	s_and_saveexec_b64 s[16:17], s[0:1]
	s_xor_b64 s[0:1], exec, s[16:17]
; %bb.717:
	v_cmp_ne_u32_e32 vcc, 0, v222
	s_nop 1
	v_cndmask_b32_e32 v222, 35, v222, vcc
; %bb.718:
	s_andn2_saveexec_b64 s[0:1], s[0:1]
	s_cbranch_execz .LBB102_724
; %bb.719:
	v_cmp_ngt_f64_e64 s[16:17], |v[208:209]|, |v[210:211]|
	s_and_saveexec_b64 s[18:19], s[16:17]
	s_xor_b64 s[16:17], exec, s[18:19]
	s_cbranch_execz .LBB102_721
; %bb.720:
	v_div_scale_f64 v[224:225], s[18:19], v[210:211], v[210:211], v[208:209]
	v_rcp_f64_e32 v[226:227], v[224:225]
	v_div_scale_f64 v[228:229], vcc, v[208:209], v[210:211], v[208:209]
	v_fma_f64 v[230:231], -v[224:225], v[226:227], 1.0
	v_fmac_f64_e32 v[226:227], v[226:227], v[230:231]
	v_fma_f64 v[230:231], -v[224:225], v[226:227], 1.0
	v_fmac_f64_e32 v[226:227], v[226:227], v[230:231]
	v_mul_f64 v[230:231], v[228:229], v[226:227]
	v_fma_f64 v[224:225], -v[224:225], v[230:231], v[228:229]
	v_div_fmas_f64 v[224:225], v[224:225], v[226:227], v[230:231]
	v_div_fixup_f64 v[224:225], v[224:225], v[210:211], v[208:209]
	v_fmac_f64_e32 v[210:211], v[208:209], v[224:225]
	v_div_scale_f64 v[208:209], s[18:19], v[210:211], v[210:211], 1.0
	v_rcp_f64_e32 v[226:227], v[208:209]
	s_nop 0
	v_fma_f64 v[228:229], -v[208:209], v[226:227], 1.0
	v_fmac_f64_e32 v[226:227], v[226:227], v[228:229]
	v_fma_f64 v[228:229], -v[208:209], v[226:227], 1.0
	v_fmac_f64_e32 v[226:227], v[226:227], v[228:229]
	v_div_scale_f64 v[228:229], vcc, 1.0, v[210:211], 1.0
	v_mul_f64 v[230:231], v[228:229], v[226:227]
	v_fma_f64 v[208:209], -v[208:209], v[230:231], v[228:229]
	s_nop 1
	v_div_fmas_f64 v[208:209], v[208:209], v[226:227], v[230:231]
	v_div_fixup_f64 v[210:211], v[208:209], v[210:211], 1.0
	v_mul_f64 v[208:209], v[224:225], v[210:211]
	v_xor_b32_e32 v211, 0x80000000, v211
.LBB102_721:
	s_andn2_saveexec_b64 s[16:17], s[16:17]
	s_cbranch_execz .LBB102_723
; %bb.722:
	v_div_scale_f64 v[224:225], s[18:19], v[208:209], v[208:209], v[210:211]
	v_rcp_f64_e32 v[226:227], v[224:225]
	v_div_scale_f64 v[228:229], vcc, v[210:211], v[208:209], v[210:211]
	v_fma_f64 v[230:231], -v[224:225], v[226:227], 1.0
	v_fmac_f64_e32 v[226:227], v[226:227], v[230:231]
	v_fma_f64 v[230:231], -v[224:225], v[226:227], 1.0
	v_fmac_f64_e32 v[226:227], v[226:227], v[230:231]
	v_mul_f64 v[230:231], v[228:229], v[226:227]
	v_fma_f64 v[224:225], -v[224:225], v[230:231], v[228:229]
	v_div_fmas_f64 v[224:225], v[224:225], v[226:227], v[230:231]
	v_div_fixup_f64 v[224:225], v[224:225], v[208:209], v[210:211]
	v_fmac_f64_e32 v[208:209], v[210:211], v[224:225]
	v_div_scale_f64 v[210:211], s[18:19], v[208:209], v[208:209], 1.0
	v_rcp_f64_e32 v[226:227], v[210:211]
	s_nop 0
	v_fma_f64 v[228:229], -v[210:211], v[226:227], 1.0
	v_fmac_f64_e32 v[226:227], v[226:227], v[228:229]
	v_fma_f64 v[228:229], -v[210:211], v[226:227], 1.0
	v_fmac_f64_e32 v[226:227], v[226:227], v[228:229]
	v_div_scale_f64 v[228:229], vcc, 1.0, v[208:209], 1.0
	v_mul_f64 v[230:231], v[228:229], v[226:227]
	v_fma_f64 v[210:211], -v[210:211], v[230:231], v[228:229]
	s_nop 1
	v_div_fmas_f64 v[210:211], v[210:211], v[226:227], v[230:231]
	v_div_fixup_f64 v[208:209], v[210:211], v[208:209], 1.0
	v_mul_f64 v[210:211], v[224:225], -v[208:209]
.LBB102_723:
	s_or_b64 exec, exec, s[16:17]
.LBB102_724:
	s_or_b64 exec, exec, s[0:1]
	v_cmp_ne_u32_e32 vcc, v221, v218
	s_and_saveexec_b64 s[0:1], vcc
	s_xor_b64 s[0:1], exec, s[0:1]
	s_cbranch_execz .LBB102_730
; %bb.725:
	v_cmp_eq_u32_e32 vcc, 34, v221
	s_and_saveexec_b64 s[16:17], vcc
	s_cbranch_execz .LBB102_729
; %bb.726:
	v_cmp_ne_u32_e32 vcc, 34, v218
	s_xor_b64 s[18:19], s[14:15], -1
	s_and_b64 s[22:23], s[18:19], vcc
	s_and_saveexec_b64 s[18:19], s[22:23]
	s_cbranch_execz .LBB102_728
; %bb.727:
	v_ashrrev_i32_e32 v219, 31, v218
	v_lshl_add_u64 v[224:225], v[218:219], 2, v[216:217]
	global_load_dword v219, v[224:225], off
	global_load_dword v221, v[216:217], off offset:136
	s_waitcnt vmcnt(1)
	global_store_dword v[216:217], v219, off offset:136
	s_waitcnt vmcnt(1)
	global_store_dword v[224:225], v221, off
.LBB102_728:
	s_or_b64 exec, exec, s[18:19]
	v_mov_b32_e32 v221, v218
	v_mov_b32_e32 v223, v218
.LBB102_729:
	s_or_b64 exec, exec, s[16:17]
.LBB102_730:
	s_andn2_saveexec_b64 s[0:1], s[0:1]
	s_cbranch_execz .LBB102_732
; %bb.731:
	v_mov_b32_e32 v221, 34
	s_waitcnt vmcnt(16)
	ds_write2_b64 v220, v[60:61], v[62:63] offset0:70 offset1:71
	s_waitcnt vmcnt(15)
	ds_write2_b64 v220, v[56:57], v[58:59] offset0:72 offset1:73
	s_waitcnt vmcnt(14)
	ds_write2_b64 v220, v[52:53], v[54:55] offset0:74 offset1:75
	s_waitcnt vmcnt(13)
	ds_write2_b64 v220, v[48:49], v[50:51] offset0:76 offset1:77
	s_waitcnt vmcnt(12)
	ds_write2_b64 v220, v[44:45], v[46:47] offset0:78 offset1:79
	s_waitcnt vmcnt(11)
	ds_write2_b64 v220, v[40:41], v[42:43] offset0:80 offset1:81
	s_waitcnt vmcnt(10)
	ds_write2_b64 v220, v[36:37], v[38:39] offset0:82 offset1:83
	s_waitcnt vmcnt(9)
	ds_write2_b64 v220, v[32:33], v[34:35] offset0:84 offset1:85
	s_waitcnt vmcnt(8)
	ds_write2_b64 v220, v[28:29], v[30:31] offset0:86 offset1:87
	s_waitcnt vmcnt(7)
	ds_write2_b64 v220, v[24:25], v[26:27] offset0:88 offset1:89
	s_waitcnt vmcnt(6)
	ds_write2_b64 v220, v[20:21], v[22:23] offset0:90 offset1:91
	s_waitcnt vmcnt(5)
	ds_write2_b64 v220, v[16:17], v[18:19] offset0:92 offset1:93
	s_waitcnt vmcnt(4)
	ds_write2_b64 v220, v[12:13], v[14:15] offset0:94 offset1:95
	s_waitcnt vmcnt(3)
	ds_write2_b64 v220, v[8:9], v[10:11] offset0:96 offset1:97
	s_waitcnt vmcnt(2)
	ds_write2_b64 v220, v[4:5], v[6:7] offset0:98 offset1:99
	s_waitcnt vmcnt(1)
	ds_write2_b64 v220, v[0:1], v[2:3] offset0:100 offset1:101
	s_waitcnt vmcnt(0)
	ds_write2_b64 v220, v[204:205], v[206:207] offset0:102 offset1:103
.LBB102_732:
	s_or_b64 exec, exec, s[0:1]
	v_cmp_lt_i32_e32 vcc, 34, v221
	s_waitcnt lgkmcnt(0)
	s_barrier
	s_and_saveexec_b64 s[0:1], vcc
	s_cbranch_execz .LBB102_734
; %bb.733:
	ds_read2_b64 v[224:227], v220 offset0:70 offset1:71
	v_mul_f64 v[218:219], v[210:211], v[66:67]
	v_mul_f64 v[66:67], v[208:209], v[66:67]
	v_fmac_f64_e32 v[66:67], v[210:211], v[64:65]
	v_fma_f64 v[218:219], v[208:209], v[64:65], -v[218:219]
	ds_read2_b64 v[208:211], v220 offset0:72 offset1:73
	s_waitcnt lgkmcnt(1)
	v_mul_f64 v[64:65], v[226:227], v[66:67]
	v_fma_f64 v[64:65], v[224:225], v[218:219], -v[64:65]
	v_mul_f64 v[224:225], v[224:225], v[66:67]
	v_fmac_f64_e32 v[224:225], v[226:227], v[218:219]
	s_waitcnt vmcnt(16)
	v_add_f64 v[62:63], v[62:63], -v[224:225]
	ds_read2_b64 v[224:227], v220 offset0:74 offset1:75
	v_add_f64 v[60:61], v[60:61], -v[64:65]
	s_waitcnt lgkmcnt(1)
	v_mul_f64 v[64:65], v[210:211], v[66:67]
	v_fma_f64 v[64:65], v[208:209], v[218:219], -v[64:65]
	v_mul_f64 v[208:209], v[208:209], v[66:67]
	v_fmac_f64_e32 v[208:209], v[210:211], v[218:219]
	s_waitcnt vmcnt(15)
	v_add_f64 v[56:57], v[56:57], -v[64:65]
	v_add_f64 v[58:59], v[58:59], -v[208:209]
	ds_read2_b64 v[208:211], v220 offset0:76 offset1:77
	s_waitcnt lgkmcnt(1)
	v_mul_f64 v[64:65], v[226:227], v[66:67]
	v_fma_f64 v[64:65], v[224:225], v[218:219], -v[64:65]
	v_mul_f64 v[224:225], v[224:225], v[66:67]
	v_fmac_f64_e32 v[224:225], v[226:227], v[218:219]
	s_waitcnt vmcnt(14)
	v_add_f64 v[54:55], v[54:55], -v[224:225]
	ds_read2_b64 v[224:227], v220 offset0:78 offset1:79
	v_add_f64 v[52:53], v[52:53], -v[64:65]
	s_waitcnt lgkmcnt(1)
	v_mul_f64 v[64:65], v[210:211], v[66:67]
	v_fma_f64 v[64:65], v[208:209], v[218:219], -v[64:65]
	v_mul_f64 v[208:209], v[208:209], v[66:67]
	v_fmac_f64_e32 v[208:209], v[210:211], v[218:219]
	s_waitcnt vmcnt(13)
	v_add_f64 v[48:49], v[48:49], -v[64:65]
	v_add_f64 v[50:51], v[50:51], -v[208:209]
	ds_read2_b64 v[208:211], v220 offset0:80 offset1:81
	s_waitcnt lgkmcnt(1)
	v_mul_f64 v[64:65], v[226:227], v[66:67]
	v_fma_f64 v[64:65], v[224:225], v[218:219], -v[64:65]
	v_mul_f64 v[224:225], v[224:225], v[66:67]
	v_fmac_f64_e32 v[224:225], v[226:227], v[218:219]
	s_waitcnt vmcnt(12)
	v_add_f64 v[46:47], v[46:47], -v[224:225]
	ds_read2_b64 v[224:227], v220 offset0:82 offset1:83
	v_add_f64 v[44:45], v[44:45], -v[64:65]
	s_waitcnt lgkmcnt(1)
	v_mul_f64 v[64:65], v[210:211], v[66:67]
	v_fma_f64 v[64:65], v[208:209], v[218:219], -v[64:65]
	v_mul_f64 v[208:209], v[208:209], v[66:67]
	v_fmac_f64_e32 v[208:209], v[210:211], v[218:219]
	s_waitcnt vmcnt(11)
	v_add_f64 v[40:41], v[40:41], -v[64:65]
	v_add_f64 v[42:43], v[42:43], -v[208:209]
	ds_read2_b64 v[208:211], v220 offset0:84 offset1:85
	s_waitcnt lgkmcnt(1)
	v_mul_f64 v[64:65], v[226:227], v[66:67]
	v_fma_f64 v[64:65], v[224:225], v[218:219], -v[64:65]
	v_mul_f64 v[224:225], v[224:225], v[66:67]
	v_fmac_f64_e32 v[224:225], v[226:227], v[218:219]
	s_waitcnt vmcnt(10)
	v_add_f64 v[38:39], v[38:39], -v[224:225]
	ds_read2_b64 v[224:227], v220 offset0:86 offset1:87
	v_add_f64 v[36:37], v[36:37], -v[64:65]
	s_waitcnt lgkmcnt(1)
	v_mul_f64 v[64:65], v[210:211], v[66:67]
	v_fma_f64 v[64:65], v[208:209], v[218:219], -v[64:65]
	v_mul_f64 v[208:209], v[208:209], v[66:67]
	v_fmac_f64_e32 v[208:209], v[210:211], v[218:219]
	s_waitcnt vmcnt(9)
	v_add_f64 v[32:33], v[32:33], -v[64:65]
	v_add_f64 v[34:35], v[34:35], -v[208:209]
	ds_read2_b64 v[208:211], v220 offset0:88 offset1:89
	s_waitcnt lgkmcnt(1)
	v_mul_f64 v[64:65], v[226:227], v[66:67]
	v_fma_f64 v[64:65], v[224:225], v[218:219], -v[64:65]
	v_mul_f64 v[224:225], v[224:225], v[66:67]
	v_fmac_f64_e32 v[224:225], v[226:227], v[218:219]
	s_waitcnt vmcnt(8)
	v_add_f64 v[30:31], v[30:31], -v[224:225]
	ds_read2_b64 v[224:227], v220 offset0:90 offset1:91
	v_add_f64 v[28:29], v[28:29], -v[64:65]
	s_waitcnt lgkmcnt(1)
	v_mul_f64 v[64:65], v[210:211], v[66:67]
	v_fma_f64 v[64:65], v[208:209], v[218:219], -v[64:65]
	v_mul_f64 v[208:209], v[208:209], v[66:67]
	v_fmac_f64_e32 v[208:209], v[210:211], v[218:219]
	s_waitcnt vmcnt(7)
	v_add_f64 v[24:25], v[24:25], -v[64:65]
	v_add_f64 v[26:27], v[26:27], -v[208:209]
	ds_read2_b64 v[208:211], v220 offset0:92 offset1:93
	s_waitcnt lgkmcnt(1)
	v_mul_f64 v[64:65], v[226:227], v[66:67]
	v_fma_f64 v[64:65], v[224:225], v[218:219], -v[64:65]
	v_mul_f64 v[224:225], v[224:225], v[66:67]
	v_fmac_f64_e32 v[224:225], v[226:227], v[218:219]
	s_waitcnt vmcnt(6)
	v_add_f64 v[22:23], v[22:23], -v[224:225]
	ds_read2_b64 v[224:227], v220 offset0:94 offset1:95
	v_add_f64 v[20:21], v[20:21], -v[64:65]
	s_waitcnt lgkmcnt(1)
	v_mul_f64 v[64:65], v[210:211], v[66:67]
	v_fma_f64 v[64:65], v[208:209], v[218:219], -v[64:65]
	v_mul_f64 v[208:209], v[208:209], v[66:67]
	v_fmac_f64_e32 v[208:209], v[210:211], v[218:219]
	s_waitcnt vmcnt(5)
	v_add_f64 v[16:17], v[16:17], -v[64:65]
	v_add_f64 v[18:19], v[18:19], -v[208:209]
	ds_read2_b64 v[208:211], v220 offset0:96 offset1:97
	s_waitcnt lgkmcnt(1)
	v_mul_f64 v[64:65], v[226:227], v[66:67]
	v_fma_f64 v[64:65], v[224:225], v[218:219], -v[64:65]
	v_mul_f64 v[224:225], v[224:225], v[66:67]
	v_fmac_f64_e32 v[224:225], v[226:227], v[218:219]
	s_waitcnt vmcnt(4)
	v_add_f64 v[14:15], v[14:15], -v[224:225]
	ds_read2_b64 v[224:227], v220 offset0:98 offset1:99
	v_add_f64 v[12:13], v[12:13], -v[64:65]
	s_waitcnt lgkmcnt(1)
	v_mul_f64 v[64:65], v[210:211], v[66:67]
	v_fma_f64 v[64:65], v[208:209], v[218:219], -v[64:65]
	v_mul_f64 v[208:209], v[208:209], v[66:67]
	v_fmac_f64_e32 v[208:209], v[210:211], v[218:219]
	s_waitcnt vmcnt(3)
	v_add_f64 v[8:9], v[8:9], -v[64:65]
	v_add_f64 v[10:11], v[10:11], -v[208:209]
	ds_read2_b64 v[208:211], v220 offset0:100 offset1:101
	s_waitcnt lgkmcnt(1)
	v_mul_f64 v[64:65], v[226:227], v[66:67]
	v_fma_f64 v[64:65], v[224:225], v[218:219], -v[64:65]
	v_mul_f64 v[224:225], v[224:225], v[66:67]
	v_fmac_f64_e32 v[224:225], v[226:227], v[218:219]
	s_waitcnt vmcnt(2)
	v_add_f64 v[6:7], v[6:7], -v[224:225]
	ds_read2_b64 v[224:227], v220 offset0:102 offset1:103
	v_add_f64 v[4:5], v[4:5], -v[64:65]
	s_waitcnt lgkmcnt(1)
	v_mul_f64 v[64:65], v[210:211], v[66:67]
	v_fma_f64 v[64:65], v[208:209], v[218:219], -v[64:65]
	v_mul_f64 v[208:209], v[208:209], v[66:67]
	v_fmac_f64_e32 v[208:209], v[210:211], v[218:219]
	s_waitcnt vmcnt(1)
	v_add_f64 v[0:1], v[0:1], -v[64:65]
	v_add_f64 v[2:3], v[2:3], -v[208:209]
	s_waitcnt lgkmcnt(0)
	v_mul_f64 v[64:65], v[226:227], v[66:67]
	v_mul_f64 v[208:209], v[224:225], v[66:67]
	v_fma_f64 v[64:65], v[224:225], v[218:219], -v[64:65]
	v_fmac_f64_e32 v[208:209], v[226:227], v[218:219]
	s_waitcnt vmcnt(0)
	v_add_f64 v[204:205], v[204:205], -v[64:65]
	v_add_f64 v[206:207], v[206:207], -v[208:209]
	v_mov_b64_e32 v[64:65], v[218:219]
.LBB102_734:
	s_or_b64 exec, exec, s[0:1]
	v_lshl_add_u32 v208, v221, 4, v220
	s_barrier
	s_waitcnt vmcnt(16)
	ds_write2_b64 v208, v[60:61], v[62:63] offset1:1
	s_waitcnt lgkmcnt(0)
	s_barrier
	ds_read2_b64 v[208:211], v220 offset0:70 offset1:71
	s_cmp_lt_i32 s20, 37
	v_mov_b32_e32 v218, 35
	s_cbranch_scc1 .LBB102_737
; %bb.735:
	v_add_u32_e32 v219, 0x240, v220
	s_mov_b32 s16, 36
	v_mov_b32_e32 v218, 35
.LBB102_736:                            ; =>This Inner Loop Header: Depth=1
	ds_read2_b64 v[224:227], v219 offset1:1
	s_waitcnt lgkmcnt(1)
	v_xor_b32_e32 v229, 0x80000000, v209
	v_xor_b32_e32 v231, 0x80000000, v211
	v_cmp_gt_f64_e32 vcc, 0, v[210:211]
	v_cmp_gt_f64_e64 s[0:1], 0, v[208:209]
	v_mov_b32_e32 v228, v208
	v_mov_b32_e32 v230, v210
	v_cndmask_b32_e64 v229, v209, v229, s[0:1]
	v_cndmask_b32_e32 v231, v211, v231, vcc
	v_add_f64 v[228:229], v[228:229], v[230:231]
	s_waitcnt lgkmcnt(0)
	v_xor_b32_e32 v231, 0x80000000, v225
	v_xor_b32_e32 v233, 0x80000000, v227
	v_cmp_gt_f64_e32 vcc, 0, v[226:227]
	v_cmp_gt_f64_e64 s[0:1], 0, v[224:225]
	v_mov_b32_e32 v230, v224
	v_mov_b32_e32 v232, v226
	v_cndmask_b32_e64 v231, v225, v231, s[0:1]
	v_cndmask_b32_e32 v233, v227, v233, vcc
	v_add_f64 v[230:231], v[230:231], v[232:233]
	v_mov_b32_e32 v234, s16
	s_add_i32 s16, s16, 1
	v_cmp_lt_f64_e32 vcc, v[228:229], v[230:231]
	v_add_u32_e32 v219, 16, v219
	s_cmp_lg_u32 s20, s16
	v_cndmask_b32_e32 v209, v209, v225, vcc
	v_cndmask_b32_e32 v208, v208, v224, vcc
	v_cndmask_b32_e32 v211, v211, v227, vcc
	v_cndmask_b32_e32 v210, v210, v226, vcc
	v_cndmask_b32_e32 v218, v218, v234, vcc
	s_cbranch_scc1 .LBB102_736
.LBB102_737:
	s_waitcnt lgkmcnt(0)
	v_cmp_eq_f64_e32 vcc, 0, v[208:209]
	v_cmp_eq_f64_e64 s[0:1], 0, v[210:211]
	s_and_b64 s[0:1], vcc, s[0:1]
	s_and_saveexec_b64 s[16:17], s[0:1]
	s_xor_b64 s[0:1], exec, s[16:17]
; %bb.738:
	v_cmp_ne_u32_e32 vcc, 0, v222
	s_nop 1
	v_cndmask_b32_e32 v222, 36, v222, vcc
; %bb.739:
	s_andn2_saveexec_b64 s[0:1], s[0:1]
	s_cbranch_execz .LBB102_745
; %bb.740:
	v_cmp_ngt_f64_e64 s[16:17], |v[208:209]|, |v[210:211]|
	s_and_saveexec_b64 s[18:19], s[16:17]
	s_xor_b64 s[16:17], exec, s[18:19]
	s_cbranch_execz .LBB102_742
; %bb.741:
	v_div_scale_f64 v[224:225], s[18:19], v[210:211], v[210:211], v[208:209]
	v_rcp_f64_e32 v[226:227], v[224:225]
	v_div_scale_f64 v[228:229], vcc, v[208:209], v[210:211], v[208:209]
	v_fma_f64 v[230:231], -v[224:225], v[226:227], 1.0
	v_fmac_f64_e32 v[226:227], v[226:227], v[230:231]
	v_fma_f64 v[230:231], -v[224:225], v[226:227], 1.0
	v_fmac_f64_e32 v[226:227], v[226:227], v[230:231]
	v_mul_f64 v[230:231], v[228:229], v[226:227]
	v_fma_f64 v[224:225], -v[224:225], v[230:231], v[228:229]
	v_div_fmas_f64 v[224:225], v[224:225], v[226:227], v[230:231]
	v_div_fixup_f64 v[224:225], v[224:225], v[210:211], v[208:209]
	v_fmac_f64_e32 v[210:211], v[208:209], v[224:225]
	v_div_scale_f64 v[208:209], s[18:19], v[210:211], v[210:211], 1.0
	v_rcp_f64_e32 v[226:227], v[208:209]
	s_nop 0
	v_fma_f64 v[228:229], -v[208:209], v[226:227], 1.0
	v_fmac_f64_e32 v[226:227], v[226:227], v[228:229]
	v_fma_f64 v[228:229], -v[208:209], v[226:227], 1.0
	v_fmac_f64_e32 v[226:227], v[226:227], v[228:229]
	v_div_scale_f64 v[228:229], vcc, 1.0, v[210:211], 1.0
	v_mul_f64 v[230:231], v[228:229], v[226:227]
	v_fma_f64 v[208:209], -v[208:209], v[230:231], v[228:229]
	s_nop 1
	v_div_fmas_f64 v[208:209], v[208:209], v[226:227], v[230:231]
	v_div_fixup_f64 v[210:211], v[208:209], v[210:211], 1.0
	v_mul_f64 v[208:209], v[224:225], v[210:211]
	v_xor_b32_e32 v211, 0x80000000, v211
.LBB102_742:
	s_andn2_saveexec_b64 s[16:17], s[16:17]
	s_cbranch_execz .LBB102_744
; %bb.743:
	v_div_scale_f64 v[224:225], s[18:19], v[208:209], v[208:209], v[210:211]
	v_rcp_f64_e32 v[226:227], v[224:225]
	v_div_scale_f64 v[228:229], vcc, v[210:211], v[208:209], v[210:211]
	v_fma_f64 v[230:231], -v[224:225], v[226:227], 1.0
	v_fmac_f64_e32 v[226:227], v[226:227], v[230:231]
	v_fma_f64 v[230:231], -v[224:225], v[226:227], 1.0
	v_fmac_f64_e32 v[226:227], v[226:227], v[230:231]
	v_mul_f64 v[230:231], v[228:229], v[226:227]
	v_fma_f64 v[224:225], -v[224:225], v[230:231], v[228:229]
	v_div_fmas_f64 v[224:225], v[224:225], v[226:227], v[230:231]
	v_div_fixup_f64 v[224:225], v[224:225], v[208:209], v[210:211]
	v_fmac_f64_e32 v[208:209], v[210:211], v[224:225]
	v_div_scale_f64 v[210:211], s[18:19], v[208:209], v[208:209], 1.0
	v_rcp_f64_e32 v[226:227], v[210:211]
	s_nop 0
	v_fma_f64 v[228:229], -v[210:211], v[226:227], 1.0
	v_fmac_f64_e32 v[226:227], v[226:227], v[228:229]
	v_fma_f64 v[228:229], -v[210:211], v[226:227], 1.0
	v_fmac_f64_e32 v[226:227], v[226:227], v[228:229]
	v_div_scale_f64 v[228:229], vcc, 1.0, v[208:209], 1.0
	v_mul_f64 v[230:231], v[228:229], v[226:227]
	v_fma_f64 v[210:211], -v[210:211], v[230:231], v[228:229]
	s_nop 1
	v_div_fmas_f64 v[210:211], v[210:211], v[226:227], v[230:231]
	v_div_fixup_f64 v[208:209], v[210:211], v[208:209], 1.0
	v_mul_f64 v[210:211], v[224:225], -v[208:209]
.LBB102_744:
	s_or_b64 exec, exec, s[16:17]
.LBB102_745:
	s_or_b64 exec, exec, s[0:1]
	v_cmp_ne_u32_e32 vcc, v221, v218
	s_and_saveexec_b64 s[0:1], vcc
	s_xor_b64 s[0:1], exec, s[0:1]
	s_cbranch_execz .LBB102_751
; %bb.746:
	v_cmp_eq_u32_e32 vcc, 35, v221
	s_and_saveexec_b64 s[16:17], vcc
	s_cbranch_execz .LBB102_750
; %bb.747:
	v_cmp_ne_u32_e32 vcc, 35, v218
	s_xor_b64 s[18:19], s[14:15], -1
	s_and_b64 s[22:23], s[18:19], vcc
	s_and_saveexec_b64 s[18:19], s[22:23]
	s_cbranch_execz .LBB102_749
; %bb.748:
	v_ashrrev_i32_e32 v219, 31, v218
	v_lshl_add_u64 v[224:225], v[218:219], 2, v[216:217]
	global_load_dword v219, v[224:225], off
	global_load_dword v221, v[216:217], off offset:140
	s_waitcnt vmcnt(1)
	global_store_dword v[216:217], v219, off offset:140
	s_waitcnt vmcnt(1)
	global_store_dword v[224:225], v221, off
.LBB102_749:
	s_or_b64 exec, exec, s[18:19]
	v_mov_b32_e32 v221, v218
	v_mov_b32_e32 v223, v218
.LBB102_750:
	s_or_b64 exec, exec, s[16:17]
.LBB102_751:
	s_andn2_saveexec_b64 s[0:1], s[0:1]
	s_cbranch_execz .LBB102_753
; %bb.752:
	v_mov_b32_e32 v221, 35
	s_waitcnt vmcnt(15)
	ds_write2_b64 v220, v[56:57], v[58:59] offset0:72 offset1:73
	s_waitcnt vmcnt(14)
	ds_write2_b64 v220, v[52:53], v[54:55] offset0:74 offset1:75
	;; [unrolled: 2-line block ×16, first 2 shown]
.LBB102_753:
	s_or_b64 exec, exec, s[0:1]
	v_cmp_lt_i32_e32 vcc, 35, v221
	s_waitcnt lgkmcnt(0)
	s_barrier
	s_and_saveexec_b64 s[0:1], vcc
	s_cbranch_execz .LBB102_755
; %bb.754:
	ds_read2_b64 v[224:227], v220 offset0:72 offset1:73
	v_mul_f64 v[218:219], v[208:209], v[62:63]
	v_mul_f64 v[62:63], v[210:211], v[62:63]
	v_fmac_f64_e32 v[218:219], v[210:211], v[60:61]
	v_fma_f64 v[60:61], v[208:209], v[60:61], -v[62:63]
	ds_read2_b64 v[208:211], v220 offset0:74 offset1:75
	s_waitcnt lgkmcnt(1)
	v_mul_f64 v[62:63], v[226:227], v[218:219]
	v_fma_f64 v[62:63], v[224:225], v[60:61], -v[62:63]
	v_mul_f64 v[224:225], v[224:225], v[218:219]
	v_fmac_f64_e32 v[224:225], v[226:227], v[60:61]
	s_waitcnt vmcnt(15)
	v_add_f64 v[56:57], v[56:57], -v[62:63]
	s_waitcnt lgkmcnt(0)
	v_mul_f64 v[62:63], v[210:211], v[218:219]
	v_add_f64 v[58:59], v[58:59], -v[224:225]
	v_fma_f64 v[62:63], v[208:209], v[60:61], -v[62:63]
	v_mul_f64 v[208:209], v[208:209], v[218:219]
	ds_read2_b64 v[224:227], v220 offset0:76 offset1:77
	v_fmac_f64_e32 v[208:209], v[210:211], v[60:61]
	s_waitcnt vmcnt(14)
	v_add_f64 v[54:55], v[54:55], -v[208:209]
	ds_read2_b64 v[208:211], v220 offset0:78 offset1:79
	v_add_f64 v[52:53], v[52:53], -v[62:63]
	s_waitcnt lgkmcnt(1)
	v_mul_f64 v[62:63], v[226:227], v[218:219]
	v_fma_f64 v[62:63], v[224:225], v[60:61], -v[62:63]
	v_mul_f64 v[224:225], v[224:225], v[218:219]
	v_fmac_f64_e32 v[224:225], v[226:227], v[60:61]
	s_waitcnt vmcnt(13)
	v_add_f64 v[48:49], v[48:49], -v[62:63]
	s_waitcnt lgkmcnt(0)
	v_mul_f64 v[62:63], v[210:211], v[218:219]
	v_add_f64 v[50:51], v[50:51], -v[224:225]
	v_fma_f64 v[62:63], v[208:209], v[60:61], -v[62:63]
	v_mul_f64 v[208:209], v[208:209], v[218:219]
	ds_read2_b64 v[224:227], v220 offset0:80 offset1:81
	v_fmac_f64_e32 v[208:209], v[210:211], v[60:61]
	s_waitcnt vmcnt(12)
	v_add_f64 v[46:47], v[46:47], -v[208:209]
	ds_read2_b64 v[208:211], v220 offset0:82 offset1:83
	v_add_f64 v[44:45], v[44:45], -v[62:63]
	;; [unrolled: 18-line block ×7, first 2 shown]
	s_waitcnt lgkmcnt(1)
	v_mul_f64 v[62:63], v[226:227], v[218:219]
	v_fma_f64 v[62:63], v[224:225], v[60:61], -v[62:63]
	s_waitcnt vmcnt(1)
	v_add_f64 v[0:1], v[0:1], -v[62:63]
	s_waitcnt lgkmcnt(0)
	v_mul_f64 v[62:63], v[210:211], v[218:219]
	v_mul_f64 v[224:225], v[224:225], v[218:219]
	v_fma_f64 v[62:63], v[208:209], v[60:61], -v[62:63]
	v_mul_f64 v[208:209], v[208:209], v[218:219]
	v_fmac_f64_e32 v[224:225], v[226:227], v[60:61]
	v_fmac_f64_e32 v[208:209], v[210:211], v[60:61]
	v_add_f64 v[2:3], v[2:3], -v[224:225]
	s_waitcnt vmcnt(0)
	v_add_f64 v[204:205], v[204:205], -v[62:63]
	v_add_f64 v[206:207], v[206:207], -v[208:209]
	v_mov_b64_e32 v[62:63], v[218:219]
.LBB102_755:
	s_or_b64 exec, exec, s[0:1]
	v_lshl_add_u32 v208, v221, 4, v220
	s_barrier
	s_waitcnt vmcnt(15)
	ds_write2_b64 v208, v[56:57], v[58:59] offset1:1
	s_waitcnt lgkmcnt(0)
	s_barrier
	ds_read2_b64 v[208:211], v220 offset0:72 offset1:73
	s_cmp_lt_i32 s20, 38
	v_mov_b32_e32 v218, 36
	s_cbranch_scc1 .LBB102_758
; %bb.756:
	v_add_u32_e32 v219, 0x250, v220
	s_mov_b32 s16, 37
	v_mov_b32_e32 v218, 36
.LBB102_757:                            ; =>This Inner Loop Header: Depth=1
	ds_read2_b64 v[224:227], v219 offset1:1
	s_waitcnt lgkmcnt(1)
	v_xor_b32_e32 v229, 0x80000000, v209
	v_xor_b32_e32 v231, 0x80000000, v211
	v_cmp_gt_f64_e32 vcc, 0, v[210:211]
	v_cmp_gt_f64_e64 s[0:1], 0, v[208:209]
	v_mov_b32_e32 v228, v208
	v_mov_b32_e32 v230, v210
	v_cndmask_b32_e64 v229, v209, v229, s[0:1]
	v_cndmask_b32_e32 v231, v211, v231, vcc
	v_add_f64 v[228:229], v[228:229], v[230:231]
	s_waitcnt lgkmcnt(0)
	v_xor_b32_e32 v231, 0x80000000, v225
	v_xor_b32_e32 v233, 0x80000000, v227
	v_cmp_gt_f64_e32 vcc, 0, v[226:227]
	v_cmp_gt_f64_e64 s[0:1], 0, v[224:225]
	v_mov_b32_e32 v230, v224
	v_mov_b32_e32 v232, v226
	v_cndmask_b32_e64 v231, v225, v231, s[0:1]
	v_cndmask_b32_e32 v233, v227, v233, vcc
	v_add_f64 v[230:231], v[230:231], v[232:233]
	v_mov_b32_e32 v234, s16
	s_add_i32 s16, s16, 1
	v_cmp_lt_f64_e32 vcc, v[228:229], v[230:231]
	v_add_u32_e32 v219, 16, v219
	s_cmp_lg_u32 s20, s16
	v_cndmask_b32_e32 v209, v209, v225, vcc
	v_cndmask_b32_e32 v208, v208, v224, vcc
	;; [unrolled: 1-line block ×5, first 2 shown]
	s_cbranch_scc1 .LBB102_757
.LBB102_758:
	s_waitcnt lgkmcnt(0)
	v_cmp_eq_f64_e32 vcc, 0, v[208:209]
	v_cmp_eq_f64_e64 s[0:1], 0, v[210:211]
	s_and_b64 s[0:1], vcc, s[0:1]
	s_and_saveexec_b64 s[16:17], s[0:1]
	s_xor_b64 s[0:1], exec, s[16:17]
; %bb.759:
	v_cmp_ne_u32_e32 vcc, 0, v222
	s_nop 1
	v_cndmask_b32_e32 v222, 37, v222, vcc
; %bb.760:
	s_andn2_saveexec_b64 s[0:1], s[0:1]
	s_cbranch_execz .LBB102_766
; %bb.761:
	v_cmp_ngt_f64_e64 s[16:17], |v[208:209]|, |v[210:211]|
	s_and_saveexec_b64 s[18:19], s[16:17]
	s_xor_b64 s[16:17], exec, s[18:19]
	s_cbranch_execz .LBB102_763
; %bb.762:
	v_div_scale_f64 v[224:225], s[18:19], v[210:211], v[210:211], v[208:209]
	v_rcp_f64_e32 v[226:227], v[224:225]
	v_div_scale_f64 v[228:229], vcc, v[208:209], v[210:211], v[208:209]
	v_fma_f64 v[230:231], -v[224:225], v[226:227], 1.0
	v_fmac_f64_e32 v[226:227], v[226:227], v[230:231]
	v_fma_f64 v[230:231], -v[224:225], v[226:227], 1.0
	v_fmac_f64_e32 v[226:227], v[226:227], v[230:231]
	v_mul_f64 v[230:231], v[228:229], v[226:227]
	v_fma_f64 v[224:225], -v[224:225], v[230:231], v[228:229]
	v_div_fmas_f64 v[224:225], v[224:225], v[226:227], v[230:231]
	v_div_fixup_f64 v[224:225], v[224:225], v[210:211], v[208:209]
	v_fmac_f64_e32 v[210:211], v[208:209], v[224:225]
	v_div_scale_f64 v[208:209], s[18:19], v[210:211], v[210:211], 1.0
	v_rcp_f64_e32 v[226:227], v[208:209]
	s_nop 0
	v_fma_f64 v[228:229], -v[208:209], v[226:227], 1.0
	v_fmac_f64_e32 v[226:227], v[226:227], v[228:229]
	v_fma_f64 v[228:229], -v[208:209], v[226:227], 1.0
	v_fmac_f64_e32 v[226:227], v[226:227], v[228:229]
	v_div_scale_f64 v[228:229], vcc, 1.0, v[210:211], 1.0
	v_mul_f64 v[230:231], v[228:229], v[226:227]
	v_fma_f64 v[208:209], -v[208:209], v[230:231], v[228:229]
	s_nop 1
	v_div_fmas_f64 v[208:209], v[208:209], v[226:227], v[230:231]
	v_div_fixup_f64 v[210:211], v[208:209], v[210:211], 1.0
	v_mul_f64 v[208:209], v[224:225], v[210:211]
	v_xor_b32_e32 v211, 0x80000000, v211
.LBB102_763:
	s_andn2_saveexec_b64 s[16:17], s[16:17]
	s_cbranch_execz .LBB102_765
; %bb.764:
	v_div_scale_f64 v[224:225], s[18:19], v[208:209], v[208:209], v[210:211]
	v_rcp_f64_e32 v[226:227], v[224:225]
	v_div_scale_f64 v[228:229], vcc, v[210:211], v[208:209], v[210:211]
	v_fma_f64 v[230:231], -v[224:225], v[226:227], 1.0
	v_fmac_f64_e32 v[226:227], v[226:227], v[230:231]
	v_fma_f64 v[230:231], -v[224:225], v[226:227], 1.0
	v_fmac_f64_e32 v[226:227], v[226:227], v[230:231]
	v_mul_f64 v[230:231], v[228:229], v[226:227]
	v_fma_f64 v[224:225], -v[224:225], v[230:231], v[228:229]
	v_div_fmas_f64 v[224:225], v[224:225], v[226:227], v[230:231]
	v_div_fixup_f64 v[224:225], v[224:225], v[208:209], v[210:211]
	v_fmac_f64_e32 v[208:209], v[210:211], v[224:225]
	v_div_scale_f64 v[210:211], s[18:19], v[208:209], v[208:209], 1.0
	v_rcp_f64_e32 v[226:227], v[210:211]
	s_nop 0
	v_fma_f64 v[228:229], -v[210:211], v[226:227], 1.0
	v_fmac_f64_e32 v[226:227], v[226:227], v[228:229]
	v_fma_f64 v[228:229], -v[210:211], v[226:227], 1.0
	v_fmac_f64_e32 v[226:227], v[226:227], v[228:229]
	v_div_scale_f64 v[228:229], vcc, 1.0, v[208:209], 1.0
	v_mul_f64 v[230:231], v[228:229], v[226:227]
	v_fma_f64 v[210:211], -v[210:211], v[230:231], v[228:229]
	s_nop 1
	v_div_fmas_f64 v[210:211], v[210:211], v[226:227], v[230:231]
	v_div_fixup_f64 v[208:209], v[210:211], v[208:209], 1.0
	v_mul_f64 v[210:211], v[224:225], -v[208:209]
.LBB102_765:
	s_or_b64 exec, exec, s[16:17]
.LBB102_766:
	s_or_b64 exec, exec, s[0:1]
	v_cmp_ne_u32_e32 vcc, v221, v218
	s_and_saveexec_b64 s[0:1], vcc
	s_xor_b64 s[0:1], exec, s[0:1]
	s_cbranch_execz .LBB102_772
; %bb.767:
	v_cmp_eq_u32_e32 vcc, 36, v221
	s_and_saveexec_b64 s[16:17], vcc
	s_cbranch_execz .LBB102_771
; %bb.768:
	v_cmp_ne_u32_e32 vcc, 36, v218
	s_xor_b64 s[18:19], s[14:15], -1
	s_and_b64 s[22:23], s[18:19], vcc
	s_and_saveexec_b64 s[18:19], s[22:23]
	s_cbranch_execz .LBB102_770
; %bb.769:
	v_ashrrev_i32_e32 v219, 31, v218
	v_lshl_add_u64 v[224:225], v[218:219], 2, v[216:217]
	global_load_dword v219, v[224:225], off
	global_load_dword v221, v[216:217], off offset:144
	s_waitcnt vmcnt(1)
	global_store_dword v[216:217], v219, off offset:144
	s_waitcnt vmcnt(1)
	global_store_dword v[224:225], v221, off
.LBB102_770:
	s_or_b64 exec, exec, s[18:19]
	v_mov_b32_e32 v221, v218
	v_mov_b32_e32 v223, v218
.LBB102_771:
	s_or_b64 exec, exec, s[16:17]
.LBB102_772:
	s_andn2_saveexec_b64 s[0:1], s[0:1]
	s_cbranch_execz .LBB102_774
; %bb.773:
	v_mov_b32_e32 v221, 36
	s_waitcnt vmcnt(14)
	ds_write2_b64 v220, v[52:53], v[54:55] offset0:74 offset1:75
	s_waitcnt vmcnt(13)
	ds_write2_b64 v220, v[48:49], v[50:51] offset0:76 offset1:77
	;; [unrolled: 2-line block ×15, first 2 shown]
.LBB102_774:
	s_or_b64 exec, exec, s[0:1]
	v_cmp_lt_i32_e32 vcc, 36, v221
	s_waitcnt lgkmcnt(0)
	s_barrier
	s_and_saveexec_b64 s[0:1], vcc
	s_cbranch_execz .LBB102_776
; %bb.775:
	ds_read2_b64 v[224:227], v220 offset0:74 offset1:75
	v_mul_f64 v[218:219], v[208:209], v[58:59]
	v_fmac_f64_e32 v[218:219], v[210:211], v[56:57]
	v_mul_f64 v[58:59], v[210:211], v[58:59]
	v_fma_f64 v[56:57], v[208:209], v[56:57], -v[58:59]
	ds_read2_b64 v[208:211], v220 offset0:76 offset1:77
	s_waitcnt lgkmcnt(1)
	v_mul_f64 v[58:59], v[226:227], v[218:219]
	v_fma_f64 v[58:59], v[224:225], v[56:57], -v[58:59]
	v_mul_f64 v[224:225], v[224:225], v[218:219]
	v_fmac_f64_e32 v[224:225], v[226:227], v[56:57]
	s_waitcnt vmcnt(14)
	v_add_f64 v[54:55], v[54:55], -v[224:225]
	ds_read2_b64 v[224:227], v220 offset0:78 offset1:79
	v_add_f64 v[52:53], v[52:53], -v[58:59]
	s_waitcnt lgkmcnt(1)
	v_mul_f64 v[58:59], v[210:211], v[218:219]
	v_fma_f64 v[58:59], v[208:209], v[56:57], -v[58:59]
	v_mul_f64 v[208:209], v[208:209], v[218:219]
	v_fmac_f64_e32 v[208:209], v[210:211], v[56:57]
	s_waitcnt vmcnt(13)
	v_add_f64 v[48:49], v[48:49], -v[58:59]
	v_add_f64 v[50:51], v[50:51], -v[208:209]
	ds_read2_b64 v[208:211], v220 offset0:80 offset1:81
	s_waitcnt lgkmcnt(1)
	v_mul_f64 v[58:59], v[226:227], v[218:219]
	v_fma_f64 v[58:59], v[224:225], v[56:57], -v[58:59]
	v_mul_f64 v[224:225], v[224:225], v[218:219]
	v_fmac_f64_e32 v[224:225], v[226:227], v[56:57]
	s_waitcnt vmcnt(12)
	v_add_f64 v[46:47], v[46:47], -v[224:225]
	ds_read2_b64 v[224:227], v220 offset0:82 offset1:83
	v_add_f64 v[44:45], v[44:45], -v[58:59]
	s_waitcnt lgkmcnt(1)
	v_mul_f64 v[58:59], v[210:211], v[218:219]
	v_fma_f64 v[58:59], v[208:209], v[56:57], -v[58:59]
	v_mul_f64 v[208:209], v[208:209], v[218:219]
	v_fmac_f64_e32 v[208:209], v[210:211], v[56:57]
	s_waitcnt vmcnt(11)
	v_add_f64 v[40:41], v[40:41], -v[58:59]
	v_add_f64 v[42:43], v[42:43], -v[208:209]
	;; [unrolled: 18-line block ×7, first 2 shown]
	s_waitcnt lgkmcnt(0)
	v_mul_f64 v[58:59], v[226:227], v[218:219]
	v_mul_f64 v[208:209], v[224:225], v[218:219]
	v_fma_f64 v[58:59], v[224:225], v[56:57], -v[58:59]
	v_fmac_f64_e32 v[208:209], v[226:227], v[56:57]
	s_waitcnt vmcnt(0)
	v_add_f64 v[204:205], v[204:205], -v[58:59]
	v_add_f64 v[206:207], v[206:207], -v[208:209]
	v_mov_b64_e32 v[58:59], v[218:219]
.LBB102_776:
	s_or_b64 exec, exec, s[0:1]
	v_lshl_add_u32 v208, v221, 4, v220
	s_barrier
	s_waitcnt vmcnt(14)
	ds_write2_b64 v208, v[52:53], v[54:55] offset1:1
	s_waitcnt lgkmcnt(0)
	s_barrier
	ds_read2_b64 v[208:211], v220 offset0:74 offset1:75
	s_cmp_lt_i32 s20, 39
	v_mov_b32_e32 v218, 37
	s_cbranch_scc1 .LBB102_779
; %bb.777:
	v_add_u32_e32 v219, 0x260, v220
	s_mov_b32 s16, 38
	v_mov_b32_e32 v218, 37
.LBB102_778:                            ; =>This Inner Loop Header: Depth=1
	ds_read2_b64 v[224:227], v219 offset1:1
	s_waitcnt lgkmcnt(1)
	v_xor_b32_e32 v229, 0x80000000, v209
	v_xor_b32_e32 v231, 0x80000000, v211
	v_cmp_gt_f64_e32 vcc, 0, v[210:211]
	v_cmp_gt_f64_e64 s[0:1], 0, v[208:209]
	v_mov_b32_e32 v228, v208
	v_mov_b32_e32 v230, v210
	v_cndmask_b32_e64 v229, v209, v229, s[0:1]
	v_cndmask_b32_e32 v231, v211, v231, vcc
	v_add_f64 v[228:229], v[228:229], v[230:231]
	s_waitcnt lgkmcnt(0)
	v_xor_b32_e32 v231, 0x80000000, v225
	v_xor_b32_e32 v233, 0x80000000, v227
	v_cmp_gt_f64_e32 vcc, 0, v[226:227]
	v_cmp_gt_f64_e64 s[0:1], 0, v[224:225]
	v_mov_b32_e32 v230, v224
	v_mov_b32_e32 v232, v226
	v_cndmask_b32_e64 v231, v225, v231, s[0:1]
	v_cndmask_b32_e32 v233, v227, v233, vcc
	v_add_f64 v[230:231], v[230:231], v[232:233]
	v_mov_b32_e32 v234, s16
	s_add_i32 s16, s16, 1
	v_cmp_lt_f64_e32 vcc, v[228:229], v[230:231]
	v_add_u32_e32 v219, 16, v219
	s_cmp_lg_u32 s20, s16
	v_cndmask_b32_e32 v209, v209, v225, vcc
	v_cndmask_b32_e32 v208, v208, v224, vcc
	;; [unrolled: 1-line block ×5, first 2 shown]
	s_cbranch_scc1 .LBB102_778
.LBB102_779:
	s_waitcnt lgkmcnt(0)
	v_cmp_eq_f64_e32 vcc, 0, v[208:209]
	v_cmp_eq_f64_e64 s[0:1], 0, v[210:211]
	s_and_b64 s[0:1], vcc, s[0:1]
	s_and_saveexec_b64 s[16:17], s[0:1]
	s_xor_b64 s[0:1], exec, s[16:17]
; %bb.780:
	v_cmp_ne_u32_e32 vcc, 0, v222
	s_nop 1
	v_cndmask_b32_e32 v222, 38, v222, vcc
; %bb.781:
	s_andn2_saveexec_b64 s[0:1], s[0:1]
	s_cbranch_execz .LBB102_787
; %bb.782:
	v_cmp_ngt_f64_e64 s[16:17], |v[208:209]|, |v[210:211]|
	s_and_saveexec_b64 s[18:19], s[16:17]
	s_xor_b64 s[16:17], exec, s[18:19]
	s_cbranch_execz .LBB102_784
; %bb.783:
	v_div_scale_f64 v[224:225], s[18:19], v[210:211], v[210:211], v[208:209]
	v_rcp_f64_e32 v[226:227], v[224:225]
	v_div_scale_f64 v[228:229], vcc, v[208:209], v[210:211], v[208:209]
	v_fma_f64 v[230:231], -v[224:225], v[226:227], 1.0
	v_fmac_f64_e32 v[226:227], v[226:227], v[230:231]
	v_fma_f64 v[230:231], -v[224:225], v[226:227], 1.0
	v_fmac_f64_e32 v[226:227], v[226:227], v[230:231]
	v_mul_f64 v[230:231], v[228:229], v[226:227]
	v_fma_f64 v[224:225], -v[224:225], v[230:231], v[228:229]
	v_div_fmas_f64 v[224:225], v[224:225], v[226:227], v[230:231]
	v_div_fixup_f64 v[224:225], v[224:225], v[210:211], v[208:209]
	v_fmac_f64_e32 v[210:211], v[208:209], v[224:225]
	v_div_scale_f64 v[208:209], s[18:19], v[210:211], v[210:211], 1.0
	v_rcp_f64_e32 v[226:227], v[208:209]
	s_nop 0
	v_fma_f64 v[228:229], -v[208:209], v[226:227], 1.0
	v_fmac_f64_e32 v[226:227], v[226:227], v[228:229]
	v_fma_f64 v[228:229], -v[208:209], v[226:227], 1.0
	v_fmac_f64_e32 v[226:227], v[226:227], v[228:229]
	v_div_scale_f64 v[228:229], vcc, 1.0, v[210:211], 1.0
	v_mul_f64 v[230:231], v[228:229], v[226:227]
	v_fma_f64 v[208:209], -v[208:209], v[230:231], v[228:229]
	s_nop 1
	v_div_fmas_f64 v[208:209], v[208:209], v[226:227], v[230:231]
	v_div_fixup_f64 v[210:211], v[208:209], v[210:211], 1.0
	v_mul_f64 v[208:209], v[224:225], v[210:211]
	v_xor_b32_e32 v211, 0x80000000, v211
.LBB102_784:
	s_andn2_saveexec_b64 s[16:17], s[16:17]
	s_cbranch_execz .LBB102_786
; %bb.785:
	v_div_scale_f64 v[224:225], s[18:19], v[208:209], v[208:209], v[210:211]
	v_rcp_f64_e32 v[226:227], v[224:225]
	v_div_scale_f64 v[228:229], vcc, v[210:211], v[208:209], v[210:211]
	v_fma_f64 v[230:231], -v[224:225], v[226:227], 1.0
	v_fmac_f64_e32 v[226:227], v[226:227], v[230:231]
	v_fma_f64 v[230:231], -v[224:225], v[226:227], 1.0
	v_fmac_f64_e32 v[226:227], v[226:227], v[230:231]
	v_mul_f64 v[230:231], v[228:229], v[226:227]
	v_fma_f64 v[224:225], -v[224:225], v[230:231], v[228:229]
	v_div_fmas_f64 v[224:225], v[224:225], v[226:227], v[230:231]
	v_div_fixup_f64 v[224:225], v[224:225], v[208:209], v[210:211]
	v_fmac_f64_e32 v[208:209], v[210:211], v[224:225]
	v_div_scale_f64 v[210:211], s[18:19], v[208:209], v[208:209], 1.0
	v_rcp_f64_e32 v[226:227], v[210:211]
	s_nop 0
	v_fma_f64 v[228:229], -v[210:211], v[226:227], 1.0
	v_fmac_f64_e32 v[226:227], v[226:227], v[228:229]
	v_fma_f64 v[228:229], -v[210:211], v[226:227], 1.0
	v_fmac_f64_e32 v[226:227], v[226:227], v[228:229]
	v_div_scale_f64 v[228:229], vcc, 1.0, v[208:209], 1.0
	v_mul_f64 v[230:231], v[228:229], v[226:227]
	v_fma_f64 v[210:211], -v[210:211], v[230:231], v[228:229]
	s_nop 1
	v_div_fmas_f64 v[210:211], v[210:211], v[226:227], v[230:231]
	v_div_fixup_f64 v[208:209], v[210:211], v[208:209], 1.0
	v_mul_f64 v[210:211], v[224:225], -v[208:209]
.LBB102_786:
	s_or_b64 exec, exec, s[16:17]
.LBB102_787:
	s_or_b64 exec, exec, s[0:1]
	v_cmp_ne_u32_e32 vcc, v221, v218
	s_and_saveexec_b64 s[0:1], vcc
	s_xor_b64 s[0:1], exec, s[0:1]
	s_cbranch_execz .LBB102_793
; %bb.788:
	v_cmp_eq_u32_e32 vcc, 37, v221
	s_and_saveexec_b64 s[16:17], vcc
	s_cbranch_execz .LBB102_792
; %bb.789:
	v_cmp_ne_u32_e32 vcc, 37, v218
	s_xor_b64 s[18:19], s[14:15], -1
	s_and_b64 s[22:23], s[18:19], vcc
	s_and_saveexec_b64 s[18:19], s[22:23]
	s_cbranch_execz .LBB102_791
; %bb.790:
	v_ashrrev_i32_e32 v219, 31, v218
	v_lshl_add_u64 v[224:225], v[218:219], 2, v[216:217]
	global_load_dword v219, v[224:225], off
	global_load_dword v221, v[216:217], off offset:148
	s_waitcnt vmcnt(1)
	global_store_dword v[216:217], v219, off offset:148
	s_waitcnt vmcnt(1)
	global_store_dword v[224:225], v221, off
.LBB102_791:
	s_or_b64 exec, exec, s[18:19]
	v_mov_b32_e32 v221, v218
	v_mov_b32_e32 v223, v218
.LBB102_792:
	s_or_b64 exec, exec, s[16:17]
.LBB102_793:
	s_andn2_saveexec_b64 s[0:1], s[0:1]
	s_cbranch_execz .LBB102_795
; %bb.794:
	v_mov_b32_e32 v221, 37
	s_waitcnt vmcnt(13)
	ds_write2_b64 v220, v[48:49], v[50:51] offset0:76 offset1:77
	s_waitcnt vmcnt(12)
	ds_write2_b64 v220, v[44:45], v[46:47] offset0:78 offset1:79
	;; [unrolled: 2-line block ×14, first 2 shown]
.LBB102_795:
	s_or_b64 exec, exec, s[0:1]
	v_cmp_lt_i32_e32 vcc, 37, v221
	s_waitcnt lgkmcnt(0)
	s_barrier
	s_and_saveexec_b64 s[0:1], vcc
	s_cbranch_execz .LBB102_797
; %bb.796:
	ds_read2_b64 v[224:227], v220 offset0:76 offset1:77
	v_mul_f64 v[218:219], v[208:209], v[54:55]
	v_mul_f64 v[54:55], v[210:211], v[54:55]
	v_fmac_f64_e32 v[218:219], v[210:211], v[52:53]
	v_fma_f64 v[52:53], v[208:209], v[52:53], -v[54:55]
	ds_read2_b64 v[208:211], v220 offset0:78 offset1:79
	s_waitcnt lgkmcnt(1)
	v_mul_f64 v[54:55], v[226:227], v[218:219]
	v_fma_f64 v[54:55], v[224:225], v[52:53], -v[54:55]
	v_mul_f64 v[224:225], v[224:225], v[218:219]
	v_fmac_f64_e32 v[224:225], v[226:227], v[52:53]
	s_waitcnt vmcnt(13)
	v_add_f64 v[48:49], v[48:49], -v[54:55]
	s_waitcnt lgkmcnt(0)
	v_mul_f64 v[54:55], v[210:211], v[218:219]
	v_add_f64 v[50:51], v[50:51], -v[224:225]
	v_fma_f64 v[54:55], v[208:209], v[52:53], -v[54:55]
	v_mul_f64 v[208:209], v[208:209], v[218:219]
	ds_read2_b64 v[224:227], v220 offset0:80 offset1:81
	v_fmac_f64_e32 v[208:209], v[210:211], v[52:53]
	s_waitcnt vmcnt(12)
	v_add_f64 v[46:47], v[46:47], -v[208:209]
	ds_read2_b64 v[208:211], v220 offset0:82 offset1:83
	v_add_f64 v[44:45], v[44:45], -v[54:55]
	s_waitcnt lgkmcnt(1)
	v_mul_f64 v[54:55], v[226:227], v[218:219]
	v_fma_f64 v[54:55], v[224:225], v[52:53], -v[54:55]
	v_mul_f64 v[224:225], v[224:225], v[218:219]
	v_fmac_f64_e32 v[224:225], v[226:227], v[52:53]
	s_waitcnt vmcnt(11)
	v_add_f64 v[40:41], v[40:41], -v[54:55]
	s_waitcnt lgkmcnt(0)
	v_mul_f64 v[54:55], v[210:211], v[218:219]
	v_add_f64 v[42:43], v[42:43], -v[224:225]
	v_fma_f64 v[54:55], v[208:209], v[52:53], -v[54:55]
	v_mul_f64 v[208:209], v[208:209], v[218:219]
	ds_read2_b64 v[224:227], v220 offset0:84 offset1:85
	v_fmac_f64_e32 v[208:209], v[210:211], v[52:53]
	s_waitcnt vmcnt(10)
	v_add_f64 v[38:39], v[38:39], -v[208:209]
	ds_read2_b64 v[208:211], v220 offset0:86 offset1:87
	v_add_f64 v[36:37], v[36:37], -v[54:55]
	;; [unrolled: 18-line block ×6, first 2 shown]
	s_waitcnt lgkmcnt(1)
	v_mul_f64 v[54:55], v[226:227], v[218:219]
	v_fma_f64 v[54:55], v[224:225], v[52:53], -v[54:55]
	s_waitcnt vmcnt(1)
	v_add_f64 v[0:1], v[0:1], -v[54:55]
	s_waitcnt lgkmcnt(0)
	v_mul_f64 v[54:55], v[210:211], v[218:219]
	v_mul_f64 v[224:225], v[224:225], v[218:219]
	v_fma_f64 v[54:55], v[208:209], v[52:53], -v[54:55]
	v_mul_f64 v[208:209], v[208:209], v[218:219]
	v_fmac_f64_e32 v[224:225], v[226:227], v[52:53]
	v_fmac_f64_e32 v[208:209], v[210:211], v[52:53]
	v_add_f64 v[2:3], v[2:3], -v[224:225]
	s_waitcnt vmcnt(0)
	v_add_f64 v[204:205], v[204:205], -v[54:55]
	v_add_f64 v[206:207], v[206:207], -v[208:209]
	v_mov_b64_e32 v[54:55], v[218:219]
.LBB102_797:
	s_or_b64 exec, exec, s[0:1]
	v_lshl_add_u32 v208, v221, 4, v220
	s_barrier
	s_waitcnt vmcnt(13)
	ds_write2_b64 v208, v[48:49], v[50:51] offset1:1
	s_waitcnt lgkmcnt(0)
	s_barrier
	ds_read2_b64 v[208:211], v220 offset0:76 offset1:77
	s_cmp_lt_i32 s20, 40
	v_mov_b32_e32 v218, 38
	s_cbranch_scc1 .LBB102_800
; %bb.798:
	v_add_u32_e32 v219, 0x270, v220
	s_mov_b32 s16, 39
	v_mov_b32_e32 v218, 38
.LBB102_799:                            ; =>This Inner Loop Header: Depth=1
	ds_read2_b64 v[224:227], v219 offset1:1
	s_waitcnt lgkmcnt(1)
	v_xor_b32_e32 v229, 0x80000000, v209
	v_xor_b32_e32 v231, 0x80000000, v211
	v_cmp_gt_f64_e32 vcc, 0, v[210:211]
	v_cmp_gt_f64_e64 s[0:1], 0, v[208:209]
	v_mov_b32_e32 v228, v208
	v_mov_b32_e32 v230, v210
	v_cndmask_b32_e64 v229, v209, v229, s[0:1]
	v_cndmask_b32_e32 v231, v211, v231, vcc
	v_add_f64 v[228:229], v[228:229], v[230:231]
	s_waitcnt lgkmcnt(0)
	v_xor_b32_e32 v231, 0x80000000, v225
	v_xor_b32_e32 v233, 0x80000000, v227
	v_cmp_gt_f64_e32 vcc, 0, v[226:227]
	v_cmp_gt_f64_e64 s[0:1], 0, v[224:225]
	v_mov_b32_e32 v230, v224
	v_mov_b32_e32 v232, v226
	v_cndmask_b32_e64 v231, v225, v231, s[0:1]
	v_cndmask_b32_e32 v233, v227, v233, vcc
	v_add_f64 v[230:231], v[230:231], v[232:233]
	v_mov_b32_e32 v234, s16
	s_add_i32 s16, s16, 1
	v_cmp_lt_f64_e32 vcc, v[228:229], v[230:231]
	v_add_u32_e32 v219, 16, v219
	s_cmp_lg_u32 s20, s16
	v_cndmask_b32_e32 v209, v209, v225, vcc
	v_cndmask_b32_e32 v208, v208, v224, vcc
	;; [unrolled: 1-line block ×5, first 2 shown]
	s_cbranch_scc1 .LBB102_799
.LBB102_800:
	s_waitcnt lgkmcnt(0)
	v_cmp_eq_f64_e32 vcc, 0, v[208:209]
	v_cmp_eq_f64_e64 s[0:1], 0, v[210:211]
	s_and_b64 s[0:1], vcc, s[0:1]
	s_and_saveexec_b64 s[16:17], s[0:1]
	s_xor_b64 s[0:1], exec, s[16:17]
; %bb.801:
	v_cmp_ne_u32_e32 vcc, 0, v222
	s_nop 1
	v_cndmask_b32_e32 v222, 39, v222, vcc
; %bb.802:
	s_andn2_saveexec_b64 s[0:1], s[0:1]
	s_cbranch_execz .LBB102_808
; %bb.803:
	v_cmp_ngt_f64_e64 s[16:17], |v[208:209]|, |v[210:211]|
	s_and_saveexec_b64 s[18:19], s[16:17]
	s_xor_b64 s[16:17], exec, s[18:19]
	s_cbranch_execz .LBB102_805
; %bb.804:
	v_div_scale_f64 v[224:225], s[18:19], v[210:211], v[210:211], v[208:209]
	v_rcp_f64_e32 v[226:227], v[224:225]
	v_div_scale_f64 v[228:229], vcc, v[208:209], v[210:211], v[208:209]
	v_fma_f64 v[230:231], -v[224:225], v[226:227], 1.0
	v_fmac_f64_e32 v[226:227], v[226:227], v[230:231]
	v_fma_f64 v[230:231], -v[224:225], v[226:227], 1.0
	v_fmac_f64_e32 v[226:227], v[226:227], v[230:231]
	v_mul_f64 v[230:231], v[228:229], v[226:227]
	v_fma_f64 v[224:225], -v[224:225], v[230:231], v[228:229]
	v_div_fmas_f64 v[224:225], v[224:225], v[226:227], v[230:231]
	v_div_fixup_f64 v[224:225], v[224:225], v[210:211], v[208:209]
	v_fmac_f64_e32 v[210:211], v[208:209], v[224:225]
	v_div_scale_f64 v[208:209], s[18:19], v[210:211], v[210:211], 1.0
	v_rcp_f64_e32 v[226:227], v[208:209]
	s_nop 0
	v_fma_f64 v[228:229], -v[208:209], v[226:227], 1.0
	v_fmac_f64_e32 v[226:227], v[226:227], v[228:229]
	v_fma_f64 v[228:229], -v[208:209], v[226:227], 1.0
	v_fmac_f64_e32 v[226:227], v[226:227], v[228:229]
	v_div_scale_f64 v[228:229], vcc, 1.0, v[210:211], 1.0
	v_mul_f64 v[230:231], v[228:229], v[226:227]
	v_fma_f64 v[208:209], -v[208:209], v[230:231], v[228:229]
	s_nop 1
	v_div_fmas_f64 v[208:209], v[208:209], v[226:227], v[230:231]
	v_div_fixup_f64 v[210:211], v[208:209], v[210:211], 1.0
	v_mul_f64 v[208:209], v[224:225], v[210:211]
	v_xor_b32_e32 v211, 0x80000000, v211
.LBB102_805:
	s_andn2_saveexec_b64 s[16:17], s[16:17]
	s_cbranch_execz .LBB102_807
; %bb.806:
	v_div_scale_f64 v[224:225], s[18:19], v[208:209], v[208:209], v[210:211]
	v_rcp_f64_e32 v[226:227], v[224:225]
	v_div_scale_f64 v[228:229], vcc, v[210:211], v[208:209], v[210:211]
	v_fma_f64 v[230:231], -v[224:225], v[226:227], 1.0
	v_fmac_f64_e32 v[226:227], v[226:227], v[230:231]
	v_fma_f64 v[230:231], -v[224:225], v[226:227], 1.0
	v_fmac_f64_e32 v[226:227], v[226:227], v[230:231]
	v_mul_f64 v[230:231], v[228:229], v[226:227]
	v_fma_f64 v[224:225], -v[224:225], v[230:231], v[228:229]
	v_div_fmas_f64 v[224:225], v[224:225], v[226:227], v[230:231]
	v_div_fixup_f64 v[224:225], v[224:225], v[208:209], v[210:211]
	v_fmac_f64_e32 v[208:209], v[210:211], v[224:225]
	v_div_scale_f64 v[210:211], s[18:19], v[208:209], v[208:209], 1.0
	v_rcp_f64_e32 v[226:227], v[210:211]
	s_nop 0
	v_fma_f64 v[228:229], -v[210:211], v[226:227], 1.0
	v_fmac_f64_e32 v[226:227], v[226:227], v[228:229]
	v_fma_f64 v[228:229], -v[210:211], v[226:227], 1.0
	v_fmac_f64_e32 v[226:227], v[226:227], v[228:229]
	v_div_scale_f64 v[228:229], vcc, 1.0, v[208:209], 1.0
	v_mul_f64 v[230:231], v[228:229], v[226:227]
	v_fma_f64 v[210:211], -v[210:211], v[230:231], v[228:229]
	s_nop 1
	v_div_fmas_f64 v[210:211], v[210:211], v[226:227], v[230:231]
	v_div_fixup_f64 v[208:209], v[210:211], v[208:209], 1.0
	v_mul_f64 v[210:211], v[224:225], -v[208:209]
.LBB102_807:
	s_or_b64 exec, exec, s[16:17]
.LBB102_808:
	s_or_b64 exec, exec, s[0:1]
	v_cmp_ne_u32_e32 vcc, v221, v218
	s_and_saveexec_b64 s[0:1], vcc
	s_xor_b64 s[0:1], exec, s[0:1]
	s_cbranch_execz .LBB102_814
; %bb.809:
	v_cmp_eq_u32_e32 vcc, 38, v221
	s_and_saveexec_b64 s[16:17], vcc
	s_cbranch_execz .LBB102_813
; %bb.810:
	v_cmp_ne_u32_e32 vcc, 38, v218
	s_xor_b64 s[18:19], s[14:15], -1
	s_and_b64 s[22:23], s[18:19], vcc
	s_and_saveexec_b64 s[18:19], s[22:23]
	s_cbranch_execz .LBB102_812
; %bb.811:
	v_ashrrev_i32_e32 v219, 31, v218
	v_lshl_add_u64 v[224:225], v[218:219], 2, v[216:217]
	global_load_dword v219, v[224:225], off
	global_load_dword v221, v[216:217], off offset:152
	s_waitcnt vmcnt(1)
	global_store_dword v[216:217], v219, off offset:152
	s_waitcnt vmcnt(1)
	global_store_dword v[224:225], v221, off
.LBB102_812:
	s_or_b64 exec, exec, s[18:19]
	v_mov_b32_e32 v221, v218
	v_mov_b32_e32 v223, v218
.LBB102_813:
	s_or_b64 exec, exec, s[16:17]
.LBB102_814:
	s_andn2_saveexec_b64 s[0:1], s[0:1]
	s_cbranch_execz .LBB102_816
; %bb.815:
	v_mov_b32_e32 v221, 38
	s_waitcnt vmcnt(12)
	ds_write2_b64 v220, v[44:45], v[46:47] offset0:78 offset1:79
	s_waitcnt vmcnt(11)
	ds_write2_b64 v220, v[40:41], v[42:43] offset0:80 offset1:81
	;; [unrolled: 2-line block ×13, first 2 shown]
.LBB102_816:
	s_or_b64 exec, exec, s[0:1]
	v_cmp_lt_i32_e32 vcc, 38, v221
	s_waitcnt lgkmcnt(0)
	s_barrier
	s_and_saveexec_b64 s[0:1], vcc
	s_cbranch_execz .LBB102_818
; %bb.817:
	ds_read2_b64 v[224:227], v220 offset0:78 offset1:79
	v_mul_f64 v[218:219], v[208:209], v[50:51]
	v_fmac_f64_e32 v[218:219], v[210:211], v[48:49]
	v_mul_f64 v[50:51], v[210:211], v[50:51]
	v_fma_f64 v[48:49], v[208:209], v[48:49], -v[50:51]
	ds_read2_b64 v[208:211], v220 offset0:80 offset1:81
	s_waitcnt lgkmcnt(1)
	v_mul_f64 v[50:51], v[226:227], v[218:219]
	v_fma_f64 v[50:51], v[224:225], v[48:49], -v[50:51]
	v_mul_f64 v[224:225], v[224:225], v[218:219]
	v_fmac_f64_e32 v[224:225], v[226:227], v[48:49]
	s_waitcnt vmcnt(12)
	v_add_f64 v[46:47], v[46:47], -v[224:225]
	ds_read2_b64 v[224:227], v220 offset0:82 offset1:83
	v_add_f64 v[44:45], v[44:45], -v[50:51]
	s_waitcnt lgkmcnt(1)
	v_mul_f64 v[50:51], v[210:211], v[218:219]
	v_fma_f64 v[50:51], v[208:209], v[48:49], -v[50:51]
	v_mul_f64 v[208:209], v[208:209], v[218:219]
	v_fmac_f64_e32 v[208:209], v[210:211], v[48:49]
	s_waitcnt vmcnt(11)
	v_add_f64 v[40:41], v[40:41], -v[50:51]
	v_add_f64 v[42:43], v[42:43], -v[208:209]
	ds_read2_b64 v[208:211], v220 offset0:84 offset1:85
	s_waitcnt lgkmcnt(1)
	v_mul_f64 v[50:51], v[226:227], v[218:219]
	v_fma_f64 v[50:51], v[224:225], v[48:49], -v[50:51]
	v_mul_f64 v[224:225], v[224:225], v[218:219]
	v_fmac_f64_e32 v[224:225], v[226:227], v[48:49]
	s_waitcnt vmcnt(10)
	v_add_f64 v[38:39], v[38:39], -v[224:225]
	ds_read2_b64 v[224:227], v220 offset0:86 offset1:87
	v_add_f64 v[36:37], v[36:37], -v[50:51]
	s_waitcnt lgkmcnt(1)
	v_mul_f64 v[50:51], v[210:211], v[218:219]
	v_fma_f64 v[50:51], v[208:209], v[48:49], -v[50:51]
	v_mul_f64 v[208:209], v[208:209], v[218:219]
	v_fmac_f64_e32 v[208:209], v[210:211], v[48:49]
	s_waitcnt vmcnt(9)
	v_add_f64 v[32:33], v[32:33], -v[50:51]
	v_add_f64 v[34:35], v[34:35], -v[208:209]
	;; [unrolled: 18-line block ×6, first 2 shown]
	s_waitcnt lgkmcnt(0)
	v_mul_f64 v[50:51], v[226:227], v[218:219]
	v_mul_f64 v[208:209], v[224:225], v[218:219]
	v_fma_f64 v[50:51], v[224:225], v[48:49], -v[50:51]
	v_fmac_f64_e32 v[208:209], v[226:227], v[48:49]
	s_waitcnt vmcnt(0)
	v_add_f64 v[204:205], v[204:205], -v[50:51]
	v_add_f64 v[206:207], v[206:207], -v[208:209]
	v_mov_b64_e32 v[50:51], v[218:219]
.LBB102_818:
	s_or_b64 exec, exec, s[0:1]
	v_lshl_add_u32 v208, v221, 4, v220
	s_barrier
	s_waitcnt vmcnt(12)
	ds_write2_b64 v208, v[44:45], v[46:47] offset1:1
	s_waitcnt lgkmcnt(0)
	s_barrier
	ds_read2_b64 v[208:211], v220 offset0:78 offset1:79
	s_cmp_lt_i32 s20, 41
	v_mov_b32_e32 v218, 39
	s_cbranch_scc1 .LBB102_821
; %bb.819:
	v_add_u32_e32 v219, 0x280, v220
	s_mov_b32 s16, 40
	v_mov_b32_e32 v218, 39
.LBB102_820:                            ; =>This Inner Loop Header: Depth=1
	ds_read2_b64 v[224:227], v219 offset1:1
	s_waitcnt lgkmcnt(1)
	v_xor_b32_e32 v229, 0x80000000, v209
	v_xor_b32_e32 v231, 0x80000000, v211
	v_cmp_gt_f64_e32 vcc, 0, v[210:211]
	v_cmp_gt_f64_e64 s[0:1], 0, v[208:209]
	v_mov_b32_e32 v228, v208
	v_mov_b32_e32 v230, v210
	v_cndmask_b32_e64 v229, v209, v229, s[0:1]
	v_cndmask_b32_e32 v231, v211, v231, vcc
	v_add_f64 v[228:229], v[228:229], v[230:231]
	s_waitcnt lgkmcnt(0)
	v_xor_b32_e32 v231, 0x80000000, v225
	v_xor_b32_e32 v233, 0x80000000, v227
	v_cmp_gt_f64_e32 vcc, 0, v[226:227]
	v_cmp_gt_f64_e64 s[0:1], 0, v[224:225]
	v_mov_b32_e32 v230, v224
	v_mov_b32_e32 v232, v226
	v_cndmask_b32_e64 v231, v225, v231, s[0:1]
	v_cndmask_b32_e32 v233, v227, v233, vcc
	v_add_f64 v[230:231], v[230:231], v[232:233]
	v_mov_b32_e32 v234, s16
	s_add_i32 s16, s16, 1
	v_cmp_lt_f64_e32 vcc, v[228:229], v[230:231]
	v_add_u32_e32 v219, 16, v219
	s_cmp_lg_u32 s20, s16
	v_cndmask_b32_e32 v209, v209, v225, vcc
	v_cndmask_b32_e32 v208, v208, v224, vcc
	;; [unrolled: 1-line block ×5, first 2 shown]
	s_cbranch_scc1 .LBB102_820
.LBB102_821:
	s_waitcnt lgkmcnt(0)
	v_cmp_eq_f64_e32 vcc, 0, v[208:209]
	v_cmp_eq_f64_e64 s[0:1], 0, v[210:211]
	s_and_b64 s[0:1], vcc, s[0:1]
	s_and_saveexec_b64 s[16:17], s[0:1]
	s_xor_b64 s[0:1], exec, s[16:17]
; %bb.822:
	v_cmp_ne_u32_e32 vcc, 0, v222
	s_nop 1
	v_cndmask_b32_e32 v222, 40, v222, vcc
; %bb.823:
	s_andn2_saveexec_b64 s[0:1], s[0:1]
	s_cbranch_execz .LBB102_829
; %bb.824:
	v_cmp_ngt_f64_e64 s[16:17], |v[208:209]|, |v[210:211]|
	s_and_saveexec_b64 s[18:19], s[16:17]
	s_xor_b64 s[16:17], exec, s[18:19]
	s_cbranch_execz .LBB102_826
; %bb.825:
	v_div_scale_f64 v[224:225], s[18:19], v[210:211], v[210:211], v[208:209]
	v_rcp_f64_e32 v[226:227], v[224:225]
	v_div_scale_f64 v[228:229], vcc, v[208:209], v[210:211], v[208:209]
	v_fma_f64 v[230:231], -v[224:225], v[226:227], 1.0
	v_fmac_f64_e32 v[226:227], v[226:227], v[230:231]
	v_fma_f64 v[230:231], -v[224:225], v[226:227], 1.0
	v_fmac_f64_e32 v[226:227], v[226:227], v[230:231]
	v_mul_f64 v[230:231], v[228:229], v[226:227]
	v_fma_f64 v[224:225], -v[224:225], v[230:231], v[228:229]
	v_div_fmas_f64 v[224:225], v[224:225], v[226:227], v[230:231]
	v_div_fixup_f64 v[224:225], v[224:225], v[210:211], v[208:209]
	v_fmac_f64_e32 v[210:211], v[208:209], v[224:225]
	v_div_scale_f64 v[208:209], s[18:19], v[210:211], v[210:211], 1.0
	v_rcp_f64_e32 v[226:227], v[208:209]
	s_nop 0
	v_fma_f64 v[228:229], -v[208:209], v[226:227], 1.0
	v_fmac_f64_e32 v[226:227], v[226:227], v[228:229]
	v_fma_f64 v[228:229], -v[208:209], v[226:227], 1.0
	v_fmac_f64_e32 v[226:227], v[226:227], v[228:229]
	v_div_scale_f64 v[228:229], vcc, 1.0, v[210:211], 1.0
	v_mul_f64 v[230:231], v[228:229], v[226:227]
	v_fma_f64 v[208:209], -v[208:209], v[230:231], v[228:229]
	s_nop 1
	v_div_fmas_f64 v[208:209], v[208:209], v[226:227], v[230:231]
	v_div_fixup_f64 v[210:211], v[208:209], v[210:211], 1.0
	v_mul_f64 v[208:209], v[224:225], v[210:211]
	v_xor_b32_e32 v211, 0x80000000, v211
.LBB102_826:
	s_andn2_saveexec_b64 s[16:17], s[16:17]
	s_cbranch_execz .LBB102_828
; %bb.827:
	v_div_scale_f64 v[224:225], s[18:19], v[208:209], v[208:209], v[210:211]
	v_rcp_f64_e32 v[226:227], v[224:225]
	v_div_scale_f64 v[228:229], vcc, v[210:211], v[208:209], v[210:211]
	v_fma_f64 v[230:231], -v[224:225], v[226:227], 1.0
	v_fmac_f64_e32 v[226:227], v[226:227], v[230:231]
	v_fma_f64 v[230:231], -v[224:225], v[226:227], 1.0
	v_fmac_f64_e32 v[226:227], v[226:227], v[230:231]
	v_mul_f64 v[230:231], v[228:229], v[226:227]
	v_fma_f64 v[224:225], -v[224:225], v[230:231], v[228:229]
	v_div_fmas_f64 v[224:225], v[224:225], v[226:227], v[230:231]
	v_div_fixup_f64 v[224:225], v[224:225], v[208:209], v[210:211]
	v_fmac_f64_e32 v[208:209], v[210:211], v[224:225]
	v_div_scale_f64 v[210:211], s[18:19], v[208:209], v[208:209], 1.0
	v_rcp_f64_e32 v[226:227], v[210:211]
	s_nop 0
	v_fma_f64 v[228:229], -v[210:211], v[226:227], 1.0
	v_fmac_f64_e32 v[226:227], v[226:227], v[228:229]
	v_fma_f64 v[228:229], -v[210:211], v[226:227], 1.0
	v_fmac_f64_e32 v[226:227], v[226:227], v[228:229]
	v_div_scale_f64 v[228:229], vcc, 1.0, v[208:209], 1.0
	v_mul_f64 v[230:231], v[228:229], v[226:227]
	v_fma_f64 v[210:211], -v[210:211], v[230:231], v[228:229]
	s_nop 1
	v_div_fmas_f64 v[210:211], v[210:211], v[226:227], v[230:231]
	v_div_fixup_f64 v[208:209], v[210:211], v[208:209], 1.0
	v_mul_f64 v[210:211], v[224:225], -v[208:209]
.LBB102_828:
	s_or_b64 exec, exec, s[16:17]
.LBB102_829:
	s_or_b64 exec, exec, s[0:1]
	v_cmp_ne_u32_e32 vcc, v221, v218
	s_and_saveexec_b64 s[0:1], vcc
	s_xor_b64 s[0:1], exec, s[0:1]
	s_cbranch_execz .LBB102_835
; %bb.830:
	v_cmp_eq_u32_e32 vcc, 39, v221
	s_and_saveexec_b64 s[16:17], vcc
	s_cbranch_execz .LBB102_834
; %bb.831:
	v_cmp_ne_u32_e32 vcc, 39, v218
	s_xor_b64 s[18:19], s[14:15], -1
	s_and_b64 s[22:23], s[18:19], vcc
	s_and_saveexec_b64 s[18:19], s[22:23]
	s_cbranch_execz .LBB102_833
; %bb.832:
	v_ashrrev_i32_e32 v219, 31, v218
	v_lshl_add_u64 v[224:225], v[218:219], 2, v[216:217]
	global_load_dword v219, v[224:225], off
	global_load_dword v221, v[216:217], off offset:156
	s_waitcnt vmcnt(1)
	global_store_dword v[216:217], v219, off offset:156
	s_waitcnt vmcnt(1)
	global_store_dword v[224:225], v221, off
.LBB102_833:
	s_or_b64 exec, exec, s[18:19]
	v_mov_b32_e32 v221, v218
	v_mov_b32_e32 v223, v218
.LBB102_834:
	s_or_b64 exec, exec, s[16:17]
.LBB102_835:
	s_andn2_saveexec_b64 s[0:1], s[0:1]
	s_cbranch_execz .LBB102_837
; %bb.836:
	v_mov_b32_e32 v221, 39
	s_waitcnt vmcnt(11)
	ds_write2_b64 v220, v[40:41], v[42:43] offset0:80 offset1:81
	s_waitcnt vmcnt(10)
	ds_write2_b64 v220, v[36:37], v[38:39] offset0:82 offset1:83
	;; [unrolled: 2-line block ×12, first 2 shown]
.LBB102_837:
	s_or_b64 exec, exec, s[0:1]
	v_cmp_lt_i32_e32 vcc, 39, v221
	s_waitcnt lgkmcnt(0)
	s_barrier
	s_and_saveexec_b64 s[0:1], vcc
	s_cbranch_execz .LBB102_839
; %bb.838:
	ds_read2_b64 v[224:227], v220 offset0:80 offset1:81
	v_mul_f64 v[218:219], v[208:209], v[46:47]
	v_mul_f64 v[46:47], v[210:211], v[46:47]
	v_fmac_f64_e32 v[218:219], v[210:211], v[44:45]
	v_fma_f64 v[44:45], v[208:209], v[44:45], -v[46:47]
	ds_read2_b64 v[208:211], v220 offset0:82 offset1:83
	s_waitcnt lgkmcnt(1)
	v_mul_f64 v[46:47], v[226:227], v[218:219]
	v_fma_f64 v[46:47], v[224:225], v[44:45], -v[46:47]
	v_mul_f64 v[224:225], v[224:225], v[218:219]
	v_fmac_f64_e32 v[224:225], v[226:227], v[44:45]
	s_waitcnt vmcnt(11)
	v_add_f64 v[40:41], v[40:41], -v[46:47]
	s_waitcnt lgkmcnt(0)
	v_mul_f64 v[46:47], v[210:211], v[218:219]
	v_add_f64 v[42:43], v[42:43], -v[224:225]
	v_fma_f64 v[46:47], v[208:209], v[44:45], -v[46:47]
	v_mul_f64 v[208:209], v[208:209], v[218:219]
	ds_read2_b64 v[224:227], v220 offset0:84 offset1:85
	v_fmac_f64_e32 v[208:209], v[210:211], v[44:45]
	s_waitcnt vmcnt(10)
	v_add_f64 v[38:39], v[38:39], -v[208:209]
	ds_read2_b64 v[208:211], v220 offset0:86 offset1:87
	v_add_f64 v[36:37], v[36:37], -v[46:47]
	s_waitcnt lgkmcnt(1)
	v_mul_f64 v[46:47], v[226:227], v[218:219]
	v_fma_f64 v[46:47], v[224:225], v[44:45], -v[46:47]
	v_mul_f64 v[224:225], v[224:225], v[218:219]
	v_fmac_f64_e32 v[224:225], v[226:227], v[44:45]
	s_waitcnt vmcnt(9)
	v_add_f64 v[32:33], v[32:33], -v[46:47]
	s_waitcnt lgkmcnt(0)
	v_mul_f64 v[46:47], v[210:211], v[218:219]
	v_add_f64 v[34:35], v[34:35], -v[224:225]
	v_fma_f64 v[46:47], v[208:209], v[44:45], -v[46:47]
	v_mul_f64 v[208:209], v[208:209], v[218:219]
	ds_read2_b64 v[224:227], v220 offset0:88 offset1:89
	v_fmac_f64_e32 v[208:209], v[210:211], v[44:45]
	s_waitcnt vmcnt(8)
	v_add_f64 v[30:31], v[30:31], -v[208:209]
	ds_read2_b64 v[208:211], v220 offset0:90 offset1:91
	v_add_f64 v[28:29], v[28:29], -v[46:47]
	;; [unrolled: 18-line block ×5, first 2 shown]
	s_waitcnt lgkmcnt(1)
	v_mul_f64 v[46:47], v[226:227], v[218:219]
	v_fma_f64 v[46:47], v[224:225], v[44:45], -v[46:47]
	s_waitcnt vmcnt(1)
	v_add_f64 v[0:1], v[0:1], -v[46:47]
	s_waitcnt lgkmcnt(0)
	v_mul_f64 v[46:47], v[210:211], v[218:219]
	v_mul_f64 v[224:225], v[224:225], v[218:219]
	v_fma_f64 v[46:47], v[208:209], v[44:45], -v[46:47]
	v_mul_f64 v[208:209], v[208:209], v[218:219]
	v_fmac_f64_e32 v[224:225], v[226:227], v[44:45]
	v_fmac_f64_e32 v[208:209], v[210:211], v[44:45]
	v_add_f64 v[2:3], v[2:3], -v[224:225]
	s_waitcnt vmcnt(0)
	v_add_f64 v[204:205], v[204:205], -v[46:47]
	v_add_f64 v[206:207], v[206:207], -v[208:209]
	v_mov_b64_e32 v[46:47], v[218:219]
.LBB102_839:
	s_or_b64 exec, exec, s[0:1]
	v_lshl_add_u32 v208, v221, 4, v220
	s_barrier
	s_waitcnt vmcnt(11)
	ds_write2_b64 v208, v[40:41], v[42:43] offset1:1
	s_waitcnt lgkmcnt(0)
	s_barrier
	ds_read2_b64 v[208:211], v220 offset0:80 offset1:81
	s_cmp_lt_i32 s20, 42
	v_mov_b32_e32 v218, 40
	s_cbranch_scc1 .LBB102_842
; %bb.840:
	v_add_u32_e32 v219, 0x290, v220
	s_mov_b32 s16, 41
	v_mov_b32_e32 v218, 40
.LBB102_841:                            ; =>This Inner Loop Header: Depth=1
	ds_read2_b64 v[224:227], v219 offset1:1
	s_waitcnt lgkmcnt(1)
	v_xor_b32_e32 v229, 0x80000000, v209
	v_xor_b32_e32 v231, 0x80000000, v211
	v_cmp_gt_f64_e32 vcc, 0, v[210:211]
	v_cmp_gt_f64_e64 s[0:1], 0, v[208:209]
	v_mov_b32_e32 v228, v208
	v_mov_b32_e32 v230, v210
	v_cndmask_b32_e64 v229, v209, v229, s[0:1]
	v_cndmask_b32_e32 v231, v211, v231, vcc
	v_add_f64 v[228:229], v[228:229], v[230:231]
	s_waitcnt lgkmcnt(0)
	v_xor_b32_e32 v231, 0x80000000, v225
	v_xor_b32_e32 v233, 0x80000000, v227
	v_cmp_gt_f64_e32 vcc, 0, v[226:227]
	v_cmp_gt_f64_e64 s[0:1], 0, v[224:225]
	v_mov_b32_e32 v230, v224
	v_mov_b32_e32 v232, v226
	v_cndmask_b32_e64 v231, v225, v231, s[0:1]
	v_cndmask_b32_e32 v233, v227, v233, vcc
	v_add_f64 v[230:231], v[230:231], v[232:233]
	v_mov_b32_e32 v234, s16
	s_add_i32 s16, s16, 1
	v_cmp_lt_f64_e32 vcc, v[228:229], v[230:231]
	v_add_u32_e32 v219, 16, v219
	s_cmp_lg_u32 s20, s16
	v_cndmask_b32_e32 v209, v209, v225, vcc
	v_cndmask_b32_e32 v208, v208, v224, vcc
	;; [unrolled: 1-line block ×5, first 2 shown]
	s_cbranch_scc1 .LBB102_841
.LBB102_842:
	s_waitcnt lgkmcnt(0)
	v_cmp_eq_f64_e32 vcc, 0, v[208:209]
	v_cmp_eq_f64_e64 s[0:1], 0, v[210:211]
	s_and_b64 s[0:1], vcc, s[0:1]
	s_and_saveexec_b64 s[16:17], s[0:1]
	s_xor_b64 s[0:1], exec, s[16:17]
; %bb.843:
	v_cmp_ne_u32_e32 vcc, 0, v222
	s_nop 1
	v_cndmask_b32_e32 v222, 41, v222, vcc
; %bb.844:
	s_andn2_saveexec_b64 s[0:1], s[0:1]
	s_cbranch_execz .LBB102_850
; %bb.845:
	v_cmp_ngt_f64_e64 s[16:17], |v[208:209]|, |v[210:211]|
	s_and_saveexec_b64 s[18:19], s[16:17]
	s_xor_b64 s[16:17], exec, s[18:19]
	s_cbranch_execz .LBB102_847
; %bb.846:
	v_div_scale_f64 v[224:225], s[18:19], v[210:211], v[210:211], v[208:209]
	v_rcp_f64_e32 v[226:227], v[224:225]
	v_div_scale_f64 v[228:229], vcc, v[208:209], v[210:211], v[208:209]
	v_fma_f64 v[230:231], -v[224:225], v[226:227], 1.0
	v_fmac_f64_e32 v[226:227], v[226:227], v[230:231]
	v_fma_f64 v[230:231], -v[224:225], v[226:227], 1.0
	v_fmac_f64_e32 v[226:227], v[226:227], v[230:231]
	v_mul_f64 v[230:231], v[228:229], v[226:227]
	v_fma_f64 v[224:225], -v[224:225], v[230:231], v[228:229]
	v_div_fmas_f64 v[224:225], v[224:225], v[226:227], v[230:231]
	v_div_fixup_f64 v[224:225], v[224:225], v[210:211], v[208:209]
	v_fmac_f64_e32 v[210:211], v[208:209], v[224:225]
	v_div_scale_f64 v[208:209], s[18:19], v[210:211], v[210:211], 1.0
	v_rcp_f64_e32 v[226:227], v[208:209]
	s_nop 0
	v_fma_f64 v[228:229], -v[208:209], v[226:227], 1.0
	v_fmac_f64_e32 v[226:227], v[226:227], v[228:229]
	v_fma_f64 v[228:229], -v[208:209], v[226:227], 1.0
	v_fmac_f64_e32 v[226:227], v[226:227], v[228:229]
	v_div_scale_f64 v[228:229], vcc, 1.0, v[210:211], 1.0
	v_mul_f64 v[230:231], v[228:229], v[226:227]
	v_fma_f64 v[208:209], -v[208:209], v[230:231], v[228:229]
	s_nop 1
	v_div_fmas_f64 v[208:209], v[208:209], v[226:227], v[230:231]
	v_div_fixup_f64 v[210:211], v[208:209], v[210:211], 1.0
	v_mul_f64 v[208:209], v[224:225], v[210:211]
	v_xor_b32_e32 v211, 0x80000000, v211
.LBB102_847:
	s_andn2_saveexec_b64 s[16:17], s[16:17]
	s_cbranch_execz .LBB102_849
; %bb.848:
	v_div_scale_f64 v[224:225], s[18:19], v[208:209], v[208:209], v[210:211]
	v_rcp_f64_e32 v[226:227], v[224:225]
	v_div_scale_f64 v[228:229], vcc, v[210:211], v[208:209], v[210:211]
	v_fma_f64 v[230:231], -v[224:225], v[226:227], 1.0
	v_fmac_f64_e32 v[226:227], v[226:227], v[230:231]
	v_fma_f64 v[230:231], -v[224:225], v[226:227], 1.0
	v_fmac_f64_e32 v[226:227], v[226:227], v[230:231]
	v_mul_f64 v[230:231], v[228:229], v[226:227]
	v_fma_f64 v[224:225], -v[224:225], v[230:231], v[228:229]
	v_div_fmas_f64 v[224:225], v[224:225], v[226:227], v[230:231]
	v_div_fixup_f64 v[224:225], v[224:225], v[208:209], v[210:211]
	v_fmac_f64_e32 v[208:209], v[210:211], v[224:225]
	v_div_scale_f64 v[210:211], s[18:19], v[208:209], v[208:209], 1.0
	v_rcp_f64_e32 v[226:227], v[210:211]
	s_nop 0
	v_fma_f64 v[228:229], -v[210:211], v[226:227], 1.0
	v_fmac_f64_e32 v[226:227], v[226:227], v[228:229]
	v_fma_f64 v[228:229], -v[210:211], v[226:227], 1.0
	v_fmac_f64_e32 v[226:227], v[226:227], v[228:229]
	v_div_scale_f64 v[228:229], vcc, 1.0, v[208:209], 1.0
	v_mul_f64 v[230:231], v[228:229], v[226:227]
	v_fma_f64 v[210:211], -v[210:211], v[230:231], v[228:229]
	s_nop 1
	v_div_fmas_f64 v[210:211], v[210:211], v[226:227], v[230:231]
	v_div_fixup_f64 v[208:209], v[210:211], v[208:209], 1.0
	v_mul_f64 v[210:211], v[224:225], -v[208:209]
.LBB102_849:
	s_or_b64 exec, exec, s[16:17]
.LBB102_850:
	s_or_b64 exec, exec, s[0:1]
	v_cmp_ne_u32_e32 vcc, v221, v218
	s_and_saveexec_b64 s[0:1], vcc
	s_xor_b64 s[0:1], exec, s[0:1]
	s_cbranch_execz .LBB102_856
; %bb.851:
	v_cmp_eq_u32_e32 vcc, 40, v221
	s_and_saveexec_b64 s[16:17], vcc
	s_cbranch_execz .LBB102_855
; %bb.852:
	v_cmp_ne_u32_e32 vcc, 40, v218
	s_xor_b64 s[18:19], s[14:15], -1
	s_and_b64 s[22:23], s[18:19], vcc
	s_and_saveexec_b64 s[18:19], s[22:23]
	s_cbranch_execz .LBB102_854
; %bb.853:
	v_ashrrev_i32_e32 v219, 31, v218
	v_lshl_add_u64 v[224:225], v[218:219], 2, v[216:217]
	global_load_dword v219, v[224:225], off
	global_load_dword v221, v[216:217], off offset:160
	s_waitcnt vmcnt(1)
	global_store_dword v[216:217], v219, off offset:160
	s_waitcnt vmcnt(1)
	global_store_dword v[224:225], v221, off
.LBB102_854:
	s_or_b64 exec, exec, s[18:19]
	v_mov_b32_e32 v221, v218
	v_mov_b32_e32 v223, v218
.LBB102_855:
	s_or_b64 exec, exec, s[16:17]
.LBB102_856:
	s_andn2_saveexec_b64 s[0:1], s[0:1]
	s_cbranch_execz .LBB102_858
; %bb.857:
	v_mov_b32_e32 v221, 40
	s_waitcnt vmcnt(10)
	ds_write2_b64 v220, v[36:37], v[38:39] offset0:82 offset1:83
	s_waitcnt vmcnt(9)
	ds_write2_b64 v220, v[32:33], v[34:35] offset0:84 offset1:85
	;; [unrolled: 2-line block ×11, first 2 shown]
.LBB102_858:
	s_or_b64 exec, exec, s[0:1]
	v_cmp_lt_i32_e32 vcc, 40, v221
	s_waitcnt lgkmcnt(0)
	s_barrier
	s_and_saveexec_b64 s[0:1], vcc
	s_cbranch_execz .LBB102_860
; %bb.859:
	ds_read2_b64 v[224:227], v220 offset0:82 offset1:83
	v_mul_f64 v[218:219], v[208:209], v[42:43]
	v_fmac_f64_e32 v[218:219], v[210:211], v[40:41]
	v_mul_f64 v[42:43], v[210:211], v[42:43]
	v_fma_f64 v[40:41], v[208:209], v[40:41], -v[42:43]
	ds_read2_b64 v[208:211], v220 offset0:84 offset1:85
	s_waitcnt lgkmcnt(1)
	v_mul_f64 v[42:43], v[226:227], v[218:219]
	v_fma_f64 v[42:43], v[224:225], v[40:41], -v[42:43]
	v_mul_f64 v[224:225], v[224:225], v[218:219]
	v_fmac_f64_e32 v[224:225], v[226:227], v[40:41]
	s_waitcnt vmcnt(10)
	v_add_f64 v[38:39], v[38:39], -v[224:225]
	ds_read2_b64 v[224:227], v220 offset0:86 offset1:87
	v_add_f64 v[36:37], v[36:37], -v[42:43]
	s_waitcnt lgkmcnt(1)
	v_mul_f64 v[42:43], v[210:211], v[218:219]
	v_fma_f64 v[42:43], v[208:209], v[40:41], -v[42:43]
	v_mul_f64 v[208:209], v[208:209], v[218:219]
	v_fmac_f64_e32 v[208:209], v[210:211], v[40:41]
	s_waitcnt vmcnt(9)
	v_add_f64 v[32:33], v[32:33], -v[42:43]
	v_add_f64 v[34:35], v[34:35], -v[208:209]
	ds_read2_b64 v[208:211], v220 offset0:88 offset1:89
	s_waitcnt lgkmcnt(1)
	v_mul_f64 v[42:43], v[226:227], v[218:219]
	v_fma_f64 v[42:43], v[224:225], v[40:41], -v[42:43]
	v_mul_f64 v[224:225], v[224:225], v[218:219]
	v_fmac_f64_e32 v[224:225], v[226:227], v[40:41]
	s_waitcnt vmcnt(8)
	v_add_f64 v[30:31], v[30:31], -v[224:225]
	ds_read2_b64 v[224:227], v220 offset0:90 offset1:91
	v_add_f64 v[28:29], v[28:29], -v[42:43]
	s_waitcnt lgkmcnt(1)
	v_mul_f64 v[42:43], v[210:211], v[218:219]
	v_fma_f64 v[42:43], v[208:209], v[40:41], -v[42:43]
	v_mul_f64 v[208:209], v[208:209], v[218:219]
	v_fmac_f64_e32 v[208:209], v[210:211], v[40:41]
	s_waitcnt vmcnt(7)
	v_add_f64 v[24:25], v[24:25], -v[42:43]
	v_add_f64 v[26:27], v[26:27], -v[208:209]
	ds_read2_b64 v[208:211], v220 offset0:92 offset1:93
	s_waitcnt lgkmcnt(1)
	v_mul_f64 v[42:43], v[226:227], v[218:219]
	v_fma_f64 v[42:43], v[224:225], v[40:41], -v[42:43]
	v_mul_f64 v[224:225], v[224:225], v[218:219]
	v_fmac_f64_e32 v[224:225], v[226:227], v[40:41]
	s_waitcnt vmcnt(6)
	v_add_f64 v[22:23], v[22:23], -v[224:225]
	ds_read2_b64 v[224:227], v220 offset0:94 offset1:95
	v_add_f64 v[20:21], v[20:21], -v[42:43]
	s_waitcnt lgkmcnt(1)
	v_mul_f64 v[42:43], v[210:211], v[218:219]
	v_fma_f64 v[42:43], v[208:209], v[40:41], -v[42:43]
	v_mul_f64 v[208:209], v[208:209], v[218:219]
	v_fmac_f64_e32 v[208:209], v[210:211], v[40:41]
	s_waitcnt vmcnt(5)
	v_add_f64 v[16:17], v[16:17], -v[42:43]
	v_add_f64 v[18:19], v[18:19], -v[208:209]
	ds_read2_b64 v[208:211], v220 offset0:96 offset1:97
	s_waitcnt lgkmcnt(1)
	v_mul_f64 v[42:43], v[226:227], v[218:219]
	v_fma_f64 v[42:43], v[224:225], v[40:41], -v[42:43]
	v_mul_f64 v[224:225], v[224:225], v[218:219]
	v_fmac_f64_e32 v[224:225], v[226:227], v[40:41]
	s_waitcnt vmcnt(4)
	v_add_f64 v[14:15], v[14:15], -v[224:225]
	ds_read2_b64 v[224:227], v220 offset0:98 offset1:99
	v_add_f64 v[12:13], v[12:13], -v[42:43]
	s_waitcnt lgkmcnt(1)
	v_mul_f64 v[42:43], v[210:211], v[218:219]
	v_fma_f64 v[42:43], v[208:209], v[40:41], -v[42:43]
	v_mul_f64 v[208:209], v[208:209], v[218:219]
	v_fmac_f64_e32 v[208:209], v[210:211], v[40:41]
	s_waitcnt vmcnt(3)
	v_add_f64 v[8:9], v[8:9], -v[42:43]
	v_add_f64 v[10:11], v[10:11], -v[208:209]
	ds_read2_b64 v[208:211], v220 offset0:100 offset1:101
	s_waitcnt lgkmcnt(1)
	v_mul_f64 v[42:43], v[226:227], v[218:219]
	v_fma_f64 v[42:43], v[224:225], v[40:41], -v[42:43]
	v_mul_f64 v[224:225], v[224:225], v[218:219]
	v_fmac_f64_e32 v[224:225], v[226:227], v[40:41]
	s_waitcnt vmcnt(2)
	v_add_f64 v[6:7], v[6:7], -v[224:225]
	ds_read2_b64 v[224:227], v220 offset0:102 offset1:103
	v_add_f64 v[4:5], v[4:5], -v[42:43]
	s_waitcnt lgkmcnt(1)
	v_mul_f64 v[42:43], v[210:211], v[218:219]
	v_fma_f64 v[42:43], v[208:209], v[40:41], -v[42:43]
	v_mul_f64 v[208:209], v[208:209], v[218:219]
	v_fmac_f64_e32 v[208:209], v[210:211], v[40:41]
	s_waitcnt vmcnt(1)
	v_add_f64 v[0:1], v[0:1], -v[42:43]
	v_add_f64 v[2:3], v[2:3], -v[208:209]
	s_waitcnt lgkmcnt(0)
	v_mul_f64 v[42:43], v[226:227], v[218:219]
	v_mul_f64 v[208:209], v[224:225], v[218:219]
	v_fma_f64 v[42:43], v[224:225], v[40:41], -v[42:43]
	v_fmac_f64_e32 v[208:209], v[226:227], v[40:41]
	s_waitcnt vmcnt(0)
	v_add_f64 v[204:205], v[204:205], -v[42:43]
	v_add_f64 v[206:207], v[206:207], -v[208:209]
	v_mov_b64_e32 v[42:43], v[218:219]
.LBB102_860:
	s_or_b64 exec, exec, s[0:1]
	v_lshl_add_u32 v208, v221, 4, v220
	s_barrier
	s_waitcnt vmcnt(10)
	ds_write2_b64 v208, v[36:37], v[38:39] offset1:1
	s_waitcnt lgkmcnt(0)
	s_barrier
	ds_read2_b64 v[208:211], v220 offset0:82 offset1:83
	s_cmp_lt_i32 s20, 43
	v_mov_b32_e32 v218, 41
	s_cbranch_scc1 .LBB102_863
; %bb.861:
	v_add_u32_e32 v219, 0x2a0, v220
	s_mov_b32 s16, 42
	v_mov_b32_e32 v218, 41
.LBB102_862:                            ; =>This Inner Loop Header: Depth=1
	ds_read2_b64 v[224:227], v219 offset1:1
	s_waitcnt lgkmcnt(1)
	v_xor_b32_e32 v229, 0x80000000, v209
	v_xor_b32_e32 v231, 0x80000000, v211
	v_cmp_gt_f64_e32 vcc, 0, v[210:211]
	v_cmp_gt_f64_e64 s[0:1], 0, v[208:209]
	v_mov_b32_e32 v228, v208
	v_mov_b32_e32 v230, v210
	v_cndmask_b32_e64 v229, v209, v229, s[0:1]
	v_cndmask_b32_e32 v231, v211, v231, vcc
	v_add_f64 v[228:229], v[228:229], v[230:231]
	s_waitcnt lgkmcnt(0)
	v_xor_b32_e32 v231, 0x80000000, v225
	v_xor_b32_e32 v233, 0x80000000, v227
	v_cmp_gt_f64_e32 vcc, 0, v[226:227]
	v_cmp_gt_f64_e64 s[0:1], 0, v[224:225]
	v_mov_b32_e32 v230, v224
	v_mov_b32_e32 v232, v226
	v_cndmask_b32_e64 v231, v225, v231, s[0:1]
	v_cndmask_b32_e32 v233, v227, v233, vcc
	v_add_f64 v[230:231], v[230:231], v[232:233]
	v_mov_b32_e32 v234, s16
	s_add_i32 s16, s16, 1
	v_cmp_lt_f64_e32 vcc, v[228:229], v[230:231]
	v_add_u32_e32 v219, 16, v219
	s_cmp_lg_u32 s20, s16
	v_cndmask_b32_e32 v209, v209, v225, vcc
	v_cndmask_b32_e32 v208, v208, v224, vcc
	;; [unrolled: 1-line block ×5, first 2 shown]
	s_cbranch_scc1 .LBB102_862
.LBB102_863:
	s_waitcnt lgkmcnt(0)
	v_cmp_eq_f64_e32 vcc, 0, v[208:209]
	v_cmp_eq_f64_e64 s[0:1], 0, v[210:211]
	s_and_b64 s[0:1], vcc, s[0:1]
	s_and_saveexec_b64 s[16:17], s[0:1]
	s_xor_b64 s[0:1], exec, s[16:17]
; %bb.864:
	v_cmp_ne_u32_e32 vcc, 0, v222
	s_nop 1
	v_cndmask_b32_e32 v222, 42, v222, vcc
; %bb.865:
	s_andn2_saveexec_b64 s[0:1], s[0:1]
	s_cbranch_execz .LBB102_871
; %bb.866:
	v_cmp_ngt_f64_e64 s[16:17], |v[208:209]|, |v[210:211]|
	s_and_saveexec_b64 s[18:19], s[16:17]
	s_xor_b64 s[16:17], exec, s[18:19]
	s_cbranch_execz .LBB102_868
; %bb.867:
	v_div_scale_f64 v[224:225], s[18:19], v[210:211], v[210:211], v[208:209]
	v_rcp_f64_e32 v[226:227], v[224:225]
	v_div_scale_f64 v[228:229], vcc, v[208:209], v[210:211], v[208:209]
	v_fma_f64 v[230:231], -v[224:225], v[226:227], 1.0
	v_fmac_f64_e32 v[226:227], v[226:227], v[230:231]
	v_fma_f64 v[230:231], -v[224:225], v[226:227], 1.0
	v_fmac_f64_e32 v[226:227], v[226:227], v[230:231]
	v_mul_f64 v[230:231], v[228:229], v[226:227]
	v_fma_f64 v[224:225], -v[224:225], v[230:231], v[228:229]
	v_div_fmas_f64 v[224:225], v[224:225], v[226:227], v[230:231]
	v_div_fixup_f64 v[224:225], v[224:225], v[210:211], v[208:209]
	v_fmac_f64_e32 v[210:211], v[208:209], v[224:225]
	v_div_scale_f64 v[208:209], s[18:19], v[210:211], v[210:211], 1.0
	v_rcp_f64_e32 v[226:227], v[208:209]
	s_nop 0
	v_fma_f64 v[228:229], -v[208:209], v[226:227], 1.0
	v_fmac_f64_e32 v[226:227], v[226:227], v[228:229]
	v_fma_f64 v[228:229], -v[208:209], v[226:227], 1.0
	v_fmac_f64_e32 v[226:227], v[226:227], v[228:229]
	v_div_scale_f64 v[228:229], vcc, 1.0, v[210:211], 1.0
	v_mul_f64 v[230:231], v[228:229], v[226:227]
	v_fma_f64 v[208:209], -v[208:209], v[230:231], v[228:229]
	s_nop 1
	v_div_fmas_f64 v[208:209], v[208:209], v[226:227], v[230:231]
	v_div_fixup_f64 v[210:211], v[208:209], v[210:211], 1.0
	v_mul_f64 v[208:209], v[224:225], v[210:211]
	v_xor_b32_e32 v211, 0x80000000, v211
.LBB102_868:
	s_andn2_saveexec_b64 s[16:17], s[16:17]
	s_cbranch_execz .LBB102_870
; %bb.869:
	v_div_scale_f64 v[224:225], s[18:19], v[208:209], v[208:209], v[210:211]
	v_rcp_f64_e32 v[226:227], v[224:225]
	v_div_scale_f64 v[228:229], vcc, v[210:211], v[208:209], v[210:211]
	v_fma_f64 v[230:231], -v[224:225], v[226:227], 1.0
	v_fmac_f64_e32 v[226:227], v[226:227], v[230:231]
	v_fma_f64 v[230:231], -v[224:225], v[226:227], 1.0
	v_fmac_f64_e32 v[226:227], v[226:227], v[230:231]
	v_mul_f64 v[230:231], v[228:229], v[226:227]
	v_fma_f64 v[224:225], -v[224:225], v[230:231], v[228:229]
	v_div_fmas_f64 v[224:225], v[224:225], v[226:227], v[230:231]
	v_div_fixup_f64 v[224:225], v[224:225], v[208:209], v[210:211]
	v_fmac_f64_e32 v[208:209], v[210:211], v[224:225]
	v_div_scale_f64 v[210:211], s[18:19], v[208:209], v[208:209], 1.0
	v_rcp_f64_e32 v[226:227], v[210:211]
	s_nop 0
	v_fma_f64 v[228:229], -v[210:211], v[226:227], 1.0
	v_fmac_f64_e32 v[226:227], v[226:227], v[228:229]
	v_fma_f64 v[228:229], -v[210:211], v[226:227], 1.0
	v_fmac_f64_e32 v[226:227], v[226:227], v[228:229]
	v_div_scale_f64 v[228:229], vcc, 1.0, v[208:209], 1.0
	v_mul_f64 v[230:231], v[228:229], v[226:227]
	v_fma_f64 v[210:211], -v[210:211], v[230:231], v[228:229]
	s_nop 1
	v_div_fmas_f64 v[210:211], v[210:211], v[226:227], v[230:231]
	v_div_fixup_f64 v[208:209], v[210:211], v[208:209], 1.0
	v_mul_f64 v[210:211], v[224:225], -v[208:209]
.LBB102_870:
	s_or_b64 exec, exec, s[16:17]
.LBB102_871:
	s_or_b64 exec, exec, s[0:1]
	v_cmp_ne_u32_e32 vcc, v221, v218
	s_and_saveexec_b64 s[0:1], vcc
	s_xor_b64 s[0:1], exec, s[0:1]
	s_cbranch_execz .LBB102_877
; %bb.872:
	v_cmp_eq_u32_e32 vcc, 41, v221
	s_and_saveexec_b64 s[16:17], vcc
	s_cbranch_execz .LBB102_876
; %bb.873:
	v_cmp_ne_u32_e32 vcc, 41, v218
	s_xor_b64 s[18:19], s[14:15], -1
	s_and_b64 s[22:23], s[18:19], vcc
	s_and_saveexec_b64 s[18:19], s[22:23]
	s_cbranch_execz .LBB102_875
; %bb.874:
	v_ashrrev_i32_e32 v219, 31, v218
	v_lshl_add_u64 v[224:225], v[218:219], 2, v[216:217]
	global_load_dword v219, v[224:225], off
	global_load_dword v221, v[216:217], off offset:164
	s_waitcnt vmcnt(1)
	global_store_dword v[216:217], v219, off offset:164
	s_waitcnt vmcnt(1)
	global_store_dword v[224:225], v221, off
.LBB102_875:
	s_or_b64 exec, exec, s[18:19]
	v_mov_b32_e32 v221, v218
	v_mov_b32_e32 v223, v218
.LBB102_876:
	s_or_b64 exec, exec, s[16:17]
.LBB102_877:
	s_andn2_saveexec_b64 s[0:1], s[0:1]
	s_cbranch_execz .LBB102_879
; %bb.878:
	v_mov_b32_e32 v221, 41
	s_waitcnt vmcnt(9)
	ds_write2_b64 v220, v[32:33], v[34:35] offset0:84 offset1:85
	s_waitcnt vmcnt(8)
	ds_write2_b64 v220, v[28:29], v[30:31] offset0:86 offset1:87
	;; [unrolled: 2-line block ×10, first 2 shown]
.LBB102_879:
	s_or_b64 exec, exec, s[0:1]
	v_cmp_lt_i32_e32 vcc, 41, v221
	s_waitcnt lgkmcnt(0)
	s_barrier
	s_and_saveexec_b64 s[0:1], vcc
	s_cbranch_execz .LBB102_881
; %bb.880:
	ds_read2_b64 v[224:227], v220 offset0:84 offset1:85
	v_mul_f64 v[218:219], v[208:209], v[38:39]
	v_mul_f64 v[38:39], v[210:211], v[38:39]
	v_fmac_f64_e32 v[218:219], v[210:211], v[36:37]
	v_fma_f64 v[36:37], v[208:209], v[36:37], -v[38:39]
	ds_read2_b64 v[208:211], v220 offset0:86 offset1:87
	s_waitcnt lgkmcnt(1)
	v_mul_f64 v[38:39], v[226:227], v[218:219]
	v_fma_f64 v[38:39], v[224:225], v[36:37], -v[38:39]
	v_mul_f64 v[224:225], v[224:225], v[218:219]
	v_fmac_f64_e32 v[224:225], v[226:227], v[36:37]
	s_waitcnt vmcnt(9)
	v_add_f64 v[32:33], v[32:33], -v[38:39]
	s_waitcnt lgkmcnt(0)
	v_mul_f64 v[38:39], v[210:211], v[218:219]
	v_add_f64 v[34:35], v[34:35], -v[224:225]
	v_fma_f64 v[38:39], v[208:209], v[36:37], -v[38:39]
	v_mul_f64 v[208:209], v[208:209], v[218:219]
	ds_read2_b64 v[224:227], v220 offset0:88 offset1:89
	v_fmac_f64_e32 v[208:209], v[210:211], v[36:37]
	s_waitcnt vmcnt(8)
	v_add_f64 v[30:31], v[30:31], -v[208:209]
	ds_read2_b64 v[208:211], v220 offset0:90 offset1:91
	v_add_f64 v[28:29], v[28:29], -v[38:39]
	s_waitcnt lgkmcnt(1)
	v_mul_f64 v[38:39], v[226:227], v[218:219]
	v_fma_f64 v[38:39], v[224:225], v[36:37], -v[38:39]
	v_mul_f64 v[224:225], v[224:225], v[218:219]
	v_fmac_f64_e32 v[224:225], v[226:227], v[36:37]
	s_waitcnt vmcnt(7)
	v_add_f64 v[24:25], v[24:25], -v[38:39]
	s_waitcnt lgkmcnt(0)
	v_mul_f64 v[38:39], v[210:211], v[218:219]
	v_add_f64 v[26:27], v[26:27], -v[224:225]
	v_fma_f64 v[38:39], v[208:209], v[36:37], -v[38:39]
	v_mul_f64 v[208:209], v[208:209], v[218:219]
	ds_read2_b64 v[224:227], v220 offset0:92 offset1:93
	v_fmac_f64_e32 v[208:209], v[210:211], v[36:37]
	s_waitcnt vmcnt(6)
	v_add_f64 v[22:23], v[22:23], -v[208:209]
	ds_read2_b64 v[208:211], v220 offset0:94 offset1:95
	v_add_f64 v[20:21], v[20:21], -v[38:39]
	;; [unrolled: 18-line block ×4, first 2 shown]
	s_waitcnt lgkmcnt(1)
	v_mul_f64 v[38:39], v[226:227], v[218:219]
	v_fma_f64 v[38:39], v[224:225], v[36:37], -v[38:39]
	s_waitcnt vmcnt(1)
	v_add_f64 v[0:1], v[0:1], -v[38:39]
	s_waitcnt lgkmcnt(0)
	v_mul_f64 v[38:39], v[210:211], v[218:219]
	v_mul_f64 v[224:225], v[224:225], v[218:219]
	v_fma_f64 v[38:39], v[208:209], v[36:37], -v[38:39]
	v_mul_f64 v[208:209], v[208:209], v[218:219]
	v_fmac_f64_e32 v[224:225], v[226:227], v[36:37]
	v_fmac_f64_e32 v[208:209], v[210:211], v[36:37]
	v_add_f64 v[2:3], v[2:3], -v[224:225]
	s_waitcnt vmcnt(0)
	v_add_f64 v[204:205], v[204:205], -v[38:39]
	v_add_f64 v[206:207], v[206:207], -v[208:209]
	v_mov_b64_e32 v[38:39], v[218:219]
.LBB102_881:
	s_or_b64 exec, exec, s[0:1]
	v_lshl_add_u32 v208, v221, 4, v220
	s_barrier
	s_waitcnt vmcnt(9)
	ds_write2_b64 v208, v[32:33], v[34:35] offset1:1
	s_waitcnt lgkmcnt(0)
	s_barrier
	ds_read2_b64 v[208:211], v220 offset0:84 offset1:85
	s_cmp_lt_i32 s20, 44
	v_mov_b32_e32 v218, 42
	s_cbranch_scc1 .LBB102_884
; %bb.882:
	v_add_u32_e32 v219, 0x2b0, v220
	s_mov_b32 s16, 43
	v_mov_b32_e32 v218, 42
.LBB102_883:                            ; =>This Inner Loop Header: Depth=1
	ds_read2_b64 v[224:227], v219 offset1:1
	s_waitcnt lgkmcnt(1)
	v_xor_b32_e32 v229, 0x80000000, v209
	v_xor_b32_e32 v231, 0x80000000, v211
	v_cmp_gt_f64_e32 vcc, 0, v[210:211]
	v_cmp_gt_f64_e64 s[0:1], 0, v[208:209]
	v_mov_b32_e32 v228, v208
	v_mov_b32_e32 v230, v210
	v_cndmask_b32_e64 v229, v209, v229, s[0:1]
	v_cndmask_b32_e32 v231, v211, v231, vcc
	v_add_f64 v[228:229], v[228:229], v[230:231]
	s_waitcnt lgkmcnt(0)
	v_xor_b32_e32 v231, 0x80000000, v225
	v_xor_b32_e32 v233, 0x80000000, v227
	v_cmp_gt_f64_e32 vcc, 0, v[226:227]
	v_cmp_gt_f64_e64 s[0:1], 0, v[224:225]
	v_mov_b32_e32 v230, v224
	v_mov_b32_e32 v232, v226
	v_cndmask_b32_e64 v231, v225, v231, s[0:1]
	v_cndmask_b32_e32 v233, v227, v233, vcc
	v_add_f64 v[230:231], v[230:231], v[232:233]
	v_mov_b32_e32 v234, s16
	s_add_i32 s16, s16, 1
	v_cmp_lt_f64_e32 vcc, v[228:229], v[230:231]
	v_add_u32_e32 v219, 16, v219
	s_cmp_lg_u32 s20, s16
	v_cndmask_b32_e32 v209, v209, v225, vcc
	v_cndmask_b32_e32 v208, v208, v224, vcc
	;; [unrolled: 1-line block ×5, first 2 shown]
	s_cbranch_scc1 .LBB102_883
.LBB102_884:
	s_waitcnt lgkmcnt(0)
	v_cmp_eq_f64_e32 vcc, 0, v[208:209]
	v_cmp_eq_f64_e64 s[0:1], 0, v[210:211]
	s_and_b64 s[0:1], vcc, s[0:1]
	s_and_saveexec_b64 s[16:17], s[0:1]
	s_xor_b64 s[0:1], exec, s[16:17]
; %bb.885:
	v_cmp_ne_u32_e32 vcc, 0, v222
	s_nop 1
	v_cndmask_b32_e32 v222, 43, v222, vcc
; %bb.886:
	s_andn2_saveexec_b64 s[0:1], s[0:1]
	s_cbranch_execz .LBB102_892
; %bb.887:
	v_cmp_ngt_f64_e64 s[16:17], |v[208:209]|, |v[210:211]|
	s_and_saveexec_b64 s[18:19], s[16:17]
	s_xor_b64 s[16:17], exec, s[18:19]
	s_cbranch_execz .LBB102_889
; %bb.888:
	v_div_scale_f64 v[224:225], s[18:19], v[210:211], v[210:211], v[208:209]
	v_rcp_f64_e32 v[226:227], v[224:225]
	v_div_scale_f64 v[228:229], vcc, v[208:209], v[210:211], v[208:209]
	v_fma_f64 v[230:231], -v[224:225], v[226:227], 1.0
	v_fmac_f64_e32 v[226:227], v[226:227], v[230:231]
	v_fma_f64 v[230:231], -v[224:225], v[226:227], 1.0
	v_fmac_f64_e32 v[226:227], v[226:227], v[230:231]
	v_mul_f64 v[230:231], v[228:229], v[226:227]
	v_fma_f64 v[224:225], -v[224:225], v[230:231], v[228:229]
	v_div_fmas_f64 v[224:225], v[224:225], v[226:227], v[230:231]
	v_div_fixup_f64 v[224:225], v[224:225], v[210:211], v[208:209]
	v_fmac_f64_e32 v[210:211], v[208:209], v[224:225]
	v_div_scale_f64 v[208:209], s[18:19], v[210:211], v[210:211], 1.0
	v_rcp_f64_e32 v[226:227], v[208:209]
	s_nop 0
	v_fma_f64 v[228:229], -v[208:209], v[226:227], 1.0
	v_fmac_f64_e32 v[226:227], v[226:227], v[228:229]
	v_fma_f64 v[228:229], -v[208:209], v[226:227], 1.0
	v_fmac_f64_e32 v[226:227], v[226:227], v[228:229]
	v_div_scale_f64 v[228:229], vcc, 1.0, v[210:211], 1.0
	v_mul_f64 v[230:231], v[228:229], v[226:227]
	v_fma_f64 v[208:209], -v[208:209], v[230:231], v[228:229]
	s_nop 1
	v_div_fmas_f64 v[208:209], v[208:209], v[226:227], v[230:231]
	v_div_fixup_f64 v[210:211], v[208:209], v[210:211], 1.0
	v_mul_f64 v[208:209], v[224:225], v[210:211]
	v_xor_b32_e32 v211, 0x80000000, v211
.LBB102_889:
	s_andn2_saveexec_b64 s[16:17], s[16:17]
	s_cbranch_execz .LBB102_891
; %bb.890:
	v_div_scale_f64 v[224:225], s[18:19], v[208:209], v[208:209], v[210:211]
	v_rcp_f64_e32 v[226:227], v[224:225]
	v_div_scale_f64 v[228:229], vcc, v[210:211], v[208:209], v[210:211]
	v_fma_f64 v[230:231], -v[224:225], v[226:227], 1.0
	v_fmac_f64_e32 v[226:227], v[226:227], v[230:231]
	v_fma_f64 v[230:231], -v[224:225], v[226:227], 1.0
	v_fmac_f64_e32 v[226:227], v[226:227], v[230:231]
	v_mul_f64 v[230:231], v[228:229], v[226:227]
	v_fma_f64 v[224:225], -v[224:225], v[230:231], v[228:229]
	v_div_fmas_f64 v[224:225], v[224:225], v[226:227], v[230:231]
	v_div_fixup_f64 v[224:225], v[224:225], v[208:209], v[210:211]
	v_fmac_f64_e32 v[208:209], v[210:211], v[224:225]
	v_div_scale_f64 v[210:211], s[18:19], v[208:209], v[208:209], 1.0
	v_rcp_f64_e32 v[226:227], v[210:211]
	s_nop 0
	v_fma_f64 v[228:229], -v[210:211], v[226:227], 1.0
	v_fmac_f64_e32 v[226:227], v[226:227], v[228:229]
	v_fma_f64 v[228:229], -v[210:211], v[226:227], 1.0
	v_fmac_f64_e32 v[226:227], v[226:227], v[228:229]
	v_div_scale_f64 v[228:229], vcc, 1.0, v[208:209], 1.0
	v_mul_f64 v[230:231], v[228:229], v[226:227]
	v_fma_f64 v[210:211], -v[210:211], v[230:231], v[228:229]
	s_nop 1
	v_div_fmas_f64 v[210:211], v[210:211], v[226:227], v[230:231]
	v_div_fixup_f64 v[208:209], v[210:211], v[208:209], 1.0
	v_mul_f64 v[210:211], v[224:225], -v[208:209]
.LBB102_891:
	s_or_b64 exec, exec, s[16:17]
.LBB102_892:
	s_or_b64 exec, exec, s[0:1]
	v_cmp_ne_u32_e32 vcc, v221, v218
	s_and_saveexec_b64 s[0:1], vcc
	s_xor_b64 s[0:1], exec, s[0:1]
	s_cbranch_execz .LBB102_898
; %bb.893:
	v_cmp_eq_u32_e32 vcc, 42, v221
	s_and_saveexec_b64 s[16:17], vcc
	s_cbranch_execz .LBB102_897
; %bb.894:
	v_cmp_ne_u32_e32 vcc, 42, v218
	s_xor_b64 s[18:19], s[14:15], -1
	s_and_b64 s[22:23], s[18:19], vcc
	s_and_saveexec_b64 s[18:19], s[22:23]
	s_cbranch_execz .LBB102_896
; %bb.895:
	v_ashrrev_i32_e32 v219, 31, v218
	v_lshl_add_u64 v[224:225], v[218:219], 2, v[216:217]
	global_load_dword v219, v[224:225], off
	global_load_dword v221, v[216:217], off offset:168
	s_waitcnt vmcnt(1)
	global_store_dword v[216:217], v219, off offset:168
	s_waitcnt vmcnt(1)
	global_store_dword v[224:225], v221, off
.LBB102_896:
	s_or_b64 exec, exec, s[18:19]
	v_mov_b32_e32 v221, v218
	v_mov_b32_e32 v223, v218
.LBB102_897:
	s_or_b64 exec, exec, s[16:17]
.LBB102_898:
	s_andn2_saveexec_b64 s[0:1], s[0:1]
	s_cbranch_execz .LBB102_900
; %bb.899:
	v_mov_b32_e32 v221, 42
	s_waitcnt vmcnt(8)
	ds_write2_b64 v220, v[28:29], v[30:31] offset0:86 offset1:87
	s_waitcnt vmcnt(7)
	ds_write2_b64 v220, v[24:25], v[26:27] offset0:88 offset1:89
	;; [unrolled: 2-line block ×9, first 2 shown]
.LBB102_900:
	s_or_b64 exec, exec, s[0:1]
	v_cmp_lt_i32_e32 vcc, 42, v221
	s_waitcnt lgkmcnt(0)
	s_barrier
	s_and_saveexec_b64 s[0:1], vcc
	s_cbranch_execz .LBB102_902
; %bb.901:
	ds_read2_b64 v[224:227], v220 offset0:86 offset1:87
	v_mul_f64 v[218:219], v[208:209], v[34:35]
	v_fmac_f64_e32 v[218:219], v[210:211], v[32:33]
	v_mul_f64 v[34:35], v[210:211], v[34:35]
	v_fma_f64 v[32:33], v[208:209], v[32:33], -v[34:35]
	ds_read2_b64 v[208:211], v220 offset0:88 offset1:89
	s_waitcnt lgkmcnt(1)
	v_mul_f64 v[34:35], v[226:227], v[218:219]
	v_fma_f64 v[34:35], v[224:225], v[32:33], -v[34:35]
	v_mul_f64 v[224:225], v[224:225], v[218:219]
	v_fmac_f64_e32 v[224:225], v[226:227], v[32:33]
	s_waitcnt vmcnt(8)
	v_add_f64 v[30:31], v[30:31], -v[224:225]
	ds_read2_b64 v[224:227], v220 offset0:90 offset1:91
	v_add_f64 v[28:29], v[28:29], -v[34:35]
	s_waitcnt lgkmcnt(1)
	v_mul_f64 v[34:35], v[210:211], v[218:219]
	v_fma_f64 v[34:35], v[208:209], v[32:33], -v[34:35]
	v_mul_f64 v[208:209], v[208:209], v[218:219]
	v_fmac_f64_e32 v[208:209], v[210:211], v[32:33]
	s_waitcnt vmcnt(7)
	v_add_f64 v[24:25], v[24:25], -v[34:35]
	v_add_f64 v[26:27], v[26:27], -v[208:209]
	ds_read2_b64 v[208:211], v220 offset0:92 offset1:93
	s_waitcnt lgkmcnt(1)
	v_mul_f64 v[34:35], v[226:227], v[218:219]
	v_fma_f64 v[34:35], v[224:225], v[32:33], -v[34:35]
	v_mul_f64 v[224:225], v[224:225], v[218:219]
	v_fmac_f64_e32 v[224:225], v[226:227], v[32:33]
	s_waitcnt vmcnt(6)
	v_add_f64 v[22:23], v[22:23], -v[224:225]
	ds_read2_b64 v[224:227], v220 offset0:94 offset1:95
	v_add_f64 v[20:21], v[20:21], -v[34:35]
	s_waitcnt lgkmcnt(1)
	v_mul_f64 v[34:35], v[210:211], v[218:219]
	v_fma_f64 v[34:35], v[208:209], v[32:33], -v[34:35]
	v_mul_f64 v[208:209], v[208:209], v[218:219]
	v_fmac_f64_e32 v[208:209], v[210:211], v[32:33]
	s_waitcnt vmcnt(5)
	v_add_f64 v[16:17], v[16:17], -v[34:35]
	v_add_f64 v[18:19], v[18:19], -v[208:209]
	ds_read2_b64 v[208:211], v220 offset0:96 offset1:97
	s_waitcnt lgkmcnt(1)
	v_mul_f64 v[34:35], v[226:227], v[218:219]
	v_fma_f64 v[34:35], v[224:225], v[32:33], -v[34:35]
	v_mul_f64 v[224:225], v[224:225], v[218:219]
	v_fmac_f64_e32 v[224:225], v[226:227], v[32:33]
	s_waitcnt vmcnt(4)
	v_add_f64 v[14:15], v[14:15], -v[224:225]
	ds_read2_b64 v[224:227], v220 offset0:98 offset1:99
	v_add_f64 v[12:13], v[12:13], -v[34:35]
	s_waitcnt lgkmcnt(1)
	v_mul_f64 v[34:35], v[210:211], v[218:219]
	v_fma_f64 v[34:35], v[208:209], v[32:33], -v[34:35]
	v_mul_f64 v[208:209], v[208:209], v[218:219]
	v_fmac_f64_e32 v[208:209], v[210:211], v[32:33]
	s_waitcnt vmcnt(3)
	v_add_f64 v[8:9], v[8:9], -v[34:35]
	v_add_f64 v[10:11], v[10:11], -v[208:209]
	ds_read2_b64 v[208:211], v220 offset0:100 offset1:101
	s_waitcnt lgkmcnt(1)
	v_mul_f64 v[34:35], v[226:227], v[218:219]
	v_fma_f64 v[34:35], v[224:225], v[32:33], -v[34:35]
	v_mul_f64 v[224:225], v[224:225], v[218:219]
	v_fmac_f64_e32 v[224:225], v[226:227], v[32:33]
	s_waitcnt vmcnt(2)
	v_add_f64 v[6:7], v[6:7], -v[224:225]
	ds_read2_b64 v[224:227], v220 offset0:102 offset1:103
	v_add_f64 v[4:5], v[4:5], -v[34:35]
	s_waitcnt lgkmcnt(1)
	v_mul_f64 v[34:35], v[210:211], v[218:219]
	v_fma_f64 v[34:35], v[208:209], v[32:33], -v[34:35]
	v_mul_f64 v[208:209], v[208:209], v[218:219]
	v_fmac_f64_e32 v[208:209], v[210:211], v[32:33]
	s_waitcnt vmcnt(1)
	v_add_f64 v[0:1], v[0:1], -v[34:35]
	v_add_f64 v[2:3], v[2:3], -v[208:209]
	s_waitcnt lgkmcnt(0)
	v_mul_f64 v[34:35], v[226:227], v[218:219]
	v_mul_f64 v[208:209], v[224:225], v[218:219]
	v_fma_f64 v[34:35], v[224:225], v[32:33], -v[34:35]
	v_fmac_f64_e32 v[208:209], v[226:227], v[32:33]
	s_waitcnt vmcnt(0)
	v_add_f64 v[204:205], v[204:205], -v[34:35]
	v_add_f64 v[206:207], v[206:207], -v[208:209]
	v_mov_b64_e32 v[34:35], v[218:219]
.LBB102_902:
	s_or_b64 exec, exec, s[0:1]
	v_lshl_add_u32 v208, v221, 4, v220
	s_barrier
	s_waitcnt vmcnt(8)
	ds_write2_b64 v208, v[28:29], v[30:31] offset1:1
	s_waitcnt lgkmcnt(0)
	s_barrier
	ds_read2_b64 v[208:211], v220 offset0:86 offset1:87
	s_cmp_lt_i32 s20, 45
	v_mov_b32_e32 v218, 43
	s_cbranch_scc1 .LBB102_905
; %bb.903:
	v_add_u32_e32 v219, 0x2c0, v220
	s_mov_b32 s16, 44
	v_mov_b32_e32 v218, 43
.LBB102_904:                            ; =>This Inner Loop Header: Depth=1
	ds_read2_b64 v[224:227], v219 offset1:1
	s_waitcnt lgkmcnt(1)
	v_xor_b32_e32 v229, 0x80000000, v209
	v_xor_b32_e32 v231, 0x80000000, v211
	v_cmp_gt_f64_e32 vcc, 0, v[210:211]
	v_cmp_gt_f64_e64 s[0:1], 0, v[208:209]
	v_mov_b32_e32 v228, v208
	v_mov_b32_e32 v230, v210
	v_cndmask_b32_e64 v229, v209, v229, s[0:1]
	v_cndmask_b32_e32 v231, v211, v231, vcc
	v_add_f64 v[228:229], v[228:229], v[230:231]
	s_waitcnt lgkmcnt(0)
	v_xor_b32_e32 v231, 0x80000000, v225
	v_xor_b32_e32 v233, 0x80000000, v227
	v_cmp_gt_f64_e32 vcc, 0, v[226:227]
	v_cmp_gt_f64_e64 s[0:1], 0, v[224:225]
	v_mov_b32_e32 v230, v224
	v_mov_b32_e32 v232, v226
	v_cndmask_b32_e64 v231, v225, v231, s[0:1]
	v_cndmask_b32_e32 v233, v227, v233, vcc
	v_add_f64 v[230:231], v[230:231], v[232:233]
	v_mov_b32_e32 v234, s16
	s_add_i32 s16, s16, 1
	v_cmp_lt_f64_e32 vcc, v[228:229], v[230:231]
	v_add_u32_e32 v219, 16, v219
	s_cmp_lg_u32 s20, s16
	v_cndmask_b32_e32 v209, v209, v225, vcc
	v_cndmask_b32_e32 v208, v208, v224, vcc
	;; [unrolled: 1-line block ×5, first 2 shown]
	s_cbranch_scc1 .LBB102_904
.LBB102_905:
	s_waitcnt lgkmcnt(0)
	v_cmp_eq_f64_e32 vcc, 0, v[208:209]
	v_cmp_eq_f64_e64 s[0:1], 0, v[210:211]
	s_and_b64 s[0:1], vcc, s[0:1]
	s_and_saveexec_b64 s[16:17], s[0:1]
	s_xor_b64 s[0:1], exec, s[16:17]
; %bb.906:
	v_cmp_ne_u32_e32 vcc, 0, v222
	s_nop 1
	v_cndmask_b32_e32 v222, 44, v222, vcc
; %bb.907:
	s_andn2_saveexec_b64 s[0:1], s[0:1]
	s_cbranch_execz .LBB102_913
; %bb.908:
	v_cmp_ngt_f64_e64 s[16:17], |v[208:209]|, |v[210:211]|
	s_and_saveexec_b64 s[18:19], s[16:17]
	s_xor_b64 s[16:17], exec, s[18:19]
	s_cbranch_execz .LBB102_910
; %bb.909:
	v_div_scale_f64 v[224:225], s[18:19], v[210:211], v[210:211], v[208:209]
	v_rcp_f64_e32 v[226:227], v[224:225]
	v_div_scale_f64 v[228:229], vcc, v[208:209], v[210:211], v[208:209]
	v_fma_f64 v[230:231], -v[224:225], v[226:227], 1.0
	v_fmac_f64_e32 v[226:227], v[226:227], v[230:231]
	v_fma_f64 v[230:231], -v[224:225], v[226:227], 1.0
	v_fmac_f64_e32 v[226:227], v[226:227], v[230:231]
	v_mul_f64 v[230:231], v[228:229], v[226:227]
	v_fma_f64 v[224:225], -v[224:225], v[230:231], v[228:229]
	v_div_fmas_f64 v[224:225], v[224:225], v[226:227], v[230:231]
	v_div_fixup_f64 v[224:225], v[224:225], v[210:211], v[208:209]
	v_fmac_f64_e32 v[210:211], v[208:209], v[224:225]
	v_div_scale_f64 v[208:209], s[18:19], v[210:211], v[210:211], 1.0
	v_rcp_f64_e32 v[226:227], v[208:209]
	s_nop 0
	v_fma_f64 v[228:229], -v[208:209], v[226:227], 1.0
	v_fmac_f64_e32 v[226:227], v[226:227], v[228:229]
	v_fma_f64 v[228:229], -v[208:209], v[226:227], 1.0
	v_fmac_f64_e32 v[226:227], v[226:227], v[228:229]
	v_div_scale_f64 v[228:229], vcc, 1.0, v[210:211], 1.0
	v_mul_f64 v[230:231], v[228:229], v[226:227]
	v_fma_f64 v[208:209], -v[208:209], v[230:231], v[228:229]
	s_nop 1
	v_div_fmas_f64 v[208:209], v[208:209], v[226:227], v[230:231]
	v_div_fixup_f64 v[210:211], v[208:209], v[210:211], 1.0
	v_mul_f64 v[208:209], v[224:225], v[210:211]
	v_xor_b32_e32 v211, 0x80000000, v211
.LBB102_910:
	s_andn2_saveexec_b64 s[16:17], s[16:17]
	s_cbranch_execz .LBB102_912
; %bb.911:
	v_div_scale_f64 v[224:225], s[18:19], v[208:209], v[208:209], v[210:211]
	v_rcp_f64_e32 v[226:227], v[224:225]
	v_div_scale_f64 v[228:229], vcc, v[210:211], v[208:209], v[210:211]
	v_fma_f64 v[230:231], -v[224:225], v[226:227], 1.0
	v_fmac_f64_e32 v[226:227], v[226:227], v[230:231]
	v_fma_f64 v[230:231], -v[224:225], v[226:227], 1.0
	v_fmac_f64_e32 v[226:227], v[226:227], v[230:231]
	v_mul_f64 v[230:231], v[228:229], v[226:227]
	v_fma_f64 v[224:225], -v[224:225], v[230:231], v[228:229]
	v_div_fmas_f64 v[224:225], v[224:225], v[226:227], v[230:231]
	v_div_fixup_f64 v[224:225], v[224:225], v[208:209], v[210:211]
	v_fmac_f64_e32 v[208:209], v[210:211], v[224:225]
	v_div_scale_f64 v[210:211], s[18:19], v[208:209], v[208:209], 1.0
	v_rcp_f64_e32 v[226:227], v[210:211]
	s_nop 0
	v_fma_f64 v[228:229], -v[210:211], v[226:227], 1.0
	v_fmac_f64_e32 v[226:227], v[226:227], v[228:229]
	v_fma_f64 v[228:229], -v[210:211], v[226:227], 1.0
	v_fmac_f64_e32 v[226:227], v[226:227], v[228:229]
	v_div_scale_f64 v[228:229], vcc, 1.0, v[208:209], 1.0
	v_mul_f64 v[230:231], v[228:229], v[226:227]
	v_fma_f64 v[210:211], -v[210:211], v[230:231], v[228:229]
	s_nop 1
	v_div_fmas_f64 v[210:211], v[210:211], v[226:227], v[230:231]
	v_div_fixup_f64 v[208:209], v[210:211], v[208:209], 1.0
	v_mul_f64 v[210:211], v[224:225], -v[208:209]
.LBB102_912:
	s_or_b64 exec, exec, s[16:17]
.LBB102_913:
	s_or_b64 exec, exec, s[0:1]
	v_cmp_ne_u32_e32 vcc, v221, v218
	s_and_saveexec_b64 s[0:1], vcc
	s_xor_b64 s[0:1], exec, s[0:1]
	s_cbranch_execz .LBB102_919
; %bb.914:
	v_cmp_eq_u32_e32 vcc, 43, v221
	s_and_saveexec_b64 s[16:17], vcc
	s_cbranch_execz .LBB102_918
; %bb.915:
	v_cmp_ne_u32_e32 vcc, 43, v218
	s_xor_b64 s[18:19], s[14:15], -1
	s_and_b64 s[22:23], s[18:19], vcc
	s_and_saveexec_b64 s[18:19], s[22:23]
	s_cbranch_execz .LBB102_917
; %bb.916:
	v_ashrrev_i32_e32 v219, 31, v218
	v_lshl_add_u64 v[224:225], v[218:219], 2, v[216:217]
	global_load_dword v219, v[224:225], off
	global_load_dword v221, v[216:217], off offset:172
	s_waitcnt vmcnt(1)
	global_store_dword v[216:217], v219, off offset:172
	s_waitcnt vmcnt(1)
	global_store_dword v[224:225], v221, off
.LBB102_917:
	s_or_b64 exec, exec, s[18:19]
	v_mov_b32_e32 v221, v218
	v_mov_b32_e32 v223, v218
.LBB102_918:
	s_or_b64 exec, exec, s[16:17]
.LBB102_919:
	s_andn2_saveexec_b64 s[0:1], s[0:1]
	s_cbranch_execz .LBB102_921
; %bb.920:
	v_mov_b32_e32 v221, 43
	s_waitcnt vmcnt(7)
	ds_write2_b64 v220, v[24:25], v[26:27] offset0:88 offset1:89
	s_waitcnt vmcnt(6)
	ds_write2_b64 v220, v[20:21], v[22:23] offset0:90 offset1:91
	;; [unrolled: 2-line block ×8, first 2 shown]
.LBB102_921:
	s_or_b64 exec, exec, s[0:1]
	v_cmp_lt_i32_e32 vcc, 43, v221
	s_waitcnt lgkmcnt(0)
	s_barrier
	s_and_saveexec_b64 s[0:1], vcc
	s_cbranch_execz .LBB102_923
; %bb.922:
	ds_read2_b64 v[224:227], v220 offset0:88 offset1:89
	v_mul_f64 v[218:219], v[208:209], v[30:31]
	v_mul_f64 v[30:31], v[210:211], v[30:31]
	v_fmac_f64_e32 v[218:219], v[210:211], v[28:29]
	v_fma_f64 v[28:29], v[208:209], v[28:29], -v[30:31]
	ds_read2_b64 v[208:211], v220 offset0:90 offset1:91
	s_waitcnt lgkmcnt(1)
	v_mul_f64 v[30:31], v[226:227], v[218:219]
	v_fma_f64 v[30:31], v[224:225], v[28:29], -v[30:31]
	v_mul_f64 v[224:225], v[224:225], v[218:219]
	v_fmac_f64_e32 v[224:225], v[226:227], v[28:29]
	s_waitcnt vmcnt(7)
	v_add_f64 v[24:25], v[24:25], -v[30:31]
	s_waitcnt lgkmcnt(0)
	v_mul_f64 v[30:31], v[210:211], v[218:219]
	v_add_f64 v[26:27], v[26:27], -v[224:225]
	v_fma_f64 v[30:31], v[208:209], v[28:29], -v[30:31]
	v_mul_f64 v[208:209], v[208:209], v[218:219]
	ds_read2_b64 v[224:227], v220 offset0:92 offset1:93
	v_fmac_f64_e32 v[208:209], v[210:211], v[28:29]
	s_waitcnt vmcnt(6)
	v_add_f64 v[22:23], v[22:23], -v[208:209]
	ds_read2_b64 v[208:211], v220 offset0:94 offset1:95
	v_add_f64 v[20:21], v[20:21], -v[30:31]
	s_waitcnt lgkmcnt(1)
	v_mul_f64 v[30:31], v[226:227], v[218:219]
	v_fma_f64 v[30:31], v[224:225], v[28:29], -v[30:31]
	v_mul_f64 v[224:225], v[224:225], v[218:219]
	v_fmac_f64_e32 v[224:225], v[226:227], v[28:29]
	s_waitcnt vmcnt(5)
	v_add_f64 v[16:17], v[16:17], -v[30:31]
	s_waitcnt lgkmcnt(0)
	v_mul_f64 v[30:31], v[210:211], v[218:219]
	v_add_f64 v[18:19], v[18:19], -v[224:225]
	v_fma_f64 v[30:31], v[208:209], v[28:29], -v[30:31]
	v_mul_f64 v[208:209], v[208:209], v[218:219]
	ds_read2_b64 v[224:227], v220 offset0:96 offset1:97
	v_fmac_f64_e32 v[208:209], v[210:211], v[28:29]
	s_waitcnt vmcnt(4)
	v_add_f64 v[14:15], v[14:15], -v[208:209]
	ds_read2_b64 v[208:211], v220 offset0:98 offset1:99
	v_add_f64 v[12:13], v[12:13], -v[30:31]
	;; [unrolled: 18-line block ×3, first 2 shown]
	s_waitcnt lgkmcnt(1)
	v_mul_f64 v[30:31], v[226:227], v[218:219]
	v_fma_f64 v[30:31], v[224:225], v[28:29], -v[30:31]
	s_waitcnt vmcnt(1)
	v_add_f64 v[0:1], v[0:1], -v[30:31]
	s_waitcnt lgkmcnt(0)
	v_mul_f64 v[30:31], v[210:211], v[218:219]
	v_mul_f64 v[224:225], v[224:225], v[218:219]
	v_fma_f64 v[30:31], v[208:209], v[28:29], -v[30:31]
	v_mul_f64 v[208:209], v[208:209], v[218:219]
	v_fmac_f64_e32 v[224:225], v[226:227], v[28:29]
	v_fmac_f64_e32 v[208:209], v[210:211], v[28:29]
	v_add_f64 v[2:3], v[2:3], -v[224:225]
	s_waitcnt vmcnt(0)
	v_add_f64 v[204:205], v[204:205], -v[30:31]
	v_add_f64 v[206:207], v[206:207], -v[208:209]
	v_mov_b64_e32 v[30:31], v[218:219]
.LBB102_923:
	s_or_b64 exec, exec, s[0:1]
	v_lshl_add_u32 v208, v221, 4, v220
	s_barrier
	s_waitcnt vmcnt(7)
	ds_write2_b64 v208, v[24:25], v[26:27] offset1:1
	s_waitcnt lgkmcnt(0)
	s_barrier
	ds_read2_b64 v[208:211], v220 offset0:88 offset1:89
	s_cmp_lt_i32 s20, 46
	v_mov_b32_e32 v218, 44
	s_cbranch_scc1 .LBB102_926
; %bb.924:
	v_add_u32_e32 v219, 0x2d0, v220
	s_mov_b32 s16, 45
	v_mov_b32_e32 v218, 44
.LBB102_925:                            ; =>This Inner Loop Header: Depth=1
	ds_read2_b64 v[224:227], v219 offset1:1
	s_waitcnt lgkmcnt(1)
	v_xor_b32_e32 v229, 0x80000000, v209
	v_xor_b32_e32 v231, 0x80000000, v211
	v_cmp_gt_f64_e32 vcc, 0, v[210:211]
	v_cmp_gt_f64_e64 s[0:1], 0, v[208:209]
	v_mov_b32_e32 v228, v208
	v_mov_b32_e32 v230, v210
	v_cndmask_b32_e64 v229, v209, v229, s[0:1]
	v_cndmask_b32_e32 v231, v211, v231, vcc
	v_add_f64 v[228:229], v[228:229], v[230:231]
	s_waitcnt lgkmcnt(0)
	v_xor_b32_e32 v231, 0x80000000, v225
	v_xor_b32_e32 v233, 0x80000000, v227
	v_cmp_gt_f64_e32 vcc, 0, v[226:227]
	v_cmp_gt_f64_e64 s[0:1], 0, v[224:225]
	v_mov_b32_e32 v230, v224
	v_mov_b32_e32 v232, v226
	v_cndmask_b32_e64 v231, v225, v231, s[0:1]
	v_cndmask_b32_e32 v233, v227, v233, vcc
	v_add_f64 v[230:231], v[230:231], v[232:233]
	v_mov_b32_e32 v234, s16
	s_add_i32 s16, s16, 1
	v_cmp_lt_f64_e32 vcc, v[228:229], v[230:231]
	v_add_u32_e32 v219, 16, v219
	s_cmp_lg_u32 s20, s16
	v_cndmask_b32_e32 v209, v209, v225, vcc
	v_cndmask_b32_e32 v208, v208, v224, vcc
	;; [unrolled: 1-line block ×5, first 2 shown]
	s_cbranch_scc1 .LBB102_925
.LBB102_926:
	s_waitcnt lgkmcnt(0)
	v_cmp_eq_f64_e32 vcc, 0, v[208:209]
	v_cmp_eq_f64_e64 s[0:1], 0, v[210:211]
	s_and_b64 s[0:1], vcc, s[0:1]
	s_and_saveexec_b64 s[16:17], s[0:1]
	s_xor_b64 s[0:1], exec, s[16:17]
; %bb.927:
	v_cmp_ne_u32_e32 vcc, 0, v222
	s_nop 1
	v_cndmask_b32_e32 v222, 45, v222, vcc
; %bb.928:
	s_andn2_saveexec_b64 s[0:1], s[0:1]
	s_cbranch_execz .LBB102_934
; %bb.929:
	v_cmp_ngt_f64_e64 s[16:17], |v[208:209]|, |v[210:211]|
	s_and_saveexec_b64 s[18:19], s[16:17]
	s_xor_b64 s[16:17], exec, s[18:19]
	s_cbranch_execz .LBB102_931
; %bb.930:
	v_div_scale_f64 v[224:225], s[18:19], v[210:211], v[210:211], v[208:209]
	v_rcp_f64_e32 v[226:227], v[224:225]
	v_div_scale_f64 v[228:229], vcc, v[208:209], v[210:211], v[208:209]
	v_fma_f64 v[230:231], -v[224:225], v[226:227], 1.0
	v_fmac_f64_e32 v[226:227], v[226:227], v[230:231]
	v_fma_f64 v[230:231], -v[224:225], v[226:227], 1.0
	v_fmac_f64_e32 v[226:227], v[226:227], v[230:231]
	v_mul_f64 v[230:231], v[228:229], v[226:227]
	v_fma_f64 v[224:225], -v[224:225], v[230:231], v[228:229]
	v_div_fmas_f64 v[224:225], v[224:225], v[226:227], v[230:231]
	v_div_fixup_f64 v[224:225], v[224:225], v[210:211], v[208:209]
	v_fmac_f64_e32 v[210:211], v[208:209], v[224:225]
	v_div_scale_f64 v[208:209], s[18:19], v[210:211], v[210:211], 1.0
	v_rcp_f64_e32 v[226:227], v[208:209]
	s_nop 0
	v_fma_f64 v[228:229], -v[208:209], v[226:227], 1.0
	v_fmac_f64_e32 v[226:227], v[226:227], v[228:229]
	v_fma_f64 v[228:229], -v[208:209], v[226:227], 1.0
	v_fmac_f64_e32 v[226:227], v[226:227], v[228:229]
	v_div_scale_f64 v[228:229], vcc, 1.0, v[210:211], 1.0
	v_mul_f64 v[230:231], v[228:229], v[226:227]
	v_fma_f64 v[208:209], -v[208:209], v[230:231], v[228:229]
	s_nop 1
	v_div_fmas_f64 v[208:209], v[208:209], v[226:227], v[230:231]
	v_div_fixup_f64 v[210:211], v[208:209], v[210:211], 1.0
	v_mul_f64 v[208:209], v[224:225], v[210:211]
	v_xor_b32_e32 v211, 0x80000000, v211
.LBB102_931:
	s_andn2_saveexec_b64 s[16:17], s[16:17]
	s_cbranch_execz .LBB102_933
; %bb.932:
	v_div_scale_f64 v[224:225], s[18:19], v[208:209], v[208:209], v[210:211]
	v_rcp_f64_e32 v[226:227], v[224:225]
	v_div_scale_f64 v[228:229], vcc, v[210:211], v[208:209], v[210:211]
	v_fma_f64 v[230:231], -v[224:225], v[226:227], 1.0
	v_fmac_f64_e32 v[226:227], v[226:227], v[230:231]
	v_fma_f64 v[230:231], -v[224:225], v[226:227], 1.0
	v_fmac_f64_e32 v[226:227], v[226:227], v[230:231]
	v_mul_f64 v[230:231], v[228:229], v[226:227]
	v_fma_f64 v[224:225], -v[224:225], v[230:231], v[228:229]
	v_div_fmas_f64 v[224:225], v[224:225], v[226:227], v[230:231]
	v_div_fixup_f64 v[224:225], v[224:225], v[208:209], v[210:211]
	v_fmac_f64_e32 v[208:209], v[210:211], v[224:225]
	v_div_scale_f64 v[210:211], s[18:19], v[208:209], v[208:209], 1.0
	v_rcp_f64_e32 v[226:227], v[210:211]
	s_nop 0
	v_fma_f64 v[228:229], -v[210:211], v[226:227], 1.0
	v_fmac_f64_e32 v[226:227], v[226:227], v[228:229]
	v_fma_f64 v[228:229], -v[210:211], v[226:227], 1.0
	v_fmac_f64_e32 v[226:227], v[226:227], v[228:229]
	v_div_scale_f64 v[228:229], vcc, 1.0, v[208:209], 1.0
	v_mul_f64 v[230:231], v[228:229], v[226:227]
	v_fma_f64 v[210:211], -v[210:211], v[230:231], v[228:229]
	s_nop 1
	v_div_fmas_f64 v[210:211], v[210:211], v[226:227], v[230:231]
	v_div_fixup_f64 v[208:209], v[210:211], v[208:209], 1.0
	v_mul_f64 v[210:211], v[224:225], -v[208:209]
.LBB102_933:
	s_or_b64 exec, exec, s[16:17]
.LBB102_934:
	s_or_b64 exec, exec, s[0:1]
	v_cmp_ne_u32_e32 vcc, v221, v218
	s_and_saveexec_b64 s[0:1], vcc
	s_xor_b64 s[0:1], exec, s[0:1]
	s_cbranch_execz .LBB102_940
; %bb.935:
	v_cmp_eq_u32_e32 vcc, 44, v221
	s_and_saveexec_b64 s[16:17], vcc
	s_cbranch_execz .LBB102_939
; %bb.936:
	v_cmp_ne_u32_e32 vcc, 44, v218
	s_xor_b64 s[18:19], s[14:15], -1
	s_and_b64 s[22:23], s[18:19], vcc
	s_and_saveexec_b64 s[18:19], s[22:23]
	s_cbranch_execz .LBB102_938
; %bb.937:
	v_ashrrev_i32_e32 v219, 31, v218
	v_lshl_add_u64 v[224:225], v[218:219], 2, v[216:217]
	global_load_dword v219, v[224:225], off
	global_load_dword v221, v[216:217], off offset:176
	s_waitcnt vmcnt(1)
	global_store_dword v[216:217], v219, off offset:176
	s_waitcnt vmcnt(1)
	global_store_dword v[224:225], v221, off
.LBB102_938:
	s_or_b64 exec, exec, s[18:19]
	v_mov_b32_e32 v221, v218
	v_mov_b32_e32 v223, v218
.LBB102_939:
	s_or_b64 exec, exec, s[16:17]
.LBB102_940:
	s_andn2_saveexec_b64 s[0:1], s[0:1]
	s_cbranch_execz .LBB102_942
; %bb.941:
	v_mov_b32_e32 v221, 44
	s_waitcnt vmcnt(6)
	ds_write2_b64 v220, v[20:21], v[22:23] offset0:90 offset1:91
	s_waitcnt vmcnt(5)
	ds_write2_b64 v220, v[16:17], v[18:19] offset0:92 offset1:93
	;; [unrolled: 2-line block ×7, first 2 shown]
.LBB102_942:
	s_or_b64 exec, exec, s[0:1]
	v_cmp_lt_i32_e32 vcc, 44, v221
	s_waitcnt lgkmcnt(0)
	s_barrier
	s_and_saveexec_b64 s[0:1], vcc
	s_cbranch_execz .LBB102_944
; %bb.943:
	ds_read2_b64 v[224:227], v220 offset0:90 offset1:91
	v_mul_f64 v[218:219], v[208:209], v[26:27]
	v_fmac_f64_e32 v[218:219], v[210:211], v[24:25]
	v_mul_f64 v[26:27], v[210:211], v[26:27]
	v_fma_f64 v[24:25], v[208:209], v[24:25], -v[26:27]
	ds_read2_b64 v[208:211], v220 offset0:92 offset1:93
	s_waitcnt lgkmcnt(1)
	v_mul_f64 v[26:27], v[226:227], v[218:219]
	v_fma_f64 v[26:27], v[224:225], v[24:25], -v[26:27]
	v_mul_f64 v[224:225], v[224:225], v[218:219]
	v_fmac_f64_e32 v[224:225], v[226:227], v[24:25]
	s_waitcnt vmcnt(6)
	v_add_f64 v[22:23], v[22:23], -v[224:225]
	ds_read2_b64 v[224:227], v220 offset0:94 offset1:95
	v_add_f64 v[20:21], v[20:21], -v[26:27]
	s_waitcnt lgkmcnt(1)
	v_mul_f64 v[26:27], v[210:211], v[218:219]
	v_fma_f64 v[26:27], v[208:209], v[24:25], -v[26:27]
	v_mul_f64 v[208:209], v[208:209], v[218:219]
	v_fmac_f64_e32 v[208:209], v[210:211], v[24:25]
	s_waitcnt vmcnt(5)
	v_add_f64 v[16:17], v[16:17], -v[26:27]
	v_add_f64 v[18:19], v[18:19], -v[208:209]
	ds_read2_b64 v[208:211], v220 offset0:96 offset1:97
	s_waitcnt lgkmcnt(1)
	v_mul_f64 v[26:27], v[226:227], v[218:219]
	v_fma_f64 v[26:27], v[224:225], v[24:25], -v[26:27]
	v_mul_f64 v[224:225], v[224:225], v[218:219]
	v_fmac_f64_e32 v[224:225], v[226:227], v[24:25]
	s_waitcnt vmcnt(4)
	v_add_f64 v[14:15], v[14:15], -v[224:225]
	ds_read2_b64 v[224:227], v220 offset0:98 offset1:99
	v_add_f64 v[12:13], v[12:13], -v[26:27]
	s_waitcnt lgkmcnt(1)
	v_mul_f64 v[26:27], v[210:211], v[218:219]
	v_fma_f64 v[26:27], v[208:209], v[24:25], -v[26:27]
	v_mul_f64 v[208:209], v[208:209], v[218:219]
	v_fmac_f64_e32 v[208:209], v[210:211], v[24:25]
	s_waitcnt vmcnt(3)
	v_add_f64 v[8:9], v[8:9], -v[26:27]
	v_add_f64 v[10:11], v[10:11], -v[208:209]
	;; [unrolled: 18-line block ×3, first 2 shown]
	s_waitcnt lgkmcnt(0)
	v_mul_f64 v[26:27], v[226:227], v[218:219]
	v_mul_f64 v[208:209], v[224:225], v[218:219]
	v_fma_f64 v[26:27], v[224:225], v[24:25], -v[26:27]
	v_fmac_f64_e32 v[208:209], v[226:227], v[24:25]
	s_waitcnt vmcnt(0)
	v_add_f64 v[204:205], v[204:205], -v[26:27]
	v_add_f64 v[206:207], v[206:207], -v[208:209]
	v_mov_b64_e32 v[26:27], v[218:219]
.LBB102_944:
	s_or_b64 exec, exec, s[0:1]
	v_lshl_add_u32 v208, v221, 4, v220
	s_barrier
	s_waitcnt vmcnt(6)
	ds_write2_b64 v208, v[20:21], v[22:23] offset1:1
	s_waitcnt lgkmcnt(0)
	s_barrier
	ds_read2_b64 v[208:211], v220 offset0:90 offset1:91
	s_cmp_lt_i32 s20, 47
	v_mov_b32_e32 v218, 45
	s_cbranch_scc1 .LBB102_947
; %bb.945:
	v_add_u32_e32 v219, 0x2e0, v220
	s_mov_b32 s16, 46
	v_mov_b32_e32 v218, 45
.LBB102_946:                            ; =>This Inner Loop Header: Depth=1
	ds_read2_b64 v[224:227], v219 offset1:1
	s_waitcnt lgkmcnt(1)
	v_xor_b32_e32 v229, 0x80000000, v209
	v_xor_b32_e32 v231, 0x80000000, v211
	v_cmp_gt_f64_e32 vcc, 0, v[210:211]
	v_cmp_gt_f64_e64 s[0:1], 0, v[208:209]
	v_mov_b32_e32 v228, v208
	v_mov_b32_e32 v230, v210
	v_cndmask_b32_e64 v229, v209, v229, s[0:1]
	v_cndmask_b32_e32 v231, v211, v231, vcc
	v_add_f64 v[228:229], v[228:229], v[230:231]
	s_waitcnt lgkmcnt(0)
	v_xor_b32_e32 v231, 0x80000000, v225
	v_xor_b32_e32 v233, 0x80000000, v227
	v_cmp_gt_f64_e32 vcc, 0, v[226:227]
	v_cmp_gt_f64_e64 s[0:1], 0, v[224:225]
	v_mov_b32_e32 v230, v224
	v_mov_b32_e32 v232, v226
	v_cndmask_b32_e64 v231, v225, v231, s[0:1]
	v_cndmask_b32_e32 v233, v227, v233, vcc
	v_add_f64 v[230:231], v[230:231], v[232:233]
	v_mov_b32_e32 v234, s16
	s_add_i32 s16, s16, 1
	v_cmp_lt_f64_e32 vcc, v[228:229], v[230:231]
	v_add_u32_e32 v219, 16, v219
	s_cmp_lg_u32 s20, s16
	v_cndmask_b32_e32 v209, v209, v225, vcc
	v_cndmask_b32_e32 v208, v208, v224, vcc
	;; [unrolled: 1-line block ×5, first 2 shown]
	s_cbranch_scc1 .LBB102_946
.LBB102_947:
	s_waitcnt lgkmcnt(0)
	v_cmp_eq_f64_e32 vcc, 0, v[208:209]
	v_cmp_eq_f64_e64 s[0:1], 0, v[210:211]
	s_and_b64 s[0:1], vcc, s[0:1]
	s_and_saveexec_b64 s[16:17], s[0:1]
	s_xor_b64 s[0:1], exec, s[16:17]
; %bb.948:
	v_cmp_ne_u32_e32 vcc, 0, v222
	s_nop 1
	v_cndmask_b32_e32 v222, 46, v222, vcc
; %bb.949:
	s_andn2_saveexec_b64 s[0:1], s[0:1]
	s_cbranch_execz .LBB102_955
; %bb.950:
	v_cmp_ngt_f64_e64 s[16:17], |v[208:209]|, |v[210:211]|
	s_and_saveexec_b64 s[18:19], s[16:17]
	s_xor_b64 s[16:17], exec, s[18:19]
	s_cbranch_execz .LBB102_952
; %bb.951:
	v_div_scale_f64 v[224:225], s[18:19], v[210:211], v[210:211], v[208:209]
	v_rcp_f64_e32 v[226:227], v[224:225]
	v_div_scale_f64 v[228:229], vcc, v[208:209], v[210:211], v[208:209]
	v_fma_f64 v[230:231], -v[224:225], v[226:227], 1.0
	v_fmac_f64_e32 v[226:227], v[226:227], v[230:231]
	v_fma_f64 v[230:231], -v[224:225], v[226:227], 1.0
	v_fmac_f64_e32 v[226:227], v[226:227], v[230:231]
	v_mul_f64 v[230:231], v[228:229], v[226:227]
	v_fma_f64 v[224:225], -v[224:225], v[230:231], v[228:229]
	v_div_fmas_f64 v[224:225], v[224:225], v[226:227], v[230:231]
	v_div_fixup_f64 v[224:225], v[224:225], v[210:211], v[208:209]
	v_fmac_f64_e32 v[210:211], v[208:209], v[224:225]
	v_div_scale_f64 v[208:209], s[18:19], v[210:211], v[210:211], 1.0
	v_rcp_f64_e32 v[226:227], v[208:209]
	s_nop 0
	v_fma_f64 v[228:229], -v[208:209], v[226:227], 1.0
	v_fmac_f64_e32 v[226:227], v[226:227], v[228:229]
	v_fma_f64 v[228:229], -v[208:209], v[226:227], 1.0
	v_fmac_f64_e32 v[226:227], v[226:227], v[228:229]
	v_div_scale_f64 v[228:229], vcc, 1.0, v[210:211], 1.0
	v_mul_f64 v[230:231], v[228:229], v[226:227]
	v_fma_f64 v[208:209], -v[208:209], v[230:231], v[228:229]
	s_nop 1
	v_div_fmas_f64 v[208:209], v[208:209], v[226:227], v[230:231]
	v_div_fixup_f64 v[210:211], v[208:209], v[210:211], 1.0
	v_mul_f64 v[208:209], v[224:225], v[210:211]
	v_xor_b32_e32 v211, 0x80000000, v211
.LBB102_952:
	s_andn2_saveexec_b64 s[16:17], s[16:17]
	s_cbranch_execz .LBB102_954
; %bb.953:
	v_div_scale_f64 v[224:225], s[18:19], v[208:209], v[208:209], v[210:211]
	v_rcp_f64_e32 v[226:227], v[224:225]
	v_div_scale_f64 v[228:229], vcc, v[210:211], v[208:209], v[210:211]
	v_fma_f64 v[230:231], -v[224:225], v[226:227], 1.0
	v_fmac_f64_e32 v[226:227], v[226:227], v[230:231]
	v_fma_f64 v[230:231], -v[224:225], v[226:227], 1.0
	v_fmac_f64_e32 v[226:227], v[226:227], v[230:231]
	v_mul_f64 v[230:231], v[228:229], v[226:227]
	v_fma_f64 v[224:225], -v[224:225], v[230:231], v[228:229]
	v_div_fmas_f64 v[224:225], v[224:225], v[226:227], v[230:231]
	v_div_fixup_f64 v[224:225], v[224:225], v[208:209], v[210:211]
	v_fmac_f64_e32 v[208:209], v[210:211], v[224:225]
	v_div_scale_f64 v[210:211], s[18:19], v[208:209], v[208:209], 1.0
	v_rcp_f64_e32 v[226:227], v[210:211]
	s_nop 0
	v_fma_f64 v[228:229], -v[210:211], v[226:227], 1.0
	v_fmac_f64_e32 v[226:227], v[226:227], v[228:229]
	v_fma_f64 v[228:229], -v[210:211], v[226:227], 1.0
	v_fmac_f64_e32 v[226:227], v[226:227], v[228:229]
	v_div_scale_f64 v[228:229], vcc, 1.0, v[208:209], 1.0
	v_mul_f64 v[230:231], v[228:229], v[226:227]
	v_fma_f64 v[210:211], -v[210:211], v[230:231], v[228:229]
	s_nop 1
	v_div_fmas_f64 v[210:211], v[210:211], v[226:227], v[230:231]
	v_div_fixup_f64 v[208:209], v[210:211], v[208:209], 1.0
	v_mul_f64 v[210:211], v[224:225], -v[208:209]
.LBB102_954:
	s_or_b64 exec, exec, s[16:17]
.LBB102_955:
	s_or_b64 exec, exec, s[0:1]
	v_cmp_ne_u32_e32 vcc, v221, v218
	s_and_saveexec_b64 s[0:1], vcc
	s_xor_b64 s[0:1], exec, s[0:1]
	s_cbranch_execz .LBB102_961
; %bb.956:
	v_cmp_eq_u32_e32 vcc, 45, v221
	s_and_saveexec_b64 s[16:17], vcc
	s_cbranch_execz .LBB102_960
; %bb.957:
	v_cmp_ne_u32_e32 vcc, 45, v218
	s_xor_b64 s[18:19], s[14:15], -1
	s_and_b64 s[22:23], s[18:19], vcc
	s_and_saveexec_b64 s[18:19], s[22:23]
	s_cbranch_execz .LBB102_959
; %bb.958:
	v_ashrrev_i32_e32 v219, 31, v218
	v_lshl_add_u64 v[224:225], v[218:219], 2, v[216:217]
	global_load_dword v219, v[224:225], off
	global_load_dword v221, v[216:217], off offset:180
	s_waitcnt vmcnt(1)
	global_store_dword v[216:217], v219, off offset:180
	s_waitcnt vmcnt(1)
	global_store_dword v[224:225], v221, off
.LBB102_959:
	s_or_b64 exec, exec, s[18:19]
	v_mov_b32_e32 v221, v218
	v_mov_b32_e32 v223, v218
.LBB102_960:
	s_or_b64 exec, exec, s[16:17]
.LBB102_961:
	s_andn2_saveexec_b64 s[0:1], s[0:1]
	s_cbranch_execz .LBB102_963
; %bb.962:
	v_mov_b32_e32 v221, 45
	s_waitcnt vmcnt(5)
	ds_write2_b64 v220, v[16:17], v[18:19] offset0:92 offset1:93
	s_waitcnt vmcnt(4)
	ds_write2_b64 v220, v[12:13], v[14:15] offset0:94 offset1:95
	s_waitcnt vmcnt(3)
	ds_write2_b64 v220, v[8:9], v[10:11] offset0:96 offset1:97
	s_waitcnt vmcnt(2)
	ds_write2_b64 v220, v[4:5], v[6:7] offset0:98 offset1:99
	s_waitcnt vmcnt(1)
	ds_write2_b64 v220, v[0:1], v[2:3] offset0:100 offset1:101
	s_waitcnt vmcnt(0)
	ds_write2_b64 v220, v[204:205], v[206:207] offset0:102 offset1:103
.LBB102_963:
	s_or_b64 exec, exec, s[0:1]
	v_cmp_lt_i32_e32 vcc, 45, v221
	s_waitcnt lgkmcnt(0)
	s_barrier
	s_and_saveexec_b64 s[0:1], vcc
	s_cbranch_execz .LBB102_965
; %bb.964:
	ds_read2_b64 v[224:227], v220 offset0:92 offset1:93
	v_mul_f64 v[218:219], v[208:209], v[22:23]
	v_mul_f64 v[22:23], v[210:211], v[22:23]
	v_fmac_f64_e32 v[218:219], v[210:211], v[20:21]
	v_fma_f64 v[20:21], v[208:209], v[20:21], -v[22:23]
	ds_read2_b64 v[208:211], v220 offset0:94 offset1:95
	s_waitcnt lgkmcnt(1)
	v_mul_f64 v[22:23], v[226:227], v[218:219]
	v_fma_f64 v[22:23], v[224:225], v[20:21], -v[22:23]
	v_mul_f64 v[224:225], v[224:225], v[218:219]
	v_fmac_f64_e32 v[224:225], v[226:227], v[20:21]
	s_waitcnt vmcnt(5)
	v_add_f64 v[16:17], v[16:17], -v[22:23]
	s_waitcnt lgkmcnt(0)
	v_mul_f64 v[22:23], v[210:211], v[218:219]
	v_add_f64 v[18:19], v[18:19], -v[224:225]
	v_fma_f64 v[22:23], v[208:209], v[20:21], -v[22:23]
	v_mul_f64 v[208:209], v[208:209], v[218:219]
	ds_read2_b64 v[224:227], v220 offset0:96 offset1:97
	v_fmac_f64_e32 v[208:209], v[210:211], v[20:21]
	s_waitcnt vmcnt(4)
	v_add_f64 v[14:15], v[14:15], -v[208:209]
	ds_read2_b64 v[208:211], v220 offset0:98 offset1:99
	v_add_f64 v[12:13], v[12:13], -v[22:23]
	s_waitcnt lgkmcnt(1)
	v_mul_f64 v[22:23], v[226:227], v[218:219]
	v_fma_f64 v[22:23], v[224:225], v[20:21], -v[22:23]
	v_mul_f64 v[224:225], v[224:225], v[218:219]
	v_fmac_f64_e32 v[224:225], v[226:227], v[20:21]
	s_waitcnt vmcnt(3)
	v_add_f64 v[8:9], v[8:9], -v[22:23]
	s_waitcnt lgkmcnt(0)
	v_mul_f64 v[22:23], v[210:211], v[218:219]
	v_add_f64 v[10:11], v[10:11], -v[224:225]
	v_fma_f64 v[22:23], v[208:209], v[20:21], -v[22:23]
	v_mul_f64 v[208:209], v[208:209], v[218:219]
	ds_read2_b64 v[224:227], v220 offset0:100 offset1:101
	v_fmac_f64_e32 v[208:209], v[210:211], v[20:21]
	s_waitcnt vmcnt(2)
	v_add_f64 v[6:7], v[6:7], -v[208:209]
	ds_read2_b64 v[208:211], v220 offset0:102 offset1:103
	v_add_f64 v[4:5], v[4:5], -v[22:23]
	s_waitcnt lgkmcnt(1)
	v_mul_f64 v[22:23], v[226:227], v[218:219]
	v_fma_f64 v[22:23], v[224:225], v[20:21], -v[22:23]
	s_waitcnt vmcnt(1)
	v_add_f64 v[0:1], v[0:1], -v[22:23]
	s_waitcnt lgkmcnt(0)
	v_mul_f64 v[22:23], v[210:211], v[218:219]
	v_mul_f64 v[224:225], v[224:225], v[218:219]
	v_fma_f64 v[22:23], v[208:209], v[20:21], -v[22:23]
	v_mul_f64 v[208:209], v[208:209], v[218:219]
	v_fmac_f64_e32 v[224:225], v[226:227], v[20:21]
	v_fmac_f64_e32 v[208:209], v[210:211], v[20:21]
	v_add_f64 v[2:3], v[2:3], -v[224:225]
	s_waitcnt vmcnt(0)
	v_add_f64 v[204:205], v[204:205], -v[22:23]
	v_add_f64 v[206:207], v[206:207], -v[208:209]
	v_mov_b64_e32 v[22:23], v[218:219]
.LBB102_965:
	s_or_b64 exec, exec, s[0:1]
	v_lshl_add_u32 v208, v221, 4, v220
	s_barrier
	s_waitcnt vmcnt(5)
	ds_write2_b64 v208, v[16:17], v[18:19] offset1:1
	s_waitcnt lgkmcnt(0)
	s_barrier
	ds_read2_b64 v[208:211], v220 offset0:92 offset1:93
	s_cmp_lt_i32 s20, 48
	v_mov_b32_e32 v218, 46
	s_cbranch_scc1 .LBB102_968
; %bb.966:
	v_add_u32_e32 v219, 0x2f0, v220
	s_mov_b32 s16, 47
	v_mov_b32_e32 v218, 46
.LBB102_967:                            ; =>This Inner Loop Header: Depth=1
	ds_read2_b64 v[224:227], v219 offset1:1
	s_waitcnt lgkmcnt(1)
	v_xor_b32_e32 v229, 0x80000000, v209
	v_xor_b32_e32 v231, 0x80000000, v211
	v_cmp_gt_f64_e32 vcc, 0, v[210:211]
	v_cmp_gt_f64_e64 s[0:1], 0, v[208:209]
	v_mov_b32_e32 v228, v208
	v_mov_b32_e32 v230, v210
	v_cndmask_b32_e64 v229, v209, v229, s[0:1]
	v_cndmask_b32_e32 v231, v211, v231, vcc
	v_add_f64 v[228:229], v[228:229], v[230:231]
	s_waitcnt lgkmcnt(0)
	v_xor_b32_e32 v231, 0x80000000, v225
	v_xor_b32_e32 v233, 0x80000000, v227
	v_cmp_gt_f64_e32 vcc, 0, v[226:227]
	v_cmp_gt_f64_e64 s[0:1], 0, v[224:225]
	v_mov_b32_e32 v230, v224
	v_mov_b32_e32 v232, v226
	v_cndmask_b32_e64 v231, v225, v231, s[0:1]
	v_cndmask_b32_e32 v233, v227, v233, vcc
	v_add_f64 v[230:231], v[230:231], v[232:233]
	v_mov_b32_e32 v234, s16
	s_add_i32 s16, s16, 1
	v_cmp_lt_f64_e32 vcc, v[228:229], v[230:231]
	v_add_u32_e32 v219, 16, v219
	s_cmp_lg_u32 s20, s16
	v_cndmask_b32_e32 v209, v209, v225, vcc
	v_cndmask_b32_e32 v208, v208, v224, vcc
	;; [unrolled: 1-line block ×5, first 2 shown]
	s_cbranch_scc1 .LBB102_967
.LBB102_968:
	s_waitcnt lgkmcnt(0)
	v_cmp_eq_f64_e32 vcc, 0, v[208:209]
	v_cmp_eq_f64_e64 s[0:1], 0, v[210:211]
	s_and_b64 s[0:1], vcc, s[0:1]
	s_and_saveexec_b64 s[16:17], s[0:1]
	s_xor_b64 s[0:1], exec, s[16:17]
; %bb.969:
	v_cmp_ne_u32_e32 vcc, 0, v222
	s_nop 1
	v_cndmask_b32_e32 v222, 47, v222, vcc
; %bb.970:
	s_andn2_saveexec_b64 s[0:1], s[0:1]
	s_cbranch_execz .LBB102_976
; %bb.971:
	v_cmp_ngt_f64_e64 s[16:17], |v[208:209]|, |v[210:211]|
	s_and_saveexec_b64 s[18:19], s[16:17]
	s_xor_b64 s[16:17], exec, s[18:19]
	s_cbranch_execz .LBB102_973
; %bb.972:
	v_div_scale_f64 v[224:225], s[18:19], v[210:211], v[210:211], v[208:209]
	v_rcp_f64_e32 v[226:227], v[224:225]
	v_div_scale_f64 v[228:229], vcc, v[208:209], v[210:211], v[208:209]
	v_fma_f64 v[230:231], -v[224:225], v[226:227], 1.0
	v_fmac_f64_e32 v[226:227], v[226:227], v[230:231]
	v_fma_f64 v[230:231], -v[224:225], v[226:227], 1.0
	v_fmac_f64_e32 v[226:227], v[226:227], v[230:231]
	v_mul_f64 v[230:231], v[228:229], v[226:227]
	v_fma_f64 v[224:225], -v[224:225], v[230:231], v[228:229]
	v_div_fmas_f64 v[224:225], v[224:225], v[226:227], v[230:231]
	v_div_fixup_f64 v[224:225], v[224:225], v[210:211], v[208:209]
	v_fmac_f64_e32 v[210:211], v[208:209], v[224:225]
	v_div_scale_f64 v[208:209], s[18:19], v[210:211], v[210:211], 1.0
	v_rcp_f64_e32 v[226:227], v[208:209]
	s_nop 0
	v_fma_f64 v[228:229], -v[208:209], v[226:227], 1.0
	v_fmac_f64_e32 v[226:227], v[226:227], v[228:229]
	v_fma_f64 v[228:229], -v[208:209], v[226:227], 1.0
	v_fmac_f64_e32 v[226:227], v[226:227], v[228:229]
	v_div_scale_f64 v[228:229], vcc, 1.0, v[210:211], 1.0
	v_mul_f64 v[230:231], v[228:229], v[226:227]
	v_fma_f64 v[208:209], -v[208:209], v[230:231], v[228:229]
	s_nop 1
	v_div_fmas_f64 v[208:209], v[208:209], v[226:227], v[230:231]
	v_div_fixup_f64 v[210:211], v[208:209], v[210:211], 1.0
	v_mul_f64 v[208:209], v[224:225], v[210:211]
	v_xor_b32_e32 v211, 0x80000000, v211
.LBB102_973:
	s_andn2_saveexec_b64 s[16:17], s[16:17]
	s_cbranch_execz .LBB102_975
; %bb.974:
	v_div_scale_f64 v[224:225], s[18:19], v[208:209], v[208:209], v[210:211]
	v_rcp_f64_e32 v[226:227], v[224:225]
	v_div_scale_f64 v[228:229], vcc, v[210:211], v[208:209], v[210:211]
	v_fma_f64 v[230:231], -v[224:225], v[226:227], 1.0
	v_fmac_f64_e32 v[226:227], v[226:227], v[230:231]
	v_fma_f64 v[230:231], -v[224:225], v[226:227], 1.0
	v_fmac_f64_e32 v[226:227], v[226:227], v[230:231]
	v_mul_f64 v[230:231], v[228:229], v[226:227]
	v_fma_f64 v[224:225], -v[224:225], v[230:231], v[228:229]
	v_div_fmas_f64 v[224:225], v[224:225], v[226:227], v[230:231]
	v_div_fixup_f64 v[224:225], v[224:225], v[208:209], v[210:211]
	v_fmac_f64_e32 v[208:209], v[210:211], v[224:225]
	v_div_scale_f64 v[210:211], s[18:19], v[208:209], v[208:209], 1.0
	v_rcp_f64_e32 v[226:227], v[210:211]
	s_nop 0
	v_fma_f64 v[228:229], -v[210:211], v[226:227], 1.0
	v_fmac_f64_e32 v[226:227], v[226:227], v[228:229]
	v_fma_f64 v[228:229], -v[210:211], v[226:227], 1.0
	v_fmac_f64_e32 v[226:227], v[226:227], v[228:229]
	v_div_scale_f64 v[228:229], vcc, 1.0, v[208:209], 1.0
	v_mul_f64 v[230:231], v[228:229], v[226:227]
	v_fma_f64 v[210:211], -v[210:211], v[230:231], v[228:229]
	s_nop 1
	v_div_fmas_f64 v[210:211], v[210:211], v[226:227], v[230:231]
	v_div_fixup_f64 v[208:209], v[210:211], v[208:209], 1.0
	v_mul_f64 v[210:211], v[224:225], -v[208:209]
.LBB102_975:
	s_or_b64 exec, exec, s[16:17]
.LBB102_976:
	s_or_b64 exec, exec, s[0:1]
	v_cmp_ne_u32_e32 vcc, v221, v218
	s_and_saveexec_b64 s[0:1], vcc
	s_xor_b64 s[0:1], exec, s[0:1]
	s_cbranch_execz .LBB102_982
; %bb.977:
	v_cmp_eq_u32_e32 vcc, 46, v221
	s_and_saveexec_b64 s[16:17], vcc
	s_cbranch_execz .LBB102_981
; %bb.978:
	v_cmp_ne_u32_e32 vcc, 46, v218
	s_xor_b64 s[18:19], s[14:15], -1
	s_and_b64 s[22:23], s[18:19], vcc
	s_and_saveexec_b64 s[18:19], s[22:23]
	s_cbranch_execz .LBB102_980
; %bb.979:
	v_ashrrev_i32_e32 v219, 31, v218
	v_lshl_add_u64 v[224:225], v[218:219], 2, v[216:217]
	global_load_dword v219, v[224:225], off
	global_load_dword v221, v[216:217], off offset:184
	s_waitcnt vmcnt(1)
	global_store_dword v[216:217], v219, off offset:184
	s_waitcnt vmcnt(1)
	global_store_dword v[224:225], v221, off
.LBB102_980:
	s_or_b64 exec, exec, s[18:19]
	v_mov_b32_e32 v221, v218
	v_mov_b32_e32 v223, v218
.LBB102_981:
	s_or_b64 exec, exec, s[16:17]
.LBB102_982:
	s_andn2_saveexec_b64 s[0:1], s[0:1]
	s_cbranch_execz .LBB102_984
; %bb.983:
	v_mov_b32_e32 v221, 46
	s_waitcnt vmcnt(4)
	ds_write2_b64 v220, v[12:13], v[14:15] offset0:94 offset1:95
	s_waitcnt vmcnt(3)
	ds_write2_b64 v220, v[8:9], v[10:11] offset0:96 offset1:97
	;; [unrolled: 2-line block ×5, first 2 shown]
.LBB102_984:
	s_or_b64 exec, exec, s[0:1]
	v_cmp_lt_i32_e32 vcc, 46, v221
	s_waitcnt lgkmcnt(0)
	s_barrier
	s_and_saveexec_b64 s[0:1], vcc
	s_cbranch_execz .LBB102_986
; %bb.985:
	ds_read2_b64 v[224:227], v220 offset0:94 offset1:95
	v_mul_f64 v[218:219], v[208:209], v[18:19]
	v_fmac_f64_e32 v[218:219], v[210:211], v[16:17]
	v_mul_f64 v[18:19], v[210:211], v[18:19]
	v_fma_f64 v[16:17], v[208:209], v[16:17], -v[18:19]
	ds_read2_b64 v[208:211], v220 offset0:96 offset1:97
	s_waitcnt lgkmcnt(1)
	v_mul_f64 v[18:19], v[226:227], v[218:219]
	v_fma_f64 v[18:19], v[224:225], v[16:17], -v[18:19]
	v_mul_f64 v[224:225], v[224:225], v[218:219]
	v_fmac_f64_e32 v[224:225], v[226:227], v[16:17]
	s_waitcnt vmcnt(4)
	v_add_f64 v[14:15], v[14:15], -v[224:225]
	ds_read2_b64 v[224:227], v220 offset0:98 offset1:99
	v_add_f64 v[12:13], v[12:13], -v[18:19]
	s_waitcnt lgkmcnt(1)
	v_mul_f64 v[18:19], v[210:211], v[218:219]
	v_fma_f64 v[18:19], v[208:209], v[16:17], -v[18:19]
	v_mul_f64 v[208:209], v[208:209], v[218:219]
	v_fmac_f64_e32 v[208:209], v[210:211], v[16:17]
	s_waitcnt vmcnt(3)
	v_add_f64 v[8:9], v[8:9], -v[18:19]
	v_add_f64 v[10:11], v[10:11], -v[208:209]
	ds_read2_b64 v[208:211], v220 offset0:100 offset1:101
	s_waitcnt lgkmcnt(1)
	v_mul_f64 v[18:19], v[226:227], v[218:219]
	v_fma_f64 v[18:19], v[224:225], v[16:17], -v[18:19]
	v_mul_f64 v[224:225], v[224:225], v[218:219]
	v_fmac_f64_e32 v[224:225], v[226:227], v[16:17]
	s_waitcnt vmcnt(2)
	v_add_f64 v[6:7], v[6:7], -v[224:225]
	ds_read2_b64 v[224:227], v220 offset0:102 offset1:103
	v_add_f64 v[4:5], v[4:5], -v[18:19]
	s_waitcnt lgkmcnt(1)
	v_mul_f64 v[18:19], v[210:211], v[218:219]
	v_fma_f64 v[18:19], v[208:209], v[16:17], -v[18:19]
	v_mul_f64 v[208:209], v[208:209], v[218:219]
	v_fmac_f64_e32 v[208:209], v[210:211], v[16:17]
	s_waitcnt vmcnt(1)
	v_add_f64 v[0:1], v[0:1], -v[18:19]
	v_add_f64 v[2:3], v[2:3], -v[208:209]
	s_waitcnt lgkmcnt(0)
	v_mul_f64 v[18:19], v[226:227], v[218:219]
	v_mul_f64 v[208:209], v[224:225], v[218:219]
	v_fma_f64 v[18:19], v[224:225], v[16:17], -v[18:19]
	v_fmac_f64_e32 v[208:209], v[226:227], v[16:17]
	s_waitcnt vmcnt(0)
	v_add_f64 v[204:205], v[204:205], -v[18:19]
	v_add_f64 v[206:207], v[206:207], -v[208:209]
	v_mov_b64_e32 v[18:19], v[218:219]
.LBB102_986:
	s_or_b64 exec, exec, s[0:1]
	v_lshl_add_u32 v208, v221, 4, v220
	s_barrier
	s_waitcnt vmcnt(4)
	ds_write2_b64 v208, v[12:13], v[14:15] offset1:1
	s_waitcnt lgkmcnt(0)
	s_barrier
	ds_read2_b64 v[208:211], v220 offset0:94 offset1:95
	s_cmp_lt_i32 s20, 49
	v_mov_b32_e32 v218, 47
	s_cbranch_scc1 .LBB102_989
; %bb.987:
	v_add_u32_e32 v219, 0x300, v220
	s_mov_b32 s16, 48
	v_mov_b32_e32 v218, 47
.LBB102_988:                            ; =>This Inner Loop Header: Depth=1
	ds_read2_b64 v[224:227], v219 offset1:1
	s_waitcnt lgkmcnt(1)
	v_xor_b32_e32 v229, 0x80000000, v209
	v_xor_b32_e32 v231, 0x80000000, v211
	v_cmp_gt_f64_e32 vcc, 0, v[210:211]
	v_cmp_gt_f64_e64 s[0:1], 0, v[208:209]
	v_mov_b32_e32 v228, v208
	v_mov_b32_e32 v230, v210
	v_cndmask_b32_e64 v229, v209, v229, s[0:1]
	v_cndmask_b32_e32 v231, v211, v231, vcc
	v_add_f64 v[228:229], v[228:229], v[230:231]
	s_waitcnt lgkmcnt(0)
	v_xor_b32_e32 v231, 0x80000000, v225
	v_xor_b32_e32 v233, 0x80000000, v227
	v_cmp_gt_f64_e32 vcc, 0, v[226:227]
	v_cmp_gt_f64_e64 s[0:1], 0, v[224:225]
	v_mov_b32_e32 v230, v224
	v_mov_b32_e32 v232, v226
	v_cndmask_b32_e64 v231, v225, v231, s[0:1]
	v_cndmask_b32_e32 v233, v227, v233, vcc
	v_add_f64 v[230:231], v[230:231], v[232:233]
	v_mov_b32_e32 v234, s16
	s_add_i32 s16, s16, 1
	v_cmp_lt_f64_e32 vcc, v[228:229], v[230:231]
	v_add_u32_e32 v219, 16, v219
	s_cmp_lg_u32 s20, s16
	v_cndmask_b32_e32 v209, v209, v225, vcc
	v_cndmask_b32_e32 v208, v208, v224, vcc
	;; [unrolled: 1-line block ×5, first 2 shown]
	s_cbranch_scc1 .LBB102_988
.LBB102_989:
	s_waitcnt lgkmcnt(0)
	v_cmp_eq_f64_e32 vcc, 0, v[208:209]
	v_cmp_eq_f64_e64 s[0:1], 0, v[210:211]
	s_and_b64 s[0:1], vcc, s[0:1]
	s_and_saveexec_b64 s[16:17], s[0:1]
	s_xor_b64 s[0:1], exec, s[16:17]
; %bb.990:
	v_cmp_ne_u32_e32 vcc, 0, v222
	s_nop 1
	v_cndmask_b32_e32 v222, 48, v222, vcc
; %bb.991:
	s_andn2_saveexec_b64 s[0:1], s[0:1]
	s_cbranch_execz .LBB102_997
; %bb.992:
	v_cmp_ngt_f64_e64 s[16:17], |v[208:209]|, |v[210:211]|
	s_and_saveexec_b64 s[18:19], s[16:17]
	s_xor_b64 s[16:17], exec, s[18:19]
	s_cbranch_execz .LBB102_994
; %bb.993:
	v_div_scale_f64 v[224:225], s[18:19], v[210:211], v[210:211], v[208:209]
	v_rcp_f64_e32 v[226:227], v[224:225]
	v_div_scale_f64 v[228:229], vcc, v[208:209], v[210:211], v[208:209]
	v_fma_f64 v[230:231], -v[224:225], v[226:227], 1.0
	v_fmac_f64_e32 v[226:227], v[226:227], v[230:231]
	v_fma_f64 v[230:231], -v[224:225], v[226:227], 1.0
	v_fmac_f64_e32 v[226:227], v[226:227], v[230:231]
	v_mul_f64 v[230:231], v[228:229], v[226:227]
	v_fma_f64 v[224:225], -v[224:225], v[230:231], v[228:229]
	v_div_fmas_f64 v[224:225], v[224:225], v[226:227], v[230:231]
	v_div_fixup_f64 v[224:225], v[224:225], v[210:211], v[208:209]
	v_fmac_f64_e32 v[210:211], v[208:209], v[224:225]
	v_div_scale_f64 v[208:209], s[18:19], v[210:211], v[210:211], 1.0
	v_rcp_f64_e32 v[226:227], v[208:209]
	s_nop 0
	v_fma_f64 v[228:229], -v[208:209], v[226:227], 1.0
	v_fmac_f64_e32 v[226:227], v[226:227], v[228:229]
	v_fma_f64 v[228:229], -v[208:209], v[226:227], 1.0
	v_fmac_f64_e32 v[226:227], v[226:227], v[228:229]
	v_div_scale_f64 v[228:229], vcc, 1.0, v[210:211], 1.0
	v_mul_f64 v[230:231], v[228:229], v[226:227]
	v_fma_f64 v[208:209], -v[208:209], v[230:231], v[228:229]
	s_nop 1
	v_div_fmas_f64 v[208:209], v[208:209], v[226:227], v[230:231]
	v_div_fixup_f64 v[210:211], v[208:209], v[210:211], 1.0
	v_mul_f64 v[208:209], v[224:225], v[210:211]
	v_xor_b32_e32 v211, 0x80000000, v211
.LBB102_994:
	s_andn2_saveexec_b64 s[16:17], s[16:17]
	s_cbranch_execz .LBB102_996
; %bb.995:
	v_div_scale_f64 v[224:225], s[18:19], v[208:209], v[208:209], v[210:211]
	v_rcp_f64_e32 v[226:227], v[224:225]
	v_div_scale_f64 v[228:229], vcc, v[210:211], v[208:209], v[210:211]
	v_fma_f64 v[230:231], -v[224:225], v[226:227], 1.0
	v_fmac_f64_e32 v[226:227], v[226:227], v[230:231]
	v_fma_f64 v[230:231], -v[224:225], v[226:227], 1.0
	v_fmac_f64_e32 v[226:227], v[226:227], v[230:231]
	v_mul_f64 v[230:231], v[228:229], v[226:227]
	v_fma_f64 v[224:225], -v[224:225], v[230:231], v[228:229]
	v_div_fmas_f64 v[224:225], v[224:225], v[226:227], v[230:231]
	v_div_fixup_f64 v[224:225], v[224:225], v[208:209], v[210:211]
	v_fmac_f64_e32 v[208:209], v[210:211], v[224:225]
	v_div_scale_f64 v[210:211], s[18:19], v[208:209], v[208:209], 1.0
	v_rcp_f64_e32 v[226:227], v[210:211]
	s_nop 0
	v_fma_f64 v[228:229], -v[210:211], v[226:227], 1.0
	v_fmac_f64_e32 v[226:227], v[226:227], v[228:229]
	v_fma_f64 v[228:229], -v[210:211], v[226:227], 1.0
	v_fmac_f64_e32 v[226:227], v[226:227], v[228:229]
	v_div_scale_f64 v[228:229], vcc, 1.0, v[208:209], 1.0
	v_mul_f64 v[230:231], v[228:229], v[226:227]
	v_fma_f64 v[210:211], -v[210:211], v[230:231], v[228:229]
	s_nop 1
	v_div_fmas_f64 v[210:211], v[210:211], v[226:227], v[230:231]
	v_div_fixup_f64 v[208:209], v[210:211], v[208:209], 1.0
	v_mul_f64 v[210:211], v[224:225], -v[208:209]
.LBB102_996:
	s_or_b64 exec, exec, s[16:17]
.LBB102_997:
	s_or_b64 exec, exec, s[0:1]
	v_cmp_ne_u32_e32 vcc, v221, v218
	s_and_saveexec_b64 s[0:1], vcc
	s_xor_b64 s[0:1], exec, s[0:1]
	s_cbranch_execz .LBB102_1003
; %bb.998:
	v_cmp_eq_u32_e32 vcc, 47, v221
	s_and_saveexec_b64 s[16:17], vcc
	s_cbranch_execz .LBB102_1002
; %bb.999:
	v_cmp_ne_u32_e32 vcc, 47, v218
	s_xor_b64 s[18:19], s[14:15], -1
	s_and_b64 s[22:23], s[18:19], vcc
	s_and_saveexec_b64 s[18:19], s[22:23]
	s_cbranch_execz .LBB102_1001
; %bb.1000:
	v_ashrrev_i32_e32 v219, 31, v218
	v_lshl_add_u64 v[224:225], v[218:219], 2, v[216:217]
	global_load_dword v219, v[224:225], off
	global_load_dword v221, v[216:217], off offset:188
	s_waitcnt vmcnt(1)
	global_store_dword v[216:217], v219, off offset:188
	s_waitcnt vmcnt(1)
	global_store_dword v[224:225], v221, off
.LBB102_1001:
	s_or_b64 exec, exec, s[18:19]
	v_mov_b32_e32 v221, v218
	v_mov_b32_e32 v223, v218
.LBB102_1002:
	s_or_b64 exec, exec, s[16:17]
.LBB102_1003:
	s_andn2_saveexec_b64 s[0:1], s[0:1]
	s_cbranch_execz .LBB102_1005
; %bb.1004:
	v_mov_b32_e32 v221, 47
	s_waitcnt vmcnt(3)
	ds_write2_b64 v220, v[8:9], v[10:11] offset0:96 offset1:97
	s_waitcnt vmcnt(2)
	ds_write2_b64 v220, v[4:5], v[6:7] offset0:98 offset1:99
	;; [unrolled: 2-line block ×4, first 2 shown]
.LBB102_1005:
	s_or_b64 exec, exec, s[0:1]
	v_cmp_lt_i32_e32 vcc, 47, v221
	s_waitcnt lgkmcnt(0)
	s_barrier
	s_and_saveexec_b64 s[0:1], vcc
	s_cbranch_execz .LBB102_1007
; %bb.1006:
	ds_read2_b64 v[224:227], v220 offset0:96 offset1:97
	v_mul_f64 v[218:219], v[208:209], v[14:15]
	v_mul_f64 v[14:15], v[210:211], v[14:15]
	v_fmac_f64_e32 v[218:219], v[210:211], v[12:13]
	v_fma_f64 v[12:13], v[208:209], v[12:13], -v[14:15]
	ds_read2_b64 v[208:211], v220 offset0:98 offset1:99
	s_waitcnt lgkmcnt(1)
	v_mul_f64 v[14:15], v[226:227], v[218:219]
	v_fma_f64 v[14:15], v[224:225], v[12:13], -v[14:15]
	v_mul_f64 v[224:225], v[224:225], v[218:219]
	v_fmac_f64_e32 v[224:225], v[226:227], v[12:13]
	s_waitcnt vmcnt(3)
	v_add_f64 v[8:9], v[8:9], -v[14:15]
	s_waitcnt lgkmcnt(0)
	v_mul_f64 v[14:15], v[210:211], v[218:219]
	v_add_f64 v[10:11], v[10:11], -v[224:225]
	v_fma_f64 v[14:15], v[208:209], v[12:13], -v[14:15]
	v_mul_f64 v[208:209], v[208:209], v[218:219]
	ds_read2_b64 v[224:227], v220 offset0:100 offset1:101
	v_fmac_f64_e32 v[208:209], v[210:211], v[12:13]
	s_waitcnt vmcnt(2)
	v_add_f64 v[6:7], v[6:7], -v[208:209]
	ds_read2_b64 v[208:211], v220 offset0:102 offset1:103
	v_add_f64 v[4:5], v[4:5], -v[14:15]
	s_waitcnt lgkmcnt(1)
	v_mul_f64 v[14:15], v[226:227], v[218:219]
	v_fma_f64 v[14:15], v[224:225], v[12:13], -v[14:15]
	s_waitcnt vmcnt(1)
	v_add_f64 v[0:1], v[0:1], -v[14:15]
	s_waitcnt lgkmcnt(0)
	v_mul_f64 v[14:15], v[210:211], v[218:219]
	v_mul_f64 v[224:225], v[224:225], v[218:219]
	v_fma_f64 v[14:15], v[208:209], v[12:13], -v[14:15]
	v_mul_f64 v[208:209], v[208:209], v[218:219]
	v_fmac_f64_e32 v[224:225], v[226:227], v[12:13]
	v_fmac_f64_e32 v[208:209], v[210:211], v[12:13]
	v_add_f64 v[2:3], v[2:3], -v[224:225]
	s_waitcnt vmcnt(0)
	v_add_f64 v[204:205], v[204:205], -v[14:15]
	v_add_f64 v[206:207], v[206:207], -v[208:209]
	v_mov_b64_e32 v[14:15], v[218:219]
.LBB102_1007:
	s_or_b64 exec, exec, s[0:1]
	v_lshl_add_u32 v208, v221, 4, v220
	s_barrier
	s_waitcnt vmcnt(3)
	ds_write2_b64 v208, v[8:9], v[10:11] offset1:1
	s_waitcnt lgkmcnt(0)
	s_barrier
	ds_read2_b64 v[208:211], v220 offset0:96 offset1:97
	s_cmp_lt_i32 s20, 50
	v_mov_b32_e32 v218, 48
	s_cbranch_scc1 .LBB102_1010
; %bb.1008:
	v_add_u32_e32 v219, 0x310, v220
	s_mov_b32 s16, 49
	v_mov_b32_e32 v218, 48
.LBB102_1009:                           ; =>This Inner Loop Header: Depth=1
	ds_read2_b64 v[224:227], v219 offset1:1
	s_waitcnt lgkmcnt(1)
	v_xor_b32_e32 v229, 0x80000000, v209
	v_xor_b32_e32 v231, 0x80000000, v211
	v_cmp_gt_f64_e32 vcc, 0, v[210:211]
	v_cmp_gt_f64_e64 s[0:1], 0, v[208:209]
	v_mov_b32_e32 v228, v208
	v_mov_b32_e32 v230, v210
	v_cndmask_b32_e64 v229, v209, v229, s[0:1]
	v_cndmask_b32_e32 v231, v211, v231, vcc
	v_add_f64 v[228:229], v[228:229], v[230:231]
	s_waitcnt lgkmcnt(0)
	v_xor_b32_e32 v231, 0x80000000, v225
	v_xor_b32_e32 v233, 0x80000000, v227
	v_cmp_gt_f64_e32 vcc, 0, v[226:227]
	v_cmp_gt_f64_e64 s[0:1], 0, v[224:225]
	v_mov_b32_e32 v230, v224
	v_mov_b32_e32 v232, v226
	v_cndmask_b32_e64 v231, v225, v231, s[0:1]
	v_cndmask_b32_e32 v233, v227, v233, vcc
	v_add_f64 v[230:231], v[230:231], v[232:233]
	v_mov_b32_e32 v234, s16
	s_add_i32 s16, s16, 1
	v_cmp_lt_f64_e32 vcc, v[228:229], v[230:231]
	v_add_u32_e32 v219, 16, v219
	s_cmp_lg_u32 s20, s16
	v_cndmask_b32_e32 v209, v209, v225, vcc
	v_cndmask_b32_e32 v208, v208, v224, vcc
	;; [unrolled: 1-line block ×5, first 2 shown]
	s_cbranch_scc1 .LBB102_1009
.LBB102_1010:
	s_waitcnt lgkmcnt(0)
	v_cmp_eq_f64_e32 vcc, 0, v[208:209]
	v_cmp_eq_f64_e64 s[0:1], 0, v[210:211]
	s_and_b64 s[0:1], vcc, s[0:1]
	s_and_saveexec_b64 s[16:17], s[0:1]
	s_xor_b64 s[0:1], exec, s[16:17]
; %bb.1011:
	v_cmp_ne_u32_e32 vcc, 0, v222
	s_nop 1
	v_cndmask_b32_e32 v222, 49, v222, vcc
; %bb.1012:
	s_andn2_saveexec_b64 s[0:1], s[0:1]
	s_cbranch_execz .LBB102_1018
; %bb.1013:
	v_cmp_ngt_f64_e64 s[16:17], |v[208:209]|, |v[210:211]|
	s_and_saveexec_b64 s[18:19], s[16:17]
	s_xor_b64 s[16:17], exec, s[18:19]
	s_cbranch_execz .LBB102_1015
; %bb.1014:
	v_div_scale_f64 v[224:225], s[18:19], v[210:211], v[210:211], v[208:209]
	v_rcp_f64_e32 v[226:227], v[224:225]
	v_div_scale_f64 v[228:229], vcc, v[208:209], v[210:211], v[208:209]
	v_fma_f64 v[230:231], -v[224:225], v[226:227], 1.0
	v_fmac_f64_e32 v[226:227], v[226:227], v[230:231]
	v_fma_f64 v[230:231], -v[224:225], v[226:227], 1.0
	v_fmac_f64_e32 v[226:227], v[226:227], v[230:231]
	v_mul_f64 v[230:231], v[228:229], v[226:227]
	v_fma_f64 v[224:225], -v[224:225], v[230:231], v[228:229]
	v_div_fmas_f64 v[224:225], v[224:225], v[226:227], v[230:231]
	v_div_fixup_f64 v[224:225], v[224:225], v[210:211], v[208:209]
	v_fmac_f64_e32 v[210:211], v[208:209], v[224:225]
	v_div_scale_f64 v[208:209], s[18:19], v[210:211], v[210:211], 1.0
	v_rcp_f64_e32 v[226:227], v[208:209]
	s_nop 0
	v_fma_f64 v[228:229], -v[208:209], v[226:227], 1.0
	v_fmac_f64_e32 v[226:227], v[226:227], v[228:229]
	v_fma_f64 v[228:229], -v[208:209], v[226:227], 1.0
	v_fmac_f64_e32 v[226:227], v[226:227], v[228:229]
	v_div_scale_f64 v[228:229], vcc, 1.0, v[210:211], 1.0
	v_mul_f64 v[230:231], v[228:229], v[226:227]
	v_fma_f64 v[208:209], -v[208:209], v[230:231], v[228:229]
	s_nop 1
	v_div_fmas_f64 v[208:209], v[208:209], v[226:227], v[230:231]
	v_div_fixup_f64 v[210:211], v[208:209], v[210:211], 1.0
	v_mul_f64 v[208:209], v[224:225], v[210:211]
	v_xor_b32_e32 v211, 0x80000000, v211
.LBB102_1015:
	s_andn2_saveexec_b64 s[16:17], s[16:17]
	s_cbranch_execz .LBB102_1017
; %bb.1016:
	v_div_scale_f64 v[224:225], s[18:19], v[208:209], v[208:209], v[210:211]
	v_rcp_f64_e32 v[226:227], v[224:225]
	v_div_scale_f64 v[228:229], vcc, v[210:211], v[208:209], v[210:211]
	v_fma_f64 v[230:231], -v[224:225], v[226:227], 1.0
	v_fmac_f64_e32 v[226:227], v[226:227], v[230:231]
	v_fma_f64 v[230:231], -v[224:225], v[226:227], 1.0
	v_fmac_f64_e32 v[226:227], v[226:227], v[230:231]
	v_mul_f64 v[230:231], v[228:229], v[226:227]
	v_fma_f64 v[224:225], -v[224:225], v[230:231], v[228:229]
	v_div_fmas_f64 v[224:225], v[224:225], v[226:227], v[230:231]
	v_div_fixup_f64 v[224:225], v[224:225], v[208:209], v[210:211]
	v_fmac_f64_e32 v[208:209], v[210:211], v[224:225]
	v_div_scale_f64 v[210:211], s[18:19], v[208:209], v[208:209], 1.0
	v_rcp_f64_e32 v[226:227], v[210:211]
	s_nop 0
	v_fma_f64 v[228:229], -v[210:211], v[226:227], 1.0
	v_fmac_f64_e32 v[226:227], v[226:227], v[228:229]
	v_fma_f64 v[228:229], -v[210:211], v[226:227], 1.0
	v_fmac_f64_e32 v[226:227], v[226:227], v[228:229]
	v_div_scale_f64 v[228:229], vcc, 1.0, v[208:209], 1.0
	v_mul_f64 v[230:231], v[228:229], v[226:227]
	v_fma_f64 v[210:211], -v[210:211], v[230:231], v[228:229]
	s_nop 1
	v_div_fmas_f64 v[210:211], v[210:211], v[226:227], v[230:231]
	v_div_fixup_f64 v[208:209], v[210:211], v[208:209], 1.0
	v_mul_f64 v[210:211], v[224:225], -v[208:209]
.LBB102_1017:
	s_or_b64 exec, exec, s[16:17]
.LBB102_1018:
	s_or_b64 exec, exec, s[0:1]
	v_cmp_ne_u32_e32 vcc, v221, v218
	s_and_saveexec_b64 s[0:1], vcc
	s_xor_b64 s[0:1], exec, s[0:1]
	s_cbranch_execz .LBB102_1024
; %bb.1019:
	v_cmp_eq_u32_e32 vcc, 48, v221
	s_and_saveexec_b64 s[16:17], vcc
	s_cbranch_execz .LBB102_1023
; %bb.1020:
	v_cmp_ne_u32_e32 vcc, 48, v218
	s_xor_b64 s[18:19], s[14:15], -1
	s_and_b64 s[22:23], s[18:19], vcc
	s_and_saveexec_b64 s[18:19], s[22:23]
	s_cbranch_execz .LBB102_1022
; %bb.1021:
	v_ashrrev_i32_e32 v219, 31, v218
	v_lshl_add_u64 v[224:225], v[218:219], 2, v[216:217]
	global_load_dword v219, v[224:225], off
	global_load_dword v221, v[216:217], off offset:192
	s_waitcnt vmcnt(1)
	global_store_dword v[216:217], v219, off offset:192
	s_waitcnt vmcnt(1)
	global_store_dword v[224:225], v221, off
.LBB102_1022:
	s_or_b64 exec, exec, s[18:19]
	v_mov_b32_e32 v221, v218
	v_mov_b32_e32 v223, v218
.LBB102_1023:
	s_or_b64 exec, exec, s[16:17]
.LBB102_1024:
	s_andn2_saveexec_b64 s[0:1], s[0:1]
	s_cbranch_execz .LBB102_1026
; %bb.1025:
	v_mov_b32_e32 v221, 48
	s_waitcnt vmcnt(2)
	ds_write2_b64 v220, v[4:5], v[6:7] offset0:98 offset1:99
	s_waitcnt vmcnt(1)
	ds_write2_b64 v220, v[0:1], v[2:3] offset0:100 offset1:101
	;; [unrolled: 2-line block ×3, first 2 shown]
.LBB102_1026:
	s_or_b64 exec, exec, s[0:1]
	v_cmp_lt_i32_e32 vcc, 48, v221
	s_waitcnt lgkmcnt(0)
	s_barrier
	s_and_saveexec_b64 s[0:1], vcc
	s_cbranch_execz .LBB102_1028
; %bb.1027:
	ds_read2_b64 v[224:227], v220 offset0:98 offset1:99
	v_mul_f64 v[218:219], v[208:209], v[10:11]
	v_fmac_f64_e32 v[218:219], v[210:211], v[8:9]
	v_mul_f64 v[10:11], v[210:211], v[10:11]
	v_fma_f64 v[8:9], v[208:209], v[8:9], -v[10:11]
	ds_read2_b64 v[208:211], v220 offset0:100 offset1:101
	s_waitcnt lgkmcnt(1)
	v_mul_f64 v[10:11], v[226:227], v[218:219]
	v_fma_f64 v[10:11], v[224:225], v[8:9], -v[10:11]
	v_mul_f64 v[224:225], v[224:225], v[218:219]
	v_fmac_f64_e32 v[224:225], v[226:227], v[8:9]
	s_waitcnt vmcnt(2)
	v_add_f64 v[6:7], v[6:7], -v[224:225]
	ds_read2_b64 v[224:227], v220 offset0:102 offset1:103
	v_add_f64 v[4:5], v[4:5], -v[10:11]
	s_waitcnt lgkmcnt(1)
	v_mul_f64 v[10:11], v[210:211], v[218:219]
	v_fma_f64 v[10:11], v[208:209], v[8:9], -v[10:11]
	v_mul_f64 v[208:209], v[208:209], v[218:219]
	v_fmac_f64_e32 v[208:209], v[210:211], v[8:9]
	s_waitcnt vmcnt(1)
	v_add_f64 v[0:1], v[0:1], -v[10:11]
	v_add_f64 v[2:3], v[2:3], -v[208:209]
	s_waitcnt lgkmcnt(0)
	v_mul_f64 v[10:11], v[226:227], v[218:219]
	v_mul_f64 v[208:209], v[224:225], v[218:219]
	v_fma_f64 v[10:11], v[224:225], v[8:9], -v[10:11]
	v_fmac_f64_e32 v[208:209], v[226:227], v[8:9]
	s_waitcnt vmcnt(0)
	v_add_f64 v[204:205], v[204:205], -v[10:11]
	v_add_f64 v[206:207], v[206:207], -v[208:209]
	v_mov_b64_e32 v[10:11], v[218:219]
.LBB102_1028:
	s_or_b64 exec, exec, s[0:1]
	v_lshl_add_u32 v208, v221, 4, v220
	s_barrier
	s_waitcnt vmcnt(2)
	ds_write2_b64 v208, v[4:5], v[6:7] offset1:1
	s_waitcnt lgkmcnt(0)
	s_barrier
	ds_read2_b64 v[208:211], v220 offset0:98 offset1:99
	s_cmp_lt_i32 s20, 51
	v_mov_b32_e32 v218, 49
	s_cbranch_scc1 .LBB102_1031
; %bb.1029:
	v_add_u32_e32 v219, 0x320, v220
	s_mov_b32 s16, 50
	v_mov_b32_e32 v218, 49
.LBB102_1030:                           ; =>This Inner Loop Header: Depth=1
	ds_read2_b64 v[224:227], v219 offset1:1
	s_waitcnt lgkmcnt(1)
	v_xor_b32_e32 v229, 0x80000000, v209
	v_xor_b32_e32 v231, 0x80000000, v211
	v_cmp_gt_f64_e32 vcc, 0, v[210:211]
	v_cmp_gt_f64_e64 s[0:1], 0, v[208:209]
	v_mov_b32_e32 v228, v208
	v_mov_b32_e32 v230, v210
	v_cndmask_b32_e64 v229, v209, v229, s[0:1]
	v_cndmask_b32_e32 v231, v211, v231, vcc
	v_add_f64 v[228:229], v[228:229], v[230:231]
	s_waitcnt lgkmcnt(0)
	v_xor_b32_e32 v231, 0x80000000, v225
	v_xor_b32_e32 v233, 0x80000000, v227
	v_cmp_gt_f64_e32 vcc, 0, v[226:227]
	v_cmp_gt_f64_e64 s[0:1], 0, v[224:225]
	v_mov_b32_e32 v230, v224
	v_mov_b32_e32 v232, v226
	v_cndmask_b32_e64 v231, v225, v231, s[0:1]
	v_cndmask_b32_e32 v233, v227, v233, vcc
	v_add_f64 v[230:231], v[230:231], v[232:233]
	v_mov_b32_e32 v234, s16
	s_add_i32 s16, s16, 1
	v_cmp_lt_f64_e32 vcc, v[228:229], v[230:231]
	v_add_u32_e32 v219, 16, v219
	s_cmp_lg_u32 s20, s16
	v_cndmask_b32_e32 v209, v209, v225, vcc
	v_cndmask_b32_e32 v208, v208, v224, vcc
	;; [unrolled: 1-line block ×5, first 2 shown]
	s_cbranch_scc1 .LBB102_1030
.LBB102_1031:
	s_waitcnt lgkmcnt(0)
	v_cmp_eq_f64_e32 vcc, 0, v[208:209]
	v_cmp_eq_f64_e64 s[0:1], 0, v[210:211]
	s_and_b64 s[0:1], vcc, s[0:1]
	s_and_saveexec_b64 s[16:17], s[0:1]
	s_xor_b64 s[0:1], exec, s[16:17]
; %bb.1032:
	v_cmp_ne_u32_e32 vcc, 0, v222
	s_nop 1
	v_cndmask_b32_e32 v222, 50, v222, vcc
; %bb.1033:
	s_andn2_saveexec_b64 s[0:1], s[0:1]
	s_cbranch_execz .LBB102_1039
; %bb.1034:
	v_cmp_ngt_f64_e64 s[16:17], |v[208:209]|, |v[210:211]|
	s_and_saveexec_b64 s[18:19], s[16:17]
	s_xor_b64 s[16:17], exec, s[18:19]
	s_cbranch_execz .LBB102_1036
; %bb.1035:
	v_div_scale_f64 v[224:225], s[18:19], v[210:211], v[210:211], v[208:209]
	v_rcp_f64_e32 v[226:227], v[224:225]
	v_div_scale_f64 v[228:229], vcc, v[208:209], v[210:211], v[208:209]
	v_fma_f64 v[230:231], -v[224:225], v[226:227], 1.0
	v_fmac_f64_e32 v[226:227], v[226:227], v[230:231]
	v_fma_f64 v[230:231], -v[224:225], v[226:227], 1.0
	v_fmac_f64_e32 v[226:227], v[226:227], v[230:231]
	v_mul_f64 v[230:231], v[228:229], v[226:227]
	v_fma_f64 v[224:225], -v[224:225], v[230:231], v[228:229]
	v_div_fmas_f64 v[224:225], v[224:225], v[226:227], v[230:231]
	v_div_fixup_f64 v[224:225], v[224:225], v[210:211], v[208:209]
	v_fmac_f64_e32 v[210:211], v[208:209], v[224:225]
	v_div_scale_f64 v[208:209], s[18:19], v[210:211], v[210:211], 1.0
	v_rcp_f64_e32 v[226:227], v[208:209]
	s_nop 0
	v_fma_f64 v[228:229], -v[208:209], v[226:227], 1.0
	v_fmac_f64_e32 v[226:227], v[226:227], v[228:229]
	v_fma_f64 v[228:229], -v[208:209], v[226:227], 1.0
	v_fmac_f64_e32 v[226:227], v[226:227], v[228:229]
	v_div_scale_f64 v[228:229], vcc, 1.0, v[210:211], 1.0
	v_mul_f64 v[230:231], v[228:229], v[226:227]
	v_fma_f64 v[208:209], -v[208:209], v[230:231], v[228:229]
	s_nop 1
	v_div_fmas_f64 v[208:209], v[208:209], v[226:227], v[230:231]
	v_div_fixup_f64 v[210:211], v[208:209], v[210:211], 1.0
	v_mul_f64 v[208:209], v[224:225], v[210:211]
	v_xor_b32_e32 v211, 0x80000000, v211
.LBB102_1036:
	s_andn2_saveexec_b64 s[16:17], s[16:17]
	s_cbranch_execz .LBB102_1038
; %bb.1037:
	v_div_scale_f64 v[224:225], s[18:19], v[208:209], v[208:209], v[210:211]
	v_rcp_f64_e32 v[226:227], v[224:225]
	v_div_scale_f64 v[228:229], vcc, v[210:211], v[208:209], v[210:211]
	v_fma_f64 v[230:231], -v[224:225], v[226:227], 1.0
	v_fmac_f64_e32 v[226:227], v[226:227], v[230:231]
	v_fma_f64 v[230:231], -v[224:225], v[226:227], 1.0
	v_fmac_f64_e32 v[226:227], v[226:227], v[230:231]
	v_mul_f64 v[230:231], v[228:229], v[226:227]
	v_fma_f64 v[224:225], -v[224:225], v[230:231], v[228:229]
	v_div_fmas_f64 v[224:225], v[224:225], v[226:227], v[230:231]
	v_div_fixup_f64 v[224:225], v[224:225], v[208:209], v[210:211]
	v_fmac_f64_e32 v[208:209], v[210:211], v[224:225]
	v_div_scale_f64 v[210:211], s[18:19], v[208:209], v[208:209], 1.0
	v_rcp_f64_e32 v[226:227], v[210:211]
	s_nop 0
	v_fma_f64 v[228:229], -v[210:211], v[226:227], 1.0
	v_fmac_f64_e32 v[226:227], v[226:227], v[228:229]
	v_fma_f64 v[228:229], -v[210:211], v[226:227], 1.0
	v_fmac_f64_e32 v[226:227], v[226:227], v[228:229]
	v_div_scale_f64 v[228:229], vcc, 1.0, v[208:209], 1.0
	v_mul_f64 v[230:231], v[228:229], v[226:227]
	v_fma_f64 v[210:211], -v[210:211], v[230:231], v[228:229]
	s_nop 1
	v_div_fmas_f64 v[210:211], v[210:211], v[226:227], v[230:231]
	v_div_fixup_f64 v[208:209], v[210:211], v[208:209], 1.0
	v_mul_f64 v[210:211], v[224:225], -v[208:209]
.LBB102_1038:
	s_or_b64 exec, exec, s[16:17]
.LBB102_1039:
	s_or_b64 exec, exec, s[0:1]
	v_cmp_ne_u32_e32 vcc, v221, v218
	s_and_saveexec_b64 s[0:1], vcc
	s_xor_b64 s[0:1], exec, s[0:1]
	s_cbranch_execz .LBB102_1045
; %bb.1040:
	v_cmp_eq_u32_e32 vcc, 49, v221
	s_and_saveexec_b64 s[16:17], vcc
	s_cbranch_execz .LBB102_1044
; %bb.1041:
	v_cmp_ne_u32_e32 vcc, 49, v218
	s_xor_b64 s[18:19], s[14:15], -1
	s_and_b64 s[22:23], s[18:19], vcc
	s_and_saveexec_b64 s[18:19], s[22:23]
	s_cbranch_execz .LBB102_1043
; %bb.1042:
	v_ashrrev_i32_e32 v219, 31, v218
	v_lshl_add_u64 v[224:225], v[218:219], 2, v[216:217]
	global_load_dword v219, v[224:225], off
	global_load_dword v221, v[216:217], off offset:196
	s_waitcnt vmcnt(1)
	global_store_dword v[216:217], v219, off offset:196
	s_waitcnt vmcnt(1)
	global_store_dword v[224:225], v221, off
.LBB102_1043:
	s_or_b64 exec, exec, s[18:19]
	v_mov_b32_e32 v221, v218
	v_mov_b32_e32 v223, v218
.LBB102_1044:
	s_or_b64 exec, exec, s[16:17]
.LBB102_1045:
	s_andn2_saveexec_b64 s[0:1], s[0:1]
	s_cbranch_execz .LBB102_1047
; %bb.1046:
	v_mov_b32_e32 v221, 49
	s_waitcnt vmcnt(1)
	ds_write2_b64 v220, v[0:1], v[2:3] offset0:100 offset1:101
	s_waitcnt vmcnt(0)
	ds_write2_b64 v220, v[204:205], v[206:207] offset0:102 offset1:103
.LBB102_1047:
	s_or_b64 exec, exec, s[0:1]
	v_cmp_lt_i32_e32 vcc, 49, v221
	s_waitcnt lgkmcnt(0)
	s_barrier
	s_and_saveexec_b64 s[0:1], vcc
	s_cbranch_execz .LBB102_1049
; %bb.1048:
	ds_read2_b64 v[224:227], v220 offset0:100 offset1:101
	v_mul_f64 v[218:219], v[208:209], v[6:7]
	v_mul_f64 v[6:7], v[210:211], v[6:7]
	v_fmac_f64_e32 v[218:219], v[210:211], v[4:5]
	v_fma_f64 v[4:5], v[208:209], v[4:5], -v[6:7]
	ds_read2_b64 v[208:211], v220 offset0:102 offset1:103
	s_waitcnt lgkmcnt(1)
	v_mul_f64 v[6:7], v[226:227], v[218:219]
	v_fma_f64 v[6:7], v[224:225], v[4:5], -v[6:7]
	s_waitcnt vmcnt(1)
	v_add_f64 v[0:1], v[0:1], -v[6:7]
	v_mul_f64 v[224:225], v[224:225], v[218:219]
	s_waitcnt lgkmcnt(0)
	v_mul_f64 v[6:7], v[210:211], v[218:219]
	v_fma_f64 v[6:7], v[208:209], v[4:5], -v[6:7]
	v_mul_f64 v[208:209], v[208:209], v[218:219]
	v_fmac_f64_e32 v[224:225], v[226:227], v[4:5]
	v_fmac_f64_e32 v[208:209], v[210:211], v[4:5]
	v_add_f64 v[2:3], v[2:3], -v[224:225]
	s_waitcnt vmcnt(0)
	v_add_f64 v[204:205], v[204:205], -v[6:7]
	v_add_f64 v[206:207], v[206:207], -v[208:209]
	v_mov_b64_e32 v[6:7], v[218:219]
.LBB102_1049:
	s_or_b64 exec, exec, s[0:1]
	v_lshl_add_u32 v208, v221, 4, v220
	s_barrier
	s_waitcnt vmcnt(1)
	ds_write2_b64 v208, v[0:1], v[2:3] offset1:1
	s_waitcnt lgkmcnt(0)
	s_barrier
	ds_read2_b64 v[208:211], v220 offset0:100 offset1:101
	s_cmp_lt_i32 s20, 52
	v_mov_b32_e32 v218, 50
	s_cbranch_scc1 .LBB102_1052
; %bb.1050:
	v_add_u32_e32 v219, 0x330, v220
	s_mov_b32 s16, 51
	v_mov_b32_e32 v218, 50
.LBB102_1051:                           ; =>This Inner Loop Header: Depth=1
	ds_read2_b64 v[224:227], v219 offset1:1
	s_waitcnt lgkmcnt(1)
	v_xor_b32_e32 v229, 0x80000000, v209
	v_xor_b32_e32 v231, 0x80000000, v211
	v_cmp_gt_f64_e32 vcc, 0, v[210:211]
	v_cmp_gt_f64_e64 s[0:1], 0, v[208:209]
	v_mov_b32_e32 v228, v208
	v_mov_b32_e32 v230, v210
	v_cndmask_b32_e64 v229, v209, v229, s[0:1]
	v_cndmask_b32_e32 v231, v211, v231, vcc
	v_add_f64 v[228:229], v[228:229], v[230:231]
	s_waitcnt lgkmcnt(0)
	v_xor_b32_e32 v231, 0x80000000, v225
	v_xor_b32_e32 v233, 0x80000000, v227
	v_cmp_gt_f64_e32 vcc, 0, v[226:227]
	v_cmp_gt_f64_e64 s[0:1], 0, v[224:225]
	v_mov_b32_e32 v230, v224
	v_mov_b32_e32 v232, v226
	v_cndmask_b32_e64 v231, v225, v231, s[0:1]
	v_cndmask_b32_e32 v233, v227, v233, vcc
	v_add_f64 v[230:231], v[230:231], v[232:233]
	v_mov_b32_e32 v234, s16
	s_add_i32 s16, s16, 1
	v_cmp_lt_f64_e32 vcc, v[228:229], v[230:231]
	v_add_u32_e32 v219, 16, v219
	s_cmp_lg_u32 s20, s16
	v_cndmask_b32_e32 v209, v209, v225, vcc
	v_cndmask_b32_e32 v208, v208, v224, vcc
	;; [unrolled: 1-line block ×5, first 2 shown]
	s_cbranch_scc1 .LBB102_1051
.LBB102_1052:
	s_waitcnt lgkmcnt(0)
	v_cmp_eq_f64_e32 vcc, 0, v[208:209]
	v_cmp_eq_f64_e64 s[0:1], 0, v[210:211]
	s_and_b64 s[0:1], vcc, s[0:1]
	s_and_saveexec_b64 s[16:17], s[0:1]
	s_xor_b64 s[0:1], exec, s[16:17]
; %bb.1053:
	v_cmp_ne_u32_e32 vcc, 0, v222
	s_nop 1
	v_cndmask_b32_e32 v222, 51, v222, vcc
; %bb.1054:
	s_andn2_saveexec_b64 s[0:1], s[0:1]
	s_cbranch_execz .LBB102_1060
; %bb.1055:
	v_cmp_ngt_f64_e64 s[16:17], |v[208:209]|, |v[210:211]|
	s_and_saveexec_b64 s[18:19], s[16:17]
	s_xor_b64 s[16:17], exec, s[18:19]
	s_cbranch_execz .LBB102_1057
; %bb.1056:
	v_div_scale_f64 v[224:225], s[18:19], v[210:211], v[210:211], v[208:209]
	v_rcp_f64_e32 v[226:227], v[224:225]
	v_div_scale_f64 v[228:229], vcc, v[208:209], v[210:211], v[208:209]
	v_fma_f64 v[230:231], -v[224:225], v[226:227], 1.0
	v_fmac_f64_e32 v[226:227], v[226:227], v[230:231]
	v_fma_f64 v[230:231], -v[224:225], v[226:227], 1.0
	v_fmac_f64_e32 v[226:227], v[226:227], v[230:231]
	v_mul_f64 v[230:231], v[228:229], v[226:227]
	v_fma_f64 v[224:225], -v[224:225], v[230:231], v[228:229]
	v_div_fmas_f64 v[224:225], v[224:225], v[226:227], v[230:231]
	v_div_fixup_f64 v[224:225], v[224:225], v[210:211], v[208:209]
	v_fmac_f64_e32 v[210:211], v[208:209], v[224:225]
	v_div_scale_f64 v[208:209], s[18:19], v[210:211], v[210:211], 1.0
	v_rcp_f64_e32 v[226:227], v[208:209]
	s_nop 0
	v_fma_f64 v[228:229], -v[208:209], v[226:227], 1.0
	v_fmac_f64_e32 v[226:227], v[226:227], v[228:229]
	v_fma_f64 v[228:229], -v[208:209], v[226:227], 1.0
	v_fmac_f64_e32 v[226:227], v[226:227], v[228:229]
	v_div_scale_f64 v[228:229], vcc, 1.0, v[210:211], 1.0
	v_mul_f64 v[230:231], v[228:229], v[226:227]
	v_fma_f64 v[208:209], -v[208:209], v[230:231], v[228:229]
	s_nop 1
	v_div_fmas_f64 v[208:209], v[208:209], v[226:227], v[230:231]
	v_div_fixup_f64 v[210:211], v[208:209], v[210:211], 1.0
	v_mul_f64 v[208:209], v[224:225], v[210:211]
	v_xor_b32_e32 v211, 0x80000000, v211
.LBB102_1057:
	s_andn2_saveexec_b64 s[16:17], s[16:17]
	s_cbranch_execz .LBB102_1059
; %bb.1058:
	v_div_scale_f64 v[224:225], s[18:19], v[208:209], v[208:209], v[210:211]
	v_rcp_f64_e32 v[226:227], v[224:225]
	v_div_scale_f64 v[228:229], vcc, v[210:211], v[208:209], v[210:211]
	v_fma_f64 v[230:231], -v[224:225], v[226:227], 1.0
	v_fmac_f64_e32 v[226:227], v[226:227], v[230:231]
	v_fma_f64 v[230:231], -v[224:225], v[226:227], 1.0
	v_fmac_f64_e32 v[226:227], v[226:227], v[230:231]
	v_mul_f64 v[230:231], v[228:229], v[226:227]
	v_fma_f64 v[224:225], -v[224:225], v[230:231], v[228:229]
	v_div_fmas_f64 v[224:225], v[224:225], v[226:227], v[230:231]
	v_div_fixup_f64 v[224:225], v[224:225], v[208:209], v[210:211]
	v_fmac_f64_e32 v[208:209], v[210:211], v[224:225]
	v_div_scale_f64 v[210:211], s[18:19], v[208:209], v[208:209], 1.0
	v_rcp_f64_e32 v[226:227], v[210:211]
	s_nop 0
	v_fma_f64 v[228:229], -v[210:211], v[226:227], 1.0
	v_fmac_f64_e32 v[226:227], v[226:227], v[228:229]
	v_fma_f64 v[228:229], -v[210:211], v[226:227], 1.0
	v_fmac_f64_e32 v[226:227], v[226:227], v[228:229]
	v_div_scale_f64 v[228:229], vcc, 1.0, v[208:209], 1.0
	v_mul_f64 v[230:231], v[228:229], v[226:227]
	v_fma_f64 v[210:211], -v[210:211], v[230:231], v[228:229]
	s_nop 1
	v_div_fmas_f64 v[210:211], v[210:211], v[226:227], v[230:231]
	v_div_fixup_f64 v[208:209], v[210:211], v[208:209], 1.0
	v_mul_f64 v[210:211], v[224:225], -v[208:209]
.LBB102_1059:
	s_or_b64 exec, exec, s[16:17]
.LBB102_1060:
	s_or_b64 exec, exec, s[0:1]
	v_cmp_ne_u32_e32 vcc, v221, v218
	s_and_saveexec_b64 s[0:1], vcc
	s_xor_b64 s[0:1], exec, s[0:1]
	s_cbranch_execz .LBB102_1066
; %bb.1061:
	v_cmp_eq_u32_e32 vcc, 50, v221
	s_and_saveexec_b64 s[16:17], vcc
	s_cbranch_execz .LBB102_1065
; %bb.1062:
	v_cmp_ne_u32_e32 vcc, 50, v218
	s_xor_b64 s[18:19], s[14:15], -1
	s_and_b64 s[22:23], s[18:19], vcc
	s_and_saveexec_b64 s[18:19], s[22:23]
	s_cbranch_execz .LBB102_1064
; %bb.1063:
	v_ashrrev_i32_e32 v219, 31, v218
	v_lshl_add_u64 v[224:225], v[218:219], 2, v[216:217]
	global_load_dword v219, v[224:225], off
	global_load_dword v221, v[216:217], off offset:200
	s_waitcnt vmcnt(1)
	global_store_dword v[216:217], v219, off offset:200
	s_waitcnt vmcnt(1)
	global_store_dword v[224:225], v221, off
.LBB102_1064:
	s_or_b64 exec, exec, s[18:19]
	v_mov_b32_e32 v221, v218
	v_mov_b32_e32 v223, v218
.LBB102_1065:
	s_or_b64 exec, exec, s[16:17]
.LBB102_1066:
	s_andn2_saveexec_b64 s[0:1], s[0:1]
	s_cbranch_execz .LBB102_1068
; %bb.1067:
	v_mov_b32_e32 v221, 50
	s_waitcnt vmcnt(0)
	ds_write2_b64 v220, v[204:205], v[206:207] offset0:102 offset1:103
.LBB102_1068:
	s_or_b64 exec, exec, s[0:1]
	v_cmp_lt_i32_e32 vcc, 50, v221
	s_waitcnt lgkmcnt(0)
	s_barrier
	s_and_saveexec_b64 s[0:1], vcc
	s_cbranch_execz .LBB102_1070
; %bb.1069:
	ds_read2_b64 v[224:227], v220 offset0:102 offset1:103
	v_mul_f64 v[218:219], v[208:209], v[2:3]
	v_mul_f64 v[2:3], v[210:211], v[2:3]
	v_fmac_f64_e32 v[218:219], v[210:211], v[0:1]
	v_fma_f64 v[0:1], v[208:209], v[0:1], -v[2:3]
	s_waitcnt lgkmcnt(0)
	v_mul_f64 v[2:3], v[226:227], v[218:219]
	v_mul_f64 v[208:209], v[224:225], v[218:219]
	v_fma_f64 v[2:3], v[224:225], v[0:1], -v[2:3]
	v_fmac_f64_e32 v[208:209], v[226:227], v[0:1]
	s_waitcnt vmcnt(0)
	v_add_f64 v[204:205], v[204:205], -v[2:3]
	v_add_f64 v[206:207], v[206:207], -v[208:209]
	v_mov_b64_e32 v[2:3], v[218:219]
.LBB102_1070:
	s_or_b64 exec, exec, s[0:1]
	v_lshl_add_u32 v208, v221, 4, v220
	s_barrier
	s_waitcnt vmcnt(0)
	ds_write2_b64 v208, v[204:205], v[206:207] offset1:1
	s_waitcnt lgkmcnt(0)
	s_barrier
	ds_read2_b64 v[208:211], v220 offset0:102 offset1:103
	s_cmp_lt_i32 s20, 53
	v_mov_b32_e32 v218, 51
	s_cbranch_scc1 .LBB102_1073
; %bb.1071:
	v_add_u32_e32 v219, 0x340, v220
	s_mov_b32 s16, 52
	v_mov_b32_e32 v218, 51
.LBB102_1072:                           ; =>This Inner Loop Header: Depth=1
	ds_read2_b64 v[224:227], v219 offset1:1
	s_waitcnt lgkmcnt(1)
	v_xor_b32_e32 v220, 0x80000000, v209
	v_xor_b32_e32 v231, 0x80000000, v211
	v_cmp_gt_f64_e32 vcc, 0, v[210:211]
	v_cmp_gt_f64_e64 s[0:1], 0, v[208:209]
	v_mov_b32_e32 v228, v208
	v_mov_b32_e32 v230, v210
	v_cndmask_b32_e64 v229, v209, v220, s[0:1]
	v_cndmask_b32_e32 v231, v211, v231, vcc
	s_waitcnt lgkmcnt(0)
	v_xor_b32_e32 v220, 0x80000000, v225
	v_xor_b32_e32 v233, 0x80000000, v227
	v_cmp_gt_f64_e32 vcc, 0, v[226:227]
	v_cmp_gt_f64_e64 s[0:1], 0, v[224:225]
	v_add_f64 v[228:229], v[228:229], v[230:231]
	v_mov_b32_e32 v230, v224
	v_mov_b32_e32 v232, v226
	v_cndmask_b32_e64 v231, v225, v220, s[0:1]
	v_cndmask_b32_e32 v233, v227, v233, vcc
	v_add_f64 v[230:231], v[230:231], v[232:233]
	v_mov_b32_e32 v234, s16
	s_add_i32 s16, s16, 1
	v_cmp_lt_f64_e32 vcc, v[228:229], v[230:231]
	v_add_u32_e32 v219, 16, v219
	s_cmp_lg_u32 s20, s16
	v_cndmask_b32_e32 v209, v209, v225, vcc
	v_cndmask_b32_e32 v208, v208, v224, vcc
	;; [unrolled: 1-line block ×5, first 2 shown]
	s_cbranch_scc1 .LBB102_1072
.LBB102_1073:
	s_waitcnt lgkmcnt(0)
	v_cmp_eq_f64_e32 vcc, 0, v[208:209]
	v_cmp_eq_f64_e64 s[0:1], 0, v[210:211]
	s_and_b64 s[0:1], vcc, s[0:1]
	s_and_saveexec_b64 s[16:17], s[0:1]
	s_xor_b64 s[0:1], exec, s[16:17]
; %bb.1074:
	v_cmp_ne_u32_e32 vcc, 0, v222
	s_nop 1
	v_cndmask_b32_e32 v222, 52, v222, vcc
; %bb.1075:
	s_andn2_saveexec_b64 s[0:1], s[0:1]
	s_cbranch_execz .LBB102_1081
; %bb.1076:
	v_cmp_ngt_f64_e64 s[16:17], |v[208:209]|, |v[210:211]|
	s_and_saveexec_b64 s[18:19], s[16:17]
	s_xor_b64 s[16:17], exec, s[18:19]
	s_cbranch_execz .LBB102_1078
; %bb.1077:
	v_div_scale_f64 v[224:225], s[18:19], v[210:211], v[210:211], v[208:209]
	v_rcp_f64_e32 v[226:227], v[224:225]
	v_div_scale_f64 v[228:229], vcc, v[208:209], v[210:211], v[208:209]
	v_fma_f64 v[230:231], -v[224:225], v[226:227], 1.0
	v_fmac_f64_e32 v[226:227], v[226:227], v[230:231]
	v_fma_f64 v[230:231], -v[224:225], v[226:227], 1.0
	v_fmac_f64_e32 v[226:227], v[226:227], v[230:231]
	v_mul_f64 v[230:231], v[228:229], v[226:227]
	v_fma_f64 v[224:225], -v[224:225], v[230:231], v[228:229]
	v_div_fmas_f64 v[224:225], v[224:225], v[226:227], v[230:231]
	v_div_fixup_f64 v[224:225], v[224:225], v[210:211], v[208:209]
	v_fmac_f64_e32 v[210:211], v[208:209], v[224:225]
	v_div_scale_f64 v[208:209], s[18:19], v[210:211], v[210:211], 1.0
	v_rcp_f64_e32 v[226:227], v[208:209]
	s_nop 0
	v_fma_f64 v[228:229], -v[208:209], v[226:227], 1.0
	v_fmac_f64_e32 v[226:227], v[226:227], v[228:229]
	v_fma_f64 v[228:229], -v[208:209], v[226:227], 1.0
	v_fmac_f64_e32 v[226:227], v[226:227], v[228:229]
	v_div_scale_f64 v[228:229], vcc, 1.0, v[210:211], 1.0
	v_mul_f64 v[230:231], v[228:229], v[226:227]
	v_fma_f64 v[208:209], -v[208:209], v[230:231], v[228:229]
	s_nop 1
	v_div_fmas_f64 v[208:209], v[208:209], v[226:227], v[230:231]
	v_div_fixup_f64 v[210:211], v[208:209], v[210:211], 1.0
	v_mul_f64 v[208:209], v[224:225], v[210:211]
	v_xor_b32_e32 v211, 0x80000000, v211
.LBB102_1078:
	s_andn2_saveexec_b64 s[16:17], s[16:17]
	s_cbranch_execz .LBB102_1080
; %bb.1079:
	v_div_scale_f64 v[224:225], s[18:19], v[208:209], v[208:209], v[210:211]
	v_rcp_f64_e32 v[226:227], v[224:225]
	v_div_scale_f64 v[228:229], vcc, v[210:211], v[208:209], v[210:211]
	v_fma_f64 v[230:231], -v[224:225], v[226:227], 1.0
	v_fmac_f64_e32 v[226:227], v[226:227], v[230:231]
	v_fma_f64 v[230:231], -v[224:225], v[226:227], 1.0
	v_fmac_f64_e32 v[226:227], v[226:227], v[230:231]
	v_mul_f64 v[230:231], v[228:229], v[226:227]
	v_fma_f64 v[224:225], -v[224:225], v[230:231], v[228:229]
	v_div_fmas_f64 v[224:225], v[224:225], v[226:227], v[230:231]
	v_div_fixup_f64 v[224:225], v[224:225], v[208:209], v[210:211]
	v_fmac_f64_e32 v[208:209], v[210:211], v[224:225]
	v_div_scale_f64 v[210:211], s[18:19], v[208:209], v[208:209], 1.0
	v_rcp_f64_e32 v[226:227], v[210:211]
	s_nop 0
	v_fma_f64 v[228:229], -v[210:211], v[226:227], 1.0
	v_fmac_f64_e32 v[226:227], v[226:227], v[228:229]
	v_fma_f64 v[228:229], -v[210:211], v[226:227], 1.0
	v_fmac_f64_e32 v[226:227], v[226:227], v[228:229]
	v_div_scale_f64 v[228:229], vcc, 1.0, v[208:209], 1.0
	v_mul_f64 v[230:231], v[228:229], v[226:227]
	v_fma_f64 v[210:211], -v[210:211], v[230:231], v[228:229]
	s_nop 1
	v_div_fmas_f64 v[210:211], v[210:211], v[226:227], v[230:231]
	v_div_fixup_f64 v[208:209], v[210:211], v[208:209], 1.0
	v_mul_f64 v[210:211], v[224:225], -v[208:209]
.LBB102_1080:
	s_or_b64 exec, exec, s[16:17]
.LBB102_1081:
	s_or_b64 exec, exec, s[0:1]
	v_cmp_ne_u32_e32 vcc, v221, v218
	v_mov_b32_e32 v220, 51
	s_and_saveexec_b64 s[0:1], vcc
	s_cbranch_execz .LBB102_1087
; %bb.1082:
	v_cmp_eq_u32_e32 vcc, 51, v221
	s_and_saveexec_b64 s[16:17], vcc
	s_cbranch_execz .LBB102_1086
; %bb.1083:
	v_cmp_ne_u32_e32 vcc, 51, v218
	s_xor_b64 s[14:15], s[14:15], -1
	s_and_b64 s[18:19], s[14:15], vcc
	s_and_saveexec_b64 s[14:15], s[18:19]
	s_cbranch_execz .LBB102_1085
; %bb.1084:
	v_ashrrev_i32_e32 v219, 31, v218
	v_lshl_add_u64 v[220:221], v[218:219], 2, v[216:217]
	global_load_dword v219, v[220:221], off
	global_load_dword v223, v[216:217], off offset:204
	s_waitcnt vmcnt(1)
	global_store_dword v[216:217], v219, off offset:204
	s_waitcnt vmcnt(1)
	global_store_dword v[220:221], v223, off
.LBB102_1085:
	s_or_b64 exec, exec, s[14:15]
	v_mov_b32_e32 v221, v218
	v_mov_b32_e32 v223, v218
.LBB102_1086:
	s_or_b64 exec, exec, s[16:17]
	v_mov_b32_e32 v220, v221
.LBB102_1087:
	s_or_b64 exec, exec, s[0:1]
	v_cmp_gt_i32_e32 vcc, 52, v220
	v_ashrrev_i32_e32 v221, 31, v220
	s_barrier
	s_barrier
	s_and_saveexec_b64 s[0:1], vcc
	s_cbranch_execz .LBB102_1089
; %bb.1088:
	v_mov_b32_e32 v216, s6
	v_mov_b32_e32 v217, s7
	v_mul_lo_u32 v224, s11, v214
	v_mul_lo_u32 v225, s10, v215
	v_mad_u64_u32 v[218:219], s[6:7], s10, v214, 0
	v_add3_u32 v219, v219, v225, v224
	v_lshl_add_u64 v[216:217], v[218:219], 2, v[216:217]
	v_lshl_add_u64 v[216:217], s[8:9], 2, v[216:217]
	v_lshl_add_u64 v[216:217], v[220:221], 2, v[216:217]
	v_add3_u32 v218, v223, s13, 1
	global_store_dword v[216:217], v218, off
.LBB102_1089:
	s_or_b64 exec, exec, s[0:1]
	v_cmp_eq_u32_e32 vcc, 0, v220
	s_and_saveexec_b64 s[6:7], vcc
	s_cbranch_execz .LBB102_1092
; %bb.1090:
	v_mov_b32_e32 v216, s4
	v_mov_b32_e32 v217, s5
	v_lshl_add_u64 v[214:215], v[214:215], 2, v[216:217]
	global_load_dword v216, v[214:215], off
	v_cmp_ne_u32_e64 s[0:1], 0, v222
	s_waitcnt vmcnt(0)
	v_cmp_eq_u32_e32 vcc, 0, v216
	s_and_b64 s[0:1], vcc, s[0:1]
	s_and_b64 exec, exec, s[0:1]
	s_cbranch_execz .LBB102_1092
; %bb.1091:
	v_add_u32_e32 v216, s13, v222
	global_store_dword v[214:215], v216, off
.LBB102_1092:
	s_or_b64 exec, exec, s[6:7]
	v_mul_f64 v[214:215], v[210:211], v[206:207]
	v_fma_f64 v[214:215], v[208:209], v[204:205], -v[214:215]
	v_mul_f64 v[208:209], v[208:209], v[206:207]
	v_fmac_f64_e32 v[208:209], v[210:211], v[204:205]
	v_cmp_lt_i32_e32 vcc, 51, v220
	s_nop 1
	v_cndmask_b32_e32 v207, v207, v209, vcc
	v_cndmask_b32_e32 v206, v206, v208, vcc
	v_lshl_add_u64 v[208:209], v[220:221], 4, v[212:213]
	global_store_dwordx4 v[208:209], v[140:143], off
	v_cndmask_b32_e32 v205, v205, v215, vcc
	v_cndmask_b32_e32 v204, v204, v214, vcc
	v_lshl_add_u64 v[140:141], s[2:3], 4, v[208:209]
	global_store_dwordx4 v[140:141], v[136:139], off
	s_nop 1
	v_add_u32_e32 v136, s12, v220
	v_ashrrev_i32_e32 v137, 31, v136
	v_lshl_add_u64 v[138:139], v[136:137], 4, v[212:213]
	v_add_u32_e32 v136, s2, v136
	v_ashrrev_i32_e32 v137, 31, v136
	global_store_dwordx4 v[138:139], v[200:203], off
	v_lshl_add_u64 v[138:139], v[136:137], 4, v[212:213]
	v_add_u32_e32 v136, s2, v136
	v_ashrrev_i32_e32 v137, 31, v136
	global_store_dwordx4 v[138:139], v[196:199], off
	;; [unrolled: 4-line block ×15, first 2 shown]
	v_lshl_add_u64 v[138:139], v[136:137], 4, v[212:213]
	global_store_dwordx4 v[138:139], v[132:135], off
	s_nop 1
	v_add_u32_e32 v132, s2, v136
	v_ashrrev_i32_e32 v133, 31, v132
	v_lshl_add_u64 v[134:135], v[132:133], 4, v[212:213]
	global_store_dwordx4 v[134:135], v[128:131], off
	s_nop 1
	v_add_u32_e32 v128, s2, v132
	v_ashrrev_i32_e32 v129, 31, v128
	;; [unrolled: 5-line block ×34, first 2 shown]
	v_lshl_add_u64 v[0:1], v[0:1], 4, v[212:213]
	global_store_dwordx4 v[0:1], v[204:207], off
.LBB102_1093:
	s_endpgm
	.section	.rodata,"a",@progbits
	.p2align	6, 0x0
	.amdhsa_kernel _ZN9rocsolver6v33100L18getf2_small_kernelILi52E19rocblas_complex_numIdEiiPS3_EEvT1_T3_lS5_lPS5_llPT2_S5_S5_S7_l
		.amdhsa_group_segment_fixed_size 0
		.amdhsa_private_segment_fixed_size 0
		.amdhsa_kernarg_size 352
		.amdhsa_user_sgpr_count 2
		.amdhsa_user_sgpr_dispatch_ptr 0
		.amdhsa_user_sgpr_queue_ptr 0
		.amdhsa_user_sgpr_kernarg_segment_ptr 1
		.amdhsa_user_sgpr_dispatch_id 0
		.amdhsa_user_sgpr_kernarg_preload_length 0
		.amdhsa_user_sgpr_kernarg_preload_offset 0
		.amdhsa_user_sgpr_private_segment_size 0
		.amdhsa_uses_dynamic_stack 0
		.amdhsa_enable_private_segment 0
		.amdhsa_system_sgpr_workgroup_id_x 1
		.amdhsa_system_sgpr_workgroup_id_y 1
		.amdhsa_system_sgpr_workgroup_id_z 0
		.amdhsa_system_sgpr_workgroup_info 0
		.amdhsa_system_vgpr_workitem_id 1
		.amdhsa_next_free_vgpr 250
		.amdhsa_next_free_sgpr 26
		.amdhsa_accum_offset 252
		.amdhsa_reserve_vcc 1
		.amdhsa_float_round_mode_32 0
		.amdhsa_float_round_mode_16_64 0
		.amdhsa_float_denorm_mode_32 3
		.amdhsa_float_denorm_mode_16_64 3
		.amdhsa_dx10_clamp 1
		.amdhsa_ieee_mode 1
		.amdhsa_fp16_overflow 0
		.amdhsa_tg_split 0
		.amdhsa_exception_fp_ieee_invalid_op 0
		.amdhsa_exception_fp_denorm_src 0
		.amdhsa_exception_fp_ieee_div_zero 0
		.amdhsa_exception_fp_ieee_overflow 0
		.amdhsa_exception_fp_ieee_underflow 0
		.amdhsa_exception_fp_ieee_inexact 0
		.amdhsa_exception_int_div_zero 0
	.end_amdhsa_kernel
	.section	.text._ZN9rocsolver6v33100L18getf2_small_kernelILi52E19rocblas_complex_numIdEiiPS3_EEvT1_T3_lS5_lPS5_llPT2_S5_S5_S7_l,"axG",@progbits,_ZN9rocsolver6v33100L18getf2_small_kernelILi52E19rocblas_complex_numIdEiiPS3_EEvT1_T3_lS5_lPS5_llPT2_S5_S5_S7_l,comdat
.Lfunc_end102:
	.size	_ZN9rocsolver6v33100L18getf2_small_kernelILi52E19rocblas_complex_numIdEiiPS3_EEvT1_T3_lS5_lPS5_llPT2_S5_S5_S7_l, .Lfunc_end102-_ZN9rocsolver6v33100L18getf2_small_kernelILi52E19rocblas_complex_numIdEiiPS3_EEvT1_T3_lS5_lPS5_llPT2_S5_S5_S7_l
                                        ; -- End function
	.set _ZN9rocsolver6v33100L18getf2_small_kernelILi52E19rocblas_complex_numIdEiiPS3_EEvT1_T3_lS5_lPS5_llPT2_S5_S5_S7_l.num_vgpr, 250
	.set _ZN9rocsolver6v33100L18getf2_small_kernelILi52E19rocblas_complex_numIdEiiPS3_EEvT1_T3_lS5_lPS5_llPT2_S5_S5_S7_l.num_agpr, 0
	.set _ZN9rocsolver6v33100L18getf2_small_kernelILi52E19rocblas_complex_numIdEiiPS3_EEvT1_T3_lS5_lPS5_llPT2_S5_S5_S7_l.numbered_sgpr, 26
	.set _ZN9rocsolver6v33100L18getf2_small_kernelILi52E19rocblas_complex_numIdEiiPS3_EEvT1_T3_lS5_lPS5_llPT2_S5_S5_S7_l.num_named_barrier, 0
	.set _ZN9rocsolver6v33100L18getf2_small_kernelILi52E19rocblas_complex_numIdEiiPS3_EEvT1_T3_lS5_lPS5_llPT2_S5_S5_S7_l.private_seg_size, 0
	.set _ZN9rocsolver6v33100L18getf2_small_kernelILi52E19rocblas_complex_numIdEiiPS3_EEvT1_T3_lS5_lPS5_llPT2_S5_S5_S7_l.uses_vcc, 1
	.set _ZN9rocsolver6v33100L18getf2_small_kernelILi52E19rocblas_complex_numIdEiiPS3_EEvT1_T3_lS5_lPS5_llPT2_S5_S5_S7_l.uses_flat_scratch, 0
	.set _ZN9rocsolver6v33100L18getf2_small_kernelILi52E19rocblas_complex_numIdEiiPS3_EEvT1_T3_lS5_lPS5_llPT2_S5_S5_S7_l.has_dyn_sized_stack, 0
	.set _ZN9rocsolver6v33100L18getf2_small_kernelILi52E19rocblas_complex_numIdEiiPS3_EEvT1_T3_lS5_lPS5_llPT2_S5_S5_S7_l.has_recursion, 0
	.set _ZN9rocsolver6v33100L18getf2_small_kernelILi52E19rocblas_complex_numIdEiiPS3_EEvT1_T3_lS5_lPS5_llPT2_S5_S5_S7_l.has_indirect_call, 0
	.section	.AMDGPU.csdata,"",@progbits
; Kernel info:
; codeLenInByte = 143468
; TotalNumSgprs: 32
; NumVgprs: 250
; NumAgprs: 0
; TotalNumVgprs: 250
; ScratchSize: 0
; MemoryBound: 0
; FloatMode: 240
; IeeeMode: 1
; LDSByteSize: 0 bytes/workgroup (compile time only)
; SGPRBlocks: 3
; VGPRBlocks: 31
; NumSGPRsForWavesPerEU: 32
; NumVGPRsForWavesPerEU: 250
; AccumOffset: 252
; Occupancy: 2
; WaveLimiterHint : 0
; COMPUTE_PGM_RSRC2:SCRATCH_EN: 0
; COMPUTE_PGM_RSRC2:USER_SGPR: 2
; COMPUTE_PGM_RSRC2:TRAP_HANDLER: 0
; COMPUTE_PGM_RSRC2:TGID_X_EN: 1
; COMPUTE_PGM_RSRC2:TGID_Y_EN: 1
; COMPUTE_PGM_RSRC2:TGID_Z_EN: 0
; COMPUTE_PGM_RSRC2:TIDIG_COMP_CNT: 1
; COMPUTE_PGM_RSRC3_GFX90A:ACCUM_OFFSET: 62
; COMPUTE_PGM_RSRC3_GFX90A:TG_SPLIT: 0
	.section	.text._ZN9rocsolver6v33100L23getf2_npvt_small_kernelILi52E19rocblas_complex_numIdEiiPS3_EEvT1_T3_lS5_lPT2_S5_S5_,"axG",@progbits,_ZN9rocsolver6v33100L23getf2_npvt_small_kernelILi52E19rocblas_complex_numIdEiiPS3_EEvT1_T3_lS5_lPT2_S5_S5_,comdat
	.globl	_ZN9rocsolver6v33100L23getf2_npvt_small_kernelILi52E19rocblas_complex_numIdEiiPS3_EEvT1_T3_lS5_lPT2_S5_S5_ ; -- Begin function _ZN9rocsolver6v33100L23getf2_npvt_small_kernelILi52E19rocblas_complex_numIdEiiPS3_EEvT1_T3_lS5_lPT2_S5_S5_
	.p2align	8
	.type	_ZN9rocsolver6v33100L23getf2_npvt_small_kernelILi52E19rocblas_complex_numIdEiiPS3_EEvT1_T3_lS5_lPT2_S5_S5_,@function
_ZN9rocsolver6v33100L23getf2_npvt_small_kernelILi52E19rocblas_complex_numIdEiiPS3_EEvT1_T3_lS5_lPT2_S5_S5_: ; @_ZN9rocsolver6v33100L23getf2_npvt_small_kernelILi52E19rocblas_complex_numIdEiiPS3_EEvT1_T3_lS5_lPT2_S5_S5_
; %bb.0:
	s_load_dword s2, s[0:1], 0x44
	s_load_dwordx2 s[8:9], s[0:1], 0x30
	v_bfe_u32 v2, v0, 10, 10
	s_waitcnt lgkmcnt(0)
	s_lshr_b32 s2, s2, 16
	s_mul_i32 s3, s3, s2
	v_add_u32_e32 v4, s3, v2
	v_cmp_gt_i32_e32 vcc, s8, v4
	s_and_saveexec_b64 s[4:5], vcc
	s_cbranch_execz .LBB103_471
; %bb.1:
	s_load_dwordx4 s[12:15], s[0:1], 0x8
	s_load_dword s10, s[0:1], 0x18
	s_load_dwordx4 s[4:7], s[0:1], 0x20
	v_ashrrev_i32_e32 v5, 31, v4
	scratch_store_dwordx2 off, v[4:5], off offset:1108 ; 8-byte Folded Spill
	v_and_b32_e32 v72, 0x3ff, v0
	s_waitcnt lgkmcnt(0)
	v_mov_b32_e32 v0, s12
	v_mul_lo_u32 v3, s5, v4
	v_mul_lo_u32 v6, s4, v5
	v_mad_u64_u32 v[4:5], s[0:1], s4, v4, 0
	v_mov_b32_e32 v1, s13
	v_add3_u32 v5, v5, v6, v3
	v_lshl_add_u64 v[0:1], v[4:5], 4, v[0:1]
	v_lshl_add_u64 v[0:1], s[14:15], 4, v[0:1]
	v_lshlrev_b32_e32 v4, 4, v72
	v_mov_b32_e32 v5, 0
	s_add_i32 s0, s10, s10
	v_lshl_add_u64 v[6:7], v[0:1], 0, v[4:5]
	v_add_u32_e32 v4, s0, v72
	v_ashrrev_i32_e32 v5, 31, v4
	v_lshl_add_u64 v[8:9], v[4:5], 4, v[0:1]
	v_add_u32_e32 v4, s10, v4
	v_ashrrev_i32_e32 v5, 31, v4
	;; [unrolled: 3-line block ×49, first 2 shown]
	v_lshl_add_u64 v[232:233], v[4:5], 4, v[0:1]
	v_add_u32_e32 v4, s10, v4
	s_mulk_i32 s2, 0x340
	v_ashrrev_i32_e32 v5, 31, v4
	s_movk_i32 s0, 0x340
	s_add_i32 s1, s2, 0
	v_lshl_add_u64 v[234:235], v[4:5], 4, v[0:1]
	v_mad_u32_u24 v225, v2, s0, 0
	v_lshl_add_u32 v248, v2, 4, s1
	global_load_dwordx4 v[2:5], v[6:7], off
	s_ashr_i32 s11, s10, 31
	scratch_store_dword off, v72, off       ; 4-byte Folded Spill
	v_lshl_add_u64 v[0:1], s[10:11], 4, v[6:7]
	scratch_store_dwordx2 off, v[6:7], off offset:36 ; 8-byte Folded Spill
	v_cmp_ne_u32_e64 s[2:3], 0, v72
	v_cmp_eq_u32_e64 s[0:1], 0, v72
	s_waitcnt vmcnt(2)
	scratch_store_dwordx4 off, v[2:5], off offset:20 ; 16-byte Folded Spill
	scratch_store_dwordx2 off, v[0:1], off offset:444 ; 8-byte Folded Spill
	global_load_dwordx4 v[0:3], v[0:1], off
	s_waitcnt vmcnt(0)
	scratch_store_dwordx4 off, v[0:3], off offset:4 ; 16-byte Folded Spill
	scratch_store_dwordx2 off, v[8:9], off offset:44 ; 8-byte Folded Spill
	global_load_dwordx4 v[192:195], v[8:9], off
	global_load_dwordx4 v[188:191], v[10:11], off
	;; [unrolled: 1-line block ×33, first 2 shown]
	s_nop 0
	scratch_store_dwordx2 off, v[10:11], off offset:52 ; 8-byte Folded Spill
	scratch_store_dwordx2 off, v[12:13], off offset:60 ; 8-byte Folded Spill
	;; [unrolled: 1-line block ×31, first 2 shown]
	global_load_dwordx4 v[64:67], v[196:197], off
	s_nop 0
	global_load_dwordx4 v[68:71], v[70:71], off
	s_nop 0
	global_load_dwordx4 v[60:63], v[198:199], off
	global_load_dwordx4 v[56:59], v[200:201], off
	;; [unrolled: 1-line block ×14, first 2 shown]
	s_nop 0
	scratch_store_dwordx2 off, v[204:205], off offset:332 ; 8-byte Folded Spill
	scratch_store_dwordx2 off, v[206:207], off offset:340 ; 8-byte Folded Spill
	global_load_dwordx4 v[204:207], v[234:235], off
	s_nop 0
	scratch_store_dwordx2 off, v[196:197], off offset:300 ; 8-byte Folded Spill
	scratch_store_dwordx2 off, v[198:199], off offset:308 ; 8-byte Folded Spill
	;; [unrolled: 1-line block ×16, first 2 shown]
	s_and_saveexec_b64 s[10:11], s[0:1]
	s_cbranch_execz .LBB103_8
; %bb.2:
	scratch_load_dwordx4 v[196:199], off, off offset:20 ; 16-byte Folded Reload
	s_waitcnt vmcnt(0)
	ds_write2_b64 v248, v[196:197], v[198:199] offset1:1
	scratch_load_dwordx4 v[196:199], off, off offset:4 ; 16-byte Folded Reload
	s_waitcnt vmcnt(0)
	ds_write2_b64 v225, v[196:197], v[198:199] offset0:2 offset1:3
	ds_write2_b64 v225, v[192:193], v[194:195] offset0:4 offset1:5
	;; [unrolled: 1-line block ×51, first 2 shown]
	ds_read2_b64 v[208:211], v248 offset1:1
	s_waitcnt lgkmcnt(0)
	v_cmp_neq_f64_e32 vcc, 0, v[208:209]
	v_cmp_neq_f64_e64 s[4:5], 0, v[210:211]
	s_or_b64 s[4:5], vcc, s[4:5]
	s_and_b64 exec, exec, s[4:5]
	s_cbranch_execz .LBB103_8
; %bb.3:
	v_cmp_ngt_f64_e64 s[4:5], |v[208:209]|, |v[210:211]|
                                        ; implicit-def: $vgpr212_vgpr213
	s_and_saveexec_b64 s[12:13], s[4:5]
	s_xor_b64 s[4:5], exec, s[12:13]
                                        ; implicit-def: $vgpr214_vgpr215
	s_cbranch_execz .LBB103_5
; %bb.4:
	v_div_scale_f64 v[212:213], s[12:13], v[210:211], v[210:211], v[208:209]
	v_rcp_f64_e32 v[214:215], v[212:213]
	v_div_scale_f64 v[216:217], vcc, v[208:209], v[210:211], v[208:209]
	v_fma_f64 v[218:219], -v[212:213], v[214:215], 1.0
	v_fmac_f64_e32 v[214:215], v[214:215], v[218:219]
	v_fma_f64 v[218:219], -v[212:213], v[214:215], 1.0
	v_fmac_f64_e32 v[214:215], v[214:215], v[218:219]
	v_mul_f64 v[218:219], v[216:217], v[214:215]
	v_fma_f64 v[212:213], -v[212:213], v[218:219], v[216:217]
	v_div_fmas_f64 v[212:213], v[212:213], v[214:215], v[218:219]
	v_div_fixup_f64 v[212:213], v[212:213], v[210:211], v[208:209]
	v_fmac_f64_e32 v[210:211], v[208:209], v[212:213]
	v_div_scale_f64 v[208:209], s[12:13], v[210:211], v[210:211], 1.0
	v_rcp_f64_e32 v[214:215], v[208:209]
	s_nop 0
	v_fma_f64 v[216:217], -v[208:209], v[214:215], 1.0
	v_fmac_f64_e32 v[214:215], v[214:215], v[216:217]
	v_fma_f64 v[216:217], -v[208:209], v[214:215], 1.0
	v_fmac_f64_e32 v[214:215], v[214:215], v[216:217]
	v_div_scale_f64 v[216:217], vcc, 1.0, v[210:211], 1.0
	v_mul_f64 v[218:219], v[216:217], v[214:215]
	v_fma_f64 v[208:209], -v[208:209], v[218:219], v[216:217]
	s_nop 1
	v_div_fmas_f64 v[208:209], v[208:209], v[214:215], v[218:219]
	v_div_fixup_f64 v[214:215], v[208:209], v[210:211], 1.0
	v_mul_f64 v[212:213], v[212:213], v[214:215]
	v_xor_b32_e32 v215, 0x80000000, v215
                                        ; implicit-def: $vgpr208_vgpr209
.LBB103_5:
	s_andn2_saveexec_b64 s[4:5], s[4:5]
	s_cbranch_execz .LBB103_7
; %bb.6:
	v_div_scale_f64 v[212:213], s[12:13], v[208:209], v[208:209], v[210:211]
	v_rcp_f64_e32 v[214:215], v[212:213]
	v_div_scale_f64 v[216:217], vcc, v[210:211], v[208:209], v[210:211]
	v_fma_f64 v[218:219], -v[212:213], v[214:215], 1.0
	v_fmac_f64_e32 v[214:215], v[214:215], v[218:219]
	v_fma_f64 v[218:219], -v[212:213], v[214:215], 1.0
	v_fmac_f64_e32 v[214:215], v[214:215], v[218:219]
	v_mul_f64 v[218:219], v[216:217], v[214:215]
	v_fma_f64 v[212:213], -v[212:213], v[218:219], v[216:217]
	v_div_fmas_f64 v[212:213], v[212:213], v[214:215], v[218:219]
	v_div_fixup_f64 v[214:215], v[212:213], v[208:209], v[210:211]
	v_fmac_f64_e32 v[208:209], v[210:211], v[214:215]
	v_div_scale_f64 v[210:211], s[12:13], v[208:209], v[208:209], 1.0
	v_rcp_f64_e32 v[212:213], v[210:211]
	s_nop 0
	v_fma_f64 v[216:217], -v[210:211], v[212:213], 1.0
	v_fmac_f64_e32 v[212:213], v[212:213], v[216:217]
	v_fma_f64 v[216:217], -v[210:211], v[212:213], 1.0
	v_fmac_f64_e32 v[212:213], v[212:213], v[216:217]
	v_div_scale_f64 v[216:217], vcc, 1.0, v[208:209], 1.0
	v_mul_f64 v[218:219], v[216:217], v[212:213]
	v_fma_f64 v[210:211], -v[210:211], v[218:219], v[216:217]
	s_nop 1
	v_div_fmas_f64 v[210:211], v[210:211], v[212:213], v[218:219]
	v_div_fixup_f64 v[212:213], v[210:211], v[208:209], 1.0
	v_mul_f64 v[214:215], v[214:215], -v[212:213]
.LBB103_7:
	s_or_b64 exec, exec, s[4:5]
	ds_write2_b64 v248, v[212:213], v[214:215] offset1:1
.LBB103_8:
	s_or_b64 exec, exec, s[10:11]
	s_waitcnt lgkmcnt(0)
	s_barrier
	ds_read2_b64 v[196:199], v248 offset1:1
	s_waitcnt lgkmcnt(0)
	scratch_store_dwordx4 off, v[196:199], off offset:452 ; 16-byte Folded Spill
	s_and_saveexec_b64 s[4:5], s[2:3]
	s_cbranch_execz .LBB103_10
; %bb.9:
	scratch_load_dwordx4 v[200:203], off, off offset:20 ; 16-byte Folded Reload
	scratch_load_dwordx4 v[196:199], off, off offset:452 ; 16-byte Folded Reload
	ds_read2_b64 v[210:213], v225 offset0:2 offset1:3
	s_waitcnt vmcnt(0)
	v_mul_f64 v[208:209], v[198:199], v[202:203]
	v_mul_f64 v[202:203], v[196:197], v[202:203]
	v_fma_f64 v[208:209], v[196:197], v[200:201], -v[208:209]
	v_fmac_f64_e32 v[202:203], v[198:199], v[200:201]
	scratch_load_dwordx4 v[196:199], off, off offset:4 ; 16-byte Folded Reload
	s_waitcnt lgkmcnt(0)
	v_mul_f64 v[200:201], v[212:213], v[202:203]
	v_fma_f64 v[200:201], v[210:211], v[208:209], -v[200:201]
	v_mul_f64 v[210:211], v[210:211], v[202:203]
	v_fmac_f64_e32 v[210:211], v[212:213], v[208:209]
	s_waitcnt vmcnt(0)
	v_add_f64 v[198:199], v[198:199], -v[210:211]
	ds_read2_b64 v[210:213], v225 offset0:4 offset1:5
	v_add_f64 v[196:197], v[196:197], -v[200:201]
	scratch_store_dwordx4 off, v[196:199], off offset:4 ; 16-byte Folded Spill
	s_waitcnt lgkmcnt(0)
	v_mul_f64 v[200:201], v[212:213], v[202:203]
	v_fma_f64 v[200:201], v[210:211], v[208:209], -v[200:201]
	v_mul_f64 v[210:211], v[210:211], v[202:203]
	v_fmac_f64_e32 v[210:211], v[212:213], v[208:209]
	v_add_f64 v[194:195], v[194:195], -v[210:211]
	ds_read2_b64 v[210:213], v225 offset0:6 offset1:7
	v_add_f64 v[192:193], v[192:193], -v[200:201]
	s_waitcnt lgkmcnt(0)
	v_mul_f64 v[200:201], v[212:213], v[202:203]
	v_fma_f64 v[200:201], v[210:211], v[208:209], -v[200:201]
	v_mul_f64 v[210:211], v[210:211], v[202:203]
	v_fmac_f64_e32 v[210:211], v[212:213], v[208:209]
	v_add_f64 v[190:191], v[190:191], -v[210:211]
	ds_read2_b64 v[210:213], v225 offset0:8 offset1:9
	v_add_f64 v[188:189], v[188:189], -v[200:201]
	;; [unrolled: 8-line block ×49, first 2 shown]
	s_waitcnt lgkmcnt(0)
	v_mul_f64 v[200:201], v[212:213], v[202:203]
	v_fma_f64 v[200:201], v[210:211], v[208:209], -v[200:201]
	v_mul_f64 v[210:211], v[210:211], v[202:203]
	v_fmac_f64_e32 v[210:211], v[212:213], v[208:209]
	v_add_f64 v[204:205], v[204:205], -v[200:201]
	v_add_f64 v[206:207], v[206:207], -v[210:211]
	v_mov_b64_e32 v[200:201], v[208:209]
	scratch_store_dwordx4 off, v[200:203], off offset:20 ; 16-byte Folded Spill
.LBB103_10:
	s_or_b64 exec, exec, s[4:5]
	s_waitcnt vmcnt(63) expcnt(7) lgkmcnt(15)
	s_barrier
	scratch_load_dword v196, off, off       ; 4-byte Folded Reload
	s_waitcnt vmcnt(0)
	v_cmp_eq_u32_e32 vcc, 1, v196
	s_and_saveexec_b64 s[4:5], vcc
	s_cbranch_execz .LBB103_17
; %bb.11:
	scratch_load_dwordx4 v[196:199], off, off offset:4 ; 16-byte Folded Reload
	s_waitcnt vmcnt(0)
	ds_write2_b64 v248, v[196:197], v[198:199] offset1:1
	ds_write2_b64 v225, v[192:193], v[194:195] offset0:4 offset1:5
	ds_write2_b64 v225, v[188:189], v[190:191] offset0:6 offset1:7
	;; [unrolled: 1-line block ×50, first 2 shown]
	ds_read2_b64 v[208:211], v248 offset1:1
	s_waitcnt lgkmcnt(0)
	v_cmp_neq_f64_e32 vcc, 0, v[208:209]
	v_cmp_neq_f64_e64 s[2:3], 0, v[210:211]
	s_or_b64 s[2:3], vcc, s[2:3]
	s_and_b64 exec, exec, s[2:3]
	s_cbranch_execz .LBB103_17
; %bb.12:
	v_cmp_ngt_f64_e64 s[2:3], |v[208:209]|, |v[210:211]|
                                        ; implicit-def: $vgpr212_vgpr213
	s_and_saveexec_b64 s[10:11], s[2:3]
	s_xor_b64 s[2:3], exec, s[10:11]
                                        ; implicit-def: $vgpr214_vgpr215
	s_cbranch_execz .LBB103_14
; %bb.13:
	v_div_scale_f64 v[212:213], s[10:11], v[210:211], v[210:211], v[208:209]
	v_rcp_f64_e32 v[214:215], v[212:213]
	v_div_scale_f64 v[216:217], vcc, v[208:209], v[210:211], v[208:209]
	v_fma_f64 v[218:219], -v[212:213], v[214:215], 1.0
	v_fmac_f64_e32 v[214:215], v[214:215], v[218:219]
	v_fma_f64 v[218:219], -v[212:213], v[214:215], 1.0
	v_fmac_f64_e32 v[214:215], v[214:215], v[218:219]
	v_mul_f64 v[218:219], v[216:217], v[214:215]
	v_fma_f64 v[212:213], -v[212:213], v[218:219], v[216:217]
	v_div_fmas_f64 v[212:213], v[212:213], v[214:215], v[218:219]
	v_div_fixup_f64 v[212:213], v[212:213], v[210:211], v[208:209]
	v_fmac_f64_e32 v[210:211], v[208:209], v[212:213]
	v_div_scale_f64 v[208:209], s[10:11], v[210:211], v[210:211], 1.0
	v_rcp_f64_e32 v[214:215], v[208:209]
	s_nop 0
	v_fma_f64 v[216:217], -v[208:209], v[214:215], 1.0
	v_fmac_f64_e32 v[214:215], v[214:215], v[216:217]
	v_fma_f64 v[216:217], -v[208:209], v[214:215], 1.0
	v_fmac_f64_e32 v[214:215], v[214:215], v[216:217]
	v_div_scale_f64 v[216:217], vcc, 1.0, v[210:211], 1.0
	v_mul_f64 v[218:219], v[216:217], v[214:215]
	v_fma_f64 v[208:209], -v[208:209], v[218:219], v[216:217]
	s_nop 1
	v_div_fmas_f64 v[208:209], v[208:209], v[214:215], v[218:219]
	v_div_fixup_f64 v[214:215], v[208:209], v[210:211], 1.0
	v_mul_f64 v[212:213], v[212:213], v[214:215]
	v_xor_b32_e32 v215, 0x80000000, v215
                                        ; implicit-def: $vgpr208_vgpr209
.LBB103_14:
	s_andn2_saveexec_b64 s[2:3], s[2:3]
	s_cbranch_execz .LBB103_16
; %bb.15:
	v_div_scale_f64 v[212:213], s[10:11], v[208:209], v[208:209], v[210:211]
	v_rcp_f64_e32 v[214:215], v[212:213]
	v_div_scale_f64 v[216:217], vcc, v[210:211], v[208:209], v[210:211]
	v_fma_f64 v[218:219], -v[212:213], v[214:215], 1.0
	v_fmac_f64_e32 v[214:215], v[214:215], v[218:219]
	v_fma_f64 v[218:219], -v[212:213], v[214:215], 1.0
	v_fmac_f64_e32 v[214:215], v[214:215], v[218:219]
	v_mul_f64 v[218:219], v[216:217], v[214:215]
	v_fma_f64 v[212:213], -v[212:213], v[218:219], v[216:217]
	v_div_fmas_f64 v[212:213], v[212:213], v[214:215], v[218:219]
	v_div_fixup_f64 v[214:215], v[212:213], v[208:209], v[210:211]
	v_fmac_f64_e32 v[208:209], v[210:211], v[214:215]
	v_div_scale_f64 v[210:211], s[10:11], v[208:209], v[208:209], 1.0
	v_rcp_f64_e32 v[212:213], v[210:211]
	s_nop 0
	v_fma_f64 v[216:217], -v[210:211], v[212:213], 1.0
	v_fmac_f64_e32 v[212:213], v[212:213], v[216:217]
	v_fma_f64 v[216:217], -v[210:211], v[212:213], 1.0
	v_fmac_f64_e32 v[212:213], v[212:213], v[216:217]
	v_div_scale_f64 v[216:217], vcc, 1.0, v[208:209], 1.0
	v_mul_f64 v[218:219], v[216:217], v[212:213]
	v_fma_f64 v[210:211], -v[210:211], v[218:219], v[216:217]
	s_nop 1
	v_div_fmas_f64 v[210:211], v[210:211], v[212:213], v[218:219]
	v_div_fixup_f64 v[212:213], v[210:211], v[208:209], 1.0
	v_mul_f64 v[214:215], v[214:215], -v[212:213]
.LBB103_16:
	s_or_b64 exec, exec, s[2:3]
	ds_write2_b64 v248, v[212:213], v[214:215] offset1:1
.LBB103_17:
	s_or_b64 exec, exec, s[4:5]
	s_waitcnt lgkmcnt(0)
	s_barrier
	ds_read2_b64 v[196:199], v248 offset1:1
	s_waitcnt lgkmcnt(0)
	scratch_store_dwordx4 off, v[196:199], off offset:468 ; 16-byte Folded Spill
	scratch_load_dword v196, off, off       ; 4-byte Folded Reload
	s_waitcnt vmcnt(0)
	v_cmp_lt_u32_e32 vcc, 1, v196
	s_and_saveexec_b64 s[2:3], vcc
	s_cbranch_execz .LBB103_19
; %bb.18:
	scratch_load_dwordx4 v[196:199], off, off offset:4 ; 16-byte Folded Reload
	scratch_load_dwordx4 v[200:203], off, off offset:468 ; 16-byte Folded Reload
	ds_read2_b64 v[210:213], v225 offset0:4 offset1:5
	s_waitcnt vmcnt(0)
	v_mul_f64 v[208:209], v[202:203], v[198:199]
	v_mul_f64 v[198:199], v[200:201], v[198:199]
	v_fmac_f64_e32 v[198:199], v[202:203], v[196:197]
	v_fma_f64 v[208:209], v[200:201], v[196:197], -v[208:209]
	s_waitcnt lgkmcnt(0)
	v_mul_f64 v[196:197], v[212:213], v[198:199]
	v_fma_f64 v[196:197], v[210:211], v[208:209], -v[196:197]
	v_mul_f64 v[210:211], v[210:211], v[198:199]
	v_fmac_f64_e32 v[210:211], v[212:213], v[208:209]
	v_add_f64 v[194:195], v[194:195], -v[210:211]
	ds_read2_b64 v[210:213], v225 offset0:6 offset1:7
	v_add_f64 v[192:193], v[192:193], -v[196:197]
	s_waitcnt lgkmcnt(0)
	v_mul_f64 v[196:197], v[212:213], v[198:199]
	v_fma_f64 v[196:197], v[210:211], v[208:209], -v[196:197]
	v_mul_f64 v[210:211], v[210:211], v[198:199]
	v_fmac_f64_e32 v[210:211], v[212:213], v[208:209]
	v_add_f64 v[190:191], v[190:191], -v[210:211]
	ds_read2_b64 v[210:213], v225 offset0:8 offset1:9
	v_add_f64 v[188:189], v[188:189], -v[196:197]
	;; [unrolled: 8-line block ×49, first 2 shown]
	s_waitcnt lgkmcnt(0)
	v_mul_f64 v[196:197], v[212:213], v[198:199]
	v_fma_f64 v[196:197], v[210:211], v[208:209], -v[196:197]
	v_mul_f64 v[210:211], v[210:211], v[198:199]
	v_fmac_f64_e32 v[210:211], v[212:213], v[208:209]
	v_add_f64 v[204:205], v[204:205], -v[196:197]
	v_add_f64 v[206:207], v[206:207], -v[210:211]
	v_mov_b64_e32 v[196:197], v[208:209]
	scratch_store_dwordx4 off, v[196:199], off offset:4 ; 16-byte Folded Spill
.LBB103_19:
	s_or_b64 exec, exec, s[2:3]
	s_barrier
	scratch_load_dword v196, off, off       ; 4-byte Folded Reload
	s_waitcnt vmcnt(0)
	v_cmp_eq_u32_e32 vcc, 2, v196
	s_and_saveexec_b64 s[4:5], vcc
	s_cbranch_execz .LBB103_26
; %bb.20:
	ds_write2_b64 v248, v[192:193], v[194:195] offset1:1
	ds_write2_b64 v225, v[188:189], v[190:191] offset0:6 offset1:7
	ds_write2_b64 v225, v[184:185], v[186:187] offset0:8 offset1:9
	;; [unrolled: 1-line block ×49, first 2 shown]
	ds_read2_b64 v[208:211], v248 offset1:1
	s_waitcnt lgkmcnt(0)
	v_cmp_neq_f64_e32 vcc, 0, v[208:209]
	v_cmp_neq_f64_e64 s[2:3], 0, v[210:211]
	s_or_b64 s[2:3], vcc, s[2:3]
	s_and_b64 exec, exec, s[2:3]
	s_cbranch_execz .LBB103_26
; %bb.21:
	v_cmp_ngt_f64_e64 s[2:3], |v[208:209]|, |v[210:211]|
                                        ; implicit-def: $vgpr212_vgpr213
	s_and_saveexec_b64 s[10:11], s[2:3]
	s_xor_b64 s[2:3], exec, s[10:11]
                                        ; implicit-def: $vgpr214_vgpr215
	s_cbranch_execz .LBB103_23
; %bb.22:
	v_div_scale_f64 v[212:213], s[10:11], v[210:211], v[210:211], v[208:209]
	v_rcp_f64_e32 v[214:215], v[212:213]
	v_div_scale_f64 v[216:217], vcc, v[208:209], v[210:211], v[208:209]
	v_fma_f64 v[218:219], -v[212:213], v[214:215], 1.0
	v_fmac_f64_e32 v[214:215], v[214:215], v[218:219]
	v_fma_f64 v[218:219], -v[212:213], v[214:215], 1.0
	v_fmac_f64_e32 v[214:215], v[214:215], v[218:219]
	v_mul_f64 v[218:219], v[216:217], v[214:215]
	v_fma_f64 v[212:213], -v[212:213], v[218:219], v[216:217]
	v_div_fmas_f64 v[212:213], v[212:213], v[214:215], v[218:219]
	v_div_fixup_f64 v[212:213], v[212:213], v[210:211], v[208:209]
	v_fmac_f64_e32 v[210:211], v[208:209], v[212:213]
	v_div_scale_f64 v[208:209], s[10:11], v[210:211], v[210:211], 1.0
	v_rcp_f64_e32 v[214:215], v[208:209]
	s_nop 0
	v_fma_f64 v[216:217], -v[208:209], v[214:215], 1.0
	v_fmac_f64_e32 v[214:215], v[214:215], v[216:217]
	v_fma_f64 v[216:217], -v[208:209], v[214:215], 1.0
	v_fmac_f64_e32 v[214:215], v[214:215], v[216:217]
	v_div_scale_f64 v[216:217], vcc, 1.0, v[210:211], 1.0
	v_mul_f64 v[218:219], v[216:217], v[214:215]
	v_fma_f64 v[208:209], -v[208:209], v[218:219], v[216:217]
	s_nop 1
	v_div_fmas_f64 v[208:209], v[208:209], v[214:215], v[218:219]
	v_div_fixup_f64 v[214:215], v[208:209], v[210:211], 1.0
	v_mul_f64 v[212:213], v[212:213], v[214:215]
	v_xor_b32_e32 v215, 0x80000000, v215
                                        ; implicit-def: $vgpr208_vgpr209
.LBB103_23:
	s_andn2_saveexec_b64 s[2:3], s[2:3]
	s_cbranch_execz .LBB103_25
; %bb.24:
	v_div_scale_f64 v[212:213], s[10:11], v[208:209], v[208:209], v[210:211]
	v_rcp_f64_e32 v[214:215], v[212:213]
	v_div_scale_f64 v[216:217], vcc, v[210:211], v[208:209], v[210:211]
	v_fma_f64 v[218:219], -v[212:213], v[214:215], 1.0
	v_fmac_f64_e32 v[214:215], v[214:215], v[218:219]
	v_fma_f64 v[218:219], -v[212:213], v[214:215], 1.0
	v_fmac_f64_e32 v[214:215], v[214:215], v[218:219]
	v_mul_f64 v[218:219], v[216:217], v[214:215]
	v_fma_f64 v[212:213], -v[212:213], v[218:219], v[216:217]
	v_div_fmas_f64 v[212:213], v[212:213], v[214:215], v[218:219]
	v_div_fixup_f64 v[214:215], v[212:213], v[208:209], v[210:211]
	v_fmac_f64_e32 v[208:209], v[210:211], v[214:215]
	v_div_scale_f64 v[210:211], s[10:11], v[208:209], v[208:209], 1.0
	v_rcp_f64_e32 v[212:213], v[210:211]
	s_nop 0
	v_fma_f64 v[216:217], -v[210:211], v[212:213], 1.0
	v_fmac_f64_e32 v[212:213], v[212:213], v[216:217]
	v_fma_f64 v[216:217], -v[210:211], v[212:213], 1.0
	v_fmac_f64_e32 v[212:213], v[212:213], v[216:217]
	v_div_scale_f64 v[216:217], vcc, 1.0, v[208:209], 1.0
	v_mul_f64 v[218:219], v[216:217], v[212:213]
	v_fma_f64 v[210:211], -v[210:211], v[218:219], v[216:217]
	s_nop 1
	v_div_fmas_f64 v[210:211], v[210:211], v[212:213], v[218:219]
	v_div_fixup_f64 v[212:213], v[210:211], v[208:209], 1.0
	v_mul_f64 v[214:215], v[214:215], -v[212:213]
.LBB103_25:
	s_or_b64 exec, exec, s[2:3]
	ds_write2_b64 v248, v[212:213], v[214:215] offset1:1
.LBB103_26:
	s_or_b64 exec, exec, s[4:5]
	s_waitcnt lgkmcnt(0)
	s_barrier
	scratch_load_dword v200, off, off       ; 4-byte Folded Reload
	ds_read2_b64 v[196:199], v248 offset1:1
	s_waitcnt vmcnt(0)
	v_cmp_lt_u32_e32 vcc, 2, v200
	s_and_saveexec_b64 s[2:3], vcc
	s_cbranch_execz .LBB103_28
; %bb.27:
	ds_read2_b64 v[210:213], v225 offset0:6 offset1:7
	s_waitcnt lgkmcnt(1)
	v_mul_f64 v[208:209], v[198:199], v[194:195]
	v_mul_f64 v[194:195], v[196:197], v[194:195]
	v_fmac_f64_e32 v[194:195], v[198:199], v[192:193]
	v_fma_f64 v[208:209], v[196:197], v[192:193], -v[208:209]
	s_waitcnt lgkmcnt(0)
	v_mul_f64 v[192:193], v[212:213], v[194:195]
	v_fma_f64 v[192:193], v[210:211], v[208:209], -v[192:193]
	v_mul_f64 v[210:211], v[210:211], v[194:195]
	v_fmac_f64_e32 v[210:211], v[212:213], v[208:209]
	v_add_f64 v[190:191], v[190:191], -v[210:211]
	ds_read2_b64 v[210:213], v225 offset0:8 offset1:9
	v_add_f64 v[188:189], v[188:189], -v[192:193]
	s_waitcnt lgkmcnt(0)
	v_mul_f64 v[192:193], v[212:213], v[194:195]
	v_fma_f64 v[192:193], v[210:211], v[208:209], -v[192:193]
	v_mul_f64 v[210:211], v[210:211], v[194:195]
	v_fmac_f64_e32 v[210:211], v[212:213], v[208:209]
	v_add_f64 v[186:187], v[186:187], -v[210:211]
	ds_read2_b64 v[210:213], v225 offset0:10 offset1:11
	v_add_f64 v[184:185], v[184:185], -v[192:193]
	;; [unrolled: 8-line block ×48, first 2 shown]
	s_waitcnt lgkmcnt(0)
	v_mul_f64 v[192:193], v[212:213], v[194:195]
	v_fma_f64 v[192:193], v[210:211], v[208:209], -v[192:193]
	v_mul_f64 v[210:211], v[210:211], v[194:195]
	v_fmac_f64_e32 v[210:211], v[212:213], v[208:209]
	v_add_f64 v[204:205], v[204:205], -v[192:193]
	v_add_f64 v[206:207], v[206:207], -v[210:211]
	v_mov_b64_e32 v[192:193], v[208:209]
.LBB103_28:
	s_or_b64 exec, exec, s[2:3]
	s_waitcnt lgkmcnt(0)
	s_barrier
	scratch_load_dword v200, off, off       ; 4-byte Folded Reload
	s_waitcnt vmcnt(0)
	v_cmp_eq_u32_e32 vcc, 3, v200
	s_and_saveexec_b64 s[4:5], vcc
	s_cbranch_execz .LBB103_35
; %bb.29:
	ds_write2_b64 v248, v[188:189], v[190:191] offset1:1
	ds_write2_b64 v225, v[184:185], v[186:187] offset0:8 offset1:9
	ds_write2_b64 v225, v[180:181], v[182:183] offset0:10 offset1:11
	;; [unrolled: 1-line block ×48, first 2 shown]
	ds_read2_b64 v[208:211], v248 offset1:1
	s_waitcnt lgkmcnt(0)
	v_cmp_neq_f64_e32 vcc, 0, v[208:209]
	v_cmp_neq_f64_e64 s[2:3], 0, v[210:211]
	s_or_b64 s[2:3], vcc, s[2:3]
	s_and_b64 exec, exec, s[2:3]
	s_cbranch_execz .LBB103_35
; %bb.30:
	v_cmp_ngt_f64_e64 s[2:3], |v[208:209]|, |v[210:211]|
                                        ; implicit-def: $vgpr212_vgpr213
	s_and_saveexec_b64 s[10:11], s[2:3]
	s_xor_b64 s[2:3], exec, s[10:11]
                                        ; implicit-def: $vgpr214_vgpr215
	s_cbranch_execz .LBB103_32
; %bb.31:
	v_div_scale_f64 v[212:213], s[10:11], v[210:211], v[210:211], v[208:209]
	v_rcp_f64_e32 v[214:215], v[212:213]
	v_div_scale_f64 v[216:217], vcc, v[208:209], v[210:211], v[208:209]
	v_fma_f64 v[218:219], -v[212:213], v[214:215], 1.0
	v_fmac_f64_e32 v[214:215], v[214:215], v[218:219]
	v_fma_f64 v[218:219], -v[212:213], v[214:215], 1.0
	v_fmac_f64_e32 v[214:215], v[214:215], v[218:219]
	v_mul_f64 v[218:219], v[216:217], v[214:215]
	v_fma_f64 v[212:213], -v[212:213], v[218:219], v[216:217]
	v_div_fmas_f64 v[212:213], v[212:213], v[214:215], v[218:219]
	v_div_fixup_f64 v[212:213], v[212:213], v[210:211], v[208:209]
	v_fmac_f64_e32 v[210:211], v[208:209], v[212:213]
	v_div_scale_f64 v[208:209], s[10:11], v[210:211], v[210:211], 1.0
	v_rcp_f64_e32 v[214:215], v[208:209]
	s_nop 0
	v_fma_f64 v[216:217], -v[208:209], v[214:215], 1.0
	v_fmac_f64_e32 v[214:215], v[214:215], v[216:217]
	v_fma_f64 v[216:217], -v[208:209], v[214:215], 1.0
	v_fmac_f64_e32 v[214:215], v[214:215], v[216:217]
	v_div_scale_f64 v[216:217], vcc, 1.0, v[210:211], 1.0
	v_mul_f64 v[218:219], v[216:217], v[214:215]
	v_fma_f64 v[208:209], -v[208:209], v[218:219], v[216:217]
	s_nop 1
	v_div_fmas_f64 v[208:209], v[208:209], v[214:215], v[218:219]
	v_div_fixup_f64 v[214:215], v[208:209], v[210:211], 1.0
	v_mul_f64 v[212:213], v[212:213], v[214:215]
	v_xor_b32_e32 v215, 0x80000000, v215
                                        ; implicit-def: $vgpr208_vgpr209
.LBB103_32:
	s_andn2_saveexec_b64 s[2:3], s[2:3]
	s_cbranch_execz .LBB103_34
; %bb.33:
	v_div_scale_f64 v[212:213], s[10:11], v[208:209], v[208:209], v[210:211]
	v_rcp_f64_e32 v[214:215], v[212:213]
	v_div_scale_f64 v[216:217], vcc, v[210:211], v[208:209], v[210:211]
	v_fma_f64 v[218:219], -v[212:213], v[214:215], 1.0
	v_fmac_f64_e32 v[214:215], v[214:215], v[218:219]
	v_fma_f64 v[218:219], -v[212:213], v[214:215], 1.0
	v_fmac_f64_e32 v[214:215], v[214:215], v[218:219]
	v_mul_f64 v[218:219], v[216:217], v[214:215]
	v_fma_f64 v[212:213], -v[212:213], v[218:219], v[216:217]
	v_div_fmas_f64 v[212:213], v[212:213], v[214:215], v[218:219]
	v_div_fixup_f64 v[214:215], v[212:213], v[208:209], v[210:211]
	v_fmac_f64_e32 v[208:209], v[210:211], v[214:215]
	v_div_scale_f64 v[210:211], s[10:11], v[208:209], v[208:209], 1.0
	v_rcp_f64_e32 v[212:213], v[210:211]
	s_nop 0
	v_fma_f64 v[216:217], -v[210:211], v[212:213], 1.0
	v_fmac_f64_e32 v[212:213], v[212:213], v[216:217]
	v_fma_f64 v[216:217], -v[210:211], v[212:213], 1.0
	v_fmac_f64_e32 v[212:213], v[212:213], v[216:217]
	v_div_scale_f64 v[216:217], vcc, 1.0, v[208:209], 1.0
	v_mul_f64 v[218:219], v[216:217], v[212:213]
	v_fma_f64 v[210:211], -v[210:211], v[218:219], v[216:217]
	s_nop 1
	v_div_fmas_f64 v[210:211], v[210:211], v[212:213], v[218:219]
	v_div_fixup_f64 v[212:213], v[210:211], v[208:209], 1.0
	v_mul_f64 v[214:215], v[214:215], -v[212:213]
.LBB103_34:
	s_or_b64 exec, exec, s[2:3]
	ds_write2_b64 v248, v[212:213], v[214:215] offset1:1
.LBB103_35:
	s_or_b64 exec, exec, s[4:5]
	s_waitcnt lgkmcnt(0)
	s_barrier
	scratch_load_dword v200, off, off       ; 4-byte Folded Reload
	ds_read2_b64 v[228:231], v248 offset1:1
	s_waitcnt vmcnt(0)
	v_cmp_lt_u32_e32 vcc, 3, v200
	s_and_saveexec_b64 s[2:3], vcc
	s_cbranch_execz .LBB103_37
; %bb.36:
	ds_read2_b64 v[210:213], v225 offset0:8 offset1:9
	s_waitcnt lgkmcnt(1)
	v_mul_f64 v[208:209], v[230:231], v[190:191]
	v_mul_f64 v[190:191], v[228:229], v[190:191]
	v_fmac_f64_e32 v[190:191], v[230:231], v[188:189]
	v_fma_f64 v[208:209], v[228:229], v[188:189], -v[208:209]
	s_waitcnt lgkmcnt(0)
	v_mul_f64 v[188:189], v[212:213], v[190:191]
	v_fma_f64 v[188:189], v[210:211], v[208:209], -v[188:189]
	v_mul_f64 v[210:211], v[210:211], v[190:191]
	v_fmac_f64_e32 v[210:211], v[212:213], v[208:209]
	v_add_f64 v[186:187], v[186:187], -v[210:211]
	ds_read2_b64 v[210:213], v225 offset0:10 offset1:11
	v_add_f64 v[184:185], v[184:185], -v[188:189]
	s_waitcnt lgkmcnt(0)
	v_mul_f64 v[188:189], v[212:213], v[190:191]
	v_fma_f64 v[188:189], v[210:211], v[208:209], -v[188:189]
	v_mul_f64 v[210:211], v[210:211], v[190:191]
	v_fmac_f64_e32 v[210:211], v[212:213], v[208:209]
	v_add_f64 v[182:183], v[182:183], -v[210:211]
	ds_read2_b64 v[210:213], v225 offset0:12 offset1:13
	v_add_f64 v[180:181], v[180:181], -v[188:189]
	;; [unrolled: 8-line block ×47, first 2 shown]
	s_waitcnt lgkmcnt(0)
	v_mul_f64 v[188:189], v[212:213], v[190:191]
	v_fma_f64 v[188:189], v[210:211], v[208:209], -v[188:189]
	v_mul_f64 v[210:211], v[210:211], v[190:191]
	v_fmac_f64_e32 v[210:211], v[212:213], v[208:209]
	v_add_f64 v[204:205], v[204:205], -v[188:189]
	v_add_f64 v[206:207], v[206:207], -v[210:211]
	v_mov_b64_e32 v[188:189], v[208:209]
.LBB103_37:
	s_or_b64 exec, exec, s[2:3]
	s_waitcnt lgkmcnt(0)
	s_barrier
	scratch_load_dword v200, off, off       ; 4-byte Folded Reload
	s_waitcnt vmcnt(0)
	v_cmp_eq_u32_e32 vcc, 4, v200
	s_and_saveexec_b64 s[4:5], vcc
	s_cbranch_execz .LBB103_44
; %bb.38:
	ds_write2_b64 v248, v[184:185], v[186:187] offset1:1
	ds_write2_b64 v225, v[180:181], v[182:183] offset0:10 offset1:11
	ds_write2_b64 v225, v[176:177], v[178:179] offset0:12 offset1:13
	;; [unrolled: 1-line block ×47, first 2 shown]
	ds_read2_b64 v[208:211], v248 offset1:1
	s_waitcnt lgkmcnt(0)
	v_cmp_neq_f64_e32 vcc, 0, v[208:209]
	v_cmp_neq_f64_e64 s[2:3], 0, v[210:211]
	s_or_b64 s[2:3], vcc, s[2:3]
	s_and_b64 exec, exec, s[2:3]
	s_cbranch_execz .LBB103_44
; %bb.39:
	v_cmp_ngt_f64_e64 s[2:3], |v[208:209]|, |v[210:211]|
                                        ; implicit-def: $vgpr212_vgpr213
	s_and_saveexec_b64 s[10:11], s[2:3]
	s_xor_b64 s[2:3], exec, s[10:11]
                                        ; implicit-def: $vgpr214_vgpr215
	s_cbranch_execz .LBB103_41
; %bb.40:
	v_div_scale_f64 v[212:213], s[10:11], v[210:211], v[210:211], v[208:209]
	v_rcp_f64_e32 v[214:215], v[212:213]
	v_div_scale_f64 v[216:217], vcc, v[208:209], v[210:211], v[208:209]
	v_fma_f64 v[218:219], -v[212:213], v[214:215], 1.0
	v_fmac_f64_e32 v[214:215], v[214:215], v[218:219]
	v_fma_f64 v[218:219], -v[212:213], v[214:215], 1.0
	v_fmac_f64_e32 v[214:215], v[214:215], v[218:219]
	v_mul_f64 v[218:219], v[216:217], v[214:215]
	v_fma_f64 v[212:213], -v[212:213], v[218:219], v[216:217]
	v_div_fmas_f64 v[212:213], v[212:213], v[214:215], v[218:219]
	v_div_fixup_f64 v[212:213], v[212:213], v[210:211], v[208:209]
	v_fmac_f64_e32 v[210:211], v[208:209], v[212:213]
	v_div_scale_f64 v[208:209], s[10:11], v[210:211], v[210:211], 1.0
	v_rcp_f64_e32 v[214:215], v[208:209]
	s_nop 0
	v_fma_f64 v[216:217], -v[208:209], v[214:215], 1.0
	v_fmac_f64_e32 v[214:215], v[214:215], v[216:217]
	v_fma_f64 v[216:217], -v[208:209], v[214:215], 1.0
	v_fmac_f64_e32 v[214:215], v[214:215], v[216:217]
	v_div_scale_f64 v[216:217], vcc, 1.0, v[210:211], 1.0
	v_mul_f64 v[218:219], v[216:217], v[214:215]
	v_fma_f64 v[208:209], -v[208:209], v[218:219], v[216:217]
	s_nop 1
	v_div_fmas_f64 v[208:209], v[208:209], v[214:215], v[218:219]
	v_div_fixup_f64 v[214:215], v[208:209], v[210:211], 1.0
	v_mul_f64 v[212:213], v[212:213], v[214:215]
	v_xor_b32_e32 v215, 0x80000000, v215
                                        ; implicit-def: $vgpr208_vgpr209
.LBB103_41:
	s_andn2_saveexec_b64 s[2:3], s[2:3]
	s_cbranch_execz .LBB103_43
; %bb.42:
	v_div_scale_f64 v[212:213], s[10:11], v[208:209], v[208:209], v[210:211]
	v_rcp_f64_e32 v[214:215], v[212:213]
	v_div_scale_f64 v[216:217], vcc, v[210:211], v[208:209], v[210:211]
	v_fma_f64 v[218:219], -v[212:213], v[214:215], 1.0
	v_fmac_f64_e32 v[214:215], v[214:215], v[218:219]
	v_fma_f64 v[218:219], -v[212:213], v[214:215], 1.0
	v_fmac_f64_e32 v[214:215], v[214:215], v[218:219]
	v_mul_f64 v[218:219], v[216:217], v[214:215]
	v_fma_f64 v[212:213], -v[212:213], v[218:219], v[216:217]
	v_div_fmas_f64 v[212:213], v[212:213], v[214:215], v[218:219]
	v_div_fixup_f64 v[214:215], v[212:213], v[208:209], v[210:211]
	v_fmac_f64_e32 v[208:209], v[210:211], v[214:215]
	v_div_scale_f64 v[210:211], s[10:11], v[208:209], v[208:209], 1.0
	v_rcp_f64_e32 v[212:213], v[210:211]
	s_nop 0
	v_fma_f64 v[216:217], -v[210:211], v[212:213], 1.0
	v_fmac_f64_e32 v[212:213], v[212:213], v[216:217]
	v_fma_f64 v[216:217], -v[210:211], v[212:213], 1.0
	v_fmac_f64_e32 v[212:213], v[212:213], v[216:217]
	v_div_scale_f64 v[216:217], vcc, 1.0, v[208:209], 1.0
	v_mul_f64 v[218:219], v[216:217], v[212:213]
	v_fma_f64 v[210:211], -v[210:211], v[218:219], v[216:217]
	s_nop 1
	v_div_fmas_f64 v[210:211], v[210:211], v[212:213], v[218:219]
	v_div_fixup_f64 v[212:213], v[210:211], v[208:209], 1.0
	v_mul_f64 v[214:215], v[214:215], -v[212:213]
.LBB103_43:
	s_or_b64 exec, exec, s[2:3]
	ds_write2_b64 v248, v[212:213], v[214:215] offset1:1
.LBB103_44:
	s_or_b64 exec, exec, s[4:5]
	s_waitcnt lgkmcnt(0)
	s_barrier
	scratch_load_dword v200, off, off       ; 4-byte Folded Reload
	ds_read2_b64 v[232:235], v248 offset1:1
	s_waitcnt vmcnt(0)
	v_cmp_lt_u32_e32 vcc, 4, v200
	s_and_saveexec_b64 s[2:3], vcc
	s_cbranch_execz .LBB103_46
; %bb.45:
	ds_read2_b64 v[210:213], v225 offset0:10 offset1:11
	s_waitcnt lgkmcnt(1)
	v_mul_f64 v[208:209], v[234:235], v[186:187]
	v_mul_f64 v[186:187], v[232:233], v[186:187]
	v_fmac_f64_e32 v[186:187], v[234:235], v[184:185]
	v_fma_f64 v[208:209], v[232:233], v[184:185], -v[208:209]
	s_waitcnt lgkmcnt(0)
	v_mul_f64 v[184:185], v[212:213], v[186:187]
	v_fma_f64 v[184:185], v[210:211], v[208:209], -v[184:185]
	v_mul_f64 v[210:211], v[210:211], v[186:187]
	v_fmac_f64_e32 v[210:211], v[212:213], v[208:209]
	v_add_f64 v[182:183], v[182:183], -v[210:211]
	ds_read2_b64 v[210:213], v225 offset0:12 offset1:13
	v_add_f64 v[180:181], v[180:181], -v[184:185]
	s_waitcnt lgkmcnt(0)
	v_mul_f64 v[184:185], v[212:213], v[186:187]
	v_fma_f64 v[184:185], v[210:211], v[208:209], -v[184:185]
	v_mul_f64 v[210:211], v[210:211], v[186:187]
	v_fmac_f64_e32 v[210:211], v[212:213], v[208:209]
	v_add_f64 v[178:179], v[178:179], -v[210:211]
	ds_read2_b64 v[210:213], v225 offset0:14 offset1:15
	v_add_f64 v[176:177], v[176:177], -v[184:185]
	;; [unrolled: 8-line block ×46, first 2 shown]
	s_waitcnt lgkmcnt(0)
	v_mul_f64 v[184:185], v[212:213], v[186:187]
	v_fma_f64 v[184:185], v[210:211], v[208:209], -v[184:185]
	v_mul_f64 v[210:211], v[210:211], v[186:187]
	v_fmac_f64_e32 v[210:211], v[212:213], v[208:209]
	v_add_f64 v[204:205], v[204:205], -v[184:185]
	v_add_f64 v[206:207], v[206:207], -v[210:211]
	v_mov_b64_e32 v[184:185], v[208:209]
.LBB103_46:
	s_or_b64 exec, exec, s[2:3]
	s_waitcnt lgkmcnt(0)
	s_barrier
	scratch_load_dword v200, off, off       ; 4-byte Folded Reload
	s_waitcnt vmcnt(0)
	v_cmp_eq_u32_e32 vcc, 5, v200
	s_and_saveexec_b64 s[4:5], vcc
	s_cbranch_execz .LBB103_53
; %bb.47:
	ds_write2_b64 v248, v[180:181], v[182:183] offset1:1
	ds_write2_b64 v225, v[176:177], v[178:179] offset0:12 offset1:13
	ds_write2_b64 v225, v[172:173], v[174:175] offset0:14 offset1:15
	;; [unrolled: 1-line block ×46, first 2 shown]
	ds_read2_b64 v[208:211], v248 offset1:1
	s_waitcnt lgkmcnt(0)
	v_cmp_neq_f64_e32 vcc, 0, v[208:209]
	v_cmp_neq_f64_e64 s[2:3], 0, v[210:211]
	s_or_b64 s[2:3], vcc, s[2:3]
	s_and_b64 exec, exec, s[2:3]
	s_cbranch_execz .LBB103_53
; %bb.48:
	v_cmp_ngt_f64_e64 s[2:3], |v[208:209]|, |v[210:211]|
                                        ; implicit-def: $vgpr212_vgpr213
	s_and_saveexec_b64 s[10:11], s[2:3]
	s_xor_b64 s[2:3], exec, s[10:11]
                                        ; implicit-def: $vgpr214_vgpr215
	s_cbranch_execz .LBB103_50
; %bb.49:
	v_div_scale_f64 v[212:213], s[10:11], v[210:211], v[210:211], v[208:209]
	v_rcp_f64_e32 v[214:215], v[212:213]
	v_div_scale_f64 v[216:217], vcc, v[208:209], v[210:211], v[208:209]
	v_fma_f64 v[218:219], -v[212:213], v[214:215], 1.0
	v_fmac_f64_e32 v[214:215], v[214:215], v[218:219]
	v_fma_f64 v[218:219], -v[212:213], v[214:215], 1.0
	v_fmac_f64_e32 v[214:215], v[214:215], v[218:219]
	v_mul_f64 v[218:219], v[216:217], v[214:215]
	v_fma_f64 v[212:213], -v[212:213], v[218:219], v[216:217]
	v_div_fmas_f64 v[212:213], v[212:213], v[214:215], v[218:219]
	v_div_fixup_f64 v[212:213], v[212:213], v[210:211], v[208:209]
	v_fmac_f64_e32 v[210:211], v[208:209], v[212:213]
	v_div_scale_f64 v[208:209], s[10:11], v[210:211], v[210:211], 1.0
	v_rcp_f64_e32 v[214:215], v[208:209]
	s_nop 0
	v_fma_f64 v[216:217], -v[208:209], v[214:215], 1.0
	v_fmac_f64_e32 v[214:215], v[214:215], v[216:217]
	v_fma_f64 v[216:217], -v[208:209], v[214:215], 1.0
	v_fmac_f64_e32 v[214:215], v[214:215], v[216:217]
	v_div_scale_f64 v[216:217], vcc, 1.0, v[210:211], 1.0
	v_mul_f64 v[218:219], v[216:217], v[214:215]
	v_fma_f64 v[208:209], -v[208:209], v[218:219], v[216:217]
	s_nop 1
	v_div_fmas_f64 v[208:209], v[208:209], v[214:215], v[218:219]
	v_div_fixup_f64 v[214:215], v[208:209], v[210:211], 1.0
	v_mul_f64 v[212:213], v[212:213], v[214:215]
	v_xor_b32_e32 v215, 0x80000000, v215
                                        ; implicit-def: $vgpr208_vgpr209
.LBB103_50:
	s_andn2_saveexec_b64 s[2:3], s[2:3]
	s_cbranch_execz .LBB103_52
; %bb.51:
	v_div_scale_f64 v[212:213], s[10:11], v[208:209], v[208:209], v[210:211]
	v_rcp_f64_e32 v[214:215], v[212:213]
	v_div_scale_f64 v[216:217], vcc, v[210:211], v[208:209], v[210:211]
	v_fma_f64 v[218:219], -v[212:213], v[214:215], 1.0
	v_fmac_f64_e32 v[214:215], v[214:215], v[218:219]
	v_fma_f64 v[218:219], -v[212:213], v[214:215], 1.0
	v_fmac_f64_e32 v[214:215], v[214:215], v[218:219]
	v_mul_f64 v[218:219], v[216:217], v[214:215]
	v_fma_f64 v[212:213], -v[212:213], v[218:219], v[216:217]
	v_div_fmas_f64 v[212:213], v[212:213], v[214:215], v[218:219]
	v_div_fixup_f64 v[214:215], v[212:213], v[208:209], v[210:211]
	v_fmac_f64_e32 v[208:209], v[210:211], v[214:215]
	v_div_scale_f64 v[210:211], s[10:11], v[208:209], v[208:209], 1.0
	v_rcp_f64_e32 v[212:213], v[210:211]
	s_nop 0
	v_fma_f64 v[216:217], -v[210:211], v[212:213], 1.0
	v_fmac_f64_e32 v[212:213], v[212:213], v[216:217]
	v_fma_f64 v[216:217], -v[210:211], v[212:213], 1.0
	v_fmac_f64_e32 v[212:213], v[212:213], v[216:217]
	v_div_scale_f64 v[216:217], vcc, 1.0, v[208:209], 1.0
	v_mul_f64 v[218:219], v[216:217], v[212:213]
	v_fma_f64 v[210:211], -v[210:211], v[218:219], v[216:217]
	s_nop 1
	v_div_fmas_f64 v[210:211], v[210:211], v[212:213], v[218:219]
	v_div_fixup_f64 v[212:213], v[210:211], v[208:209], 1.0
	v_mul_f64 v[214:215], v[214:215], -v[212:213]
.LBB103_52:
	s_or_b64 exec, exec, s[2:3]
	ds_write2_b64 v248, v[212:213], v[214:215] offset1:1
.LBB103_53:
	s_or_b64 exec, exec, s[4:5]
	s_waitcnt lgkmcnt(0)
	s_barrier
	scratch_load_dword v200, off, off       ; 4-byte Folded Reload
	ds_read2_b64 v[236:239], v248 offset1:1
	s_waitcnt vmcnt(0)
	v_cmp_lt_u32_e32 vcc, 5, v200
	s_and_saveexec_b64 s[2:3], vcc
	s_cbranch_execz .LBB103_55
; %bb.54:
	ds_read2_b64 v[210:213], v225 offset0:12 offset1:13
	s_waitcnt lgkmcnt(1)
	v_mul_f64 v[208:209], v[238:239], v[182:183]
	v_mul_f64 v[182:183], v[236:237], v[182:183]
	v_fmac_f64_e32 v[182:183], v[238:239], v[180:181]
	v_fma_f64 v[208:209], v[236:237], v[180:181], -v[208:209]
	s_waitcnt lgkmcnt(0)
	v_mul_f64 v[180:181], v[212:213], v[182:183]
	v_fma_f64 v[180:181], v[210:211], v[208:209], -v[180:181]
	v_mul_f64 v[210:211], v[210:211], v[182:183]
	v_fmac_f64_e32 v[210:211], v[212:213], v[208:209]
	v_add_f64 v[178:179], v[178:179], -v[210:211]
	ds_read2_b64 v[210:213], v225 offset0:14 offset1:15
	v_add_f64 v[176:177], v[176:177], -v[180:181]
	s_waitcnt lgkmcnt(0)
	v_mul_f64 v[180:181], v[212:213], v[182:183]
	v_fma_f64 v[180:181], v[210:211], v[208:209], -v[180:181]
	v_mul_f64 v[210:211], v[210:211], v[182:183]
	v_fmac_f64_e32 v[210:211], v[212:213], v[208:209]
	v_add_f64 v[174:175], v[174:175], -v[210:211]
	ds_read2_b64 v[210:213], v225 offset0:16 offset1:17
	v_add_f64 v[172:173], v[172:173], -v[180:181]
	;; [unrolled: 8-line block ×45, first 2 shown]
	s_waitcnt lgkmcnt(0)
	v_mul_f64 v[180:181], v[212:213], v[182:183]
	v_fma_f64 v[180:181], v[210:211], v[208:209], -v[180:181]
	v_mul_f64 v[210:211], v[210:211], v[182:183]
	v_fmac_f64_e32 v[210:211], v[212:213], v[208:209]
	v_add_f64 v[204:205], v[204:205], -v[180:181]
	v_add_f64 v[206:207], v[206:207], -v[210:211]
	v_mov_b64_e32 v[180:181], v[208:209]
.LBB103_55:
	s_or_b64 exec, exec, s[2:3]
	s_waitcnt lgkmcnt(0)
	s_barrier
	scratch_load_dword v200, off, off       ; 4-byte Folded Reload
	s_waitcnt vmcnt(0)
	v_cmp_eq_u32_e32 vcc, 6, v200
	s_and_saveexec_b64 s[4:5], vcc
	s_cbranch_execz .LBB103_62
; %bb.56:
	ds_write2_b64 v248, v[176:177], v[178:179] offset1:1
	ds_write2_b64 v225, v[172:173], v[174:175] offset0:14 offset1:15
	ds_write2_b64 v225, v[168:169], v[170:171] offset0:16 offset1:17
	;; [unrolled: 1-line block ×45, first 2 shown]
	ds_read2_b64 v[208:211], v248 offset1:1
	s_waitcnt lgkmcnt(0)
	v_cmp_neq_f64_e32 vcc, 0, v[208:209]
	v_cmp_neq_f64_e64 s[2:3], 0, v[210:211]
	s_or_b64 s[2:3], vcc, s[2:3]
	s_and_b64 exec, exec, s[2:3]
	s_cbranch_execz .LBB103_62
; %bb.57:
	v_cmp_ngt_f64_e64 s[2:3], |v[208:209]|, |v[210:211]|
                                        ; implicit-def: $vgpr212_vgpr213
	s_and_saveexec_b64 s[10:11], s[2:3]
	s_xor_b64 s[2:3], exec, s[10:11]
                                        ; implicit-def: $vgpr214_vgpr215
	s_cbranch_execz .LBB103_59
; %bb.58:
	v_div_scale_f64 v[212:213], s[10:11], v[210:211], v[210:211], v[208:209]
	v_rcp_f64_e32 v[214:215], v[212:213]
	v_div_scale_f64 v[216:217], vcc, v[208:209], v[210:211], v[208:209]
	v_fma_f64 v[218:219], -v[212:213], v[214:215], 1.0
	v_fmac_f64_e32 v[214:215], v[214:215], v[218:219]
	v_fma_f64 v[218:219], -v[212:213], v[214:215], 1.0
	v_fmac_f64_e32 v[214:215], v[214:215], v[218:219]
	v_mul_f64 v[218:219], v[216:217], v[214:215]
	v_fma_f64 v[212:213], -v[212:213], v[218:219], v[216:217]
	v_div_fmas_f64 v[212:213], v[212:213], v[214:215], v[218:219]
	v_div_fixup_f64 v[212:213], v[212:213], v[210:211], v[208:209]
	v_fmac_f64_e32 v[210:211], v[208:209], v[212:213]
	v_div_scale_f64 v[208:209], s[10:11], v[210:211], v[210:211], 1.0
	v_rcp_f64_e32 v[214:215], v[208:209]
	s_nop 0
	v_fma_f64 v[216:217], -v[208:209], v[214:215], 1.0
	v_fmac_f64_e32 v[214:215], v[214:215], v[216:217]
	v_fma_f64 v[216:217], -v[208:209], v[214:215], 1.0
	v_fmac_f64_e32 v[214:215], v[214:215], v[216:217]
	v_div_scale_f64 v[216:217], vcc, 1.0, v[210:211], 1.0
	v_mul_f64 v[218:219], v[216:217], v[214:215]
	v_fma_f64 v[208:209], -v[208:209], v[218:219], v[216:217]
	s_nop 1
	v_div_fmas_f64 v[208:209], v[208:209], v[214:215], v[218:219]
	v_div_fixup_f64 v[214:215], v[208:209], v[210:211], 1.0
	v_mul_f64 v[212:213], v[212:213], v[214:215]
	v_xor_b32_e32 v215, 0x80000000, v215
                                        ; implicit-def: $vgpr208_vgpr209
.LBB103_59:
	s_andn2_saveexec_b64 s[2:3], s[2:3]
	s_cbranch_execz .LBB103_61
; %bb.60:
	v_div_scale_f64 v[212:213], s[10:11], v[208:209], v[208:209], v[210:211]
	v_rcp_f64_e32 v[214:215], v[212:213]
	v_div_scale_f64 v[216:217], vcc, v[210:211], v[208:209], v[210:211]
	v_fma_f64 v[218:219], -v[212:213], v[214:215], 1.0
	v_fmac_f64_e32 v[214:215], v[214:215], v[218:219]
	v_fma_f64 v[218:219], -v[212:213], v[214:215], 1.0
	v_fmac_f64_e32 v[214:215], v[214:215], v[218:219]
	v_mul_f64 v[218:219], v[216:217], v[214:215]
	v_fma_f64 v[212:213], -v[212:213], v[218:219], v[216:217]
	v_div_fmas_f64 v[212:213], v[212:213], v[214:215], v[218:219]
	v_div_fixup_f64 v[214:215], v[212:213], v[208:209], v[210:211]
	v_fmac_f64_e32 v[208:209], v[210:211], v[214:215]
	v_div_scale_f64 v[210:211], s[10:11], v[208:209], v[208:209], 1.0
	v_rcp_f64_e32 v[212:213], v[210:211]
	s_nop 0
	v_fma_f64 v[216:217], -v[210:211], v[212:213], 1.0
	v_fmac_f64_e32 v[212:213], v[212:213], v[216:217]
	v_fma_f64 v[216:217], -v[210:211], v[212:213], 1.0
	v_fmac_f64_e32 v[212:213], v[212:213], v[216:217]
	v_div_scale_f64 v[216:217], vcc, 1.0, v[208:209], 1.0
	v_mul_f64 v[218:219], v[216:217], v[212:213]
	v_fma_f64 v[210:211], -v[210:211], v[218:219], v[216:217]
	s_nop 1
	v_div_fmas_f64 v[210:211], v[210:211], v[212:213], v[218:219]
	v_div_fixup_f64 v[212:213], v[210:211], v[208:209], 1.0
	v_mul_f64 v[214:215], v[214:215], -v[212:213]
.LBB103_61:
	s_or_b64 exec, exec, s[2:3]
	ds_write2_b64 v248, v[212:213], v[214:215] offset1:1
.LBB103_62:
	s_or_b64 exec, exec, s[4:5]
	s_waitcnt lgkmcnt(0)
	s_barrier
	scratch_load_dword v200, off, off       ; 4-byte Folded Reload
	ds_read2_b64 v[240:243], v248 offset1:1
	s_waitcnt vmcnt(0)
	v_cmp_lt_u32_e32 vcc, 6, v200
	s_and_saveexec_b64 s[2:3], vcc
	s_cbranch_execz .LBB103_64
; %bb.63:
	ds_read2_b64 v[210:213], v225 offset0:14 offset1:15
	s_waitcnt lgkmcnt(1)
	v_mul_f64 v[208:209], v[242:243], v[178:179]
	v_mul_f64 v[178:179], v[240:241], v[178:179]
	v_fmac_f64_e32 v[178:179], v[242:243], v[176:177]
	v_fma_f64 v[208:209], v[240:241], v[176:177], -v[208:209]
	s_waitcnt lgkmcnt(0)
	v_mul_f64 v[176:177], v[212:213], v[178:179]
	v_fma_f64 v[176:177], v[210:211], v[208:209], -v[176:177]
	v_mul_f64 v[210:211], v[210:211], v[178:179]
	v_fmac_f64_e32 v[210:211], v[212:213], v[208:209]
	v_add_f64 v[174:175], v[174:175], -v[210:211]
	ds_read2_b64 v[210:213], v225 offset0:16 offset1:17
	v_add_f64 v[172:173], v[172:173], -v[176:177]
	s_waitcnt lgkmcnt(0)
	v_mul_f64 v[176:177], v[212:213], v[178:179]
	v_fma_f64 v[176:177], v[210:211], v[208:209], -v[176:177]
	v_mul_f64 v[210:211], v[210:211], v[178:179]
	v_fmac_f64_e32 v[210:211], v[212:213], v[208:209]
	v_add_f64 v[170:171], v[170:171], -v[210:211]
	ds_read2_b64 v[210:213], v225 offset0:18 offset1:19
	v_add_f64 v[168:169], v[168:169], -v[176:177]
	;; [unrolled: 8-line block ×44, first 2 shown]
	s_waitcnt lgkmcnt(0)
	v_mul_f64 v[176:177], v[212:213], v[178:179]
	v_fma_f64 v[176:177], v[210:211], v[208:209], -v[176:177]
	v_mul_f64 v[210:211], v[210:211], v[178:179]
	v_fmac_f64_e32 v[210:211], v[212:213], v[208:209]
	v_add_f64 v[204:205], v[204:205], -v[176:177]
	v_add_f64 v[206:207], v[206:207], -v[210:211]
	v_mov_b64_e32 v[176:177], v[208:209]
.LBB103_64:
	s_or_b64 exec, exec, s[2:3]
	s_waitcnt lgkmcnt(0)
	s_barrier
	scratch_load_dword v200, off, off       ; 4-byte Folded Reload
	s_waitcnt vmcnt(0)
	v_cmp_eq_u32_e32 vcc, 7, v200
	s_and_saveexec_b64 s[4:5], vcc
	s_cbranch_execz .LBB103_71
; %bb.65:
	ds_write2_b64 v248, v[172:173], v[174:175] offset1:1
	ds_write2_b64 v225, v[168:169], v[170:171] offset0:16 offset1:17
	ds_write2_b64 v225, v[164:165], v[166:167] offset0:18 offset1:19
	;; [unrolled: 1-line block ×44, first 2 shown]
	ds_read2_b64 v[208:211], v248 offset1:1
	s_waitcnt lgkmcnt(0)
	v_cmp_neq_f64_e32 vcc, 0, v[208:209]
	v_cmp_neq_f64_e64 s[2:3], 0, v[210:211]
	s_or_b64 s[2:3], vcc, s[2:3]
	s_and_b64 exec, exec, s[2:3]
	s_cbranch_execz .LBB103_71
; %bb.66:
	v_cmp_ngt_f64_e64 s[2:3], |v[208:209]|, |v[210:211]|
                                        ; implicit-def: $vgpr212_vgpr213
	s_and_saveexec_b64 s[10:11], s[2:3]
	s_xor_b64 s[2:3], exec, s[10:11]
                                        ; implicit-def: $vgpr214_vgpr215
	s_cbranch_execz .LBB103_68
; %bb.67:
	v_div_scale_f64 v[212:213], s[10:11], v[210:211], v[210:211], v[208:209]
	v_rcp_f64_e32 v[214:215], v[212:213]
	v_div_scale_f64 v[216:217], vcc, v[208:209], v[210:211], v[208:209]
	v_fma_f64 v[218:219], -v[212:213], v[214:215], 1.0
	v_fmac_f64_e32 v[214:215], v[214:215], v[218:219]
	v_fma_f64 v[218:219], -v[212:213], v[214:215], 1.0
	v_fmac_f64_e32 v[214:215], v[214:215], v[218:219]
	v_mul_f64 v[218:219], v[216:217], v[214:215]
	v_fma_f64 v[212:213], -v[212:213], v[218:219], v[216:217]
	v_div_fmas_f64 v[212:213], v[212:213], v[214:215], v[218:219]
	v_div_fixup_f64 v[212:213], v[212:213], v[210:211], v[208:209]
	v_fmac_f64_e32 v[210:211], v[208:209], v[212:213]
	v_div_scale_f64 v[208:209], s[10:11], v[210:211], v[210:211], 1.0
	v_rcp_f64_e32 v[214:215], v[208:209]
	s_nop 0
	v_fma_f64 v[216:217], -v[208:209], v[214:215], 1.0
	v_fmac_f64_e32 v[214:215], v[214:215], v[216:217]
	v_fma_f64 v[216:217], -v[208:209], v[214:215], 1.0
	v_fmac_f64_e32 v[214:215], v[214:215], v[216:217]
	v_div_scale_f64 v[216:217], vcc, 1.0, v[210:211], 1.0
	v_mul_f64 v[218:219], v[216:217], v[214:215]
	v_fma_f64 v[208:209], -v[208:209], v[218:219], v[216:217]
	s_nop 1
	v_div_fmas_f64 v[208:209], v[208:209], v[214:215], v[218:219]
	v_div_fixup_f64 v[214:215], v[208:209], v[210:211], 1.0
	v_mul_f64 v[212:213], v[212:213], v[214:215]
	v_xor_b32_e32 v215, 0x80000000, v215
                                        ; implicit-def: $vgpr208_vgpr209
.LBB103_68:
	s_andn2_saveexec_b64 s[2:3], s[2:3]
	s_cbranch_execz .LBB103_70
; %bb.69:
	v_div_scale_f64 v[212:213], s[10:11], v[208:209], v[208:209], v[210:211]
	v_rcp_f64_e32 v[214:215], v[212:213]
	v_div_scale_f64 v[216:217], vcc, v[210:211], v[208:209], v[210:211]
	v_fma_f64 v[218:219], -v[212:213], v[214:215], 1.0
	v_fmac_f64_e32 v[214:215], v[214:215], v[218:219]
	v_fma_f64 v[218:219], -v[212:213], v[214:215], 1.0
	v_fmac_f64_e32 v[214:215], v[214:215], v[218:219]
	v_mul_f64 v[218:219], v[216:217], v[214:215]
	v_fma_f64 v[212:213], -v[212:213], v[218:219], v[216:217]
	v_div_fmas_f64 v[212:213], v[212:213], v[214:215], v[218:219]
	v_div_fixup_f64 v[214:215], v[212:213], v[208:209], v[210:211]
	v_fmac_f64_e32 v[208:209], v[210:211], v[214:215]
	v_div_scale_f64 v[210:211], s[10:11], v[208:209], v[208:209], 1.0
	v_rcp_f64_e32 v[212:213], v[210:211]
	s_nop 0
	v_fma_f64 v[216:217], -v[210:211], v[212:213], 1.0
	v_fmac_f64_e32 v[212:213], v[212:213], v[216:217]
	v_fma_f64 v[216:217], -v[210:211], v[212:213], 1.0
	v_fmac_f64_e32 v[212:213], v[212:213], v[216:217]
	v_div_scale_f64 v[216:217], vcc, 1.0, v[208:209], 1.0
	v_mul_f64 v[218:219], v[216:217], v[212:213]
	v_fma_f64 v[210:211], -v[210:211], v[218:219], v[216:217]
	s_nop 1
	v_div_fmas_f64 v[210:211], v[210:211], v[212:213], v[218:219]
	v_div_fixup_f64 v[212:213], v[210:211], v[208:209], 1.0
	v_mul_f64 v[214:215], v[214:215], -v[212:213]
.LBB103_70:
	s_or_b64 exec, exec, s[2:3]
	ds_write2_b64 v248, v[212:213], v[214:215] offset1:1
.LBB103_71:
	s_or_b64 exec, exec, s[4:5]
	s_waitcnt lgkmcnt(0)
	s_barrier
	scratch_load_dword v200, off, off       ; 4-byte Folded Reload
	ds_read2_b64 v[244:247], v248 offset1:1
	s_waitcnt vmcnt(0)
	v_cmp_lt_u32_e32 vcc, 7, v200
	s_and_saveexec_b64 s[2:3], vcc
	s_cbranch_execz .LBB103_73
; %bb.72:
	ds_read2_b64 v[210:213], v225 offset0:16 offset1:17
	s_waitcnt lgkmcnt(1)
	v_mul_f64 v[208:209], v[246:247], v[174:175]
	v_mul_f64 v[174:175], v[244:245], v[174:175]
	v_fmac_f64_e32 v[174:175], v[246:247], v[172:173]
	v_fma_f64 v[208:209], v[244:245], v[172:173], -v[208:209]
	s_waitcnt lgkmcnt(0)
	v_mul_f64 v[172:173], v[212:213], v[174:175]
	v_fma_f64 v[172:173], v[210:211], v[208:209], -v[172:173]
	v_mul_f64 v[210:211], v[210:211], v[174:175]
	v_fmac_f64_e32 v[210:211], v[212:213], v[208:209]
	v_add_f64 v[170:171], v[170:171], -v[210:211]
	ds_read2_b64 v[210:213], v225 offset0:18 offset1:19
	v_add_f64 v[168:169], v[168:169], -v[172:173]
	s_waitcnt lgkmcnt(0)
	v_mul_f64 v[172:173], v[212:213], v[174:175]
	v_fma_f64 v[172:173], v[210:211], v[208:209], -v[172:173]
	v_mul_f64 v[210:211], v[210:211], v[174:175]
	v_fmac_f64_e32 v[210:211], v[212:213], v[208:209]
	v_add_f64 v[166:167], v[166:167], -v[210:211]
	ds_read2_b64 v[210:213], v225 offset0:20 offset1:21
	v_add_f64 v[164:165], v[164:165], -v[172:173]
	;; [unrolled: 8-line block ×43, first 2 shown]
	s_waitcnt lgkmcnt(0)
	v_mul_f64 v[172:173], v[212:213], v[174:175]
	v_fma_f64 v[172:173], v[210:211], v[208:209], -v[172:173]
	v_mul_f64 v[210:211], v[210:211], v[174:175]
	v_fmac_f64_e32 v[210:211], v[212:213], v[208:209]
	v_add_f64 v[204:205], v[204:205], -v[172:173]
	v_add_f64 v[206:207], v[206:207], -v[210:211]
	v_mov_b64_e32 v[172:173], v[208:209]
.LBB103_73:
	s_or_b64 exec, exec, s[2:3]
	s_waitcnt lgkmcnt(0)
	s_barrier
	scratch_load_dword v200, off, off       ; 4-byte Folded Reload
	s_waitcnt vmcnt(0)
	v_cmp_eq_u32_e32 vcc, 8, v200
	s_and_saveexec_b64 s[4:5], vcc
	s_cbranch_execz .LBB103_80
; %bb.74:
	ds_write2_b64 v248, v[168:169], v[170:171] offset1:1
	ds_write2_b64 v225, v[164:165], v[166:167] offset0:18 offset1:19
	ds_write2_b64 v225, v[160:161], v[162:163] offset0:20 offset1:21
	;; [unrolled: 1-line block ×43, first 2 shown]
	ds_read2_b64 v[208:211], v248 offset1:1
	s_waitcnt lgkmcnt(0)
	v_cmp_neq_f64_e32 vcc, 0, v[208:209]
	v_cmp_neq_f64_e64 s[2:3], 0, v[210:211]
	s_or_b64 s[2:3], vcc, s[2:3]
	s_and_b64 exec, exec, s[2:3]
	s_cbranch_execz .LBB103_80
; %bb.75:
	v_cmp_ngt_f64_e64 s[2:3], |v[208:209]|, |v[210:211]|
                                        ; implicit-def: $vgpr212_vgpr213
	s_and_saveexec_b64 s[10:11], s[2:3]
	s_xor_b64 s[2:3], exec, s[10:11]
                                        ; implicit-def: $vgpr214_vgpr215
	s_cbranch_execz .LBB103_77
; %bb.76:
	v_div_scale_f64 v[212:213], s[10:11], v[210:211], v[210:211], v[208:209]
	v_rcp_f64_e32 v[214:215], v[212:213]
	v_div_scale_f64 v[216:217], vcc, v[208:209], v[210:211], v[208:209]
	v_fma_f64 v[218:219], -v[212:213], v[214:215], 1.0
	v_fmac_f64_e32 v[214:215], v[214:215], v[218:219]
	v_fma_f64 v[218:219], -v[212:213], v[214:215], 1.0
	v_fmac_f64_e32 v[214:215], v[214:215], v[218:219]
	v_mul_f64 v[218:219], v[216:217], v[214:215]
	v_fma_f64 v[212:213], -v[212:213], v[218:219], v[216:217]
	v_div_fmas_f64 v[212:213], v[212:213], v[214:215], v[218:219]
	v_div_fixup_f64 v[212:213], v[212:213], v[210:211], v[208:209]
	v_fmac_f64_e32 v[210:211], v[208:209], v[212:213]
	v_div_scale_f64 v[208:209], s[10:11], v[210:211], v[210:211], 1.0
	v_rcp_f64_e32 v[214:215], v[208:209]
	s_nop 0
	v_fma_f64 v[216:217], -v[208:209], v[214:215], 1.0
	v_fmac_f64_e32 v[214:215], v[214:215], v[216:217]
	v_fma_f64 v[216:217], -v[208:209], v[214:215], 1.0
	v_fmac_f64_e32 v[214:215], v[214:215], v[216:217]
	v_div_scale_f64 v[216:217], vcc, 1.0, v[210:211], 1.0
	v_mul_f64 v[218:219], v[216:217], v[214:215]
	v_fma_f64 v[208:209], -v[208:209], v[218:219], v[216:217]
	s_nop 1
	v_div_fmas_f64 v[208:209], v[208:209], v[214:215], v[218:219]
	v_div_fixup_f64 v[214:215], v[208:209], v[210:211], 1.0
	v_mul_f64 v[212:213], v[212:213], v[214:215]
	v_xor_b32_e32 v215, 0x80000000, v215
                                        ; implicit-def: $vgpr208_vgpr209
.LBB103_77:
	s_andn2_saveexec_b64 s[2:3], s[2:3]
	s_cbranch_execz .LBB103_79
; %bb.78:
	v_div_scale_f64 v[212:213], s[10:11], v[208:209], v[208:209], v[210:211]
	v_rcp_f64_e32 v[214:215], v[212:213]
	v_div_scale_f64 v[216:217], vcc, v[210:211], v[208:209], v[210:211]
	v_fma_f64 v[218:219], -v[212:213], v[214:215], 1.0
	v_fmac_f64_e32 v[214:215], v[214:215], v[218:219]
	v_fma_f64 v[218:219], -v[212:213], v[214:215], 1.0
	v_fmac_f64_e32 v[214:215], v[214:215], v[218:219]
	v_mul_f64 v[218:219], v[216:217], v[214:215]
	v_fma_f64 v[212:213], -v[212:213], v[218:219], v[216:217]
	v_div_fmas_f64 v[212:213], v[212:213], v[214:215], v[218:219]
	v_div_fixup_f64 v[214:215], v[212:213], v[208:209], v[210:211]
	v_fmac_f64_e32 v[208:209], v[210:211], v[214:215]
	v_div_scale_f64 v[210:211], s[10:11], v[208:209], v[208:209], 1.0
	v_rcp_f64_e32 v[212:213], v[210:211]
	s_nop 0
	v_fma_f64 v[216:217], -v[210:211], v[212:213], 1.0
	v_fmac_f64_e32 v[212:213], v[212:213], v[216:217]
	v_fma_f64 v[216:217], -v[210:211], v[212:213], 1.0
	v_fmac_f64_e32 v[212:213], v[212:213], v[216:217]
	v_div_scale_f64 v[216:217], vcc, 1.0, v[208:209], 1.0
	v_mul_f64 v[218:219], v[216:217], v[212:213]
	v_fma_f64 v[210:211], -v[210:211], v[218:219], v[216:217]
	s_nop 1
	v_div_fmas_f64 v[210:211], v[210:211], v[212:213], v[218:219]
	v_div_fixup_f64 v[212:213], v[210:211], v[208:209], 1.0
	v_mul_f64 v[214:215], v[214:215], -v[212:213]
.LBB103_79:
	s_or_b64 exec, exec, s[2:3]
	ds_write2_b64 v248, v[212:213], v[214:215] offset1:1
.LBB103_80:
	s_or_b64 exec, exec, s[4:5]
	s_waitcnt lgkmcnt(0)
	s_barrier
	ds_read2_b64 v[200:203], v248 offset1:1
	s_waitcnt lgkmcnt(0)
	scratch_store_dwordx4 off, v[200:203], off offset:484 ; 16-byte Folded Spill
	scratch_load_dword v200, off, off       ; 4-byte Folded Reload
	s_waitcnt vmcnt(0)
	v_cmp_lt_u32_e32 vcc, 8, v200
	s_and_saveexec_b64 s[2:3], vcc
	s_cbranch_execz .LBB103_82
; %bb.81:
	scratch_load_dwordx4 v[200:203], off, off offset:484 ; 16-byte Folded Reload
	ds_read2_b64 v[210:213], v225 offset0:18 offset1:19
	s_waitcnt vmcnt(0)
	v_mul_f64 v[208:209], v[202:203], v[170:171]
	v_mul_f64 v[170:171], v[200:201], v[170:171]
	v_fmac_f64_e32 v[170:171], v[202:203], v[168:169]
	v_fma_f64 v[208:209], v[200:201], v[168:169], -v[208:209]
	s_waitcnt lgkmcnt(0)
	v_mul_f64 v[168:169], v[212:213], v[170:171]
	v_fma_f64 v[168:169], v[210:211], v[208:209], -v[168:169]
	v_mul_f64 v[210:211], v[210:211], v[170:171]
	v_fmac_f64_e32 v[210:211], v[212:213], v[208:209]
	v_add_f64 v[166:167], v[166:167], -v[210:211]
	ds_read2_b64 v[210:213], v225 offset0:20 offset1:21
	v_add_f64 v[164:165], v[164:165], -v[168:169]
	s_waitcnt lgkmcnt(0)
	v_mul_f64 v[168:169], v[212:213], v[170:171]
	v_fma_f64 v[168:169], v[210:211], v[208:209], -v[168:169]
	v_mul_f64 v[210:211], v[210:211], v[170:171]
	v_fmac_f64_e32 v[210:211], v[212:213], v[208:209]
	v_add_f64 v[162:163], v[162:163], -v[210:211]
	ds_read2_b64 v[210:213], v225 offset0:22 offset1:23
	v_add_f64 v[160:161], v[160:161], -v[168:169]
	;; [unrolled: 8-line block ×42, first 2 shown]
	s_waitcnt lgkmcnt(0)
	v_mul_f64 v[168:169], v[212:213], v[170:171]
	v_fma_f64 v[168:169], v[210:211], v[208:209], -v[168:169]
	v_mul_f64 v[210:211], v[210:211], v[170:171]
	v_fmac_f64_e32 v[210:211], v[212:213], v[208:209]
	v_add_f64 v[204:205], v[204:205], -v[168:169]
	v_add_f64 v[206:207], v[206:207], -v[210:211]
	v_mov_b64_e32 v[168:169], v[208:209]
.LBB103_82:
	s_or_b64 exec, exec, s[2:3]
	s_barrier
	scratch_load_dword v200, off, off       ; 4-byte Folded Reload
	s_waitcnt vmcnt(0)
	v_cmp_eq_u32_e32 vcc, 9, v200
	s_and_saveexec_b64 s[4:5], vcc
	s_cbranch_execz .LBB103_89
; %bb.83:
	ds_write2_b64 v248, v[164:165], v[166:167] offset1:1
	ds_write2_b64 v225, v[160:161], v[162:163] offset0:20 offset1:21
	ds_write2_b64 v225, v[156:157], v[158:159] offset0:22 offset1:23
	;; [unrolled: 1-line block ×42, first 2 shown]
	ds_read2_b64 v[208:211], v248 offset1:1
	s_waitcnt lgkmcnt(0)
	v_cmp_neq_f64_e32 vcc, 0, v[208:209]
	v_cmp_neq_f64_e64 s[2:3], 0, v[210:211]
	s_or_b64 s[2:3], vcc, s[2:3]
	s_and_b64 exec, exec, s[2:3]
	s_cbranch_execz .LBB103_89
; %bb.84:
	v_cmp_ngt_f64_e64 s[2:3], |v[208:209]|, |v[210:211]|
                                        ; implicit-def: $vgpr212_vgpr213
	s_and_saveexec_b64 s[10:11], s[2:3]
	s_xor_b64 s[2:3], exec, s[10:11]
                                        ; implicit-def: $vgpr214_vgpr215
	s_cbranch_execz .LBB103_86
; %bb.85:
	v_div_scale_f64 v[212:213], s[10:11], v[210:211], v[210:211], v[208:209]
	v_rcp_f64_e32 v[214:215], v[212:213]
	v_div_scale_f64 v[216:217], vcc, v[208:209], v[210:211], v[208:209]
	v_fma_f64 v[218:219], -v[212:213], v[214:215], 1.0
	v_fmac_f64_e32 v[214:215], v[214:215], v[218:219]
	v_fma_f64 v[218:219], -v[212:213], v[214:215], 1.0
	v_fmac_f64_e32 v[214:215], v[214:215], v[218:219]
	v_mul_f64 v[218:219], v[216:217], v[214:215]
	v_fma_f64 v[212:213], -v[212:213], v[218:219], v[216:217]
	v_div_fmas_f64 v[212:213], v[212:213], v[214:215], v[218:219]
	v_div_fixup_f64 v[212:213], v[212:213], v[210:211], v[208:209]
	v_fmac_f64_e32 v[210:211], v[208:209], v[212:213]
	v_div_scale_f64 v[208:209], s[10:11], v[210:211], v[210:211], 1.0
	v_rcp_f64_e32 v[214:215], v[208:209]
	s_nop 0
	v_fma_f64 v[216:217], -v[208:209], v[214:215], 1.0
	v_fmac_f64_e32 v[214:215], v[214:215], v[216:217]
	v_fma_f64 v[216:217], -v[208:209], v[214:215], 1.0
	v_fmac_f64_e32 v[214:215], v[214:215], v[216:217]
	v_div_scale_f64 v[216:217], vcc, 1.0, v[210:211], 1.0
	v_mul_f64 v[218:219], v[216:217], v[214:215]
	v_fma_f64 v[208:209], -v[208:209], v[218:219], v[216:217]
	s_nop 1
	v_div_fmas_f64 v[208:209], v[208:209], v[214:215], v[218:219]
	v_div_fixup_f64 v[214:215], v[208:209], v[210:211], 1.0
	v_mul_f64 v[212:213], v[212:213], v[214:215]
	v_xor_b32_e32 v215, 0x80000000, v215
                                        ; implicit-def: $vgpr208_vgpr209
.LBB103_86:
	s_andn2_saveexec_b64 s[2:3], s[2:3]
	s_cbranch_execz .LBB103_88
; %bb.87:
	v_div_scale_f64 v[212:213], s[10:11], v[208:209], v[208:209], v[210:211]
	v_rcp_f64_e32 v[214:215], v[212:213]
	v_div_scale_f64 v[216:217], vcc, v[210:211], v[208:209], v[210:211]
	v_fma_f64 v[218:219], -v[212:213], v[214:215], 1.0
	v_fmac_f64_e32 v[214:215], v[214:215], v[218:219]
	v_fma_f64 v[218:219], -v[212:213], v[214:215], 1.0
	v_fmac_f64_e32 v[214:215], v[214:215], v[218:219]
	v_mul_f64 v[218:219], v[216:217], v[214:215]
	v_fma_f64 v[212:213], -v[212:213], v[218:219], v[216:217]
	v_div_fmas_f64 v[212:213], v[212:213], v[214:215], v[218:219]
	v_div_fixup_f64 v[214:215], v[212:213], v[208:209], v[210:211]
	v_fmac_f64_e32 v[208:209], v[210:211], v[214:215]
	v_div_scale_f64 v[210:211], s[10:11], v[208:209], v[208:209], 1.0
	v_rcp_f64_e32 v[212:213], v[210:211]
	s_nop 0
	v_fma_f64 v[216:217], -v[210:211], v[212:213], 1.0
	v_fmac_f64_e32 v[212:213], v[212:213], v[216:217]
	v_fma_f64 v[216:217], -v[210:211], v[212:213], 1.0
	v_fmac_f64_e32 v[212:213], v[212:213], v[216:217]
	v_div_scale_f64 v[216:217], vcc, 1.0, v[208:209], 1.0
	v_mul_f64 v[218:219], v[216:217], v[212:213]
	v_fma_f64 v[210:211], -v[210:211], v[218:219], v[216:217]
	s_nop 1
	v_div_fmas_f64 v[210:211], v[210:211], v[212:213], v[218:219]
	v_div_fixup_f64 v[212:213], v[210:211], v[208:209], 1.0
	v_mul_f64 v[214:215], v[214:215], -v[212:213]
.LBB103_88:
	s_or_b64 exec, exec, s[2:3]
	ds_write2_b64 v248, v[212:213], v[214:215] offset1:1
.LBB103_89:
	s_or_b64 exec, exec, s[4:5]
	s_waitcnt lgkmcnt(0)
	s_barrier
	ds_read2_b64 v[200:203], v248 offset1:1
	s_waitcnt lgkmcnt(0)
	scratch_store_dwordx4 off, v[200:203], off offset:500 ; 16-byte Folded Spill
	scratch_load_dword v200, off, off       ; 4-byte Folded Reload
	s_waitcnt vmcnt(0)
	v_cmp_lt_u32_e32 vcc, 9, v200
	s_and_saveexec_b64 s[2:3], vcc
	s_cbranch_execz .LBB103_91
; %bb.90:
	scratch_load_dwordx4 v[200:203], off, off offset:500 ; 16-byte Folded Reload
	ds_read2_b64 v[210:213], v225 offset0:20 offset1:21
	s_waitcnt vmcnt(0)
	v_mul_f64 v[208:209], v[202:203], v[166:167]
	v_mul_f64 v[166:167], v[200:201], v[166:167]
	v_fmac_f64_e32 v[166:167], v[202:203], v[164:165]
	v_fma_f64 v[208:209], v[200:201], v[164:165], -v[208:209]
	s_waitcnt lgkmcnt(0)
	v_mul_f64 v[164:165], v[212:213], v[166:167]
	v_fma_f64 v[164:165], v[210:211], v[208:209], -v[164:165]
	v_mul_f64 v[210:211], v[210:211], v[166:167]
	v_fmac_f64_e32 v[210:211], v[212:213], v[208:209]
	v_add_f64 v[162:163], v[162:163], -v[210:211]
	ds_read2_b64 v[210:213], v225 offset0:22 offset1:23
	v_add_f64 v[160:161], v[160:161], -v[164:165]
	s_waitcnt lgkmcnt(0)
	v_mul_f64 v[164:165], v[212:213], v[166:167]
	v_fma_f64 v[164:165], v[210:211], v[208:209], -v[164:165]
	v_mul_f64 v[210:211], v[210:211], v[166:167]
	v_fmac_f64_e32 v[210:211], v[212:213], v[208:209]
	v_add_f64 v[158:159], v[158:159], -v[210:211]
	ds_read2_b64 v[210:213], v225 offset0:24 offset1:25
	v_add_f64 v[156:157], v[156:157], -v[164:165]
	;; [unrolled: 8-line block ×41, first 2 shown]
	s_waitcnt lgkmcnt(0)
	v_mul_f64 v[164:165], v[212:213], v[166:167]
	v_fma_f64 v[164:165], v[210:211], v[208:209], -v[164:165]
	v_mul_f64 v[210:211], v[210:211], v[166:167]
	v_fmac_f64_e32 v[210:211], v[212:213], v[208:209]
	v_add_f64 v[204:205], v[204:205], -v[164:165]
	v_add_f64 v[206:207], v[206:207], -v[210:211]
	v_mov_b64_e32 v[164:165], v[208:209]
.LBB103_91:
	s_or_b64 exec, exec, s[2:3]
	s_barrier
	scratch_load_dword v200, off, off       ; 4-byte Folded Reload
	s_waitcnt vmcnt(0)
	v_cmp_eq_u32_e32 vcc, 10, v200
	s_and_saveexec_b64 s[4:5], vcc
	s_cbranch_execz .LBB103_98
; %bb.92:
	ds_write2_b64 v248, v[160:161], v[162:163] offset1:1
	ds_write2_b64 v225, v[156:157], v[158:159] offset0:22 offset1:23
	ds_write2_b64 v225, v[152:153], v[154:155] offset0:24 offset1:25
	;; [unrolled: 1-line block ×41, first 2 shown]
	ds_read2_b64 v[208:211], v248 offset1:1
	s_waitcnt lgkmcnt(0)
	v_cmp_neq_f64_e32 vcc, 0, v[208:209]
	v_cmp_neq_f64_e64 s[2:3], 0, v[210:211]
	s_or_b64 s[2:3], vcc, s[2:3]
	s_and_b64 exec, exec, s[2:3]
	s_cbranch_execz .LBB103_98
; %bb.93:
	v_cmp_ngt_f64_e64 s[2:3], |v[208:209]|, |v[210:211]|
                                        ; implicit-def: $vgpr212_vgpr213
	s_and_saveexec_b64 s[10:11], s[2:3]
	s_xor_b64 s[2:3], exec, s[10:11]
                                        ; implicit-def: $vgpr214_vgpr215
	s_cbranch_execz .LBB103_95
; %bb.94:
	v_div_scale_f64 v[212:213], s[10:11], v[210:211], v[210:211], v[208:209]
	v_rcp_f64_e32 v[214:215], v[212:213]
	v_div_scale_f64 v[216:217], vcc, v[208:209], v[210:211], v[208:209]
	v_fma_f64 v[218:219], -v[212:213], v[214:215], 1.0
	v_fmac_f64_e32 v[214:215], v[214:215], v[218:219]
	v_fma_f64 v[218:219], -v[212:213], v[214:215], 1.0
	v_fmac_f64_e32 v[214:215], v[214:215], v[218:219]
	v_mul_f64 v[218:219], v[216:217], v[214:215]
	v_fma_f64 v[212:213], -v[212:213], v[218:219], v[216:217]
	v_div_fmas_f64 v[212:213], v[212:213], v[214:215], v[218:219]
	v_div_fixup_f64 v[212:213], v[212:213], v[210:211], v[208:209]
	v_fmac_f64_e32 v[210:211], v[208:209], v[212:213]
	v_div_scale_f64 v[208:209], s[10:11], v[210:211], v[210:211], 1.0
	v_rcp_f64_e32 v[214:215], v[208:209]
	s_nop 0
	v_fma_f64 v[216:217], -v[208:209], v[214:215], 1.0
	v_fmac_f64_e32 v[214:215], v[214:215], v[216:217]
	v_fma_f64 v[216:217], -v[208:209], v[214:215], 1.0
	v_fmac_f64_e32 v[214:215], v[214:215], v[216:217]
	v_div_scale_f64 v[216:217], vcc, 1.0, v[210:211], 1.0
	v_mul_f64 v[218:219], v[216:217], v[214:215]
	v_fma_f64 v[208:209], -v[208:209], v[218:219], v[216:217]
	s_nop 1
	v_div_fmas_f64 v[208:209], v[208:209], v[214:215], v[218:219]
	v_div_fixup_f64 v[214:215], v[208:209], v[210:211], 1.0
	v_mul_f64 v[212:213], v[212:213], v[214:215]
	v_xor_b32_e32 v215, 0x80000000, v215
                                        ; implicit-def: $vgpr208_vgpr209
.LBB103_95:
	s_andn2_saveexec_b64 s[2:3], s[2:3]
	s_cbranch_execz .LBB103_97
; %bb.96:
	v_div_scale_f64 v[212:213], s[10:11], v[208:209], v[208:209], v[210:211]
	v_rcp_f64_e32 v[214:215], v[212:213]
	v_div_scale_f64 v[216:217], vcc, v[210:211], v[208:209], v[210:211]
	v_fma_f64 v[218:219], -v[212:213], v[214:215], 1.0
	v_fmac_f64_e32 v[214:215], v[214:215], v[218:219]
	v_fma_f64 v[218:219], -v[212:213], v[214:215], 1.0
	v_fmac_f64_e32 v[214:215], v[214:215], v[218:219]
	v_mul_f64 v[218:219], v[216:217], v[214:215]
	v_fma_f64 v[212:213], -v[212:213], v[218:219], v[216:217]
	v_div_fmas_f64 v[212:213], v[212:213], v[214:215], v[218:219]
	v_div_fixup_f64 v[214:215], v[212:213], v[208:209], v[210:211]
	v_fmac_f64_e32 v[208:209], v[210:211], v[214:215]
	v_div_scale_f64 v[210:211], s[10:11], v[208:209], v[208:209], 1.0
	v_rcp_f64_e32 v[212:213], v[210:211]
	s_nop 0
	v_fma_f64 v[216:217], -v[210:211], v[212:213], 1.0
	v_fmac_f64_e32 v[212:213], v[212:213], v[216:217]
	v_fma_f64 v[216:217], -v[210:211], v[212:213], 1.0
	v_fmac_f64_e32 v[212:213], v[212:213], v[216:217]
	v_div_scale_f64 v[216:217], vcc, 1.0, v[208:209], 1.0
	v_mul_f64 v[218:219], v[216:217], v[212:213]
	v_fma_f64 v[210:211], -v[210:211], v[218:219], v[216:217]
	s_nop 1
	v_div_fmas_f64 v[210:211], v[210:211], v[212:213], v[218:219]
	v_div_fixup_f64 v[212:213], v[210:211], v[208:209], 1.0
	v_mul_f64 v[214:215], v[214:215], -v[212:213]
.LBB103_97:
	s_or_b64 exec, exec, s[2:3]
	ds_write2_b64 v248, v[212:213], v[214:215] offset1:1
.LBB103_98:
	s_or_b64 exec, exec, s[4:5]
	s_waitcnt lgkmcnt(0)
	s_barrier
	ds_read2_b64 v[200:203], v248 offset1:1
	s_waitcnt lgkmcnt(0)
	scratch_store_dwordx4 off, v[200:203], off offset:516 ; 16-byte Folded Spill
	scratch_load_dword v200, off, off       ; 4-byte Folded Reload
	s_waitcnt vmcnt(0)
	v_cmp_lt_u32_e32 vcc, 10, v200
	s_and_saveexec_b64 s[2:3], vcc
	s_cbranch_execz .LBB103_100
; %bb.99:
	scratch_load_dwordx4 v[200:203], off, off offset:516 ; 16-byte Folded Reload
	ds_read2_b64 v[210:213], v225 offset0:22 offset1:23
	s_waitcnt vmcnt(0)
	v_mul_f64 v[208:209], v[202:203], v[162:163]
	v_mul_f64 v[162:163], v[200:201], v[162:163]
	v_fmac_f64_e32 v[162:163], v[202:203], v[160:161]
	v_fma_f64 v[208:209], v[200:201], v[160:161], -v[208:209]
	s_waitcnt lgkmcnt(0)
	v_mul_f64 v[160:161], v[212:213], v[162:163]
	v_fma_f64 v[160:161], v[210:211], v[208:209], -v[160:161]
	v_mul_f64 v[210:211], v[210:211], v[162:163]
	v_fmac_f64_e32 v[210:211], v[212:213], v[208:209]
	v_add_f64 v[158:159], v[158:159], -v[210:211]
	ds_read2_b64 v[210:213], v225 offset0:24 offset1:25
	v_add_f64 v[156:157], v[156:157], -v[160:161]
	s_waitcnt lgkmcnt(0)
	v_mul_f64 v[160:161], v[212:213], v[162:163]
	v_fma_f64 v[160:161], v[210:211], v[208:209], -v[160:161]
	v_mul_f64 v[210:211], v[210:211], v[162:163]
	v_fmac_f64_e32 v[210:211], v[212:213], v[208:209]
	v_add_f64 v[154:155], v[154:155], -v[210:211]
	ds_read2_b64 v[210:213], v225 offset0:26 offset1:27
	v_add_f64 v[152:153], v[152:153], -v[160:161]
	;; [unrolled: 8-line block ×40, first 2 shown]
	s_waitcnt lgkmcnt(0)
	v_mul_f64 v[160:161], v[212:213], v[162:163]
	v_fma_f64 v[160:161], v[210:211], v[208:209], -v[160:161]
	v_mul_f64 v[210:211], v[210:211], v[162:163]
	v_fmac_f64_e32 v[210:211], v[212:213], v[208:209]
	v_add_f64 v[204:205], v[204:205], -v[160:161]
	v_add_f64 v[206:207], v[206:207], -v[210:211]
	v_mov_b64_e32 v[160:161], v[208:209]
.LBB103_100:
	s_or_b64 exec, exec, s[2:3]
	s_barrier
	scratch_load_dword v200, off, off       ; 4-byte Folded Reload
	s_waitcnt vmcnt(0)
	v_cmp_eq_u32_e32 vcc, 11, v200
	s_and_saveexec_b64 s[4:5], vcc
	s_cbranch_execz .LBB103_107
; %bb.101:
	ds_write2_b64 v248, v[156:157], v[158:159] offset1:1
	ds_write2_b64 v225, v[152:153], v[154:155] offset0:24 offset1:25
	ds_write2_b64 v225, v[148:149], v[150:151] offset0:26 offset1:27
	;; [unrolled: 1-line block ×40, first 2 shown]
	ds_read2_b64 v[208:211], v248 offset1:1
	s_waitcnt lgkmcnt(0)
	v_cmp_neq_f64_e32 vcc, 0, v[208:209]
	v_cmp_neq_f64_e64 s[2:3], 0, v[210:211]
	s_or_b64 s[2:3], vcc, s[2:3]
	s_and_b64 exec, exec, s[2:3]
	s_cbranch_execz .LBB103_107
; %bb.102:
	v_cmp_ngt_f64_e64 s[2:3], |v[208:209]|, |v[210:211]|
                                        ; implicit-def: $vgpr212_vgpr213
	s_and_saveexec_b64 s[10:11], s[2:3]
	s_xor_b64 s[2:3], exec, s[10:11]
                                        ; implicit-def: $vgpr214_vgpr215
	s_cbranch_execz .LBB103_104
; %bb.103:
	v_div_scale_f64 v[212:213], s[10:11], v[210:211], v[210:211], v[208:209]
	v_rcp_f64_e32 v[214:215], v[212:213]
	v_div_scale_f64 v[216:217], vcc, v[208:209], v[210:211], v[208:209]
	v_fma_f64 v[218:219], -v[212:213], v[214:215], 1.0
	v_fmac_f64_e32 v[214:215], v[214:215], v[218:219]
	v_fma_f64 v[218:219], -v[212:213], v[214:215], 1.0
	v_fmac_f64_e32 v[214:215], v[214:215], v[218:219]
	v_mul_f64 v[218:219], v[216:217], v[214:215]
	v_fma_f64 v[212:213], -v[212:213], v[218:219], v[216:217]
	v_div_fmas_f64 v[212:213], v[212:213], v[214:215], v[218:219]
	v_div_fixup_f64 v[212:213], v[212:213], v[210:211], v[208:209]
	v_fmac_f64_e32 v[210:211], v[208:209], v[212:213]
	v_div_scale_f64 v[208:209], s[10:11], v[210:211], v[210:211], 1.0
	v_rcp_f64_e32 v[214:215], v[208:209]
	s_nop 0
	v_fma_f64 v[216:217], -v[208:209], v[214:215], 1.0
	v_fmac_f64_e32 v[214:215], v[214:215], v[216:217]
	v_fma_f64 v[216:217], -v[208:209], v[214:215], 1.0
	v_fmac_f64_e32 v[214:215], v[214:215], v[216:217]
	v_div_scale_f64 v[216:217], vcc, 1.0, v[210:211], 1.0
	v_mul_f64 v[218:219], v[216:217], v[214:215]
	v_fma_f64 v[208:209], -v[208:209], v[218:219], v[216:217]
	s_nop 1
	v_div_fmas_f64 v[208:209], v[208:209], v[214:215], v[218:219]
	v_div_fixup_f64 v[214:215], v[208:209], v[210:211], 1.0
	v_mul_f64 v[212:213], v[212:213], v[214:215]
	v_xor_b32_e32 v215, 0x80000000, v215
                                        ; implicit-def: $vgpr208_vgpr209
.LBB103_104:
	s_andn2_saveexec_b64 s[2:3], s[2:3]
	s_cbranch_execz .LBB103_106
; %bb.105:
	v_div_scale_f64 v[212:213], s[10:11], v[208:209], v[208:209], v[210:211]
	v_rcp_f64_e32 v[214:215], v[212:213]
	v_div_scale_f64 v[216:217], vcc, v[210:211], v[208:209], v[210:211]
	v_fma_f64 v[218:219], -v[212:213], v[214:215], 1.0
	v_fmac_f64_e32 v[214:215], v[214:215], v[218:219]
	v_fma_f64 v[218:219], -v[212:213], v[214:215], 1.0
	v_fmac_f64_e32 v[214:215], v[214:215], v[218:219]
	v_mul_f64 v[218:219], v[216:217], v[214:215]
	v_fma_f64 v[212:213], -v[212:213], v[218:219], v[216:217]
	v_div_fmas_f64 v[212:213], v[212:213], v[214:215], v[218:219]
	v_div_fixup_f64 v[214:215], v[212:213], v[208:209], v[210:211]
	v_fmac_f64_e32 v[208:209], v[210:211], v[214:215]
	v_div_scale_f64 v[210:211], s[10:11], v[208:209], v[208:209], 1.0
	v_rcp_f64_e32 v[212:213], v[210:211]
	s_nop 0
	v_fma_f64 v[216:217], -v[210:211], v[212:213], 1.0
	v_fmac_f64_e32 v[212:213], v[212:213], v[216:217]
	v_fma_f64 v[216:217], -v[210:211], v[212:213], 1.0
	v_fmac_f64_e32 v[212:213], v[212:213], v[216:217]
	v_div_scale_f64 v[216:217], vcc, 1.0, v[208:209], 1.0
	v_mul_f64 v[218:219], v[216:217], v[212:213]
	v_fma_f64 v[210:211], -v[210:211], v[218:219], v[216:217]
	s_nop 1
	v_div_fmas_f64 v[210:211], v[210:211], v[212:213], v[218:219]
	v_div_fixup_f64 v[212:213], v[210:211], v[208:209], 1.0
	v_mul_f64 v[214:215], v[214:215], -v[212:213]
.LBB103_106:
	s_or_b64 exec, exec, s[2:3]
	ds_write2_b64 v248, v[212:213], v[214:215] offset1:1
.LBB103_107:
	s_or_b64 exec, exec, s[4:5]
	s_waitcnt lgkmcnt(0)
	s_barrier
	ds_read2_b64 v[200:203], v248 offset1:1
	s_waitcnt lgkmcnt(0)
	scratch_store_dwordx4 off, v[200:203], off offset:532 ; 16-byte Folded Spill
	scratch_load_dword v200, off, off       ; 4-byte Folded Reload
	s_waitcnt vmcnt(0)
	v_cmp_lt_u32_e32 vcc, 11, v200
	s_and_saveexec_b64 s[2:3], vcc
	s_cbranch_execz .LBB103_109
; %bb.108:
	scratch_load_dwordx4 v[200:203], off, off offset:532 ; 16-byte Folded Reload
	ds_read2_b64 v[210:213], v225 offset0:24 offset1:25
	s_waitcnt vmcnt(0)
	v_mul_f64 v[208:209], v[202:203], v[158:159]
	v_mul_f64 v[158:159], v[200:201], v[158:159]
	v_fmac_f64_e32 v[158:159], v[202:203], v[156:157]
	v_fma_f64 v[208:209], v[200:201], v[156:157], -v[208:209]
	s_waitcnt lgkmcnt(0)
	v_mul_f64 v[156:157], v[212:213], v[158:159]
	v_fma_f64 v[156:157], v[210:211], v[208:209], -v[156:157]
	v_mul_f64 v[210:211], v[210:211], v[158:159]
	v_fmac_f64_e32 v[210:211], v[212:213], v[208:209]
	v_add_f64 v[154:155], v[154:155], -v[210:211]
	ds_read2_b64 v[210:213], v225 offset0:26 offset1:27
	v_add_f64 v[152:153], v[152:153], -v[156:157]
	s_waitcnt lgkmcnt(0)
	v_mul_f64 v[156:157], v[212:213], v[158:159]
	v_fma_f64 v[156:157], v[210:211], v[208:209], -v[156:157]
	v_mul_f64 v[210:211], v[210:211], v[158:159]
	v_fmac_f64_e32 v[210:211], v[212:213], v[208:209]
	v_add_f64 v[150:151], v[150:151], -v[210:211]
	ds_read2_b64 v[210:213], v225 offset0:28 offset1:29
	v_add_f64 v[148:149], v[148:149], -v[156:157]
	;; [unrolled: 8-line block ×39, first 2 shown]
	s_waitcnt lgkmcnt(0)
	v_mul_f64 v[156:157], v[212:213], v[158:159]
	v_fma_f64 v[156:157], v[210:211], v[208:209], -v[156:157]
	v_mul_f64 v[210:211], v[210:211], v[158:159]
	v_fmac_f64_e32 v[210:211], v[212:213], v[208:209]
	v_add_f64 v[204:205], v[204:205], -v[156:157]
	v_add_f64 v[206:207], v[206:207], -v[210:211]
	v_mov_b64_e32 v[156:157], v[208:209]
.LBB103_109:
	s_or_b64 exec, exec, s[2:3]
	s_barrier
	scratch_load_dword v200, off, off       ; 4-byte Folded Reload
	s_waitcnt vmcnt(0)
	v_cmp_eq_u32_e32 vcc, 12, v200
	s_and_saveexec_b64 s[4:5], vcc
	s_cbranch_execz .LBB103_116
; %bb.110:
	ds_write2_b64 v248, v[152:153], v[154:155] offset1:1
	ds_write2_b64 v225, v[148:149], v[150:151] offset0:26 offset1:27
	ds_write2_b64 v225, v[144:145], v[146:147] offset0:28 offset1:29
	;; [unrolled: 1-line block ×39, first 2 shown]
	ds_read2_b64 v[208:211], v248 offset1:1
	s_waitcnt lgkmcnt(0)
	v_cmp_neq_f64_e32 vcc, 0, v[208:209]
	v_cmp_neq_f64_e64 s[2:3], 0, v[210:211]
	s_or_b64 s[2:3], vcc, s[2:3]
	s_and_b64 exec, exec, s[2:3]
	s_cbranch_execz .LBB103_116
; %bb.111:
	v_cmp_ngt_f64_e64 s[2:3], |v[208:209]|, |v[210:211]|
                                        ; implicit-def: $vgpr212_vgpr213
	s_and_saveexec_b64 s[10:11], s[2:3]
	s_xor_b64 s[2:3], exec, s[10:11]
                                        ; implicit-def: $vgpr214_vgpr215
	s_cbranch_execz .LBB103_113
; %bb.112:
	v_div_scale_f64 v[212:213], s[10:11], v[210:211], v[210:211], v[208:209]
	v_rcp_f64_e32 v[214:215], v[212:213]
	v_div_scale_f64 v[216:217], vcc, v[208:209], v[210:211], v[208:209]
	v_fma_f64 v[218:219], -v[212:213], v[214:215], 1.0
	v_fmac_f64_e32 v[214:215], v[214:215], v[218:219]
	v_fma_f64 v[218:219], -v[212:213], v[214:215], 1.0
	v_fmac_f64_e32 v[214:215], v[214:215], v[218:219]
	v_mul_f64 v[218:219], v[216:217], v[214:215]
	v_fma_f64 v[212:213], -v[212:213], v[218:219], v[216:217]
	v_div_fmas_f64 v[212:213], v[212:213], v[214:215], v[218:219]
	v_div_fixup_f64 v[212:213], v[212:213], v[210:211], v[208:209]
	v_fmac_f64_e32 v[210:211], v[208:209], v[212:213]
	v_div_scale_f64 v[208:209], s[10:11], v[210:211], v[210:211], 1.0
	v_rcp_f64_e32 v[214:215], v[208:209]
	s_nop 0
	v_fma_f64 v[216:217], -v[208:209], v[214:215], 1.0
	v_fmac_f64_e32 v[214:215], v[214:215], v[216:217]
	v_fma_f64 v[216:217], -v[208:209], v[214:215], 1.0
	v_fmac_f64_e32 v[214:215], v[214:215], v[216:217]
	v_div_scale_f64 v[216:217], vcc, 1.0, v[210:211], 1.0
	v_mul_f64 v[218:219], v[216:217], v[214:215]
	v_fma_f64 v[208:209], -v[208:209], v[218:219], v[216:217]
	s_nop 1
	v_div_fmas_f64 v[208:209], v[208:209], v[214:215], v[218:219]
	v_div_fixup_f64 v[214:215], v[208:209], v[210:211], 1.0
	v_mul_f64 v[212:213], v[212:213], v[214:215]
	v_xor_b32_e32 v215, 0x80000000, v215
                                        ; implicit-def: $vgpr208_vgpr209
.LBB103_113:
	s_andn2_saveexec_b64 s[2:3], s[2:3]
	s_cbranch_execz .LBB103_115
; %bb.114:
	v_div_scale_f64 v[212:213], s[10:11], v[208:209], v[208:209], v[210:211]
	v_rcp_f64_e32 v[214:215], v[212:213]
	v_div_scale_f64 v[216:217], vcc, v[210:211], v[208:209], v[210:211]
	v_fma_f64 v[218:219], -v[212:213], v[214:215], 1.0
	v_fmac_f64_e32 v[214:215], v[214:215], v[218:219]
	v_fma_f64 v[218:219], -v[212:213], v[214:215], 1.0
	v_fmac_f64_e32 v[214:215], v[214:215], v[218:219]
	v_mul_f64 v[218:219], v[216:217], v[214:215]
	v_fma_f64 v[212:213], -v[212:213], v[218:219], v[216:217]
	v_div_fmas_f64 v[212:213], v[212:213], v[214:215], v[218:219]
	v_div_fixup_f64 v[214:215], v[212:213], v[208:209], v[210:211]
	v_fmac_f64_e32 v[208:209], v[210:211], v[214:215]
	v_div_scale_f64 v[210:211], s[10:11], v[208:209], v[208:209], 1.0
	v_rcp_f64_e32 v[212:213], v[210:211]
	s_nop 0
	v_fma_f64 v[216:217], -v[210:211], v[212:213], 1.0
	v_fmac_f64_e32 v[212:213], v[212:213], v[216:217]
	v_fma_f64 v[216:217], -v[210:211], v[212:213], 1.0
	v_fmac_f64_e32 v[212:213], v[212:213], v[216:217]
	v_div_scale_f64 v[216:217], vcc, 1.0, v[208:209], 1.0
	v_mul_f64 v[218:219], v[216:217], v[212:213]
	v_fma_f64 v[210:211], -v[210:211], v[218:219], v[216:217]
	s_nop 1
	v_div_fmas_f64 v[210:211], v[210:211], v[212:213], v[218:219]
	v_div_fixup_f64 v[212:213], v[210:211], v[208:209], 1.0
	v_mul_f64 v[214:215], v[214:215], -v[212:213]
.LBB103_115:
	s_or_b64 exec, exec, s[2:3]
	ds_write2_b64 v248, v[212:213], v[214:215] offset1:1
.LBB103_116:
	s_or_b64 exec, exec, s[4:5]
	s_waitcnt lgkmcnt(0)
	s_barrier
	ds_read2_b64 v[200:203], v248 offset1:1
	s_waitcnt lgkmcnt(0)
	scratch_store_dwordx4 off, v[200:203], off offset:548 ; 16-byte Folded Spill
	scratch_load_dword v200, off, off       ; 4-byte Folded Reload
	s_waitcnt vmcnt(0)
	v_cmp_lt_u32_e32 vcc, 12, v200
	s_and_saveexec_b64 s[2:3], vcc
	s_cbranch_execz .LBB103_118
; %bb.117:
	scratch_load_dwordx4 v[200:203], off, off offset:548 ; 16-byte Folded Reload
	ds_read2_b64 v[210:213], v225 offset0:26 offset1:27
	s_waitcnt vmcnt(0)
	v_mul_f64 v[208:209], v[202:203], v[154:155]
	v_mul_f64 v[154:155], v[200:201], v[154:155]
	v_fmac_f64_e32 v[154:155], v[202:203], v[152:153]
	v_fma_f64 v[208:209], v[200:201], v[152:153], -v[208:209]
	s_waitcnt lgkmcnt(0)
	v_mul_f64 v[152:153], v[212:213], v[154:155]
	v_fma_f64 v[152:153], v[210:211], v[208:209], -v[152:153]
	v_mul_f64 v[210:211], v[210:211], v[154:155]
	v_fmac_f64_e32 v[210:211], v[212:213], v[208:209]
	v_add_f64 v[150:151], v[150:151], -v[210:211]
	ds_read2_b64 v[210:213], v225 offset0:28 offset1:29
	v_add_f64 v[148:149], v[148:149], -v[152:153]
	s_waitcnt lgkmcnt(0)
	v_mul_f64 v[152:153], v[212:213], v[154:155]
	v_fma_f64 v[152:153], v[210:211], v[208:209], -v[152:153]
	v_mul_f64 v[210:211], v[210:211], v[154:155]
	v_fmac_f64_e32 v[210:211], v[212:213], v[208:209]
	v_add_f64 v[146:147], v[146:147], -v[210:211]
	ds_read2_b64 v[210:213], v225 offset0:30 offset1:31
	v_add_f64 v[144:145], v[144:145], -v[152:153]
	;; [unrolled: 8-line block ×38, first 2 shown]
	s_waitcnt lgkmcnt(0)
	v_mul_f64 v[152:153], v[212:213], v[154:155]
	v_fma_f64 v[152:153], v[210:211], v[208:209], -v[152:153]
	v_mul_f64 v[210:211], v[210:211], v[154:155]
	v_fmac_f64_e32 v[210:211], v[212:213], v[208:209]
	v_add_f64 v[204:205], v[204:205], -v[152:153]
	v_add_f64 v[206:207], v[206:207], -v[210:211]
	v_mov_b64_e32 v[152:153], v[208:209]
.LBB103_118:
	s_or_b64 exec, exec, s[2:3]
	s_barrier
	scratch_load_dword v200, off, off       ; 4-byte Folded Reload
	s_waitcnt vmcnt(0)
	v_cmp_eq_u32_e32 vcc, 13, v200
	s_and_saveexec_b64 s[4:5], vcc
	s_cbranch_execz .LBB103_125
; %bb.119:
	ds_write2_b64 v248, v[148:149], v[150:151] offset1:1
	ds_write2_b64 v225, v[144:145], v[146:147] offset0:28 offset1:29
	ds_write2_b64 v225, v[140:141], v[142:143] offset0:30 offset1:31
	;; [unrolled: 1-line block ×38, first 2 shown]
	ds_read2_b64 v[208:211], v248 offset1:1
	s_waitcnt lgkmcnt(0)
	v_cmp_neq_f64_e32 vcc, 0, v[208:209]
	v_cmp_neq_f64_e64 s[2:3], 0, v[210:211]
	s_or_b64 s[2:3], vcc, s[2:3]
	s_and_b64 exec, exec, s[2:3]
	s_cbranch_execz .LBB103_125
; %bb.120:
	v_cmp_ngt_f64_e64 s[2:3], |v[208:209]|, |v[210:211]|
                                        ; implicit-def: $vgpr212_vgpr213
	s_and_saveexec_b64 s[10:11], s[2:3]
	s_xor_b64 s[2:3], exec, s[10:11]
                                        ; implicit-def: $vgpr214_vgpr215
	s_cbranch_execz .LBB103_122
; %bb.121:
	v_div_scale_f64 v[212:213], s[10:11], v[210:211], v[210:211], v[208:209]
	v_rcp_f64_e32 v[214:215], v[212:213]
	v_div_scale_f64 v[216:217], vcc, v[208:209], v[210:211], v[208:209]
	v_fma_f64 v[218:219], -v[212:213], v[214:215], 1.0
	v_fmac_f64_e32 v[214:215], v[214:215], v[218:219]
	v_fma_f64 v[218:219], -v[212:213], v[214:215], 1.0
	v_fmac_f64_e32 v[214:215], v[214:215], v[218:219]
	v_mul_f64 v[218:219], v[216:217], v[214:215]
	v_fma_f64 v[212:213], -v[212:213], v[218:219], v[216:217]
	v_div_fmas_f64 v[212:213], v[212:213], v[214:215], v[218:219]
	v_div_fixup_f64 v[212:213], v[212:213], v[210:211], v[208:209]
	v_fmac_f64_e32 v[210:211], v[208:209], v[212:213]
	v_div_scale_f64 v[208:209], s[10:11], v[210:211], v[210:211], 1.0
	v_rcp_f64_e32 v[214:215], v[208:209]
	s_nop 0
	v_fma_f64 v[216:217], -v[208:209], v[214:215], 1.0
	v_fmac_f64_e32 v[214:215], v[214:215], v[216:217]
	v_fma_f64 v[216:217], -v[208:209], v[214:215], 1.0
	v_fmac_f64_e32 v[214:215], v[214:215], v[216:217]
	v_div_scale_f64 v[216:217], vcc, 1.0, v[210:211], 1.0
	v_mul_f64 v[218:219], v[216:217], v[214:215]
	v_fma_f64 v[208:209], -v[208:209], v[218:219], v[216:217]
	s_nop 1
	v_div_fmas_f64 v[208:209], v[208:209], v[214:215], v[218:219]
	v_div_fixup_f64 v[214:215], v[208:209], v[210:211], 1.0
	v_mul_f64 v[212:213], v[212:213], v[214:215]
	v_xor_b32_e32 v215, 0x80000000, v215
                                        ; implicit-def: $vgpr208_vgpr209
.LBB103_122:
	s_andn2_saveexec_b64 s[2:3], s[2:3]
	s_cbranch_execz .LBB103_124
; %bb.123:
	v_div_scale_f64 v[212:213], s[10:11], v[208:209], v[208:209], v[210:211]
	v_rcp_f64_e32 v[214:215], v[212:213]
	v_div_scale_f64 v[216:217], vcc, v[210:211], v[208:209], v[210:211]
	v_fma_f64 v[218:219], -v[212:213], v[214:215], 1.0
	v_fmac_f64_e32 v[214:215], v[214:215], v[218:219]
	v_fma_f64 v[218:219], -v[212:213], v[214:215], 1.0
	v_fmac_f64_e32 v[214:215], v[214:215], v[218:219]
	v_mul_f64 v[218:219], v[216:217], v[214:215]
	v_fma_f64 v[212:213], -v[212:213], v[218:219], v[216:217]
	v_div_fmas_f64 v[212:213], v[212:213], v[214:215], v[218:219]
	v_div_fixup_f64 v[214:215], v[212:213], v[208:209], v[210:211]
	v_fmac_f64_e32 v[208:209], v[210:211], v[214:215]
	v_div_scale_f64 v[210:211], s[10:11], v[208:209], v[208:209], 1.0
	v_rcp_f64_e32 v[212:213], v[210:211]
	s_nop 0
	v_fma_f64 v[216:217], -v[210:211], v[212:213], 1.0
	v_fmac_f64_e32 v[212:213], v[212:213], v[216:217]
	v_fma_f64 v[216:217], -v[210:211], v[212:213], 1.0
	v_fmac_f64_e32 v[212:213], v[212:213], v[216:217]
	v_div_scale_f64 v[216:217], vcc, 1.0, v[208:209], 1.0
	v_mul_f64 v[218:219], v[216:217], v[212:213]
	v_fma_f64 v[210:211], -v[210:211], v[218:219], v[216:217]
	s_nop 1
	v_div_fmas_f64 v[210:211], v[210:211], v[212:213], v[218:219]
	v_div_fixup_f64 v[212:213], v[210:211], v[208:209], 1.0
	v_mul_f64 v[214:215], v[214:215], -v[212:213]
.LBB103_124:
	s_or_b64 exec, exec, s[2:3]
	ds_write2_b64 v248, v[212:213], v[214:215] offset1:1
.LBB103_125:
	s_or_b64 exec, exec, s[4:5]
	s_waitcnt lgkmcnt(0)
	s_barrier
	ds_read2_b64 v[200:203], v248 offset1:1
	s_waitcnt lgkmcnt(0)
	scratch_store_dwordx4 off, v[200:203], off offset:564 ; 16-byte Folded Spill
	scratch_load_dword v200, off, off       ; 4-byte Folded Reload
	s_waitcnt vmcnt(0)
	v_cmp_lt_u32_e32 vcc, 13, v200
	s_and_saveexec_b64 s[2:3], vcc
	s_cbranch_execz .LBB103_127
; %bb.126:
	scratch_load_dwordx4 v[200:203], off, off offset:564 ; 16-byte Folded Reload
	ds_read2_b64 v[210:213], v225 offset0:28 offset1:29
	s_waitcnt vmcnt(0)
	v_mul_f64 v[208:209], v[202:203], v[150:151]
	v_mul_f64 v[150:151], v[200:201], v[150:151]
	v_fmac_f64_e32 v[150:151], v[202:203], v[148:149]
	v_fma_f64 v[208:209], v[200:201], v[148:149], -v[208:209]
	s_waitcnt lgkmcnt(0)
	v_mul_f64 v[148:149], v[212:213], v[150:151]
	v_fma_f64 v[148:149], v[210:211], v[208:209], -v[148:149]
	v_mul_f64 v[210:211], v[210:211], v[150:151]
	v_fmac_f64_e32 v[210:211], v[212:213], v[208:209]
	v_add_f64 v[146:147], v[146:147], -v[210:211]
	ds_read2_b64 v[210:213], v225 offset0:30 offset1:31
	v_add_f64 v[144:145], v[144:145], -v[148:149]
	s_waitcnt lgkmcnt(0)
	v_mul_f64 v[148:149], v[212:213], v[150:151]
	v_fma_f64 v[148:149], v[210:211], v[208:209], -v[148:149]
	v_mul_f64 v[210:211], v[210:211], v[150:151]
	v_fmac_f64_e32 v[210:211], v[212:213], v[208:209]
	v_add_f64 v[142:143], v[142:143], -v[210:211]
	ds_read2_b64 v[210:213], v225 offset0:32 offset1:33
	v_add_f64 v[140:141], v[140:141], -v[148:149]
	;; [unrolled: 8-line block ×37, first 2 shown]
	s_waitcnt lgkmcnt(0)
	v_mul_f64 v[148:149], v[212:213], v[150:151]
	v_fma_f64 v[148:149], v[210:211], v[208:209], -v[148:149]
	v_mul_f64 v[210:211], v[210:211], v[150:151]
	v_fmac_f64_e32 v[210:211], v[212:213], v[208:209]
	v_add_f64 v[204:205], v[204:205], -v[148:149]
	v_add_f64 v[206:207], v[206:207], -v[210:211]
	v_mov_b64_e32 v[148:149], v[208:209]
.LBB103_127:
	s_or_b64 exec, exec, s[2:3]
	s_barrier
	scratch_load_dword v200, off, off       ; 4-byte Folded Reload
	s_waitcnt vmcnt(0)
	v_cmp_eq_u32_e32 vcc, 14, v200
	s_and_saveexec_b64 s[4:5], vcc
	s_cbranch_execz .LBB103_134
; %bb.128:
	ds_write2_b64 v248, v[144:145], v[146:147] offset1:1
	ds_write2_b64 v225, v[140:141], v[142:143] offset0:30 offset1:31
	ds_write2_b64 v225, v[136:137], v[138:139] offset0:32 offset1:33
	;; [unrolled: 1-line block ×37, first 2 shown]
	ds_read2_b64 v[208:211], v248 offset1:1
	s_waitcnt lgkmcnt(0)
	v_cmp_neq_f64_e32 vcc, 0, v[208:209]
	v_cmp_neq_f64_e64 s[2:3], 0, v[210:211]
	s_or_b64 s[2:3], vcc, s[2:3]
	s_and_b64 exec, exec, s[2:3]
	s_cbranch_execz .LBB103_134
; %bb.129:
	v_cmp_ngt_f64_e64 s[2:3], |v[208:209]|, |v[210:211]|
                                        ; implicit-def: $vgpr212_vgpr213
	s_and_saveexec_b64 s[10:11], s[2:3]
	s_xor_b64 s[2:3], exec, s[10:11]
                                        ; implicit-def: $vgpr214_vgpr215
	s_cbranch_execz .LBB103_131
; %bb.130:
	v_div_scale_f64 v[212:213], s[10:11], v[210:211], v[210:211], v[208:209]
	v_rcp_f64_e32 v[214:215], v[212:213]
	v_div_scale_f64 v[216:217], vcc, v[208:209], v[210:211], v[208:209]
	v_fma_f64 v[218:219], -v[212:213], v[214:215], 1.0
	v_fmac_f64_e32 v[214:215], v[214:215], v[218:219]
	v_fma_f64 v[218:219], -v[212:213], v[214:215], 1.0
	v_fmac_f64_e32 v[214:215], v[214:215], v[218:219]
	v_mul_f64 v[218:219], v[216:217], v[214:215]
	v_fma_f64 v[212:213], -v[212:213], v[218:219], v[216:217]
	v_div_fmas_f64 v[212:213], v[212:213], v[214:215], v[218:219]
	v_div_fixup_f64 v[212:213], v[212:213], v[210:211], v[208:209]
	v_fmac_f64_e32 v[210:211], v[208:209], v[212:213]
	v_div_scale_f64 v[208:209], s[10:11], v[210:211], v[210:211], 1.0
	v_rcp_f64_e32 v[214:215], v[208:209]
	s_nop 0
	v_fma_f64 v[216:217], -v[208:209], v[214:215], 1.0
	v_fmac_f64_e32 v[214:215], v[214:215], v[216:217]
	v_fma_f64 v[216:217], -v[208:209], v[214:215], 1.0
	v_fmac_f64_e32 v[214:215], v[214:215], v[216:217]
	v_div_scale_f64 v[216:217], vcc, 1.0, v[210:211], 1.0
	v_mul_f64 v[218:219], v[216:217], v[214:215]
	v_fma_f64 v[208:209], -v[208:209], v[218:219], v[216:217]
	s_nop 1
	v_div_fmas_f64 v[208:209], v[208:209], v[214:215], v[218:219]
	v_div_fixup_f64 v[214:215], v[208:209], v[210:211], 1.0
	v_mul_f64 v[212:213], v[212:213], v[214:215]
	v_xor_b32_e32 v215, 0x80000000, v215
                                        ; implicit-def: $vgpr208_vgpr209
.LBB103_131:
	s_andn2_saveexec_b64 s[2:3], s[2:3]
	s_cbranch_execz .LBB103_133
; %bb.132:
	v_div_scale_f64 v[212:213], s[10:11], v[208:209], v[208:209], v[210:211]
	v_rcp_f64_e32 v[214:215], v[212:213]
	v_div_scale_f64 v[216:217], vcc, v[210:211], v[208:209], v[210:211]
	v_fma_f64 v[218:219], -v[212:213], v[214:215], 1.0
	v_fmac_f64_e32 v[214:215], v[214:215], v[218:219]
	v_fma_f64 v[218:219], -v[212:213], v[214:215], 1.0
	v_fmac_f64_e32 v[214:215], v[214:215], v[218:219]
	v_mul_f64 v[218:219], v[216:217], v[214:215]
	v_fma_f64 v[212:213], -v[212:213], v[218:219], v[216:217]
	v_div_fmas_f64 v[212:213], v[212:213], v[214:215], v[218:219]
	v_div_fixup_f64 v[214:215], v[212:213], v[208:209], v[210:211]
	v_fmac_f64_e32 v[208:209], v[210:211], v[214:215]
	v_div_scale_f64 v[210:211], s[10:11], v[208:209], v[208:209], 1.0
	v_rcp_f64_e32 v[212:213], v[210:211]
	s_nop 0
	v_fma_f64 v[216:217], -v[210:211], v[212:213], 1.0
	v_fmac_f64_e32 v[212:213], v[212:213], v[216:217]
	v_fma_f64 v[216:217], -v[210:211], v[212:213], 1.0
	v_fmac_f64_e32 v[212:213], v[212:213], v[216:217]
	v_div_scale_f64 v[216:217], vcc, 1.0, v[208:209], 1.0
	v_mul_f64 v[218:219], v[216:217], v[212:213]
	v_fma_f64 v[210:211], -v[210:211], v[218:219], v[216:217]
	s_nop 1
	v_div_fmas_f64 v[210:211], v[210:211], v[212:213], v[218:219]
	v_div_fixup_f64 v[212:213], v[210:211], v[208:209], 1.0
	v_mul_f64 v[214:215], v[214:215], -v[212:213]
.LBB103_133:
	s_or_b64 exec, exec, s[2:3]
	ds_write2_b64 v248, v[212:213], v[214:215] offset1:1
.LBB103_134:
	s_or_b64 exec, exec, s[4:5]
	s_waitcnt lgkmcnt(0)
	s_barrier
	ds_read2_b64 v[200:203], v248 offset1:1
	s_waitcnt lgkmcnt(0)
	scratch_store_dwordx4 off, v[200:203], off offset:580 ; 16-byte Folded Spill
	scratch_load_dword v200, off, off       ; 4-byte Folded Reload
	s_waitcnt vmcnt(0)
	v_cmp_lt_u32_e32 vcc, 14, v200
	s_and_saveexec_b64 s[2:3], vcc
	s_cbranch_execz .LBB103_136
; %bb.135:
	scratch_load_dwordx4 v[200:203], off, off offset:580 ; 16-byte Folded Reload
	ds_read2_b64 v[210:213], v225 offset0:30 offset1:31
	s_waitcnt vmcnt(0)
	v_mul_f64 v[208:209], v[202:203], v[146:147]
	v_mul_f64 v[146:147], v[200:201], v[146:147]
	v_fmac_f64_e32 v[146:147], v[202:203], v[144:145]
	v_fma_f64 v[208:209], v[200:201], v[144:145], -v[208:209]
	s_waitcnt lgkmcnt(0)
	v_mul_f64 v[144:145], v[212:213], v[146:147]
	v_fma_f64 v[144:145], v[210:211], v[208:209], -v[144:145]
	v_mul_f64 v[210:211], v[210:211], v[146:147]
	v_fmac_f64_e32 v[210:211], v[212:213], v[208:209]
	v_add_f64 v[142:143], v[142:143], -v[210:211]
	ds_read2_b64 v[210:213], v225 offset0:32 offset1:33
	v_add_f64 v[140:141], v[140:141], -v[144:145]
	s_waitcnt lgkmcnt(0)
	v_mul_f64 v[144:145], v[212:213], v[146:147]
	v_fma_f64 v[144:145], v[210:211], v[208:209], -v[144:145]
	v_mul_f64 v[210:211], v[210:211], v[146:147]
	v_fmac_f64_e32 v[210:211], v[212:213], v[208:209]
	v_add_f64 v[138:139], v[138:139], -v[210:211]
	ds_read2_b64 v[210:213], v225 offset0:34 offset1:35
	v_add_f64 v[136:137], v[136:137], -v[144:145]
	;; [unrolled: 8-line block ×36, first 2 shown]
	s_waitcnt lgkmcnt(0)
	v_mul_f64 v[144:145], v[212:213], v[146:147]
	v_fma_f64 v[144:145], v[210:211], v[208:209], -v[144:145]
	v_mul_f64 v[210:211], v[210:211], v[146:147]
	v_fmac_f64_e32 v[210:211], v[212:213], v[208:209]
	v_add_f64 v[204:205], v[204:205], -v[144:145]
	v_add_f64 v[206:207], v[206:207], -v[210:211]
	v_mov_b64_e32 v[144:145], v[208:209]
.LBB103_136:
	s_or_b64 exec, exec, s[2:3]
	s_barrier
	scratch_load_dword v200, off, off       ; 4-byte Folded Reload
	s_waitcnt vmcnt(0)
	v_cmp_eq_u32_e32 vcc, 15, v200
	s_and_saveexec_b64 s[4:5], vcc
	s_cbranch_execz .LBB103_143
; %bb.137:
	ds_write2_b64 v248, v[140:141], v[142:143] offset1:1
	ds_write2_b64 v225, v[136:137], v[138:139] offset0:32 offset1:33
	ds_write2_b64 v225, v[132:133], v[134:135] offset0:34 offset1:35
	;; [unrolled: 1-line block ×36, first 2 shown]
	ds_read2_b64 v[208:211], v248 offset1:1
	s_waitcnt lgkmcnt(0)
	v_cmp_neq_f64_e32 vcc, 0, v[208:209]
	v_cmp_neq_f64_e64 s[2:3], 0, v[210:211]
	s_or_b64 s[2:3], vcc, s[2:3]
	s_and_b64 exec, exec, s[2:3]
	s_cbranch_execz .LBB103_143
; %bb.138:
	v_cmp_ngt_f64_e64 s[2:3], |v[208:209]|, |v[210:211]|
                                        ; implicit-def: $vgpr212_vgpr213
	s_and_saveexec_b64 s[10:11], s[2:3]
	s_xor_b64 s[2:3], exec, s[10:11]
                                        ; implicit-def: $vgpr214_vgpr215
	s_cbranch_execz .LBB103_140
; %bb.139:
	v_div_scale_f64 v[212:213], s[10:11], v[210:211], v[210:211], v[208:209]
	v_rcp_f64_e32 v[214:215], v[212:213]
	v_div_scale_f64 v[216:217], vcc, v[208:209], v[210:211], v[208:209]
	v_fma_f64 v[218:219], -v[212:213], v[214:215], 1.0
	v_fmac_f64_e32 v[214:215], v[214:215], v[218:219]
	v_fma_f64 v[218:219], -v[212:213], v[214:215], 1.0
	v_fmac_f64_e32 v[214:215], v[214:215], v[218:219]
	v_mul_f64 v[218:219], v[216:217], v[214:215]
	v_fma_f64 v[212:213], -v[212:213], v[218:219], v[216:217]
	v_div_fmas_f64 v[212:213], v[212:213], v[214:215], v[218:219]
	v_div_fixup_f64 v[212:213], v[212:213], v[210:211], v[208:209]
	v_fmac_f64_e32 v[210:211], v[208:209], v[212:213]
	v_div_scale_f64 v[208:209], s[10:11], v[210:211], v[210:211], 1.0
	v_rcp_f64_e32 v[214:215], v[208:209]
	s_nop 0
	v_fma_f64 v[216:217], -v[208:209], v[214:215], 1.0
	v_fmac_f64_e32 v[214:215], v[214:215], v[216:217]
	v_fma_f64 v[216:217], -v[208:209], v[214:215], 1.0
	v_fmac_f64_e32 v[214:215], v[214:215], v[216:217]
	v_div_scale_f64 v[216:217], vcc, 1.0, v[210:211], 1.0
	v_mul_f64 v[218:219], v[216:217], v[214:215]
	v_fma_f64 v[208:209], -v[208:209], v[218:219], v[216:217]
	s_nop 1
	v_div_fmas_f64 v[208:209], v[208:209], v[214:215], v[218:219]
	v_div_fixup_f64 v[214:215], v[208:209], v[210:211], 1.0
	v_mul_f64 v[212:213], v[212:213], v[214:215]
	v_xor_b32_e32 v215, 0x80000000, v215
                                        ; implicit-def: $vgpr208_vgpr209
.LBB103_140:
	s_andn2_saveexec_b64 s[2:3], s[2:3]
	s_cbranch_execz .LBB103_142
; %bb.141:
	v_div_scale_f64 v[212:213], s[10:11], v[208:209], v[208:209], v[210:211]
	v_rcp_f64_e32 v[214:215], v[212:213]
	v_div_scale_f64 v[216:217], vcc, v[210:211], v[208:209], v[210:211]
	v_fma_f64 v[218:219], -v[212:213], v[214:215], 1.0
	v_fmac_f64_e32 v[214:215], v[214:215], v[218:219]
	v_fma_f64 v[218:219], -v[212:213], v[214:215], 1.0
	v_fmac_f64_e32 v[214:215], v[214:215], v[218:219]
	v_mul_f64 v[218:219], v[216:217], v[214:215]
	v_fma_f64 v[212:213], -v[212:213], v[218:219], v[216:217]
	v_div_fmas_f64 v[212:213], v[212:213], v[214:215], v[218:219]
	v_div_fixup_f64 v[214:215], v[212:213], v[208:209], v[210:211]
	v_fmac_f64_e32 v[208:209], v[210:211], v[214:215]
	v_div_scale_f64 v[210:211], s[10:11], v[208:209], v[208:209], 1.0
	v_rcp_f64_e32 v[212:213], v[210:211]
	s_nop 0
	v_fma_f64 v[216:217], -v[210:211], v[212:213], 1.0
	v_fmac_f64_e32 v[212:213], v[212:213], v[216:217]
	v_fma_f64 v[216:217], -v[210:211], v[212:213], 1.0
	v_fmac_f64_e32 v[212:213], v[212:213], v[216:217]
	v_div_scale_f64 v[216:217], vcc, 1.0, v[208:209], 1.0
	v_mul_f64 v[218:219], v[216:217], v[212:213]
	v_fma_f64 v[210:211], -v[210:211], v[218:219], v[216:217]
	s_nop 1
	v_div_fmas_f64 v[210:211], v[210:211], v[212:213], v[218:219]
	v_div_fixup_f64 v[212:213], v[210:211], v[208:209], 1.0
	v_mul_f64 v[214:215], v[214:215], -v[212:213]
.LBB103_142:
	s_or_b64 exec, exec, s[2:3]
	ds_write2_b64 v248, v[212:213], v[214:215] offset1:1
.LBB103_143:
	s_or_b64 exec, exec, s[4:5]
	s_waitcnt lgkmcnt(0)
	s_barrier
	ds_read2_b64 v[200:203], v248 offset1:1
	s_waitcnt lgkmcnt(0)
	scratch_store_dwordx4 off, v[200:203], off offset:596 ; 16-byte Folded Spill
	scratch_load_dword v200, off, off       ; 4-byte Folded Reload
	s_waitcnt vmcnt(0)
	v_cmp_lt_u32_e32 vcc, 15, v200
	s_and_saveexec_b64 s[2:3], vcc
	s_cbranch_execz .LBB103_145
; %bb.144:
	scratch_load_dwordx4 v[200:203], off, off offset:596 ; 16-byte Folded Reload
	ds_read2_b64 v[210:213], v225 offset0:32 offset1:33
	s_waitcnt vmcnt(0)
	v_mul_f64 v[208:209], v[202:203], v[142:143]
	v_mul_f64 v[142:143], v[200:201], v[142:143]
	v_fmac_f64_e32 v[142:143], v[202:203], v[140:141]
	v_fma_f64 v[208:209], v[200:201], v[140:141], -v[208:209]
	s_waitcnt lgkmcnt(0)
	v_mul_f64 v[140:141], v[212:213], v[142:143]
	v_fma_f64 v[140:141], v[210:211], v[208:209], -v[140:141]
	v_mul_f64 v[210:211], v[210:211], v[142:143]
	v_fmac_f64_e32 v[210:211], v[212:213], v[208:209]
	v_add_f64 v[138:139], v[138:139], -v[210:211]
	ds_read2_b64 v[210:213], v225 offset0:34 offset1:35
	v_add_f64 v[136:137], v[136:137], -v[140:141]
	s_waitcnt lgkmcnt(0)
	v_mul_f64 v[140:141], v[212:213], v[142:143]
	v_fma_f64 v[140:141], v[210:211], v[208:209], -v[140:141]
	v_mul_f64 v[210:211], v[210:211], v[142:143]
	v_fmac_f64_e32 v[210:211], v[212:213], v[208:209]
	v_add_f64 v[134:135], v[134:135], -v[210:211]
	ds_read2_b64 v[210:213], v225 offset0:36 offset1:37
	v_add_f64 v[132:133], v[132:133], -v[140:141]
	s_waitcnt lgkmcnt(0)
	v_mul_f64 v[140:141], v[212:213], v[142:143]
	v_fma_f64 v[140:141], v[210:211], v[208:209], -v[140:141]
	v_mul_f64 v[210:211], v[210:211], v[142:143]
	v_fmac_f64_e32 v[210:211], v[212:213], v[208:209]
	v_add_f64 v[130:131], v[130:131], -v[210:211]
	ds_read2_b64 v[210:213], v225 offset0:38 offset1:39
	v_add_f64 v[128:129], v[128:129], -v[140:141]
	s_waitcnt lgkmcnt(0)
	v_mul_f64 v[140:141], v[212:213], v[142:143]
	v_fma_f64 v[140:141], v[210:211], v[208:209], -v[140:141]
	v_mul_f64 v[210:211], v[210:211], v[142:143]
	v_fmac_f64_e32 v[210:211], v[212:213], v[208:209]
	v_add_f64 v[126:127], v[126:127], -v[210:211]
	ds_read2_b64 v[210:213], v225 offset0:40 offset1:41
	v_add_f64 v[124:125], v[124:125], -v[140:141]
	s_waitcnt lgkmcnt(0)
	v_mul_f64 v[140:141], v[212:213], v[142:143]
	v_fma_f64 v[140:141], v[210:211], v[208:209], -v[140:141]
	v_mul_f64 v[210:211], v[210:211], v[142:143]
	v_fmac_f64_e32 v[210:211], v[212:213], v[208:209]
	v_add_f64 v[122:123], v[122:123], -v[210:211]
	ds_read2_b64 v[210:213], v225 offset0:42 offset1:43
	v_add_f64 v[120:121], v[120:121], -v[140:141]
	s_waitcnt lgkmcnt(0)
	v_mul_f64 v[140:141], v[212:213], v[142:143]
	v_fma_f64 v[140:141], v[210:211], v[208:209], -v[140:141]
	v_mul_f64 v[210:211], v[210:211], v[142:143]
	v_fmac_f64_e32 v[210:211], v[212:213], v[208:209]
	v_add_f64 v[118:119], v[118:119], -v[210:211]
	ds_read2_b64 v[210:213], v225 offset0:44 offset1:45
	v_add_f64 v[116:117], v[116:117], -v[140:141]
	s_waitcnt lgkmcnt(0)
	v_mul_f64 v[140:141], v[212:213], v[142:143]
	v_fma_f64 v[140:141], v[210:211], v[208:209], -v[140:141]
	v_mul_f64 v[210:211], v[210:211], v[142:143]
	v_fmac_f64_e32 v[210:211], v[212:213], v[208:209]
	v_add_f64 v[114:115], v[114:115], -v[210:211]
	ds_read2_b64 v[210:213], v225 offset0:46 offset1:47
	v_add_f64 v[112:113], v[112:113], -v[140:141]
	s_waitcnt lgkmcnt(0)
	v_mul_f64 v[140:141], v[212:213], v[142:143]
	v_fma_f64 v[140:141], v[210:211], v[208:209], -v[140:141]
	v_mul_f64 v[210:211], v[210:211], v[142:143]
	v_fmac_f64_e32 v[210:211], v[212:213], v[208:209]
	v_add_f64 v[110:111], v[110:111], -v[210:211]
	ds_read2_b64 v[210:213], v225 offset0:48 offset1:49
	v_add_f64 v[108:109], v[108:109], -v[140:141]
	s_waitcnt lgkmcnt(0)
	v_mul_f64 v[140:141], v[212:213], v[142:143]
	v_fma_f64 v[140:141], v[210:211], v[208:209], -v[140:141]
	v_mul_f64 v[210:211], v[210:211], v[142:143]
	v_fmac_f64_e32 v[210:211], v[212:213], v[208:209]
	v_add_f64 v[106:107], v[106:107], -v[210:211]
	ds_read2_b64 v[210:213], v225 offset0:50 offset1:51
	v_add_f64 v[104:105], v[104:105], -v[140:141]
	s_waitcnt lgkmcnt(0)
	v_mul_f64 v[140:141], v[212:213], v[142:143]
	v_fma_f64 v[140:141], v[210:211], v[208:209], -v[140:141]
	v_mul_f64 v[210:211], v[210:211], v[142:143]
	v_fmac_f64_e32 v[210:211], v[212:213], v[208:209]
	v_add_f64 v[102:103], v[102:103], -v[210:211]
	ds_read2_b64 v[210:213], v225 offset0:52 offset1:53
	v_add_f64 v[100:101], v[100:101], -v[140:141]
	s_waitcnt lgkmcnt(0)
	v_mul_f64 v[140:141], v[212:213], v[142:143]
	v_fma_f64 v[140:141], v[210:211], v[208:209], -v[140:141]
	v_mul_f64 v[210:211], v[210:211], v[142:143]
	v_fmac_f64_e32 v[210:211], v[212:213], v[208:209]
	v_add_f64 v[98:99], v[98:99], -v[210:211]
	ds_read2_b64 v[210:213], v225 offset0:54 offset1:55
	v_add_f64 v[96:97], v[96:97], -v[140:141]
	s_waitcnt lgkmcnt(0)
	v_mul_f64 v[140:141], v[212:213], v[142:143]
	v_fma_f64 v[140:141], v[210:211], v[208:209], -v[140:141]
	v_mul_f64 v[210:211], v[210:211], v[142:143]
	v_fmac_f64_e32 v[210:211], v[212:213], v[208:209]
	v_add_f64 v[94:95], v[94:95], -v[210:211]
	ds_read2_b64 v[210:213], v225 offset0:56 offset1:57
	v_add_f64 v[92:93], v[92:93], -v[140:141]
	s_waitcnt lgkmcnt(0)
	v_mul_f64 v[140:141], v[212:213], v[142:143]
	v_fma_f64 v[140:141], v[210:211], v[208:209], -v[140:141]
	v_mul_f64 v[210:211], v[210:211], v[142:143]
	v_fmac_f64_e32 v[210:211], v[212:213], v[208:209]
	v_add_f64 v[90:91], v[90:91], -v[210:211]
	ds_read2_b64 v[210:213], v225 offset0:58 offset1:59
	v_add_f64 v[88:89], v[88:89], -v[140:141]
	s_waitcnt lgkmcnt(0)
	v_mul_f64 v[140:141], v[212:213], v[142:143]
	v_fma_f64 v[140:141], v[210:211], v[208:209], -v[140:141]
	v_mul_f64 v[210:211], v[210:211], v[142:143]
	v_fmac_f64_e32 v[210:211], v[212:213], v[208:209]
	v_add_f64 v[86:87], v[86:87], -v[210:211]
	ds_read2_b64 v[210:213], v225 offset0:60 offset1:61
	v_add_f64 v[84:85], v[84:85], -v[140:141]
	s_waitcnt lgkmcnt(0)
	v_mul_f64 v[140:141], v[212:213], v[142:143]
	v_fma_f64 v[140:141], v[210:211], v[208:209], -v[140:141]
	v_mul_f64 v[210:211], v[210:211], v[142:143]
	v_fmac_f64_e32 v[210:211], v[212:213], v[208:209]
	v_add_f64 v[82:83], v[82:83], -v[210:211]
	ds_read2_b64 v[210:213], v225 offset0:62 offset1:63
	v_add_f64 v[80:81], v[80:81], -v[140:141]
	s_waitcnt lgkmcnt(0)
	v_mul_f64 v[140:141], v[212:213], v[142:143]
	v_fma_f64 v[140:141], v[210:211], v[208:209], -v[140:141]
	v_mul_f64 v[210:211], v[210:211], v[142:143]
	v_fmac_f64_e32 v[210:211], v[212:213], v[208:209]
	v_add_f64 v[78:79], v[78:79], -v[210:211]
	ds_read2_b64 v[210:213], v225 offset0:64 offset1:65
	v_add_f64 v[76:77], v[76:77], -v[140:141]
	s_waitcnt lgkmcnt(0)
	v_mul_f64 v[140:141], v[212:213], v[142:143]
	v_fma_f64 v[140:141], v[210:211], v[208:209], -v[140:141]
	v_mul_f64 v[210:211], v[210:211], v[142:143]
	v_fmac_f64_e32 v[210:211], v[212:213], v[208:209]
	v_add_f64 v[74:75], v[74:75], -v[210:211]
	ds_read2_b64 v[210:213], v225 offset0:66 offset1:67
	v_add_f64 v[72:73], v[72:73], -v[140:141]
	s_waitcnt lgkmcnt(0)
	v_mul_f64 v[140:141], v[212:213], v[142:143]
	v_fma_f64 v[140:141], v[210:211], v[208:209], -v[140:141]
	v_mul_f64 v[210:211], v[210:211], v[142:143]
	v_fmac_f64_e32 v[210:211], v[212:213], v[208:209]
	v_add_f64 v[70:71], v[70:71], -v[210:211]
	ds_read2_b64 v[210:213], v225 offset0:68 offset1:69
	v_add_f64 v[68:69], v[68:69], -v[140:141]
	s_waitcnt lgkmcnt(0)
	v_mul_f64 v[140:141], v[212:213], v[142:143]
	v_fma_f64 v[140:141], v[210:211], v[208:209], -v[140:141]
	v_mul_f64 v[210:211], v[210:211], v[142:143]
	v_fmac_f64_e32 v[210:211], v[212:213], v[208:209]
	v_add_f64 v[66:67], v[66:67], -v[210:211]
	ds_read2_b64 v[210:213], v225 offset0:70 offset1:71
	v_add_f64 v[64:65], v[64:65], -v[140:141]
	s_waitcnt lgkmcnt(0)
	v_mul_f64 v[140:141], v[212:213], v[142:143]
	v_fma_f64 v[140:141], v[210:211], v[208:209], -v[140:141]
	v_mul_f64 v[210:211], v[210:211], v[142:143]
	v_fmac_f64_e32 v[210:211], v[212:213], v[208:209]
	v_add_f64 v[62:63], v[62:63], -v[210:211]
	ds_read2_b64 v[210:213], v225 offset0:72 offset1:73
	v_add_f64 v[60:61], v[60:61], -v[140:141]
	s_waitcnt lgkmcnt(0)
	v_mul_f64 v[140:141], v[212:213], v[142:143]
	v_fma_f64 v[140:141], v[210:211], v[208:209], -v[140:141]
	v_mul_f64 v[210:211], v[210:211], v[142:143]
	v_fmac_f64_e32 v[210:211], v[212:213], v[208:209]
	v_add_f64 v[58:59], v[58:59], -v[210:211]
	ds_read2_b64 v[210:213], v225 offset0:74 offset1:75
	v_add_f64 v[56:57], v[56:57], -v[140:141]
	s_waitcnt lgkmcnt(0)
	v_mul_f64 v[140:141], v[212:213], v[142:143]
	v_fma_f64 v[140:141], v[210:211], v[208:209], -v[140:141]
	v_mul_f64 v[210:211], v[210:211], v[142:143]
	v_fmac_f64_e32 v[210:211], v[212:213], v[208:209]
	v_add_f64 v[54:55], v[54:55], -v[210:211]
	ds_read2_b64 v[210:213], v225 offset0:76 offset1:77
	v_add_f64 v[52:53], v[52:53], -v[140:141]
	s_waitcnt lgkmcnt(0)
	v_mul_f64 v[140:141], v[212:213], v[142:143]
	v_fma_f64 v[140:141], v[210:211], v[208:209], -v[140:141]
	v_mul_f64 v[210:211], v[210:211], v[142:143]
	v_fmac_f64_e32 v[210:211], v[212:213], v[208:209]
	v_add_f64 v[50:51], v[50:51], -v[210:211]
	ds_read2_b64 v[210:213], v225 offset0:78 offset1:79
	v_add_f64 v[48:49], v[48:49], -v[140:141]
	s_waitcnt lgkmcnt(0)
	v_mul_f64 v[140:141], v[212:213], v[142:143]
	v_fma_f64 v[140:141], v[210:211], v[208:209], -v[140:141]
	v_mul_f64 v[210:211], v[210:211], v[142:143]
	v_fmac_f64_e32 v[210:211], v[212:213], v[208:209]
	v_add_f64 v[46:47], v[46:47], -v[210:211]
	ds_read2_b64 v[210:213], v225 offset0:80 offset1:81
	v_add_f64 v[44:45], v[44:45], -v[140:141]
	s_waitcnt lgkmcnt(0)
	v_mul_f64 v[140:141], v[212:213], v[142:143]
	v_fma_f64 v[140:141], v[210:211], v[208:209], -v[140:141]
	v_mul_f64 v[210:211], v[210:211], v[142:143]
	v_fmac_f64_e32 v[210:211], v[212:213], v[208:209]
	v_add_f64 v[42:43], v[42:43], -v[210:211]
	ds_read2_b64 v[210:213], v225 offset0:82 offset1:83
	v_add_f64 v[40:41], v[40:41], -v[140:141]
	s_waitcnt lgkmcnt(0)
	v_mul_f64 v[140:141], v[212:213], v[142:143]
	v_fma_f64 v[140:141], v[210:211], v[208:209], -v[140:141]
	v_mul_f64 v[210:211], v[210:211], v[142:143]
	v_fmac_f64_e32 v[210:211], v[212:213], v[208:209]
	v_add_f64 v[38:39], v[38:39], -v[210:211]
	ds_read2_b64 v[210:213], v225 offset0:84 offset1:85
	v_add_f64 v[36:37], v[36:37], -v[140:141]
	s_waitcnt lgkmcnt(0)
	v_mul_f64 v[140:141], v[212:213], v[142:143]
	v_fma_f64 v[140:141], v[210:211], v[208:209], -v[140:141]
	v_mul_f64 v[210:211], v[210:211], v[142:143]
	v_fmac_f64_e32 v[210:211], v[212:213], v[208:209]
	v_add_f64 v[34:35], v[34:35], -v[210:211]
	ds_read2_b64 v[210:213], v225 offset0:86 offset1:87
	v_add_f64 v[32:33], v[32:33], -v[140:141]
	s_waitcnt lgkmcnt(0)
	v_mul_f64 v[140:141], v[212:213], v[142:143]
	v_fma_f64 v[140:141], v[210:211], v[208:209], -v[140:141]
	v_mul_f64 v[210:211], v[210:211], v[142:143]
	v_fmac_f64_e32 v[210:211], v[212:213], v[208:209]
	v_add_f64 v[30:31], v[30:31], -v[210:211]
	ds_read2_b64 v[210:213], v225 offset0:88 offset1:89
	v_add_f64 v[28:29], v[28:29], -v[140:141]
	s_waitcnt lgkmcnt(0)
	v_mul_f64 v[140:141], v[212:213], v[142:143]
	v_fma_f64 v[140:141], v[210:211], v[208:209], -v[140:141]
	v_mul_f64 v[210:211], v[210:211], v[142:143]
	v_fmac_f64_e32 v[210:211], v[212:213], v[208:209]
	v_add_f64 v[26:27], v[26:27], -v[210:211]
	ds_read2_b64 v[210:213], v225 offset0:90 offset1:91
	v_add_f64 v[24:25], v[24:25], -v[140:141]
	s_waitcnt lgkmcnt(0)
	v_mul_f64 v[140:141], v[212:213], v[142:143]
	v_fma_f64 v[140:141], v[210:211], v[208:209], -v[140:141]
	v_mul_f64 v[210:211], v[210:211], v[142:143]
	v_fmac_f64_e32 v[210:211], v[212:213], v[208:209]
	v_add_f64 v[22:23], v[22:23], -v[210:211]
	ds_read2_b64 v[210:213], v225 offset0:92 offset1:93
	v_add_f64 v[20:21], v[20:21], -v[140:141]
	s_waitcnt lgkmcnt(0)
	v_mul_f64 v[140:141], v[212:213], v[142:143]
	v_fma_f64 v[140:141], v[210:211], v[208:209], -v[140:141]
	v_mul_f64 v[210:211], v[210:211], v[142:143]
	v_fmac_f64_e32 v[210:211], v[212:213], v[208:209]
	v_add_f64 v[18:19], v[18:19], -v[210:211]
	ds_read2_b64 v[210:213], v225 offset0:94 offset1:95
	v_add_f64 v[16:17], v[16:17], -v[140:141]
	s_waitcnt lgkmcnt(0)
	v_mul_f64 v[140:141], v[212:213], v[142:143]
	v_fma_f64 v[140:141], v[210:211], v[208:209], -v[140:141]
	v_mul_f64 v[210:211], v[210:211], v[142:143]
	v_fmac_f64_e32 v[210:211], v[212:213], v[208:209]
	v_add_f64 v[14:15], v[14:15], -v[210:211]
	ds_read2_b64 v[210:213], v225 offset0:96 offset1:97
	v_add_f64 v[12:13], v[12:13], -v[140:141]
	s_waitcnt lgkmcnt(0)
	v_mul_f64 v[140:141], v[212:213], v[142:143]
	v_fma_f64 v[140:141], v[210:211], v[208:209], -v[140:141]
	v_mul_f64 v[210:211], v[210:211], v[142:143]
	v_fmac_f64_e32 v[210:211], v[212:213], v[208:209]
	v_add_f64 v[10:11], v[10:11], -v[210:211]
	ds_read2_b64 v[210:213], v225 offset0:98 offset1:99
	v_add_f64 v[8:9], v[8:9], -v[140:141]
	s_waitcnt lgkmcnt(0)
	v_mul_f64 v[140:141], v[212:213], v[142:143]
	v_fma_f64 v[140:141], v[210:211], v[208:209], -v[140:141]
	v_mul_f64 v[210:211], v[210:211], v[142:143]
	v_fmac_f64_e32 v[210:211], v[212:213], v[208:209]
	v_add_f64 v[6:7], v[6:7], -v[210:211]
	ds_read2_b64 v[210:213], v225 offset0:100 offset1:101
	v_add_f64 v[4:5], v[4:5], -v[140:141]
	s_waitcnt lgkmcnt(0)
	v_mul_f64 v[140:141], v[212:213], v[142:143]
	v_fma_f64 v[140:141], v[210:211], v[208:209], -v[140:141]
	v_mul_f64 v[210:211], v[210:211], v[142:143]
	v_fmac_f64_e32 v[210:211], v[212:213], v[208:209]
	v_add_f64 v[2:3], v[2:3], -v[210:211]
	ds_read2_b64 v[210:213], v225 offset0:102 offset1:103
	v_add_f64 v[0:1], v[0:1], -v[140:141]
	s_waitcnt lgkmcnt(0)
	v_mul_f64 v[140:141], v[212:213], v[142:143]
	v_fma_f64 v[140:141], v[210:211], v[208:209], -v[140:141]
	v_mul_f64 v[210:211], v[210:211], v[142:143]
	v_fmac_f64_e32 v[210:211], v[212:213], v[208:209]
	v_add_f64 v[204:205], v[204:205], -v[140:141]
	v_add_f64 v[206:207], v[206:207], -v[210:211]
	v_mov_b64_e32 v[140:141], v[208:209]
.LBB103_145:
	s_or_b64 exec, exec, s[2:3]
	s_barrier
	scratch_load_dword v200, off, off       ; 4-byte Folded Reload
	s_waitcnt vmcnt(0)
	v_cmp_eq_u32_e32 vcc, 16, v200
	s_and_saveexec_b64 s[4:5], vcc
	s_cbranch_execz .LBB103_152
; %bb.146:
	ds_write2_b64 v248, v[136:137], v[138:139] offset1:1
	ds_write2_b64 v225, v[132:133], v[134:135] offset0:34 offset1:35
	ds_write2_b64 v225, v[128:129], v[130:131] offset0:36 offset1:37
	;; [unrolled: 1-line block ×35, first 2 shown]
	ds_read2_b64 v[208:211], v248 offset1:1
	s_waitcnt lgkmcnt(0)
	v_cmp_neq_f64_e32 vcc, 0, v[208:209]
	v_cmp_neq_f64_e64 s[2:3], 0, v[210:211]
	s_or_b64 s[2:3], vcc, s[2:3]
	s_and_b64 exec, exec, s[2:3]
	s_cbranch_execz .LBB103_152
; %bb.147:
	v_cmp_ngt_f64_e64 s[2:3], |v[208:209]|, |v[210:211]|
                                        ; implicit-def: $vgpr212_vgpr213
	s_and_saveexec_b64 s[10:11], s[2:3]
	s_xor_b64 s[2:3], exec, s[10:11]
                                        ; implicit-def: $vgpr214_vgpr215
	s_cbranch_execz .LBB103_149
; %bb.148:
	v_div_scale_f64 v[212:213], s[10:11], v[210:211], v[210:211], v[208:209]
	v_rcp_f64_e32 v[214:215], v[212:213]
	v_div_scale_f64 v[216:217], vcc, v[208:209], v[210:211], v[208:209]
	v_fma_f64 v[218:219], -v[212:213], v[214:215], 1.0
	v_fmac_f64_e32 v[214:215], v[214:215], v[218:219]
	v_fma_f64 v[218:219], -v[212:213], v[214:215], 1.0
	v_fmac_f64_e32 v[214:215], v[214:215], v[218:219]
	v_mul_f64 v[218:219], v[216:217], v[214:215]
	v_fma_f64 v[212:213], -v[212:213], v[218:219], v[216:217]
	v_div_fmas_f64 v[212:213], v[212:213], v[214:215], v[218:219]
	v_div_fixup_f64 v[212:213], v[212:213], v[210:211], v[208:209]
	v_fmac_f64_e32 v[210:211], v[208:209], v[212:213]
	v_div_scale_f64 v[208:209], s[10:11], v[210:211], v[210:211], 1.0
	v_rcp_f64_e32 v[214:215], v[208:209]
	s_nop 0
	v_fma_f64 v[216:217], -v[208:209], v[214:215], 1.0
	v_fmac_f64_e32 v[214:215], v[214:215], v[216:217]
	v_fma_f64 v[216:217], -v[208:209], v[214:215], 1.0
	v_fmac_f64_e32 v[214:215], v[214:215], v[216:217]
	v_div_scale_f64 v[216:217], vcc, 1.0, v[210:211], 1.0
	v_mul_f64 v[218:219], v[216:217], v[214:215]
	v_fma_f64 v[208:209], -v[208:209], v[218:219], v[216:217]
	s_nop 1
	v_div_fmas_f64 v[208:209], v[208:209], v[214:215], v[218:219]
	v_div_fixup_f64 v[214:215], v[208:209], v[210:211], 1.0
	v_mul_f64 v[212:213], v[212:213], v[214:215]
	v_xor_b32_e32 v215, 0x80000000, v215
                                        ; implicit-def: $vgpr208_vgpr209
.LBB103_149:
	s_andn2_saveexec_b64 s[2:3], s[2:3]
	s_cbranch_execz .LBB103_151
; %bb.150:
	v_div_scale_f64 v[212:213], s[10:11], v[208:209], v[208:209], v[210:211]
	v_rcp_f64_e32 v[214:215], v[212:213]
	v_div_scale_f64 v[216:217], vcc, v[210:211], v[208:209], v[210:211]
	v_fma_f64 v[218:219], -v[212:213], v[214:215], 1.0
	v_fmac_f64_e32 v[214:215], v[214:215], v[218:219]
	v_fma_f64 v[218:219], -v[212:213], v[214:215], 1.0
	v_fmac_f64_e32 v[214:215], v[214:215], v[218:219]
	v_mul_f64 v[218:219], v[216:217], v[214:215]
	v_fma_f64 v[212:213], -v[212:213], v[218:219], v[216:217]
	v_div_fmas_f64 v[212:213], v[212:213], v[214:215], v[218:219]
	v_div_fixup_f64 v[214:215], v[212:213], v[208:209], v[210:211]
	v_fmac_f64_e32 v[208:209], v[210:211], v[214:215]
	v_div_scale_f64 v[210:211], s[10:11], v[208:209], v[208:209], 1.0
	v_rcp_f64_e32 v[212:213], v[210:211]
	s_nop 0
	v_fma_f64 v[216:217], -v[210:211], v[212:213], 1.0
	v_fmac_f64_e32 v[212:213], v[212:213], v[216:217]
	v_fma_f64 v[216:217], -v[210:211], v[212:213], 1.0
	v_fmac_f64_e32 v[212:213], v[212:213], v[216:217]
	v_div_scale_f64 v[216:217], vcc, 1.0, v[208:209], 1.0
	v_mul_f64 v[218:219], v[216:217], v[212:213]
	v_fma_f64 v[210:211], -v[210:211], v[218:219], v[216:217]
	s_nop 1
	v_div_fmas_f64 v[210:211], v[210:211], v[212:213], v[218:219]
	v_div_fixup_f64 v[212:213], v[210:211], v[208:209], 1.0
	v_mul_f64 v[214:215], v[214:215], -v[212:213]
.LBB103_151:
	s_or_b64 exec, exec, s[2:3]
	ds_write2_b64 v248, v[212:213], v[214:215] offset1:1
.LBB103_152:
	s_or_b64 exec, exec, s[4:5]
	s_waitcnt lgkmcnt(0)
	s_barrier
	ds_read2_b64 v[200:203], v248 offset1:1
	s_waitcnt lgkmcnt(0)
	scratch_store_dwordx4 off, v[200:203], off offset:612 ; 16-byte Folded Spill
	scratch_load_dword v200, off, off       ; 4-byte Folded Reload
	s_waitcnt vmcnt(0)
	v_cmp_lt_u32_e32 vcc, 16, v200
	s_and_saveexec_b64 s[2:3], vcc
	s_cbranch_execz .LBB103_154
; %bb.153:
	scratch_load_dwordx4 v[200:203], off, off offset:612 ; 16-byte Folded Reload
	ds_read2_b64 v[210:213], v225 offset0:34 offset1:35
	s_waitcnt vmcnt(0)
	v_mul_f64 v[208:209], v[202:203], v[138:139]
	v_mul_f64 v[138:139], v[200:201], v[138:139]
	v_fmac_f64_e32 v[138:139], v[202:203], v[136:137]
	v_fma_f64 v[208:209], v[200:201], v[136:137], -v[208:209]
	s_waitcnt lgkmcnt(0)
	v_mul_f64 v[136:137], v[212:213], v[138:139]
	v_fma_f64 v[136:137], v[210:211], v[208:209], -v[136:137]
	v_mul_f64 v[210:211], v[210:211], v[138:139]
	v_fmac_f64_e32 v[210:211], v[212:213], v[208:209]
	v_add_f64 v[134:135], v[134:135], -v[210:211]
	ds_read2_b64 v[210:213], v225 offset0:36 offset1:37
	v_add_f64 v[132:133], v[132:133], -v[136:137]
	s_waitcnt lgkmcnt(0)
	v_mul_f64 v[136:137], v[212:213], v[138:139]
	v_fma_f64 v[136:137], v[210:211], v[208:209], -v[136:137]
	v_mul_f64 v[210:211], v[210:211], v[138:139]
	v_fmac_f64_e32 v[210:211], v[212:213], v[208:209]
	v_add_f64 v[130:131], v[130:131], -v[210:211]
	ds_read2_b64 v[210:213], v225 offset0:38 offset1:39
	v_add_f64 v[128:129], v[128:129], -v[136:137]
	;; [unrolled: 8-line block ×34, first 2 shown]
	s_waitcnt lgkmcnt(0)
	v_mul_f64 v[136:137], v[212:213], v[138:139]
	v_fma_f64 v[136:137], v[210:211], v[208:209], -v[136:137]
	v_mul_f64 v[210:211], v[210:211], v[138:139]
	v_fmac_f64_e32 v[210:211], v[212:213], v[208:209]
	v_add_f64 v[204:205], v[204:205], -v[136:137]
	v_add_f64 v[206:207], v[206:207], -v[210:211]
	v_mov_b64_e32 v[136:137], v[208:209]
.LBB103_154:
	s_or_b64 exec, exec, s[2:3]
	s_barrier
	scratch_load_dword v200, off, off       ; 4-byte Folded Reload
	s_waitcnt vmcnt(0)
	v_cmp_eq_u32_e32 vcc, 17, v200
	s_and_saveexec_b64 s[4:5], vcc
	s_cbranch_execz .LBB103_161
; %bb.155:
	ds_write2_b64 v248, v[132:133], v[134:135] offset1:1
	ds_write2_b64 v225, v[128:129], v[130:131] offset0:36 offset1:37
	ds_write2_b64 v225, v[124:125], v[126:127] offset0:38 offset1:39
	;; [unrolled: 1-line block ×34, first 2 shown]
	ds_read2_b64 v[208:211], v248 offset1:1
	s_waitcnt lgkmcnt(0)
	v_cmp_neq_f64_e32 vcc, 0, v[208:209]
	v_cmp_neq_f64_e64 s[2:3], 0, v[210:211]
	s_or_b64 s[2:3], vcc, s[2:3]
	s_and_b64 exec, exec, s[2:3]
	s_cbranch_execz .LBB103_161
; %bb.156:
	v_cmp_ngt_f64_e64 s[2:3], |v[208:209]|, |v[210:211]|
                                        ; implicit-def: $vgpr212_vgpr213
	s_and_saveexec_b64 s[10:11], s[2:3]
	s_xor_b64 s[2:3], exec, s[10:11]
                                        ; implicit-def: $vgpr214_vgpr215
	s_cbranch_execz .LBB103_158
; %bb.157:
	v_div_scale_f64 v[212:213], s[10:11], v[210:211], v[210:211], v[208:209]
	v_rcp_f64_e32 v[214:215], v[212:213]
	v_div_scale_f64 v[216:217], vcc, v[208:209], v[210:211], v[208:209]
	v_fma_f64 v[218:219], -v[212:213], v[214:215], 1.0
	v_fmac_f64_e32 v[214:215], v[214:215], v[218:219]
	v_fma_f64 v[218:219], -v[212:213], v[214:215], 1.0
	v_fmac_f64_e32 v[214:215], v[214:215], v[218:219]
	v_mul_f64 v[218:219], v[216:217], v[214:215]
	v_fma_f64 v[212:213], -v[212:213], v[218:219], v[216:217]
	v_div_fmas_f64 v[212:213], v[212:213], v[214:215], v[218:219]
	v_div_fixup_f64 v[212:213], v[212:213], v[210:211], v[208:209]
	v_fmac_f64_e32 v[210:211], v[208:209], v[212:213]
	v_div_scale_f64 v[208:209], s[10:11], v[210:211], v[210:211], 1.0
	v_rcp_f64_e32 v[214:215], v[208:209]
	s_nop 0
	v_fma_f64 v[216:217], -v[208:209], v[214:215], 1.0
	v_fmac_f64_e32 v[214:215], v[214:215], v[216:217]
	v_fma_f64 v[216:217], -v[208:209], v[214:215], 1.0
	v_fmac_f64_e32 v[214:215], v[214:215], v[216:217]
	v_div_scale_f64 v[216:217], vcc, 1.0, v[210:211], 1.0
	v_mul_f64 v[218:219], v[216:217], v[214:215]
	v_fma_f64 v[208:209], -v[208:209], v[218:219], v[216:217]
	s_nop 1
	v_div_fmas_f64 v[208:209], v[208:209], v[214:215], v[218:219]
	v_div_fixup_f64 v[214:215], v[208:209], v[210:211], 1.0
	v_mul_f64 v[212:213], v[212:213], v[214:215]
	v_xor_b32_e32 v215, 0x80000000, v215
                                        ; implicit-def: $vgpr208_vgpr209
.LBB103_158:
	s_andn2_saveexec_b64 s[2:3], s[2:3]
	s_cbranch_execz .LBB103_160
; %bb.159:
	v_div_scale_f64 v[212:213], s[10:11], v[208:209], v[208:209], v[210:211]
	v_rcp_f64_e32 v[214:215], v[212:213]
	v_div_scale_f64 v[216:217], vcc, v[210:211], v[208:209], v[210:211]
	v_fma_f64 v[218:219], -v[212:213], v[214:215], 1.0
	v_fmac_f64_e32 v[214:215], v[214:215], v[218:219]
	v_fma_f64 v[218:219], -v[212:213], v[214:215], 1.0
	v_fmac_f64_e32 v[214:215], v[214:215], v[218:219]
	v_mul_f64 v[218:219], v[216:217], v[214:215]
	v_fma_f64 v[212:213], -v[212:213], v[218:219], v[216:217]
	v_div_fmas_f64 v[212:213], v[212:213], v[214:215], v[218:219]
	v_div_fixup_f64 v[214:215], v[212:213], v[208:209], v[210:211]
	v_fmac_f64_e32 v[208:209], v[210:211], v[214:215]
	v_div_scale_f64 v[210:211], s[10:11], v[208:209], v[208:209], 1.0
	v_rcp_f64_e32 v[212:213], v[210:211]
	s_nop 0
	v_fma_f64 v[216:217], -v[210:211], v[212:213], 1.0
	v_fmac_f64_e32 v[212:213], v[212:213], v[216:217]
	v_fma_f64 v[216:217], -v[210:211], v[212:213], 1.0
	v_fmac_f64_e32 v[212:213], v[212:213], v[216:217]
	v_div_scale_f64 v[216:217], vcc, 1.0, v[208:209], 1.0
	v_mul_f64 v[218:219], v[216:217], v[212:213]
	v_fma_f64 v[210:211], -v[210:211], v[218:219], v[216:217]
	s_nop 1
	v_div_fmas_f64 v[210:211], v[210:211], v[212:213], v[218:219]
	v_div_fixup_f64 v[212:213], v[210:211], v[208:209], 1.0
	v_mul_f64 v[214:215], v[214:215], -v[212:213]
.LBB103_160:
	s_or_b64 exec, exec, s[2:3]
	ds_write2_b64 v248, v[212:213], v[214:215] offset1:1
.LBB103_161:
	s_or_b64 exec, exec, s[4:5]
	s_waitcnt lgkmcnt(0)
	s_barrier
	ds_read2_b64 v[200:203], v248 offset1:1
	s_waitcnt lgkmcnt(0)
	scratch_store_dwordx4 off, v[200:203], off offset:628 ; 16-byte Folded Spill
	scratch_load_dword v200, off, off       ; 4-byte Folded Reload
	s_waitcnt vmcnt(0)
	v_cmp_lt_u32_e32 vcc, 17, v200
	s_and_saveexec_b64 s[2:3], vcc
	s_cbranch_execz .LBB103_163
; %bb.162:
	scratch_load_dwordx4 v[200:203], off, off offset:628 ; 16-byte Folded Reload
	ds_read2_b64 v[210:213], v225 offset0:36 offset1:37
	s_waitcnt vmcnt(0)
	v_mul_f64 v[208:209], v[202:203], v[134:135]
	v_mul_f64 v[134:135], v[200:201], v[134:135]
	v_fmac_f64_e32 v[134:135], v[202:203], v[132:133]
	v_fma_f64 v[208:209], v[200:201], v[132:133], -v[208:209]
	s_waitcnt lgkmcnt(0)
	v_mul_f64 v[132:133], v[212:213], v[134:135]
	v_fma_f64 v[132:133], v[210:211], v[208:209], -v[132:133]
	v_mul_f64 v[210:211], v[210:211], v[134:135]
	v_fmac_f64_e32 v[210:211], v[212:213], v[208:209]
	v_add_f64 v[130:131], v[130:131], -v[210:211]
	ds_read2_b64 v[210:213], v225 offset0:38 offset1:39
	v_add_f64 v[128:129], v[128:129], -v[132:133]
	s_waitcnt lgkmcnt(0)
	v_mul_f64 v[132:133], v[212:213], v[134:135]
	v_fma_f64 v[132:133], v[210:211], v[208:209], -v[132:133]
	v_mul_f64 v[210:211], v[210:211], v[134:135]
	v_fmac_f64_e32 v[210:211], v[212:213], v[208:209]
	v_add_f64 v[126:127], v[126:127], -v[210:211]
	ds_read2_b64 v[210:213], v225 offset0:40 offset1:41
	v_add_f64 v[124:125], v[124:125], -v[132:133]
	;; [unrolled: 8-line block ×33, first 2 shown]
	s_waitcnt lgkmcnt(0)
	v_mul_f64 v[132:133], v[212:213], v[134:135]
	v_fma_f64 v[132:133], v[210:211], v[208:209], -v[132:133]
	v_mul_f64 v[210:211], v[210:211], v[134:135]
	v_fmac_f64_e32 v[210:211], v[212:213], v[208:209]
	v_add_f64 v[204:205], v[204:205], -v[132:133]
	v_add_f64 v[206:207], v[206:207], -v[210:211]
	v_mov_b64_e32 v[132:133], v[208:209]
.LBB103_163:
	s_or_b64 exec, exec, s[2:3]
	s_barrier
	scratch_load_dword v200, off, off       ; 4-byte Folded Reload
	s_waitcnt vmcnt(0)
	v_cmp_eq_u32_e32 vcc, 18, v200
	s_and_saveexec_b64 s[4:5], vcc
	s_cbranch_execz .LBB103_170
; %bb.164:
	ds_write2_b64 v248, v[128:129], v[130:131] offset1:1
	ds_write2_b64 v225, v[124:125], v[126:127] offset0:38 offset1:39
	ds_write2_b64 v225, v[120:121], v[122:123] offset0:40 offset1:41
	;; [unrolled: 1-line block ×33, first 2 shown]
	ds_read2_b64 v[208:211], v248 offset1:1
	s_waitcnt lgkmcnt(0)
	v_cmp_neq_f64_e32 vcc, 0, v[208:209]
	v_cmp_neq_f64_e64 s[2:3], 0, v[210:211]
	s_or_b64 s[2:3], vcc, s[2:3]
	s_and_b64 exec, exec, s[2:3]
	s_cbranch_execz .LBB103_170
; %bb.165:
	v_cmp_ngt_f64_e64 s[2:3], |v[208:209]|, |v[210:211]|
                                        ; implicit-def: $vgpr212_vgpr213
	s_and_saveexec_b64 s[10:11], s[2:3]
	s_xor_b64 s[2:3], exec, s[10:11]
                                        ; implicit-def: $vgpr214_vgpr215
	s_cbranch_execz .LBB103_167
; %bb.166:
	v_div_scale_f64 v[212:213], s[10:11], v[210:211], v[210:211], v[208:209]
	v_rcp_f64_e32 v[214:215], v[212:213]
	v_div_scale_f64 v[216:217], vcc, v[208:209], v[210:211], v[208:209]
	v_fma_f64 v[218:219], -v[212:213], v[214:215], 1.0
	v_fmac_f64_e32 v[214:215], v[214:215], v[218:219]
	v_fma_f64 v[218:219], -v[212:213], v[214:215], 1.0
	v_fmac_f64_e32 v[214:215], v[214:215], v[218:219]
	v_mul_f64 v[218:219], v[216:217], v[214:215]
	v_fma_f64 v[212:213], -v[212:213], v[218:219], v[216:217]
	v_div_fmas_f64 v[212:213], v[212:213], v[214:215], v[218:219]
	v_div_fixup_f64 v[212:213], v[212:213], v[210:211], v[208:209]
	v_fmac_f64_e32 v[210:211], v[208:209], v[212:213]
	v_div_scale_f64 v[208:209], s[10:11], v[210:211], v[210:211], 1.0
	v_rcp_f64_e32 v[214:215], v[208:209]
	s_nop 0
	v_fma_f64 v[216:217], -v[208:209], v[214:215], 1.0
	v_fmac_f64_e32 v[214:215], v[214:215], v[216:217]
	v_fma_f64 v[216:217], -v[208:209], v[214:215], 1.0
	v_fmac_f64_e32 v[214:215], v[214:215], v[216:217]
	v_div_scale_f64 v[216:217], vcc, 1.0, v[210:211], 1.0
	v_mul_f64 v[218:219], v[216:217], v[214:215]
	v_fma_f64 v[208:209], -v[208:209], v[218:219], v[216:217]
	s_nop 1
	v_div_fmas_f64 v[208:209], v[208:209], v[214:215], v[218:219]
	v_div_fixup_f64 v[214:215], v[208:209], v[210:211], 1.0
	v_mul_f64 v[212:213], v[212:213], v[214:215]
	v_xor_b32_e32 v215, 0x80000000, v215
                                        ; implicit-def: $vgpr208_vgpr209
.LBB103_167:
	s_andn2_saveexec_b64 s[2:3], s[2:3]
	s_cbranch_execz .LBB103_169
; %bb.168:
	v_div_scale_f64 v[212:213], s[10:11], v[208:209], v[208:209], v[210:211]
	v_rcp_f64_e32 v[214:215], v[212:213]
	v_div_scale_f64 v[216:217], vcc, v[210:211], v[208:209], v[210:211]
	v_fma_f64 v[218:219], -v[212:213], v[214:215], 1.0
	v_fmac_f64_e32 v[214:215], v[214:215], v[218:219]
	v_fma_f64 v[218:219], -v[212:213], v[214:215], 1.0
	v_fmac_f64_e32 v[214:215], v[214:215], v[218:219]
	v_mul_f64 v[218:219], v[216:217], v[214:215]
	v_fma_f64 v[212:213], -v[212:213], v[218:219], v[216:217]
	v_div_fmas_f64 v[212:213], v[212:213], v[214:215], v[218:219]
	v_div_fixup_f64 v[214:215], v[212:213], v[208:209], v[210:211]
	v_fmac_f64_e32 v[208:209], v[210:211], v[214:215]
	v_div_scale_f64 v[210:211], s[10:11], v[208:209], v[208:209], 1.0
	v_rcp_f64_e32 v[212:213], v[210:211]
	s_nop 0
	v_fma_f64 v[216:217], -v[210:211], v[212:213], 1.0
	v_fmac_f64_e32 v[212:213], v[212:213], v[216:217]
	v_fma_f64 v[216:217], -v[210:211], v[212:213], 1.0
	v_fmac_f64_e32 v[212:213], v[212:213], v[216:217]
	v_div_scale_f64 v[216:217], vcc, 1.0, v[208:209], 1.0
	v_mul_f64 v[218:219], v[216:217], v[212:213]
	v_fma_f64 v[210:211], -v[210:211], v[218:219], v[216:217]
	s_nop 1
	v_div_fmas_f64 v[210:211], v[210:211], v[212:213], v[218:219]
	v_div_fixup_f64 v[212:213], v[210:211], v[208:209], 1.0
	v_mul_f64 v[214:215], v[214:215], -v[212:213]
.LBB103_169:
	s_or_b64 exec, exec, s[2:3]
	ds_write2_b64 v248, v[212:213], v[214:215] offset1:1
.LBB103_170:
	s_or_b64 exec, exec, s[4:5]
	s_waitcnt lgkmcnt(0)
	s_barrier
	ds_read2_b64 v[200:203], v248 offset1:1
	s_waitcnt lgkmcnt(0)
	scratch_store_dwordx4 off, v[200:203], off offset:644 ; 16-byte Folded Spill
	scratch_load_dword v200, off, off       ; 4-byte Folded Reload
	s_waitcnt vmcnt(0)
	v_cmp_lt_u32_e32 vcc, 18, v200
	s_and_saveexec_b64 s[2:3], vcc
	s_cbranch_execz .LBB103_172
; %bb.171:
	scratch_load_dwordx4 v[200:203], off, off offset:644 ; 16-byte Folded Reload
	ds_read2_b64 v[210:213], v225 offset0:38 offset1:39
	s_waitcnt vmcnt(0)
	v_mul_f64 v[208:209], v[202:203], v[130:131]
	v_mul_f64 v[130:131], v[200:201], v[130:131]
	v_fmac_f64_e32 v[130:131], v[202:203], v[128:129]
	v_fma_f64 v[208:209], v[200:201], v[128:129], -v[208:209]
	s_waitcnt lgkmcnt(0)
	v_mul_f64 v[128:129], v[212:213], v[130:131]
	v_fma_f64 v[128:129], v[210:211], v[208:209], -v[128:129]
	v_mul_f64 v[210:211], v[210:211], v[130:131]
	v_fmac_f64_e32 v[210:211], v[212:213], v[208:209]
	v_add_f64 v[126:127], v[126:127], -v[210:211]
	ds_read2_b64 v[210:213], v225 offset0:40 offset1:41
	v_add_f64 v[124:125], v[124:125], -v[128:129]
	s_waitcnt lgkmcnt(0)
	v_mul_f64 v[128:129], v[212:213], v[130:131]
	v_fma_f64 v[128:129], v[210:211], v[208:209], -v[128:129]
	v_mul_f64 v[210:211], v[210:211], v[130:131]
	v_fmac_f64_e32 v[210:211], v[212:213], v[208:209]
	v_add_f64 v[122:123], v[122:123], -v[210:211]
	ds_read2_b64 v[210:213], v225 offset0:42 offset1:43
	v_add_f64 v[120:121], v[120:121], -v[128:129]
	;; [unrolled: 8-line block ×32, first 2 shown]
	s_waitcnt lgkmcnt(0)
	v_mul_f64 v[128:129], v[212:213], v[130:131]
	v_fma_f64 v[128:129], v[210:211], v[208:209], -v[128:129]
	v_mul_f64 v[210:211], v[210:211], v[130:131]
	v_fmac_f64_e32 v[210:211], v[212:213], v[208:209]
	v_add_f64 v[204:205], v[204:205], -v[128:129]
	v_add_f64 v[206:207], v[206:207], -v[210:211]
	v_mov_b64_e32 v[128:129], v[208:209]
.LBB103_172:
	s_or_b64 exec, exec, s[2:3]
	s_barrier
	scratch_load_dword v200, off, off       ; 4-byte Folded Reload
	s_waitcnt vmcnt(0)
	v_cmp_eq_u32_e32 vcc, 19, v200
	s_and_saveexec_b64 s[4:5], vcc
	s_cbranch_execz .LBB103_179
; %bb.173:
	ds_write2_b64 v248, v[124:125], v[126:127] offset1:1
	ds_write2_b64 v225, v[120:121], v[122:123] offset0:40 offset1:41
	ds_write2_b64 v225, v[116:117], v[118:119] offset0:42 offset1:43
	;; [unrolled: 1-line block ×32, first 2 shown]
	ds_read2_b64 v[208:211], v248 offset1:1
	s_waitcnt lgkmcnt(0)
	v_cmp_neq_f64_e32 vcc, 0, v[208:209]
	v_cmp_neq_f64_e64 s[2:3], 0, v[210:211]
	s_or_b64 s[2:3], vcc, s[2:3]
	s_and_b64 exec, exec, s[2:3]
	s_cbranch_execz .LBB103_179
; %bb.174:
	v_cmp_ngt_f64_e64 s[2:3], |v[208:209]|, |v[210:211]|
                                        ; implicit-def: $vgpr212_vgpr213
	s_and_saveexec_b64 s[10:11], s[2:3]
	s_xor_b64 s[2:3], exec, s[10:11]
                                        ; implicit-def: $vgpr214_vgpr215
	s_cbranch_execz .LBB103_176
; %bb.175:
	v_div_scale_f64 v[212:213], s[10:11], v[210:211], v[210:211], v[208:209]
	v_rcp_f64_e32 v[214:215], v[212:213]
	v_div_scale_f64 v[216:217], vcc, v[208:209], v[210:211], v[208:209]
	v_fma_f64 v[218:219], -v[212:213], v[214:215], 1.0
	v_fmac_f64_e32 v[214:215], v[214:215], v[218:219]
	v_fma_f64 v[218:219], -v[212:213], v[214:215], 1.0
	v_fmac_f64_e32 v[214:215], v[214:215], v[218:219]
	v_mul_f64 v[218:219], v[216:217], v[214:215]
	v_fma_f64 v[212:213], -v[212:213], v[218:219], v[216:217]
	v_div_fmas_f64 v[212:213], v[212:213], v[214:215], v[218:219]
	v_div_fixup_f64 v[212:213], v[212:213], v[210:211], v[208:209]
	v_fmac_f64_e32 v[210:211], v[208:209], v[212:213]
	v_div_scale_f64 v[208:209], s[10:11], v[210:211], v[210:211], 1.0
	v_rcp_f64_e32 v[214:215], v[208:209]
	s_nop 0
	v_fma_f64 v[216:217], -v[208:209], v[214:215], 1.0
	v_fmac_f64_e32 v[214:215], v[214:215], v[216:217]
	v_fma_f64 v[216:217], -v[208:209], v[214:215], 1.0
	v_fmac_f64_e32 v[214:215], v[214:215], v[216:217]
	v_div_scale_f64 v[216:217], vcc, 1.0, v[210:211], 1.0
	v_mul_f64 v[218:219], v[216:217], v[214:215]
	v_fma_f64 v[208:209], -v[208:209], v[218:219], v[216:217]
	s_nop 1
	v_div_fmas_f64 v[208:209], v[208:209], v[214:215], v[218:219]
	v_div_fixup_f64 v[214:215], v[208:209], v[210:211], 1.0
	v_mul_f64 v[212:213], v[212:213], v[214:215]
	v_xor_b32_e32 v215, 0x80000000, v215
                                        ; implicit-def: $vgpr208_vgpr209
.LBB103_176:
	s_andn2_saveexec_b64 s[2:3], s[2:3]
	s_cbranch_execz .LBB103_178
; %bb.177:
	v_div_scale_f64 v[212:213], s[10:11], v[208:209], v[208:209], v[210:211]
	v_rcp_f64_e32 v[214:215], v[212:213]
	v_div_scale_f64 v[216:217], vcc, v[210:211], v[208:209], v[210:211]
	v_fma_f64 v[218:219], -v[212:213], v[214:215], 1.0
	v_fmac_f64_e32 v[214:215], v[214:215], v[218:219]
	v_fma_f64 v[218:219], -v[212:213], v[214:215], 1.0
	v_fmac_f64_e32 v[214:215], v[214:215], v[218:219]
	v_mul_f64 v[218:219], v[216:217], v[214:215]
	v_fma_f64 v[212:213], -v[212:213], v[218:219], v[216:217]
	v_div_fmas_f64 v[212:213], v[212:213], v[214:215], v[218:219]
	v_div_fixup_f64 v[214:215], v[212:213], v[208:209], v[210:211]
	v_fmac_f64_e32 v[208:209], v[210:211], v[214:215]
	v_div_scale_f64 v[210:211], s[10:11], v[208:209], v[208:209], 1.0
	v_rcp_f64_e32 v[212:213], v[210:211]
	s_nop 0
	v_fma_f64 v[216:217], -v[210:211], v[212:213], 1.0
	v_fmac_f64_e32 v[212:213], v[212:213], v[216:217]
	v_fma_f64 v[216:217], -v[210:211], v[212:213], 1.0
	v_fmac_f64_e32 v[212:213], v[212:213], v[216:217]
	v_div_scale_f64 v[216:217], vcc, 1.0, v[208:209], 1.0
	v_mul_f64 v[218:219], v[216:217], v[212:213]
	v_fma_f64 v[210:211], -v[210:211], v[218:219], v[216:217]
	s_nop 1
	v_div_fmas_f64 v[210:211], v[210:211], v[212:213], v[218:219]
	v_div_fixup_f64 v[212:213], v[210:211], v[208:209], 1.0
	v_mul_f64 v[214:215], v[214:215], -v[212:213]
.LBB103_178:
	s_or_b64 exec, exec, s[2:3]
	ds_write2_b64 v248, v[212:213], v[214:215] offset1:1
.LBB103_179:
	s_or_b64 exec, exec, s[4:5]
	s_waitcnt lgkmcnt(0)
	s_barrier
	ds_read2_b64 v[200:203], v248 offset1:1
	s_waitcnt lgkmcnt(0)
	scratch_store_dwordx4 off, v[200:203], off offset:660 ; 16-byte Folded Spill
	scratch_load_dword v200, off, off       ; 4-byte Folded Reload
	s_waitcnt vmcnt(0)
	v_cmp_lt_u32_e32 vcc, 19, v200
	s_and_saveexec_b64 s[2:3], vcc
	s_cbranch_execz .LBB103_181
; %bb.180:
	scratch_load_dwordx4 v[200:203], off, off offset:660 ; 16-byte Folded Reload
	ds_read2_b64 v[210:213], v225 offset0:40 offset1:41
	s_waitcnt vmcnt(0)
	v_mul_f64 v[208:209], v[202:203], v[126:127]
	v_mul_f64 v[126:127], v[200:201], v[126:127]
	v_fmac_f64_e32 v[126:127], v[202:203], v[124:125]
	v_fma_f64 v[208:209], v[200:201], v[124:125], -v[208:209]
	s_waitcnt lgkmcnt(0)
	v_mul_f64 v[124:125], v[212:213], v[126:127]
	v_fma_f64 v[124:125], v[210:211], v[208:209], -v[124:125]
	v_mul_f64 v[210:211], v[210:211], v[126:127]
	v_fmac_f64_e32 v[210:211], v[212:213], v[208:209]
	v_add_f64 v[122:123], v[122:123], -v[210:211]
	ds_read2_b64 v[210:213], v225 offset0:42 offset1:43
	v_add_f64 v[120:121], v[120:121], -v[124:125]
	s_waitcnt lgkmcnt(0)
	v_mul_f64 v[124:125], v[212:213], v[126:127]
	v_fma_f64 v[124:125], v[210:211], v[208:209], -v[124:125]
	v_mul_f64 v[210:211], v[210:211], v[126:127]
	v_fmac_f64_e32 v[210:211], v[212:213], v[208:209]
	v_add_f64 v[118:119], v[118:119], -v[210:211]
	ds_read2_b64 v[210:213], v225 offset0:44 offset1:45
	v_add_f64 v[116:117], v[116:117], -v[124:125]
	;; [unrolled: 8-line block ×31, first 2 shown]
	s_waitcnt lgkmcnt(0)
	v_mul_f64 v[124:125], v[212:213], v[126:127]
	v_fma_f64 v[124:125], v[210:211], v[208:209], -v[124:125]
	v_mul_f64 v[210:211], v[210:211], v[126:127]
	v_fmac_f64_e32 v[210:211], v[212:213], v[208:209]
	v_add_f64 v[204:205], v[204:205], -v[124:125]
	v_add_f64 v[206:207], v[206:207], -v[210:211]
	v_mov_b64_e32 v[124:125], v[208:209]
.LBB103_181:
	s_or_b64 exec, exec, s[2:3]
	s_barrier
	scratch_load_dword v200, off, off       ; 4-byte Folded Reload
	s_waitcnt vmcnt(0)
	v_cmp_eq_u32_e32 vcc, 20, v200
	s_and_saveexec_b64 s[4:5], vcc
	s_cbranch_execz .LBB103_188
; %bb.182:
	ds_write2_b64 v248, v[120:121], v[122:123] offset1:1
	ds_write2_b64 v225, v[116:117], v[118:119] offset0:42 offset1:43
	ds_write2_b64 v225, v[112:113], v[114:115] offset0:44 offset1:45
	;; [unrolled: 1-line block ×31, first 2 shown]
	ds_read2_b64 v[208:211], v248 offset1:1
	s_waitcnt lgkmcnt(0)
	v_cmp_neq_f64_e32 vcc, 0, v[208:209]
	v_cmp_neq_f64_e64 s[2:3], 0, v[210:211]
	s_or_b64 s[2:3], vcc, s[2:3]
	s_and_b64 exec, exec, s[2:3]
	s_cbranch_execz .LBB103_188
; %bb.183:
	v_cmp_ngt_f64_e64 s[2:3], |v[208:209]|, |v[210:211]|
                                        ; implicit-def: $vgpr212_vgpr213
	s_and_saveexec_b64 s[10:11], s[2:3]
	s_xor_b64 s[2:3], exec, s[10:11]
                                        ; implicit-def: $vgpr214_vgpr215
	s_cbranch_execz .LBB103_185
; %bb.184:
	v_div_scale_f64 v[212:213], s[10:11], v[210:211], v[210:211], v[208:209]
	v_rcp_f64_e32 v[214:215], v[212:213]
	v_div_scale_f64 v[216:217], vcc, v[208:209], v[210:211], v[208:209]
	v_fma_f64 v[218:219], -v[212:213], v[214:215], 1.0
	v_fmac_f64_e32 v[214:215], v[214:215], v[218:219]
	v_fma_f64 v[218:219], -v[212:213], v[214:215], 1.0
	v_fmac_f64_e32 v[214:215], v[214:215], v[218:219]
	v_mul_f64 v[218:219], v[216:217], v[214:215]
	v_fma_f64 v[212:213], -v[212:213], v[218:219], v[216:217]
	v_div_fmas_f64 v[212:213], v[212:213], v[214:215], v[218:219]
	v_div_fixup_f64 v[212:213], v[212:213], v[210:211], v[208:209]
	v_fmac_f64_e32 v[210:211], v[208:209], v[212:213]
	v_div_scale_f64 v[208:209], s[10:11], v[210:211], v[210:211], 1.0
	v_rcp_f64_e32 v[214:215], v[208:209]
	s_nop 0
	v_fma_f64 v[216:217], -v[208:209], v[214:215], 1.0
	v_fmac_f64_e32 v[214:215], v[214:215], v[216:217]
	v_fma_f64 v[216:217], -v[208:209], v[214:215], 1.0
	v_fmac_f64_e32 v[214:215], v[214:215], v[216:217]
	v_div_scale_f64 v[216:217], vcc, 1.0, v[210:211], 1.0
	v_mul_f64 v[218:219], v[216:217], v[214:215]
	v_fma_f64 v[208:209], -v[208:209], v[218:219], v[216:217]
	s_nop 1
	v_div_fmas_f64 v[208:209], v[208:209], v[214:215], v[218:219]
	v_div_fixup_f64 v[214:215], v[208:209], v[210:211], 1.0
	v_mul_f64 v[212:213], v[212:213], v[214:215]
	v_xor_b32_e32 v215, 0x80000000, v215
                                        ; implicit-def: $vgpr208_vgpr209
.LBB103_185:
	s_andn2_saveexec_b64 s[2:3], s[2:3]
	s_cbranch_execz .LBB103_187
; %bb.186:
	v_div_scale_f64 v[212:213], s[10:11], v[208:209], v[208:209], v[210:211]
	v_rcp_f64_e32 v[214:215], v[212:213]
	v_div_scale_f64 v[216:217], vcc, v[210:211], v[208:209], v[210:211]
	v_fma_f64 v[218:219], -v[212:213], v[214:215], 1.0
	v_fmac_f64_e32 v[214:215], v[214:215], v[218:219]
	v_fma_f64 v[218:219], -v[212:213], v[214:215], 1.0
	v_fmac_f64_e32 v[214:215], v[214:215], v[218:219]
	v_mul_f64 v[218:219], v[216:217], v[214:215]
	v_fma_f64 v[212:213], -v[212:213], v[218:219], v[216:217]
	v_div_fmas_f64 v[212:213], v[212:213], v[214:215], v[218:219]
	v_div_fixup_f64 v[214:215], v[212:213], v[208:209], v[210:211]
	v_fmac_f64_e32 v[208:209], v[210:211], v[214:215]
	v_div_scale_f64 v[210:211], s[10:11], v[208:209], v[208:209], 1.0
	v_rcp_f64_e32 v[212:213], v[210:211]
	s_nop 0
	v_fma_f64 v[216:217], -v[210:211], v[212:213], 1.0
	v_fmac_f64_e32 v[212:213], v[212:213], v[216:217]
	v_fma_f64 v[216:217], -v[210:211], v[212:213], 1.0
	v_fmac_f64_e32 v[212:213], v[212:213], v[216:217]
	v_div_scale_f64 v[216:217], vcc, 1.0, v[208:209], 1.0
	v_mul_f64 v[218:219], v[216:217], v[212:213]
	v_fma_f64 v[210:211], -v[210:211], v[218:219], v[216:217]
	s_nop 1
	v_div_fmas_f64 v[210:211], v[210:211], v[212:213], v[218:219]
	v_div_fixup_f64 v[212:213], v[210:211], v[208:209], 1.0
	v_mul_f64 v[214:215], v[214:215], -v[212:213]
.LBB103_187:
	s_or_b64 exec, exec, s[2:3]
	ds_write2_b64 v248, v[212:213], v[214:215] offset1:1
.LBB103_188:
	s_or_b64 exec, exec, s[4:5]
	s_waitcnt lgkmcnt(0)
	s_barrier
	ds_read2_b64 v[200:203], v248 offset1:1
	s_waitcnt lgkmcnt(0)
	scratch_store_dwordx4 off, v[200:203], off offset:676 ; 16-byte Folded Spill
	scratch_load_dword v200, off, off       ; 4-byte Folded Reload
	s_waitcnt vmcnt(0)
	v_cmp_lt_u32_e32 vcc, 20, v200
	s_and_saveexec_b64 s[2:3], vcc
	s_cbranch_execz .LBB103_190
; %bb.189:
	scratch_load_dwordx4 v[200:203], off, off offset:676 ; 16-byte Folded Reload
	ds_read2_b64 v[210:213], v225 offset0:42 offset1:43
	s_waitcnt vmcnt(0)
	v_mul_f64 v[208:209], v[202:203], v[122:123]
	v_mul_f64 v[122:123], v[200:201], v[122:123]
	v_fmac_f64_e32 v[122:123], v[202:203], v[120:121]
	v_fma_f64 v[208:209], v[200:201], v[120:121], -v[208:209]
	s_waitcnt lgkmcnt(0)
	v_mul_f64 v[120:121], v[212:213], v[122:123]
	v_fma_f64 v[120:121], v[210:211], v[208:209], -v[120:121]
	v_mul_f64 v[210:211], v[210:211], v[122:123]
	v_fmac_f64_e32 v[210:211], v[212:213], v[208:209]
	v_add_f64 v[118:119], v[118:119], -v[210:211]
	ds_read2_b64 v[210:213], v225 offset0:44 offset1:45
	v_add_f64 v[116:117], v[116:117], -v[120:121]
	s_waitcnt lgkmcnt(0)
	v_mul_f64 v[120:121], v[212:213], v[122:123]
	v_fma_f64 v[120:121], v[210:211], v[208:209], -v[120:121]
	v_mul_f64 v[210:211], v[210:211], v[122:123]
	v_fmac_f64_e32 v[210:211], v[212:213], v[208:209]
	v_add_f64 v[114:115], v[114:115], -v[210:211]
	ds_read2_b64 v[210:213], v225 offset0:46 offset1:47
	v_add_f64 v[112:113], v[112:113], -v[120:121]
	;; [unrolled: 8-line block ×30, first 2 shown]
	s_waitcnt lgkmcnt(0)
	v_mul_f64 v[120:121], v[212:213], v[122:123]
	v_fma_f64 v[120:121], v[210:211], v[208:209], -v[120:121]
	v_mul_f64 v[210:211], v[210:211], v[122:123]
	v_fmac_f64_e32 v[210:211], v[212:213], v[208:209]
	v_add_f64 v[204:205], v[204:205], -v[120:121]
	v_add_f64 v[206:207], v[206:207], -v[210:211]
	v_mov_b64_e32 v[120:121], v[208:209]
.LBB103_190:
	s_or_b64 exec, exec, s[2:3]
	s_barrier
	scratch_load_dword v200, off, off       ; 4-byte Folded Reload
	s_waitcnt vmcnt(0)
	v_cmp_eq_u32_e32 vcc, 21, v200
	s_and_saveexec_b64 s[4:5], vcc
	s_cbranch_execz .LBB103_197
; %bb.191:
	ds_write2_b64 v248, v[116:117], v[118:119] offset1:1
	ds_write2_b64 v225, v[112:113], v[114:115] offset0:44 offset1:45
	ds_write2_b64 v225, v[108:109], v[110:111] offset0:46 offset1:47
	;; [unrolled: 1-line block ×30, first 2 shown]
	ds_read2_b64 v[208:211], v248 offset1:1
	s_waitcnt lgkmcnt(0)
	v_cmp_neq_f64_e32 vcc, 0, v[208:209]
	v_cmp_neq_f64_e64 s[2:3], 0, v[210:211]
	s_or_b64 s[2:3], vcc, s[2:3]
	s_and_b64 exec, exec, s[2:3]
	s_cbranch_execz .LBB103_197
; %bb.192:
	v_cmp_ngt_f64_e64 s[2:3], |v[208:209]|, |v[210:211]|
                                        ; implicit-def: $vgpr212_vgpr213
	s_and_saveexec_b64 s[10:11], s[2:3]
	s_xor_b64 s[2:3], exec, s[10:11]
                                        ; implicit-def: $vgpr214_vgpr215
	s_cbranch_execz .LBB103_194
; %bb.193:
	v_div_scale_f64 v[212:213], s[10:11], v[210:211], v[210:211], v[208:209]
	v_rcp_f64_e32 v[214:215], v[212:213]
	v_div_scale_f64 v[216:217], vcc, v[208:209], v[210:211], v[208:209]
	v_fma_f64 v[218:219], -v[212:213], v[214:215], 1.0
	v_fmac_f64_e32 v[214:215], v[214:215], v[218:219]
	v_fma_f64 v[218:219], -v[212:213], v[214:215], 1.0
	v_fmac_f64_e32 v[214:215], v[214:215], v[218:219]
	v_mul_f64 v[218:219], v[216:217], v[214:215]
	v_fma_f64 v[212:213], -v[212:213], v[218:219], v[216:217]
	v_div_fmas_f64 v[212:213], v[212:213], v[214:215], v[218:219]
	v_div_fixup_f64 v[212:213], v[212:213], v[210:211], v[208:209]
	v_fmac_f64_e32 v[210:211], v[208:209], v[212:213]
	v_div_scale_f64 v[208:209], s[10:11], v[210:211], v[210:211], 1.0
	v_rcp_f64_e32 v[214:215], v[208:209]
	s_nop 0
	v_fma_f64 v[216:217], -v[208:209], v[214:215], 1.0
	v_fmac_f64_e32 v[214:215], v[214:215], v[216:217]
	v_fma_f64 v[216:217], -v[208:209], v[214:215], 1.0
	v_fmac_f64_e32 v[214:215], v[214:215], v[216:217]
	v_div_scale_f64 v[216:217], vcc, 1.0, v[210:211], 1.0
	v_mul_f64 v[218:219], v[216:217], v[214:215]
	v_fma_f64 v[208:209], -v[208:209], v[218:219], v[216:217]
	s_nop 1
	v_div_fmas_f64 v[208:209], v[208:209], v[214:215], v[218:219]
	v_div_fixup_f64 v[214:215], v[208:209], v[210:211], 1.0
	v_mul_f64 v[212:213], v[212:213], v[214:215]
	v_xor_b32_e32 v215, 0x80000000, v215
                                        ; implicit-def: $vgpr208_vgpr209
.LBB103_194:
	s_andn2_saveexec_b64 s[2:3], s[2:3]
	s_cbranch_execz .LBB103_196
; %bb.195:
	v_div_scale_f64 v[212:213], s[10:11], v[208:209], v[208:209], v[210:211]
	v_rcp_f64_e32 v[214:215], v[212:213]
	v_div_scale_f64 v[216:217], vcc, v[210:211], v[208:209], v[210:211]
	v_fma_f64 v[218:219], -v[212:213], v[214:215], 1.0
	v_fmac_f64_e32 v[214:215], v[214:215], v[218:219]
	v_fma_f64 v[218:219], -v[212:213], v[214:215], 1.0
	v_fmac_f64_e32 v[214:215], v[214:215], v[218:219]
	v_mul_f64 v[218:219], v[216:217], v[214:215]
	v_fma_f64 v[212:213], -v[212:213], v[218:219], v[216:217]
	v_div_fmas_f64 v[212:213], v[212:213], v[214:215], v[218:219]
	v_div_fixup_f64 v[214:215], v[212:213], v[208:209], v[210:211]
	v_fmac_f64_e32 v[208:209], v[210:211], v[214:215]
	v_div_scale_f64 v[210:211], s[10:11], v[208:209], v[208:209], 1.0
	v_rcp_f64_e32 v[212:213], v[210:211]
	s_nop 0
	v_fma_f64 v[216:217], -v[210:211], v[212:213], 1.0
	v_fmac_f64_e32 v[212:213], v[212:213], v[216:217]
	v_fma_f64 v[216:217], -v[210:211], v[212:213], 1.0
	v_fmac_f64_e32 v[212:213], v[212:213], v[216:217]
	v_div_scale_f64 v[216:217], vcc, 1.0, v[208:209], 1.0
	v_mul_f64 v[218:219], v[216:217], v[212:213]
	v_fma_f64 v[210:211], -v[210:211], v[218:219], v[216:217]
	s_nop 1
	v_div_fmas_f64 v[210:211], v[210:211], v[212:213], v[218:219]
	v_div_fixup_f64 v[212:213], v[210:211], v[208:209], 1.0
	v_mul_f64 v[214:215], v[214:215], -v[212:213]
.LBB103_196:
	s_or_b64 exec, exec, s[2:3]
	ds_write2_b64 v248, v[212:213], v[214:215] offset1:1
.LBB103_197:
	s_or_b64 exec, exec, s[4:5]
	s_waitcnt lgkmcnt(0)
	s_barrier
	ds_read2_b64 v[200:203], v248 offset1:1
	s_waitcnt lgkmcnt(0)
	scratch_store_dwordx4 off, v[200:203], off offset:692 ; 16-byte Folded Spill
	scratch_load_dword v200, off, off       ; 4-byte Folded Reload
	s_waitcnt vmcnt(0)
	v_cmp_lt_u32_e32 vcc, 21, v200
	s_and_saveexec_b64 s[2:3], vcc
	s_cbranch_execz .LBB103_199
; %bb.198:
	scratch_load_dwordx4 v[200:203], off, off offset:692 ; 16-byte Folded Reload
	ds_read2_b64 v[210:213], v225 offset0:44 offset1:45
	s_waitcnt vmcnt(0)
	v_mul_f64 v[208:209], v[202:203], v[118:119]
	v_mul_f64 v[118:119], v[200:201], v[118:119]
	v_fmac_f64_e32 v[118:119], v[202:203], v[116:117]
	v_fma_f64 v[208:209], v[200:201], v[116:117], -v[208:209]
	s_waitcnt lgkmcnt(0)
	v_mul_f64 v[116:117], v[212:213], v[118:119]
	v_fma_f64 v[116:117], v[210:211], v[208:209], -v[116:117]
	v_mul_f64 v[210:211], v[210:211], v[118:119]
	v_fmac_f64_e32 v[210:211], v[212:213], v[208:209]
	v_add_f64 v[114:115], v[114:115], -v[210:211]
	ds_read2_b64 v[210:213], v225 offset0:46 offset1:47
	v_add_f64 v[112:113], v[112:113], -v[116:117]
	s_waitcnt lgkmcnt(0)
	v_mul_f64 v[116:117], v[212:213], v[118:119]
	v_fma_f64 v[116:117], v[210:211], v[208:209], -v[116:117]
	v_mul_f64 v[210:211], v[210:211], v[118:119]
	v_fmac_f64_e32 v[210:211], v[212:213], v[208:209]
	v_add_f64 v[110:111], v[110:111], -v[210:211]
	ds_read2_b64 v[210:213], v225 offset0:48 offset1:49
	v_add_f64 v[108:109], v[108:109], -v[116:117]
	;; [unrolled: 8-line block ×29, first 2 shown]
	s_waitcnt lgkmcnt(0)
	v_mul_f64 v[116:117], v[212:213], v[118:119]
	v_fma_f64 v[116:117], v[210:211], v[208:209], -v[116:117]
	v_mul_f64 v[210:211], v[210:211], v[118:119]
	v_fmac_f64_e32 v[210:211], v[212:213], v[208:209]
	v_add_f64 v[204:205], v[204:205], -v[116:117]
	v_add_f64 v[206:207], v[206:207], -v[210:211]
	v_mov_b64_e32 v[116:117], v[208:209]
.LBB103_199:
	s_or_b64 exec, exec, s[2:3]
	s_barrier
	scratch_load_dword v200, off, off       ; 4-byte Folded Reload
	s_waitcnt vmcnt(0)
	v_cmp_eq_u32_e32 vcc, 22, v200
	s_and_saveexec_b64 s[4:5], vcc
	s_cbranch_execz .LBB103_206
; %bb.200:
	ds_write2_b64 v248, v[112:113], v[114:115] offset1:1
	ds_write2_b64 v225, v[108:109], v[110:111] offset0:46 offset1:47
	ds_write2_b64 v225, v[104:105], v[106:107] offset0:48 offset1:49
	;; [unrolled: 1-line block ×29, first 2 shown]
	ds_read2_b64 v[208:211], v248 offset1:1
	s_waitcnt lgkmcnt(0)
	v_cmp_neq_f64_e32 vcc, 0, v[208:209]
	v_cmp_neq_f64_e64 s[2:3], 0, v[210:211]
	s_or_b64 s[2:3], vcc, s[2:3]
	s_and_b64 exec, exec, s[2:3]
	s_cbranch_execz .LBB103_206
; %bb.201:
	v_cmp_ngt_f64_e64 s[2:3], |v[208:209]|, |v[210:211]|
                                        ; implicit-def: $vgpr212_vgpr213
	s_and_saveexec_b64 s[10:11], s[2:3]
	s_xor_b64 s[2:3], exec, s[10:11]
                                        ; implicit-def: $vgpr214_vgpr215
	s_cbranch_execz .LBB103_203
; %bb.202:
	v_div_scale_f64 v[212:213], s[10:11], v[210:211], v[210:211], v[208:209]
	v_rcp_f64_e32 v[214:215], v[212:213]
	v_div_scale_f64 v[216:217], vcc, v[208:209], v[210:211], v[208:209]
	v_fma_f64 v[218:219], -v[212:213], v[214:215], 1.0
	v_fmac_f64_e32 v[214:215], v[214:215], v[218:219]
	v_fma_f64 v[218:219], -v[212:213], v[214:215], 1.0
	v_fmac_f64_e32 v[214:215], v[214:215], v[218:219]
	v_mul_f64 v[218:219], v[216:217], v[214:215]
	v_fma_f64 v[212:213], -v[212:213], v[218:219], v[216:217]
	v_div_fmas_f64 v[212:213], v[212:213], v[214:215], v[218:219]
	v_div_fixup_f64 v[212:213], v[212:213], v[210:211], v[208:209]
	v_fmac_f64_e32 v[210:211], v[208:209], v[212:213]
	v_div_scale_f64 v[208:209], s[10:11], v[210:211], v[210:211], 1.0
	v_rcp_f64_e32 v[214:215], v[208:209]
	s_nop 0
	v_fma_f64 v[216:217], -v[208:209], v[214:215], 1.0
	v_fmac_f64_e32 v[214:215], v[214:215], v[216:217]
	v_fma_f64 v[216:217], -v[208:209], v[214:215], 1.0
	v_fmac_f64_e32 v[214:215], v[214:215], v[216:217]
	v_div_scale_f64 v[216:217], vcc, 1.0, v[210:211], 1.0
	v_mul_f64 v[218:219], v[216:217], v[214:215]
	v_fma_f64 v[208:209], -v[208:209], v[218:219], v[216:217]
	s_nop 1
	v_div_fmas_f64 v[208:209], v[208:209], v[214:215], v[218:219]
	v_div_fixup_f64 v[214:215], v[208:209], v[210:211], 1.0
	v_mul_f64 v[212:213], v[212:213], v[214:215]
	v_xor_b32_e32 v215, 0x80000000, v215
                                        ; implicit-def: $vgpr208_vgpr209
.LBB103_203:
	s_andn2_saveexec_b64 s[2:3], s[2:3]
	s_cbranch_execz .LBB103_205
; %bb.204:
	v_div_scale_f64 v[212:213], s[10:11], v[208:209], v[208:209], v[210:211]
	v_rcp_f64_e32 v[214:215], v[212:213]
	v_div_scale_f64 v[216:217], vcc, v[210:211], v[208:209], v[210:211]
	v_fma_f64 v[218:219], -v[212:213], v[214:215], 1.0
	v_fmac_f64_e32 v[214:215], v[214:215], v[218:219]
	v_fma_f64 v[218:219], -v[212:213], v[214:215], 1.0
	v_fmac_f64_e32 v[214:215], v[214:215], v[218:219]
	v_mul_f64 v[218:219], v[216:217], v[214:215]
	v_fma_f64 v[212:213], -v[212:213], v[218:219], v[216:217]
	v_div_fmas_f64 v[212:213], v[212:213], v[214:215], v[218:219]
	v_div_fixup_f64 v[214:215], v[212:213], v[208:209], v[210:211]
	v_fmac_f64_e32 v[208:209], v[210:211], v[214:215]
	v_div_scale_f64 v[210:211], s[10:11], v[208:209], v[208:209], 1.0
	v_rcp_f64_e32 v[212:213], v[210:211]
	s_nop 0
	v_fma_f64 v[216:217], -v[210:211], v[212:213], 1.0
	v_fmac_f64_e32 v[212:213], v[212:213], v[216:217]
	v_fma_f64 v[216:217], -v[210:211], v[212:213], 1.0
	v_fmac_f64_e32 v[212:213], v[212:213], v[216:217]
	v_div_scale_f64 v[216:217], vcc, 1.0, v[208:209], 1.0
	v_mul_f64 v[218:219], v[216:217], v[212:213]
	v_fma_f64 v[210:211], -v[210:211], v[218:219], v[216:217]
	s_nop 1
	v_div_fmas_f64 v[210:211], v[210:211], v[212:213], v[218:219]
	v_div_fixup_f64 v[212:213], v[210:211], v[208:209], 1.0
	v_mul_f64 v[214:215], v[214:215], -v[212:213]
.LBB103_205:
	s_or_b64 exec, exec, s[2:3]
	ds_write2_b64 v248, v[212:213], v[214:215] offset1:1
.LBB103_206:
	s_or_b64 exec, exec, s[4:5]
	s_waitcnt lgkmcnt(0)
	s_barrier
	ds_read2_b64 v[200:203], v248 offset1:1
	s_waitcnt lgkmcnt(0)
	scratch_store_dwordx4 off, v[200:203], off offset:708 ; 16-byte Folded Spill
	scratch_load_dword v200, off, off       ; 4-byte Folded Reload
	s_waitcnt vmcnt(0)
	v_cmp_lt_u32_e32 vcc, 22, v200
	s_and_saveexec_b64 s[2:3], vcc
	s_cbranch_execz .LBB103_208
; %bb.207:
	scratch_load_dwordx4 v[200:203], off, off offset:708 ; 16-byte Folded Reload
	ds_read2_b64 v[210:213], v225 offset0:46 offset1:47
	s_waitcnt vmcnt(0)
	v_mul_f64 v[208:209], v[202:203], v[114:115]
	v_mul_f64 v[114:115], v[200:201], v[114:115]
	v_fmac_f64_e32 v[114:115], v[202:203], v[112:113]
	v_fma_f64 v[208:209], v[200:201], v[112:113], -v[208:209]
	s_waitcnt lgkmcnt(0)
	v_mul_f64 v[112:113], v[212:213], v[114:115]
	v_fma_f64 v[112:113], v[210:211], v[208:209], -v[112:113]
	v_mul_f64 v[210:211], v[210:211], v[114:115]
	v_fmac_f64_e32 v[210:211], v[212:213], v[208:209]
	v_add_f64 v[110:111], v[110:111], -v[210:211]
	ds_read2_b64 v[210:213], v225 offset0:48 offset1:49
	v_add_f64 v[108:109], v[108:109], -v[112:113]
	s_waitcnt lgkmcnt(0)
	v_mul_f64 v[112:113], v[212:213], v[114:115]
	v_fma_f64 v[112:113], v[210:211], v[208:209], -v[112:113]
	v_mul_f64 v[210:211], v[210:211], v[114:115]
	v_fmac_f64_e32 v[210:211], v[212:213], v[208:209]
	v_add_f64 v[106:107], v[106:107], -v[210:211]
	ds_read2_b64 v[210:213], v225 offset0:50 offset1:51
	v_add_f64 v[104:105], v[104:105], -v[112:113]
	;; [unrolled: 8-line block ×28, first 2 shown]
	s_waitcnt lgkmcnt(0)
	v_mul_f64 v[112:113], v[212:213], v[114:115]
	v_fma_f64 v[112:113], v[210:211], v[208:209], -v[112:113]
	v_mul_f64 v[210:211], v[210:211], v[114:115]
	v_fmac_f64_e32 v[210:211], v[212:213], v[208:209]
	v_add_f64 v[204:205], v[204:205], -v[112:113]
	v_add_f64 v[206:207], v[206:207], -v[210:211]
	v_mov_b64_e32 v[112:113], v[208:209]
.LBB103_208:
	s_or_b64 exec, exec, s[2:3]
	s_barrier
	scratch_load_dword v200, off, off       ; 4-byte Folded Reload
	s_waitcnt vmcnt(0)
	v_cmp_eq_u32_e32 vcc, 23, v200
	s_and_saveexec_b64 s[4:5], vcc
	s_cbranch_execz .LBB103_215
; %bb.209:
	ds_write2_b64 v248, v[108:109], v[110:111] offset1:1
	ds_write2_b64 v225, v[104:105], v[106:107] offset0:48 offset1:49
	ds_write2_b64 v225, v[100:101], v[102:103] offset0:50 offset1:51
	;; [unrolled: 1-line block ×28, first 2 shown]
	ds_read2_b64 v[208:211], v248 offset1:1
	s_waitcnt lgkmcnt(0)
	v_cmp_neq_f64_e32 vcc, 0, v[208:209]
	v_cmp_neq_f64_e64 s[2:3], 0, v[210:211]
	s_or_b64 s[2:3], vcc, s[2:3]
	s_and_b64 exec, exec, s[2:3]
	s_cbranch_execz .LBB103_215
; %bb.210:
	v_cmp_ngt_f64_e64 s[2:3], |v[208:209]|, |v[210:211]|
                                        ; implicit-def: $vgpr212_vgpr213
	s_and_saveexec_b64 s[10:11], s[2:3]
	s_xor_b64 s[2:3], exec, s[10:11]
                                        ; implicit-def: $vgpr214_vgpr215
	s_cbranch_execz .LBB103_212
; %bb.211:
	v_div_scale_f64 v[212:213], s[10:11], v[210:211], v[210:211], v[208:209]
	v_rcp_f64_e32 v[214:215], v[212:213]
	v_div_scale_f64 v[216:217], vcc, v[208:209], v[210:211], v[208:209]
	v_fma_f64 v[218:219], -v[212:213], v[214:215], 1.0
	v_fmac_f64_e32 v[214:215], v[214:215], v[218:219]
	v_fma_f64 v[218:219], -v[212:213], v[214:215], 1.0
	v_fmac_f64_e32 v[214:215], v[214:215], v[218:219]
	v_mul_f64 v[218:219], v[216:217], v[214:215]
	v_fma_f64 v[212:213], -v[212:213], v[218:219], v[216:217]
	v_div_fmas_f64 v[212:213], v[212:213], v[214:215], v[218:219]
	v_div_fixup_f64 v[212:213], v[212:213], v[210:211], v[208:209]
	v_fmac_f64_e32 v[210:211], v[208:209], v[212:213]
	v_div_scale_f64 v[208:209], s[10:11], v[210:211], v[210:211], 1.0
	v_rcp_f64_e32 v[214:215], v[208:209]
	s_nop 0
	v_fma_f64 v[216:217], -v[208:209], v[214:215], 1.0
	v_fmac_f64_e32 v[214:215], v[214:215], v[216:217]
	v_fma_f64 v[216:217], -v[208:209], v[214:215], 1.0
	v_fmac_f64_e32 v[214:215], v[214:215], v[216:217]
	v_div_scale_f64 v[216:217], vcc, 1.0, v[210:211], 1.0
	v_mul_f64 v[218:219], v[216:217], v[214:215]
	v_fma_f64 v[208:209], -v[208:209], v[218:219], v[216:217]
	s_nop 1
	v_div_fmas_f64 v[208:209], v[208:209], v[214:215], v[218:219]
	v_div_fixup_f64 v[214:215], v[208:209], v[210:211], 1.0
	v_mul_f64 v[212:213], v[212:213], v[214:215]
	v_xor_b32_e32 v215, 0x80000000, v215
                                        ; implicit-def: $vgpr208_vgpr209
.LBB103_212:
	s_andn2_saveexec_b64 s[2:3], s[2:3]
	s_cbranch_execz .LBB103_214
; %bb.213:
	v_div_scale_f64 v[212:213], s[10:11], v[208:209], v[208:209], v[210:211]
	v_rcp_f64_e32 v[214:215], v[212:213]
	v_div_scale_f64 v[216:217], vcc, v[210:211], v[208:209], v[210:211]
	v_fma_f64 v[218:219], -v[212:213], v[214:215], 1.0
	v_fmac_f64_e32 v[214:215], v[214:215], v[218:219]
	v_fma_f64 v[218:219], -v[212:213], v[214:215], 1.0
	v_fmac_f64_e32 v[214:215], v[214:215], v[218:219]
	v_mul_f64 v[218:219], v[216:217], v[214:215]
	v_fma_f64 v[212:213], -v[212:213], v[218:219], v[216:217]
	v_div_fmas_f64 v[212:213], v[212:213], v[214:215], v[218:219]
	v_div_fixup_f64 v[214:215], v[212:213], v[208:209], v[210:211]
	v_fmac_f64_e32 v[208:209], v[210:211], v[214:215]
	v_div_scale_f64 v[210:211], s[10:11], v[208:209], v[208:209], 1.0
	v_rcp_f64_e32 v[212:213], v[210:211]
	s_nop 0
	v_fma_f64 v[216:217], -v[210:211], v[212:213], 1.0
	v_fmac_f64_e32 v[212:213], v[212:213], v[216:217]
	v_fma_f64 v[216:217], -v[210:211], v[212:213], 1.0
	v_fmac_f64_e32 v[212:213], v[212:213], v[216:217]
	v_div_scale_f64 v[216:217], vcc, 1.0, v[208:209], 1.0
	v_mul_f64 v[218:219], v[216:217], v[212:213]
	v_fma_f64 v[210:211], -v[210:211], v[218:219], v[216:217]
	s_nop 1
	v_div_fmas_f64 v[210:211], v[210:211], v[212:213], v[218:219]
	v_div_fixup_f64 v[212:213], v[210:211], v[208:209], 1.0
	v_mul_f64 v[214:215], v[214:215], -v[212:213]
.LBB103_214:
	s_or_b64 exec, exec, s[2:3]
	ds_write2_b64 v248, v[212:213], v[214:215] offset1:1
.LBB103_215:
	s_or_b64 exec, exec, s[4:5]
	s_waitcnt lgkmcnt(0)
	s_barrier
	ds_read2_b64 v[200:203], v248 offset1:1
	s_waitcnt lgkmcnt(0)
	scratch_store_dwordx4 off, v[200:203], off offset:724 ; 16-byte Folded Spill
	scratch_load_dword v200, off, off       ; 4-byte Folded Reload
	s_waitcnt vmcnt(0)
	v_cmp_lt_u32_e32 vcc, 23, v200
	s_and_saveexec_b64 s[2:3], vcc
	s_cbranch_execz .LBB103_217
; %bb.216:
	scratch_load_dwordx4 v[200:203], off, off offset:724 ; 16-byte Folded Reload
	ds_read2_b64 v[210:213], v225 offset0:48 offset1:49
	s_waitcnt vmcnt(0)
	v_mul_f64 v[208:209], v[202:203], v[110:111]
	v_mul_f64 v[110:111], v[200:201], v[110:111]
	v_fmac_f64_e32 v[110:111], v[202:203], v[108:109]
	v_fma_f64 v[208:209], v[200:201], v[108:109], -v[208:209]
	s_waitcnt lgkmcnt(0)
	v_mul_f64 v[108:109], v[212:213], v[110:111]
	v_fma_f64 v[108:109], v[210:211], v[208:209], -v[108:109]
	v_mul_f64 v[210:211], v[210:211], v[110:111]
	v_fmac_f64_e32 v[210:211], v[212:213], v[208:209]
	v_add_f64 v[106:107], v[106:107], -v[210:211]
	ds_read2_b64 v[210:213], v225 offset0:50 offset1:51
	v_add_f64 v[104:105], v[104:105], -v[108:109]
	s_waitcnt lgkmcnt(0)
	v_mul_f64 v[108:109], v[212:213], v[110:111]
	v_fma_f64 v[108:109], v[210:211], v[208:209], -v[108:109]
	v_mul_f64 v[210:211], v[210:211], v[110:111]
	v_fmac_f64_e32 v[210:211], v[212:213], v[208:209]
	v_add_f64 v[102:103], v[102:103], -v[210:211]
	ds_read2_b64 v[210:213], v225 offset0:52 offset1:53
	v_add_f64 v[100:101], v[100:101], -v[108:109]
	;; [unrolled: 8-line block ×27, first 2 shown]
	s_waitcnt lgkmcnt(0)
	v_mul_f64 v[108:109], v[212:213], v[110:111]
	v_fma_f64 v[108:109], v[210:211], v[208:209], -v[108:109]
	v_mul_f64 v[210:211], v[210:211], v[110:111]
	v_fmac_f64_e32 v[210:211], v[212:213], v[208:209]
	v_add_f64 v[204:205], v[204:205], -v[108:109]
	v_add_f64 v[206:207], v[206:207], -v[210:211]
	v_mov_b64_e32 v[108:109], v[208:209]
.LBB103_217:
	s_or_b64 exec, exec, s[2:3]
	s_barrier
	scratch_load_dword v200, off, off       ; 4-byte Folded Reload
	s_waitcnt vmcnt(0)
	v_cmp_eq_u32_e32 vcc, 24, v200
	s_and_saveexec_b64 s[4:5], vcc
	s_cbranch_execz .LBB103_224
; %bb.218:
	ds_write2_b64 v248, v[104:105], v[106:107] offset1:1
	ds_write2_b64 v225, v[100:101], v[102:103] offset0:50 offset1:51
	ds_write2_b64 v225, v[96:97], v[98:99] offset0:52 offset1:53
	;; [unrolled: 1-line block ×27, first 2 shown]
	ds_read2_b64 v[208:211], v248 offset1:1
	s_waitcnt lgkmcnt(0)
	v_cmp_neq_f64_e32 vcc, 0, v[208:209]
	v_cmp_neq_f64_e64 s[2:3], 0, v[210:211]
	s_or_b64 s[2:3], vcc, s[2:3]
	s_and_b64 exec, exec, s[2:3]
	s_cbranch_execz .LBB103_224
; %bb.219:
	v_cmp_ngt_f64_e64 s[2:3], |v[208:209]|, |v[210:211]|
                                        ; implicit-def: $vgpr212_vgpr213
	s_and_saveexec_b64 s[10:11], s[2:3]
	s_xor_b64 s[2:3], exec, s[10:11]
                                        ; implicit-def: $vgpr214_vgpr215
	s_cbranch_execz .LBB103_221
; %bb.220:
	v_div_scale_f64 v[212:213], s[10:11], v[210:211], v[210:211], v[208:209]
	v_rcp_f64_e32 v[214:215], v[212:213]
	v_div_scale_f64 v[216:217], vcc, v[208:209], v[210:211], v[208:209]
	v_fma_f64 v[218:219], -v[212:213], v[214:215], 1.0
	v_fmac_f64_e32 v[214:215], v[214:215], v[218:219]
	v_fma_f64 v[218:219], -v[212:213], v[214:215], 1.0
	v_fmac_f64_e32 v[214:215], v[214:215], v[218:219]
	v_mul_f64 v[218:219], v[216:217], v[214:215]
	v_fma_f64 v[212:213], -v[212:213], v[218:219], v[216:217]
	v_div_fmas_f64 v[212:213], v[212:213], v[214:215], v[218:219]
	v_div_fixup_f64 v[212:213], v[212:213], v[210:211], v[208:209]
	v_fmac_f64_e32 v[210:211], v[208:209], v[212:213]
	v_div_scale_f64 v[208:209], s[10:11], v[210:211], v[210:211], 1.0
	v_rcp_f64_e32 v[214:215], v[208:209]
	s_nop 0
	v_fma_f64 v[216:217], -v[208:209], v[214:215], 1.0
	v_fmac_f64_e32 v[214:215], v[214:215], v[216:217]
	v_fma_f64 v[216:217], -v[208:209], v[214:215], 1.0
	v_fmac_f64_e32 v[214:215], v[214:215], v[216:217]
	v_div_scale_f64 v[216:217], vcc, 1.0, v[210:211], 1.0
	v_mul_f64 v[218:219], v[216:217], v[214:215]
	v_fma_f64 v[208:209], -v[208:209], v[218:219], v[216:217]
	s_nop 1
	v_div_fmas_f64 v[208:209], v[208:209], v[214:215], v[218:219]
	v_div_fixup_f64 v[214:215], v[208:209], v[210:211], 1.0
	v_mul_f64 v[212:213], v[212:213], v[214:215]
	v_xor_b32_e32 v215, 0x80000000, v215
                                        ; implicit-def: $vgpr208_vgpr209
.LBB103_221:
	s_andn2_saveexec_b64 s[2:3], s[2:3]
	s_cbranch_execz .LBB103_223
; %bb.222:
	v_div_scale_f64 v[212:213], s[10:11], v[208:209], v[208:209], v[210:211]
	v_rcp_f64_e32 v[214:215], v[212:213]
	v_div_scale_f64 v[216:217], vcc, v[210:211], v[208:209], v[210:211]
	v_fma_f64 v[218:219], -v[212:213], v[214:215], 1.0
	v_fmac_f64_e32 v[214:215], v[214:215], v[218:219]
	v_fma_f64 v[218:219], -v[212:213], v[214:215], 1.0
	v_fmac_f64_e32 v[214:215], v[214:215], v[218:219]
	v_mul_f64 v[218:219], v[216:217], v[214:215]
	v_fma_f64 v[212:213], -v[212:213], v[218:219], v[216:217]
	v_div_fmas_f64 v[212:213], v[212:213], v[214:215], v[218:219]
	v_div_fixup_f64 v[214:215], v[212:213], v[208:209], v[210:211]
	v_fmac_f64_e32 v[208:209], v[210:211], v[214:215]
	v_div_scale_f64 v[210:211], s[10:11], v[208:209], v[208:209], 1.0
	v_rcp_f64_e32 v[212:213], v[210:211]
	s_nop 0
	v_fma_f64 v[216:217], -v[210:211], v[212:213], 1.0
	v_fmac_f64_e32 v[212:213], v[212:213], v[216:217]
	v_fma_f64 v[216:217], -v[210:211], v[212:213], 1.0
	v_fmac_f64_e32 v[212:213], v[212:213], v[216:217]
	v_div_scale_f64 v[216:217], vcc, 1.0, v[208:209], 1.0
	v_mul_f64 v[218:219], v[216:217], v[212:213]
	v_fma_f64 v[210:211], -v[210:211], v[218:219], v[216:217]
	s_nop 1
	v_div_fmas_f64 v[210:211], v[210:211], v[212:213], v[218:219]
	v_div_fixup_f64 v[212:213], v[210:211], v[208:209], 1.0
	v_mul_f64 v[214:215], v[214:215], -v[212:213]
.LBB103_223:
	s_or_b64 exec, exec, s[2:3]
	ds_write2_b64 v248, v[212:213], v[214:215] offset1:1
.LBB103_224:
	s_or_b64 exec, exec, s[4:5]
	s_waitcnt lgkmcnt(0)
	s_barrier
	ds_read2_b64 v[200:203], v248 offset1:1
	s_waitcnt lgkmcnt(0)
	scratch_store_dwordx4 off, v[200:203], off offset:740 ; 16-byte Folded Spill
	scratch_load_dword v200, off, off       ; 4-byte Folded Reload
	s_waitcnt vmcnt(0)
	v_cmp_lt_u32_e32 vcc, 24, v200
	s_and_saveexec_b64 s[2:3], vcc
	s_cbranch_execz .LBB103_226
; %bb.225:
	scratch_load_dwordx4 v[200:203], off, off offset:740 ; 16-byte Folded Reload
	ds_read2_b64 v[210:213], v225 offset0:50 offset1:51
	s_waitcnt vmcnt(0)
	v_mul_f64 v[208:209], v[202:203], v[106:107]
	v_mul_f64 v[106:107], v[200:201], v[106:107]
	v_fmac_f64_e32 v[106:107], v[202:203], v[104:105]
	v_fma_f64 v[208:209], v[200:201], v[104:105], -v[208:209]
	s_waitcnt lgkmcnt(0)
	v_mul_f64 v[104:105], v[212:213], v[106:107]
	v_fma_f64 v[104:105], v[210:211], v[208:209], -v[104:105]
	v_mul_f64 v[210:211], v[210:211], v[106:107]
	v_fmac_f64_e32 v[210:211], v[212:213], v[208:209]
	v_add_f64 v[102:103], v[102:103], -v[210:211]
	ds_read2_b64 v[210:213], v225 offset0:52 offset1:53
	v_add_f64 v[100:101], v[100:101], -v[104:105]
	s_waitcnt lgkmcnt(0)
	v_mul_f64 v[104:105], v[212:213], v[106:107]
	v_fma_f64 v[104:105], v[210:211], v[208:209], -v[104:105]
	v_mul_f64 v[210:211], v[210:211], v[106:107]
	v_fmac_f64_e32 v[210:211], v[212:213], v[208:209]
	v_add_f64 v[98:99], v[98:99], -v[210:211]
	ds_read2_b64 v[210:213], v225 offset0:54 offset1:55
	v_add_f64 v[96:97], v[96:97], -v[104:105]
	;; [unrolled: 8-line block ×26, first 2 shown]
	s_waitcnt lgkmcnt(0)
	v_mul_f64 v[104:105], v[212:213], v[106:107]
	v_fma_f64 v[104:105], v[210:211], v[208:209], -v[104:105]
	v_mul_f64 v[210:211], v[210:211], v[106:107]
	v_fmac_f64_e32 v[210:211], v[212:213], v[208:209]
	v_add_f64 v[204:205], v[204:205], -v[104:105]
	v_add_f64 v[206:207], v[206:207], -v[210:211]
	v_mov_b64_e32 v[104:105], v[208:209]
.LBB103_226:
	s_or_b64 exec, exec, s[2:3]
	s_barrier
	scratch_load_dword v200, off, off       ; 4-byte Folded Reload
	s_waitcnt vmcnt(0)
	v_cmp_eq_u32_e32 vcc, 25, v200
	s_and_saveexec_b64 s[4:5], vcc
	s_cbranch_execz .LBB103_233
; %bb.227:
	ds_write2_b64 v248, v[100:101], v[102:103] offset1:1
	ds_write2_b64 v225, v[96:97], v[98:99] offset0:52 offset1:53
	ds_write2_b64 v225, v[92:93], v[94:95] offset0:54 offset1:55
	;; [unrolled: 1-line block ×26, first 2 shown]
	ds_read2_b64 v[208:211], v248 offset1:1
	s_waitcnt lgkmcnt(0)
	v_cmp_neq_f64_e32 vcc, 0, v[208:209]
	v_cmp_neq_f64_e64 s[2:3], 0, v[210:211]
	s_or_b64 s[2:3], vcc, s[2:3]
	s_and_b64 exec, exec, s[2:3]
	s_cbranch_execz .LBB103_233
; %bb.228:
	v_cmp_ngt_f64_e64 s[2:3], |v[208:209]|, |v[210:211]|
                                        ; implicit-def: $vgpr212_vgpr213
	s_and_saveexec_b64 s[10:11], s[2:3]
	s_xor_b64 s[2:3], exec, s[10:11]
                                        ; implicit-def: $vgpr214_vgpr215
	s_cbranch_execz .LBB103_230
; %bb.229:
	v_div_scale_f64 v[212:213], s[10:11], v[210:211], v[210:211], v[208:209]
	v_rcp_f64_e32 v[214:215], v[212:213]
	v_div_scale_f64 v[216:217], vcc, v[208:209], v[210:211], v[208:209]
	v_fma_f64 v[218:219], -v[212:213], v[214:215], 1.0
	v_fmac_f64_e32 v[214:215], v[214:215], v[218:219]
	v_fma_f64 v[218:219], -v[212:213], v[214:215], 1.0
	v_fmac_f64_e32 v[214:215], v[214:215], v[218:219]
	v_mul_f64 v[218:219], v[216:217], v[214:215]
	v_fma_f64 v[212:213], -v[212:213], v[218:219], v[216:217]
	v_div_fmas_f64 v[212:213], v[212:213], v[214:215], v[218:219]
	v_div_fixup_f64 v[212:213], v[212:213], v[210:211], v[208:209]
	v_fmac_f64_e32 v[210:211], v[208:209], v[212:213]
	v_div_scale_f64 v[208:209], s[10:11], v[210:211], v[210:211], 1.0
	v_rcp_f64_e32 v[214:215], v[208:209]
	s_nop 0
	v_fma_f64 v[216:217], -v[208:209], v[214:215], 1.0
	v_fmac_f64_e32 v[214:215], v[214:215], v[216:217]
	v_fma_f64 v[216:217], -v[208:209], v[214:215], 1.0
	v_fmac_f64_e32 v[214:215], v[214:215], v[216:217]
	v_div_scale_f64 v[216:217], vcc, 1.0, v[210:211], 1.0
	v_mul_f64 v[218:219], v[216:217], v[214:215]
	v_fma_f64 v[208:209], -v[208:209], v[218:219], v[216:217]
	s_nop 1
	v_div_fmas_f64 v[208:209], v[208:209], v[214:215], v[218:219]
	v_div_fixup_f64 v[214:215], v[208:209], v[210:211], 1.0
	v_mul_f64 v[212:213], v[212:213], v[214:215]
	v_xor_b32_e32 v215, 0x80000000, v215
                                        ; implicit-def: $vgpr208_vgpr209
.LBB103_230:
	s_andn2_saveexec_b64 s[2:3], s[2:3]
	s_cbranch_execz .LBB103_232
; %bb.231:
	v_div_scale_f64 v[212:213], s[10:11], v[208:209], v[208:209], v[210:211]
	v_rcp_f64_e32 v[214:215], v[212:213]
	v_div_scale_f64 v[216:217], vcc, v[210:211], v[208:209], v[210:211]
	v_fma_f64 v[218:219], -v[212:213], v[214:215], 1.0
	v_fmac_f64_e32 v[214:215], v[214:215], v[218:219]
	v_fma_f64 v[218:219], -v[212:213], v[214:215], 1.0
	v_fmac_f64_e32 v[214:215], v[214:215], v[218:219]
	v_mul_f64 v[218:219], v[216:217], v[214:215]
	v_fma_f64 v[212:213], -v[212:213], v[218:219], v[216:217]
	v_div_fmas_f64 v[212:213], v[212:213], v[214:215], v[218:219]
	v_div_fixup_f64 v[214:215], v[212:213], v[208:209], v[210:211]
	v_fmac_f64_e32 v[208:209], v[210:211], v[214:215]
	v_div_scale_f64 v[210:211], s[10:11], v[208:209], v[208:209], 1.0
	v_rcp_f64_e32 v[212:213], v[210:211]
	s_nop 0
	v_fma_f64 v[216:217], -v[210:211], v[212:213], 1.0
	v_fmac_f64_e32 v[212:213], v[212:213], v[216:217]
	v_fma_f64 v[216:217], -v[210:211], v[212:213], 1.0
	v_fmac_f64_e32 v[212:213], v[212:213], v[216:217]
	v_div_scale_f64 v[216:217], vcc, 1.0, v[208:209], 1.0
	v_mul_f64 v[218:219], v[216:217], v[212:213]
	v_fma_f64 v[210:211], -v[210:211], v[218:219], v[216:217]
	s_nop 1
	v_div_fmas_f64 v[210:211], v[210:211], v[212:213], v[218:219]
	v_div_fixup_f64 v[212:213], v[210:211], v[208:209], 1.0
	v_mul_f64 v[214:215], v[214:215], -v[212:213]
.LBB103_232:
	s_or_b64 exec, exec, s[2:3]
	ds_write2_b64 v248, v[212:213], v[214:215] offset1:1
.LBB103_233:
	s_or_b64 exec, exec, s[4:5]
	s_waitcnt lgkmcnt(0)
	s_barrier
	ds_read2_b64 v[200:203], v248 offset1:1
	s_waitcnt lgkmcnt(0)
	scratch_store_dwordx4 off, v[200:203], off offset:756 ; 16-byte Folded Spill
	scratch_load_dword v200, off, off       ; 4-byte Folded Reload
	s_waitcnt vmcnt(0)
	v_cmp_lt_u32_e32 vcc, 25, v200
	s_and_saveexec_b64 s[2:3], vcc
	s_cbranch_execz .LBB103_235
; %bb.234:
	scratch_load_dwordx4 v[200:203], off, off offset:756 ; 16-byte Folded Reload
	ds_read2_b64 v[210:213], v225 offset0:52 offset1:53
	s_waitcnt vmcnt(0)
	v_mul_f64 v[208:209], v[202:203], v[102:103]
	v_mul_f64 v[102:103], v[200:201], v[102:103]
	v_fmac_f64_e32 v[102:103], v[202:203], v[100:101]
	v_fma_f64 v[208:209], v[200:201], v[100:101], -v[208:209]
	s_waitcnt lgkmcnt(0)
	v_mul_f64 v[100:101], v[212:213], v[102:103]
	v_fma_f64 v[100:101], v[210:211], v[208:209], -v[100:101]
	v_mul_f64 v[210:211], v[210:211], v[102:103]
	v_fmac_f64_e32 v[210:211], v[212:213], v[208:209]
	v_add_f64 v[98:99], v[98:99], -v[210:211]
	ds_read2_b64 v[210:213], v225 offset0:54 offset1:55
	v_add_f64 v[96:97], v[96:97], -v[100:101]
	s_waitcnt lgkmcnt(0)
	v_mul_f64 v[100:101], v[212:213], v[102:103]
	v_fma_f64 v[100:101], v[210:211], v[208:209], -v[100:101]
	v_mul_f64 v[210:211], v[210:211], v[102:103]
	v_fmac_f64_e32 v[210:211], v[212:213], v[208:209]
	v_add_f64 v[94:95], v[94:95], -v[210:211]
	ds_read2_b64 v[210:213], v225 offset0:56 offset1:57
	v_add_f64 v[92:93], v[92:93], -v[100:101]
	;; [unrolled: 8-line block ×25, first 2 shown]
	s_waitcnt lgkmcnt(0)
	v_mul_f64 v[100:101], v[212:213], v[102:103]
	v_fma_f64 v[100:101], v[210:211], v[208:209], -v[100:101]
	v_mul_f64 v[210:211], v[210:211], v[102:103]
	v_fmac_f64_e32 v[210:211], v[212:213], v[208:209]
	v_add_f64 v[204:205], v[204:205], -v[100:101]
	v_add_f64 v[206:207], v[206:207], -v[210:211]
	v_mov_b64_e32 v[100:101], v[208:209]
.LBB103_235:
	s_or_b64 exec, exec, s[2:3]
	s_barrier
	scratch_load_dword v200, off, off       ; 4-byte Folded Reload
	s_waitcnt vmcnt(0)
	v_cmp_eq_u32_e32 vcc, 26, v200
	s_and_saveexec_b64 s[4:5], vcc
	s_cbranch_execz .LBB103_242
; %bb.236:
	ds_write2_b64 v248, v[96:97], v[98:99] offset1:1
	ds_write2_b64 v225, v[92:93], v[94:95] offset0:54 offset1:55
	ds_write2_b64 v225, v[88:89], v[90:91] offset0:56 offset1:57
	;; [unrolled: 1-line block ×25, first 2 shown]
	ds_read2_b64 v[208:211], v248 offset1:1
	s_waitcnt lgkmcnt(0)
	v_cmp_neq_f64_e32 vcc, 0, v[208:209]
	v_cmp_neq_f64_e64 s[2:3], 0, v[210:211]
	s_or_b64 s[2:3], vcc, s[2:3]
	s_and_b64 exec, exec, s[2:3]
	s_cbranch_execz .LBB103_242
; %bb.237:
	v_cmp_ngt_f64_e64 s[2:3], |v[208:209]|, |v[210:211]|
                                        ; implicit-def: $vgpr212_vgpr213
	s_and_saveexec_b64 s[10:11], s[2:3]
	s_xor_b64 s[2:3], exec, s[10:11]
                                        ; implicit-def: $vgpr214_vgpr215
	s_cbranch_execz .LBB103_239
; %bb.238:
	v_div_scale_f64 v[212:213], s[10:11], v[210:211], v[210:211], v[208:209]
	v_rcp_f64_e32 v[214:215], v[212:213]
	v_div_scale_f64 v[216:217], vcc, v[208:209], v[210:211], v[208:209]
	v_fma_f64 v[218:219], -v[212:213], v[214:215], 1.0
	v_fmac_f64_e32 v[214:215], v[214:215], v[218:219]
	v_fma_f64 v[218:219], -v[212:213], v[214:215], 1.0
	v_fmac_f64_e32 v[214:215], v[214:215], v[218:219]
	v_mul_f64 v[218:219], v[216:217], v[214:215]
	v_fma_f64 v[212:213], -v[212:213], v[218:219], v[216:217]
	v_div_fmas_f64 v[212:213], v[212:213], v[214:215], v[218:219]
	v_div_fixup_f64 v[212:213], v[212:213], v[210:211], v[208:209]
	v_fmac_f64_e32 v[210:211], v[208:209], v[212:213]
	v_div_scale_f64 v[208:209], s[10:11], v[210:211], v[210:211], 1.0
	v_rcp_f64_e32 v[214:215], v[208:209]
	s_nop 0
	v_fma_f64 v[216:217], -v[208:209], v[214:215], 1.0
	v_fmac_f64_e32 v[214:215], v[214:215], v[216:217]
	v_fma_f64 v[216:217], -v[208:209], v[214:215], 1.0
	v_fmac_f64_e32 v[214:215], v[214:215], v[216:217]
	v_div_scale_f64 v[216:217], vcc, 1.0, v[210:211], 1.0
	v_mul_f64 v[218:219], v[216:217], v[214:215]
	v_fma_f64 v[208:209], -v[208:209], v[218:219], v[216:217]
	s_nop 1
	v_div_fmas_f64 v[208:209], v[208:209], v[214:215], v[218:219]
	v_div_fixup_f64 v[214:215], v[208:209], v[210:211], 1.0
	v_mul_f64 v[212:213], v[212:213], v[214:215]
	v_xor_b32_e32 v215, 0x80000000, v215
                                        ; implicit-def: $vgpr208_vgpr209
.LBB103_239:
	s_andn2_saveexec_b64 s[2:3], s[2:3]
	s_cbranch_execz .LBB103_241
; %bb.240:
	v_div_scale_f64 v[212:213], s[10:11], v[208:209], v[208:209], v[210:211]
	v_rcp_f64_e32 v[214:215], v[212:213]
	v_div_scale_f64 v[216:217], vcc, v[210:211], v[208:209], v[210:211]
	v_fma_f64 v[218:219], -v[212:213], v[214:215], 1.0
	v_fmac_f64_e32 v[214:215], v[214:215], v[218:219]
	v_fma_f64 v[218:219], -v[212:213], v[214:215], 1.0
	v_fmac_f64_e32 v[214:215], v[214:215], v[218:219]
	v_mul_f64 v[218:219], v[216:217], v[214:215]
	v_fma_f64 v[212:213], -v[212:213], v[218:219], v[216:217]
	v_div_fmas_f64 v[212:213], v[212:213], v[214:215], v[218:219]
	v_div_fixup_f64 v[214:215], v[212:213], v[208:209], v[210:211]
	v_fmac_f64_e32 v[208:209], v[210:211], v[214:215]
	v_div_scale_f64 v[210:211], s[10:11], v[208:209], v[208:209], 1.0
	v_rcp_f64_e32 v[212:213], v[210:211]
	s_nop 0
	v_fma_f64 v[216:217], -v[210:211], v[212:213], 1.0
	v_fmac_f64_e32 v[212:213], v[212:213], v[216:217]
	v_fma_f64 v[216:217], -v[210:211], v[212:213], 1.0
	v_fmac_f64_e32 v[212:213], v[212:213], v[216:217]
	v_div_scale_f64 v[216:217], vcc, 1.0, v[208:209], 1.0
	v_mul_f64 v[218:219], v[216:217], v[212:213]
	v_fma_f64 v[210:211], -v[210:211], v[218:219], v[216:217]
	s_nop 1
	v_div_fmas_f64 v[210:211], v[210:211], v[212:213], v[218:219]
	v_div_fixup_f64 v[212:213], v[210:211], v[208:209], 1.0
	v_mul_f64 v[214:215], v[214:215], -v[212:213]
.LBB103_241:
	s_or_b64 exec, exec, s[2:3]
	ds_write2_b64 v248, v[212:213], v[214:215] offset1:1
.LBB103_242:
	s_or_b64 exec, exec, s[4:5]
	s_waitcnt lgkmcnt(0)
	s_barrier
	ds_read2_b64 v[200:203], v248 offset1:1
	s_waitcnt lgkmcnt(0)
	scratch_store_dwordx4 off, v[200:203], off offset:772 ; 16-byte Folded Spill
	scratch_load_dword v200, off, off       ; 4-byte Folded Reload
	s_waitcnt vmcnt(0)
	v_cmp_lt_u32_e32 vcc, 26, v200
	s_and_saveexec_b64 s[2:3], vcc
	s_cbranch_execz .LBB103_244
; %bb.243:
	scratch_load_dwordx4 v[200:203], off, off offset:772 ; 16-byte Folded Reload
	ds_read2_b64 v[210:213], v225 offset0:54 offset1:55
	s_waitcnt vmcnt(0)
	v_mul_f64 v[208:209], v[202:203], v[98:99]
	v_mul_f64 v[98:99], v[200:201], v[98:99]
	v_fmac_f64_e32 v[98:99], v[202:203], v[96:97]
	v_fma_f64 v[208:209], v[200:201], v[96:97], -v[208:209]
	s_waitcnt lgkmcnt(0)
	v_mul_f64 v[96:97], v[212:213], v[98:99]
	v_fma_f64 v[96:97], v[210:211], v[208:209], -v[96:97]
	v_mul_f64 v[210:211], v[210:211], v[98:99]
	v_fmac_f64_e32 v[210:211], v[212:213], v[208:209]
	v_add_f64 v[94:95], v[94:95], -v[210:211]
	ds_read2_b64 v[210:213], v225 offset0:56 offset1:57
	v_add_f64 v[92:93], v[92:93], -v[96:97]
	s_waitcnt lgkmcnt(0)
	v_mul_f64 v[96:97], v[212:213], v[98:99]
	v_fma_f64 v[96:97], v[210:211], v[208:209], -v[96:97]
	v_mul_f64 v[210:211], v[210:211], v[98:99]
	v_fmac_f64_e32 v[210:211], v[212:213], v[208:209]
	v_add_f64 v[90:91], v[90:91], -v[210:211]
	ds_read2_b64 v[210:213], v225 offset0:58 offset1:59
	v_add_f64 v[88:89], v[88:89], -v[96:97]
	;; [unrolled: 8-line block ×24, first 2 shown]
	s_waitcnt lgkmcnt(0)
	v_mul_f64 v[96:97], v[212:213], v[98:99]
	v_fma_f64 v[96:97], v[210:211], v[208:209], -v[96:97]
	v_mul_f64 v[210:211], v[210:211], v[98:99]
	v_fmac_f64_e32 v[210:211], v[212:213], v[208:209]
	v_add_f64 v[204:205], v[204:205], -v[96:97]
	v_add_f64 v[206:207], v[206:207], -v[210:211]
	v_mov_b64_e32 v[96:97], v[208:209]
.LBB103_244:
	s_or_b64 exec, exec, s[2:3]
	s_barrier
	scratch_load_dword v200, off, off       ; 4-byte Folded Reload
	s_waitcnt vmcnt(0)
	v_cmp_eq_u32_e32 vcc, 27, v200
	s_and_saveexec_b64 s[4:5], vcc
	s_cbranch_execz .LBB103_251
; %bb.245:
	ds_write2_b64 v248, v[92:93], v[94:95] offset1:1
	ds_write2_b64 v225, v[88:89], v[90:91] offset0:56 offset1:57
	ds_write2_b64 v225, v[84:85], v[86:87] offset0:58 offset1:59
	ds_write2_b64 v225, v[80:81], v[82:83] offset0:60 offset1:61
	ds_write2_b64 v225, v[76:77], v[78:79] offset0:62 offset1:63
	ds_write2_b64 v225, v[72:73], v[74:75] offset0:64 offset1:65
	ds_write2_b64 v225, v[68:69], v[70:71] offset0:66 offset1:67
	ds_write2_b64 v225, v[64:65], v[66:67] offset0:68 offset1:69
	ds_write2_b64 v225, v[60:61], v[62:63] offset0:70 offset1:71
	ds_write2_b64 v225, v[56:57], v[58:59] offset0:72 offset1:73
	ds_write2_b64 v225, v[52:53], v[54:55] offset0:74 offset1:75
	ds_write2_b64 v225, v[48:49], v[50:51] offset0:76 offset1:77
	ds_write2_b64 v225, v[44:45], v[46:47] offset0:78 offset1:79
	ds_write2_b64 v225, v[40:41], v[42:43] offset0:80 offset1:81
	ds_write2_b64 v225, v[36:37], v[38:39] offset0:82 offset1:83
	ds_write2_b64 v225, v[32:33], v[34:35] offset0:84 offset1:85
	ds_write2_b64 v225, v[28:29], v[30:31] offset0:86 offset1:87
	ds_write2_b64 v225, v[24:25], v[26:27] offset0:88 offset1:89
	ds_write2_b64 v225, v[20:21], v[22:23] offset0:90 offset1:91
	ds_write2_b64 v225, v[16:17], v[18:19] offset0:92 offset1:93
	ds_write2_b64 v225, v[12:13], v[14:15] offset0:94 offset1:95
	ds_write2_b64 v225, v[8:9], v[10:11] offset0:96 offset1:97
	ds_write2_b64 v225, v[4:5], v[6:7] offset0:98 offset1:99
	ds_write2_b64 v225, v[0:1], v[2:3] offset0:100 offset1:101
	ds_write2_b64 v225, v[204:205], v[206:207] offset0:102 offset1:103
	ds_read2_b64 v[208:211], v248 offset1:1
	s_waitcnt lgkmcnt(0)
	v_cmp_neq_f64_e32 vcc, 0, v[208:209]
	v_cmp_neq_f64_e64 s[2:3], 0, v[210:211]
	s_or_b64 s[2:3], vcc, s[2:3]
	s_and_b64 exec, exec, s[2:3]
	s_cbranch_execz .LBB103_251
; %bb.246:
	v_cmp_ngt_f64_e64 s[2:3], |v[208:209]|, |v[210:211]|
                                        ; implicit-def: $vgpr212_vgpr213
	s_and_saveexec_b64 s[10:11], s[2:3]
	s_xor_b64 s[2:3], exec, s[10:11]
                                        ; implicit-def: $vgpr214_vgpr215
	s_cbranch_execz .LBB103_248
; %bb.247:
	v_div_scale_f64 v[212:213], s[10:11], v[210:211], v[210:211], v[208:209]
	v_rcp_f64_e32 v[214:215], v[212:213]
	v_div_scale_f64 v[216:217], vcc, v[208:209], v[210:211], v[208:209]
	v_fma_f64 v[218:219], -v[212:213], v[214:215], 1.0
	v_fmac_f64_e32 v[214:215], v[214:215], v[218:219]
	v_fma_f64 v[218:219], -v[212:213], v[214:215], 1.0
	v_fmac_f64_e32 v[214:215], v[214:215], v[218:219]
	v_mul_f64 v[218:219], v[216:217], v[214:215]
	v_fma_f64 v[212:213], -v[212:213], v[218:219], v[216:217]
	v_div_fmas_f64 v[212:213], v[212:213], v[214:215], v[218:219]
	v_div_fixup_f64 v[212:213], v[212:213], v[210:211], v[208:209]
	v_fmac_f64_e32 v[210:211], v[208:209], v[212:213]
	v_div_scale_f64 v[208:209], s[10:11], v[210:211], v[210:211], 1.0
	v_rcp_f64_e32 v[214:215], v[208:209]
	s_nop 0
	v_fma_f64 v[216:217], -v[208:209], v[214:215], 1.0
	v_fmac_f64_e32 v[214:215], v[214:215], v[216:217]
	v_fma_f64 v[216:217], -v[208:209], v[214:215], 1.0
	v_fmac_f64_e32 v[214:215], v[214:215], v[216:217]
	v_div_scale_f64 v[216:217], vcc, 1.0, v[210:211], 1.0
	v_mul_f64 v[218:219], v[216:217], v[214:215]
	v_fma_f64 v[208:209], -v[208:209], v[218:219], v[216:217]
	s_nop 1
	v_div_fmas_f64 v[208:209], v[208:209], v[214:215], v[218:219]
	v_div_fixup_f64 v[214:215], v[208:209], v[210:211], 1.0
	v_mul_f64 v[212:213], v[212:213], v[214:215]
	v_xor_b32_e32 v215, 0x80000000, v215
                                        ; implicit-def: $vgpr208_vgpr209
.LBB103_248:
	s_andn2_saveexec_b64 s[2:3], s[2:3]
	s_cbranch_execz .LBB103_250
; %bb.249:
	v_div_scale_f64 v[212:213], s[10:11], v[208:209], v[208:209], v[210:211]
	v_rcp_f64_e32 v[214:215], v[212:213]
	v_div_scale_f64 v[216:217], vcc, v[210:211], v[208:209], v[210:211]
	v_fma_f64 v[218:219], -v[212:213], v[214:215], 1.0
	v_fmac_f64_e32 v[214:215], v[214:215], v[218:219]
	v_fma_f64 v[218:219], -v[212:213], v[214:215], 1.0
	v_fmac_f64_e32 v[214:215], v[214:215], v[218:219]
	v_mul_f64 v[218:219], v[216:217], v[214:215]
	v_fma_f64 v[212:213], -v[212:213], v[218:219], v[216:217]
	v_div_fmas_f64 v[212:213], v[212:213], v[214:215], v[218:219]
	v_div_fixup_f64 v[214:215], v[212:213], v[208:209], v[210:211]
	v_fmac_f64_e32 v[208:209], v[210:211], v[214:215]
	v_div_scale_f64 v[210:211], s[10:11], v[208:209], v[208:209], 1.0
	v_rcp_f64_e32 v[212:213], v[210:211]
	s_nop 0
	v_fma_f64 v[216:217], -v[210:211], v[212:213], 1.0
	v_fmac_f64_e32 v[212:213], v[212:213], v[216:217]
	v_fma_f64 v[216:217], -v[210:211], v[212:213], 1.0
	v_fmac_f64_e32 v[212:213], v[212:213], v[216:217]
	v_div_scale_f64 v[216:217], vcc, 1.0, v[208:209], 1.0
	v_mul_f64 v[218:219], v[216:217], v[212:213]
	v_fma_f64 v[210:211], -v[210:211], v[218:219], v[216:217]
	s_nop 1
	v_div_fmas_f64 v[210:211], v[210:211], v[212:213], v[218:219]
	v_div_fixup_f64 v[212:213], v[210:211], v[208:209], 1.0
	v_mul_f64 v[214:215], v[214:215], -v[212:213]
.LBB103_250:
	s_or_b64 exec, exec, s[2:3]
	ds_write2_b64 v248, v[212:213], v[214:215] offset1:1
.LBB103_251:
	s_or_b64 exec, exec, s[4:5]
	s_waitcnt lgkmcnt(0)
	s_barrier
	ds_read2_b64 v[200:203], v248 offset1:1
	s_waitcnt lgkmcnt(0)
	scratch_store_dwordx4 off, v[200:203], off offset:788 ; 16-byte Folded Spill
	scratch_load_dword v200, off, off       ; 4-byte Folded Reload
	s_waitcnt vmcnt(0)
	v_cmp_lt_u32_e32 vcc, 27, v200
	s_and_saveexec_b64 s[2:3], vcc
	s_cbranch_execz .LBB103_253
; %bb.252:
	scratch_load_dwordx4 v[200:203], off, off offset:788 ; 16-byte Folded Reload
	ds_read2_b64 v[210:213], v225 offset0:56 offset1:57
	s_waitcnt vmcnt(0)
	v_mul_f64 v[208:209], v[202:203], v[94:95]
	v_mul_f64 v[94:95], v[200:201], v[94:95]
	v_fmac_f64_e32 v[94:95], v[202:203], v[92:93]
	v_fma_f64 v[208:209], v[200:201], v[92:93], -v[208:209]
	s_waitcnt lgkmcnt(0)
	v_mul_f64 v[92:93], v[212:213], v[94:95]
	v_fma_f64 v[92:93], v[210:211], v[208:209], -v[92:93]
	v_mul_f64 v[210:211], v[210:211], v[94:95]
	v_fmac_f64_e32 v[210:211], v[212:213], v[208:209]
	v_add_f64 v[90:91], v[90:91], -v[210:211]
	ds_read2_b64 v[210:213], v225 offset0:58 offset1:59
	v_add_f64 v[88:89], v[88:89], -v[92:93]
	s_waitcnt lgkmcnt(0)
	v_mul_f64 v[92:93], v[212:213], v[94:95]
	v_fma_f64 v[92:93], v[210:211], v[208:209], -v[92:93]
	v_mul_f64 v[210:211], v[210:211], v[94:95]
	v_fmac_f64_e32 v[210:211], v[212:213], v[208:209]
	v_add_f64 v[86:87], v[86:87], -v[210:211]
	ds_read2_b64 v[210:213], v225 offset0:60 offset1:61
	v_add_f64 v[84:85], v[84:85], -v[92:93]
	;; [unrolled: 8-line block ×23, first 2 shown]
	s_waitcnt lgkmcnt(0)
	v_mul_f64 v[92:93], v[212:213], v[94:95]
	v_fma_f64 v[92:93], v[210:211], v[208:209], -v[92:93]
	v_mul_f64 v[210:211], v[210:211], v[94:95]
	v_fmac_f64_e32 v[210:211], v[212:213], v[208:209]
	v_add_f64 v[204:205], v[204:205], -v[92:93]
	v_add_f64 v[206:207], v[206:207], -v[210:211]
	v_mov_b64_e32 v[92:93], v[208:209]
.LBB103_253:
	s_or_b64 exec, exec, s[2:3]
	s_barrier
	scratch_load_dword v200, off, off       ; 4-byte Folded Reload
	s_waitcnt vmcnt(0)
	v_cmp_eq_u32_e32 vcc, 28, v200
	s_and_saveexec_b64 s[4:5], vcc
	s_cbranch_execz .LBB103_260
; %bb.254:
	ds_write2_b64 v248, v[88:89], v[90:91] offset1:1
	ds_write2_b64 v225, v[84:85], v[86:87] offset0:58 offset1:59
	ds_write2_b64 v225, v[80:81], v[82:83] offset0:60 offset1:61
	;; [unrolled: 1-line block ×23, first 2 shown]
	ds_read2_b64 v[208:211], v248 offset1:1
	s_waitcnt lgkmcnt(0)
	v_cmp_neq_f64_e32 vcc, 0, v[208:209]
	v_cmp_neq_f64_e64 s[2:3], 0, v[210:211]
	s_or_b64 s[2:3], vcc, s[2:3]
	s_and_b64 exec, exec, s[2:3]
	s_cbranch_execz .LBB103_260
; %bb.255:
	v_cmp_ngt_f64_e64 s[2:3], |v[208:209]|, |v[210:211]|
                                        ; implicit-def: $vgpr212_vgpr213
	s_and_saveexec_b64 s[10:11], s[2:3]
	s_xor_b64 s[2:3], exec, s[10:11]
                                        ; implicit-def: $vgpr214_vgpr215
	s_cbranch_execz .LBB103_257
; %bb.256:
	v_div_scale_f64 v[212:213], s[10:11], v[210:211], v[210:211], v[208:209]
	v_rcp_f64_e32 v[214:215], v[212:213]
	v_div_scale_f64 v[216:217], vcc, v[208:209], v[210:211], v[208:209]
	v_fma_f64 v[218:219], -v[212:213], v[214:215], 1.0
	v_fmac_f64_e32 v[214:215], v[214:215], v[218:219]
	v_fma_f64 v[218:219], -v[212:213], v[214:215], 1.0
	v_fmac_f64_e32 v[214:215], v[214:215], v[218:219]
	v_mul_f64 v[218:219], v[216:217], v[214:215]
	v_fma_f64 v[212:213], -v[212:213], v[218:219], v[216:217]
	v_div_fmas_f64 v[212:213], v[212:213], v[214:215], v[218:219]
	v_div_fixup_f64 v[212:213], v[212:213], v[210:211], v[208:209]
	v_fmac_f64_e32 v[210:211], v[208:209], v[212:213]
	v_div_scale_f64 v[208:209], s[10:11], v[210:211], v[210:211], 1.0
	v_rcp_f64_e32 v[214:215], v[208:209]
	s_nop 0
	v_fma_f64 v[216:217], -v[208:209], v[214:215], 1.0
	v_fmac_f64_e32 v[214:215], v[214:215], v[216:217]
	v_fma_f64 v[216:217], -v[208:209], v[214:215], 1.0
	v_fmac_f64_e32 v[214:215], v[214:215], v[216:217]
	v_div_scale_f64 v[216:217], vcc, 1.0, v[210:211], 1.0
	v_mul_f64 v[218:219], v[216:217], v[214:215]
	v_fma_f64 v[208:209], -v[208:209], v[218:219], v[216:217]
	s_nop 1
	v_div_fmas_f64 v[208:209], v[208:209], v[214:215], v[218:219]
	v_div_fixup_f64 v[214:215], v[208:209], v[210:211], 1.0
	v_mul_f64 v[212:213], v[212:213], v[214:215]
	v_xor_b32_e32 v215, 0x80000000, v215
                                        ; implicit-def: $vgpr208_vgpr209
.LBB103_257:
	s_andn2_saveexec_b64 s[2:3], s[2:3]
	s_cbranch_execz .LBB103_259
; %bb.258:
	v_div_scale_f64 v[212:213], s[10:11], v[208:209], v[208:209], v[210:211]
	v_rcp_f64_e32 v[214:215], v[212:213]
	v_div_scale_f64 v[216:217], vcc, v[210:211], v[208:209], v[210:211]
	v_fma_f64 v[218:219], -v[212:213], v[214:215], 1.0
	v_fmac_f64_e32 v[214:215], v[214:215], v[218:219]
	v_fma_f64 v[218:219], -v[212:213], v[214:215], 1.0
	v_fmac_f64_e32 v[214:215], v[214:215], v[218:219]
	v_mul_f64 v[218:219], v[216:217], v[214:215]
	v_fma_f64 v[212:213], -v[212:213], v[218:219], v[216:217]
	v_div_fmas_f64 v[212:213], v[212:213], v[214:215], v[218:219]
	v_div_fixup_f64 v[214:215], v[212:213], v[208:209], v[210:211]
	v_fmac_f64_e32 v[208:209], v[210:211], v[214:215]
	v_div_scale_f64 v[210:211], s[10:11], v[208:209], v[208:209], 1.0
	v_rcp_f64_e32 v[212:213], v[210:211]
	s_nop 0
	v_fma_f64 v[216:217], -v[210:211], v[212:213], 1.0
	v_fmac_f64_e32 v[212:213], v[212:213], v[216:217]
	v_fma_f64 v[216:217], -v[210:211], v[212:213], 1.0
	v_fmac_f64_e32 v[212:213], v[212:213], v[216:217]
	v_div_scale_f64 v[216:217], vcc, 1.0, v[208:209], 1.0
	v_mul_f64 v[218:219], v[216:217], v[212:213]
	v_fma_f64 v[210:211], -v[210:211], v[218:219], v[216:217]
	s_nop 1
	v_div_fmas_f64 v[210:211], v[210:211], v[212:213], v[218:219]
	v_div_fixup_f64 v[212:213], v[210:211], v[208:209], 1.0
	v_mul_f64 v[214:215], v[214:215], -v[212:213]
.LBB103_259:
	s_or_b64 exec, exec, s[2:3]
	ds_write2_b64 v248, v[212:213], v[214:215] offset1:1
.LBB103_260:
	s_or_b64 exec, exec, s[4:5]
	s_waitcnt lgkmcnt(0)
	s_barrier
	ds_read2_b64 v[200:203], v248 offset1:1
	s_waitcnt lgkmcnt(0)
	scratch_store_dwordx4 off, v[200:203], off offset:804 ; 16-byte Folded Spill
	scratch_load_dword v200, off, off       ; 4-byte Folded Reload
	s_waitcnt vmcnt(0)
	v_cmp_lt_u32_e32 vcc, 28, v200
	s_and_saveexec_b64 s[2:3], vcc
	s_cbranch_execz .LBB103_262
; %bb.261:
	scratch_load_dwordx4 v[200:203], off, off offset:804 ; 16-byte Folded Reload
	ds_read2_b64 v[210:213], v225 offset0:58 offset1:59
	s_waitcnt vmcnt(0)
	v_mul_f64 v[208:209], v[202:203], v[90:91]
	v_mul_f64 v[90:91], v[200:201], v[90:91]
	v_fmac_f64_e32 v[90:91], v[202:203], v[88:89]
	v_fma_f64 v[208:209], v[200:201], v[88:89], -v[208:209]
	s_waitcnt lgkmcnt(0)
	v_mul_f64 v[88:89], v[212:213], v[90:91]
	v_fma_f64 v[88:89], v[210:211], v[208:209], -v[88:89]
	v_mul_f64 v[210:211], v[210:211], v[90:91]
	v_fmac_f64_e32 v[210:211], v[212:213], v[208:209]
	v_add_f64 v[86:87], v[86:87], -v[210:211]
	ds_read2_b64 v[210:213], v225 offset0:60 offset1:61
	v_add_f64 v[84:85], v[84:85], -v[88:89]
	s_waitcnt lgkmcnt(0)
	v_mul_f64 v[88:89], v[212:213], v[90:91]
	v_fma_f64 v[88:89], v[210:211], v[208:209], -v[88:89]
	v_mul_f64 v[210:211], v[210:211], v[90:91]
	v_fmac_f64_e32 v[210:211], v[212:213], v[208:209]
	v_add_f64 v[82:83], v[82:83], -v[210:211]
	ds_read2_b64 v[210:213], v225 offset0:62 offset1:63
	v_add_f64 v[80:81], v[80:81], -v[88:89]
	;; [unrolled: 8-line block ×22, first 2 shown]
	s_waitcnt lgkmcnt(0)
	v_mul_f64 v[88:89], v[212:213], v[90:91]
	v_fma_f64 v[88:89], v[210:211], v[208:209], -v[88:89]
	v_mul_f64 v[210:211], v[210:211], v[90:91]
	v_fmac_f64_e32 v[210:211], v[212:213], v[208:209]
	v_add_f64 v[204:205], v[204:205], -v[88:89]
	v_add_f64 v[206:207], v[206:207], -v[210:211]
	v_mov_b64_e32 v[88:89], v[208:209]
.LBB103_262:
	s_or_b64 exec, exec, s[2:3]
	s_barrier
	scratch_load_dword v200, off, off       ; 4-byte Folded Reload
	s_waitcnt vmcnt(0)
	v_cmp_eq_u32_e32 vcc, 29, v200
	s_and_saveexec_b64 s[4:5], vcc
	s_cbranch_execz .LBB103_269
; %bb.263:
	ds_write2_b64 v248, v[84:85], v[86:87] offset1:1
	ds_write2_b64 v225, v[80:81], v[82:83] offset0:60 offset1:61
	ds_write2_b64 v225, v[76:77], v[78:79] offset0:62 offset1:63
	;; [unrolled: 1-line block ×22, first 2 shown]
	ds_read2_b64 v[208:211], v248 offset1:1
	s_waitcnt lgkmcnt(0)
	v_cmp_neq_f64_e32 vcc, 0, v[208:209]
	v_cmp_neq_f64_e64 s[2:3], 0, v[210:211]
	s_or_b64 s[2:3], vcc, s[2:3]
	s_and_b64 exec, exec, s[2:3]
	s_cbranch_execz .LBB103_269
; %bb.264:
	v_cmp_ngt_f64_e64 s[2:3], |v[208:209]|, |v[210:211]|
                                        ; implicit-def: $vgpr212_vgpr213
	s_and_saveexec_b64 s[10:11], s[2:3]
	s_xor_b64 s[2:3], exec, s[10:11]
                                        ; implicit-def: $vgpr214_vgpr215
	s_cbranch_execz .LBB103_266
; %bb.265:
	v_div_scale_f64 v[212:213], s[10:11], v[210:211], v[210:211], v[208:209]
	v_rcp_f64_e32 v[214:215], v[212:213]
	v_div_scale_f64 v[216:217], vcc, v[208:209], v[210:211], v[208:209]
	v_fma_f64 v[218:219], -v[212:213], v[214:215], 1.0
	v_fmac_f64_e32 v[214:215], v[214:215], v[218:219]
	v_fma_f64 v[218:219], -v[212:213], v[214:215], 1.0
	v_fmac_f64_e32 v[214:215], v[214:215], v[218:219]
	v_mul_f64 v[218:219], v[216:217], v[214:215]
	v_fma_f64 v[212:213], -v[212:213], v[218:219], v[216:217]
	v_div_fmas_f64 v[212:213], v[212:213], v[214:215], v[218:219]
	v_div_fixup_f64 v[212:213], v[212:213], v[210:211], v[208:209]
	v_fmac_f64_e32 v[210:211], v[208:209], v[212:213]
	v_div_scale_f64 v[208:209], s[10:11], v[210:211], v[210:211], 1.0
	v_rcp_f64_e32 v[214:215], v[208:209]
	s_nop 0
	v_fma_f64 v[216:217], -v[208:209], v[214:215], 1.0
	v_fmac_f64_e32 v[214:215], v[214:215], v[216:217]
	v_fma_f64 v[216:217], -v[208:209], v[214:215], 1.0
	v_fmac_f64_e32 v[214:215], v[214:215], v[216:217]
	v_div_scale_f64 v[216:217], vcc, 1.0, v[210:211], 1.0
	v_mul_f64 v[218:219], v[216:217], v[214:215]
	v_fma_f64 v[208:209], -v[208:209], v[218:219], v[216:217]
	s_nop 1
	v_div_fmas_f64 v[208:209], v[208:209], v[214:215], v[218:219]
	v_div_fixup_f64 v[214:215], v[208:209], v[210:211], 1.0
	v_mul_f64 v[212:213], v[212:213], v[214:215]
	v_xor_b32_e32 v215, 0x80000000, v215
                                        ; implicit-def: $vgpr208_vgpr209
.LBB103_266:
	s_andn2_saveexec_b64 s[2:3], s[2:3]
	s_cbranch_execz .LBB103_268
; %bb.267:
	v_div_scale_f64 v[212:213], s[10:11], v[208:209], v[208:209], v[210:211]
	v_rcp_f64_e32 v[214:215], v[212:213]
	v_div_scale_f64 v[216:217], vcc, v[210:211], v[208:209], v[210:211]
	v_fma_f64 v[218:219], -v[212:213], v[214:215], 1.0
	v_fmac_f64_e32 v[214:215], v[214:215], v[218:219]
	v_fma_f64 v[218:219], -v[212:213], v[214:215], 1.0
	v_fmac_f64_e32 v[214:215], v[214:215], v[218:219]
	v_mul_f64 v[218:219], v[216:217], v[214:215]
	v_fma_f64 v[212:213], -v[212:213], v[218:219], v[216:217]
	v_div_fmas_f64 v[212:213], v[212:213], v[214:215], v[218:219]
	v_div_fixup_f64 v[214:215], v[212:213], v[208:209], v[210:211]
	v_fmac_f64_e32 v[208:209], v[210:211], v[214:215]
	v_div_scale_f64 v[210:211], s[10:11], v[208:209], v[208:209], 1.0
	v_rcp_f64_e32 v[212:213], v[210:211]
	s_nop 0
	v_fma_f64 v[216:217], -v[210:211], v[212:213], 1.0
	v_fmac_f64_e32 v[212:213], v[212:213], v[216:217]
	v_fma_f64 v[216:217], -v[210:211], v[212:213], 1.0
	v_fmac_f64_e32 v[212:213], v[212:213], v[216:217]
	v_div_scale_f64 v[216:217], vcc, 1.0, v[208:209], 1.0
	v_mul_f64 v[218:219], v[216:217], v[212:213]
	v_fma_f64 v[210:211], -v[210:211], v[218:219], v[216:217]
	s_nop 1
	v_div_fmas_f64 v[210:211], v[210:211], v[212:213], v[218:219]
	v_div_fixup_f64 v[212:213], v[210:211], v[208:209], 1.0
	v_mul_f64 v[214:215], v[214:215], -v[212:213]
.LBB103_268:
	s_or_b64 exec, exec, s[2:3]
	ds_write2_b64 v248, v[212:213], v[214:215] offset1:1
.LBB103_269:
	s_or_b64 exec, exec, s[4:5]
	s_waitcnt lgkmcnt(0)
	s_barrier
	ds_read2_b64 v[200:203], v248 offset1:1
	s_waitcnt lgkmcnt(0)
	scratch_store_dwordx4 off, v[200:203], off offset:820 ; 16-byte Folded Spill
	scratch_load_dword v200, off, off       ; 4-byte Folded Reload
	s_waitcnt vmcnt(0)
	v_cmp_lt_u32_e32 vcc, 29, v200
	s_and_saveexec_b64 s[2:3], vcc
	s_cbranch_execz .LBB103_271
; %bb.270:
	scratch_load_dwordx4 v[200:203], off, off offset:820 ; 16-byte Folded Reload
	ds_read2_b64 v[210:213], v225 offset0:60 offset1:61
	s_waitcnt vmcnt(0)
	v_mul_f64 v[208:209], v[202:203], v[86:87]
	v_mul_f64 v[86:87], v[200:201], v[86:87]
	v_fmac_f64_e32 v[86:87], v[202:203], v[84:85]
	v_fma_f64 v[208:209], v[200:201], v[84:85], -v[208:209]
	s_waitcnt lgkmcnt(0)
	v_mul_f64 v[84:85], v[212:213], v[86:87]
	v_fma_f64 v[84:85], v[210:211], v[208:209], -v[84:85]
	v_mul_f64 v[210:211], v[210:211], v[86:87]
	v_fmac_f64_e32 v[210:211], v[212:213], v[208:209]
	v_add_f64 v[82:83], v[82:83], -v[210:211]
	ds_read2_b64 v[210:213], v225 offset0:62 offset1:63
	v_add_f64 v[80:81], v[80:81], -v[84:85]
	s_waitcnt lgkmcnt(0)
	v_mul_f64 v[84:85], v[212:213], v[86:87]
	v_fma_f64 v[84:85], v[210:211], v[208:209], -v[84:85]
	v_mul_f64 v[210:211], v[210:211], v[86:87]
	v_fmac_f64_e32 v[210:211], v[212:213], v[208:209]
	v_add_f64 v[78:79], v[78:79], -v[210:211]
	ds_read2_b64 v[210:213], v225 offset0:64 offset1:65
	v_add_f64 v[76:77], v[76:77], -v[84:85]
	;; [unrolled: 8-line block ×21, first 2 shown]
	s_waitcnt lgkmcnt(0)
	v_mul_f64 v[84:85], v[212:213], v[86:87]
	v_fma_f64 v[84:85], v[210:211], v[208:209], -v[84:85]
	v_mul_f64 v[210:211], v[210:211], v[86:87]
	v_fmac_f64_e32 v[210:211], v[212:213], v[208:209]
	v_add_f64 v[204:205], v[204:205], -v[84:85]
	v_add_f64 v[206:207], v[206:207], -v[210:211]
	v_mov_b64_e32 v[84:85], v[208:209]
.LBB103_271:
	s_or_b64 exec, exec, s[2:3]
	s_barrier
	scratch_load_dword v200, off, off       ; 4-byte Folded Reload
	s_waitcnt vmcnt(0)
	v_cmp_eq_u32_e32 vcc, 30, v200
	s_and_saveexec_b64 s[4:5], vcc
	s_cbranch_execz .LBB103_278
; %bb.272:
	ds_write2_b64 v248, v[80:81], v[82:83] offset1:1
	ds_write2_b64 v225, v[76:77], v[78:79] offset0:62 offset1:63
	ds_write2_b64 v225, v[72:73], v[74:75] offset0:64 offset1:65
	;; [unrolled: 1-line block ×21, first 2 shown]
	ds_read2_b64 v[208:211], v248 offset1:1
	s_waitcnt lgkmcnt(0)
	v_cmp_neq_f64_e32 vcc, 0, v[208:209]
	v_cmp_neq_f64_e64 s[2:3], 0, v[210:211]
	s_or_b64 s[2:3], vcc, s[2:3]
	s_and_b64 exec, exec, s[2:3]
	s_cbranch_execz .LBB103_278
; %bb.273:
	v_cmp_ngt_f64_e64 s[2:3], |v[208:209]|, |v[210:211]|
                                        ; implicit-def: $vgpr212_vgpr213
	s_and_saveexec_b64 s[10:11], s[2:3]
	s_xor_b64 s[2:3], exec, s[10:11]
                                        ; implicit-def: $vgpr214_vgpr215
	s_cbranch_execz .LBB103_275
; %bb.274:
	v_div_scale_f64 v[212:213], s[10:11], v[210:211], v[210:211], v[208:209]
	v_rcp_f64_e32 v[214:215], v[212:213]
	v_div_scale_f64 v[216:217], vcc, v[208:209], v[210:211], v[208:209]
	v_fma_f64 v[218:219], -v[212:213], v[214:215], 1.0
	v_fmac_f64_e32 v[214:215], v[214:215], v[218:219]
	v_fma_f64 v[218:219], -v[212:213], v[214:215], 1.0
	v_fmac_f64_e32 v[214:215], v[214:215], v[218:219]
	v_mul_f64 v[218:219], v[216:217], v[214:215]
	v_fma_f64 v[212:213], -v[212:213], v[218:219], v[216:217]
	v_div_fmas_f64 v[212:213], v[212:213], v[214:215], v[218:219]
	v_div_fixup_f64 v[212:213], v[212:213], v[210:211], v[208:209]
	v_fmac_f64_e32 v[210:211], v[208:209], v[212:213]
	v_div_scale_f64 v[208:209], s[10:11], v[210:211], v[210:211], 1.0
	v_rcp_f64_e32 v[214:215], v[208:209]
	s_nop 0
	v_fma_f64 v[216:217], -v[208:209], v[214:215], 1.0
	v_fmac_f64_e32 v[214:215], v[214:215], v[216:217]
	v_fma_f64 v[216:217], -v[208:209], v[214:215], 1.0
	v_fmac_f64_e32 v[214:215], v[214:215], v[216:217]
	v_div_scale_f64 v[216:217], vcc, 1.0, v[210:211], 1.0
	v_mul_f64 v[218:219], v[216:217], v[214:215]
	v_fma_f64 v[208:209], -v[208:209], v[218:219], v[216:217]
	s_nop 1
	v_div_fmas_f64 v[208:209], v[208:209], v[214:215], v[218:219]
	v_div_fixup_f64 v[214:215], v[208:209], v[210:211], 1.0
	v_mul_f64 v[212:213], v[212:213], v[214:215]
	v_xor_b32_e32 v215, 0x80000000, v215
                                        ; implicit-def: $vgpr208_vgpr209
.LBB103_275:
	s_andn2_saveexec_b64 s[2:3], s[2:3]
	s_cbranch_execz .LBB103_277
; %bb.276:
	v_div_scale_f64 v[212:213], s[10:11], v[208:209], v[208:209], v[210:211]
	v_rcp_f64_e32 v[214:215], v[212:213]
	v_div_scale_f64 v[216:217], vcc, v[210:211], v[208:209], v[210:211]
	v_fma_f64 v[218:219], -v[212:213], v[214:215], 1.0
	v_fmac_f64_e32 v[214:215], v[214:215], v[218:219]
	v_fma_f64 v[218:219], -v[212:213], v[214:215], 1.0
	v_fmac_f64_e32 v[214:215], v[214:215], v[218:219]
	v_mul_f64 v[218:219], v[216:217], v[214:215]
	v_fma_f64 v[212:213], -v[212:213], v[218:219], v[216:217]
	v_div_fmas_f64 v[212:213], v[212:213], v[214:215], v[218:219]
	v_div_fixup_f64 v[214:215], v[212:213], v[208:209], v[210:211]
	v_fmac_f64_e32 v[208:209], v[210:211], v[214:215]
	v_div_scale_f64 v[210:211], s[10:11], v[208:209], v[208:209], 1.0
	v_rcp_f64_e32 v[212:213], v[210:211]
	s_nop 0
	v_fma_f64 v[216:217], -v[210:211], v[212:213], 1.0
	v_fmac_f64_e32 v[212:213], v[212:213], v[216:217]
	v_fma_f64 v[216:217], -v[210:211], v[212:213], 1.0
	v_fmac_f64_e32 v[212:213], v[212:213], v[216:217]
	v_div_scale_f64 v[216:217], vcc, 1.0, v[208:209], 1.0
	v_mul_f64 v[218:219], v[216:217], v[212:213]
	v_fma_f64 v[210:211], -v[210:211], v[218:219], v[216:217]
	s_nop 1
	v_div_fmas_f64 v[210:211], v[210:211], v[212:213], v[218:219]
	v_div_fixup_f64 v[212:213], v[210:211], v[208:209], 1.0
	v_mul_f64 v[214:215], v[214:215], -v[212:213]
.LBB103_277:
	s_or_b64 exec, exec, s[2:3]
	ds_write2_b64 v248, v[212:213], v[214:215] offset1:1
.LBB103_278:
	s_or_b64 exec, exec, s[4:5]
	s_waitcnt lgkmcnt(0)
	s_barrier
	ds_read2_b64 v[200:203], v248 offset1:1
	s_waitcnt lgkmcnt(0)
	scratch_store_dwordx4 off, v[200:203], off offset:836 ; 16-byte Folded Spill
	scratch_load_dword v200, off, off       ; 4-byte Folded Reload
	s_waitcnt vmcnt(0)
	v_cmp_lt_u32_e32 vcc, 30, v200
	s_and_saveexec_b64 s[2:3], vcc
	s_cbranch_execz .LBB103_280
; %bb.279:
	scratch_load_dwordx4 v[200:203], off, off offset:836 ; 16-byte Folded Reload
	ds_read2_b64 v[210:213], v225 offset0:62 offset1:63
	s_waitcnt vmcnt(0)
	v_mul_f64 v[208:209], v[202:203], v[82:83]
	v_mul_f64 v[82:83], v[200:201], v[82:83]
	v_fmac_f64_e32 v[82:83], v[202:203], v[80:81]
	v_fma_f64 v[208:209], v[200:201], v[80:81], -v[208:209]
	s_waitcnt lgkmcnt(0)
	v_mul_f64 v[80:81], v[212:213], v[82:83]
	v_fma_f64 v[80:81], v[210:211], v[208:209], -v[80:81]
	v_mul_f64 v[210:211], v[210:211], v[82:83]
	v_fmac_f64_e32 v[210:211], v[212:213], v[208:209]
	v_add_f64 v[78:79], v[78:79], -v[210:211]
	ds_read2_b64 v[210:213], v225 offset0:64 offset1:65
	v_add_f64 v[76:77], v[76:77], -v[80:81]
	s_waitcnt lgkmcnt(0)
	v_mul_f64 v[80:81], v[212:213], v[82:83]
	v_fma_f64 v[80:81], v[210:211], v[208:209], -v[80:81]
	v_mul_f64 v[210:211], v[210:211], v[82:83]
	v_fmac_f64_e32 v[210:211], v[212:213], v[208:209]
	v_add_f64 v[74:75], v[74:75], -v[210:211]
	ds_read2_b64 v[210:213], v225 offset0:66 offset1:67
	v_add_f64 v[72:73], v[72:73], -v[80:81]
	;; [unrolled: 8-line block ×20, first 2 shown]
	s_waitcnt lgkmcnt(0)
	v_mul_f64 v[80:81], v[212:213], v[82:83]
	v_fma_f64 v[80:81], v[210:211], v[208:209], -v[80:81]
	v_mul_f64 v[210:211], v[210:211], v[82:83]
	v_fmac_f64_e32 v[210:211], v[212:213], v[208:209]
	v_add_f64 v[204:205], v[204:205], -v[80:81]
	v_add_f64 v[206:207], v[206:207], -v[210:211]
	v_mov_b64_e32 v[80:81], v[208:209]
.LBB103_280:
	s_or_b64 exec, exec, s[2:3]
	s_barrier
	scratch_load_dword v200, off, off       ; 4-byte Folded Reload
	s_waitcnt vmcnt(0)
	v_cmp_eq_u32_e32 vcc, 31, v200
	s_and_saveexec_b64 s[4:5], vcc
	s_cbranch_execz .LBB103_287
; %bb.281:
	ds_write2_b64 v248, v[76:77], v[78:79] offset1:1
	ds_write2_b64 v225, v[72:73], v[74:75] offset0:64 offset1:65
	ds_write2_b64 v225, v[68:69], v[70:71] offset0:66 offset1:67
	;; [unrolled: 1-line block ×20, first 2 shown]
	ds_read2_b64 v[208:211], v248 offset1:1
	s_waitcnt lgkmcnt(0)
	v_cmp_neq_f64_e32 vcc, 0, v[208:209]
	v_cmp_neq_f64_e64 s[2:3], 0, v[210:211]
	s_or_b64 s[2:3], vcc, s[2:3]
	s_and_b64 exec, exec, s[2:3]
	s_cbranch_execz .LBB103_287
; %bb.282:
	v_cmp_ngt_f64_e64 s[2:3], |v[208:209]|, |v[210:211]|
                                        ; implicit-def: $vgpr212_vgpr213
	s_and_saveexec_b64 s[10:11], s[2:3]
	s_xor_b64 s[2:3], exec, s[10:11]
                                        ; implicit-def: $vgpr214_vgpr215
	s_cbranch_execz .LBB103_284
; %bb.283:
	v_div_scale_f64 v[212:213], s[10:11], v[210:211], v[210:211], v[208:209]
	v_rcp_f64_e32 v[214:215], v[212:213]
	v_div_scale_f64 v[216:217], vcc, v[208:209], v[210:211], v[208:209]
	v_fma_f64 v[218:219], -v[212:213], v[214:215], 1.0
	v_fmac_f64_e32 v[214:215], v[214:215], v[218:219]
	v_fma_f64 v[218:219], -v[212:213], v[214:215], 1.0
	v_fmac_f64_e32 v[214:215], v[214:215], v[218:219]
	v_mul_f64 v[218:219], v[216:217], v[214:215]
	v_fma_f64 v[212:213], -v[212:213], v[218:219], v[216:217]
	v_div_fmas_f64 v[212:213], v[212:213], v[214:215], v[218:219]
	v_div_fixup_f64 v[212:213], v[212:213], v[210:211], v[208:209]
	v_fmac_f64_e32 v[210:211], v[208:209], v[212:213]
	v_div_scale_f64 v[208:209], s[10:11], v[210:211], v[210:211], 1.0
	v_rcp_f64_e32 v[214:215], v[208:209]
	s_nop 0
	v_fma_f64 v[216:217], -v[208:209], v[214:215], 1.0
	v_fmac_f64_e32 v[214:215], v[214:215], v[216:217]
	v_fma_f64 v[216:217], -v[208:209], v[214:215], 1.0
	v_fmac_f64_e32 v[214:215], v[214:215], v[216:217]
	v_div_scale_f64 v[216:217], vcc, 1.0, v[210:211], 1.0
	v_mul_f64 v[218:219], v[216:217], v[214:215]
	v_fma_f64 v[208:209], -v[208:209], v[218:219], v[216:217]
	s_nop 1
	v_div_fmas_f64 v[208:209], v[208:209], v[214:215], v[218:219]
	v_div_fixup_f64 v[214:215], v[208:209], v[210:211], 1.0
	v_mul_f64 v[212:213], v[212:213], v[214:215]
	v_xor_b32_e32 v215, 0x80000000, v215
                                        ; implicit-def: $vgpr208_vgpr209
.LBB103_284:
	s_andn2_saveexec_b64 s[2:3], s[2:3]
	s_cbranch_execz .LBB103_286
; %bb.285:
	v_div_scale_f64 v[212:213], s[10:11], v[208:209], v[208:209], v[210:211]
	v_rcp_f64_e32 v[214:215], v[212:213]
	v_div_scale_f64 v[216:217], vcc, v[210:211], v[208:209], v[210:211]
	v_fma_f64 v[218:219], -v[212:213], v[214:215], 1.0
	v_fmac_f64_e32 v[214:215], v[214:215], v[218:219]
	v_fma_f64 v[218:219], -v[212:213], v[214:215], 1.0
	v_fmac_f64_e32 v[214:215], v[214:215], v[218:219]
	v_mul_f64 v[218:219], v[216:217], v[214:215]
	v_fma_f64 v[212:213], -v[212:213], v[218:219], v[216:217]
	v_div_fmas_f64 v[212:213], v[212:213], v[214:215], v[218:219]
	v_div_fixup_f64 v[214:215], v[212:213], v[208:209], v[210:211]
	v_fmac_f64_e32 v[208:209], v[210:211], v[214:215]
	v_div_scale_f64 v[210:211], s[10:11], v[208:209], v[208:209], 1.0
	v_rcp_f64_e32 v[212:213], v[210:211]
	s_nop 0
	v_fma_f64 v[216:217], -v[210:211], v[212:213], 1.0
	v_fmac_f64_e32 v[212:213], v[212:213], v[216:217]
	v_fma_f64 v[216:217], -v[210:211], v[212:213], 1.0
	v_fmac_f64_e32 v[212:213], v[212:213], v[216:217]
	v_div_scale_f64 v[216:217], vcc, 1.0, v[208:209], 1.0
	v_mul_f64 v[218:219], v[216:217], v[212:213]
	v_fma_f64 v[210:211], -v[210:211], v[218:219], v[216:217]
	s_nop 1
	v_div_fmas_f64 v[210:211], v[210:211], v[212:213], v[218:219]
	v_div_fixup_f64 v[212:213], v[210:211], v[208:209], 1.0
	v_mul_f64 v[214:215], v[214:215], -v[212:213]
.LBB103_286:
	s_or_b64 exec, exec, s[2:3]
	ds_write2_b64 v248, v[212:213], v[214:215] offset1:1
.LBB103_287:
	s_or_b64 exec, exec, s[4:5]
	s_waitcnt lgkmcnt(0)
	s_barrier
	ds_read2_b64 v[200:203], v248 offset1:1
	s_waitcnt lgkmcnt(0)
	scratch_store_dwordx4 off, v[200:203], off offset:852 ; 16-byte Folded Spill
	scratch_load_dword v200, off, off       ; 4-byte Folded Reload
	s_waitcnt vmcnt(0)
	v_cmp_lt_u32_e32 vcc, 31, v200
	s_and_saveexec_b64 s[2:3], vcc
	s_cbranch_execz .LBB103_289
; %bb.288:
	scratch_load_dwordx4 v[200:203], off, off offset:852 ; 16-byte Folded Reload
	ds_read2_b64 v[210:213], v225 offset0:64 offset1:65
	s_waitcnt vmcnt(0)
	v_mul_f64 v[208:209], v[202:203], v[78:79]
	v_mul_f64 v[78:79], v[200:201], v[78:79]
	v_fmac_f64_e32 v[78:79], v[202:203], v[76:77]
	v_fma_f64 v[208:209], v[200:201], v[76:77], -v[208:209]
	s_waitcnt lgkmcnt(0)
	v_mul_f64 v[76:77], v[212:213], v[78:79]
	v_fma_f64 v[76:77], v[210:211], v[208:209], -v[76:77]
	v_mul_f64 v[210:211], v[210:211], v[78:79]
	v_fmac_f64_e32 v[210:211], v[212:213], v[208:209]
	v_add_f64 v[74:75], v[74:75], -v[210:211]
	ds_read2_b64 v[210:213], v225 offset0:66 offset1:67
	v_add_f64 v[72:73], v[72:73], -v[76:77]
	s_waitcnt lgkmcnt(0)
	v_mul_f64 v[76:77], v[212:213], v[78:79]
	v_fma_f64 v[76:77], v[210:211], v[208:209], -v[76:77]
	v_mul_f64 v[210:211], v[210:211], v[78:79]
	v_fmac_f64_e32 v[210:211], v[212:213], v[208:209]
	v_add_f64 v[70:71], v[70:71], -v[210:211]
	ds_read2_b64 v[210:213], v225 offset0:68 offset1:69
	v_add_f64 v[68:69], v[68:69], -v[76:77]
	;; [unrolled: 8-line block ×19, first 2 shown]
	s_waitcnt lgkmcnt(0)
	v_mul_f64 v[76:77], v[212:213], v[78:79]
	v_fma_f64 v[76:77], v[210:211], v[208:209], -v[76:77]
	v_mul_f64 v[210:211], v[210:211], v[78:79]
	v_fmac_f64_e32 v[210:211], v[212:213], v[208:209]
	v_add_f64 v[204:205], v[204:205], -v[76:77]
	v_add_f64 v[206:207], v[206:207], -v[210:211]
	v_mov_b64_e32 v[76:77], v[208:209]
.LBB103_289:
	s_or_b64 exec, exec, s[2:3]
	s_barrier
	scratch_load_dword v200, off, off       ; 4-byte Folded Reload
	s_waitcnt vmcnt(0)
	v_cmp_eq_u32_e32 vcc, 32, v200
	s_and_saveexec_b64 s[4:5], vcc
	s_cbranch_execz .LBB103_296
; %bb.290:
	ds_write2_b64 v248, v[72:73], v[74:75] offset1:1
	ds_write2_b64 v225, v[68:69], v[70:71] offset0:66 offset1:67
	ds_write2_b64 v225, v[64:65], v[66:67] offset0:68 offset1:69
	;; [unrolled: 1-line block ×19, first 2 shown]
	ds_read2_b64 v[208:211], v248 offset1:1
	s_waitcnt lgkmcnt(0)
	v_cmp_neq_f64_e32 vcc, 0, v[208:209]
	v_cmp_neq_f64_e64 s[2:3], 0, v[210:211]
	s_or_b64 s[2:3], vcc, s[2:3]
	s_and_b64 exec, exec, s[2:3]
	s_cbranch_execz .LBB103_296
; %bb.291:
	v_cmp_ngt_f64_e64 s[2:3], |v[208:209]|, |v[210:211]|
                                        ; implicit-def: $vgpr212_vgpr213
	s_and_saveexec_b64 s[10:11], s[2:3]
	s_xor_b64 s[2:3], exec, s[10:11]
                                        ; implicit-def: $vgpr214_vgpr215
	s_cbranch_execz .LBB103_293
; %bb.292:
	v_div_scale_f64 v[212:213], s[10:11], v[210:211], v[210:211], v[208:209]
	v_rcp_f64_e32 v[214:215], v[212:213]
	v_div_scale_f64 v[216:217], vcc, v[208:209], v[210:211], v[208:209]
	v_fma_f64 v[218:219], -v[212:213], v[214:215], 1.0
	v_fmac_f64_e32 v[214:215], v[214:215], v[218:219]
	v_fma_f64 v[218:219], -v[212:213], v[214:215], 1.0
	v_fmac_f64_e32 v[214:215], v[214:215], v[218:219]
	v_mul_f64 v[218:219], v[216:217], v[214:215]
	v_fma_f64 v[212:213], -v[212:213], v[218:219], v[216:217]
	v_div_fmas_f64 v[212:213], v[212:213], v[214:215], v[218:219]
	v_div_fixup_f64 v[212:213], v[212:213], v[210:211], v[208:209]
	v_fmac_f64_e32 v[210:211], v[208:209], v[212:213]
	v_div_scale_f64 v[208:209], s[10:11], v[210:211], v[210:211], 1.0
	v_rcp_f64_e32 v[214:215], v[208:209]
	s_nop 0
	v_fma_f64 v[216:217], -v[208:209], v[214:215], 1.0
	v_fmac_f64_e32 v[214:215], v[214:215], v[216:217]
	v_fma_f64 v[216:217], -v[208:209], v[214:215], 1.0
	v_fmac_f64_e32 v[214:215], v[214:215], v[216:217]
	v_div_scale_f64 v[216:217], vcc, 1.0, v[210:211], 1.0
	v_mul_f64 v[218:219], v[216:217], v[214:215]
	v_fma_f64 v[208:209], -v[208:209], v[218:219], v[216:217]
	s_nop 1
	v_div_fmas_f64 v[208:209], v[208:209], v[214:215], v[218:219]
	v_div_fixup_f64 v[214:215], v[208:209], v[210:211], 1.0
	v_mul_f64 v[212:213], v[212:213], v[214:215]
	v_xor_b32_e32 v215, 0x80000000, v215
                                        ; implicit-def: $vgpr208_vgpr209
.LBB103_293:
	s_andn2_saveexec_b64 s[2:3], s[2:3]
	s_cbranch_execz .LBB103_295
; %bb.294:
	v_div_scale_f64 v[212:213], s[10:11], v[208:209], v[208:209], v[210:211]
	v_rcp_f64_e32 v[214:215], v[212:213]
	v_div_scale_f64 v[216:217], vcc, v[210:211], v[208:209], v[210:211]
	v_fma_f64 v[218:219], -v[212:213], v[214:215], 1.0
	v_fmac_f64_e32 v[214:215], v[214:215], v[218:219]
	v_fma_f64 v[218:219], -v[212:213], v[214:215], 1.0
	v_fmac_f64_e32 v[214:215], v[214:215], v[218:219]
	v_mul_f64 v[218:219], v[216:217], v[214:215]
	v_fma_f64 v[212:213], -v[212:213], v[218:219], v[216:217]
	v_div_fmas_f64 v[212:213], v[212:213], v[214:215], v[218:219]
	v_div_fixup_f64 v[214:215], v[212:213], v[208:209], v[210:211]
	v_fmac_f64_e32 v[208:209], v[210:211], v[214:215]
	v_div_scale_f64 v[210:211], s[10:11], v[208:209], v[208:209], 1.0
	v_rcp_f64_e32 v[212:213], v[210:211]
	s_nop 0
	v_fma_f64 v[216:217], -v[210:211], v[212:213], 1.0
	v_fmac_f64_e32 v[212:213], v[212:213], v[216:217]
	v_fma_f64 v[216:217], -v[210:211], v[212:213], 1.0
	v_fmac_f64_e32 v[212:213], v[212:213], v[216:217]
	v_div_scale_f64 v[216:217], vcc, 1.0, v[208:209], 1.0
	v_mul_f64 v[218:219], v[216:217], v[212:213]
	v_fma_f64 v[210:211], -v[210:211], v[218:219], v[216:217]
	s_nop 1
	v_div_fmas_f64 v[210:211], v[210:211], v[212:213], v[218:219]
	v_div_fixup_f64 v[212:213], v[210:211], v[208:209], 1.0
	v_mul_f64 v[214:215], v[214:215], -v[212:213]
.LBB103_295:
	s_or_b64 exec, exec, s[2:3]
	ds_write2_b64 v248, v[212:213], v[214:215] offset1:1
.LBB103_296:
	s_or_b64 exec, exec, s[4:5]
	s_waitcnt lgkmcnt(0)
	s_barrier
	ds_read2_b64 v[200:203], v248 offset1:1
	s_waitcnt lgkmcnt(0)
	scratch_store_dwordx4 off, v[200:203], off offset:868 ; 16-byte Folded Spill
	scratch_load_dword v200, off, off       ; 4-byte Folded Reload
	s_waitcnt vmcnt(0)
	v_cmp_lt_u32_e32 vcc, 32, v200
	s_and_saveexec_b64 s[2:3], vcc
	s_cbranch_execz .LBB103_298
; %bb.297:
	scratch_load_dwordx4 v[200:203], off, off offset:868 ; 16-byte Folded Reload
	ds_read2_b64 v[210:213], v225 offset0:66 offset1:67
	s_waitcnt vmcnt(0)
	v_mul_f64 v[208:209], v[202:203], v[74:75]
	v_mul_f64 v[74:75], v[200:201], v[74:75]
	v_fmac_f64_e32 v[74:75], v[202:203], v[72:73]
	v_fma_f64 v[208:209], v[200:201], v[72:73], -v[208:209]
	s_waitcnt lgkmcnt(0)
	v_mul_f64 v[72:73], v[212:213], v[74:75]
	v_fma_f64 v[72:73], v[210:211], v[208:209], -v[72:73]
	v_mul_f64 v[210:211], v[210:211], v[74:75]
	v_fmac_f64_e32 v[210:211], v[212:213], v[208:209]
	v_add_f64 v[70:71], v[70:71], -v[210:211]
	ds_read2_b64 v[210:213], v225 offset0:68 offset1:69
	v_add_f64 v[68:69], v[68:69], -v[72:73]
	s_waitcnt lgkmcnt(0)
	v_mul_f64 v[72:73], v[212:213], v[74:75]
	v_fma_f64 v[72:73], v[210:211], v[208:209], -v[72:73]
	v_mul_f64 v[210:211], v[210:211], v[74:75]
	v_fmac_f64_e32 v[210:211], v[212:213], v[208:209]
	v_add_f64 v[66:67], v[66:67], -v[210:211]
	ds_read2_b64 v[210:213], v225 offset0:70 offset1:71
	v_add_f64 v[64:65], v[64:65], -v[72:73]
	;; [unrolled: 8-line block ×18, first 2 shown]
	s_waitcnt lgkmcnt(0)
	v_mul_f64 v[72:73], v[212:213], v[74:75]
	v_fma_f64 v[72:73], v[210:211], v[208:209], -v[72:73]
	v_mul_f64 v[210:211], v[210:211], v[74:75]
	v_fmac_f64_e32 v[210:211], v[212:213], v[208:209]
	v_add_f64 v[204:205], v[204:205], -v[72:73]
	v_add_f64 v[206:207], v[206:207], -v[210:211]
	v_mov_b64_e32 v[72:73], v[208:209]
.LBB103_298:
	s_or_b64 exec, exec, s[2:3]
	s_barrier
	scratch_load_dword v200, off, off       ; 4-byte Folded Reload
	s_waitcnt vmcnt(0)
	v_cmp_eq_u32_e32 vcc, 33, v200
	s_and_saveexec_b64 s[4:5], vcc
	s_cbranch_execz .LBB103_305
; %bb.299:
	ds_write2_b64 v248, v[68:69], v[70:71] offset1:1
	ds_write2_b64 v225, v[64:65], v[66:67] offset0:68 offset1:69
	ds_write2_b64 v225, v[60:61], v[62:63] offset0:70 offset1:71
	;; [unrolled: 1-line block ×18, first 2 shown]
	ds_read2_b64 v[208:211], v248 offset1:1
	s_waitcnt lgkmcnt(0)
	v_cmp_neq_f64_e32 vcc, 0, v[208:209]
	v_cmp_neq_f64_e64 s[2:3], 0, v[210:211]
	s_or_b64 s[2:3], vcc, s[2:3]
	s_and_b64 exec, exec, s[2:3]
	s_cbranch_execz .LBB103_305
; %bb.300:
	v_cmp_ngt_f64_e64 s[2:3], |v[208:209]|, |v[210:211]|
                                        ; implicit-def: $vgpr212_vgpr213
	s_and_saveexec_b64 s[10:11], s[2:3]
	s_xor_b64 s[2:3], exec, s[10:11]
                                        ; implicit-def: $vgpr214_vgpr215
	s_cbranch_execz .LBB103_302
; %bb.301:
	v_div_scale_f64 v[212:213], s[10:11], v[210:211], v[210:211], v[208:209]
	v_rcp_f64_e32 v[214:215], v[212:213]
	v_div_scale_f64 v[216:217], vcc, v[208:209], v[210:211], v[208:209]
	v_fma_f64 v[218:219], -v[212:213], v[214:215], 1.0
	v_fmac_f64_e32 v[214:215], v[214:215], v[218:219]
	v_fma_f64 v[218:219], -v[212:213], v[214:215], 1.0
	v_fmac_f64_e32 v[214:215], v[214:215], v[218:219]
	v_mul_f64 v[218:219], v[216:217], v[214:215]
	v_fma_f64 v[212:213], -v[212:213], v[218:219], v[216:217]
	v_div_fmas_f64 v[212:213], v[212:213], v[214:215], v[218:219]
	v_div_fixup_f64 v[212:213], v[212:213], v[210:211], v[208:209]
	v_fmac_f64_e32 v[210:211], v[208:209], v[212:213]
	v_div_scale_f64 v[208:209], s[10:11], v[210:211], v[210:211], 1.0
	v_rcp_f64_e32 v[214:215], v[208:209]
	s_nop 0
	v_fma_f64 v[216:217], -v[208:209], v[214:215], 1.0
	v_fmac_f64_e32 v[214:215], v[214:215], v[216:217]
	v_fma_f64 v[216:217], -v[208:209], v[214:215], 1.0
	v_fmac_f64_e32 v[214:215], v[214:215], v[216:217]
	v_div_scale_f64 v[216:217], vcc, 1.0, v[210:211], 1.0
	v_mul_f64 v[218:219], v[216:217], v[214:215]
	v_fma_f64 v[208:209], -v[208:209], v[218:219], v[216:217]
	s_nop 1
	v_div_fmas_f64 v[208:209], v[208:209], v[214:215], v[218:219]
	v_div_fixup_f64 v[214:215], v[208:209], v[210:211], 1.0
	v_mul_f64 v[212:213], v[212:213], v[214:215]
	v_xor_b32_e32 v215, 0x80000000, v215
                                        ; implicit-def: $vgpr208_vgpr209
.LBB103_302:
	s_andn2_saveexec_b64 s[2:3], s[2:3]
	s_cbranch_execz .LBB103_304
; %bb.303:
	v_div_scale_f64 v[212:213], s[10:11], v[208:209], v[208:209], v[210:211]
	v_rcp_f64_e32 v[214:215], v[212:213]
	v_div_scale_f64 v[216:217], vcc, v[210:211], v[208:209], v[210:211]
	v_fma_f64 v[218:219], -v[212:213], v[214:215], 1.0
	v_fmac_f64_e32 v[214:215], v[214:215], v[218:219]
	v_fma_f64 v[218:219], -v[212:213], v[214:215], 1.0
	v_fmac_f64_e32 v[214:215], v[214:215], v[218:219]
	v_mul_f64 v[218:219], v[216:217], v[214:215]
	v_fma_f64 v[212:213], -v[212:213], v[218:219], v[216:217]
	v_div_fmas_f64 v[212:213], v[212:213], v[214:215], v[218:219]
	v_div_fixup_f64 v[214:215], v[212:213], v[208:209], v[210:211]
	v_fmac_f64_e32 v[208:209], v[210:211], v[214:215]
	v_div_scale_f64 v[210:211], s[10:11], v[208:209], v[208:209], 1.0
	v_rcp_f64_e32 v[212:213], v[210:211]
	s_nop 0
	v_fma_f64 v[216:217], -v[210:211], v[212:213], 1.0
	v_fmac_f64_e32 v[212:213], v[212:213], v[216:217]
	v_fma_f64 v[216:217], -v[210:211], v[212:213], 1.0
	v_fmac_f64_e32 v[212:213], v[212:213], v[216:217]
	v_div_scale_f64 v[216:217], vcc, 1.0, v[208:209], 1.0
	v_mul_f64 v[218:219], v[216:217], v[212:213]
	v_fma_f64 v[210:211], -v[210:211], v[218:219], v[216:217]
	s_nop 1
	v_div_fmas_f64 v[210:211], v[210:211], v[212:213], v[218:219]
	v_div_fixup_f64 v[212:213], v[210:211], v[208:209], 1.0
	v_mul_f64 v[214:215], v[214:215], -v[212:213]
.LBB103_304:
	s_or_b64 exec, exec, s[2:3]
	ds_write2_b64 v248, v[212:213], v[214:215] offset1:1
.LBB103_305:
	s_or_b64 exec, exec, s[4:5]
	s_waitcnt lgkmcnt(0)
	s_barrier
	ds_read2_b64 v[200:203], v248 offset1:1
	s_waitcnt lgkmcnt(0)
	scratch_store_dwordx4 off, v[200:203], off offset:884 ; 16-byte Folded Spill
	scratch_load_dword v200, off, off       ; 4-byte Folded Reload
	s_waitcnt vmcnt(0)
	v_cmp_lt_u32_e32 vcc, 33, v200
	s_and_saveexec_b64 s[2:3], vcc
	s_cbranch_execz .LBB103_307
; %bb.306:
	scratch_load_dwordx4 v[200:203], off, off offset:884 ; 16-byte Folded Reload
	ds_read2_b64 v[210:213], v225 offset0:68 offset1:69
	s_waitcnt vmcnt(0)
	v_mul_f64 v[208:209], v[202:203], v[70:71]
	v_mul_f64 v[70:71], v[200:201], v[70:71]
	v_fmac_f64_e32 v[70:71], v[202:203], v[68:69]
	v_fma_f64 v[208:209], v[200:201], v[68:69], -v[208:209]
	s_waitcnt lgkmcnt(0)
	v_mul_f64 v[68:69], v[212:213], v[70:71]
	v_fma_f64 v[68:69], v[210:211], v[208:209], -v[68:69]
	v_mul_f64 v[210:211], v[210:211], v[70:71]
	v_fmac_f64_e32 v[210:211], v[212:213], v[208:209]
	v_add_f64 v[66:67], v[66:67], -v[210:211]
	ds_read2_b64 v[210:213], v225 offset0:70 offset1:71
	v_add_f64 v[64:65], v[64:65], -v[68:69]
	s_waitcnt lgkmcnt(0)
	v_mul_f64 v[68:69], v[212:213], v[70:71]
	v_fma_f64 v[68:69], v[210:211], v[208:209], -v[68:69]
	v_mul_f64 v[210:211], v[210:211], v[70:71]
	v_fmac_f64_e32 v[210:211], v[212:213], v[208:209]
	v_add_f64 v[62:63], v[62:63], -v[210:211]
	ds_read2_b64 v[210:213], v225 offset0:72 offset1:73
	v_add_f64 v[60:61], v[60:61], -v[68:69]
	;; [unrolled: 8-line block ×17, first 2 shown]
	s_waitcnt lgkmcnt(0)
	v_mul_f64 v[68:69], v[212:213], v[70:71]
	v_fma_f64 v[68:69], v[210:211], v[208:209], -v[68:69]
	v_mul_f64 v[210:211], v[210:211], v[70:71]
	v_fmac_f64_e32 v[210:211], v[212:213], v[208:209]
	v_add_f64 v[204:205], v[204:205], -v[68:69]
	v_add_f64 v[206:207], v[206:207], -v[210:211]
	v_mov_b64_e32 v[68:69], v[208:209]
.LBB103_307:
	s_or_b64 exec, exec, s[2:3]
	s_barrier
	scratch_load_dword v200, off, off       ; 4-byte Folded Reload
	s_waitcnt vmcnt(0)
	v_cmp_eq_u32_e32 vcc, 34, v200
	s_and_saveexec_b64 s[4:5], vcc
	s_cbranch_execz .LBB103_314
; %bb.308:
	ds_write2_b64 v248, v[64:65], v[66:67] offset1:1
	ds_write2_b64 v225, v[60:61], v[62:63] offset0:70 offset1:71
	ds_write2_b64 v225, v[56:57], v[58:59] offset0:72 offset1:73
	;; [unrolled: 1-line block ×17, first 2 shown]
	ds_read2_b64 v[208:211], v248 offset1:1
	s_waitcnt lgkmcnt(0)
	v_cmp_neq_f64_e32 vcc, 0, v[208:209]
	v_cmp_neq_f64_e64 s[2:3], 0, v[210:211]
	s_or_b64 s[2:3], vcc, s[2:3]
	s_and_b64 exec, exec, s[2:3]
	s_cbranch_execz .LBB103_314
; %bb.309:
	v_cmp_ngt_f64_e64 s[2:3], |v[208:209]|, |v[210:211]|
                                        ; implicit-def: $vgpr212_vgpr213
	s_and_saveexec_b64 s[10:11], s[2:3]
	s_xor_b64 s[2:3], exec, s[10:11]
                                        ; implicit-def: $vgpr214_vgpr215
	s_cbranch_execz .LBB103_311
; %bb.310:
	v_div_scale_f64 v[212:213], s[10:11], v[210:211], v[210:211], v[208:209]
	v_rcp_f64_e32 v[214:215], v[212:213]
	v_div_scale_f64 v[216:217], vcc, v[208:209], v[210:211], v[208:209]
	v_fma_f64 v[218:219], -v[212:213], v[214:215], 1.0
	v_fmac_f64_e32 v[214:215], v[214:215], v[218:219]
	v_fma_f64 v[218:219], -v[212:213], v[214:215], 1.0
	v_fmac_f64_e32 v[214:215], v[214:215], v[218:219]
	v_mul_f64 v[218:219], v[216:217], v[214:215]
	v_fma_f64 v[212:213], -v[212:213], v[218:219], v[216:217]
	v_div_fmas_f64 v[212:213], v[212:213], v[214:215], v[218:219]
	v_div_fixup_f64 v[212:213], v[212:213], v[210:211], v[208:209]
	v_fmac_f64_e32 v[210:211], v[208:209], v[212:213]
	v_div_scale_f64 v[208:209], s[10:11], v[210:211], v[210:211], 1.0
	v_rcp_f64_e32 v[214:215], v[208:209]
	s_nop 0
	v_fma_f64 v[216:217], -v[208:209], v[214:215], 1.0
	v_fmac_f64_e32 v[214:215], v[214:215], v[216:217]
	v_fma_f64 v[216:217], -v[208:209], v[214:215], 1.0
	v_fmac_f64_e32 v[214:215], v[214:215], v[216:217]
	v_div_scale_f64 v[216:217], vcc, 1.0, v[210:211], 1.0
	v_mul_f64 v[218:219], v[216:217], v[214:215]
	v_fma_f64 v[208:209], -v[208:209], v[218:219], v[216:217]
	s_nop 1
	v_div_fmas_f64 v[208:209], v[208:209], v[214:215], v[218:219]
	v_div_fixup_f64 v[214:215], v[208:209], v[210:211], 1.0
	v_mul_f64 v[212:213], v[212:213], v[214:215]
	v_xor_b32_e32 v215, 0x80000000, v215
                                        ; implicit-def: $vgpr208_vgpr209
.LBB103_311:
	s_andn2_saveexec_b64 s[2:3], s[2:3]
	s_cbranch_execz .LBB103_313
; %bb.312:
	v_div_scale_f64 v[212:213], s[10:11], v[208:209], v[208:209], v[210:211]
	v_rcp_f64_e32 v[214:215], v[212:213]
	v_div_scale_f64 v[216:217], vcc, v[210:211], v[208:209], v[210:211]
	v_fma_f64 v[218:219], -v[212:213], v[214:215], 1.0
	v_fmac_f64_e32 v[214:215], v[214:215], v[218:219]
	v_fma_f64 v[218:219], -v[212:213], v[214:215], 1.0
	v_fmac_f64_e32 v[214:215], v[214:215], v[218:219]
	v_mul_f64 v[218:219], v[216:217], v[214:215]
	v_fma_f64 v[212:213], -v[212:213], v[218:219], v[216:217]
	v_div_fmas_f64 v[212:213], v[212:213], v[214:215], v[218:219]
	v_div_fixup_f64 v[214:215], v[212:213], v[208:209], v[210:211]
	v_fmac_f64_e32 v[208:209], v[210:211], v[214:215]
	v_div_scale_f64 v[210:211], s[10:11], v[208:209], v[208:209], 1.0
	v_rcp_f64_e32 v[212:213], v[210:211]
	s_nop 0
	v_fma_f64 v[216:217], -v[210:211], v[212:213], 1.0
	v_fmac_f64_e32 v[212:213], v[212:213], v[216:217]
	v_fma_f64 v[216:217], -v[210:211], v[212:213], 1.0
	v_fmac_f64_e32 v[212:213], v[212:213], v[216:217]
	v_div_scale_f64 v[216:217], vcc, 1.0, v[208:209], 1.0
	v_mul_f64 v[218:219], v[216:217], v[212:213]
	v_fma_f64 v[210:211], -v[210:211], v[218:219], v[216:217]
	s_nop 1
	v_div_fmas_f64 v[210:211], v[210:211], v[212:213], v[218:219]
	v_div_fixup_f64 v[212:213], v[210:211], v[208:209], 1.0
	v_mul_f64 v[214:215], v[214:215], -v[212:213]
.LBB103_313:
	s_or_b64 exec, exec, s[2:3]
	ds_write2_b64 v248, v[212:213], v[214:215] offset1:1
.LBB103_314:
	s_or_b64 exec, exec, s[4:5]
	s_waitcnt lgkmcnt(0)
	s_barrier
	ds_read2_b64 v[200:203], v248 offset1:1
	s_waitcnt lgkmcnt(0)
	scratch_store_dwordx4 off, v[200:203], off offset:900 ; 16-byte Folded Spill
	scratch_load_dword v200, off, off       ; 4-byte Folded Reload
	s_waitcnt vmcnt(0)
	v_cmp_lt_u32_e32 vcc, 34, v200
	s_and_saveexec_b64 s[2:3], vcc
	s_cbranch_execz .LBB103_316
; %bb.315:
	scratch_load_dwordx4 v[200:203], off, off offset:900 ; 16-byte Folded Reload
	ds_read2_b64 v[210:213], v225 offset0:70 offset1:71
	s_waitcnt vmcnt(0)
	v_mul_f64 v[208:209], v[202:203], v[66:67]
	v_mul_f64 v[66:67], v[200:201], v[66:67]
	v_fmac_f64_e32 v[66:67], v[202:203], v[64:65]
	v_fma_f64 v[208:209], v[200:201], v[64:65], -v[208:209]
	s_waitcnt lgkmcnt(0)
	v_mul_f64 v[64:65], v[212:213], v[66:67]
	v_fma_f64 v[64:65], v[210:211], v[208:209], -v[64:65]
	v_mul_f64 v[210:211], v[210:211], v[66:67]
	v_fmac_f64_e32 v[210:211], v[212:213], v[208:209]
	v_add_f64 v[62:63], v[62:63], -v[210:211]
	ds_read2_b64 v[210:213], v225 offset0:72 offset1:73
	v_add_f64 v[60:61], v[60:61], -v[64:65]
	s_waitcnt lgkmcnt(0)
	v_mul_f64 v[64:65], v[212:213], v[66:67]
	v_fma_f64 v[64:65], v[210:211], v[208:209], -v[64:65]
	v_mul_f64 v[210:211], v[210:211], v[66:67]
	v_fmac_f64_e32 v[210:211], v[212:213], v[208:209]
	v_add_f64 v[58:59], v[58:59], -v[210:211]
	ds_read2_b64 v[210:213], v225 offset0:74 offset1:75
	v_add_f64 v[56:57], v[56:57], -v[64:65]
	;; [unrolled: 8-line block ×16, first 2 shown]
	s_waitcnt lgkmcnt(0)
	v_mul_f64 v[64:65], v[212:213], v[66:67]
	v_fma_f64 v[64:65], v[210:211], v[208:209], -v[64:65]
	v_mul_f64 v[210:211], v[210:211], v[66:67]
	v_fmac_f64_e32 v[210:211], v[212:213], v[208:209]
	v_add_f64 v[204:205], v[204:205], -v[64:65]
	v_add_f64 v[206:207], v[206:207], -v[210:211]
	v_mov_b64_e32 v[64:65], v[208:209]
.LBB103_316:
	s_or_b64 exec, exec, s[2:3]
	s_barrier
	scratch_load_dword v200, off, off       ; 4-byte Folded Reload
	s_waitcnt vmcnt(0)
	v_cmp_eq_u32_e32 vcc, 35, v200
	s_and_saveexec_b64 s[4:5], vcc
	s_cbranch_execz .LBB103_323
; %bb.317:
	ds_write2_b64 v248, v[60:61], v[62:63] offset1:1
	ds_write2_b64 v225, v[56:57], v[58:59] offset0:72 offset1:73
	ds_write2_b64 v225, v[52:53], v[54:55] offset0:74 offset1:75
	;; [unrolled: 1-line block ×16, first 2 shown]
	ds_read2_b64 v[208:211], v248 offset1:1
	s_waitcnt lgkmcnt(0)
	v_cmp_neq_f64_e32 vcc, 0, v[208:209]
	v_cmp_neq_f64_e64 s[2:3], 0, v[210:211]
	s_or_b64 s[2:3], vcc, s[2:3]
	s_and_b64 exec, exec, s[2:3]
	s_cbranch_execz .LBB103_323
; %bb.318:
	v_cmp_ngt_f64_e64 s[2:3], |v[208:209]|, |v[210:211]|
                                        ; implicit-def: $vgpr212_vgpr213
	s_and_saveexec_b64 s[10:11], s[2:3]
	s_xor_b64 s[2:3], exec, s[10:11]
                                        ; implicit-def: $vgpr214_vgpr215
	s_cbranch_execz .LBB103_320
; %bb.319:
	v_div_scale_f64 v[212:213], s[10:11], v[210:211], v[210:211], v[208:209]
	v_rcp_f64_e32 v[214:215], v[212:213]
	v_div_scale_f64 v[216:217], vcc, v[208:209], v[210:211], v[208:209]
	v_fma_f64 v[218:219], -v[212:213], v[214:215], 1.0
	v_fmac_f64_e32 v[214:215], v[214:215], v[218:219]
	v_fma_f64 v[218:219], -v[212:213], v[214:215], 1.0
	v_fmac_f64_e32 v[214:215], v[214:215], v[218:219]
	v_mul_f64 v[218:219], v[216:217], v[214:215]
	v_fma_f64 v[212:213], -v[212:213], v[218:219], v[216:217]
	v_div_fmas_f64 v[212:213], v[212:213], v[214:215], v[218:219]
	v_div_fixup_f64 v[212:213], v[212:213], v[210:211], v[208:209]
	v_fmac_f64_e32 v[210:211], v[208:209], v[212:213]
	v_div_scale_f64 v[208:209], s[10:11], v[210:211], v[210:211], 1.0
	v_rcp_f64_e32 v[214:215], v[208:209]
	s_nop 0
	v_fma_f64 v[216:217], -v[208:209], v[214:215], 1.0
	v_fmac_f64_e32 v[214:215], v[214:215], v[216:217]
	v_fma_f64 v[216:217], -v[208:209], v[214:215], 1.0
	v_fmac_f64_e32 v[214:215], v[214:215], v[216:217]
	v_div_scale_f64 v[216:217], vcc, 1.0, v[210:211], 1.0
	v_mul_f64 v[218:219], v[216:217], v[214:215]
	v_fma_f64 v[208:209], -v[208:209], v[218:219], v[216:217]
	s_nop 1
	v_div_fmas_f64 v[208:209], v[208:209], v[214:215], v[218:219]
	v_div_fixup_f64 v[214:215], v[208:209], v[210:211], 1.0
	v_mul_f64 v[212:213], v[212:213], v[214:215]
	v_xor_b32_e32 v215, 0x80000000, v215
                                        ; implicit-def: $vgpr208_vgpr209
.LBB103_320:
	s_andn2_saveexec_b64 s[2:3], s[2:3]
	s_cbranch_execz .LBB103_322
; %bb.321:
	v_div_scale_f64 v[212:213], s[10:11], v[208:209], v[208:209], v[210:211]
	v_rcp_f64_e32 v[214:215], v[212:213]
	v_div_scale_f64 v[216:217], vcc, v[210:211], v[208:209], v[210:211]
	v_fma_f64 v[218:219], -v[212:213], v[214:215], 1.0
	v_fmac_f64_e32 v[214:215], v[214:215], v[218:219]
	v_fma_f64 v[218:219], -v[212:213], v[214:215], 1.0
	v_fmac_f64_e32 v[214:215], v[214:215], v[218:219]
	v_mul_f64 v[218:219], v[216:217], v[214:215]
	v_fma_f64 v[212:213], -v[212:213], v[218:219], v[216:217]
	v_div_fmas_f64 v[212:213], v[212:213], v[214:215], v[218:219]
	v_div_fixup_f64 v[214:215], v[212:213], v[208:209], v[210:211]
	v_fmac_f64_e32 v[208:209], v[210:211], v[214:215]
	v_div_scale_f64 v[210:211], s[10:11], v[208:209], v[208:209], 1.0
	v_rcp_f64_e32 v[212:213], v[210:211]
	s_nop 0
	v_fma_f64 v[216:217], -v[210:211], v[212:213], 1.0
	v_fmac_f64_e32 v[212:213], v[212:213], v[216:217]
	v_fma_f64 v[216:217], -v[210:211], v[212:213], 1.0
	v_fmac_f64_e32 v[212:213], v[212:213], v[216:217]
	v_div_scale_f64 v[216:217], vcc, 1.0, v[208:209], 1.0
	v_mul_f64 v[218:219], v[216:217], v[212:213]
	v_fma_f64 v[210:211], -v[210:211], v[218:219], v[216:217]
	s_nop 1
	v_div_fmas_f64 v[210:211], v[210:211], v[212:213], v[218:219]
	v_div_fixup_f64 v[212:213], v[210:211], v[208:209], 1.0
	v_mul_f64 v[214:215], v[214:215], -v[212:213]
.LBB103_322:
	s_or_b64 exec, exec, s[2:3]
	ds_write2_b64 v248, v[212:213], v[214:215] offset1:1
.LBB103_323:
	s_or_b64 exec, exec, s[4:5]
	s_waitcnt lgkmcnt(0)
	s_barrier
	ds_read2_b64 v[200:203], v248 offset1:1
	s_waitcnt lgkmcnt(0)
	scratch_store_dwordx4 off, v[200:203], off offset:916 ; 16-byte Folded Spill
	scratch_load_dword v200, off, off       ; 4-byte Folded Reload
	s_waitcnt vmcnt(0)
	v_cmp_lt_u32_e32 vcc, 35, v200
	s_and_saveexec_b64 s[2:3], vcc
	s_cbranch_execz .LBB103_325
; %bb.324:
	scratch_load_dwordx4 v[200:203], off, off offset:916 ; 16-byte Folded Reload
	ds_read2_b64 v[210:213], v225 offset0:72 offset1:73
	s_waitcnt vmcnt(0)
	v_mul_f64 v[208:209], v[200:201], v[62:63]
	v_fmac_f64_e32 v[208:209], v[202:203], v[60:61]
	v_mul_f64 v[62:63], v[202:203], v[62:63]
	v_fma_f64 v[60:61], v[200:201], v[60:61], -v[62:63]
	s_waitcnt lgkmcnt(0)
	v_mul_f64 v[62:63], v[212:213], v[208:209]
	v_fma_f64 v[62:63], v[210:211], v[60:61], -v[62:63]
	v_mul_f64 v[210:211], v[210:211], v[208:209]
	v_fmac_f64_e32 v[210:211], v[212:213], v[60:61]
	v_add_f64 v[58:59], v[58:59], -v[210:211]
	ds_read2_b64 v[210:213], v225 offset0:74 offset1:75
	v_add_f64 v[56:57], v[56:57], -v[62:63]
	s_waitcnt lgkmcnt(0)
	v_mul_f64 v[62:63], v[212:213], v[208:209]
	v_fma_f64 v[62:63], v[210:211], v[60:61], -v[62:63]
	v_mul_f64 v[210:211], v[210:211], v[208:209]
	v_fmac_f64_e32 v[210:211], v[212:213], v[60:61]
	v_add_f64 v[54:55], v[54:55], -v[210:211]
	ds_read2_b64 v[210:213], v225 offset0:76 offset1:77
	v_add_f64 v[52:53], v[52:53], -v[62:63]
	;; [unrolled: 8-line block ×15, first 2 shown]
	s_waitcnt lgkmcnt(0)
	v_mul_f64 v[62:63], v[212:213], v[208:209]
	v_fma_f64 v[62:63], v[210:211], v[60:61], -v[62:63]
	v_mul_f64 v[210:211], v[210:211], v[208:209]
	v_fmac_f64_e32 v[210:211], v[212:213], v[60:61]
	v_add_f64 v[204:205], v[204:205], -v[62:63]
	v_add_f64 v[206:207], v[206:207], -v[210:211]
	v_mov_b64_e32 v[62:63], v[208:209]
.LBB103_325:
	s_or_b64 exec, exec, s[2:3]
	s_barrier
	scratch_load_dword v200, off, off       ; 4-byte Folded Reload
	s_waitcnt vmcnt(0)
	v_cmp_eq_u32_e32 vcc, 36, v200
	s_and_saveexec_b64 s[4:5], vcc
	s_cbranch_execz .LBB103_332
; %bb.326:
	ds_write2_b64 v248, v[56:57], v[58:59] offset1:1
	ds_write2_b64 v225, v[52:53], v[54:55] offset0:74 offset1:75
	ds_write2_b64 v225, v[48:49], v[50:51] offset0:76 offset1:77
	;; [unrolled: 1-line block ×15, first 2 shown]
	ds_read2_b64 v[208:211], v248 offset1:1
	s_waitcnt lgkmcnt(0)
	v_cmp_neq_f64_e32 vcc, 0, v[208:209]
	v_cmp_neq_f64_e64 s[2:3], 0, v[210:211]
	s_or_b64 s[2:3], vcc, s[2:3]
	s_and_b64 exec, exec, s[2:3]
	s_cbranch_execz .LBB103_332
; %bb.327:
	v_cmp_ngt_f64_e64 s[2:3], |v[208:209]|, |v[210:211]|
                                        ; implicit-def: $vgpr212_vgpr213
	s_and_saveexec_b64 s[10:11], s[2:3]
	s_xor_b64 s[2:3], exec, s[10:11]
                                        ; implicit-def: $vgpr214_vgpr215
	s_cbranch_execz .LBB103_329
; %bb.328:
	v_div_scale_f64 v[212:213], s[10:11], v[210:211], v[210:211], v[208:209]
	v_rcp_f64_e32 v[214:215], v[212:213]
	v_div_scale_f64 v[216:217], vcc, v[208:209], v[210:211], v[208:209]
	v_fma_f64 v[218:219], -v[212:213], v[214:215], 1.0
	v_fmac_f64_e32 v[214:215], v[214:215], v[218:219]
	v_fma_f64 v[218:219], -v[212:213], v[214:215], 1.0
	v_fmac_f64_e32 v[214:215], v[214:215], v[218:219]
	v_mul_f64 v[218:219], v[216:217], v[214:215]
	v_fma_f64 v[212:213], -v[212:213], v[218:219], v[216:217]
	v_div_fmas_f64 v[212:213], v[212:213], v[214:215], v[218:219]
	v_div_fixup_f64 v[212:213], v[212:213], v[210:211], v[208:209]
	v_fmac_f64_e32 v[210:211], v[208:209], v[212:213]
	v_div_scale_f64 v[208:209], s[10:11], v[210:211], v[210:211], 1.0
	v_rcp_f64_e32 v[214:215], v[208:209]
	s_nop 0
	v_fma_f64 v[216:217], -v[208:209], v[214:215], 1.0
	v_fmac_f64_e32 v[214:215], v[214:215], v[216:217]
	v_fma_f64 v[216:217], -v[208:209], v[214:215], 1.0
	v_fmac_f64_e32 v[214:215], v[214:215], v[216:217]
	v_div_scale_f64 v[216:217], vcc, 1.0, v[210:211], 1.0
	v_mul_f64 v[218:219], v[216:217], v[214:215]
	v_fma_f64 v[208:209], -v[208:209], v[218:219], v[216:217]
	s_nop 1
	v_div_fmas_f64 v[208:209], v[208:209], v[214:215], v[218:219]
	v_div_fixup_f64 v[214:215], v[208:209], v[210:211], 1.0
	v_mul_f64 v[212:213], v[212:213], v[214:215]
	v_xor_b32_e32 v215, 0x80000000, v215
                                        ; implicit-def: $vgpr208_vgpr209
.LBB103_329:
	s_andn2_saveexec_b64 s[2:3], s[2:3]
	s_cbranch_execz .LBB103_331
; %bb.330:
	v_div_scale_f64 v[212:213], s[10:11], v[208:209], v[208:209], v[210:211]
	v_rcp_f64_e32 v[214:215], v[212:213]
	v_div_scale_f64 v[216:217], vcc, v[210:211], v[208:209], v[210:211]
	v_fma_f64 v[218:219], -v[212:213], v[214:215], 1.0
	v_fmac_f64_e32 v[214:215], v[214:215], v[218:219]
	v_fma_f64 v[218:219], -v[212:213], v[214:215], 1.0
	v_fmac_f64_e32 v[214:215], v[214:215], v[218:219]
	v_mul_f64 v[218:219], v[216:217], v[214:215]
	v_fma_f64 v[212:213], -v[212:213], v[218:219], v[216:217]
	v_div_fmas_f64 v[212:213], v[212:213], v[214:215], v[218:219]
	v_div_fixup_f64 v[214:215], v[212:213], v[208:209], v[210:211]
	v_fmac_f64_e32 v[208:209], v[210:211], v[214:215]
	v_div_scale_f64 v[210:211], s[10:11], v[208:209], v[208:209], 1.0
	v_rcp_f64_e32 v[212:213], v[210:211]
	s_nop 0
	v_fma_f64 v[216:217], -v[210:211], v[212:213], 1.0
	v_fmac_f64_e32 v[212:213], v[212:213], v[216:217]
	v_fma_f64 v[216:217], -v[210:211], v[212:213], 1.0
	v_fmac_f64_e32 v[212:213], v[212:213], v[216:217]
	v_div_scale_f64 v[216:217], vcc, 1.0, v[208:209], 1.0
	v_mul_f64 v[218:219], v[216:217], v[212:213]
	v_fma_f64 v[210:211], -v[210:211], v[218:219], v[216:217]
	s_nop 1
	v_div_fmas_f64 v[210:211], v[210:211], v[212:213], v[218:219]
	v_div_fixup_f64 v[212:213], v[210:211], v[208:209], 1.0
	v_mul_f64 v[214:215], v[214:215], -v[212:213]
.LBB103_331:
	s_or_b64 exec, exec, s[2:3]
	ds_write2_b64 v248, v[212:213], v[214:215] offset1:1
.LBB103_332:
	s_or_b64 exec, exec, s[4:5]
	s_waitcnt lgkmcnt(0)
	s_barrier
	ds_read2_b64 v[200:203], v248 offset1:1
	s_waitcnt lgkmcnt(0)
	scratch_store_dwordx4 off, v[200:203], off offset:932 ; 16-byte Folded Spill
	scratch_load_dword v200, off, off       ; 4-byte Folded Reload
	s_waitcnt vmcnt(0)
	v_cmp_lt_u32_e32 vcc, 36, v200
	s_and_saveexec_b64 s[2:3], vcc
	s_cbranch_execz .LBB103_334
; %bb.333:
	scratch_load_dwordx4 v[200:203], off, off offset:932 ; 16-byte Folded Reload
	ds_read2_b64 v[210:213], v225 offset0:74 offset1:75
	s_waitcnt vmcnt(0)
	v_mul_f64 v[208:209], v[200:201], v[58:59]
	v_fmac_f64_e32 v[208:209], v[202:203], v[56:57]
	v_mul_f64 v[58:59], v[202:203], v[58:59]
	v_fma_f64 v[56:57], v[200:201], v[56:57], -v[58:59]
	s_waitcnt lgkmcnt(0)
	v_mul_f64 v[58:59], v[212:213], v[208:209]
	v_fma_f64 v[58:59], v[210:211], v[56:57], -v[58:59]
	v_mul_f64 v[210:211], v[210:211], v[208:209]
	v_fmac_f64_e32 v[210:211], v[212:213], v[56:57]
	v_add_f64 v[54:55], v[54:55], -v[210:211]
	ds_read2_b64 v[210:213], v225 offset0:76 offset1:77
	v_add_f64 v[52:53], v[52:53], -v[58:59]
	s_waitcnt lgkmcnt(0)
	v_mul_f64 v[58:59], v[212:213], v[208:209]
	v_fma_f64 v[58:59], v[210:211], v[56:57], -v[58:59]
	v_mul_f64 v[210:211], v[210:211], v[208:209]
	v_fmac_f64_e32 v[210:211], v[212:213], v[56:57]
	v_add_f64 v[50:51], v[50:51], -v[210:211]
	ds_read2_b64 v[210:213], v225 offset0:78 offset1:79
	v_add_f64 v[48:49], v[48:49], -v[58:59]
	s_waitcnt lgkmcnt(0)
	v_mul_f64 v[58:59], v[212:213], v[208:209]
	v_fma_f64 v[58:59], v[210:211], v[56:57], -v[58:59]
	v_mul_f64 v[210:211], v[210:211], v[208:209]
	v_fmac_f64_e32 v[210:211], v[212:213], v[56:57]
	v_add_f64 v[46:47], v[46:47], -v[210:211]
	ds_read2_b64 v[210:213], v225 offset0:80 offset1:81
	v_add_f64 v[44:45], v[44:45], -v[58:59]
	s_waitcnt lgkmcnt(0)
	v_mul_f64 v[58:59], v[212:213], v[208:209]
	v_fma_f64 v[58:59], v[210:211], v[56:57], -v[58:59]
	v_mul_f64 v[210:211], v[210:211], v[208:209]
	v_fmac_f64_e32 v[210:211], v[212:213], v[56:57]
	v_add_f64 v[42:43], v[42:43], -v[210:211]
	ds_read2_b64 v[210:213], v225 offset0:82 offset1:83
	v_add_f64 v[40:41], v[40:41], -v[58:59]
	s_waitcnt lgkmcnt(0)
	v_mul_f64 v[58:59], v[212:213], v[208:209]
	v_fma_f64 v[58:59], v[210:211], v[56:57], -v[58:59]
	v_mul_f64 v[210:211], v[210:211], v[208:209]
	v_fmac_f64_e32 v[210:211], v[212:213], v[56:57]
	v_add_f64 v[38:39], v[38:39], -v[210:211]
	ds_read2_b64 v[210:213], v225 offset0:84 offset1:85
	v_add_f64 v[36:37], v[36:37], -v[58:59]
	s_waitcnt lgkmcnt(0)
	v_mul_f64 v[58:59], v[212:213], v[208:209]
	v_fma_f64 v[58:59], v[210:211], v[56:57], -v[58:59]
	v_mul_f64 v[210:211], v[210:211], v[208:209]
	v_fmac_f64_e32 v[210:211], v[212:213], v[56:57]
	v_add_f64 v[34:35], v[34:35], -v[210:211]
	ds_read2_b64 v[210:213], v225 offset0:86 offset1:87
	v_add_f64 v[32:33], v[32:33], -v[58:59]
	s_waitcnt lgkmcnt(0)
	v_mul_f64 v[58:59], v[212:213], v[208:209]
	v_fma_f64 v[58:59], v[210:211], v[56:57], -v[58:59]
	v_mul_f64 v[210:211], v[210:211], v[208:209]
	v_fmac_f64_e32 v[210:211], v[212:213], v[56:57]
	v_add_f64 v[30:31], v[30:31], -v[210:211]
	ds_read2_b64 v[210:213], v225 offset0:88 offset1:89
	v_add_f64 v[28:29], v[28:29], -v[58:59]
	s_waitcnt lgkmcnt(0)
	v_mul_f64 v[58:59], v[212:213], v[208:209]
	v_fma_f64 v[58:59], v[210:211], v[56:57], -v[58:59]
	v_mul_f64 v[210:211], v[210:211], v[208:209]
	v_fmac_f64_e32 v[210:211], v[212:213], v[56:57]
	v_add_f64 v[26:27], v[26:27], -v[210:211]
	ds_read2_b64 v[210:213], v225 offset0:90 offset1:91
	v_add_f64 v[24:25], v[24:25], -v[58:59]
	s_waitcnt lgkmcnt(0)
	v_mul_f64 v[58:59], v[212:213], v[208:209]
	v_fma_f64 v[58:59], v[210:211], v[56:57], -v[58:59]
	v_mul_f64 v[210:211], v[210:211], v[208:209]
	v_fmac_f64_e32 v[210:211], v[212:213], v[56:57]
	v_add_f64 v[22:23], v[22:23], -v[210:211]
	ds_read2_b64 v[210:213], v225 offset0:92 offset1:93
	v_add_f64 v[20:21], v[20:21], -v[58:59]
	s_waitcnt lgkmcnt(0)
	v_mul_f64 v[58:59], v[212:213], v[208:209]
	v_fma_f64 v[58:59], v[210:211], v[56:57], -v[58:59]
	v_mul_f64 v[210:211], v[210:211], v[208:209]
	v_fmac_f64_e32 v[210:211], v[212:213], v[56:57]
	v_add_f64 v[18:19], v[18:19], -v[210:211]
	ds_read2_b64 v[210:213], v225 offset0:94 offset1:95
	v_add_f64 v[16:17], v[16:17], -v[58:59]
	s_waitcnt lgkmcnt(0)
	v_mul_f64 v[58:59], v[212:213], v[208:209]
	v_fma_f64 v[58:59], v[210:211], v[56:57], -v[58:59]
	v_mul_f64 v[210:211], v[210:211], v[208:209]
	v_fmac_f64_e32 v[210:211], v[212:213], v[56:57]
	v_add_f64 v[14:15], v[14:15], -v[210:211]
	ds_read2_b64 v[210:213], v225 offset0:96 offset1:97
	v_add_f64 v[12:13], v[12:13], -v[58:59]
	s_waitcnt lgkmcnt(0)
	v_mul_f64 v[58:59], v[212:213], v[208:209]
	v_fma_f64 v[58:59], v[210:211], v[56:57], -v[58:59]
	v_mul_f64 v[210:211], v[210:211], v[208:209]
	v_fmac_f64_e32 v[210:211], v[212:213], v[56:57]
	v_add_f64 v[10:11], v[10:11], -v[210:211]
	ds_read2_b64 v[210:213], v225 offset0:98 offset1:99
	v_add_f64 v[8:9], v[8:9], -v[58:59]
	s_waitcnt lgkmcnt(0)
	v_mul_f64 v[58:59], v[212:213], v[208:209]
	v_fma_f64 v[58:59], v[210:211], v[56:57], -v[58:59]
	v_mul_f64 v[210:211], v[210:211], v[208:209]
	v_fmac_f64_e32 v[210:211], v[212:213], v[56:57]
	v_add_f64 v[6:7], v[6:7], -v[210:211]
	ds_read2_b64 v[210:213], v225 offset0:100 offset1:101
	v_add_f64 v[4:5], v[4:5], -v[58:59]
	s_waitcnt lgkmcnt(0)
	v_mul_f64 v[58:59], v[212:213], v[208:209]
	v_fma_f64 v[58:59], v[210:211], v[56:57], -v[58:59]
	v_mul_f64 v[210:211], v[210:211], v[208:209]
	v_fmac_f64_e32 v[210:211], v[212:213], v[56:57]
	v_add_f64 v[2:3], v[2:3], -v[210:211]
	ds_read2_b64 v[210:213], v225 offset0:102 offset1:103
	v_add_f64 v[0:1], v[0:1], -v[58:59]
	s_waitcnt lgkmcnt(0)
	v_mul_f64 v[58:59], v[212:213], v[208:209]
	v_fma_f64 v[58:59], v[210:211], v[56:57], -v[58:59]
	v_mul_f64 v[210:211], v[210:211], v[208:209]
	v_fmac_f64_e32 v[210:211], v[212:213], v[56:57]
	v_add_f64 v[204:205], v[204:205], -v[58:59]
	v_add_f64 v[206:207], v[206:207], -v[210:211]
	v_mov_b64_e32 v[58:59], v[208:209]
.LBB103_334:
	s_or_b64 exec, exec, s[2:3]
	s_barrier
	scratch_load_dword v200, off, off       ; 4-byte Folded Reload
	s_waitcnt vmcnt(0)
	v_cmp_eq_u32_e32 vcc, 37, v200
	s_and_saveexec_b64 s[4:5], vcc
	s_cbranch_execz .LBB103_341
; %bb.335:
	ds_write2_b64 v248, v[52:53], v[54:55] offset1:1
	ds_write2_b64 v225, v[48:49], v[50:51] offset0:76 offset1:77
	ds_write2_b64 v225, v[44:45], v[46:47] offset0:78 offset1:79
	;; [unrolled: 1-line block ×14, first 2 shown]
	ds_read2_b64 v[208:211], v248 offset1:1
	s_waitcnt lgkmcnt(0)
	v_cmp_neq_f64_e32 vcc, 0, v[208:209]
	v_cmp_neq_f64_e64 s[2:3], 0, v[210:211]
	s_or_b64 s[2:3], vcc, s[2:3]
	s_and_b64 exec, exec, s[2:3]
	s_cbranch_execz .LBB103_341
; %bb.336:
	v_cmp_ngt_f64_e64 s[2:3], |v[208:209]|, |v[210:211]|
                                        ; implicit-def: $vgpr212_vgpr213
	s_and_saveexec_b64 s[10:11], s[2:3]
	s_xor_b64 s[2:3], exec, s[10:11]
                                        ; implicit-def: $vgpr214_vgpr215
	s_cbranch_execz .LBB103_338
; %bb.337:
	v_div_scale_f64 v[212:213], s[10:11], v[210:211], v[210:211], v[208:209]
	v_rcp_f64_e32 v[214:215], v[212:213]
	v_div_scale_f64 v[216:217], vcc, v[208:209], v[210:211], v[208:209]
	v_fma_f64 v[218:219], -v[212:213], v[214:215], 1.0
	v_fmac_f64_e32 v[214:215], v[214:215], v[218:219]
	v_fma_f64 v[218:219], -v[212:213], v[214:215], 1.0
	v_fmac_f64_e32 v[214:215], v[214:215], v[218:219]
	v_mul_f64 v[218:219], v[216:217], v[214:215]
	v_fma_f64 v[212:213], -v[212:213], v[218:219], v[216:217]
	v_div_fmas_f64 v[212:213], v[212:213], v[214:215], v[218:219]
	v_div_fixup_f64 v[212:213], v[212:213], v[210:211], v[208:209]
	v_fmac_f64_e32 v[210:211], v[208:209], v[212:213]
	v_div_scale_f64 v[208:209], s[10:11], v[210:211], v[210:211], 1.0
	v_rcp_f64_e32 v[214:215], v[208:209]
	s_nop 0
	v_fma_f64 v[216:217], -v[208:209], v[214:215], 1.0
	v_fmac_f64_e32 v[214:215], v[214:215], v[216:217]
	v_fma_f64 v[216:217], -v[208:209], v[214:215], 1.0
	v_fmac_f64_e32 v[214:215], v[214:215], v[216:217]
	v_div_scale_f64 v[216:217], vcc, 1.0, v[210:211], 1.0
	v_mul_f64 v[218:219], v[216:217], v[214:215]
	v_fma_f64 v[208:209], -v[208:209], v[218:219], v[216:217]
	s_nop 1
	v_div_fmas_f64 v[208:209], v[208:209], v[214:215], v[218:219]
	v_div_fixup_f64 v[214:215], v[208:209], v[210:211], 1.0
	v_mul_f64 v[212:213], v[212:213], v[214:215]
	v_xor_b32_e32 v215, 0x80000000, v215
                                        ; implicit-def: $vgpr208_vgpr209
.LBB103_338:
	s_andn2_saveexec_b64 s[2:3], s[2:3]
	s_cbranch_execz .LBB103_340
; %bb.339:
	v_div_scale_f64 v[212:213], s[10:11], v[208:209], v[208:209], v[210:211]
	v_rcp_f64_e32 v[214:215], v[212:213]
	v_div_scale_f64 v[216:217], vcc, v[210:211], v[208:209], v[210:211]
	v_fma_f64 v[218:219], -v[212:213], v[214:215], 1.0
	v_fmac_f64_e32 v[214:215], v[214:215], v[218:219]
	v_fma_f64 v[218:219], -v[212:213], v[214:215], 1.0
	v_fmac_f64_e32 v[214:215], v[214:215], v[218:219]
	v_mul_f64 v[218:219], v[216:217], v[214:215]
	v_fma_f64 v[212:213], -v[212:213], v[218:219], v[216:217]
	v_div_fmas_f64 v[212:213], v[212:213], v[214:215], v[218:219]
	v_div_fixup_f64 v[214:215], v[212:213], v[208:209], v[210:211]
	v_fmac_f64_e32 v[208:209], v[210:211], v[214:215]
	v_div_scale_f64 v[210:211], s[10:11], v[208:209], v[208:209], 1.0
	v_rcp_f64_e32 v[212:213], v[210:211]
	s_nop 0
	v_fma_f64 v[216:217], -v[210:211], v[212:213], 1.0
	v_fmac_f64_e32 v[212:213], v[212:213], v[216:217]
	v_fma_f64 v[216:217], -v[210:211], v[212:213], 1.0
	v_fmac_f64_e32 v[212:213], v[212:213], v[216:217]
	v_div_scale_f64 v[216:217], vcc, 1.0, v[208:209], 1.0
	v_mul_f64 v[218:219], v[216:217], v[212:213]
	v_fma_f64 v[210:211], -v[210:211], v[218:219], v[216:217]
	s_nop 1
	v_div_fmas_f64 v[210:211], v[210:211], v[212:213], v[218:219]
	v_div_fixup_f64 v[212:213], v[210:211], v[208:209], 1.0
	v_mul_f64 v[214:215], v[214:215], -v[212:213]
.LBB103_340:
	s_or_b64 exec, exec, s[2:3]
	ds_write2_b64 v248, v[212:213], v[214:215] offset1:1
.LBB103_341:
	s_or_b64 exec, exec, s[4:5]
	s_waitcnt lgkmcnt(0)
	s_barrier
	ds_read2_b64 v[200:203], v248 offset1:1
	s_waitcnt lgkmcnt(0)
	scratch_store_dwordx4 off, v[200:203], off offset:948 ; 16-byte Folded Spill
	scratch_load_dword v200, off, off       ; 4-byte Folded Reload
	s_waitcnt vmcnt(0)
	v_cmp_lt_u32_e32 vcc, 37, v200
	s_and_saveexec_b64 s[2:3], vcc
	s_cbranch_execz .LBB103_343
; %bb.342:
	scratch_load_dwordx4 v[200:203], off, off offset:948 ; 16-byte Folded Reload
	ds_read2_b64 v[210:213], v225 offset0:76 offset1:77
	s_waitcnt vmcnt(0)
	v_mul_f64 v[208:209], v[200:201], v[54:55]
	v_fmac_f64_e32 v[208:209], v[202:203], v[52:53]
	v_mul_f64 v[54:55], v[202:203], v[54:55]
	v_fma_f64 v[52:53], v[200:201], v[52:53], -v[54:55]
	s_waitcnt lgkmcnt(0)
	v_mul_f64 v[54:55], v[212:213], v[208:209]
	v_fma_f64 v[54:55], v[210:211], v[52:53], -v[54:55]
	v_mul_f64 v[210:211], v[210:211], v[208:209]
	v_fmac_f64_e32 v[210:211], v[212:213], v[52:53]
	v_add_f64 v[50:51], v[50:51], -v[210:211]
	ds_read2_b64 v[210:213], v225 offset0:78 offset1:79
	v_add_f64 v[48:49], v[48:49], -v[54:55]
	s_waitcnt lgkmcnt(0)
	v_mul_f64 v[54:55], v[212:213], v[208:209]
	v_fma_f64 v[54:55], v[210:211], v[52:53], -v[54:55]
	v_mul_f64 v[210:211], v[210:211], v[208:209]
	v_fmac_f64_e32 v[210:211], v[212:213], v[52:53]
	v_add_f64 v[46:47], v[46:47], -v[210:211]
	ds_read2_b64 v[210:213], v225 offset0:80 offset1:81
	v_add_f64 v[44:45], v[44:45], -v[54:55]
	;; [unrolled: 8-line block ×13, first 2 shown]
	s_waitcnt lgkmcnt(0)
	v_mul_f64 v[54:55], v[212:213], v[208:209]
	v_fma_f64 v[54:55], v[210:211], v[52:53], -v[54:55]
	v_mul_f64 v[210:211], v[210:211], v[208:209]
	v_fmac_f64_e32 v[210:211], v[212:213], v[52:53]
	v_add_f64 v[204:205], v[204:205], -v[54:55]
	v_add_f64 v[206:207], v[206:207], -v[210:211]
	v_mov_b64_e32 v[54:55], v[208:209]
.LBB103_343:
	s_or_b64 exec, exec, s[2:3]
	s_barrier
	scratch_load_dword v200, off, off       ; 4-byte Folded Reload
	s_waitcnt vmcnt(0)
	v_cmp_eq_u32_e32 vcc, 38, v200
	s_and_saveexec_b64 s[4:5], vcc
	s_cbranch_execz .LBB103_350
; %bb.344:
	ds_write2_b64 v248, v[48:49], v[50:51] offset1:1
	ds_write2_b64 v225, v[44:45], v[46:47] offset0:78 offset1:79
	ds_write2_b64 v225, v[40:41], v[42:43] offset0:80 offset1:81
	;; [unrolled: 1-line block ×13, first 2 shown]
	ds_read2_b64 v[208:211], v248 offset1:1
	s_waitcnt lgkmcnt(0)
	v_cmp_neq_f64_e32 vcc, 0, v[208:209]
	v_cmp_neq_f64_e64 s[2:3], 0, v[210:211]
	s_or_b64 s[2:3], vcc, s[2:3]
	s_and_b64 exec, exec, s[2:3]
	s_cbranch_execz .LBB103_350
; %bb.345:
	v_cmp_ngt_f64_e64 s[2:3], |v[208:209]|, |v[210:211]|
                                        ; implicit-def: $vgpr212_vgpr213
	s_and_saveexec_b64 s[10:11], s[2:3]
	s_xor_b64 s[2:3], exec, s[10:11]
                                        ; implicit-def: $vgpr214_vgpr215
	s_cbranch_execz .LBB103_347
; %bb.346:
	v_div_scale_f64 v[212:213], s[10:11], v[210:211], v[210:211], v[208:209]
	v_rcp_f64_e32 v[214:215], v[212:213]
	v_div_scale_f64 v[216:217], vcc, v[208:209], v[210:211], v[208:209]
	v_fma_f64 v[218:219], -v[212:213], v[214:215], 1.0
	v_fmac_f64_e32 v[214:215], v[214:215], v[218:219]
	v_fma_f64 v[218:219], -v[212:213], v[214:215], 1.0
	v_fmac_f64_e32 v[214:215], v[214:215], v[218:219]
	v_mul_f64 v[218:219], v[216:217], v[214:215]
	v_fma_f64 v[212:213], -v[212:213], v[218:219], v[216:217]
	v_div_fmas_f64 v[212:213], v[212:213], v[214:215], v[218:219]
	v_div_fixup_f64 v[212:213], v[212:213], v[210:211], v[208:209]
	v_fmac_f64_e32 v[210:211], v[208:209], v[212:213]
	v_div_scale_f64 v[208:209], s[10:11], v[210:211], v[210:211], 1.0
	v_rcp_f64_e32 v[214:215], v[208:209]
	s_nop 0
	v_fma_f64 v[216:217], -v[208:209], v[214:215], 1.0
	v_fmac_f64_e32 v[214:215], v[214:215], v[216:217]
	v_fma_f64 v[216:217], -v[208:209], v[214:215], 1.0
	v_fmac_f64_e32 v[214:215], v[214:215], v[216:217]
	v_div_scale_f64 v[216:217], vcc, 1.0, v[210:211], 1.0
	v_mul_f64 v[218:219], v[216:217], v[214:215]
	v_fma_f64 v[208:209], -v[208:209], v[218:219], v[216:217]
	s_nop 1
	v_div_fmas_f64 v[208:209], v[208:209], v[214:215], v[218:219]
	v_div_fixup_f64 v[214:215], v[208:209], v[210:211], 1.0
	v_mul_f64 v[212:213], v[212:213], v[214:215]
	v_xor_b32_e32 v215, 0x80000000, v215
                                        ; implicit-def: $vgpr208_vgpr209
.LBB103_347:
	s_andn2_saveexec_b64 s[2:3], s[2:3]
	s_cbranch_execz .LBB103_349
; %bb.348:
	v_div_scale_f64 v[212:213], s[10:11], v[208:209], v[208:209], v[210:211]
	v_rcp_f64_e32 v[214:215], v[212:213]
	v_div_scale_f64 v[216:217], vcc, v[210:211], v[208:209], v[210:211]
	v_fma_f64 v[218:219], -v[212:213], v[214:215], 1.0
	v_fmac_f64_e32 v[214:215], v[214:215], v[218:219]
	v_fma_f64 v[218:219], -v[212:213], v[214:215], 1.0
	v_fmac_f64_e32 v[214:215], v[214:215], v[218:219]
	v_mul_f64 v[218:219], v[216:217], v[214:215]
	v_fma_f64 v[212:213], -v[212:213], v[218:219], v[216:217]
	v_div_fmas_f64 v[212:213], v[212:213], v[214:215], v[218:219]
	v_div_fixup_f64 v[214:215], v[212:213], v[208:209], v[210:211]
	v_fmac_f64_e32 v[208:209], v[210:211], v[214:215]
	v_div_scale_f64 v[210:211], s[10:11], v[208:209], v[208:209], 1.0
	v_rcp_f64_e32 v[212:213], v[210:211]
	s_nop 0
	v_fma_f64 v[216:217], -v[210:211], v[212:213], 1.0
	v_fmac_f64_e32 v[212:213], v[212:213], v[216:217]
	v_fma_f64 v[216:217], -v[210:211], v[212:213], 1.0
	v_fmac_f64_e32 v[212:213], v[212:213], v[216:217]
	v_div_scale_f64 v[216:217], vcc, 1.0, v[208:209], 1.0
	v_mul_f64 v[218:219], v[216:217], v[212:213]
	v_fma_f64 v[210:211], -v[210:211], v[218:219], v[216:217]
	s_nop 1
	v_div_fmas_f64 v[210:211], v[210:211], v[212:213], v[218:219]
	v_div_fixup_f64 v[212:213], v[210:211], v[208:209], 1.0
	v_mul_f64 v[214:215], v[214:215], -v[212:213]
.LBB103_349:
	s_or_b64 exec, exec, s[2:3]
	ds_write2_b64 v248, v[212:213], v[214:215] offset1:1
.LBB103_350:
	s_or_b64 exec, exec, s[4:5]
	s_waitcnt lgkmcnt(0)
	s_barrier
	ds_read2_b64 v[200:203], v248 offset1:1
	s_waitcnt lgkmcnt(0)
	scratch_store_dwordx4 off, v[200:203], off offset:964 ; 16-byte Folded Spill
	scratch_load_dword v200, off, off       ; 4-byte Folded Reload
	s_waitcnt vmcnt(0)
	v_cmp_lt_u32_e32 vcc, 38, v200
	s_and_saveexec_b64 s[2:3], vcc
	s_cbranch_execz .LBB103_352
; %bb.351:
	scratch_load_dwordx4 v[200:203], off, off offset:964 ; 16-byte Folded Reload
	ds_read2_b64 v[210:213], v225 offset0:78 offset1:79
	s_waitcnt vmcnt(0)
	v_mul_f64 v[208:209], v[200:201], v[50:51]
	v_fmac_f64_e32 v[208:209], v[202:203], v[48:49]
	v_mul_f64 v[50:51], v[202:203], v[50:51]
	v_fma_f64 v[48:49], v[200:201], v[48:49], -v[50:51]
	s_waitcnt lgkmcnt(0)
	v_mul_f64 v[50:51], v[212:213], v[208:209]
	v_fma_f64 v[50:51], v[210:211], v[48:49], -v[50:51]
	v_mul_f64 v[210:211], v[210:211], v[208:209]
	v_fmac_f64_e32 v[210:211], v[212:213], v[48:49]
	v_add_f64 v[46:47], v[46:47], -v[210:211]
	ds_read2_b64 v[210:213], v225 offset0:80 offset1:81
	v_add_f64 v[44:45], v[44:45], -v[50:51]
	s_waitcnt lgkmcnt(0)
	v_mul_f64 v[50:51], v[212:213], v[208:209]
	v_fma_f64 v[50:51], v[210:211], v[48:49], -v[50:51]
	v_mul_f64 v[210:211], v[210:211], v[208:209]
	v_fmac_f64_e32 v[210:211], v[212:213], v[48:49]
	v_add_f64 v[42:43], v[42:43], -v[210:211]
	ds_read2_b64 v[210:213], v225 offset0:82 offset1:83
	v_add_f64 v[40:41], v[40:41], -v[50:51]
	s_waitcnt lgkmcnt(0)
	v_mul_f64 v[50:51], v[212:213], v[208:209]
	v_fma_f64 v[50:51], v[210:211], v[48:49], -v[50:51]
	v_mul_f64 v[210:211], v[210:211], v[208:209]
	v_fmac_f64_e32 v[210:211], v[212:213], v[48:49]
	v_add_f64 v[38:39], v[38:39], -v[210:211]
	ds_read2_b64 v[210:213], v225 offset0:84 offset1:85
	v_add_f64 v[36:37], v[36:37], -v[50:51]
	s_waitcnt lgkmcnt(0)
	v_mul_f64 v[50:51], v[212:213], v[208:209]
	v_fma_f64 v[50:51], v[210:211], v[48:49], -v[50:51]
	v_mul_f64 v[210:211], v[210:211], v[208:209]
	v_fmac_f64_e32 v[210:211], v[212:213], v[48:49]
	v_add_f64 v[34:35], v[34:35], -v[210:211]
	ds_read2_b64 v[210:213], v225 offset0:86 offset1:87
	v_add_f64 v[32:33], v[32:33], -v[50:51]
	s_waitcnt lgkmcnt(0)
	v_mul_f64 v[50:51], v[212:213], v[208:209]
	v_fma_f64 v[50:51], v[210:211], v[48:49], -v[50:51]
	v_mul_f64 v[210:211], v[210:211], v[208:209]
	v_fmac_f64_e32 v[210:211], v[212:213], v[48:49]
	v_add_f64 v[30:31], v[30:31], -v[210:211]
	ds_read2_b64 v[210:213], v225 offset0:88 offset1:89
	v_add_f64 v[28:29], v[28:29], -v[50:51]
	s_waitcnt lgkmcnt(0)
	v_mul_f64 v[50:51], v[212:213], v[208:209]
	v_fma_f64 v[50:51], v[210:211], v[48:49], -v[50:51]
	v_mul_f64 v[210:211], v[210:211], v[208:209]
	v_fmac_f64_e32 v[210:211], v[212:213], v[48:49]
	v_add_f64 v[26:27], v[26:27], -v[210:211]
	ds_read2_b64 v[210:213], v225 offset0:90 offset1:91
	v_add_f64 v[24:25], v[24:25], -v[50:51]
	s_waitcnt lgkmcnt(0)
	v_mul_f64 v[50:51], v[212:213], v[208:209]
	v_fma_f64 v[50:51], v[210:211], v[48:49], -v[50:51]
	v_mul_f64 v[210:211], v[210:211], v[208:209]
	v_fmac_f64_e32 v[210:211], v[212:213], v[48:49]
	v_add_f64 v[22:23], v[22:23], -v[210:211]
	ds_read2_b64 v[210:213], v225 offset0:92 offset1:93
	v_add_f64 v[20:21], v[20:21], -v[50:51]
	s_waitcnt lgkmcnt(0)
	v_mul_f64 v[50:51], v[212:213], v[208:209]
	v_fma_f64 v[50:51], v[210:211], v[48:49], -v[50:51]
	v_mul_f64 v[210:211], v[210:211], v[208:209]
	v_fmac_f64_e32 v[210:211], v[212:213], v[48:49]
	v_add_f64 v[18:19], v[18:19], -v[210:211]
	ds_read2_b64 v[210:213], v225 offset0:94 offset1:95
	v_add_f64 v[16:17], v[16:17], -v[50:51]
	s_waitcnt lgkmcnt(0)
	v_mul_f64 v[50:51], v[212:213], v[208:209]
	v_fma_f64 v[50:51], v[210:211], v[48:49], -v[50:51]
	v_mul_f64 v[210:211], v[210:211], v[208:209]
	v_fmac_f64_e32 v[210:211], v[212:213], v[48:49]
	v_add_f64 v[14:15], v[14:15], -v[210:211]
	ds_read2_b64 v[210:213], v225 offset0:96 offset1:97
	v_add_f64 v[12:13], v[12:13], -v[50:51]
	s_waitcnt lgkmcnt(0)
	v_mul_f64 v[50:51], v[212:213], v[208:209]
	v_fma_f64 v[50:51], v[210:211], v[48:49], -v[50:51]
	v_mul_f64 v[210:211], v[210:211], v[208:209]
	v_fmac_f64_e32 v[210:211], v[212:213], v[48:49]
	v_add_f64 v[10:11], v[10:11], -v[210:211]
	ds_read2_b64 v[210:213], v225 offset0:98 offset1:99
	v_add_f64 v[8:9], v[8:9], -v[50:51]
	s_waitcnt lgkmcnt(0)
	v_mul_f64 v[50:51], v[212:213], v[208:209]
	v_fma_f64 v[50:51], v[210:211], v[48:49], -v[50:51]
	v_mul_f64 v[210:211], v[210:211], v[208:209]
	v_fmac_f64_e32 v[210:211], v[212:213], v[48:49]
	v_add_f64 v[6:7], v[6:7], -v[210:211]
	ds_read2_b64 v[210:213], v225 offset0:100 offset1:101
	v_add_f64 v[4:5], v[4:5], -v[50:51]
	s_waitcnt lgkmcnt(0)
	v_mul_f64 v[50:51], v[212:213], v[208:209]
	v_fma_f64 v[50:51], v[210:211], v[48:49], -v[50:51]
	v_mul_f64 v[210:211], v[210:211], v[208:209]
	v_fmac_f64_e32 v[210:211], v[212:213], v[48:49]
	v_add_f64 v[2:3], v[2:3], -v[210:211]
	ds_read2_b64 v[210:213], v225 offset0:102 offset1:103
	v_add_f64 v[0:1], v[0:1], -v[50:51]
	s_waitcnt lgkmcnt(0)
	v_mul_f64 v[50:51], v[212:213], v[208:209]
	v_fma_f64 v[50:51], v[210:211], v[48:49], -v[50:51]
	v_mul_f64 v[210:211], v[210:211], v[208:209]
	v_fmac_f64_e32 v[210:211], v[212:213], v[48:49]
	v_add_f64 v[204:205], v[204:205], -v[50:51]
	v_add_f64 v[206:207], v[206:207], -v[210:211]
	v_mov_b64_e32 v[50:51], v[208:209]
.LBB103_352:
	s_or_b64 exec, exec, s[2:3]
	s_barrier
	scratch_load_dword v200, off, off       ; 4-byte Folded Reload
	s_waitcnt vmcnt(0)
	v_cmp_eq_u32_e32 vcc, 39, v200
	s_and_saveexec_b64 s[4:5], vcc
	s_cbranch_execz .LBB103_359
; %bb.353:
	ds_write2_b64 v248, v[44:45], v[46:47] offset1:1
	ds_write2_b64 v225, v[40:41], v[42:43] offset0:80 offset1:81
	ds_write2_b64 v225, v[36:37], v[38:39] offset0:82 offset1:83
	;; [unrolled: 1-line block ×12, first 2 shown]
	ds_read2_b64 v[208:211], v248 offset1:1
	s_waitcnt lgkmcnt(0)
	v_cmp_neq_f64_e32 vcc, 0, v[208:209]
	v_cmp_neq_f64_e64 s[2:3], 0, v[210:211]
	s_or_b64 s[2:3], vcc, s[2:3]
	s_and_b64 exec, exec, s[2:3]
	s_cbranch_execz .LBB103_359
; %bb.354:
	v_cmp_ngt_f64_e64 s[2:3], |v[208:209]|, |v[210:211]|
                                        ; implicit-def: $vgpr212_vgpr213
	s_and_saveexec_b64 s[10:11], s[2:3]
	s_xor_b64 s[2:3], exec, s[10:11]
                                        ; implicit-def: $vgpr214_vgpr215
	s_cbranch_execz .LBB103_356
; %bb.355:
	v_div_scale_f64 v[212:213], s[10:11], v[210:211], v[210:211], v[208:209]
	v_rcp_f64_e32 v[214:215], v[212:213]
	v_div_scale_f64 v[216:217], vcc, v[208:209], v[210:211], v[208:209]
	v_fma_f64 v[218:219], -v[212:213], v[214:215], 1.0
	v_fmac_f64_e32 v[214:215], v[214:215], v[218:219]
	v_fma_f64 v[218:219], -v[212:213], v[214:215], 1.0
	v_fmac_f64_e32 v[214:215], v[214:215], v[218:219]
	v_mul_f64 v[218:219], v[216:217], v[214:215]
	v_fma_f64 v[212:213], -v[212:213], v[218:219], v[216:217]
	v_div_fmas_f64 v[212:213], v[212:213], v[214:215], v[218:219]
	v_div_fixup_f64 v[212:213], v[212:213], v[210:211], v[208:209]
	v_fmac_f64_e32 v[210:211], v[208:209], v[212:213]
	v_div_scale_f64 v[208:209], s[10:11], v[210:211], v[210:211], 1.0
	v_rcp_f64_e32 v[214:215], v[208:209]
	s_nop 0
	v_fma_f64 v[216:217], -v[208:209], v[214:215], 1.0
	v_fmac_f64_e32 v[214:215], v[214:215], v[216:217]
	v_fma_f64 v[216:217], -v[208:209], v[214:215], 1.0
	v_fmac_f64_e32 v[214:215], v[214:215], v[216:217]
	v_div_scale_f64 v[216:217], vcc, 1.0, v[210:211], 1.0
	v_mul_f64 v[218:219], v[216:217], v[214:215]
	v_fma_f64 v[208:209], -v[208:209], v[218:219], v[216:217]
	s_nop 1
	v_div_fmas_f64 v[208:209], v[208:209], v[214:215], v[218:219]
	v_div_fixup_f64 v[214:215], v[208:209], v[210:211], 1.0
	v_mul_f64 v[212:213], v[212:213], v[214:215]
	v_xor_b32_e32 v215, 0x80000000, v215
                                        ; implicit-def: $vgpr208_vgpr209
.LBB103_356:
	s_andn2_saveexec_b64 s[2:3], s[2:3]
	s_cbranch_execz .LBB103_358
; %bb.357:
	v_div_scale_f64 v[212:213], s[10:11], v[208:209], v[208:209], v[210:211]
	v_rcp_f64_e32 v[214:215], v[212:213]
	v_div_scale_f64 v[216:217], vcc, v[210:211], v[208:209], v[210:211]
	v_fma_f64 v[218:219], -v[212:213], v[214:215], 1.0
	v_fmac_f64_e32 v[214:215], v[214:215], v[218:219]
	v_fma_f64 v[218:219], -v[212:213], v[214:215], 1.0
	v_fmac_f64_e32 v[214:215], v[214:215], v[218:219]
	v_mul_f64 v[218:219], v[216:217], v[214:215]
	v_fma_f64 v[212:213], -v[212:213], v[218:219], v[216:217]
	v_div_fmas_f64 v[212:213], v[212:213], v[214:215], v[218:219]
	v_div_fixup_f64 v[214:215], v[212:213], v[208:209], v[210:211]
	v_fmac_f64_e32 v[208:209], v[210:211], v[214:215]
	v_div_scale_f64 v[210:211], s[10:11], v[208:209], v[208:209], 1.0
	v_rcp_f64_e32 v[212:213], v[210:211]
	s_nop 0
	v_fma_f64 v[216:217], -v[210:211], v[212:213], 1.0
	v_fmac_f64_e32 v[212:213], v[212:213], v[216:217]
	v_fma_f64 v[216:217], -v[210:211], v[212:213], 1.0
	v_fmac_f64_e32 v[212:213], v[212:213], v[216:217]
	v_div_scale_f64 v[216:217], vcc, 1.0, v[208:209], 1.0
	v_mul_f64 v[218:219], v[216:217], v[212:213]
	v_fma_f64 v[210:211], -v[210:211], v[218:219], v[216:217]
	s_nop 1
	v_div_fmas_f64 v[210:211], v[210:211], v[212:213], v[218:219]
	v_div_fixup_f64 v[212:213], v[210:211], v[208:209], 1.0
	v_mul_f64 v[214:215], v[214:215], -v[212:213]
.LBB103_358:
	s_or_b64 exec, exec, s[2:3]
	ds_write2_b64 v248, v[212:213], v[214:215] offset1:1
.LBB103_359:
	s_or_b64 exec, exec, s[4:5]
	s_waitcnt lgkmcnt(0)
	s_barrier
	ds_read2_b64 v[200:203], v248 offset1:1
	s_waitcnt lgkmcnt(0)
	scratch_store_dwordx4 off, v[200:203], off offset:980 ; 16-byte Folded Spill
	scratch_load_dword v200, off, off       ; 4-byte Folded Reload
	s_waitcnt vmcnt(0)
	v_cmp_lt_u32_e32 vcc, 39, v200
	s_and_saveexec_b64 s[2:3], vcc
	s_cbranch_execz .LBB103_361
; %bb.360:
	scratch_load_dwordx4 v[200:203], off, off offset:980 ; 16-byte Folded Reload
	ds_read2_b64 v[210:213], v225 offset0:80 offset1:81
	s_waitcnt vmcnt(0)
	v_mul_f64 v[208:209], v[200:201], v[46:47]
	v_fmac_f64_e32 v[208:209], v[202:203], v[44:45]
	v_mul_f64 v[46:47], v[202:203], v[46:47]
	v_fma_f64 v[44:45], v[200:201], v[44:45], -v[46:47]
	s_waitcnt lgkmcnt(0)
	v_mul_f64 v[46:47], v[212:213], v[208:209]
	v_fma_f64 v[46:47], v[210:211], v[44:45], -v[46:47]
	v_mul_f64 v[210:211], v[210:211], v[208:209]
	v_fmac_f64_e32 v[210:211], v[212:213], v[44:45]
	v_add_f64 v[42:43], v[42:43], -v[210:211]
	ds_read2_b64 v[210:213], v225 offset0:82 offset1:83
	v_add_f64 v[40:41], v[40:41], -v[46:47]
	s_waitcnt lgkmcnt(0)
	v_mul_f64 v[46:47], v[212:213], v[208:209]
	v_fma_f64 v[46:47], v[210:211], v[44:45], -v[46:47]
	v_mul_f64 v[210:211], v[210:211], v[208:209]
	v_fmac_f64_e32 v[210:211], v[212:213], v[44:45]
	v_add_f64 v[38:39], v[38:39], -v[210:211]
	ds_read2_b64 v[210:213], v225 offset0:84 offset1:85
	v_add_f64 v[36:37], v[36:37], -v[46:47]
	;; [unrolled: 8-line block ×11, first 2 shown]
	s_waitcnt lgkmcnt(0)
	v_mul_f64 v[46:47], v[212:213], v[208:209]
	v_fma_f64 v[46:47], v[210:211], v[44:45], -v[46:47]
	v_mul_f64 v[210:211], v[210:211], v[208:209]
	v_fmac_f64_e32 v[210:211], v[212:213], v[44:45]
	v_add_f64 v[204:205], v[204:205], -v[46:47]
	v_add_f64 v[206:207], v[206:207], -v[210:211]
	v_mov_b64_e32 v[46:47], v[208:209]
.LBB103_361:
	s_or_b64 exec, exec, s[2:3]
	s_barrier
	scratch_load_dword v200, off, off       ; 4-byte Folded Reload
	s_waitcnt vmcnt(0)
	v_cmp_eq_u32_e32 vcc, 40, v200
	s_and_saveexec_b64 s[4:5], vcc
	s_cbranch_execz .LBB103_368
; %bb.362:
	ds_write2_b64 v248, v[40:41], v[42:43] offset1:1
	ds_write2_b64 v225, v[36:37], v[38:39] offset0:82 offset1:83
	ds_write2_b64 v225, v[32:33], v[34:35] offset0:84 offset1:85
	;; [unrolled: 1-line block ×11, first 2 shown]
	ds_read2_b64 v[208:211], v248 offset1:1
	s_waitcnt lgkmcnt(0)
	v_cmp_neq_f64_e32 vcc, 0, v[208:209]
	v_cmp_neq_f64_e64 s[2:3], 0, v[210:211]
	s_or_b64 s[2:3], vcc, s[2:3]
	s_and_b64 exec, exec, s[2:3]
	s_cbranch_execz .LBB103_368
; %bb.363:
	v_cmp_ngt_f64_e64 s[2:3], |v[208:209]|, |v[210:211]|
                                        ; implicit-def: $vgpr212_vgpr213
	s_and_saveexec_b64 s[10:11], s[2:3]
	s_xor_b64 s[2:3], exec, s[10:11]
                                        ; implicit-def: $vgpr214_vgpr215
	s_cbranch_execz .LBB103_365
; %bb.364:
	v_div_scale_f64 v[212:213], s[10:11], v[210:211], v[210:211], v[208:209]
	v_rcp_f64_e32 v[214:215], v[212:213]
	v_div_scale_f64 v[216:217], vcc, v[208:209], v[210:211], v[208:209]
	v_fma_f64 v[218:219], -v[212:213], v[214:215], 1.0
	v_fmac_f64_e32 v[214:215], v[214:215], v[218:219]
	v_fma_f64 v[218:219], -v[212:213], v[214:215], 1.0
	v_fmac_f64_e32 v[214:215], v[214:215], v[218:219]
	v_mul_f64 v[218:219], v[216:217], v[214:215]
	v_fma_f64 v[212:213], -v[212:213], v[218:219], v[216:217]
	v_div_fmas_f64 v[212:213], v[212:213], v[214:215], v[218:219]
	v_div_fixup_f64 v[212:213], v[212:213], v[210:211], v[208:209]
	v_fmac_f64_e32 v[210:211], v[208:209], v[212:213]
	v_div_scale_f64 v[208:209], s[10:11], v[210:211], v[210:211], 1.0
	v_rcp_f64_e32 v[214:215], v[208:209]
	s_nop 0
	v_fma_f64 v[216:217], -v[208:209], v[214:215], 1.0
	v_fmac_f64_e32 v[214:215], v[214:215], v[216:217]
	v_fma_f64 v[216:217], -v[208:209], v[214:215], 1.0
	v_fmac_f64_e32 v[214:215], v[214:215], v[216:217]
	v_div_scale_f64 v[216:217], vcc, 1.0, v[210:211], 1.0
	v_mul_f64 v[218:219], v[216:217], v[214:215]
	v_fma_f64 v[208:209], -v[208:209], v[218:219], v[216:217]
	s_nop 1
	v_div_fmas_f64 v[208:209], v[208:209], v[214:215], v[218:219]
	v_div_fixup_f64 v[214:215], v[208:209], v[210:211], 1.0
	v_mul_f64 v[212:213], v[212:213], v[214:215]
	v_xor_b32_e32 v215, 0x80000000, v215
                                        ; implicit-def: $vgpr208_vgpr209
.LBB103_365:
	s_andn2_saveexec_b64 s[2:3], s[2:3]
	s_cbranch_execz .LBB103_367
; %bb.366:
	v_div_scale_f64 v[212:213], s[10:11], v[208:209], v[208:209], v[210:211]
	v_rcp_f64_e32 v[214:215], v[212:213]
	v_div_scale_f64 v[216:217], vcc, v[210:211], v[208:209], v[210:211]
	v_fma_f64 v[218:219], -v[212:213], v[214:215], 1.0
	v_fmac_f64_e32 v[214:215], v[214:215], v[218:219]
	v_fma_f64 v[218:219], -v[212:213], v[214:215], 1.0
	v_fmac_f64_e32 v[214:215], v[214:215], v[218:219]
	v_mul_f64 v[218:219], v[216:217], v[214:215]
	v_fma_f64 v[212:213], -v[212:213], v[218:219], v[216:217]
	v_div_fmas_f64 v[212:213], v[212:213], v[214:215], v[218:219]
	v_div_fixup_f64 v[214:215], v[212:213], v[208:209], v[210:211]
	v_fmac_f64_e32 v[208:209], v[210:211], v[214:215]
	v_div_scale_f64 v[210:211], s[10:11], v[208:209], v[208:209], 1.0
	v_rcp_f64_e32 v[212:213], v[210:211]
	s_nop 0
	v_fma_f64 v[216:217], -v[210:211], v[212:213], 1.0
	v_fmac_f64_e32 v[212:213], v[212:213], v[216:217]
	v_fma_f64 v[216:217], -v[210:211], v[212:213], 1.0
	v_fmac_f64_e32 v[212:213], v[212:213], v[216:217]
	v_div_scale_f64 v[216:217], vcc, 1.0, v[208:209], 1.0
	v_mul_f64 v[218:219], v[216:217], v[212:213]
	v_fma_f64 v[210:211], -v[210:211], v[218:219], v[216:217]
	s_nop 1
	v_div_fmas_f64 v[210:211], v[210:211], v[212:213], v[218:219]
	v_div_fixup_f64 v[212:213], v[210:211], v[208:209], 1.0
	v_mul_f64 v[214:215], v[214:215], -v[212:213]
.LBB103_367:
	s_or_b64 exec, exec, s[2:3]
	ds_write2_b64 v248, v[212:213], v[214:215] offset1:1
.LBB103_368:
	s_or_b64 exec, exec, s[4:5]
	s_waitcnt lgkmcnt(0)
	s_barrier
	ds_read2_b64 v[200:203], v248 offset1:1
	s_waitcnt lgkmcnt(0)
	scratch_store_dwordx4 off, v[200:203], off offset:996 ; 16-byte Folded Spill
	scratch_load_dword v200, off, off       ; 4-byte Folded Reload
	s_waitcnt vmcnt(0)
	v_cmp_lt_u32_e32 vcc, 40, v200
	s_and_saveexec_b64 s[2:3], vcc
	s_cbranch_execz .LBB103_370
; %bb.369:
	scratch_load_dwordx4 v[200:203], off, off offset:996 ; 16-byte Folded Reload
	ds_read2_b64 v[210:213], v225 offset0:82 offset1:83
	s_waitcnt vmcnt(0)
	v_mul_f64 v[208:209], v[200:201], v[42:43]
	v_fmac_f64_e32 v[208:209], v[202:203], v[40:41]
	v_mul_f64 v[42:43], v[202:203], v[42:43]
	v_fma_f64 v[40:41], v[200:201], v[40:41], -v[42:43]
	s_waitcnt lgkmcnt(0)
	v_mul_f64 v[42:43], v[212:213], v[208:209]
	v_fma_f64 v[42:43], v[210:211], v[40:41], -v[42:43]
	v_mul_f64 v[210:211], v[210:211], v[208:209]
	v_fmac_f64_e32 v[210:211], v[212:213], v[40:41]
	v_add_f64 v[38:39], v[38:39], -v[210:211]
	ds_read2_b64 v[210:213], v225 offset0:84 offset1:85
	v_add_f64 v[36:37], v[36:37], -v[42:43]
	s_waitcnt lgkmcnt(0)
	v_mul_f64 v[42:43], v[212:213], v[208:209]
	v_fma_f64 v[42:43], v[210:211], v[40:41], -v[42:43]
	v_mul_f64 v[210:211], v[210:211], v[208:209]
	v_fmac_f64_e32 v[210:211], v[212:213], v[40:41]
	v_add_f64 v[34:35], v[34:35], -v[210:211]
	ds_read2_b64 v[210:213], v225 offset0:86 offset1:87
	v_add_f64 v[32:33], v[32:33], -v[42:43]
	;; [unrolled: 8-line block ×10, first 2 shown]
	s_waitcnt lgkmcnt(0)
	v_mul_f64 v[42:43], v[212:213], v[208:209]
	v_fma_f64 v[42:43], v[210:211], v[40:41], -v[42:43]
	v_mul_f64 v[210:211], v[210:211], v[208:209]
	v_fmac_f64_e32 v[210:211], v[212:213], v[40:41]
	v_add_f64 v[204:205], v[204:205], -v[42:43]
	v_add_f64 v[206:207], v[206:207], -v[210:211]
	v_mov_b64_e32 v[42:43], v[208:209]
.LBB103_370:
	s_or_b64 exec, exec, s[2:3]
	s_barrier
	scratch_load_dword v200, off, off       ; 4-byte Folded Reload
	s_waitcnt vmcnt(0)
	v_cmp_eq_u32_e32 vcc, 41, v200
	s_and_saveexec_b64 s[4:5], vcc
	s_cbranch_execz .LBB103_377
; %bb.371:
	ds_write2_b64 v248, v[36:37], v[38:39] offset1:1
	ds_write2_b64 v225, v[32:33], v[34:35] offset0:84 offset1:85
	ds_write2_b64 v225, v[28:29], v[30:31] offset0:86 offset1:87
	;; [unrolled: 1-line block ×10, first 2 shown]
	ds_read2_b64 v[208:211], v248 offset1:1
	s_waitcnt lgkmcnt(0)
	v_cmp_neq_f64_e32 vcc, 0, v[208:209]
	v_cmp_neq_f64_e64 s[2:3], 0, v[210:211]
	s_or_b64 s[2:3], vcc, s[2:3]
	s_and_b64 exec, exec, s[2:3]
	s_cbranch_execz .LBB103_377
; %bb.372:
	v_cmp_ngt_f64_e64 s[2:3], |v[208:209]|, |v[210:211]|
                                        ; implicit-def: $vgpr212_vgpr213
	s_and_saveexec_b64 s[10:11], s[2:3]
	s_xor_b64 s[2:3], exec, s[10:11]
                                        ; implicit-def: $vgpr214_vgpr215
	s_cbranch_execz .LBB103_374
; %bb.373:
	v_div_scale_f64 v[212:213], s[10:11], v[210:211], v[210:211], v[208:209]
	v_rcp_f64_e32 v[214:215], v[212:213]
	v_div_scale_f64 v[216:217], vcc, v[208:209], v[210:211], v[208:209]
	v_fma_f64 v[218:219], -v[212:213], v[214:215], 1.0
	v_fmac_f64_e32 v[214:215], v[214:215], v[218:219]
	v_fma_f64 v[218:219], -v[212:213], v[214:215], 1.0
	v_fmac_f64_e32 v[214:215], v[214:215], v[218:219]
	v_mul_f64 v[218:219], v[216:217], v[214:215]
	v_fma_f64 v[212:213], -v[212:213], v[218:219], v[216:217]
	v_div_fmas_f64 v[212:213], v[212:213], v[214:215], v[218:219]
	v_div_fixup_f64 v[212:213], v[212:213], v[210:211], v[208:209]
	v_fmac_f64_e32 v[210:211], v[208:209], v[212:213]
	v_div_scale_f64 v[208:209], s[10:11], v[210:211], v[210:211], 1.0
	v_rcp_f64_e32 v[214:215], v[208:209]
	s_nop 0
	v_fma_f64 v[216:217], -v[208:209], v[214:215], 1.0
	v_fmac_f64_e32 v[214:215], v[214:215], v[216:217]
	v_fma_f64 v[216:217], -v[208:209], v[214:215], 1.0
	v_fmac_f64_e32 v[214:215], v[214:215], v[216:217]
	v_div_scale_f64 v[216:217], vcc, 1.0, v[210:211], 1.0
	v_mul_f64 v[218:219], v[216:217], v[214:215]
	v_fma_f64 v[208:209], -v[208:209], v[218:219], v[216:217]
	s_nop 1
	v_div_fmas_f64 v[208:209], v[208:209], v[214:215], v[218:219]
	v_div_fixup_f64 v[214:215], v[208:209], v[210:211], 1.0
	v_mul_f64 v[212:213], v[212:213], v[214:215]
	v_xor_b32_e32 v215, 0x80000000, v215
                                        ; implicit-def: $vgpr208_vgpr209
.LBB103_374:
	s_andn2_saveexec_b64 s[2:3], s[2:3]
	s_cbranch_execz .LBB103_376
; %bb.375:
	v_div_scale_f64 v[212:213], s[10:11], v[208:209], v[208:209], v[210:211]
	v_rcp_f64_e32 v[214:215], v[212:213]
	v_div_scale_f64 v[216:217], vcc, v[210:211], v[208:209], v[210:211]
	v_fma_f64 v[218:219], -v[212:213], v[214:215], 1.0
	v_fmac_f64_e32 v[214:215], v[214:215], v[218:219]
	v_fma_f64 v[218:219], -v[212:213], v[214:215], 1.0
	v_fmac_f64_e32 v[214:215], v[214:215], v[218:219]
	v_mul_f64 v[218:219], v[216:217], v[214:215]
	v_fma_f64 v[212:213], -v[212:213], v[218:219], v[216:217]
	v_div_fmas_f64 v[212:213], v[212:213], v[214:215], v[218:219]
	v_div_fixup_f64 v[214:215], v[212:213], v[208:209], v[210:211]
	v_fmac_f64_e32 v[208:209], v[210:211], v[214:215]
	v_div_scale_f64 v[210:211], s[10:11], v[208:209], v[208:209], 1.0
	v_rcp_f64_e32 v[212:213], v[210:211]
	s_nop 0
	v_fma_f64 v[216:217], -v[210:211], v[212:213], 1.0
	v_fmac_f64_e32 v[212:213], v[212:213], v[216:217]
	v_fma_f64 v[216:217], -v[210:211], v[212:213], 1.0
	v_fmac_f64_e32 v[212:213], v[212:213], v[216:217]
	v_div_scale_f64 v[216:217], vcc, 1.0, v[208:209], 1.0
	v_mul_f64 v[218:219], v[216:217], v[212:213]
	v_fma_f64 v[210:211], -v[210:211], v[218:219], v[216:217]
	s_nop 1
	v_div_fmas_f64 v[210:211], v[210:211], v[212:213], v[218:219]
	v_div_fixup_f64 v[212:213], v[210:211], v[208:209], 1.0
	v_mul_f64 v[214:215], v[214:215], -v[212:213]
.LBB103_376:
	s_or_b64 exec, exec, s[2:3]
	ds_write2_b64 v248, v[212:213], v[214:215] offset1:1
.LBB103_377:
	s_or_b64 exec, exec, s[4:5]
	s_waitcnt lgkmcnt(0)
	s_barrier
	ds_read2_b64 v[200:203], v248 offset1:1
	s_waitcnt lgkmcnt(0)
	scratch_store_dwordx4 off, v[200:203], off offset:1012 ; 16-byte Folded Spill
	scratch_load_dword v200, off, off       ; 4-byte Folded Reload
	s_waitcnt vmcnt(0)
	v_cmp_lt_u32_e32 vcc, 41, v200
	s_and_saveexec_b64 s[2:3], vcc
	s_cbranch_execz .LBB103_379
; %bb.378:
	scratch_load_dwordx4 v[200:203], off, off offset:1012 ; 16-byte Folded Reload
	ds_read2_b64 v[210:213], v225 offset0:84 offset1:85
	s_waitcnt vmcnt(0)
	v_mul_f64 v[208:209], v[200:201], v[38:39]
	v_fmac_f64_e32 v[208:209], v[202:203], v[36:37]
	v_mul_f64 v[38:39], v[202:203], v[38:39]
	v_fma_f64 v[36:37], v[200:201], v[36:37], -v[38:39]
	s_waitcnt lgkmcnt(0)
	v_mul_f64 v[38:39], v[212:213], v[208:209]
	v_fma_f64 v[38:39], v[210:211], v[36:37], -v[38:39]
	v_mul_f64 v[210:211], v[210:211], v[208:209]
	v_fmac_f64_e32 v[210:211], v[212:213], v[36:37]
	v_add_f64 v[34:35], v[34:35], -v[210:211]
	ds_read2_b64 v[210:213], v225 offset0:86 offset1:87
	v_add_f64 v[32:33], v[32:33], -v[38:39]
	s_waitcnt lgkmcnt(0)
	v_mul_f64 v[38:39], v[212:213], v[208:209]
	v_fma_f64 v[38:39], v[210:211], v[36:37], -v[38:39]
	v_mul_f64 v[210:211], v[210:211], v[208:209]
	v_fmac_f64_e32 v[210:211], v[212:213], v[36:37]
	v_add_f64 v[30:31], v[30:31], -v[210:211]
	ds_read2_b64 v[210:213], v225 offset0:88 offset1:89
	v_add_f64 v[28:29], v[28:29], -v[38:39]
	;; [unrolled: 8-line block ×9, first 2 shown]
	s_waitcnt lgkmcnt(0)
	v_mul_f64 v[38:39], v[212:213], v[208:209]
	v_fma_f64 v[38:39], v[210:211], v[36:37], -v[38:39]
	v_mul_f64 v[210:211], v[210:211], v[208:209]
	v_fmac_f64_e32 v[210:211], v[212:213], v[36:37]
	v_add_f64 v[204:205], v[204:205], -v[38:39]
	v_add_f64 v[206:207], v[206:207], -v[210:211]
	v_mov_b64_e32 v[38:39], v[208:209]
.LBB103_379:
	s_or_b64 exec, exec, s[2:3]
	s_barrier
	scratch_load_dword v200, off, off       ; 4-byte Folded Reload
	s_waitcnt vmcnt(0)
	v_cmp_eq_u32_e32 vcc, 42, v200
	s_and_saveexec_b64 s[4:5], vcc
	s_cbranch_execz .LBB103_386
; %bb.380:
	ds_write2_b64 v248, v[32:33], v[34:35] offset1:1
	ds_write2_b64 v225, v[28:29], v[30:31] offset0:86 offset1:87
	ds_write2_b64 v225, v[24:25], v[26:27] offset0:88 offset1:89
	;; [unrolled: 1-line block ×9, first 2 shown]
	ds_read2_b64 v[208:211], v248 offset1:1
	s_waitcnt lgkmcnt(0)
	v_cmp_neq_f64_e32 vcc, 0, v[208:209]
	v_cmp_neq_f64_e64 s[2:3], 0, v[210:211]
	s_or_b64 s[2:3], vcc, s[2:3]
	s_and_b64 exec, exec, s[2:3]
	s_cbranch_execz .LBB103_386
; %bb.381:
	v_cmp_ngt_f64_e64 s[2:3], |v[208:209]|, |v[210:211]|
                                        ; implicit-def: $vgpr212_vgpr213
	s_and_saveexec_b64 s[10:11], s[2:3]
	s_xor_b64 s[2:3], exec, s[10:11]
                                        ; implicit-def: $vgpr214_vgpr215
	s_cbranch_execz .LBB103_383
; %bb.382:
	v_div_scale_f64 v[212:213], s[10:11], v[210:211], v[210:211], v[208:209]
	v_rcp_f64_e32 v[214:215], v[212:213]
	v_div_scale_f64 v[216:217], vcc, v[208:209], v[210:211], v[208:209]
	v_fma_f64 v[218:219], -v[212:213], v[214:215], 1.0
	v_fmac_f64_e32 v[214:215], v[214:215], v[218:219]
	v_fma_f64 v[218:219], -v[212:213], v[214:215], 1.0
	v_fmac_f64_e32 v[214:215], v[214:215], v[218:219]
	v_mul_f64 v[218:219], v[216:217], v[214:215]
	v_fma_f64 v[212:213], -v[212:213], v[218:219], v[216:217]
	v_div_fmas_f64 v[212:213], v[212:213], v[214:215], v[218:219]
	v_div_fixup_f64 v[212:213], v[212:213], v[210:211], v[208:209]
	v_fmac_f64_e32 v[210:211], v[208:209], v[212:213]
	v_div_scale_f64 v[208:209], s[10:11], v[210:211], v[210:211], 1.0
	v_rcp_f64_e32 v[214:215], v[208:209]
	s_nop 0
	v_fma_f64 v[216:217], -v[208:209], v[214:215], 1.0
	v_fmac_f64_e32 v[214:215], v[214:215], v[216:217]
	v_fma_f64 v[216:217], -v[208:209], v[214:215], 1.0
	v_fmac_f64_e32 v[214:215], v[214:215], v[216:217]
	v_div_scale_f64 v[216:217], vcc, 1.0, v[210:211], 1.0
	v_mul_f64 v[218:219], v[216:217], v[214:215]
	v_fma_f64 v[208:209], -v[208:209], v[218:219], v[216:217]
	s_nop 1
	v_div_fmas_f64 v[208:209], v[208:209], v[214:215], v[218:219]
	v_div_fixup_f64 v[214:215], v[208:209], v[210:211], 1.0
	v_mul_f64 v[212:213], v[212:213], v[214:215]
	v_xor_b32_e32 v215, 0x80000000, v215
                                        ; implicit-def: $vgpr208_vgpr209
.LBB103_383:
	s_andn2_saveexec_b64 s[2:3], s[2:3]
	s_cbranch_execz .LBB103_385
; %bb.384:
	v_div_scale_f64 v[212:213], s[10:11], v[208:209], v[208:209], v[210:211]
	v_rcp_f64_e32 v[214:215], v[212:213]
	v_div_scale_f64 v[216:217], vcc, v[210:211], v[208:209], v[210:211]
	v_fma_f64 v[218:219], -v[212:213], v[214:215], 1.0
	v_fmac_f64_e32 v[214:215], v[214:215], v[218:219]
	v_fma_f64 v[218:219], -v[212:213], v[214:215], 1.0
	v_fmac_f64_e32 v[214:215], v[214:215], v[218:219]
	v_mul_f64 v[218:219], v[216:217], v[214:215]
	v_fma_f64 v[212:213], -v[212:213], v[218:219], v[216:217]
	v_div_fmas_f64 v[212:213], v[212:213], v[214:215], v[218:219]
	v_div_fixup_f64 v[214:215], v[212:213], v[208:209], v[210:211]
	v_fmac_f64_e32 v[208:209], v[210:211], v[214:215]
	v_div_scale_f64 v[210:211], s[10:11], v[208:209], v[208:209], 1.0
	v_rcp_f64_e32 v[212:213], v[210:211]
	s_nop 0
	v_fma_f64 v[216:217], -v[210:211], v[212:213], 1.0
	v_fmac_f64_e32 v[212:213], v[212:213], v[216:217]
	v_fma_f64 v[216:217], -v[210:211], v[212:213], 1.0
	v_fmac_f64_e32 v[212:213], v[212:213], v[216:217]
	v_div_scale_f64 v[216:217], vcc, 1.0, v[208:209], 1.0
	v_mul_f64 v[218:219], v[216:217], v[212:213]
	v_fma_f64 v[210:211], -v[210:211], v[218:219], v[216:217]
	s_nop 1
	v_div_fmas_f64 v[210:211], v[210:211], v[212:213], v[218:219]
	v_div_fixup_f64 v[212:213], v[210:211], v[208:209], 1.0
	v_mul_f64 v[214:215], v[214:215], -v[212:213]
.LBB103_385:
	s_or_b64 exec, exec, s[2:3]
	ds_write2_b64 v248, v[212:213], v[214:215] offset1:1
.LBB103_386:
	s_or_b64 exec, exec, s[4:5]
	s_waitcnt lgkmcnt(0)
	s_barrier
	ds_read2_b64 v[200:203], v248 offset1:1
	s_waitcnt lgkmcnt(0)
	scratch_store_dwordx4 off, v[200:203], off offset:1028 ; 16-byte Folded Spill
	scratch_load_dword v200, off, off       ; 4-byte Folded Reload
	s_waitcnt vmcnt(0)
	v_cmp_lt_u32_e32 vcc, 42, v200
	s_and_saveexec_b64 s[2:3], vcc
	s_cbranch_execz .LBB103_388
; %bb.387:
	scratch_load_dwordx4 v[200:203], off, off offset:1028 ; 16-byte Folded Reload
	ds_read2_b64 v[210:213], v225 offset0:86 offset1:87
	s_waitcnt vmcnt(0)
	v_mul_f64 v[208:209], v[200:201], v[34:35]
	v_fmac_f64_e32 v[208:209], v[202:203], v[32:33]
	v_mul_f64 v[34:35], v[202:203], v[34:35]
	v_fma_f64 v[32:33], v[200:201], v[32:33], -v[34:35]
	s_waitcnt lgkmcnt(0)
	v_mul_f64 v[34:35], v[212:213], v[208:209]
	v_fma_f64 v[34:35], v[210:211], v[32:33], -v[34:35]
	v_mul_f64 v[210:211], v[210:211], v[208:209]
	v_fmac_f64_e32 v[210:211], v[212:213], v[32:33]
	v_add_f64 v[30:31], v[30:31], -v[210:211]
	ds_read2_b64 v[210:213], v225 offset0:88 offset1:89
	v_add_f64 v[28:29], v[28:29], -v[34:35]
	s_waitcnt lgkmcnt(0)
	v_mul_f64 v[34:35], v[212:213], v[208:209]
	v_fma_f64 v[34:35], v[210:211], v[32:33], -v[34:35]
	v_mul_f64 v[210:211], v[210:211], v[208:209]
	v_fmac_f64_e32 v[210:211], v[212:213], v[32:33]
	v_add_f64 v[26:27], v[26:27], -v[210:211]
	ds_read2_b64 v[210:213], v225 offset0:90 offset1:91
	v_add_f64 v[24:25], v[24:25], -v[34:35]
	;; [unrolled: 8-line block ×8, first 2 shown]
	s_waitcnt lgkmcnt(0)
	v_mul_f64 v[34:35], v[212:213], v[208:209]
	v_fma_f64 v[34:35], v[210:211], v[32:33], -v[34:35]
	v_mul_f64 v[210:211], v[210:211], v[208:209]
	v_fmac_f64_e32 v[210:211], v[212:213], v[32:33]
	v_add_f64 v[204:205], v[204:205], -v[34:35]
	v_add_f64 v[206:207], v[206:207], -v[210:211]
	v_mov_b64_e32 v[34:35], v[208:209]
.LBB103_388:
	s_or_b64 exec, exec, s[2:3]
	s_barrier
	scratch_load_dword v200, off, off       ; 4-byte Folded Reload
	s_waitcnt vmcnt(0)
	v_cmp_eq_u32_e32 vcc, 43, v200
	s_and_saveexec_b64 s[4:5], vcc
	s_cbranch_execz .LBB103_395
; %bb.389:
	ds_write2_b64 v248, v[28:29], v[30:31] offset1:1
	ds_write2_b64 v225, v[24:25], v[26:27] offset0:88 offset1:89
	ds_write2_b64 v225, v[20:21], v[22:23] offset0:90 offset1:91
	;; [unrolled: 1-line block ×8, first 2 shown]
	ds_read2_b64 v[208:211], v248 offset1:1
	s_waitcnt lgkmcnt(0)
	v_cmp_neq_f64_e32 vcc, 0, v[208:209]
	v_cmp_neq_f64_e64 s[2:3], 0, v[210:211]
	s_or_b64 s[2:3], vcc, s[2:3]
	s_and_b64 exec, exec, s[2:3]
	s_cbranch_execz .LBB103_395
; %bb.390:
	v_cmp_ngt_f64_e64 s[2:3], |v[208:209]|, |v[210:211]|
                                        ; implicit-def: $vgpr212_vgpr213
	s_and_saveexec_b64 s[10:11], s[2:3]
	s_xor_b64 s[2:3], exec, s[10:11]
                                        ; implicit-def: $vgpr214_vgpr215
	s_cbranch_execz .LBB103_392
; %bb.391:
	v_div_scale_f64 v[212:213], s[10:11], v[210:211], v[210:211], v[208:209]
	v_rcp_f64_e32 v[214:215], v[212:213]
	v_div_scale_f64 v[216:217], vcc, v[208:209], v[210:211], v[208:209]
	v_fma_f64 v[218:219], -v[212:213], v[214:215], 1.0
	v_fmac_f64_e32 v[214:215], v[214:215], v[218:219]
	v_fma_f64 v[218:219], -v[212:213], v[214:215], 1.0
	v_fmac_f64_e32 v[214:215], v[214:215], v[218:219]
	v_mul_f64 v[218:219], v[216:217], v[214:215]
	v_fma_f64 v[212:213], -v[212:213], v[218:219], v[216:217]
	v_div_fmas_f64 v[212:213], v[212:213], v[214:215], v[218:219]
	v_div_fixup_f64 v[212:213], v[212:213], v[210:211], v[208:209]
	v_fmac_f64_e32 v[210:211], v[208:209], v[212:213]
	v_div_scale_f64 v[208:209], s[10:11], v[210:211], v[210:211], 1.0
	v_rcp_f64_e32 v[214:215], v[208:209]
	s_nop 0
	v_fma_f64 v[216:217], -v[208:209], v[214:215], 1.0
	v_fmac_f64_e32 v[214:215], v[214:215], v[216:217]
	v_fma_f64 v[216:217], -v[208:209], v[214:215], 1.0
	v_fmac_f64_e32 v[214:215], v[214:215], v[216:217]
	v_div_scale_f64 v[216:217], vcc, 1.0, v[210:211], 1.0
	v_mul_f64 v[218:219], v[216:217], v[214:215]
	v_fma_f64 v[208:209], -v[208:209], v[218:219], v[216:217]
	s_nop 1
	v_div_fmas_f64 v[208:209], v[208:209], v[214:215], v[218:219]
	v_div_fixup_f64 v[214:215], v[208:209], v[210:211], 1.0
	v_mul_f64 v[212:213], v[212:213], v[214:215]
	v_xor_b32_e32 v215, 0x80000000, v215
                                        ; implicit-def: $vgpr208_vgpr209
.LBB103_392:
	s_andn2_saveexec_b64 s[2:3], s[2:3]
	s_cbranch_execz .LBB103_394
; %bb.393:
	v_div_scale_f64 v[212:213], s[10:11], v[208:209], v[208:209], v[210:211]
	v_rcp_f64_e32 v[214:215], v[212:213]
	v_div_scale_f64 v[216:217], vcc, v[210:211], v[208:209], v[210:211]
	v_fma_f64 v[218:219], -v[212:213], v[214:215], 1.0
	v_fmac_f64_e32 v[214:215], v[214:215], v[218:219]
	v_fma_f64 v[218:219], -v[212:213], v[214:215], 1.0
	v_fmac_f64_e32 v[214:215], v[214:215], v[218:219]
	v_mul_f64 v[218:219], v[216:217], v[214:215]
	v_fma_f64 v[212:213], -v[212:213], v[218:219], v[216:217]
	v_div_fmas_f64 v[212:213], v[212:213], v[214:215], v[218:219]
	v_div_fixup_f64 v[214:215], v[212:213], v[208:209], v[210:211]
	v_fmac_f64_e32 v[208:209], v[210:211], v[214:215]
	v_div_scale_f64 v[210:211], s[10:11], v[208:209], v[208:209], 1.0
	v_rcp_f64_e32 v[212:213], v[210:211]
	s_nop 0
	v_fma_f64 v[216:217], -v[210:211], v[212:213], 1.0
	v_fmac_f64_e32 v[212:213], v[212:213], v[216:217]
	v_fma_f64 v[216:217], -v[210:211], v[212:213], 1.0
	v_fmac_f64_e32 v[212:213], v[212:213], v[216:217]
	v_div_scale_f64 v[216:217], vcc, 1.0, v[208:209], 1.0
	v_mul_f64 v[218:219], v[216:217], v[212:213]
	v_fma_f64 v[210:211], -v[210:211], v[218:219], v[216:217]
	s_nop 1
	v_div_fmas_f64 v[210:211], v[210:211], v[212:213], v[218:219]
	v_div_fixup_f64 v[212:213], v[210:211], v[208:209], 1.0
	v_mul_f64 v[214:215], v[214:215], -v[212:213]
.LBB103_394:
	s_or_b64 exec, exec, s[2:3]
	ds_write2_b64 v248, v[212:213], v[214:215] offset1:1
.LBB103_395:
	s_or_b64 exec, exec, s[4:5]
	s_waitcnt lgkmcnt(0)
	s_barrier
	ds_read2_b64 v[200:203], v248 offset1:1
	s_waitcnt lgkmcnt(0)
	scratch_store_dwordx4 off, v[200:203], off offset:1044 ; 16-byte Folded Spill
	scratch_load_dword v200, off, off       ; 4-byte Folded Reload
	s_waitcnt vmcnt(0)
	v_cmp_lt_u32_e32 vcc, 43, v200
	s_and_saveexec_b64 s[2:3], vcc
	s_cbranch_execz .LBB103_397
; %bb.396:
	scratch_load_dwordx4 v[200:203], off, off offset:1044 ; 16-byte Folded Reload
	ds_read2_b64 v[210:213], v225 offset0:88 offset1:89
	s_waitcnt vmcnt(0)
	v_mul_f64 v[208:209], v[200:201], v[30:31]
	v_fmac_f64_e32 v[208:209], v[202:203], v[28:29]
	v_mul_f64 v[30:31], v[202:203], v[30:31]
	v_fma_f64 v[28:29], v[200:201], v[28:29], -v[30:31]
	s_waitcnt lgkmcnt(0)
	v_mul_f64 v[30:31], v[212:213], v[208:209]
	v_fma_f64 v[30:31], v[210:211], v[28:29], -v[30:31]
	v_mul_f64 v[210:211], v[210:211], v[208:209]
	v_fmac_f64_e32 v[210:211], v[212:213], v[28:29]
	v_add_f64 v[26:27], v[26:27], -v[210:211]
	ds_read2_b64 v[210:213], v225 offset0:90 offset1:91
	v_add_f64 v[24:25], v[24:25], -v[30:31]
	s_waitcnt lgkmcnt(0)
	v_mul_f64 v[30:31], v[212:213], v[208:209]
	v_fma_f64 v[30:31], v[210:211], v[28:29], -v[30:31]
	v_mul_f64 v[210:211], v[210:211], v[208:209]
	v_fmac_f64_e32 v[210:211], v[212:213], v[28:29]
	v_add_f64 v[22:23], v[22:23], -v[210:211]
	ds_read2_b64 v[210:213], v225 offset0:92 offset1:93
	v_add_f64 v[20:21], v[20:21], -v[30:31]
	;; [unrolled: 8-line block ×7, first 2 shown]
	s_waitcnt lgkmcnt(0)
	v_mul_f64 v[30:31], v[212:213], v[208:209]
	v_fma_f64 v[30:31], v[210:211], v[28:29], -v[30:31]
	v_mul_f64 v[210:211], v[210:211], v[208:209]
	v_fmac_f64_e32 v[210:211], v[212:213], v[28:29]
	v_add_f64 v[204:205], v[204:205], -v[30:31]
	v_add_f64 v[206:207], v[206:207], -v[210:211]
	v_mov_b64_e32 v[30:31], v[208:209]
.LBB103_397:
	s_or_b64 exec, exec, s[2:3]
	s_barrier
	scratch_load_dword v200, off, off       ; 4-byte Folded Reload
	s_waitcnt vmcnt(0)
	v_cmp_eq_u32_e32 vcc, 44, v200
	s_and_saveexec_b64 s[4:5], vcc
	s_cbranch_execz .LBB103_404
; %bb.398:
	ds_write2_b64 v248, v[24:25], v[26:27] offset1:1
	ds_write2_b64 v225, v[20:21], v[22:23] offset0:90 offset1:91
	ds_write2_b64 v225, v[16:17], v[18:19] offset0:92 offset1:93
	;; [unrolled: 1-line block ×7, first 2 shown]
	ds_read2_b64 v[208:211], v248 offset1:1
	s_waitcnt lgkmcnt(0)
	v_cmp_neq_f64_e32 vcc, 0, v[208:209]
	v_cmp_neq_f64_e64 s[2:3], 0, v[210:211]
	s_or_b64 s[2:3], vcc, s[2:3]
	s_and_b64 exec, exec, s[2:3]
	s_cbranch_execz .LBB103_404
; %bb.399:
	v_cmp_ngt_f64_e64 s[2:3], |v[208:209]|, |v[210:211]|
                                        ; implicit-def: $vgpr212_vgpr213
	s_and_saveexec_b64 s[10:11], s[2:3]
	s_xor_b64 s[2:3], exec, s[10:11]
                                        ; implicit-def: $vgpr214_vgpr215
	s_cbranch_execz .LBB103_401
; %bb.400:
	v_div_scale_f64 v[212:213], s[10:11], v[210:211], v[210:211], v[208:209]
	v_rcp_f64_e32 v[214:215], v[212:213]
	v_div_scale_f64 v[216:217], vcc, v[208:209], v[210:211], v[208:209]
	v_fma_f64 v[218:219], -v[212:213], v[214:215], 1.0
	v_fmac_f64_e32 v[214:215], v[214:215], v[218:219]
	v_fma_f64 v[218:219], -v[212:213], v[214:215], 1.0
	v_fmac_f64_e32 v[214:215], v[214:215], v[218:219]
	v_mul_f64 v[218:219], v[216:217], v[214:215]
	v_fma_f64 v[212:213], -v[212:213], v[218:219], v[216:217]
	v_div_fmas_f64 v[212:213], v[212:213], v[214:215], v[218:219]
	v_div_fixup_f64 v[212:213], v[212:213], v[210:211], v[208:209]
	v_fmac_f64_e32 v[210:211], v[208:209], v[212:213]
	v_div_scale_f64 v[208:209], s[10:11], v[210:211], v[210:211], 1.0
	v_rcp_f64_e32 v[214:215], v[208:209]
	s_nop 0
	v_fma_f64 v[216:217], -v[208:209], v[214:215], 1.0
	v_fmac_f64_e32 v[214:215], v[214:215], v[216:217]
	v_fma_f64 v[216:217], -v[208:209], v[214:215], 1.0
	v_fmac_f64_e32 v[214:215], v[214:215], v[216:217]
	v_div_scale_f64 v[216:217], vcc, 1.0, v[210:211], 1.0
	v_mul_f64 v[218:219], v[216:217], v[214:215]
	v_fma_f64 v[208:209], -v[208:209], v[218:219], v[216:217]
	s_nop 1
	v_div_fmas_f64 v[208:209], v[208:209], v[214:215], v[218:219]
	v_div_fixup_f64 v[214:215], v[208:209], v[210:211], 1.0
	v_mul_f64 v[212:213], v[212:213], v[214:215]
	v_xor_b32_e32 v215, 0x80000000, v215
                                        ; implicit-def: $vgpr208_vgpr209
.LBB103_401:
	s_andn2_saveexec_b64 s[2:3], s[2:3]
	s_cbranch_execz .LBB103_403
; %bb.402:
	v_div_scale_f64 v[212:213], s[10:11], v[208:209], v[208:209], v[210:211]
	v_rcp_f64_e32 v[214:215], v[212:213]
	v_div_scale_f64 v[216:217], vcc, v[210:211], v[208:209], v[210:211]
	v_fma_f64 v[218:219], -v[212:213], v[214:215], 1.0
	v_fmac_f64_e32 v[214:215], v[214:215], v[218:219]
	v_fma_f64 v[218:219], -v[212:213], v[214:215], 1.0
	v_fmac_f64_e32 v[214:215], v[214:215], v[218:219]
	v_mul_f64 v[218:219], v[216:217], v[214:215]
	v_fma_f64 v[212:213], -v[212:213], v[218:219], v[216:217]
	v_div_fmas_f64 v[212:213], v[212:213], v[214:215], v[218:219]
	v_div_fixup_f64 v[214:215], v[212:213], v[208:209], v[210:211]
	v_fmac_f64_e32 v[208:209], v[210:211], v[214:215]
	v_div_scale_f64 v[210:211], s[10:11], v[208:209], v[208:209], 1.0
	v_rcp_f64_e32 v[212:213], v[210:211]
	s_nop 0
	v_fma_f64 v[216:217], -v[210:211], v[212:213], 1.0
	v_fmac_f64_e32 v[212:213], v[212:213], v[216:217]
	v_fma_f64 v[216:217], -v[210:211], v[212:213], 1.0
	v_fmac_f64_e32 v[212:213], v[212:213], v[216:217]
	v_div_scale_f64 v[216:217], vcc, 1.0, v[208:209], 1.0
	v_mul_f64 v[218:219], v[216:217], v[212:213]
	v_fma_f64 v[210:211], -v[210:211], v[218:219], v[216:217]
	s_nop 1
	v_div_fmas_f64 v[210:211], v[210:211], v[212:213], v[218:219]
	v_div_fixup_f64 v[212:213], v[210:211], v[208:209], 1.0
	v_mul_f64 v[214:215], v[214:215], -v[212:213]
.LBB103_403:
	s_or_b64 exec, exec, s[2:3]
	ds_write2_b64 v248, v[212:213], v[214:215] offset1:1
.LBB103_404:
	s_or_b64 exec, exec, s[4:5]
	s_waitcnt lgkmcnt(0)
	s_barrier
	ds_read2_b64 v[200:203], v248 offset1:1
	s_waitcnt lgkmcnt(0)
	scratch_store_dwordx4 off, v[200:203], off offset:1060 ; 16-byte Folded Spill
	scratch_load_dword v200, off, off       ; 4-byte Folded Reload
	s_waitcnt vmcnt(0)
	v_cmp_lt_u32_e32 vcc, 44, v200
	s_and_saveexec_b64 s[2:3], vcc
	s_cbranch_execz .LBB103_406
; %bb.405:
	scratch_load_dwordx4 v[200:203], off, off offset:1060 ; 16-byte Folded Reload
	ds_read2_b64 v[210:213], v225 offset0:90 offset1:91
	s_waitcnt vmcnt(0)
	v_mul_f64 v[208:209], v[200:201], v[26:27]
	v_fmac_f64_e32 v[208:209], v[202:203], v[24:25]
	v_mul_f64 v[26:27], v[202:203], v[26:27]
	v_fma_f64 v[24:25], v[200:201], v[24:25], -v[26:27]
	s_waitcnt lgkmcnt(0)
	v_mul_f64 v[26:27], v[212:213], v[208:209]
	v_fma_f64 v[26:27], v[210:211], v[24:25], -v[26:27]
	v_mul_f64 v[210:211], v[210:211], v[208:209]
	v_fmac_f64_e32 v[210:211], v[212:213], v[24:25]
	v_add_f64 v[22:23], v[22:23], -v[210:211]
	ds_read2_b64 v[210:213], v225 offset0:92 offset1:93
	v_add_f64 v[20:21], v[20:21], -v[26:27]
	s_waitcnt lgkmcnt(0)
	v_mul_f64 v[26:27], v[212:213], v[208:209]
	v_fma_f64 v[26:27], v[210:211], v[24:25], -v[26:27]
	v_mul_f64 v[210:211], v[210:211], v[208:209]
	v_fmac_f64_e32 v[210:211], v[212:213], v[24:25]
	v_add_f64 v[18:19], v[18:19], -v[210:211]
	ds_read2_b64 v[210:213], v225 offset0:94 offset1:95
	v_add_f64 v[16:17], v[16:17], -v[26:27]
	;; [unrolled: 8-line block ×6, first 2 shown]
	s_waitcnt lgkmcnt(0)
	v_mul_f64 v[26:27], v[212:213], v[208:209]
	v_fma_f64 v[26:27], v[210:211], v[24:25], -v[26:27]
	v_mul_f64 v[210:211], v[210:211], v[208:209]
	v_fmac_f64_e32 v[210:211], v[212:213], v[24:25]
	v_add_f64 v[204:205], v[204:205], -v[26:27]
	v_add_f64 v[206:207], v[206:207], -v[210:211]
	v_mov_b64_e32 v[26:27], v[208:209]
.LBB103_406:
	s_or_b64 exec, exec, s[2:3]
	s_barrier
	scratch_load_dword v200, off, off       ; 4-byte Folded Reload
	s_waitcnt vmcnt(0)
	v_cmp_eq_u32_e32 vcc, 45, v200
	s_and_saveexec_b64 s[4:5], vcc
	s_cbranch_execz .LBB103_413
; %bb.407:
	ds_write2_b64 v248, v[20:21], v[22:23] offset1:1
	ds_write2_b64 v225, v[16:17], v[18:19] offset0:92 offset1:93
	ds_write2_b64 v225, v[12:13], v[14:15] offset0:94 offset1:95
	;; [unrolled: 1-line block ×6, first 2 shown]
	ds_read2_b64 v[208:211], v248 offset1:1
	s_waitcnt lgkmcnt(0)
	v_cmp_neq_f64_e32 vcc, 0, v[208:209]
	v_cmp_neq_f64_e64 s[2:3], 0, v[210:211]
	s_or_b64 s[2:3], vcc, s[2:3]
	s_and_b64 exec, exec, s[2:3]
	s_cbranch_execz .LBB103_413
; %bb.408:
	v_cmp_ngt_f64_e64 s[2:3], |v[208:209]|, |v[210:211]|
                                        ; implicit-def: $vgpr212_vgpr213
	s_and_saveexec_b64 s[10:11], s[2:3]
	s_xor_b64 s[2:3], exec, s[10:11]
                                        ; implicit-def: $vgpr214_vgpr215
	s_cbranch_execz .LBB103_410
; %bb.409:
	v_div_scale_f64 v[212:213], s[10:11], v[210:211], v[210:211], v[208:209]
	v_rcp_f64_e32 v[214:215], v[212:213]
	v_div_scale_f64 v[216:217], vcc, v[208:209], v[210:211], v[208:209]
	v_fma_f64 v[218:219], -v[212:213], v[214:215], 1.0
	v_fmac_f64_e32 v[214:215], v[214:215], v[218:219]
	v_fma_f64 v[218:219], -v[212:213], v[214:215], 1.0
	v_fmac_f64_e32 v[214:215], v[214:215], v[218:219]
	v_mul_f64 v[218:219], v[216:217], v[214:215]
	v_fma_f64 v[212:213], -v[212:213], v[218:219], v[216:217]
	v_div_fmas_f64 v[212:213], v[212:213], v[214:215], v[218:219]
	v_div_fixup_f64 v[212:213], v[212:213], v[210:211], v[208:209]
	v_fmac_f64_e32 v[210:211], v[208:209], v[212:213]
	v_div_scale_f64 v[208:209], s[10:11], v[210:211], v[210:211], 1.0
	v_rcp_f64_e32 v[214:215], v[208:209]
	s_nop 0
	v_fma_f64 v[216:217], -v[208:209], v[214:215], 1.0
	v_fmac_f64_e32 v[214:215], v[214:215], v[216:217]
	v_fma_f64 v[216:217], -v[208:209], v[214:215], 1.0
	v_fmac_f64_e32 v[214:215], v[214:215], v[216:217]
	v_div_scale_f64 v[216:217], vcc, 1.0, v[210:211], 1.0
	v_mul_f64 v[218:219], v[216:217], v[214:215]
	v_fma_f64 v[208:209], -v[208:209], v[218:219], v[216:217]
	s_nop 1
	v_div_fmas_f64 v[208:209], v[208:209], v[214:215], v[218:219]
	v_div_fixup_f64 v[214:215], v[208:209], v[210:211], 1.0
	v_mul_f64 v[212:213], v[212:213], v[214:215]
	v_xor_b32_e32 v215, 0x80000000, v215
                                        ; implicit-def: $vgpr208_vgpr209
.LBB103_410:
	s_andn2_saveexec_b64 s[2:3], s[2:3]
	s_cbranch_execz .LBB103_412
; %bb.411:
	v_div_scale_f64 v[212:213], s[10:11], v[208:209], v[208:209], v[210:211]
	v_rcp_f64_e32 v[214:215], v[212:213]
	v_div_scale_f64 v[216:217], vcc, v[210:211], v[208:209], v[210:211]
	v_fma_f64 v[218:219], -v[212:213], v[214:215], 1.0
	v_fmac_f64_e32 v[214:215], v[214:215], v[218:219]
	v_fma_f64 v[218:219], -v[212:213], v[214:215], 1.0
	v_fmac_f64_e32 v[214:215], v[214:215], v[218:219]
	v_mul_f64 v[218:219], v[216:217], v[214:215]
	v_fma_f64 v[212:213], -v[212:213], v[218:219], v[216:217]
	v_div_fmas_f64 v[212:213], v[212:213], v[214:215], v[218:219]
	v_div_fixup_f64 v[214:215], v[212:213], v[208:209], v[210:211]
	v_fmac_f64_e32 v[208:209], v[210:211], v[214:215]
	v_div_scale_f64 v[210:211], s[10:11], v[208:209], v[208:209], 1.0
	v_rcp_f64_e32 v[212:213], v[210:211]
	s_nop 0
	v_fma_f64 v[216:217], -v[210:211], v[212:213], 1.0
	v_fmac_f64_e32 v[212:213], v[212:213], v[216:217]
	v_fma_f64 v[216:217], -v[210:211], v[212:213], 1.0
	v_fmac_f64_e32 v[212:213], v[212:213], v[216:217]
	v_div_scale_f64 v[216:217], vcc, 1.0, v[208:209], 1.0
	v_mul_f64 v[218:219], v[216:217], v[212:213]
	v_fma_f64 v[210:211], -v[210:211], v[218:219], v[216:217]
	s_nop 1
	v_div_fmas_f64 v[210:211], v[210:211], v[212:213], v[218:219]
	v_div_fixup_f64 v[212:213], v[210:211], v[208:209], 1.0
	v_mul_f64 v[214:215], v[214:215], -v[212:213]
.LBB103_412:
	s_or_b64 exec, exec, s[2:3]
	ds_write2_b64 v248, v[212:213], v[214:215] offset1:1
.LBB103_413:
	s_or_b64 exec, exec, s[4:5]
	s_waitcnt lgkmcnt(0)
	s_barrier
	ds_read2_b64 v[200:203], v248 offset1:1
	s_waitcnt lgkmcnt(0)
	scratch_store_dwordx4 off, v[200:203], off offset:1076 ; 16-byte Folded Spill
	scratch_load_dword v200, off, off       ; 4-byte Folded Reload
	s_waitcnt vmcnt(0)
	v_cmp_lt_u32_e32 vcc, 45, v200
	s_and_saveexec_b64 s[2:3], vcc
	s_cbranch_execz .LBB103_415
; %bb.414:
	scratch_load_dwordx4 v[200:203], off, off offset:1076 ; 16-byte Folded Reload
	ds_read2_b64 v[208:211], v225 offset0:92 offset1:93
	s_waitcnt vmcnt(0)
	v_mul_f64 v[212:213], v[200:201], v[22:23]
	v_fmac_f64_e32 v[212:213], v[202:203], v[20:21]
	v_mul_f64 v[22:23], v[202:203], v[22:23]
	v_fma_f64 v[20:21], v[200:201], v[20:21], -v[22:23]
	s_waitcnt lgkmcnt(0)
	v_mul_f64 v[22:23], v[210:211], v[212:213]
	v_fma_f64 v[22:23], v[208:209], v[20:21], -v[22:23]
	v_mul_f64 v[208:209], v[208:209], v[212:213]
	v_fmac_f64_e32 v[208:209], v[210:211], v[20:21]
	v_add_f64 v[18:19], v[18:19], -v[208:209]
	ds_read2_b64 v[208:211], v225 offset0:94 offset1:95
	v_add_f64 v[16:17], v[16:17], -v[22:23]
	s_waitcnt lgkmcnt(0)
	v_mul_f64 v[22:23], v[210:211], v[212:213]
	v_fma_f64 v[22:23], v[208:209], v[20:21], -v[22:23]
	v_mul_f64 v[208:209], v[208:209], v[212:213]
	v_fmac_f64_e32 v[208:209], v[210:211], v[20:21]
	v_add_f64 v[14:15], v[14:15], -v[208:209]
	ds_read2_b64 v[208:211], v225 offset0:96 offset1:97
	v_add_f64 v[12:13], v[12:13], -v[22:23]
	;; [unrolled: 8-line block ×5, first 2 shown]
	s_waitcnt lgkmcnt(0)
	v_mul_f64 v[22:23], v[210:211], v[212:213]
	v_fma_f64 v[22:23], v[208:209], v[20:21], -v[22:23]
	v_mul_f64 v[208:209], v[208:209], v[212:213]
	v_fmac_f64_e32 v[208:209], v[210:211], v[20:21]
	v_add_f64 v[204:205], v[204:205], -v[22:23]
	v_add_f64 v[206:207], v[206:207], -v[208:209]
	v_mov_b64_e32 v[22:23], v[212:213]
.LBB103_415:
	s_or_b64 exec, exec, s[2:3]
	s_barrier
	scratch_load_dword v200, off, off       ; 4-byte Folded Reload
	s_waitcnt vmcnt(0)
	v_cmp_eq_u32_e32 vcc, 46, v200
	s_and_saveexec_b64 s[4:5], vcc
	s_cbranch_execz .LBB103_422
; %bb.416:
	ds_write2_b64 v248, v[16:17], v[18:19] offset1:1
	ds_write2_b64 v225, v[12:13], v[14:15] offset0:94 offset1:95
	ds_write2_b64 v225, v[8:9], v[10:11] offset0:96 offset1:97
	;; [unrolled: 1-line block ×5, first 2 shown]
	ds_read2_b64 v[208:211], v248 offset1:1
	s_waitcnt lgkmcnt(0)
	v_cmp_neq_f64_e32 vcc, 0, v[208:209]
	v_cmp_neq_f64_e64 s[2:3], 0, v[210:211]
	s_or_b64 s[2:3], vcc, s[2:3]
	s_and_b64 exec, exec, s[2:3]
	s_cbranch_execz .LBB103_422
; %bb.417:
	v_cmp_ngt_f64_e64 s[2:3], |v[208:209]|, |v[210:211]|
                                        ; implicit-def: $vgpr212_vgpr213
	s_and_saveexec_b64 s[10:11], s[2:3]
	s_xor_b64 s[2:3], exec, s[10:11]
                                        ; implicit-def: $vgpr214_vgpr215
	s_cbranch_execz .LBB103_419
; %bb.418:
	v_div_scale_f64 v[212:213], s[10:11], v[210:211], v[210:211], v[208:209]
	v_rcp_f64_e32 v[214:215], v[212:213]
	v_div_scale_f64 v[216:217], vcc, v[208:209], v[210:211], v[208:209]
	v_fma_f64 v[218:219], -v[212:213], v[214:215], 1.0
	v_fmac_f64_e32 v[214:215], v[214:215], v[218:219]
	v_fma_f64 v[218:219], -v[212:213], v[214:215], 1.0
	v_fmac_f64_e32 v[214:215], v[214:215], v[218:219]
	v_mul_f64 v[218:219], v[216:217], v[214:215]
	v_fma_f64 v[212:213], -v[212:213], v[218:219], v[216:217]
	v_div_fmas_f64 v[212:213], v[212:213], v[214:215], v[218:219]
	v_div_fixup_f64 v[212:213], v[212:213], v[210:211], v[208:209]
	v_fmac_f64_e32 v[210:211], v[208:209], v[212:213]
	v_div_scale_f64 v[208:209], s[10:11], v[210:211], v[210:211], 1.0
	v_rcp_f64_e32 v[214:215], v[208:209]
	s_nop 0
	v_fma_f64 v[216:217], -v[208:209], v[214:215], 1.0
	v_fmac_f64_e32 v[214:215], v[214:215], v[216:217]
	v_fma_f64 v[216:217], -v[208:209], v[214:215], 1.0
	v_fmac_f64_e32 v[214:215], v[214:215], v[216:217]
	v_div_scale_f64 v[216:217], vcc, 1.0, v[210:211], 1.0
	v_mul_f64 v[218:219], v[216:217], v[214:215]
	v_fma_f64 v[208:209], -v[208:209], v[218:219], v[216:217]
	s_nop 1
	v_div_fmas_f64 v[208:209], v[208:209], v[214:215], v[218:219]
	v_div_fixup_f64 v[214:215], v[208:209], v[210:211], 1.0
	v_mul_f64 v[212:213], v[212:213], v[214:215]
	v_xor_b32_e32 v215, 0x80000000, v215
                                        ; implicit-def: $vgpr208_vgpr209
.LBB103_419:
	s_andn2_saveexec_b64 s[2:3], s[2:3]
	s_cbranch_execz .LBB103_421
; %bb.420:
	v_div_scale_f64 v[212:213], s[10:11], v[208:209], v[208:209], v[210:211]
	v_rcp_f64_e32 v[214:215], v[212:213]
	v_div_scale_f64 v[216:217], vcc, v[210:211], v[208:209], v[210:211]
	v_fma_f64 v[218:219], -v[212:213], v[214:215], 1.0
	v_fmac_f64_e32 v[214:215], v[214:215], v[218:219]
	v_fma_f64 v[218:219], -v[212:213], v[214:215], 1.0
	v_fmac_f64_e32 v[214:215], v[214:215], v[218:219]
	v_mul_f64 v[218:219], v[216:217], v[214:215]
	v_fma_f64 v[212:213], -v[212:213], v[218:219], v[216:217]
	v_div_fmas_f64 v[212:213], v[212:213], v[214:215], v[218:219]
	v_div_fixup_f64 v[214:215], v[212:213], v[208:209], v[210:211]
	v_fmac_f64_e32 v[208:209], v[210:211], v[214:215]
	v_div_scale_f64 v[210:211], s[10:11], v[208:209], v[208:209], 1.0
	v_rcp_f64_e32 v[212:213], v[210:211]
	s_nop 0
	v_fma_f64 v[216:217], -v[210:211], v[212:213], 1.0
	v_fmac_f64_e32 v[212:213], v[212:213], v[216:217]
	v_fma_f64 v[216:217], -v[210:211], v[212:213], 1.0
	v_fmac_f64_e32 v[212:213], v[212:213], v[216:217]
	v_div_scale_f64 v[216:217], vcc, 1.0, v[208:209], 1.0
	v_mul_f64 v[218:219], v[216:217], v[212:213]
	v_fma_f64 v[210:211], -v[210:211], v[218:219], v[216:217]
	s_nop 1
	v_div_fmas_f64 v[210:211], v[210:211], v[212:213], v[218:219]
	v_div_fixup_f64 v[212:213], v[210:211], v[208:209], 1.0
	v_mul_f64 v[214:215], v[214:215], -v[212:213]
.LBB103_421:
	s_or_b64 exec, exec, s[2:3]
	ds_write2_b64 v248, v[212:213], v[214:215] offset1:1
.LBB103_422:
	s_or_b64 exec, exec, s[4:5]
	s_waitcnt lgkmcnt(0)
	s_barrier
	ds_read2_b64 v[200:203], v248 offset1:1
	s_waitcnt lgkmcnt(0)
	scratch_store_dwordx4 off, v[200:203], off offset:1092 ; 16-byte Folded Spill
	scratch_load_dword v200, off, off       ; 4-byte Folded Reload
	s_waitcnt vmcnt(0)
	v_cmp_lt_u32_e32 vcc, 46, v200
	s_and_saveexec_b64 s[2:3], vcc
	s_cbranch_execz .LBB103_424
; %bb.423:
	scratch_load_dwordx4 v[200:203], off, off offset:1092 ; 16-byte Folded Reload
	ds_read2_b64 v[208:211], v225 offset0:94 offset1:95
	s_waitcnt vmcnt(0)
	v_mul_f64 v[212:213], v[200:201], v[18:19]
	v_fmac_f64_e32 v[212:213], v[202:203], v[16:17]
	v_mul_f64 v[18:19], v[202:203], v[18:19]
	v_fma_f64 v[16:17], v[200:201], v[16:17], -v[18:19]
	s_waitcnt lgkmcnt(0)
	v_mul_f64 v[18:19], v[210:211], v[212:213]
	v_fma_f64 v[18:19], v[208:209], v[16:17], -v[18:19]
	v_mul_f64 v[208:209], v[208:209], v[212:213]
	v_fmac_f64_e32 v[208:209], v[210:211], v[16:17]
	v_add_f64 v[14:15], v[14:15], -v[208:209]
	ds_read2_b64 v[208:211], v225 offset0:96 offset1:97
	v_add_f64 v[12:13], v[12:13], -v[18:19]
	s_waitcnt lgkmcnt(0)
	v_mul_f64 v[18:19], v[210:211], v[212:213]
	v_fma_f64 v[18:19], v[208:209], v[16:17], -v[18:19]
	v_mul_f64 v[208:209], v[208:209], v[212:213]
	v_fmac_f64_e32 v[208:209], v[210:211], v[16:17]
	v_add_f64 v[10:11], v[10:11], -v[208:209]
	ds_read2_b64 v[208:211], v225 offset0:98 offset1:99
	v_add_f64 v[8:9], v[8:9], -v[18:19]
	;; [unrolled: 8-line block ×4, first 2 shown]
	s_waitcnt lgkmcnt(0)
	v_mul_f64 v[18:19], v[210:211], v[212:213]
	v_fma_f64 v[18:19], v[208:209], v[16:17], -v[18:19]
	v_mul_f64 v[208:209], v[208:209], v[212:213]
	v_fmac_f64_e32 v[208:209], v[210:211], v[16:17]
	v_add_f64 v[204:205], v[204:205], -v[18:19]
	v_add_f64 v[206:207], v[206:207], -v[208:209]
	v_mov_b64_e32 v[18:19], v[212:213]
.LBB103_424:
	s_or_b64 exec, exec, s[2:3]
	s_barrier
	scratch_load_dword v200, off, off       ; 4-byte Folded Reload
	s_waitcnt vmcnt(0)
	v_cmp_eq_u32_e32 vcc, 47, v200
	s_and_saveexec_b64 s[4:5], vcc
	s_cbranch_execz .LBB103_431
; %bb.425:
	ds_write2_b64 v248, v[12:13], v[14:15] offset1:1
	ds_write2_b64 v225, v[8:9], v[10:11] offset0:96 offset1:97
	ds_write2_b64 v225, v[4:5], v[6:7] offset0:98 offset1:99
	;; [unrolled: 1-line block ×4, first 2 shown]
	ds_read2_b64 v[208:211], v248 offset1:1
	s_waitcnt lgkmcnt(0)
	v_cmp_neq_f64_e32 vcc, 0, v[208:209]
	v_cmp_neq_f64_e64 s[2:3], 0, v[210:211]
	s_or_b64 s[2:3], vcc, s[2:3]
	s_and_b64 exec, exec, s[2:3]
	s_cbranch_execz .LBB103_431
; %bb.426:
	v_cmp_ngt_f64_e64 s[2:3], |v[208:209]|, |v[210:211]|
                                        ; implicit-def: $vgpr212_vgpr213
	s_and_saveexec_b64 s[10:11], s[2:3]
	s_xor_b64 s[2:3], exec, s[10:11]
                                        ; implicit-def: $vgpr214_vgpr215
	s_cbranch_execz .LBB103_428
; %bb.427:
	v_div_scale_f64 v[212:213], s[10:11], v[210:211], v[210:211], v[208:209]
	v_rcp_f64_e32 v[214:215], v[212:213]
	v_div_scale_f64 v[216:217], vcc, v[208:209], v[210:211], v[208:209]
	v_fma_f64 v[218:219], -v[212:213], v[214:215], 1.0
	v_fmac_f64_e32 v[214:215], v[214:215], v[218:219]
	v_fma_f64 v[218:219], -v[212:213], v[214:215], 1.0
	v_fmac_f64_e32 v[214:215], v[214:215], v[218:219]
	v_mul_f64 v[218:219], v[216:217], v[214:215]
	v_fma_f64 v[212:213], -v[212:213], v[218:219], v[216:217]
	v_div_fmas_f64 v[212:213], v[212:213], v[214:215], v[218:219]
	v_div_fixup_f64 v[212:213], v[212:213], v[210:211], v[208:209]
	v_fmac_f64_e32 v[210:211], v[208:209], v[212:213]
	v_div_scale_f64 v[208:209], s[10:11], v[210:211], v[210:211], 1.0
	v_rcp_f64_e32 v[214:215], v[208:209]
	s_nop 0
	v_fma_f64 v[216:217], -v[208:209], v[214:215], 1.0
	v_fmac_f64_e32 v[214:215], v[214:215], v[216:217]
	v_fma_f64 v[216:217], -v[208:209], v[214:215], 1.0
	v_fmac_f64_e32 v[214:215], v[214:215], v[216:217]
	v_div_scale_f64 v[216:217], vcc, 1.0, v[210:211], 1.0
	v_mul_f64 v[218:219], v[216:217], v[214:215]
	v_fma_f64 v[208:209], -v[208:209], v[218:219], v[216:217]
	s_nop 1
	v_div_fmas_f64 v[208:209], v[208:209], v[214:215], v[218:219]
	v_div_fixup_f64 v[214:215], v[208:209], v[210:211], 1.0
	v_mul_f64 v[212:213], v[212:213], v[214:215]
	v_xor_b32_e32 v215, 0x80000000, v215
                                        ; implicit-def: $vgpr208_vgpr209
.LBB103_428:
	s_andn2_saveexec_b64 s[2:3], s[2:3]
	s_cbranch_execz .LBB103_430
; %bb.429:
	v_div_scale_f64 v[212:213], s[10:11], v[208:209], v[208:209], v[210:211]
	v_rcp_f64_e32 v[214:215], v[212:213]
	v_div_scale_f64 v[216:217], vcc, v[210:211], v[208:209], v[210:211]
	v_fma_f64 v[218:219], -v[212:213], v[214:215], 1.0
	v_fmac_f64_e32 v[214:215], v[214:215], v[218:219]
	v_fma_f64 v[218:219], -v[212:213], v[214:215], 1.0
	v_fmac_f64_e32 v[214:215], v[214:215], v[218:219]
	v_mul_f64 v[218:219], v[216:217], v[214:215]
	v_fma_f64 v[212:213], -v[212:213], v[218:219], v[216:217]
	v_div_fmas_f64 v[212:213], v[212:213], v[214:215], v[218:219]
	v_div_fixup_f64 v[214:215], v[212:213], v[208:209], v[210:211]
	v_fmac_f64_e32 v[208:209], v[210:211], v[214:215]
	v_div_scale_f64 v[210:211], s[10:11], v[208:209], v[208:209], 1.0
	v_rcp_f64_e32 v[212:213], v[210:211]
	s_nop 0
	v_fma_f64 v[216:217], -v[210:211], v[212:213], 1.0
	v_fmac_f64_e32 v[212:213], v[212:213], v[216:217]
	v_fma_f64 v[216:217], -v[210:211], v[212:213], 1.0
	v_fmac_f64_e32 v[212:213], v[212:213], v[216:217]
	v_div_scale_f64 v[216:217], vcc, 1.0, v[208:209], 1.0
	v_mul_f64 v[218:219], v[216:217], v[212:213]
	v_fma_f64 v[210:211], -v[210:211], v[218:219], v[216:217]
	s_nop 1
	v_div_fmas_f64 v[210:211], v[210:211], v[212:213], v[218:219]
	v_div_fixup_f64 v[212:213], v[210:211], v[208:209], 1.0
	v_mul_f64 v[214:215], v[214:215], -v[212:213]
.LBB103_430:
	s_or_b64 exec, exec, s[2:3]
	ds_write2_b64 v248, v[212:213], v[214:215] offset1:1
.LBB103_431:
	s_or_b64 exec, exec, s[4:5]
	s_waitcnt lgkmcnt(0)
	s_barrier
	scratch_load_dword v200, off, off       ; 4-byte Folded Reload
	ds_read2_b64 v[252:255], v248 offset1:1
	s_waitcnt vmcnt(0)
	v_cmp_lt_u32_e32 vcc, 47, v200
	s_and_saveexec_b64 s[2:3], vcc
	s_cbranch_execz .LBB103_433
; %bb.432:
	ds_read2_b64 v[208:211], v225 offset0:96 offset1:97
	s_waitcnt lgkmcnt(1)
	v_mul_f64 v[212:213], v[252:253], v[14:15]
	v_fmac_f64_e32 v[212:213], v[254:255], v[12:13]
	v_mul_f64 v[14:15], v[254:255], v[14:15]
	v_fma_f64 v[12:13], v[252:253], v[12:13], -v[14:15]
	s_waitcnt lgkmcnt(0)
	v_mul_f64 v[14:15], v[210:211], v[212:213]
	v_fma_f64 v[14:15], v[208:209], v[12:13], -v[14:15]
	v_mul_f64 v[208:209], v[208:209], v[212:213]
	v_fmac_f64_e32 v[208:209], v[210:211], v[12:13]
	v_add_f64 v[10:11], v[10:11], -v[208:209]
	ds_read2_b64 v[208:211], v225 offset0:98 offset1:99
	v_add_f64 v[8:9], v[8:9], -v[14:15]
	s_waitcnt lgkmcnt(0)
	v_mul_f64 v[14:15], v[210:211], v[212:213]
	v_fma_f64 v[14:15], v[208:209], v[12:13], -v[14:15]
	v_mul_f64 v[208:209], v[208:209], v[212:213]
	v_fmac_f64_e32 v[208:209], v[210:211], v[12:13]
	v_add_f64 v[6:7], v[6:7], -v[208:209]
	ds_read2_b64 v[208:211], v225 offset0:100 offset1:101
	v_add_f64 v[4:5], v[4:5], -v[14:15]
	;; [unrolled: 8-line block ×3, first 2 shown]
	s_waitcnt lgkmcnt(0)
	v_mul_f64 v[14:15], v[210:211], v[212:213]
	v_fma_f64 v[14:15], v[208:209], v[12:13], -v[14:15]
	v_mul_f64 v[208:209], v[208:209], v[212:213]
	v_fmac_f64_e32 v[208:209], v[210:211], v[12:13]
	v_add_f64 v[204:205], v[204:205], -v[14:15]
	v_add_f64 v[206:207], v[206:207], -v[208:209]
	v_mov_b64_e32 v[14:15], v[212:213]
.LBB103_433:
	s_or_b64 exec, exec, s[2:3]
	s_waitcnt lgkmcnt(0)
	s_barrier
	scratch_load_dword v200, off, off       ; 4-byte Folded Reload
	s_waitcnt vmcnt(0)
	v_cmp_eq_u32_e32 vcc, 48, v200
	s_and_saveexec_b64 s[4:5], vcc
	s_cbranch_execz .LBB103_440
; %bb.434:
	ds_write2_b64 v248, v[8:9], v[10:11] offset1:1
	ds_write2_b64 v225, v[4:5], v[6:7] offset0:98 offset1:99
	ds_write2_b64 v225, v[0:1], v[2:3] offset0:100 offset1:101
	;; [unrolled: 1-line block ×3, first 2 shown]
	ds_read2_b64 v[208:211], v248 offset1:1
	s_waitcnt lgkmcnt(0)
	v_cmp_neq_f64_e32 vcc, 0, v[208:209]
	v_cmp_neq_f64_e64 s[2:3], 0, v[210:211]
	s_or_b64 s[2:3], vcc, s[2:3]
	s_and_b64 exec, exec, s[2:3]
	s_cbranch_execz .LBB103_440
; %bb.435:
	v_cmp_ngt_f64_e64 s[2:3], |v[208:209]|, |v[210:211]|
                                        ; implicit-def: $vgpr212_vgpr213
	s_and_saveexec_b64 s[10:11], s[2:3]
	s_xor_b64 s[2:3], exec, s[10:11]
                                        ; implicit-def: $vgpr214_vgpr215
	s_cbranch_execz .LBB103_437
; %bb.436:
	v_div_scale_f64 v[212:213], s[10:11], v[210:211], v[210:211], v[208:209]
	v_rcp_f64_e32 v[214:215], v[212:213]
	v_div_scale_f64 v[216:217], vcc, v[208:209], v[210:211], v[208:209]
	v_fma_f64 v[218:219], -v[212:213], v[214:215], 1.0
	v_fmac_f64_e32 v[214:215], v[214:215], v[218:219]
	v_fma_f64 v[218:219], -v[212:213], v[214:215], 1.0
	v_fmac_f64_e32 v[214:215], v[214:215], v[218:219]
	v_mul_f64 v[218:219], v[216:217], v[214:215]
	v_fma_f64 v[212:213], -v[212:213], v[218:219], v[216:217]
	v_div_fmas_f64 v[212:213], v[212:213], v[214:215], v[218:219]
	v_div_fixup_f64 v[212:213], v[212:213], v[210:211], v[208:209]
	v_fmac_f64_e32 v[210:211], v[208:209], v[212:213]
	v_div_scale_f64 v[208:209], s[10:11], v[210:211], v[210:211], 1.0
	v_rcp_f64_e32 v[214:215], v[208:209]
	s_nop 0
	v_fma_f64 v[216:217], -v[208:209], v[214:215], 1.0
	v_fmac_f64_e32 v[214:215], v[214:215], v[216:217]
	v_fma_f64 v[216:217], -v[208:209], v[214:215], 1.0
	v_fmac_f64_e32 v[214:215], v[214:215], v[216:217]
	v_div_scale_f64 v[216:217], vcc, 1.0, v[210:211], 1.0
	v_mul_f64 v[218:219], v[216:217], v[214:215]
	v_fma_f64 v[208:209], -v[208:209], v[218:219], v[216:217]
	s_nop 1
	v_div_fmas_f64 v[208:209], v[208:209], v[214:215], v[218:219]
	v_div_fixup_f64 v[214:215], v[208:209], v[210:211], 1.0
	v_mul_f64 v[212:213], v[212:213], v[214:215]
	v_xor_b32_e32 v215, 0x80000000, v215
                                        ; implicit-def: $vgpr208_vgpr209
.LBB103_437:
	s_andn2_saveexec_b64 s[2:3], s[2:3]
	s_cbranch_execz .LBB103_439
; %bb.438:
	v_div_scale_f64 v[212:213], s[10:11], v[208:209], v[208:209], v[210:211]
	v_rcp_f64_e32 v[214:215], v[212:213]
	v_div_scale_f64 v[216:217], vcc, v[210:211], v[208:209], v[210:211]
	v_fma_f64 v[218:219], -v[212:213], v[214:215], 1.0
	v_fmac_f64_e32 v[214:215], v[214:215], v[218:219]
	v_fma_f64 v[218:219], -v[212:213], v[214:215], 1.0
	v_fmac_f64_e32 v[214:215], v[214:215], v[218:219]
	v_mul_f64 v[218:219], v[216:217], v[214:215]
	v_fma_f64 v[212:213], -v[212:213], v[218:219], v[216:217]
	v_div_fmas_f64 v[212:213], v[212:213], v[214:215], v[218:219]
	v_div_fixup_f64 v[214:215], v[212:213], v[208:209], v[210:211]
	v_fmac_f64_e32 v[208:209], v[210:211], v[214:215]
	v_div_scale_f64 v[210:211], s[10:11], v[208:209], v[208:209], 1.0
	v_rcp_f64_e32 v[212:213], v[210:211]
	s_nop 0
	v_fma_f64 v[216:217], -v[210:211], v[212:213], 1.0
	v_fmac_f64_e32 v[212:213], v[212:213], v[216:217]
	v_fma_f64 v[216:217], -v[210:211], v[212:213], 1.0
	v_fmac_f64_e32 v[212:213], v[212:213], v[216:217]
	v_div_scale_f64 v[216:217], vcc, 1.0, v[208:209], 1.0
	v_mul_f64 v[218:219], v[216:217], v[212:213]
	v_fma_f64 v[210:211], -v[210:211], v[218:219], v[216:217]
	s_nop 1
	v_div_fmas_f64 v[210:211], v[210:211], v[212:213], v[218:219]
	v_div_fixup_f64 v[212:213], v[210:211], v[208:209], 1.0
	v_mul_f64 v[214:215], v[214:215], -v[212:213]
.LBB103_439:
	s_or_b64 exec, exec, s[2:3]
	ds_write2_b64 v248, v[212:213], v[214:215] offset1:1
.LBB103_440:
	s_or_b64 exec, exec, s[4:5]
	s_waitcnt lgkmcnt(0)
	s_barrier
	scratch_load_dword v200, off, off       ; 4-byte Folded Reload
	ds_read2_b64 v[208:211], v248 offset1:1
	s_waitcnt vmcnt(0)
	v_cmp_lt_u32_e32 vcc, 48, v200
	s_and_saveexec_b64 s[2:3], vcc
	s_cbranch_execz .LBB103_442
; %bb.441:
	ds_read2_b64 v[212:215], v225 offset0:98 offset1:99
	s_waitcnt lgkmcnt(1)
	v_mul_f64 v[216:217], v[208:209], v[10:11]
	v_fmac_f64_e32 v[216:217], v[210:211], v[8:9]
	v_mul_f64 v[10:11], v[210:211], v[10:11]
	v_fma_f64 v[8:9], v[208:209], v[8:9], -v[10:11]
	s_waitcnt lgkmcnt(0)
	v_mul_f64 v[10:11], v[214:215], v[216:217]
	v_fma_f64 v[10:11], v[212:213], v[8:9], -v[10:11]
	v_mul_f64 v[212:213], v[212:213], v[216:217]
	v_fmac_f64_e32 v[212:213], v[214:215], v[8:9]
	v_add_f64 v[6:7], v[6:7], -v[212:213]
	ds_read2_b64 v[212:215], v225 offset0:100 offset1:101
	v_add_f64 v[4:5], v[4:5], -v[10:11]
	s_waitcnt lgkmcnt(0)
	v_mul_f64 v[10:11], v[214:215], v[216:217]
	v_fma_f64 v[10:11], v[212:213], v[8:9], -v[10:11]
	v_mul_f64 v[212:213], v[212:213], v[216:217]
	v_fmac_f64_e32 v[212:213], v[214:215], v[8:9]
	v_add_f64 v[2:3], v[2:3], -v[212:213]
	ds_read2_b64 v[212:215], v225 offset0:102 offset1:103
	v_add_f64 v[0:1], v[0:1], -v[10:11]
	s_waitcnt lgkmcnt(0)
	v_mul_f64 v[10:11], v[214:215], v[216:217]
	v_fma_f64 v[10:11], v[212:213], v[8:9], -v[10:11]
	v_mul_f64 v[212:213], v[212:213], v[216:217]
	v_fmac_f64_e32 v[212:213], v[214:215], v[8:9]
	v_add_f64 v[204:205], v[204:205], -v[10:11]
	v_add_f64 v[206:207], v[206:207], -v[212:213]
	v_mov_b64_e32 v[10:11], v[216:217]
.LBB103_442:
	s_or_b64 exec, exec, s[2:3]
	s_waitcnt lgkmcnt(0)
	s_barrier
	scratch_load_dword v200, off, off       ; 4-byte Folded Reload
	s_waitcnt vmcnt(0)
	v_cmp_eq_u32_e32 vcc, 49, v200
	s_and_saveexec_b64 s[4:5], vcc
	s_cbranch_execz .LBB103_449
; %bb.443:
	ds_write2_b64 v248, v[4:5], v[6:7] offset1:1
	ds_write2_b64 v225, v[0:1], v[2:3] offset0:100 offset1:101
	ds_write2_b64 v225, v[204:205], v[206:207] offset0:102 offset1:103
	ds_read2_b64 v[212:215], v248 offset1:1
	s_waitcnt lgkmcnt(0)
	v_cmp_neq_f64_e32 vcc, 0, v[212:213]
	v_cmp_neq_f64_e64 s[2:3], 0, v[214:215]
	s_or_b64 s[2:3], vcc, s[2:3]
	s_and_b64 exec, exec, s[2:3]
	s_cbranch_execz .LBB103_449
; %bb.444:
	v_cmp_ngt_f64_e64 s[2:3], |v[212:213]|, |v[214:215]|
                                        ; implicit-def: $vgpr216_vgpr217
	s_and_saveexec_b64 s[10:11], s[2:3]
	s_xor_b64 s[2:3], exec, s[10:11]
                                        ; implicit-def: $vgpr218_vgpr219
	s_cbranch_execz .LBB103_446
; %bb.445:
	v_div_scale_f64 v[216:217], s[10:11], v[214:215], v[214:215], v[212:213]
	v_rcp_f64_e32 v[218:219], v[216:217]
	v_div_scale_f64 v[220:221], vcc, v[212:213], v[214:215], v[212:213]
	v_fma_f64 v[222:223], -v[216:217], v[218:219], 1.0
	v_fmac_f64_e32 v[218:219], v[218:219], v[222:223]
	v_fma_f64 v[222:223], -v[216:217], v[218:219], 1.0
	v_fmac_f64_e32 v[218:219], v[218:219], v[222:223]
	v_mul_f64 v[222:223], v[220:221], v[218:219]
	v_fma_f64 v[216:217], -v[216:217], v[222:223], v[220:221]
	v_div_fmas_f64 v[216:217], v[216:217], v[218:219], v[222:223]
	v_div_fixup_f64 v[216:217], v[216:217], v[214:215], v[212:213]
	v_fmac_f64_e32 v[214:215], v[212:213], v[216:217]
	v_div_scale_f64 v[212:213], s[10:11], v[214:215], v[214:215], 1.0
	v_rcp_f64_e32 v[218:219], v[212:213]
	s_nop 0
	v_fma_f64 v[220:221], -v[212:213], v[218:219], 1.0
	v_fmac_f64_e32 v[218:219], v[218:219], v[220:221]
	v_fma_f64 v[220:221], -v[212:213], v[218:219], 1.0
	v_fmac_f64_e32 v[218:219], v[218:219], v[220:221]
	v_div_scale_f64 v[220:221], vcc, 1.0, v[214:215], 1.0
	v_mul_f64 v[222:223], v[220:221], v[218:219]
	v_fma_f64 v[212:213], -v[212:213], v[222:223], v[220:221]
	s_nop 1
	v_div_fmas_f64 v[212:213], v[212:213], v[218:219], v[222:223]
	v_div_fixup_f64 v[218:219], v[212:213], v[214:215], 1.0
	v_mul_f64 v[216:217], v[216:217], v[218:219]
	v_xor_b32_e32 v219, 0x80000000, v219
                                        ; implicit-def: $vgpr212_vgpr213
.LBB103_446:
	s_andn2_saveexec_b64 s[2:3], s[2:3]
	s_cbranch_execz .LBB103_448
; %bb.447:
	v_div_scale_f64 v[216:217], s[10:11], v[212:213], v[212:213], v[214:215]
	v_rcp_f64_e32 v[218:219], v[216:217]
	v_div_scale_f64 v[220:221], vcc, v[214:215], v[212:213], v[214:215]
	v_fma_f64 v[222:223], -v[216:217], v[218:219], 1.0
	v_fmac_f64_e32 v[218:219], v[218:219], v[222:223]
	v_fma_f64 v[222:223], -v[216:217], v[218:219], 1.0
	v_fmac_f64_e32 v[218:219], v[218:219], v[222:223]
	v_mul_f64 v[222:223], v[220:221], v[218:219]
	v_fma_f64 v[216:217], -v[216:217], v[222:223], v[220:221]
	v_div_fmas_f64 v[216:217], v[216:217], v[218:219], v[222:223]
	v_div_fixup_f64 v[218:219], v[216:217], v[212:213], v[214:215]
	v_fmac_f64_e32 v[212:213], v[214:215], v[218:219]
	v_div_scale_f64 v[214:215], s[10:11], v[212:213], v[212:213], 1.0
	v_rcp_f64_e32 v[216:217], v[214:215]
	s_nop 0
	v_fma_f64 v[220:221], -v[214:215], v[216:217], 1.0
	v_fmac_f64_e32 v[216:217], v[216:217], v[220:221]
	v_fma_f64 v[220:221], -v[214:215], v[216:217], 1.0
	v_fmac_f64_e32 v[216:217], v[216:217], v[220:221]
	v_div_scale_f64 v[220:221], vcc, 1.0, v[212:213], 1.0
	v_mul_f64 v[222:223], v[220:221], v[216:217]
	v_fma_f64 v[214:215], -v[214:215], v[222:223], v[220:221]
	s_nop 1
	v_div_fmas_f64 v[214:215], v[214:215], v[216:217], v[222:223]
	v_div_fixup_f64 v[216:217], v[214:215], v[212:213], 1.0
	v_mul_f64 v[218:219], v[218:219], -v[216:217]
.LBB103_448:
	s_or_b64 exec, exec, s[2:3]
	ds_write2_b64 v248, v[216:217], v[218:219] offset1:1
.LBB103_449:
	s_or_b64 exec, exec, s[4:5]
	s_waitcnt lgkmcnt(0)
	s_barrier
	scratch_load_dword v200, off, off       ; 4-byte Folded Reload
	ds_read2_b64 v[212:215], v248 offset1:1
	s_waitcnt vmcnt(0)
	v_cmp_lt_u32_e32 vcc, 49, v200
	s_and_saveexec_b64 s[2:3], vcc
	s_cbranch_execz .LBB103_451
; %bb.450:
	ds_read2_b64 v[216:219], v225 offset0:100 offset1:101
	s_waitcnt lgkmcnt(1)
	v_mul_f64 v[220:221], v[212:213], v[6:7]
	v_fmac_f64_e32 v[220:221], v[214:215], v[4:5]
	v_mul_f64 v[6:7], v[214:215], v[6:7]
	v_fma_f64 v[4:5], v[212:213], v[4:5], -v[6:7]
	s_waitcnt lgkmcnt(0)
	v_mul_f64 v[6:7], v[218:219], v[220:221]
	v_fma_f64 v[6:7], v[216:217], v[4:5], -v[6:7]
	v_mul_f64 v[216:217], v[216:217], v[220:221]
	v_fmac_f64_e32 v[216:217], v[218:219], v[4:5]
	v_add_f64 v[2:3], v[2:3], -v[216:217]
	ds_read2_b64 v[216:219], v225 offset0:102 offset1:103
	v_add_f64 v[0:1], v[0:1], -v[6:7]
	s_waitcnt lgkmcnt(0)
	v_mul_f64 v[6:7], v[218:219], v[220:221]
	v_fma_f64 v[6:7], v[216:217], v[4:5], -v[6:7]
	v_mul_f64 v[216:217], v[216:217], v[220:221]
	v_fmac_f64_e32 v[216:217], v[218:219], v[4:5]
	v_add_f64 v[204:205], v[204:205], -v[6:7]
	v_add_f64 v[206:207], v[206:207], -v[216:217]
	v_mov_b64_e32 v[6:7], v[220:221]
.LBB103_451:
	s_or_b64 exec, exec, s[2:3]
	s_waitcnt lgkmcnt(0)
	s_barrier
	scratch_load_dword v200, off, off       ; 4-byte Folded Reload
	s_waitcnt vmcnt(0)
	v_cmp_eq_u32_e32 vcc, 50, v200
	s_and_saveexec_b64 s[4:5], vcc
	s_cbranch_execz .LBB103_458
; %bb.452:
	ds_write2_b64 v248, v[0:1], v[2:3] offset1:1
	ds_write2_b64 v225, v[204:205], v[206:207] offset0:102 offset1:103
	ds_read2_b64 v[216:219], v248 offset1:1
	s_waitcnt lgkmcnt(0)
	v_cmp_neq_f64_e32 vcc, 0, v[216:217]
	v_cmp_neq_f64_e64 s[2:3], 0, v[218:219]
	s_or_b64 s[2:3], vcc, s[2:3]
	s_and_b64 exec, exec, s[2:3]
	s_cbranch_execz .LBB103_458
; %bb.453:
	v_cmp_ngt_f64_e64 s[2:3], |v[216:217]|, |v[218:219]|
                                        ; implicit-def: $vgpr220_vgpr221
	s_and_saveexec_b64 s[10:11], s[2:3]
	s_xor_b64 s[2:3], exec, s[10:11]
                                        ; implicit-def: $vgpr222_vgpr223
	s_cbranch_execz .LBB103_455
; %bb.454:
	v_div_scale_f64 v[220:221], s[10:11], v[218:219], v[218:219], v[216:217]
	v_rcp_f64_e32 v[222:223], v[220:221]
	v_div_scale_f64 v[200:201], vcc, v[216:217], v[218:219], v[216:217]
	v_fma_f64 v[202:203], -v[220:221], v[222:223], 1.0
	v_fmac_f64_e32 v[222:223], v[222:223], v[202:203]
	v_fma_f64 v[202:203], -v[220:221], v[222:223], 1.0
	v_fmac_f64_e32 v[222:223], v[222:223], v[202:203]
	v_mul_f64 v[202:203], v[200:201], v[222:223]
	v_fma_f64 v[200:201], -v[220:221], v[202:203], v[200:201]
	v_div_fmas_f64 v[200:201], v[200:201], v[222:223], v[202:203]
	v_div_fixup_f64 v[200:201], v[200:201], v[218:219], v[216:217]
	v_fmac_f64_e32 v[218:219], v[216:217], v[200:201]
	v_div_scale_f64 v[202:203], s[10:11], v[218:219], v[218:219], 1.0
	v_rcp_f64_e32 v[216:217], v[202:203]
	s_nop 0
	v_fma_f64 v[220:221], -v[202:203], v[216:217], 1.0
	v_fmac_f64_e32 v[216:217], v[216:217], v[220:221]
	v_fma_f64 v[220:221], -v[202:203], v[216:217], 1.0
	v_fmac_f64_e32 v[216:217], v[216:217], v[220:221]
	v_div_scale_f64 v[220:221], vcc, 1.0, v[218:219], 1.0
	v_mul_f64 v[222:223], v[220:221], v[216:217]
	v_fma_f64 v[202:203], -v[202:203], v[222:223], v[220:221]
	s_nop 1
	v_div_fmas_f64 v[202:203], v[202:203], v[216:217], v[222:223]
	v_div_fixup_f64 v[222:223], v[202:203], v[218:219], 1.0
	v_mul_f64 v[220:221], v[200:201], v[222:223]
	v_xor_b32_e32 v223, 0x80000000, v223
                                        ; implicit-def: $vgpr216_vgpr217
.LBB103_455:
	s_andn2_saveexec_b64 s[2:3], s[2:3]
	s_cbranch_execz .LBB103_457
; %bb.456:
	v_div_scale_f64 v[200:201], s[10:11], v[216:217], v[216:217], v[218:219]
	v_rcp_f64_e32 v[202:203], v[200:201]
	v_div_scale_f64 v[220:221], vcc, v[218:219], v[216:217], v[218:219]
	v_fma_f64 v[222:223], -v[200:201], v[202:203], 1.0
	v_fmac_f64_e32 v[202:203], v[202:203], v[222:223]
	v_fma_f64 v[222:223], -v[200:201], v[202:203], 1.0
	v_fmac_f64_e32 v[202:203], v[202:203], v[222:223]
	v_mul_f64 v[222:223], v[220:221], v[202:203]
	v_fma_f64 v[200:201], -v[200:201], v[222:223], v[220:221]
	v_div_fmas_f64 v[200:201], v[200:201], v[202:203], v[222:223]
	v_div_fixup_f64 v[200:201], v[200:201], v[216:217], v[218:219]
	v_fmac_f64_e32 v[216:217], v[218:219], v[200:201]
	v_div_scale_f64 v[202:203], s[10:11], v[216:217], v[216:217], 1.0
	v_rcp_f64_e32 v[218:219], v[202:203]
	s_nop 0
	v_fma_f64 v[220:221], -v[202:203], v[218:219], 1.0
	v_fmac_f64_e32 v[218:219], v[218:219], v[220:221]
	v_fma_f64 v[220:221], -v[202:203], v[218:219], 1.0
	v_fmac_f64_e32 v[218:219], v[218:219], v[220:221]
	v_div_scale_f64 v[220:221], vcc, 1.0, v[216:217], 1.0
	v_mul_f64 v[222:223], v[220:221], v[218:219]
	v_fma_f64 v[202:203], -v[202:203], v[222:223], v[220:221]
	s_nop 1
	v_div_fmas_f64 v[202:203], v[202:203], v[218:219], v[222:223]
	v_div_fixup_f64 v[220:221], v[202:203], v[216:217], 1.0
	v_mul_f64 v[222:223], v[200:201], -v[220:221]
.LBB103_457:
	s_or_b64 exec, exec, s[2:3]
	ds_write2_b64 v248, v[220:221], v[222:223] offset1:1
.LBB103_458:
	s_or_b64 exec, exec, s[4:5]
	s_waitcnt lgkmcnt(0)
	s_barrier
	scratch_load_dword v200, off, off       ; 4-byte Folded Reload
	ds_read2_b64 v[216:219], v248 offset1:1
	s_waitcnt vmcnt(0)
	v_cmp_lt_u32_e32 vcc, 50, v200
	s_and_saveexec_b64 s[2:3], vcc
	s_cbranch_execz .LBB103_460
; %bb.459:
	ds_read2_b64 v[220:223], v225 offset0:102 offset1:103
	s_waitcnt lgkmcnt(1)
	v_mul_f64 v[200:201], v[216:217], v[2:3]
	v_mul_f64 v[2:3], v[218:219], v[2:3]
	v_fmac_f64_e32 v[200:201], v[218:219], v[0:1]
	v_fma_f64 v[0:1], v[216:217], v[0:1], -v[2:3]
	s_waitcnt lgkmcnt(0)
	v_mul_f64 v[2:3], v[222:223], v[200:201]
	v_mul_f64 v[202:203], v[220:221], v[200:201]
	v_fma_f64 v[2:3], v[220:221], v[0:1], -v[2:3]
	v_fmac_f64_e32 v[202:203], v[222:223], v[0:1]
	v_add_f64 v[204:205], v[204:205], -v[2:3]
	v_add_f64 v[206:207], v[206:207], -v[202:203]
	v_mov_b64_e32 v[2:3], v[200:201]
.LBB103_460:
	s_or_b64 exec, exec, s[2:3]
	s_waitcnt lgkmcnt(0)
	s_barrier
	scratch_load_dword v200, off, off       ; 4-byte Folded Reload
	s_waitcnt vmcnt(0)
	v_cmp_eq_u32_e32 vcc, 51, v200
	s_and_saveexec_b64 s[4:5], vcc
	s_cbranch_execz .LBB103_467
; %bb.461:
	v_cmp_neq_f64_e32 vcc, 0, v[204:205]
	v_cmp_neq_f64_e64 s[2:3], 0, v[206:207]
	s_or_b64 s[2:3], vcc, s[2:3]
	ds_write2_b64 v248, v[204:205], v[206:207] offset1:1
	s_and_b64 exec, exec, s[2:3]
	s_cbranch_execz .LBB103_467
; %bb.462:
	v_cmp_ngt_f64_e64 s[2:3], |v[204:205]|, |v[206:207]|
                                        ; implicit-def: $vgpr220_vgpr221
	s_and_saveexec_b64 s[10:11], s[2:3]
	s_xor_b64 s[2:3], exec, s[10:11]
                                        ; implicit-def: $vgpr222_vgpr223
	s_cbranch_execz .LBB103_464
; %bb.463:
	v_mov_b64_e32 v[224:225], v[244:245]
	v_mov_b64_e32 v[226:227], v[246:247]
	;; [unrolled: 1-line block ×59, first 2 shown]
	v_div_scale_f64 v[200:201], s[10:11], v[206:207], v[206:207], v[204:205]
	v_mov_b64_e32 v[236:237], v[128:129]
	v_mov_b64_e32 v[128:129], v[132:133]
	v_rcp_f64_e32 v[202:203], v[200:201]
	v_mov_b64_e32 v[130:131], v[134:135]
	v_mov_b64_e32 v[132:133], v[136:137]
	;; [unrolled: 1-line block ×8, first 2 shown]
	v_fma_f64 v[222:223], -v[200:201], v[202:203], 1.0
	v_mov_b64_e32 v[146:147], v[150:151]
	v_mov_b64_e32 v[148:149], v[152:153]
	v_fmac_f64_e32 v[202:203], v[202:203], v[222:223]
	v_mov_b64_e32 v[150:151], v[154:155]
	v_mov_b64_e32 v[152:153], v[156:157]
	v_fma_f64 v[222:223], -v[200:201], v[202:203], 1.0
	v_mov_b64_e32 v[154:155], v[158:159]
	v_mov_b64_e32 v[156:157], v[232:233]
	v_div_scale_f64 v[220:221], vcc, v[204:205], v[206:207], v[204:205]
	v_fmac_f64_e32 v[202:203], v[202:203], v[222:223]
	v_mov_b64_e32 v[158:159], v[234:235]
	v_mov_b64_e32 v[234:235], v[162:163]
	v_mul_f64 v[222:223], v[220:221], v[202:203]
	v_mov_b64_e32 v[232:233], v[160:161]
	v_mov_b64_e32 v[160:161], v[164:165]
	v_fma_f64 v[200:201], -v[200:201], v[222:223], v[220:221]
	v_mov_b64_e32 v[162:163], v[166:167]
	v_mov_b64_e32 v[164:165], v[168:169]
	v_div_fmas_f64 v[200:201], v[200:201], v[202:203], v[222:223]
	v_mov_b64_e32 v[166:167], v[170:171]
	v_mov_b64_e32 v[168:169], v[172:173]
	v_div_fixup_f64 v[200:201], v[200:201], v[206:207], v[204:205]
	v_mov_b64_e32 v[170:171], v[174:175]
	v_mov_b64_e32 v[172:173], v[176:177]
	v_fma_f64 v[202:203], v[204:205], v[200:201], v[206:207]
	v_mov_b64_e32 v[174:175], v[178:179]
	v_mov_b64_e32 v[176:177], v[180:181]
	v_div_scale_f64 v[220:221], s[10:11], v[202:203], v[202:203], 1.0
	v_mov_b64_e32 v[178:179], v[182:183]
	v_mov_b64_e32 v[180:181], v[184:185]
	v_rcp_f64_e32 v[222:223], v[220:221]
	v_mov_b64_e32 v[182:183], v[186:187]
	v_mov_b64_e32 v[184:185], v[228:229]
	;; [unrolled: 1-line block ×9, first 2 shown]
	v_fma_f64 v[196:197], -v[220:221], v[222:223], 1.0
	v_fmac_f64_e32 v[222:223], v[222:223], v[196:197]
	v_fma_f64 v[196:197], -v[220:221], v[222:223], 1.0
	v_fmac_f64_e32 v[222:223], v[222:223], v[196:197]
	v_div_scale_f64 v[196:197], vcc, 1.0, v[202:203], 1.0
	v_mul_f64 v[198:199], v[196:197], v[222:223]
	v_fma_f64 v[196:197], -v[220:221], v[198:199], v[196:197]
	s_nop 1
	v_div_fmas_f64 v[196:197], v[196:197], v[222:223], v[198:199]
	v_div_fixup_f64 v[222:223], v[196:197], v[202:203], 1.0
	v_mov_b64_e32 v[198:199], v[194:195]
	v_mov_b64_e32 v[196:197], v[192:193]
	v_mov_b64_e32 v[194:195], v[190:191]
	v_mov_b64_e32 v[192:193], v[188:189]
	v_mov_b64_e32 v[188:189], v[228:229]
	v_mov_b64_e32 v[190:191], v[230:231]
	v_mov_b64_e32 v[230:231], v[186:187]
	v_mov_b64_e32 v[228:229], v[184:185]
	v_mov_b64_e32 v[186:187], v[182:183]
	v_mov_b64_e32 v[184:185], v[180:181]
	v_mov_b64_e32 v[182:183], v[178:179]
	v_mov_b64_e32 v[180:181], v[176:177]
	v_mov_b64_e32 v[178:179], v[174:175]
	v_mov_b64_e32 v[176:177], v[172:173]
	v_mov_b64_e32 v[174:175], v[170:171]
	v_mov_b64_e32 v[172:173], v[168:169]
	v_mov_b64_e32 v[170:171], v[166:167]
	v_mov_b64_e32 v[168:169], v[164:165]
	v_mov_b64_e32 v[166:167], v[162:163]
	v_mov_b64_e32 v[164:165], v[160:161]
	v_mov_b64_e32 v[160:161], v[232:233]
	v_mov_b64_e32 v[162:163], v[234:235]
	v_mov_b64_e32 v[234:235], v[158:159]
	v_mov_b64_e32 v[232:233], v[156:157]
	v_mov_b64_e32 v[158:159], v[154:155]
	v_mov_b64_e32 v[156:157], v[152:153]
	v_mov_b64_e32 v[154:155], v[150:151]
	v_mov_b64_e32 v[152:153], v[148:149]
	v_mov_b64_e32 v[150:151], v[146:147]
	v_mov_b64_e32 v[148:149], v[144:145]
	v_mov_b64_e32 v[146:147], v[142:143]
	v_mov_b64_e32 v[144:145], v[140:141]
	v_mov_b64_e32 v[142:143], v[138:139]
	v_mov_b64_e32 v[140:141], v[136:137]
	v_mov_b64_e32 v[138:139], v[134:135]
	v_mov_b64_e32 v[136:137], v[132:133]
	v_mov_b64_e32 v[134:135], v[130:131]
	v_mov_b64_e32 v[132:133], v[128:129]
	v_mov_b64_e32 v[128:129], v[236:237]
	v_mov_b64_e32 v[130:131], v[238:239]
	v_mov_b64_e32 v[238:239], v[126:127]
	v_mov_b64_e32 v[236:237], v[124:125]
	v_mov_b64_e32 v[126:127], v[122:123]
	v_mov_b64_e32 v[124:125], v[120:121]
	v_mov_b64_e32 v[122:123], v[118:119]
	v_mov_b64_e32 v[120:121], v[116:117]
	v_mov_b64_e32 v[118:119], v[114:115]
	v_mov_b64_e32 v[116:117], v[112:113]
	v_mov_b64_e32 v[114:115], v[110:111]
	v_mov_b64_e32 v[112:113], v[108:109]
	v_mov_b64_e32 v[110:111], v[106:107]
	v_mov_b64_e32 v[108:109], v[104:105]
	v_mov_b64_e32 v[106:107], v[102:103]
	v_mov_b64_e32 v[104:105], v[100:101]
	v_mov_b64_e32 v[102:103], v[98:99]
	v_mov_b64_e32 v[100:101], v[96:97]
	v_mov_b64_e32 v[98:99], v[94:95]
	v_mov_b64_e32 v[96:97], v[92:93]
	v_mov_b64_e32 v[94:95], v[90:91]
	v_mov_b64_e32 v[92:93], v[88:89]
	v_mov_b64_e32 v[90:91], v[86:87]
	v_mov_b64_e32 v[88:89], v[84:85]
	v_mov_b64_e32 v[84:85], v[240:241]
	v_mov_b64_e32 v[86:87], v[242:243]
	v_mov_b64_e32 v[242:243], v[82:83]
	v_mov_b64_e32 v[240:241], v[80:81]
	v_mov_b64_e32 v[82:83], v[78:79]
	v_mov_b64_e32 v[80:81], v[76:77]
	v_mov_b64_e32 v[78:79], v[74:75]
	v_mov_b64_e32 v[76:77], v[72:73]
	v_mov_b64_e32 v[74:75], v[70:71]
	v_mov_b64_e32 v[72:73], v[68:69]
	v_mov_b64_e32 v[70:71], v[66:67]
	v_mov_b64_e32 v[68:69], v[64:65]
	v_mov_b64_e32 v[66:67], v[62:63]
	v_mov_b64_e32 v[64:65], v[60:61]
	v_mov_b64_e32 v[62:63], v[58:59]
	v_mov_b64_e32 v[60:61], v[56:57]
	v_mov_b64_e32 v[58:59], v[54:55]
	v_mov_b64_e32 v[56:57], v[52:53]
	v_mov_b64_e32 v[54:55], v[50:51]
	v_mov_b64_e32 v[52:53], v[48:49]
	v_mov_b64_e32 v[50:51], v[46:47]
	v_mov_b64_e32 v[48:49], v[44:45]
	v_mov_b64_e32 v[46:47], v[42:43]
	v_mov_b64_e32 v[44:45], v[40:41]
	v_mov_b64_e32 v[42:43], v[38:39]
	v_mov_b64_e32 v[40:41], v[36:37]
	v_mov_b64_e32 v[38:39], v[34:35]
	v_mov_b64_e32 v[36:37], v[32:33]
	v_mov_b64_e32 v[34:35], v[30:31]
	v_mov_b64_e32 v[32:33], v[28:29]
	v_mov_b64_e32 v[30:31], v[26:27]
	v_mov_b64_e32 v[28:29], v[24:25]
	v_mov_b64_e32 v[24:25], v[244:245]
	v_mov_b64_e32 v[26:27], v[246:247]
	v_mov_b64_e32 v[246:247], v[226:227]
	v_mov_b64_e32 v[244:245], v[224:225]
	v_mul_f64 v[220:221], v[200:201], v[222:223]
	v_xor_b32_e32 v223, 0x80000000, v223
.LBB103_464:
	s_andn2_saveexec_b64 s[2:3], s[2:3]
	s_cbranch_execz .LBB103_466
; %bb.465:
	v_mov_b64_e32 v[224:225], v[244:245]
	v_mov_b64_e32 v[226:227], v[246:247]
	;; [unrolled: 1-line block ×88, first 2 shown]
	v_div_scale_f64 v[196:197], s[10:11], v[204:205], v[204:205], v[206:207]
	v_rcp_f64_e32 v[198:199], v[196:197]
	v_div_scale_f64 v[200:201], vcc, v[206:207], v[204:205], v[206:207]
	v_fma_f64 v[202:203], -v[196:197], v[198:199], 1.0
	v_fmac_f64_e32 v[198:199], v[198:199], v[202:203]
	v_fma_f64 v[202:203], -v[196:197], v[198:199], 1.0
	v_fmac_f64_e32 v[198:199], v[198:199], v[202:203]
	v_mul_f64 v[202:203], v[200:201], v[198:199]
	v_fma_f64 v[196:197], -v[196:197], v[202:203], v[200:201]
	v_div_fmas_f64 v[196:197], v[196:197], v[198:199], v[202:203]
	v_div_fixup_f64 v[196:197], v[196:197], v[204:205], v[206:207]
	v_fma_f64 v[198:199], v[206:207], v[196:197], v[204:205]
	v_div_scale_f64 v[200:201], s[10:11], v[198:199], v[198:199], 1.0
	v_rcp_f64_e32 v[202:203], v[200:201]
	s_nop 0
	v_fma_f64 v[220:221], -v[200:201], v[202:203], 1.0
	v_fmac_f64_e32 v[202:203], v[202:203], v[220:221]
	v_fma_f64 v[220:221], -v[200:201], v[202:203], 1.0
	v_fmac_f64_e32 v[202:203], v[202:203], v[220:221]
	v_div_scale_f64 v[220:221], vcc, 1.0, v[198:199], 1.0
	v_mul_f64 v[222:223], v[220:221], v[202:203]
	v_fma_f64 v[200:201], -v[200:201], v[222:223], v[220:221]
	s_nop 1
	v_div_fmas_f64 v[200:201], v[200:201], v[202:203], v[222:223]
	v_div_fixup_f64 v[220:221], v[200:201], v[198:199], 1.0
	v_mul_f64 v[222:223], v[196:197], -v[220:221]
	v_mov_b64_e32 v[198:199], v[194:195]
	v_mov_b64_e32 v[196:197], v[192:193]
	;; [unrolled: 1-line block ×88, first 2 shown]
.LBB103_466:
	s_or_b64 exec, exec, s[2:3]
	ds_write2_b64 v248, v[220:221], v[222:223] offset1:1
.LBB103_467:
	s_or_b64 exec, exec, s[4:5]
	s_waitcnt lgkmcnt(0)
	s_barrier
	ds_read2_b64 v[220:223], v248 offset1:1
	s_waitcnt lgkmcnt(0)
	s_barrier
	s_and_saveexec_b64 s[2:3], s[0:1]
	s_cbranch_execz .LBB103_470
; %bb.468:
	v_mov_b64_e32 v[226:227], v[74:75]
	v_mov_b64_e32 v[224:225], v[72:73]
	;; [unrolled: 1-line block ×72, first 2 shown]
	scratch_load_dwordx4 v[196:199], off, off offset:452 ; 16-byte Folded Reload
	v_mov_b64_e32 v[250:251], v[206:207]
	v_mov_b64_e32 v[248:249], v[204:205]
	;; [unrolled: 1-line block ×68, first 2 shown]
	s_waitcnt vmcnt(0)
	v_cmp_eq_f64_e64 s[0:1], 0, v[198:199]
	scratch_load_dwordx4 v[198:201], off, off offset:468 ; 16-byte Folded Reload
	v_cmp_eq_f64_e32 vcc, 0, v[196:197]
	s_and_b64 s[4:5], vcc, s[0:1]
	v_cndmask_b32_e64 v196, 0, 1, s[4:5]
	v_mov_b32_e32 v197, s7
	s_waitcnt vmcnt(0)
	v_cmp_neq_f64_e32 vcc, 0, v[198:199]
	v_cmp_neq_f64_e64 s[0:1], 0, v[200:201]
	scratch_load_dwordx4 v[198:201], off, off offset:484 ; 16-byte Folded Reload
	s_or_b64 s[0:1], vcc, s[0:1]
	s_or_b64 vcc, s[0:1], s[4:5]
	v_cndmask_b32_e32 v196, 2, v196, vcc
	v_cmp_eq_f64_e32 vcc, 0, v[192:193]
	v_cmp_eq_f64_e64 s[0:1], 0, v[194:195]
	s_and_b64 s[0:1], vcc, s[0:1]
	v_cmp_eq_u32_e32 vcc, 0, v196
	s_and_b64 s[0:1], s[0:1], vcc
	v_cndmask_b32_e64 v196, v196, 3, s[0:1]
	v_cmp_eq_f64_e32 vcc, 0, v[184:185]
	v_cmp_eq_f64_e64 s[0:1], 0, v[186:187]
	s_and_b64 s[0:1], vcc, s[0:1]
	v_cmp_eq_u32_e32 vcc, 0, v196
	s_and_b64 s[0:1], s[0:1], vcc
	v_cndmask_b32_e64 v196, v196, 4, s[0:1]
	;; [unrolled: 6-line block ×6, first 2 shown]
	v_mov_b64_e32 v[82:83], v[78:79]
	v_mov_b64_e32 v[80:81], v[76:77]
	;; [unrolled: 1-line block ×40, first 2 shown]
	s_waitcnt vmcnt(0)
	v_cmp_eq_f64_e32 vcc, 0, v[198:199]
	v_cmp_eq_f64_e64 s[0:1], 0, v[200:201]
	scratch_load_dwordx4 v[198:201], off, off offset:500 ; 16-byte Folded Reload
	s_and_b64 s[0:1], vcc, s[0:1]
	v_cmp_eq_u32_e32 vcc, 0, v196
	s_and_b64 s[0:1], s[0:1], vcc
	v_cndmask_b32_e64 v196, v196, 9, s[0:1]
	v_mov_b64_e32 v[138:139], v[134:135]
	v_mov_b64_e32 v[96:97], v[92:93]
	;; [unrolled: 1-line block ×22, first 2 shown]
	s_waitcnt vmcnt(0)
	v_cmp_eq_f64_e32 vcc, 0, v[198:199]
	v_cmp_eq_f64_e64 s[0:1], 0, v[200:201]
	scratch_load_dwordx4 v[198:201], off, off offset:516 ; 16-byte Folded Reload
	s_and_b64 s[0:1], vcc, s[0:1]
	v_cmp_eq_u32_e32 vcc, 0, v196
	s_and_b64 s[0:1], s[0:1], vcc
	v_cndmask_b32_e64 v196, v196, 10, s[0:1]
	s_waitcnt vmcnt(0)
	v_cmp_eq_f64_e32 vcc, 0, v[198:199]
	v_cmp_eq_f64_e64 s[0:1], 0, v[200:201]
	scratch_load_dwordx4 v[198:201], off, off offset:532 ; 16-byte Folded Reload
	s_and_b64 s[0:1], vcc, s[0:1]
	v_cmp_eq_u32_e32 vcc, 0, v196
	s_and_b64 s[0:1], s[0:1], vcc
	v_cndmask_b32_e64 v196, v196, 11, s[0:1]
	;; [unrolled: 8-line block ×28, first 2 shown]
	s_waitcnt vmcnt(0)
	v_cmp_eq_f64_e64 s[0:1], 0, v[200:201]
	scratch_load_dwordx4 v[200:203], off, off offset:964 ; 16-byte Folded Reload
	v_cmp_eq_f64_e32 vcc, 0, v[198:199]
	s_and_b64 s[0:1], vcc, s[0:1]
	v_cmp_eq_u32_e32 vcc, 0, v196
	s_and_b64 s[0:1], s[0:1], vcc
	v_cndmask_b32_e64 v198, v196, 38, s[0:1]
	v_mov_b32_e32 v196, s6
	s_waitcnt vmcnt(0)
	v_cmp_eq_f64_e32 vcc, 0, v[200:201]
	scratch_load_dwordx2 v[200:201], off, off offset:1108 ; 8-byte Folded Reload
	v_cmp_eq_f64_e64 s[0:1], 0, v[202:203]
	s_and_b64 s[0:1], vcc, s[0:1]
	v_cmp_eq_u32_e32 vcc, 0, v198
	s_and_b64 s[0:1], s[0:1], vcc
	s_waitcnt vmcnt(0)
	v_lshl_add_u64 v[224:225], v[200:201], 2, v[196:197]
	v_cndmask_b32_e64 v197, v198, 39, s[0:1]
	scratch_load_dwordx4 v[198:201], off, off offset:980 ; 16-byte Folded Reload
	global_load_dword v196, v[224:225], off
	s_waitcnt vmcnt(1)
	v_cmp_eq_f64_e32 vcc, 0, v[198:199]
	v_cmp_eq_f64_e64 s[0:1], 0, v[200:201]
	scratch_load_dwordx4 v[198:201], off, off offset:996 ; 16-byte Folded Reload
	s_and_b64 s[0:1], vcc, s[0:1]
	v_cmp_eq_u32_e32 vcc, 0, v197
	s_and_b64 s[0:1], s[0:1], vcc
	v_cndmask_b32_e64 v197, v197, 40, s[0:1]
	s_waitcnt vmcnt(0)
	v_cmp_eq_f64_e32 vcc, 0, v[198:199]
	v_cmp_eq_f64_e64 s[0:1], 0, v[200:201]
	scratch_load_dwordx4 v[198:201], off, off offset:1012 ; 16-byte Folded Reload
	s_and_b64 s[0:1], vcc, s[0:1]
	v_cmp_eq_u32_e32 vcc, 0, v197
	s_and_b64 s[0:1], s[0:1], vcc
	v_cndmask_b32_e64 v197, v197, 41, s[0:1]
	;; [unrolled: 8-line block ×7, first 2 shown]
	s_waitcnt vmcnt(0)
	v_cmp_eq_f64_e32 vcc, 0, v[198:199]
	v_cmp_eq_f64_e64 s[0:1], 0, v[200:201]
	s_and_b64 s[0:1], vcc, s[0:1]
	v_cmp_eq_u32_e32 vcc, 0, v197
	s_and_b64 s[0:1], s[0:1], vcc
	v_cndmask_b32_e64 v197, v197, 47, s[0:1]
	v_cmp_eq_f64_e32 vcc, 0, v[252:253]
	v_cmp_eq_f64_e64 s[0:1], 0, v[254:255]
	s_and_b64 s[0:1], vcc, s[0:1]
	v_cmp_eq_u32_e32 vcc, 0, v197
	s_and_b64 s[0:1], s[0:1], vcc
	v_cndmask_b32_e64 v197, v197, 48, s[0:1]
	;; [unrolled: 6-line block ×6, first 2 shown]
	v_cmp_eq_u32_e32 vcc, 0, v196
	v_cmp_ne_u32_e64 s[0:1], 0, v208
	s_and_b64 s[0:1], vcc, s[0:1]
	s_and_b64 exec, exec, s[0:1]
	s_cbranch_execz .LBB103_470
; %bb.469:
	v_add_u32_e32 v196, s9, v208
	global_store_dword v[224:225], v196, off
.LBB103_470:
	s_or_b64 exec, exec, s[2:3]
	scratch_load_dword v196, off, off       ; 4-byte Folded Reload
	v_mul_f64 v[198:199], v[220:221], v[206:207]
	v_fmac_f64_e32 v[198:199], v[222:223], v[204:205]
	s_waitcnt vmcnt(0)
	v_cmp_lt_u32_e32 vcc, 51, v196
	v_mul_f64 v[196:197], v[222:223], v[206:207]
	v_fma_f64 v[196:197], v[220:221], v[204:205], -v[196:197]
	v_cndmask_b32_e32 v207, v207, v199, vcc
	v_cndmask_b32_e32 v206, v206, v198, vcc
	;; [unrolled: 1-line block ×4, first 2 shown]
	scratch_load_dwordx2 v[196:197], off, off offset:36 ; 8-byte Folded Reload
	scratch_load_dwordx4 v[198:201], off, off offset:20 ; 16-byte Folded Reload
	s_waitcnt vmcnt(0)
	global_store_dwordx4 v[196:197], v[198:201], off
	scratch_load_dwordx2 v[196:197], off, off offset:444 ; 8-byte Folded Reload
	s_nop 0
	scratch_load_dwordx4 v[198:201], off, off offset:4 ; 16-byte Folded Reload
	s_waitcnt vmcnt(0)
	global_store_dwordx4 v[196:197], v[198:201], off
	scratch_load_dwordx2 v[196:197], off, off offset:44 ; 8-byte Folded Reload
	s_waitcnt vmcnt(0)
	global_store_dwordx4 v[196:197], v[192:195], off
	scratch_load_dwordx2 v[192:193], off, off offset:52 ; 8-byte Folded Reload
	;; [unrolled: 3-line block ×50, first 2 shown]
	s_waitcnt vmcnt(0)
	global_store_dwordx4 v[0:1], v[204:207], off
.LBB103_471:
	s_endpgm
	.section	.rodata,"a",@progbits
	.p2align	6, 0x0
	.amdhsa_kernel _ZN9rocsolver6v33100L23getf2_npvt_small_kernelILi52E19rocblas_complex_numIdEiiPS3_EEvT1_T3_lS5_lPT2_S5_S5_
		.amdhsa_group_segment_fixed_size 0
		.amdhsa_private_segment_fixed_size 1120
		.amdhsa_kernarg_size 312
		.amdhsa_user_sgpr_count 2
		.amdhsa_user_sgpr_dispatch_ptr 0
		.amdhsa_user_sgpr_queue_ptr 0
		.amdhsa_user_sgpr_kernarg_segment_ptr 1
		.amdhsa_user_sgpr_dispatch_id 0
		.amdhsa_user_sgpr_kernarg_preload_length 0
		.amdhsa_user_sgpr_kernarg_preload_offset 0
		.amdhsa_user_sgpr_private_segment_size 0
		.amdhsa_uses_dynamic_stack 0
		.amdhsa_enable_private_segment 1
		.amdhsa_system_sgpr_workgroup_id_x 1
		.amdhsa_system_sgpr_workgroup_id_y 1
		.amdhsa_system_sgpr_workgroup_id_z 0
		.amdhsa_system_sgpr_workgroup_info 0
		.amdhsa_system_vgpr_workitem_id 1
		.amdhsa_next_free_vgpr 256
		.amdhsa_next_free_sgpr 16
		.amdhsa_accum_offset 256
		.amdhsa_reserve_vcc 1
		.amdhsa_float_round_mode_32 0
		.amdhsa_float_round_mode_16_64 0
		.amdhsa_float_denorm_mode_32 3
		.amdhsa_float_denorm_mode_16_64 3
		.amdhsa_dx10_clamp 1
		.amdhsa_ieee_mode 1
		.amdhsa_fp16_overflow 0
		.amdhsa_tg_split 0
		.amdhsa_exception_fp_ieee_invalid_op 0
		.amdhsa_exception_fp_denorm_src 0
		.amdhsa_exception_fp_ieee_div_zero 0
		.amdhsa_exception_fp_ieee_overflow 0
		.amdhsa_exception_fp_ieee_underflow 0
		.amdhsa_exception_fp_ieee_inexact 0
		.amdhsa_exception_int_div_zero 0
	.end_amdhsa_kernel
	.section	.text._ZN9rocsolver6v33100L23getf2_npvt_small_kernelILi52E19rocblas_complex_numIdEiiPS3_EEvT1_T3_lS5_lPT2_S5_S5_,"axG",@progbits,_ZN9rocsolver6v33100L23getf2_npvt_small_kernelILi52E19rocblas_complex_numIdEiiPS3_EEvT1_T3_lS5_lPT2_S5_S5_,comdat
.Lfunc_end103:
	.size	_ZN9rocsolver6v33100L23getf2_npvt_small_kernelILi52E19rocblas_complex_numIdEiiPS3_EEvT1_T3_lS5_lPT2_S5_S5_, .Lfunc_end103-_ZN9rocsolver6v33100L23getf2_npvt_small_kernelILi52E19rocblas_complex_numIdEiiPS3_EEvT1_T3_lS5_lPT2_S5_S5_
                                        ; -- End function
	.set _ZN9rocsolver6v33100L23getf2_npvt_small_kernelILi52E19rocblas_complex_numIdEiiPS3_EEvT1_T3_lS5_lPT2_S5_S5_.num_vgpr, 256
	.set _ZN9rocsolver6v33100L23getf2_npvt_small_kernelILi52E19rocblas_complex_numIdEiiPS3_EEvT1_T3_lS5_lPT2_S5_S5_.num_agpr, 0
	.set _ZN9rocsolver6v33100L23getf2_npvt_small_kernelILi52E19rocblas_complex_numIdEiiPS3_EEvT1_T3_lS5_lPT2_S5_S5_.numbered_sgpr, 16
	.set _ZN9rocsolver6v33100L23getf2_npvt_small_kernelILi52E19rocblas_complex_numIdEiiPS3_EEvT1_T3_lS5_lPT2_S5_S5_.num_named_barrier, 0
	.set _ZN9rocsolver6v33100L23getf2_npvt_small_kernelILi52E19rocblas_complex_numIdEiiPS3_EEvT1_T3_lS5_lPT2_S5_S5_.private_seg_size, 1120
	.set _ZN9rocsolver6v33100L23getf2_npvt_small_kernelILi52E19rocblas_complex_numIdEiiPS3_EEvT1_T3_lS5_lPT2_S5_S5_.uses_vcc, 1
	.set _ZN9rocsolver6v33100L23getf2_npvt_small_kernelILi52E19rocblas_complex_numIdEiiPS3_EEvT1_T3_lS5_lPT2_S5_S5_.uses_flat_scratch, 0
	.set _ZN9rocsolver6v33100L23getf2_npvt_small_kernelILi52E19rocblas_complex_numIdEiiPS3_EEvT1_T3_lS5_lPT2_S5_S5_.has_dyn_sized_stack, 0
	.set _ZN9rocsolver6v33100L23getf2_npvt_small_kernelILi52E19rocblas_complex_numIdEiiPS3_EEvT1_T3_lS5_lPT2_S5_S5_.has_recursion, 0
	.set _ZN9rocsolver6v33100L23getf2_npvt_small_kernelILi52E19rocblas_complex_numIdEiiPS3_EEvT1_T3_lS5_lPT2_S5_S5_.has_indirect_call, 0
	.section	.AMDGPU.csdata,"",@progbits
; Kernel info:
; codeLenInByte = 121772
; TotalNumSgprs: 22
; NumVgprs: 256
; NumAgprs: 0
; TotalNumVgprs: 256
; ScratchSize: 1120
; MemoryBound: 1
; FloatMode: 240
; IeeeMode: 1
; LDSByteSize: 0 bytes/workgroup (compile time only)
; SGPRBlocks: 2
; VGPRBlocks: 31
; NumSGPRsForWavesPerEU: 22
; NumVGPRsForWavesPerEU: 256
; AccumOffset: 256
; Occupancy: 2
; WaveLimiterHint : 0
; COMPUTE_PGM_RSRC2:SCRATCH_EN: 1
; COMPUTE_PGM_RSRC2:USER_SGPR: 2
; COMPUTE_PGM_RSRC2:TRAP_HANDLER: 0
; COMPUTE_PGM_RSRC2:TGID_X_EN: 1
; COMPUTE_PGM_RSRC2:TGID_Y_EN: 1
; COMPUTE_PGM_RSRC2:TGID_Z_EN: 0
; COMPUTE_PGM_RSRC2:TIDIG_COMP_CNT: 1
; COMPUTE_PGM_RSRC3_GFX90A:ACCUM_OFFSET: 63
; COMPUTE_PGM_RSRC3_GFX90A:TG_SPLIT: 0
	.section	.text._ZN9rocsolver6v33100L18getf2_small_kernelILi53E19rocblas_complex_numIdEiiPS3_EEvT1_T3_lS5_lPS5_llPT2_S5_S5_S7_l,"axG",@progbits,_ZN9rocsolver6v33100L18getf2_small_kernelILi53E19rocblas_complex_numIdEiiPS3_EEvT1_T3_lS5_lPS5_llPT2_S5_S5_S7_l,comdat
	.globl	_ZN9rocsolver6v33100L18getf2_small_kernelILi53E19rocblas_complex_numIdEiiPS3_EEvT1_T3_lS5_lPS5_llPT2_S5_S5_S7_l ; -- Begin function _ZN9rocsolver6v33100L18getf2_small_kernelILi53E19rocblas_complex_numIdEiiPS3_EEvT1_T3_lS5_lPS5_llPT2_S5_S5_S7_l
	.p2align	8
	.type	_ZN9rocsolver6v33100L18getf2_small_kernelILi53E19rocblas_complex_numIdEiiPS3_EEvT1_T3_lS5_lPS5_llPT2_S5_S5_S7_l,@function
_ZN9rocsolver6v33100L18getf2_small_kernelILi53E19rocblas_complex_numIdEiiPS3_EEvT1_T3_lS5_lPS5_llPT2_S5_S5_S7_l: ; @_ZN9rocsolver6v33100L18getf2_small_kernelILi53E19rocblas_complex_numIdEiiPS3_EEvT1_T3_lS5_lPS5_llPT2_S5_S5_S7_l
; %bb.0:
	s_load_dword s2, s[0:1], 0x6c
	s_load_dwordx2 s[12:13], s[0:1], 0x48
	v_bfe_u32 v212, v0, 10, 10
	s_waitcnt lgkmcnt(0)
	s_lshr_b32 s2, s2, 16
	s_mul_i32 s3, s3, s2
	v_add_u32_e32 v218, s3, v212
	v_cmp_gt_i32_e32 vcc, s12, v218
	s_and_saveexec_b64 s[2:3], vcc
	s_cbranch_execnz .LBB104_1
; %bb.1115:
	s_getpc_b64 s[24:25]
.Lpost_getpc3:
	s_add_u32 s24, s24, (.LBB104_1114-.Lpost_getpc3)&4294967295
	s_addc_u32 s25, s25, (.LBB104_1114-.Lpost_getpc3)>>32
	s_setpc_b64 s[24:25]
.LBB104_1:
	s_load_dwordx4 s[4:7], s[0:1], 0x50
	v_ashrrev_i32_e32 v219, 31, v218
	v_mov_b64_e32 v[220:221], 0
	s_waitcnt lgkmcnt(0)
	s_cmp_eq_u64 s[4:5], 0
	s_cselect_b64 s[14:15], -1, 0
	s_and_b64 vcc, exec, s[14:15]
	s_cbranch_vccnz .LBB104_3
; %bb.2:
	v_mul_lo_u32 v1, s7, v218
	v_mul_lo_u32 v4, s6, v219
	v_mad_u64_u32 v[2:3], s[2:3], s6, v218, 0
	v_add3_u32 v3, v3, v4, v1
	v_lshl_add_u64 v[220:221], v[2:3], 2, s[4:5]
.LBB104_3:
	s_load_dwordx4 s[16:19], s[0:1], 0x8
	s_load_dwordx8 s[4:11], s[0:1], 0x20
	s_load_dword s2, s[0:1], 0x18
	s_load_dword s20, s[0:1], 0x0
	v_and_b32_e32 v227, 0x3ff, v0
	s_waitcnt lgkmcnt(0)
	v_mov_b32_e32 v2, s16
	v_mul_lo_u32 v1, s5, v218
	v_mul_lo_u32 v6, s4, v219
	v_mad_u64_u32 v[4:5], s[4:5], s4, v218, 0
	v_mov_b32_e32 v3, s17
	v_add3_u32 v5, v5, v6, v1
	v_lshl_add_u64 v[2:3], v[4:5], 4, v[2:3]
	s_add_i32 s12, s2, s2
	v_lshl_add_u64 v[216:217], s[18:19], 4, v[2:3]
	v_add_u32_e32 v2, s12, v227
	v_add_u32_e32 v4, s2, v2
	;; [unrolled: 1-line block ×3, first 2 shown]
	v_lshlrev_b32_e32 v222, 4, v227
	v_mov_b32_e32 v223, 0
	v_add_u32_e32 v8, s2, v6
	v_lshl_add_u64 v[0:1], v[216:217], 0, v[222:223]
	s_ashr_i32 s3, s2, 31
	v_ashrrev_i32_e32 v9, 31, v8
	v_add_u32_e32 v12, s2, v8
	v_lshl_add_u64 v[10:11], s[2:3], 4, v[0:1]
	global_load_dwordx4 v[144:147], v[0:1], off
	global_load_dwordx4 v[136:139], v[10:11], off
	v_lshl_add_u64 v[0:1], v[8:9], 4, v[216:217]
	v_ashrrev_i32_e32 v13, 31, v12
	v_add_u32_e32 v8, s2, v12
	v_lshl_add_u64 v[10:11], v[12:13], 4, v[216:217]
	v_add_u32_e32 v12, s2, v8
	v_add_u32_e32 v14, s2, v12
	;; [unrolled: 1-line block ×15, first 2 shown]
	v_ashrrev_i32_e32 v41, 31, v40
	v_lshl_add_u64 v[42:43], v[40:41], 4, v[216:217]
	v_add_u32_e32 v40, s2, v40
	v_ashrrev_i32_e32 v41, 31, v40
	v_lshl_add_u64 v[44:45], v[40:41], 4, v[216:217]
	v_add_u32_e32 v40, s2, v40
	;; [unrolled: 3-line block ×29, first 2 shown]
	v_ashrrev_i32_e32 v41, 31, v40
	v_ashrrev_i32_e32 v3, 31, v2
	;; [unrolled: 1-line block ×19, first 2 shown]
	v_lshl_add_u64 v[252:253], v[40:41], 4, v[216:217]
	v_add_u32_e32 v40, s2, v40
	v_lshl_add_u64 v[2:3], v[2:3], 4, v[216:217]
	v_lshl_add_u64 v[4:5], v[4:5], 4, v[216:217]
	;; [unrolled: 1-line block ×18, first 2 shown]
	v_ashrrev_i32_e32 v41, 31, v40
	v_lshl_add_u64 v[254:255], v[40:41], 4, v[216:217]
	global_load_dwordx4 v[204:207], v[2:3], off
	global_load_dwordx4 v[200:203], v[4:5], off
                                        ; kill: killed $vgpr2_vgpr3
                                        ; kill: killed $vgpr4_vgpr5
	global_load_dwordx4 v[196:199], v[6:7], off
	global_load_dwordx4 v[192:195], v[0:1], off
	;; [unrolled: 1-line block ×31, first 2 shown]
	s_nop 0
	global_load_dwordx4 v[64:67], v[208:209], off
	global_load_dwordx4 v[60:63], v[210:211], off
	;; [unrolled: 1-line block ×18, first 2 shown]
	s_load_dwordx2 s[4:5], s[0:1], 0x40
	s_max_i32 s0, s20, 53
	v_mul_lo_u32 v225, s0, v212
	v_lshl_add_u32 v224, v225, 4, 0
	v_add_u32_e32 v212, v224, v222
	s_waitcnt vmcnt(52)
	ds_write2_b64 v212, v[144:145], v[146:147] offset1:1
	s_waitcnt lgkmcnt(0)
	s_barrier
	ds_read2_b64 v[212:215], v224 offset1:1
	s_cmp_lt_i32 s20, 2
	v_lshlrev_b32_e32 v228, 4, v225
	s_cbranch_scc1 .LBB104_6
; %bb.4:
	v_add3_u32 v222, v228, 0, 16
	s_mov_b32 s16, 1
	v_mov_b32_e32 v223, 0
.LBB104_5:                              ; =>This Inner Loop Header: Depth=1
	ds_read2_b64 v[230:233], v222 offset1:1
	s_waitcnt lgkmcnt(1)
	v_xor_b32_e32 v225, 0x80000000, v213
	v_xor_b32_e32 v226, 0x80000000, v215
	v_cmp_gt_f64_e32 vcc, 0, v[214:215]
	v_cmp_gt_f64_e64 s[0:1], 0, v[212:213]
	v_mov_b32_e32 v234, v212
	v_mov_b32_e32 v236, v214
	v_cndmask_b32_e64 v235, v213, v225, s[0:1]
	v_cndmask_b32_e32 v237, v215, v226, vcc
	s_waitcnt lgkmcnt(0)
	v_xor_b32_e32 v225, 0x80000000, v231
	v_xor_b32_e32 v226, 0x80000000, v233
	v_cmp_gt_f64_e32 vcc, 0, v[232:233]
	v_cmp_gt_f64_e64 s[0:1], 0, v[230:231]
	v_add_f64 v[234:235], v[234:235], v[236:237]
	v_mov_b32_e32 v236, v230
	v_mov_b32_e32 v238, v232
	v_cndmask_b32_e64 v237, v231, v225, s[0:1]
	v_cndmask_b32_e32 v239, v233, v226, vcc
	v_add_f64 v[236:237], v[236:237], v[238:239]
	v_mov_b32_e32 v229, s16
	s_add_i32 s16, s16, 1
	v_cmp_lt_f64_e32 vcc, v[234:235], v[236:237]
	v_add_u32_e32 v222, 16, v222
	s_cmp_eq_u32 s20, s16
	v_cndmask_b32_e32 v213, v213, v231, vcc
	v_cndmask_b32_e32 v212, v212, v230, vcc
	;; [unrolled: 1-line block ×5, first 2 shown]
	s_cbranch_scc0 .LBB104_5
.LBB104_6:
	s_waitcnt lgkmcnt(0)
	v_cmp_neq_f64_e32 vcc, 0, v[212:213]
	v_cmp_neq_f64_e64 s[0:1], 0, v[214:215]
	s_or_b64 s[16:17], vcc, s[0:1]
	v_mov_b32_e32 v226, 1
	v_mov_b32_e32 v229, 1
	s_and_saveexec_b64 s[0:1], s[16:17]
	s_cbranch_execz .LBB104_12
; %bb.7:
	v_cmp_ngt_f64_e64 s[16:17], |v[212:213]|, |v[214:215]|
	s_and_saveexec_b64 s[18:19], s[16:17]
	s_xor_b64 s[16:17], exec, s[18:19]
	s_cbranch_execz .LBB104_9
; %bb.8:
	v_div_scale_f64 v[230:231], s[18:19], v[214:215], v[214:215], v[212:213]
	v_rcp_f64_e32 v[232:233], v[230:231]
	v_div_scale_f64 v[234:235], vcc, v[212:213], v[214:215], v[212:213]
	v_fma_f64 v[236:237], -v[230:231], v[232:233], 1.0
	v_fmac_f64_e32 v[232:233], v[232:233], v[236:237]
	v_fma_f64 v[236:237], -v[230:231], v[232:233], 1.0
	v_fmac_f64_e32 v[232:233], v[232:233], v[236:237]
	v_mul_f64 v[236:237], v[234:235], v[232:233]
	v_fma_f64 v[230:231], -v[230:231], v[236:237], v[234:235]
	v_div_fmas_f64 v[230:231], v[230:231], v[232:233], v[236:237]
	v_div_fixup_f64 v[230:231], v[230:231], v[214:215], v[212:213]
	v_fmac_f64_e32 v[214:215], v[212:213], v[230:231]
	v_div_scale_f64 v[212:213], s[18:19], v[214:215], v[214:215], 1.0
	v_rcp_f64_e32 v[232:233], v[212:213]
	s_nop 0
	v_fma_f64 v[234:235], -v[212:213], v[232:233], 1.0
	v_fmac_f64_e32 v[232:233], v[232:233], v[234:235]
	v_fma_f64 v[234:235], -v[212:213], v[232:233], 1.0
	v_fmac_f64_e32 v[232:233], v[232:233], v[234:235]
	v_div_scale_f64 v[234:235], vcc, 1.0, v[214:215], 1.0
	v_mul_f64 v[236:237], v[234:235], v[232:233]
	v_fma_f64 v[212:213], -v[212:213], v[236:237], v[234:235]
	s_nop 1
	v_div_fmas_f64 v[212:213], v[212:213], v[232:233], v[236:237]
	v_div_fixup_f64 v[214:215], v[212:213], v[214:215], 1.0
	v_mul_f64 v[212:213], v[230:231], v[214:215]
	v_xor_b32_e32 v215, 0x80000000, v215
.LBB104_9:
	s_andn2_saveexec_b64 s[16:17], s[16:17]
	s_cbranch_execz .LBB104_11
; %bb.10:
	v_div_scale_f64 v[230:231], s[18:19], v[212:213], v[212:213], v[214:215]
	v_rcp_f64_e32 v[232:233], v[230:231]
	v_div_scale_f64 v[234:235], vcc, v[214:215], v[212:213], v[214:215]
	v_fma_f64 v[236:237], -v[230:231], v[232:233], 1.0
	v_fmac_f64_e32 v[232:233], v[232:233], v[236:237]
	v_fma_f64 v[236:237], -v[230:231], v[232:233], 1.0
	v_fmac_f64_e32 v[232:233], v[232:233], v[236:237]
	v_mul_f64 v[236:237], v[234:235], v[232:233]
	v_fma_f64 v[230:231], -v[230:231], v[236:237], v[234:235]
	v_div_fmas_f64 v[230:231], v[230:231], v[232:233], v[236:237]
	v_div_fixup_f64 v[230:231], v[230:231], v[212:213], v[214:215]
	v_fmac_f64_e32 v[212:213], v[214:215], v[230:231]
	v_div_scale_f64 v[214:215], s[18:19], v[212:213], v[212:213], 1.0
	v_rcp_f64_e32 v[232:233], v[214:215]
	s_nop 0
	v_fma_f64 v[234:235], -v[214:215], v[232:233], 1.0
	v_fmac_f64_e32 v[232:233], v[232:233], v[234:235]
	v_fma_f64 v[234:235], -v[214:215], v[232:233], 1.0
	v_fmac_f64_e32 v[232:233], v[232:233], v[234:235]
	v_div_scale_f64 v[234:235], vcc, 1.0, v[212:213], 1.0
	v_mul_f64 v[236:237], v[234:235], v[232:233]
	v_fma_f64 v[214:215], -v[214:215], v[236:237], v[234:235]
	s_nop 1
	v_div_fmas_f64 v[214:215], v[214:215], v[232:233], v[236:237]
	v_div_fixup_f64 v[212:213], v[214:215], v[212:213], 1.0
	v_mul_f64 v[214:215], v[230:231], -v[212:213]
.LBB104_11:
	s_or_b64 exec, exec, s[16:17]
	v_mov_b32_e32 v229, 0
	v_mov_b32_e32 v226, 2
.LBB104_12:
	s_or_b64 exec, exec, s[0:1]
	v_cmp_ne_u32_e32 vcc, v227, v223
	s_and_saveexec_b64 s[0:1], vcc
	s_xor_b64 s[0:1], exec, s[0:1]
	s_cbranch_execz .LBB104_18
; %bb.13:
	v_cmp_eq_u32_e32 vcc, 0, v227
	s_and_saveexec_b64 s[16:17], vcc
	s_cbranch_execz .LBB104_17
; %bb.14:
	v_cmp_ne_u32_e32 vcc, 0, v223
	s_xor_b64 s[18:19], s[14:15], -1
	s_and_b64 s[22:23], s[18:19], vcc
	s_and_saveexec_b64 s[18:19], s[22:23]
	s_cbranch_execz .LBB104_16
; %bb.15:
	v_ashrrev_i32_e32 v231, 31, v223
	v_mov_b32_e32 v230, v223
	v_lshl_add_u64 v[230:231], v[230:231], 2, v[220:221]
	global_load_dword v222, v[230:231], off
	global_load_dword v225, v[220:221], off
	s_waitcnt vmcnt(1)
	global_store_dword v[220:221], v222, off
	s_waitcnt vmcnt(1)
	global_store_dword v[230:231], v225, off
.LBB104_16:
	s_or_b64 exec, exec, s[18:19]
	v_mov_b32_e32 v227, v223
.LBB104_17:
	s_or_b64 exec, exec, s[16:17]
.LBB104_18:
	s_or_saveexec_b64 s[0:1], s[0:1]
	v_mov_b32_e32 v225, v227
	s_xor_b64 exec, exec, s[0:1]
	s_cbranch_execz .LBB104_20
; %bb.19:
	v_mov_b32_e32 v225, 0
	s_waitcnt vmcnt(51)
	ds_write2_b64 v224, v[136:137], v[138:139] offset0:2 offset1:3
	s_waitcnt vmcnt(50)
	ds_write2_b64 v224, v[204:205], v[206:207] offset0:4 offset1:5
	;; [unrolled: 2-line block ×52, first 2 shown]
.LBB104_20:
	s_or_b64 exec, exec, s[0:1]
	v_cmp_lt_i32_e32 vcc, 0, v225
	s_waitcnt lgkmcnt(0)
	s_barrier
	s_and_saveexec_b64 s[0:1], vcc
	s_cbranch_execz .LBB104_22
; %bb.21:
	ds_read2_b64 v[230:233], v224 offset0:2 offset1:3
	v_mul_f64 v[222:223], v[214:215], v[146:147]
	v_mul_f64 v[146:147], v[212:213], v[146:147]
	v_fma_f64 v[222:223], v[212:213], v[144:145], -v[222:223]
	v_fmac_f64_e32 v[146:147], v[214:215], v[144:145]
	ds_read2_b64 v[212:215], v224 offset0:4 offset1:5
	s_waitcnt lgkmcnt(1)
	v_mul_f64 v[144:145], v[232:233], v[146:147]
	v_fma_f64 v[144:145], v[230:231], v[222:223], -v[144:145]
	v_mul_f64 v[230:231], v[230:231], v[146:147]
	v_fmac_f64_e32 v[230:231], v[232:233], v[222:223]
	s_waitcnt vmcnt(51)
	v_add_f64 v[136:137], v[136:137], -v[144:145]
	s_waitcnt lgkmcnt(0)
	v_mul_f64 v[144:145], v[214:215], v[146:147]
	v_add_f64 v[138:139], v[138:139], -v[230:231]
	v_fma_f64 v[144:145], v[212:213], v[222:223], -v[144:145]
	v_mul_f64 v[212:213], v[212:213], v[146:147]
	ds_read2_b64 v[230:233], v224 offset0:6 offset1:7
	v_fmac_f64_e32 v[212:213], v[214:215], v[222:223]
	s_waitcnt vmcnt(50)
	v_add_f64 v[206:207], v[206:207], -v[212:213]
	ds_read2_b64 v[212:215], v224 offset0:8 offset1:9
	v_add_f64 v[204:205], v[204:205], -v[144:145]
	s_waitcnt lgkmcnt(1)
	v_mul_f64 v[144:145], v[232:233], v[146:147]
	v_fma_f64 v[144:145], v[230:231], v[222:223], -v[144:145]
	v_mul_f64 v[230:231], v[230:231], v[146:147]
	v_fmac_f64_e32 v[230:231], v[232:233], v[222:223]
	s_waitcnt vmcnt(49)
	v_add_f64 v[200:201], v[200:201], -v[144:145]
	s_waitcnt lgkmcnt(0)
	v_mul_f64 v[144:145], v[214:215], v[146:147]
	v_add_f64 v[202:203], v[202:203], -v[230:231]
	v_fma_f64 v[144:145], v[212:213], v[222:223], -v[144:145]
	v_mul_f64 v[212:213], v[212:213], v[146:147]
	ds_read2_b64 v[230:233], v224 offset0:10 offset1:11
	v_fmac_f64_e32 v[212:213], v[214:215], v[222:223]
	s_waitcnt vmcnt(48)
	v_add_f64 v[198:199], v[198:199], -v[212:213]
	ds_read2_b64 v[212:215], v224 offset0:12 offset1:13
	v_add_f64 v[196:197], v[196:197], -v[144:145]
	s_waitcnt lgkmcnt(1)
	v_mul_f64 v[144:145], v[232:233], v[146:147]
	v_fma_f64 v[144:145], v[230:231], v[222:223], -v[144:145]
	v_mul_f64 v[230:231], v[230:231], v[146:147]
	v_fmac_f64_e32 v[230:231], v[232:233], v[222:223]
	s_waitcnt vmcnt(47)
	v_add_f64 v[192:193], v[192:193], -v[144:145]
	s_waitcnt lgkmcnt(0)
	v_mul_f64 v[144:145], v[214:215], v[146:147]
	v_add_f64 v[194:195], v[194:195], -v[230:231]
	v_fma_f64 v[144:145], v[212:213], v[222:223], -v[144:145]
	v_mul_f64 v[212:213], v[212:213], v[146:147]
	ds_read2_b64 v[230:233], v224 offset0:14 offset1:15
	v_fmac_f64_e32 v[212:213], v[214:215], v[222:223]
	s_waitcnt vmcnt(46)
	v_add_f64 v[190:191], v[190:191], -v[212:213]
	ds_read2_b64 v[212:215], v224 offset0:16 offset1:17
	v_add_f64 v[188:189], v[188:189], -v[144:145]
	s_waitcnt lgkmcnt(1)
	v_mul_f64 v[144:145], v[232:233], v[146:147]
	v_fma_f64 v[144:145], v[230:231], v[222:223], -v[144:145]
	v_mul_f64 v[230:231], v[230:231], v[146:147]
	v_fmac_f64_e32 v[230:231], v[232:233], v[222:223]
	s_waitcnt vmcnt(45)
	v_add_f64 v[184:185], v[184:185], -v[144:145]
	s_waitcnt lgkmcnt(0)
	v_mul_f64 v[144:145], v[214:215], v[146:147]
	v_add_f64 v[186:187], v[186:187], -v[230:231]
	v_fma_f64 v[144:145], v[212:213], v[222:223], -v[144:145]
	v_mul_f64 v[212:213], v[212:213], v[146:147]
	ds_read2_b64 v[230:233], v224 offset0:18 offset1:19
	v_fmac_f64_e32 v[212:213], v[214:215], v[222:223]
	s_waitcnt vmcnt(44)
	v_add_f64 v[182:183], v[182:183], -v[212:213]
	ds_read2_b64 v[212:215], v224 offset0:20 offset1:21
	v_add_f64 v[180:181], v[180:181], -v[144:145]
	s_waitcnt lgkmcnt(1)
	v_mul_f64 v[144:145], v[232:233], v[146:147]
	v_fma_f64 v[144:145], v[230:231], v[222:223], -v[144:145]
	v_mul_f64 v[230:231], v[230:231], v[146:147]
	v_fmac_f64_e32 v[230:231], v[232:233], v[222:223]
	s_waitcnt vmcnt(43)
	v_add_f64 v[176:177], v[176:177], -v[144:145]
	s_waitcnt lgkmcnt(0)
	v_mul_f64 v[144:145], v[214:215], v[146:147]
	v_add_f64 v[178:179], v[178:179], -v[230:231]
	v_fma_f64 v[144:145], v[212:213], v[222:223], -v[144:145]
	v_mul_f64 v[212:213], v[212:213], v[146:147]
	ds_read2_b64 v[230:233], v224 offset0:22 offset1:23
	v_fmac_f64_e32 v[212:213], v[214:215], v[222:223]
	s_waitcnt vmcnt(42)
	v_add_f64 v[174:175], v[174:175], -v[212:213]
	ds_read2_b64 v[212:215], v224 offset0:24 offset1:25
	v_add_f64 v[172:173], v[172:173], -v[144:145]
	s_waitcnt lgkmcnt(1)
	v_mul_f64 v[144:145], v[232:233], v[146:147]
	v_fma_f64 v[144:145], v[230:231], v[222:223], -v[144:145]
	v_mul_f64 v[230:231], v[230:231], v[146:147]
	v_fmac_f64_e32 v[230:231], v[232:233], v[222:223]
	s_waitcnt vmcnt(41)
	v_add_f64 v[168:169], v[168:169], -v[144:145]
	s_waitcnt lgkmcnt(0)
	v_mul_f64 v[144:145], v[214:215], v[146:147]
	v_add_f64 v[170:171], v[170:171], -v[230:231]
	v_fma_f64 v[144:145], v[212:213], v[222:223], -v[144:145]
	v_mul_f64 v[212:213], v[212:213], v[146:147]
	ds_read2_b64 v[230:233], v224 offset0:26 offset1:27
	v_fmac_f64_e32 v[212:213], v[214:215], v[222:223]
	s_waitcnt vmcnt(40)
	v_add_f64 v[166:167], v[166:167], -v[212:213]
	ds_read2_b64 v[212:215], v224 offset0:28 offset1:29
	v_add_f64 v[164:165], v[164:165], -v[144:145]
	s_waitcnt lgkmcnt(1)
	v_mul_f64 v[144:145], v[232:233], v[146:147]
	v_fma_f64 v[144:145], v[230:231], v[222:223], -v[144:145]
	v_mul_f64 v[230:231], v[230:231], v[146:147]
	v_fmac_f64_e32 v[230:231], v[232:233], v[222:223]
	s_waitcnt vmcnt(39)
	v_add_f64 v[160:161], v[160:161], -v[144:145]
	s_waitcnt lgkmcnt(0)
	v_mul_f64 v[144:145], v[214:215], v[146:147]
	v_add_f64 v[162:163], v[162:163], -v[230:231]
	v_fma_f64 v[144:145], v[212:213], v[222:223], -v[144:145]
	v_mul_f64 v[212:213], v[212:213], v[146:147]
	ds_read2_b64 v[230:233], v224 offset0:30 offset1:31
	v_fmac_f64_e32 v[212:213], v[214:215], v[222:223]
	s_waitcnt vmcnt(38)
	v_add_f64 v[158:159], v[158:159], -v[212:213]
	ds_read2_b64 v[212:215], v224 offset0:32 offset1:33
	v_add_f64 v[156:157], v[156:157], -v[144:145]
	s_waitcnt lgkmcnt(1)
	v_mul_f64 v[144:145], v[232:233], v[146:147]
	v_fma_f64 v[144:145], v[230:231], v[222:223], -v[144:145]
	v_mul_f64 v[230:231], v[230:231], v[146:147]
	v_fmac_f64_e32 v[230:231], v[232:233], v[222:223]
	s_waitcnt vmcnt(37)
	v_add_f64 v[152:153], v[152:153], -v[144:145]
	s_waitcnt lgkmcnt(0)
	v_mul_f64 v[144:145], v[214:215], v[146:147]
	v_add_f64 v[154:155], v[154:155], -v[230:231]
	v_fma_f64 v[144:145], v[212:213], v[222:223], -v[144:145]
	v_mul_f64 v[212:213], v[212:213], v[146:147]
	ds_read2_b64 v[230:233], v224 offset0:34 offset1:35
	v_fmac_f64_e32 v[212:213], v[214:215], v[222:223]
	s_waitcnt vmcnt(36)
	v_add_f64 v[150:151], v[150:151], -v[212:213]
	ds_read2_b64 v[212:215], v224 offset0:36 offset1:37
	v_add_f64 v[148:149], v[148:149], -v[144:145]
	s_waitcnt lgkmcnt(1)
	v_mul_f64 v[144:145], v[232:233], v[146:147]
	v_fma_f64 v[144:145], v[230:231], v[222:223], -v[144:145]
	v_mul_f64 v[230:231], v[230:231], v[146:147]
	v_fmac_f64_e32 v[230:231], v[232:233], v[222:223]
	s_waitcnt vmcnt(35)
	v_add_f64 v[140:141], v[140:141], -v[144:145]
	s_waitcnt lgkmcnt(0)
	v_mul_f64 v[144:145], v[214:215], v[146:147]
	v_add_f64 v[142:143], v[142:143], -v[230:231]
	v_fma_f64 v[144:145], v[212:213], v[222:223], -v[144:145]
	v_mul_f64 v[212:213], v[212:213], v[146:147]
	ds_read2_b64 v[230:233], v224 offset0:38 offset1:39
	v_fmac_f64_e32 v[212:213], v[214:215], v[222:223]
	s_waitcnt vmcnt(34)
	v_add_f64 v[134:135], v[134:135], -v[212:213]
	ds_read2_b64 v[212:215], v224 offset0:40 offset1:41
	v_add_f64 v[132:133], v[132:133], -v[144:145]
	s_waitcnt lgkmcnt(1)
	v_mul_f64 v[144:145], v[232:233], v[146:147]
	v_fma_f64 v[144:145], v[230:231], v[222:223], -v[144:145]
	v_mul_f64 v[230:231], v[230:231], v[146:147]
	v_fmac_f64_e32 v[230:231], v[232:233], v[222:223]
	s_waitcnt vmcnt(33)
	v_add_f64 v[128:129], v[128:129], -v[144:145]
	s_waitcnt lgkmcnt(0)
	v_mul_f64 v[144:145], v[214:215], v[146:147]
	v_add_f64 v[130:131], v[130:131], -v[230:231]
	v_fma_f64 v[144:145], v[212:213], v[222:223], -v[144:145]
	v_mul_f64 v[212:213], v[212:213], v[146:147]
	ds_read2_b64 v[230:233], v224 offset0:42 offset1:43
	v_fmac_f64_e32 v[212:213], v[214:215], v[222:223]
	s_waitcnt vmcnt(32)
	v_add_f64 v[126:127], v[126:127], -v[212:213]
	ds_read2_b64 v[212:215], v224 offset0:44 offset1:45
	v_add_f64 v[124:125], v[124:125], -v[144:145]
	s_waitcnt lgkmcnt(1)
	v_mul_f64 v[144:145], v[232:233], v[146:147]
	v_fma_f64 v[144:145], v[230:231], v[222:223], -v[144:145]
	v_mul_f64 v[230:231], v[230:231], v[146:147]
	v_fmac_f64_e32 v[230:231], v[232:233], v[222:223]
	s_waitcnt vmcnt(31)
	v_add_f64 v[120:121], v[120:121], -v[144:145]
	s_waitcnt lgkmcnt(0)
	v_mul_f64 v[144:145], v[214:215], v[146:147]
	v_add_f64 v[122:123], v[122:123], -v[230:231]
	v_fma_f64 v[144:145], v[212:213], v[222:223], -v[144:145]
	v_mul_f64 v[212:213], v[212:213], v[146:147]
	ds_read2_b64 v[230:233], v224 offset0:46 offset1:47
	v_fmac_f64_e32 v[212:213], v[214:215], v[222:223]
	s_waitcnt vmcnt(30)
	v_add_f64 v[118:119], v[118:119], -v[212:213]
	ds_read2_b64 v[212:215], v224 offset0:48 offset1:49
	v_add_f64 v[116:117], v[116:117], -v[144:145]
	s_waitcnt lgkmcnt(1)
	v_mul_f64 v[144:145], v[232:233], v[146:147]
	v_fma_f64 v[144:145], v[230:231], v[222:223], -v[144:145]
	v_mul_f64 v[230:231], v[230:231], v[146:147]
	v_fmac_f64_e32 v[230:231], v[232:233], v[222:223]
	s_waitcnt vmcnt(29)
	v_add_f64 v[112:113], v[112:113], -v[144:145]
	s_waitcnt lgkmcnt(0)
	v_mul_f64 v[144:145], v[214:215], v[146:147]
	v_add_f64 v[114:115], v[114:115], -v[230:231]
	v_fma_f64 v[144:145], v[212:213], v[222:223], -v[144:145]
	v_mul_f64 v[212:213], v[212:213], v[146:147]
	ds_read2_b64 v[230:233], v224 offset0:50 offset1:51
	v_fmac_f64_e32 v[212:213], v[214:215], v[222:223]
	s_waitcnt vmcnt(28)
	v_add_f64 v[110:111], v[110:111], -v[212:213]
	ds_read2_b64 v[212:215], v224 offset0:52 offset1:53
	v_add_f64 v[108:109], v[108:109], -v[144:145]
	s_waitcnt lgkmcnt(1)
	v_mul_f64 v[144:145], v[232:233], v[146:147]
	v_fma_f64 v[144:145], v[230:231], v[222:223], -v[144:145]
	v_mul_f64 v[230:231], v[230:231], v[146:147]
	v_fmac_f64_e32 v[230:231], v[232:233], v[222:223]
	s_waitcnt vmcnt(27)
	v_add_f64 v[104:105], v[104:105], -v[144:145]
	s_waitcnt lgkmcnt(0)
	v_mul_f64 v[144:145], v[214:215], v[146:147]
	v_add_f64 v[106:107], v[106:107], -v[230:231]
	v_fma_f64 v[144:145], v[212:213], v[222:223], -v[144:145]
	v_mul_f64 v[212:213], v[212:213], v[146:147]
	ds_read2_b64 v[230:233], v224 offset0:54 offset1:55
	v_fmac_f64_e32 v[212:213], v[214:215], v[222:223]
	s_waitcnt vmcnt(26)
	v_add_f64 v[102:103], v[102:103], -v[212:213]
	ds_read2_b64 v[212:215], v224 offset0:56 offset1:57
	v_add_f64 v[100:101], v[100:101], -v[144:145]
	s_waitcnt lgkmcnt(1)
	v_mul_f64 v[144:145], v[232:233], v[146:147]
	v_fma_f64 v[144:145], v[230:231], v[222:223], -v[144:145]
	v_mul_f64 v[230:231], v[230:231], v[146:147]
	v_fmac_f64_e32 v[230:231], v[232:233], v[222:223]
	s_waitcnt vmcnt(25)
	v_add_f64 v[96:97], v[96:97], -v[144:145]
	s_waitcnt lgkmcnt(0)
	v_mul_f64 v[144:145], v[214:215], v[146:147]
	v_add_f64 v[98:99], v[98:99], -v[230:231]
	v_fma_f64 v[144:145], v[212:213], v[222:223], -v[144:145]
	v_mul_f64 v[212:213], v[212:213], v[146:147]
	ds_read2_b64 v[230:233], v224 offset0:58 offset1:59
	v_fmac_f64_e32 v[212:213], v[214:215], v[222:223]
	s_waitcnt vmcnt(24)
	v_add_f64 v[94:95], v[94:95], -v[212:213]
	ds_read2_b64 v[212:215], v224 offset0:60 offset1:61
	v_add_f64 v[92:93], v[92:93], -v[144:145]
	s_waitcnt lgkmcnt(1)
	v_mul_f64 v[144:145], v[232:233], v[146:147]
	v_fma_f64 v[144:145], v[230:231], v[222:223], -v[144:145]
	v_mul_f64 v[230:231], v[230:231], v[146:147]
	v_fmac_f64_e32 v[230:231], v[232:233], v[222:223]
	s_waitcnt vmcnt(23)
	v_add_f64 v[88:89], v[88:89], -v[144:145]
	s_waitcnt lgkmcnt(0)
	v_mul_f64 v[144:145], v[214:215], v[146:147]
	v_add_f64 v[90:91], v[90:91], -v[230:231]
	v_fma_f64 v[144:145], v[212:213], v[222:223], -v[144:145]
	v_mul_f64 v[212:213], v[212:213], v[146:147]
	ds_read2_b64 v[230:233], v224 offset0:62 offset1:63
	v_fmac_f64_e32 v[212:213], v[214:215], v[222:223]
	s_waitcnt vmcnt(22)
	v_add_f64 v[86:87], v[86:87], -v[212:213]
	ds_read2_b64 v[212:215], v224 offset0:64 offset1:65
	v_add_f64 v[84:85], v[84:85], -v[144:145]
	s_waitcnt lgkmcnt(1)
	v_mul_f64 v[144:145], v[232:233], v[146:147]
	v_fma_f64 v[144:145], v[230:231], v[222:223], -v[144:145]
	v_mul_f64 v[230:231], v[230:231], v[146:147]
	v_fmac_f64_e32 v[230:231], v[232:233], v[222:223]
	s_waitcnt vmcnt(21)
	v_add_f64 v[80:81], v[80:81], -v[144:145]
	s_waitcnt lgkmcnt(0)
	v_mul_f64 v[144:145], v[214:215], v[146:147]
	v_add_f64 v[82:83], v[82:83], -v[230:231]
	v_fma_f64 v[144:145], v[212:213], v[222:223], -v[144:145]
	v_mul_f64 v[212:213], v[212:213], v[146:147]
	ds_read2_b64 v[230:233], v224 offset0:66 offset1:67
	v_fmac_f64_e32 v[212:213], v[214:215], v[222:223]
	s_waitcnt vmcnt(20)
	v_add_f64 v[78:79], v[78:79], -v[212:213]
	ds_read2_b64 v[212:215], v224 offset0:68 offset1:69
	v_add_f64 v[76:77], v[76:77], -v[144:145]
	s_waitcnt lgkmcnt(1)
	v_mul_f64 v[144:145], v[232:233], v[146:147]
	v_fma_f64 v[144:145], v[230:231], v[222:223], -v[144:145]
	v_mul_f64 v[230:231], v[230:231], v[146:147]
	v_fmac_f64_e32 v[230:231], v[232:233], v[222:223]
	s_waitcnt vmcnt(19)
	v_add_f64 v[72:73], v[72:73], -v[144:145]
	s_waitcnt lgkmcnt(0)
	v_mul_f64 v[144:145], v[214:215], v[146:147]
	v_add_f64 v[74:75], v[74:75], -v[230:231]
	v_fma_f64 v[144:145], v[212:213], v[222:223], -v[144:145]
	v_mul_f64 v[212:213], v[212:213], v[146:147]
	ds_read2_b64 v[230:233], v224 offset0:70 offset1:71
	v_fmac_f64_e32 v[212:213], v[214:215], v[222:223]
	s_waitcnt vmcnt(18)
	v_add_f64 v[70:71], v[70:71], -v[212:213]
	ds_read2_b64 v[212:215], v224 offset0:72 offset1:73
	v_add_f64 v[68:69], v[68:69], -v[144:145]
	s_waitcnt lgkmcnt(1)
	v_mul_f64 v[144:145], v[232:233], v[146:147]
	v_fma_f64 v[144:145], v[230:231], v[222:223], -v[144:145]
	v_mul_f64 v[230:231], v[230:231], v[146:147]
	v_fmac_f64_e32 v[230:231], v[232:233], v[222:223]
	s_waitcnt vmcnt(17)
	v_add_f64 v[64:65], v[64:65], -v[144:145]
	s_waitcnt lgkmcnt(0)
	v_mul_f64 v[144:145], v[214:215], v[146:147]
	v_add_f64 v[66:67], v[66:67], -v[230:231]
	v_fma_f64 v[144:145], v[212:213], v[222:223], -v[144:145]
	v_mul_f64 v[212:213], v[212:213], v[146:147]
	ds_read2_b64 v[230:233], v224 offset0:74 offset1:75
	v_fmac_f64_e32 v[212:213], v[214:215], v[222:223]
	s_waitcnt vmcnt(16)
	v_add_f64 v[62:63], v[62:63], -v[212:213]
	ds_read2_b64 v[212:215], v224 offset0:76 offset1:77
	v_add_f64 v[60:61], v[60:61], -v[144:145]
	s_waitcnt lgkmcnt(1)
	v_mul_f64 v[144:145], v[232:233], v[146:147]
	v_fma_f64 v[144:145], v[230:231], v[222:223], -v[144:145]
	v_mul_f64 v[230:231], v[230:231], v[146:147]
	v_fmac_f64_e32 v[230:231], v[232:233], v[222:223]
	s_waitcnt vmcnt(15)
	v_add_f64 v[56:57], v[56:57], -v[144:145]
	s_waitcnt lgkmcnt(0)
	v_mul_f64 v[144:145], v[214:215], v[146:147]
	v_add_f64 v[58:59], v[58:59], -v[230:231]
	v_fma_f64 v[144:145], v[212:213], v[222:223], -v[144:145]
	v_mul_f64 v[212:213], v[212:213], v[146:147]
	ds_read2_b64 v[230:233], v224 offset0:78 offset1:79
	v_fmac_f64_e32 v[212:213], v[214:215], v[222:223]
	s_waitcnt vmcnt(14)
	v_add_f64 v[54:55], v[54:55], -v[212:213]
	ds_read2_b64 v[212:215], v224 offset0:80 offset1:81
	v_add_f64 v[52:53], v[52:53], -v[144:145]
	s_waitcnt lgkmcnt(1)
	v_mul_f64 v[144:145], v[232:233], v[146:147]
	v_fma_f64 v[144:145], v[230:231], v[222:223], -v[144:145]
	v_mul_f64 v[230:231], v[230:231], v[146:147]
	v_fmac_f64_e32 v[230:231], v[232:233], v[222:223]
	s_waitcnt vmcnt(13)
	v_add_f64 v[48:49], v[48:49], -v[144:145]
	s_waitcnt lgkmcnt(0)
	v_mul_f64 v[144:145], v[214:215], v[146:147]
	v_add_f64 v[50:51], v[50:51], -v[230:231]
	v_fma_f64 v[144:145], v[212:213], v[222:223], -v[144:145]
	v_mul_f64 v[212:213], v[212:213], v[146:147]
	ds_read2_b64 v[230:233], v224 offset0:82 offset1:83
	v_fmac_f64_e32 v[212:213], v[214:215], v[222:223]
	s_waitcnt vmcnt(12)
	v_add_f64 v[46:47], v[46:47], -v[212:213]
	ds_read2_b64 v[212:215], v224 offset0:84 offset1:85
	v_add_f64 v[44:45], v[44:45], -v[144:145]
	s_waitcnt lgkmcnt(1)
	v_mul_f64 v[144:145], v[232:233], v[146:147]
	v_fma_f64 v[144:145], v[230:231], v[222:223], -v[144:145]
	v_mul_f64 v[230:231], v[230:231], v[146:147]
	v_fmac_f64_e32 v[230:231], v[232:233], v[222:223]
	s_waitcnt vmcnt(11)
	v_add_f64 v[40:41], v[40:41], -v[144:145]
	s_waitcnt lgkmcnt(0)
	v_mul_f64 v[144:145], v[214:215], v[146:147]
	v_add_f64 v[42:43], v[42:43], -v[230:231]
	v_fma_f64 v[144:145], v[212:213], v[222:223], -v[144:145]
	v_mul_f64 v[212:213], v[212:213], v[146:147]
	ds_read2_b64 v[230:233], v224 offset0:86 offset1:87
	v_fmac_f64_e32 v[212:213], v[214:215], v[222:223]
	s_waitcnt vmcnt(10)
	v_add_f64 v[38:39], v[38:39], -v[212:213]
	ds_read2_b64 v[212:215], v224 offset0:88 offset1:89
	v_add_f64 v[36:37], v[36:37], -v[144:145]
	s_waitcnt lgkmcnt(1)
	v_mul_f64 v[144:145], v[232:233], v[146:147]
	v_fma_f64 v[144:145], v[230:231], v[222:223], -v[144:145]
	v_mul_f64 v[230:231], v[230:231], v[146:147]
	v_fmac_f64_e32 v[230:231], v[232:233], v[222:223]
	s_waitcnt vmcnt(9)
	v_add_f64 v[32:33], v[32:33], -v[144:145]
	s_waitcnt lgkmcnt(0)
	v_mul_f64 v[144:145], v[214:215], v[146:147]
	v_add_f64 v[34:35], v[34:35], -v[230:231]
	v_fma_f64 v[144:145], v[212:213], v[222:223], -v[144:145]
	v_mul_f64 v[212:213], v[212:213], v[146:147]
	ds_read2_b64 v[230:233], v224 offset0:90 offset1:91
	v_fmac_f64_e32 v[212:213], v[214:215], v[222:223]
	s_waitcnt vmcnt(8)
	v_add_f64 v[30:31], v[30:31], -v[212:213]
	ds_read2_b64 v[212:215], v224 offset0:92 offset1:93
	v_add_f64 v[28:29], v[28:29], -v[144:145]
	s_waitcnt lgkmcnt(1)
	v_mul_f64 v[144:145], v[232:233], v[146:147]
	v_fma_f64 v[144:145], v[230:231], v[222:223], -v[144:145]
	v_mul_f64 v[230:231], v[230:231], v[146:147]
	v_fmac_f64_e32 v[230:231], v[232:233], v[222:223]
	s_waitcnt vmcnt(7)
	v_add_f64 v[24:25], v[24:25], -v[144:145]
	s_waitcnt lgkmcnt(0)
	v_mul_f64 v[144:145], v[214:215], v[146:147]
	v_add_f64 v[26:27], v[26:27], -v[230:231]
	v_fma_f64 v[144:145], v[212:213], v[222:223], -v[144:145]
	v_mul_f64 v[212:213], v[212:213], v[146:147]
	ds_read2_b64 v[230:233], v224 offset0:94 offset1:95
	v_fmac_f64_e32 v[212:213], v[214:215], v[222:223]
	s_waitcnt vmcnt(6)
	v_add_f64 v[22:23], v[22:23], -v[212:213]
	ds_read2_b64 v[212:215], v224 offset0:96 offset1:97
	v_add_f64 v[20:21], v[20:21], -v[144:145]
	s_waitcnt lgkmcnt(1)
	v_mul_f64 v[144:145], v[232:233], v[146:147]
	v_fma_f64 v[144:145], v[230:231], v[222:223], -v[144:145]
	v_mul_f64 v[230:231], v[230:231], v[146:147]
	v_fmac_f64_e32 v[230:231], v[232:233], v[222:223]
	s_waitcnt vmcnt(5)
	v_add_f64 v[16:17], v[16:17], -v[144:145]
	s_waitcnt lgkmcnt(0)
	v_mul_f64 v[144:145], v[214:215], v[146:147]
	v_add_f64 v[18:19], v[18:19], -v[230:231]
	v_fma_f64 v[144:145], v[212:213], v[222:223], -v[144:145]
	v_mul_f64 v[212:213], v[212:213], v[146:147]
	ds_read2_b64 v[230:233], v224 offset0:98 offset1:99
	v_fmac_f64_e32 v[212:213], v[214:215], v[222:223]
	s_waitcnt vmcnt(4)
	v_add_f64 v[14:15], v[14:15], -v[212:213]
	ds_read2_b64 v[212:215], v224 offset0:100 offset1:101
	v_add_f64 v[12:13], v[12:13], -v[144:145]
	s_waitcnt lgkmcnt(1)
	v_mul_f64 v[144:145], v[232:233], v[146:147]
	v_fma_f64 v[144:145], v[230:231], v[222:223], -v[144:145]
	v_mul_f64 v[230:231], v[230:231], v[146:147]
	v_fmac_f64_e32 v[230:231], v[232:233], v[222:223]
	s_waitcnt vmcnt(3)
	v_add_f64 v[8:9], v[8:9], -v[144:145]
	s_waitcnt lgkmcnt(0)
	v_mul_f64 v[144:145], v[214:215], v[146:147]
	v_add_f64 v[10:11], v[10:11], -v[230:231]
	v_fma_f64 v[144:145], v[212:213], v[222:223], -v[144:145]
	v_mul_f64 v[212:213], v[212:213], v[146:147]
	ds_read2_b64 v[230:233], v224 offset0:102 offset1:103
	v_fmac_f64_e32 v[212:213], v[214:215], v[222:223]
	s_waitcnt vmcnt(2)
	v_add_f64 v[6:7], v[6:7], -v[212:213]
	ds_read2_b64 v[212:215], v224 offset0:104 offset1:105
	v_add_f64 v[4:5], v[4:5], -v[144:145]
	s_waitcnt lgkmcnt(1)
	v_mul_f64 v[144:145], v[232:233], v[146:147]
	v_fma_f64 v[144:145], v[230:231], v[222:223], -v[144:145]
	s_waitcnt vmcnt(1)
	v_add_f64 v[0:1], v[0:1], -v[144:145]
	s_waitcnt lgkmcnt(0)
	v_mul_f64 v[144:145], v[214:215], v[146:147]
	v_mul_f64 v[230:231], v[230:231], v[146:147]
	v_fma_f64 v[144:145], v[212:213], v[222:223], -v[144:145]
	v_mul_f64 v[212:213], v[212:213], v[146:147]
	v_fmac_f64_e32 v[230:231], v[232:233], v[222:223]
	v_fmac_f64_e32 v[212:213], v[214:215], v[222:223]
	v_add_f64 v[2:3], v[2:3], -v[230:231]
	s_waitcnt vmcnt(0)
	v_add_f64 v[208:209], v[208:209], -v[144:145]
	v_add_f64 v[210:211], v[210:211], -v[212:213]
	v_mov_b64_e32 v[144:145], v[222:223]
.LBB104_22:
	s_or_b64 exec, exec, s[0:1]
	v_lshl_add_u32 v212, v225, 4, v224
	s_barrier
	s_waitcnt vmcnt(51)
	ds_write2_b64 v212, v[136:137], v[138:139] offset1:1
	s_waitcnt lgkmcnt(0)
	s_barrier
	ds_read2_b64 v[212:215], v224 offset0:2 offset1:3
	s_cmp_lt_i32 s20, 3
	v_mov_b32_e32 v222, 1
	s_cbranch_scc1 .LBB104_25
; %bb.23:
	v_add3_u32 v223, v228, 0, 32
	s_mov_b32 s16, 2
	v_mov_b32_e32 v222, 1
.LBB104_24:                             ; =>This Inner Loop Header: Depth=1
	ds_read2_b64 v[230:233], v223 offset1:1
	s_waitcnt lgkmcnt(1)
	v_xor_b32_e32 v235, 0x80000000, v213
	v_xor_b32_e32 v237, 0x80000000, v215
	v_cmp_gt_f64_e32 vcc, 0, v[214:215]
	v_cmp_gt_f64_e64 s[0:1], 0, v[212:213]
	v_mov_b32_e32 v234, v212
	v_mov_b32_e32 v236, v214
	v_cndmask_b32_e64 v235, v213, v235, s[0:1]
	v_cndmask_b32_e32 v237, v215, v237, vcc
	v_add_f64 v[234:235], v[234:235], v[236:237]
	s_waitcnt lgkmcnt(0)
	v_xor_b32_e32 v237, 0x80000000, v231
	v_xor_b32_e32 v239, 0x80000000, v233
	v_cmp_gt_f64_e32 vcc, 0, v[232:233]
	v_cmp_gt_f64_e64 s[0:1], 0, v[230:231]
	v_mov_b32_e32 v236, v230
	v_mov_b32_e32 v238, v232
	v_cndmask_b32_e64 v237, v231, v237, s[0:1]
	v_cndmask_b32_e32 v239, v233, v239, vcc
	v_add_f64 v[236:237], v[236:237], v[238:239]
	v_mov_b32_e32 v240, s16
	s_add_i32 s16, s16, 1
	v_cmp_lt_f64_e32 vcc, v[234:235], v[236:237]
	v_add_u32_e32 v223, 16, v223
	s_cmp_lg_u32 s20, s16
	v_cndmask_b32_e32 v213, v213, v231, vcc
	v_cndmask_b32_e32 v212, v212, v230, vcc
	;; [unrolled: 1-line block ×5, first 2 shown]
	s_cbranch_scc1 .LBB104_24
.LBB104_25:
	s_waitcnt lgkmcnt(0)
	v_cmp_neq_f64_e32 vcc, 0, v[212:213]
	v_cmp_neq_f64_e64 s[0:1], 0, v[214:215]
	s_or_b64 s[16:17], vcc, s[0:1]
	s_and_saveexec_b64 s[0:1], s[16:17]
	s_cbranch_execz .LBB104_31
; %bb.26:
	v_cmp_ngt_f64_e64 s[16:17], |v[212:213]|, |v[214:215]|
	s_and_saveexec_b64 s[18:19], s[16:17]
	s_xor_b64 s[16:17], exec, s[18:19]
	s_cbranch_execz .LBB104_28
; %bb.27:
	v_div_scale_f64 v[230:231], s[18:19], v[214:215], v[214:215], v[212:213]
	v_rcp_f64_e32 v[232:233], v[230:231]
	v_div_scale_f64 v[234:235], vcc, v[212:213], v[214:215], v[212:213]
	v_fma_f64 v[236:237], -v[230:231], v[232:233], 1.0
	v_fmac_f64_e32 v[232:233], v[232:233], v[236:237]
	v_fma_f64 v[236:237], -v[230:231], v[232:233], 1.0
	v_fmac_f64_e32 v[232:233], v[232:233], v[236:237]
	v_mul_f64 v[236:237], v[234:235], v[232:233]
	v_fma_f64 v[230:231], -v[230:231], v[236:237], v[234:235]
	v_div_fmas_f64 v[230:231], v[230:231], v[232:233], v[236:237]
	v_div_fixup_f64 v[230:231], v[230:231], v[214:215], v[212:213]
	v_fmac_f64_e32 v[214:215], v[212:213], v[230:231]
	v_div_scale_f64 v[212:213], s[18:19], v[214:215], v[214:215], 1.0
	v_rcp_f64_e32 v[232:233], v[212:213]
	s_nop 0
	v_fma_f64 v[234:235], -v[212:213], v[232:233], 1.0
	v_fmac_f64_e32 v[232:233], v[232:233], v[234:235]
	v_fma_f64 v[234:235], -v[212:213], v[232:233], 1.0
	v_fmac_f64_e32 v[232:233], v[232:233], v[234:235]
	v_div_scale_f64 v[234:235], vcc, 1.0, v[214:215], 1.0
	v_mul_f64 v[236:237], v[234:235], v[232:233]
	v_fma_f64 v[212:213], -v[212:213], v[236:237], v[234:235]
	s_nop 1
	v_div_fmas_f64 v[212:213], v[212:213], v[232:233], v[236:237]
	v_div_fixup_f64 v[214:215], v[212:213], v[214:215], 1.0
	v_mul_f64 v[212:213], v[230:231], v[214:215]
	v_xor_b32_e32 v215, 0x80000000, v215
.LBB104_28:
	s_andn2_saveexec_b64 s[16:17], s[16:17]
	s_cbranch_execz .LBB104_30
; %bb.29:
	v_div_scale_f64 v[230:231], s[18:19], v[212:213], v[212:213], v[214:215]
	v_rcp_f64_e32 v[232:233], v[230:231]
	v_div_scale_f64 v[234:235], vcc, v[214:215], v[212:213], v[214:215]
	v_fma_f64 v[236:237], -v[230:231], v[232:233], 1.0
	v_fmac_f64_e32 v[232:233], v[232:233], v[236:237]
	v_fma_f64 v[236:237], -v[230:231], v[232:233], 1.0
	v_fmac_f64_e32 v[232:233], v[232:233], v[236:237]
	v_mul_f64 v[236:237], v[234:235], v[232:233]
	v_fma_f64 v[230:231], -v[230:231], v[236:237], v[234:235]
	v_div_fmas_f64 v[230:231], v[230:231], v[232:233], v[236:237]
	v_div_fixup_f64 v[230:231], v[230:231], v[212:213], v[214:215]
	v_fmac_f64_e32 v[212:213], v[214:215], v[230:231]
	v_div_scale_f64 v[214:215], s[18:19], v[212:213], v[212:213], 1.0
	v_rcp_f64_e32 v[232:233], v[214:215]
	s_nop 0
	v_fma_f64 v[234:235], -v[214:215], v[232:233], 1.0
	v_fmac_f64_e32 v[232:233], v[232:233], v[234:235]
	v_fma_f64 v[234:235], -v[214:215], v[232:233], 1.0
	v_fmac_f64_e32 v[232:233], v[232:233], v[234:235]
	v_div_scale_f64 v[234:235], vcc, 1.0, v[212:213], 1.0
	v_mul_f64 v[236:237], v[234:235], v[232:233]
	v_fma_f64 v[214:215], -v[214:215], v[236:237], v[234:235]
	s_nop 1
	v_div_fmas_f64 v[214:215], v[214:215], v[232:233], v[236:237]
	v_div_fixup_f64 v[212:213], v[214:215], v[212:213], 1.0
	v_mul_f64 v[214:215], v[230:231], -v[212:213]
.LBB104_30:
	s_or_b64 exec, exec, s[16:17]
	v_mov_b32_e32 v226, v229
.LBB104_31:
	s_or_b64 exec, exec, s[0:1]
	v_cmp_ne_u32_e32 vcc, v225, v222
	s_and_saveexec_b64 s[0:1], vcc
	s_xor_b64 s[0:1], exec, s[0:1]
	s_cbranch_execz .LBB104_37
; %bb.32:
	v_cmp_eq_u32_e32 vcc, 1, v225
	s_and_saveexec_b64 s[16:17], vcc
	s_cbranch_execz .LBB104_36
; %bb.33:
	v_cmp_ne_u32_e32 vcc, 1, v222
	s_xor_b64 s[18:19], s[14:15], -1
	s_and_b64 s[22:23], s[18:19], vcc
	s_and_saveexec_b64 s[18:19], s[22:23]
	s_cbranch_execz .LBB104_35
; %bb.34:
	v_ashrrev_i32_e32 v223, 31, v222
	v_lshl_add_u64 v[230:231], v[222:223], 2, v[220:221]
	global_load_dword v223, v[230:231], off
	global_load_dword v225, v[220:221], off offset:4
	s_waitcnt vmcnt(1)
	global_store_dword v[220:221], v223, off offset:4
	s_waitcnt vmcnt(1)
	global_store_dword v[230:231], v225, off
.LBB104_35:
	s_or_b64 exec, exec, s[18:19]
	v_mov_b32_e32 v225, v222
	v_mov_b32_e32 v227, v222
.LBB104_36:
	s_or_b64 exec, exec, s[16:17]
.LBB104_37:
	s_andn2_saveexec_b64 s[0:1], s[0:1]
	s_cbranch_execz .LBB104_39
; %bb.38:
	v_mov_b32_e32 v225, 1
	s_waitcnt vmcnt(50)
	ds_write2_b64 v224, v[204:205], v[206:207] offset0:4 offset1:5
	s_waitcnt vmcnt(49)
	ds_write2_b64 v224, v[200:201], v[202:203] offset0:6 offset1:7
	s_waitcnt vmcnt(48)
	ds_write2_b64 v224, v[196:197], v[198:199] offset0:8 offset1:9
	s_waitcnt vmcnt(47)
	ds_write2_b64 v224, v[192:193], v[194:195] offset0:10 offset1:11
	s_waitcnt vmcnt(46)
	ds_write2_b64 v224, v[188:189], v[190:191] offset0:12 offset1:13
	s_waitcnt vmcnt(45)
	ds_write2_b64 v224, v[184:185], v[186:187] offset0:14 offset1:15
	s_waitcnt vmcnt(44)
	ds_write2_b64 v224, v[180:181], v[182:183] offset0:16 offset1:17
	s_waitcnt vmcnt(43)
	ds_write2_b64 v224, v[176:177], v[178:179] offset0:18 offset1:19
	s_waitcnt vmcnt(42)
	ds_write2_b64 v224, v[172:173], v[174:175] offset0:20 offset1:21
	s_waitcnt vmcnt(41)
	ds_write2_b64 v224, v[168:169], v[170:171] offset0:22 offset1:23
	s_waitcnt vmcnt(40)
	ds_write2_b64 v224, v[164:165], v[166:167] offset0:24 offset1:25
	s_waitcnt vmcnt(39)
	ds_write2_b64 v224, v[160:161], v[162:163] offset0:26 offset1:27
	s_waitcnt vmcnt(38)
	ds_write2_b64 v224, v[156:157], v[158:159] offset0:28 offset1:29
	s_waitcnt vmcnt(37)
	ds_write2_b64 v224, v[152:153], v[154:155] offset0:30 offset1:31
	s_waitcnt vmcnt(36)
	ds_write2_b64 v224, v[148:149], v[150:151] offset0:32 offset1:33
	s_waitcnt vmcnt(35)
	ds_write2_b64 v224, v[140:141], v[142:143] offset0:34 offset1:35
	s_waitcnt vmcnt(34)
	ds_write2_b64 v224, v[132:133], v[134:135] offset0:36 offset1:37
	s_waitcnt vmcnt(33)
	ds_write2_b64 v224, v[128:129], v[130:131] offset0:38 offset1:39
	s_waitcnt vmcnt(32)
	ds_write2_b64 v224, v[124:125], v[126:127] offset0:40 offset1:41
	s_waitcnt vmcnt(31)
	ds_write2_b64 v224, v[120:121], v[122:123] offset0:42 offset1:43
	s_waitcnt vmcnt(30)
	ds_write2_b64 v224, v[116:117], v[118:119] offset0:44 offset1:45
	s_waitcnt vmcnt(29)
	ds_write2_b64 v224, v[112:113], v[114:115] offset0:46 offset1:47
	s_waitcnt vmcnt(28)
	ds_write2_b64 v224, v[108:109], v[110:111] offset0:48 offset1:49
	s_waitcnt vmcnt(27)
	ds_write2_b64 v224, v[104:105], v[106:107] offset0:50 offset1:51
	s_waitcnt vmcnt(26)
	ds_write2_b64 v224, v[100:101], v[102:103] offset0:52 offset1:53
	s_waitcnt vmcnt(25)
	ds_write2_b64 v224, v[96:97], v[98:99] offset0:54 offset1:55
	s_waitcnt vmcnt(24)
	ds_write2_b64 v224, v[92:93], v[94:95] offset0:56 offset1:57
	s_waitcnt vmcnt(23)
	ds_write2_b64 v224, v[88:89], v[90:91] offset0:58 offset1:59
	s_waitcnt vmcnt(22)
	ds_write2_b64 v224, v[84:85], v[86:87] offset0:60 offset1:61
	s_waitcnt vmcnt(21)
	ds_write2_b64 v224, v[80:81], v[82:83] offset0:62 offset1:63
	s_waitcnt vmcnt(20)
	ds_write2_b64 v224, v[76:77], v[78:79] offset0:64 offset1:65
	s_waitcnt vmcnt(19)
	ds_write2_b64 v224, v[72:73], v[74:75] offset0:66 offset1:67
	s_waitcnt vmcnt(18)
	ds_write2_b64 v224, v[68:69], v[70:71] offset0:68 offset1:69
	s_waitcnt vmcnt(17)
	ds_write2_b64 v224, v[64:65], v[66:67] offset0:70 offset1:71
	s_waitcnt vmcnt(16)
	ds_write2_b64 v224, v[60:61], v[62:63] offset0:72 offset1:73
	s_waitcnt vmcnt(15)
	ds_write2_b64 v224, v[56:57], v[58:59] offset0:74 offset1:75
	s_waitcnt vmcnt(14)
	ds_write2_b64 v224, v[52:53], v[54:55] offset0:76 offset1:77
	s_waitcnt vmcnt(13)
	ds_write2_b64 v224, v[48:49], v[50:51] offset0:78 offset1:79
	s_waitcnt vmcnt(12)
	ds_write2_b64 v224, v[44:45], v[46:47] offset0:80 offset1:81
	s_waitcnt vmcnt(11)
	ds_write2_b64 v224, v[40:41], v[42:43] offset0:82 offset1:83
	s_waitcnt vmcnt(10)
	ds_write2_b64 v224, v[36:37], v[38:39] offset0:84 offset1:85
	s_waitcnt vmcnt(9)
	ds_write2_b64 v224, v[32:33], v[34:35] offset0:86 offset1:87
	s_waitcnt vmcnt(8)
	ds_write2_b64 v224, v[28:29], v[30:31] offset0:88 offset1:89
	s_waitcnt vmcnt(7)
	ds_write2_b64 v224, v[24:25], v[26:27] offset0:90 offset1:91
	s_waitcnt vmcnt(6)
	ds_write2_b64 v224, v[20:21], v[22:23] offset0:92 offset1:93
	s_waitcnt vmcnt(5)
	ds_write2_b64 v224, v[16:17], v[18:19] offset0:94 offset1:95
	s_waitcnt vmcnt(4)
	ds_write2_b64 v224, v[12:13], v[14:15] offset0:96 offset1:97
	s_waitcnt vmcnt(3)
	ds_write2_b64 v224, v[8:9], v[10:11] offset0:98 offset1:99
	s_waitcnt vmcnt(2)
	ds_write2_b64 v224, v[4:5], v[6:7] offset0:100 offset1:101
	s_waitcnt vmcnt(1)
	ds_write2_b64 v224, v[0:1], v[2:3] offset0:102 offset1:103
	s_waitcnt vmcnt(0)
	ds_write2_b64 v224, v[208:209], v[210:211] offset0:104 offset1:105
.LBB104_39:
	s_or_b64 exec, exec, s[0:1]
	v_cmp_lt_i32_e32 vcc, 1, v225
	s_waitcnt lgkmcnt(0)
	s_barrier
	s_and_saveexec_b64 s[0:1], vcc
	s_cbranch_execz .LBB104_41
; %bb.40:
	ds_read2_b64 v[230:233], v224 offset0:4 offset1:5
	v_mul_f64 v[222:223], v[214:215], v[138:139]
	v_mul_f64 v[138:139], v[212:213], v[138:139]
	v_fmac_f64_e32 v[138:139], v[214:215], v[136:137]
	v_fma_f64 v[222:223], v[212:213], v[136:137], -v[222:223]
	ds_read2_b64 v[212:215], v224 offset0:6 offset1:7
	s_waitcnt lgkmcnt(1)
	v_mul_f64 v[136:137], v[232:233], v[138:139]
	v_fma_f64 v[136:137], v[230:231], v[222:223], -v[136:137]
	v_mul_f64 v[230:231], v[230:231], v[138:139]
	v_fmac_f64_e32 v[230:231], v[232:233], v[222:223]
	s_waitcnt vmcnt(50)
	v_add_f64 v[206:207], v[206:207], -v[230:231]
	ds_read2_b64 v[230:233], v224 offset0:8 offset1:9
	v_add_f64 v[204:205], v[204:205], -v[136:137]
	s_waitcnt lgkmcnt(1)
	v_mul_f64 v[136:137], v[214:215], v[138:139]
	v_fma_f64 v[136:137], v[212:213], v[222:223], -v[136:137]
	v_mul_f64 v[212:213], v[212:213], v[138:139]
	v_fmac_f64_e32 v[212:213], v[214:215], v[222:223]
	s_waitcnt vmcnt(49)
	v_add_f64 v[200:201], v[200:201], -v[136:137]
	v_add_f64 v[202:203], v[202:203], -v[212:213]
	ds_read2_b64 v[212:215], v224 offset0:10 offset1:11
	s_waitcnt lgkmcnt(1)
	v_mul_f64 v[136:137], v[232:233], v[138:139]
	v_fma_f64 v[136:137], v[230:231], v[222:223], -v[136:137]
	v_mul_f64 v[230:231], v[230:231], v[138:139]
	v_fmac_f64_e32 v[230:231], v[232:233], v[222:223]
	s_waitcnt vmcnt(48)
	v_add_f64 v[198:199], v[198:199], -v[230:231]
	ds_read2_b64 v[230:233], v224 offset0:12 offset1:13
	v_add_f64 v[196:197], v[196:197], -v[136:137]
	s_waitcnt lgkmcnt(1)
	v_mul_f64 v[136:137], v[214:215], v[138:139]
	v_fma_f64 v[136:137], v[212:213], v[222:223], -v[136:137]
	v_mul_f64 v[212:213], v[212:213], v[138:139]
	v_fmac_f64_e32 v[212:213], v[214:215], v[222:223]
	s_waitcnt vmcnt(47)
	v_add_f64 v[192:193], v[192:193], -v[136:137]
	v_add_f64 v[194:195], v[194:195], -v[212:213]
	ds_read2_b64 v[212:215], v224 offset0:14 offset1:15
	s_waitcnt lgkmcnt(1)
	v_mul_f64 v[136:137], v[232:233], v[138:139]
	v_fma_f64 v[136:137], v[230:231], v[222:223], -v[136:137]
	v_mul_f64 v[230:231], v[230:231], v[138:139]
	v_fmac_f64_e32 v[230:231], v[232:233], v[222:223]
	s_waitcnt vmcnt(46)
	v_add_f64 v[190:191], v[190:191], -v[230:231]
	ds_read2_b64 v[230:233], v224 offset0:16 offset1:17
	v_add_f64 v[188:189], v[188:189], -v[136:137]
	s_waitcnt lgkmcnt(1)
	v_mul_f64 v[136:137], v[214:215], v[138:139]
	v_fma_f64 v[136:137], v[212:213], v[222:223], -v[136:137]
	v_mul_f64 v[212:213], v[212:213], v[138:139]
	v_fmac_f64_e32 v[212:213], v[214:215], v[222:223]
	s_waitcnt vmcnt(45)
	v_add_f64 v[184:185], v[184:185], -v[136:137]
	v_add_f64 v[186:187], v[186:187], -v[212:213]
	ds_read2_b64 v[212:215], v224 offset0:18 offset1:19
	s_waitcnt lgkmcnt(1)
	v_mul_f64 v[136:137], v[232:233], v[138:139]
	v_fma_f64 v[136:137], v[230:231], v[222:223], -v[136:137]
	v_mul_f64 v[230:231], v[230:231], v[138:139]
	v_fmac_f64_e32 v[230:231], v[232:233], v[222:223]
	s_waitcnt vmcnt(44)
	v_add_f64 v[182:183], v[182:183], -v[230:231]
	ds_read2_b64 v[230:233], v224 offset0:20 offset1:21
	v_add_f64 v[180:181], v[180:181], -v[136:137]
	s_waitcnt lgkmcnt(1)
	v_mul_f64 v[136:137], v[214:215], v[138:139]
	v_fma_f64 v[136:137], v[212:213], v[222:223], -v[136:137]
	v_mul_f64 v[212:213], v[212:213], v[138:139]
	v_fmac_f64_e32 v[212:213], v[214:215], v[222:223]
	s_waitcnt vmcnt(43)
	v_add_f64 v[176:177], v[176:177], -v[136:137]
	v_add_f64 v[178:179], v[178:179], -v[212:213]
	ds_read2_b64 v[212:215], v224 offset0:22 offset1:23
	s_waitcnt lgkmcnt(1)
	v_mul_f64 v[136:137], v[232:233], v[138:139]
	v_fma_f64 v[136:137], v[230:231], v[222:223], -v[136:137]
	v_mul_f64 v[230:231], v[230:231], v[138:139]
	v_fmac_f64_e32 v[230:231], v[232:233], v[222:223]
	s_waitcnt vmcnt(42)
	v_add_f64 v[174:175], v[174:175], -v[230:231]
	ds_read2_b64 v[230:233], v224 offset0:24 offset1:25
	v_add_f64 v[172:173], v[172:173], -v[136:137]
	s_waitcnt lgkmcnt(1)
	v_mul_f64 v[136:137], v[214:215], v[138:139]
	v_fma_f64 v[136:137], v[212:213], v[222:223], -v[136:137]
	v_mul_f64 v[212:213], v[212:213], v[138:139]
	v_fmac_f64_e32 v[212:213], v[214:215], v[222:223]
	s_waitcnt vmcnt(41)
	v_add_f64 v[168:169], v[168:169], -v[136:137]
	v_add_f64 v[170:171], v[170:171], -v[212:213]
	ds_read2_b64 v[212:215], v224 offset0:26 offset1:27
	s_waitcnt lgkmcnt(1)
	v_mul_f64 v[136:137], v[232:233], v[138:139]
	v_fma_f64 v[136:137], v[230:231], v[222:223], -v[136:137]
	v_mul_f64 v[230:231], v[230:231], v[138:139]
	v_fmac_f64_e32 v[230:231], v[232:233], v[222:223]
	s_waitcnt vmcnt(40)
	v_add_f64 v[166:167], v[166:167], -v[230:231]
	ds_read2_b64 v[230:233], v224 offset0:28 offset1:29
	v_add_f64 v[164:165], v[164:165], -v[136:137]
	s_waitcnt lgkmcnt(1)
	v_mul_f64 v[136:137], v[214:215], v[138:139]
	v_fma_f64 v[136:137], v[212:213], v[222:223], -v[136:137]
	v_mul_f64 v[212:213], v[212:213], v[138:139]
	v_fmac_f64_e32 v[212:213], v[214:215], v[222:223]
	s_waitcnt vmcnt(39)
	v_add_f64 v[160:161], v[160:161], -v[136:137]
	v_add_f64 v[162:163], v[162:163], -v[212:213]
	ds_read2_b64 v[212:215], v224 offset0:30 offset1:31
	s_waitcnt lgkmcnt(1)
	v_mul_f64 v[136:137], v[232:233], v[138:139]
	v_fma_f64 v[136:137], v[230:231], v[222:223], -v[136:137]
	v_mul_f64 v[230:231], v[230:231], v[138:139]
	v_fmac_f64_e32 v[230:231], v[232:233], v[222:223]
	s_waitcnt vmcnt(38)
	v_add_f64 v[158:159], v[158:159], -v[230:231]
	ds_read2_b64 v[230:233], v224 offset0:32 offset1:33
	v_add_f64 v[156:157], v[156:157], -v[136:137]
	s_waitcnt lgkmcnt(1)
	v_mul_f64 v[136:137], v[214:215], v[138:139]
	v_fma_f64 v[136:137], v[212:213], v[222:223], -v[136:137]
	v_mul_f64 v[212:213], v[212:213], v[138:139]
	v_fmac_f64_e32 v[212:213], v[214:215], v[222:223]
	s_waitcnt vmcnt(37)
	v_add_f64 v[152:153], v[152:153], -v[136:137]
	v_add_f64 v[154:155], v[154:155], -v[212:213]
	ds_read2_b64 v[212:215], v224 offset0:34 offset1:35
	s_waitcnt lgkmcnt(1)
	v_mul_f64 v[136:137], v[232:233], v[138:139]
	v_fma_f64 v[136:137], v[230:231], v[222:223], -v[136:137]
	v_mul_f64 v[230:231], v[230:231], v[138:139]
	v_fmac_f64_e32 v[230:231], v[232:233], v[222:223]
	s_waitcnt vmcnt(36)
	v_add_f64 v[150:151], v[150:151], -v[230:231]
	ds_read2_b64 v[230:233], v224 offset0:36 offset1:37
	v_add_f64 v[148:149], v[148:149], -v[136:137]
	s_waitcnt lgkmcnt(1)
	v_mul_f64 v[136:137], v[214:215], v[138:139]
	v_fma_f64 v[136:137], v[212:213], v[222:223], -v[136:137]
	v_mul_f64 v[212:213], v[212:213], v[138:139]
	v_fmac_f64_e32 v[212:213], v[214:215], v[222:223]
	s_waitcnt vmcnt(35)
	v_add_f64 v[140:141], v[140:141], -v[136:137]
	v_add_f64 v[142:143], v[142:143], -v[212:213]
	ds_read2_b64 v[212:215], v224 offset0:38 offset1:39
	s_waitcnt lgkmcnt(1)
	v_mul_f64 v[136:137], v[232:233], v[138:139]
	v_fma_f64 v[136:137], v[230:231], v[222:223], -v[136:137]
	v_mul_f64 v[230:231], v[230:231], v[138:139]
	v_fmac_f64_e32 v[230:231], v[232:233], v[222:223]
	s_waitcnt vmcnt(34)
	v_add_f64 v[134:135], v[134:135], -v[230:231]
	ds_read2_b64 v[230:233], v224 offset0:40 offset1:41
	v_add_f64 v[132:133], v[132:133], -v[136:137]
	s_waitcnt lgkmcnt(1)
	v_mul_f64 v[136:137], v[214:215], v[138:139]
	v_fma_f64 v[136:137], v[212:213], v[222:223], -v[136:137]
	v_mul_f64 v[212:213], v[212:213], v[138:139]
	v_fmac_f64_e32 v[212:213], v[214:215], v[222:223]
	s_waitcnt vmcnt(33)
	v_add_f64 v[128:129], v[128:129], -v[136:137]
	v_add_f64 v[130:131], v[130:131], -v[212:213]
	ds_read2_b64 v[212:215], v224 offset0:42 offset1:43
	s_waitcnt lgkmcnt(1)
	v_mul_f64 v[136:137], v[232:233], v[138:139]
	v_fma_f64 v[136:137], v[230:231], v[222:223], -v[136:137]
	v_mul_f64 v[230:231], v[230:231], v[138:139]
	v_fmac_f64_e32 v[230:231], v[232:233], v[222:223]
	s_waitcnt vmcnt(32)
	v_add_f64 v[126:127], v[126:127], -v[230:231]
	ds_read2_b64 v[230:233], v224 offset0:44 offset1:45
	v_add_f64 v[124:125], v[124:125], -v[136:137]
	s_waitcnt lgkmcnt(1)
	v_mul_f64 v[136:137], v[214:215], v[138:139]
	v_fma_f64 v[136:137], v[212:213], v[222:223], -v[136:137]
	v_mul_f64 v[212:213], v[212:213], v[138:139]
	v_fmac_f64_e32 v[212:213], v[214:215], v[222:223]
	s_waitcnt vmcnt(31)
	v_add_f64 v[120:121], v[120:121], -v[136:137]
	v_add_f64 v[122:123], v[122:123], -v[212:213]
	ds_read2_b64 v[212:215], v224 offset0:46 offset1:47
	s_waitcnt lgkmcnt(1)
	v_mul_f64 v[136:137], v[232:233], v[138:139]
	v_fma_f64 v[136:137], v[230:231], v[222:223], -v[136:137]
	v_mul_f64 v[230:231], v[230:231], v[138:139]
	v_fmac_f64_e32 v[230:231], v[232:233], v[222:223]
	s_waitcnt vmcnt(30)
	v_add_f64 v[118:119], v[118:119], -v[230:231]
	ds_read2_b64 v[230:233], v224 offset0:48 offset1:49
	v_add_f64 v[116:117], v[116:117], -v[136:137]
	s_waitcnt lgkmcnt(1)
	v_mul_f64 v[136:137], v[214:215], v[138:139]
	v_fma_f64 v[136:137], v[212:213], v[222:223], -v[136:137]
	v_mul_f64 v[212:213], v[212:213], v[138:139]
	v_fmac_f64_e32 v[212:213], v[214:215], v[222:223]
	s_waitcnt vmcnt(29)
	v_add_f64 v[112:113], v[112:113], -v[136:137]
	v_add_f64 v[114:115], v[114:115], -v[212:213]
	ds_read2_b64 v[212:215], v224 offset0:50 offset1:51
	s_waitcnt lgkmcnt(1)
	v_mul_f64 v[136:137], v[232:233], v[138:139]
	v_fma_f64 v[136:137], v[230:231], v[222:223], -v[136:137]
	v_mul_f64 v[230:231], v[230:231], v[138:139]
	v_fmac_f64_e32 v[230:231], v[232:233], v[222:223]
	s_waitcnt vmcnt(28)
	v_add_f64 v[110:111], v[110:111], -v[230:231]
	ds_read2_b64 v[230:233], v224 offset0:52 offset1:53
	v_add_f64 v[108:109], v[108:109], -v[136:137]
	s_waitcnt lgkmcnt(1)
	v_mul_f64 v[136:137], v[214:215], v[138:139]
	v_fma_f64 v[136:137], v[212:213], v[222:223], -v[136:137]
	v_mul_f64 v[212:213], v[212:213], v[138:139]
	v_fmac_f64_e32 v[212:213], v[214:215], v[222:223]
	s_waitcnt vmcnt(27)
	v_add_f64 v[104:105], v[104:105], -v[136:137]
	v_add_f64 v[106:107], v[106:107], -v[212:213]
	ds_read2_b64 v[212:215], v224 offset0:54 offset1:55
	s_waitcnt lgkmcnt(1)
	v_mul_f64 v[136:137], v[232:233], v[138:139]
	v_fma_f64 v[136:137], v[230:231], v[222:223], -v[136:137]
	v_mul_f64 v[230:231], v[230:231], v[138:139]
	v_fmac_f64_e32 v[230:231], v[232:233], v[222:223]
	s_waitcnt vmcnt(26)
	v_add_f64 v[102:103], v[102:103], -v[230:231]
	ds_read2_b64 v[230:233], v224 offset0:56 offset1:57
	v_add_f64 v[100:101], v[100:101], -v[136:137]
	s_waitcnt lgkmcnt(1)
	v_mul_f64 v[136:137], v[214:215], v[138:139]
	v_fma_f64 v[136:137], v[212:213], v[222:223], -v[136:137]
	v_mul_f64 v[212:213], v[212:213], v[138:139]
	v_fmac_f64_e32 v[212:213], v[214:215], v[222:223]
	s_waitcnt vmcnt(25)
	v_add_f64 v[96:97], v[96:97], -v[136:137]
	v_add_f64 v[98:99], v[98:99], -v[212:213]
	ds_read2_b64 v[212:215], v224 offset0:58 offset1:59
	s_waitcnt lgkmcnt(1)
	v_mul_f64 v[136:137], v[232:233], v[138:139]
	v_fma_f64 v[136:137], v[230:231], v[222:223], -v[136:137]
	v_mul_f64 v[230:231], v[230:231], v[138:139]
	v_fmac_f64_e32 v[230:231], v[232:233], v[222:223]
	s_waitcnt vmcnt(24)
	v_add_f64 v[94:95], v[94:95], -v[230:231]
	ds_read2_b64 v[230:233], v224 offset0:60 offset1:61
	v_add_f64 v[92:93], v[92:93], -v[136:137]
	s_waitcnt lgkmcnt(1)
	v_mul_f64 v[136:137], v[214:215], v[138:139]
	v_fma_f64 v[136:137], v[212:213], v[222:223], -v[136:137]
	v_mul_f64 v[212:213], v[212:213], v[138:139]
	v_fmac_f64_e32 v[212:213], v[214:215], v[222:223]
	s_waitcnt vmcnt(23)
	v_add_f64 v[88:89], v[88:89], -v[136:137]
	v_add_f64 v[90:91], v[90:91], -v[212:213]
	ds_read2_b64 v[212:215], v224 offset0:62 offset1:63
	s_waitcnt lgkmcnt(1)
	v_mul_f64 v[136:137], v[232:233], v[138:139]
	v_fma_f64 v[136:137], v[230:231], v[222:223], -v[136:137]
	v_mul_f64 v[230:231], v[230:231], v[138:139]
	v_fmac_f64_e32 v[230:231], v[232:233], v[222:223]
	s_waitcnt vmcnt(22)
	v_add_f64 v[86:87], v[86:87], -v[230:231]
	ds_read2_b64 v[230:233], v224 offset0:64 offset1:65
	v_add_f64 v[84:85], v[84:85], -v[136:137]
	s_waitcnt lgkmcnt(1)
	v_mul_f64 v[136:137], v[214:215], v[138:139]
	v_fma_f64 v[136:137], v[212:213], v[222:223], -v[136:137]
	v_mul_f64 v[212:213], v[212:213], v[138:139]
	v_fmac_f64_e32 v[212:213], v[214:215], v[222:223]
	s_waitcnt vmcnt(21)
	v_add_f64 v[80:81], v[80:81], -v[136:137]
	v_add_f64 v[82:83], v[82:83], -v[212:213]
	ds_read2_b64 v[212:215], v224 offset0:66 offset1:67
	s_waitcnt lgkmcnt(1)
	v_mul_f64 v[136:137], v[232:233], v[138:139]
	v_fma_f64 v[136:137], v[230:231], v[222:223], -v[136:137]
	v_mul_f64 v[230:231], v[230:231], v[138:139]
	v_fmac_f64_e32 v[230:231], v[232:233], v[222:223]
	s_waitcnt vmcnt(20)
	v_add_f64 v[78:79], v[78:79], -v[230:231]
	ds_read2_b64 v[230:233], v224 offset0:68 offset1:69
	v_add_f64 v[76:77], v[76:77], -v[136:137]
	s_waitcnt lgkmcnt(1)
	v_mul_f64 v[136:137], v[214:215], v[138:139]
	v_fma_f64 v[136:137], v[212:213], v[222:223], -v[136:137]
	v_mul_f64 v[212:213], v[212:213], v[138:139]
	v_fmac_f64_e32 v[212:213], v[214:215], v[222:223]
	s_waitcnt vmcnt(19)
	v_add_f64 v[72:73], v[72:73], -v[136:137]
	v_add_f64 v[74:75], v[74:75], -v[212:213]
	ds_read2_b64 v[212:215], v224 offset0:70 offset1:71
	s_waitcnt lgkmcnt(1)
	v_mul_f64 v[136:137], v[232:233], v[138:139]
	v_fma_f64 v[136:137], v[230:231], v[222:223], -v[136:137]
	v_mul_f64 v[230:231], v[230:231], v[138:139]
	v_fmac_f64_e32 v[230:231], v[232:233], v[222:223]
	s_waitcnt vmcnt(18)
	v_add_f64 v[70:71], v[70:71], -v[230:231]
	ds_read2_b64 v[230:233], v224 offset0:72 offset1:73
	v_add_f64 v[68:69], v[68:69], -v[136:137]
	s_waitcnt lgkmcnt(1)
	v_mul_f64 v[136:137], v[214:215], v[138:139]
	v_fma_f64 v[136:137], v[212:213], v[222:223], -v[136:137]
	v_mul_f64 v[212:213], v[212:213], v[138:139]
	v_fmac_f64_e32 v[212:213], v[214:215], v[222:223]
	s_waitcnt vmcnt(17)
	v_add_f64 v[64:65], v[64:65], -v[136:137]
	v_add_f64 v[66:67], v[66:67], -v[212:213]
	ds_read2_b64 v[212:215], v224 offset0:74 offset1:75
	s_waitcnt lgkmcnt(1)
	v_mul_f64 v[136:137], v[232:233], v[138:139]
	v_fma_f64 v[136:137], v[230:231], v[222:223], -v[136:137]
	v_mul_f64 v[230:231], v[230:231], v[138:139]
	v_fmac_f64_e32 v[230:231], v[232:233], v[222:223]
	s_waitcnt vmcnt(16)
	v_add_f64 v[62:63], v[62:63], -v[230:231]
	ds_read2_b64 v[230:233], v224 offset0:76 offset1:77
	v_add_f64 v[60:61], v[60:61], -v[136:137]
	s_waitcnt lgkmcnt(1)
	v_mul_f64 v[136:137], v[214:215], v[138:139]
	v_fma_f64 v[136:137], v[212:213], v[222:223], -v[136:137]
	v_mul_f64 v[212:213], v[212:213], v[138:139]
	v_fmac_f64_e32 v[212:213], v[214:215], v[222:223]
	s_waitcnt vmcnt(15)
	v_add_f64 v[56:57], v[56:57], -v[136:137]
	v_add_f64 v[58:59], v[58:59], -v[212:213]
	ds_read2_b64 v[212:215], v224 offset0:78 offset1:79
	s_waitcnt lgkmcnt(1)
	v_mul_f64 v[136:137], v[232:233], v[138:139]
	v_fma_f64 v[136:137], v[230:231], v[222:223], -v[136:137]
	v_mul_f64 v[230:231], v[230:231], v[138:139]
	v_fmac_f64_e32 v[230:231], v[232:233], v[222:223]
	s_waitcnt vmcnt(14)
	v_add_f64 v[54:55], v[54:55], -v[230:231]
	ds_read2_b64 v[230:233], v224 offset0:80 offset1:81
	v_add_f64 v[52:53], v[52:53], -v[136:137]
	s_waitcnt lgkmcnt(1)
	v_mul_f64 v[136:137], v[214:215], v[138:139]
	v_fma_f64 v[136:137], v[212:213], v[222:223], -v[136:137]
	v_mul_f64 v[212:213], v[212:213], v[138:139]
	v_fmac_f64_e32 v[212:213], v[214:215], v[222:223]
	s_waitcnt vmcnt(13)
	v_add_f64 v[48:49], v[48:49], -v[136:137]
	v_add_f64 v[50:51], v[50:51], -v[212:213]
	ds_read2_b64 v[212:215], v224 offset0:82 offset1:83
	s_waitcnt lgkmcnt(1)
	v_mul_f64 v[136:137], v[232:233], v[138:139]
	v_fma_f64 v[136:137], v[230:231], v[222:223], -v[136:137]
	v_mul_f64 v[230:231], v[230:231], v[138:139]
	v_fmac_f64_e32 v[230:231], v[232:233], v[222:223]
	s_waitcnt vmcnt(12)
	v_add_f64 v[46:47], v[46:47], -v[230:231]
	ds_read2_b64 v[230:233], v224 offset0:84 offset1:85
	v_add_f64 v[44:45], v[44:45], -v[136:137]
	s_waitcnt lgkmcnt(1)
	v_mul_f64 v[136:137], v[214:215], v[138:139]
	v_fma_f64 v[136:137], v[212:213], v[222:223], -v[136:137]
	v_mul_f64 v[212:213], v[212:213], v[138:139]
	v_fmac_f64_e32 v[212:213], v[214:215], v[222:223]
	s_waitcnt vmcnt(11)
	v_add_f64 v[40:41], v[40:41], -v[136:137]
	v_add_f64 v[42:43], v[42:43], -v[212:213]
	ds_read2_b64 v[212:215], v224 offset0:86 offset1:87
	s_waitcnt lgkmcnt(1)
	v_mul_f64 v[136:137], v[232:233], v[138:139]
	v_fma_f64 v[136:137], v[230:231], v[222:223], -v[136:137]
	v_mul_f64 v[230:231], v[230:231], v[138:139]
	v_fmac_f64_e32 v[230:231], v[232:233], v[222:223]
	s_waitcnt vmcnt(10)
	v_add_f64 v[38:39], v[38:39], -v[230:231]
	ds_read2_b64 v[230:233], v224 offset0:88 offset1:89
	v_add_f64 v[36:37], v[36:37], -v[136:137]
	s_waitcnt lgkmcnt(1)
	v_mul_f64 v[136:137], v[214:215], v[138:139]
	v_fma_f64 v[136:137], v[212:213], v[222:223], -v[136:137]
	v_mul_f64 v[212:213], v[212:213], v[138:139]
	v_fmac_f64_e32 v[212:213], v[214:215], v[222:223]
	s_waitcnt vmcnt(9)
	v_add_f64 v[32:33], v[32:33], -v[136:137]
	v_add_f64 v[34:35], v[34:35], -v[212:213]
	ds_read2_b64 v[212:215], v224 offset0:90 offset1:91
	s_waitcnt lgkmcnt(1)
	v_mul_f64 v[136:137], v[232:233], v[138:139]
	v_fma_f64 v[136:137], v[230:231], v[222:223], -v[136:137]
	v_mul_f64 v[230:231], v[230:231], v[138:139]
	v_fmac_f64_e32 v[230:231], v[232:233], v[222:223]
	s_waitcnt vmcnt(8)
	v_add_f64 v[30:31], v[30:31], -v[230:231]
	ds_read2_b64 v[230:233], v224 offset0:92 offset1:93
	v_add_f64 v[28:29], v[28:29], -v[136:137]
	s_waitcnt lgkmcnt(1)
	v_mul_f64 v[136:137], v[214:215], v[138:139]
	v_fma_f64 v[136:137], v[212:213], v[222:223], -v[136:137]
	v_mul_f64 v[212:213], v[212:213], v[138:139]
	v_fmac_f64_e32 v[212:213], v[214:215], v[222:223]
	s_waitcnt vmcnt(7)
	v_add_f64 v[24:25], v[24:25], -v[136:137]
	v_add_f64 v[26:27], v[26:27], -v[212:213]
	ds_read2_b64 v[212:215], v224 offset0:94 offset1:95
	s_waitcnt lgkmcnt(1)
	v_mul_f64 v[136:137], v[232:233], v[138:139]
	v_fma_f64 v[136:137], v[230:231], v[222:223], -v[136:137]
	v_mul_f64 v[230:231], v[230:231], v[138:139]
	v_fmac_f64_e32 v[230:231], v[232:233], v[222:223]
	s_waitcnt vmcnt(6)
	v_add_f64 v[22:23], v[22:23], -v[230:231]
	ds_read2_b64 v[230:233], v224 offset0:96 offset1:97
	v_add_f64 v[20:21], v[20:21], -v[136:137]
	s_waitcnt lgkmcnt(1)
	v_mul_f64 v[136:137], v[214:215], v[138:139]
	v_fma_f64 v[136:137], v[212:213], v[222:223], -v[136:137]
	v_mul_f64 v[212:213], v[212:213], v[138:139]
	v_fmac_f64_e32 v[212:213], v[214:215], v[222:223]
	s_waitcnt vmcnt(5)
	v_add_f64 v[16:17], v[16:17], -v[136:137]
	v_add_f64 v[18:19], v[18:19], -v[212:213]
	ds_read2_b64 v[212:215], v224 offset0:98 offset1:99
	s_waitcnt lgkmcnt(1)
	v_mul_f64 v[136:137], v[232:233], v[138:139]
	v_fma_f64 v[136:137], v[230:231], v[222:223], -v[136:137]
	v_mul_f64 v[230:231], v[230:231], v[138:139]
	v_fmac_f64_e32 v[230:231], v[232:233], v[222:223]
	s_waitcnt vmcnt(4)
	v_add_f64 v[14:15], v[14:15], -v[230:231]
	ds_read2_b64 v[230:233], v224 offset0:100 offset1:101
	v_add_f64 v[12:13], v[12:13], -v[136:137]
	s_waitcnt lgkmcnt(1)
	v_mul_f64 v[136:137], v[214:215], v[138:139]
	v_fma_f64 v[136:137], v[212:213], v[222:223], -v[136:137]
	v_mul_f64 v[212:213], v[212:213], v[138:139]
	v_fmac_f64_e32 v[212:213], v[214:215], v[222:223]
	s_waitcnt vmcnt(3)
	v_add_f64 v[8:9], v[8:9], -v[136:137]
	v_add_f64 v[10:11], v[10:11], -v[212:213]
	ds_read2_b64 v[212:215], v224 offset0:102 offset1:103
	s_waitcnt lgkmcnt(1)
	v_mul_f64 v[136:137], v[232:233], v[138:139]
	v_fma_f64 v[136:137], v[230:231], v[222:223], -v[136:137]
	v_mul_f64 v[230:231], v[230:231], v[138:139]
	v_fmac_f64_e32 v[230:231], v[232:233], v[222:223]
	s_waitcnt vmcnt(2)
	v_add_f64 v[6:7], v[6:7], -v[230:231]
	ds_read2_b64 v[230:233], v224 offset0:104 offset1:105
	v_add_f64 v[4:5], v[4:5], -v[136:137]
	s_waitcnt lgkmcnt(1)
	v_mul_f64 v[136:137], v[214:215], v[138:139]
	v_fma_f64 v[136:137], v[212:213], v[222:223], -v[136:137]
	v_mul_f64 v[212:213], v[212:213], v[138:139]
	v_fmac_f64_e32 v[212:213], v[214:215], v[222:223]
	s_waitcnt vmcnt(1)
	v_add_f64 v[0:1], v[0:1], -v[136:137]
	v_add_f64 v[2:3], v[2:3], -v[212:213]
	s_waitcnt lgkmcnt(0)
	v_mul_f64 v[136:137], v[232:233], v[138:139]
	v_mul_f64 v[212:213], v[230:231], v[138:139]
	v_fma_f64 v[136:137], v[230:231], v[222:223], -v[136:137]
	v_fmac_f64_e32 v[212:213], v[232:233], v[222:223]
	s_waitcnt vmcnt(0)
	v_add_f64 v[208:209], v[208:209], -v[136:137]
	v_add_f64 v[210:211], v[210:211], -v[212:213]
	v_mov_b64_e32 v[136:137], v[222:223]
.LBB104_41:
	s_or_b64 exec, exec, s[0:1]
	v_lshl_add_u32 v212, v225, 4, v224
	s_barrier
	s_waitcnt vmcnt(50)
	ds_write2_b64 v212, v[204:205], v[206:207] offset1:1
	s_waitcnt lgkmcnt(0)
	s_barrier
	ds_read2_b64 v[212:215], v224 offset0:4 offset1:5
	s_cmp_lt_i32 s20, 4
	v_mov_b32_e32 v222, 2
	s_cbranch_scc1 .LBB104_44
; %bb.42:
	v_add3_u32 v223, v228, 0, 48
	s_mov_b32 s16, 3
	v_mov_b32_e32 v222, 2
.LBB104_43:                             ; =>This Inner Loop Header: Depth=1
	ds_read2_b64 v[230:233], v223 offset1:1
	s_waitcnt lgkmcnt(1)
	v_xor_b32_e32 v229, 0x80000000, v213
	v_xor_b32_e32 v237, 0x80000000, v215
	v_cmp_gt_f64_e32 vcc, 0, v[214:215]
	v_cmp_gt_f64_e64 s[0:1], 0, v[212:213]
	v_mov_b32_e32 v234, v212
	v_mov_b32_e32 v236, v214
	v_cndmask_b32_e64 v235, v213, v229, s[0:1]
	v_cndmask_b32_e32 v237, v215, v237, vcc
	s_waitcnt lgkmcnt(0)
	v_xor_b32_e32 v229, 0x80000000, v231
	v_xor_b32_e32 v239, 0x80000000, v233
	v_cmp_gt_f64_e32 vcc, 0, v[232:233]
	v_cmp_gt_f64_e64 s[0:1], 0, v[230:231]
	v_add_f64 v[234:235], v[234:235], v[236:237]
	v_mov_b32_e32 v236, v230
	v_mov_b32_e32 v238, v232
	v_cndmask_b32_e64 v237, v231, v229, s[0:1]
	v_cndmask_b32_e32 v239, v233, v239, vcc
	v_add_f64 v[236:237], v[236:237], v[238:239]
	v_mov_b32_e32 v240, s16
	s_add_i32 s16, s16, 1
	v_cmp_lt_f64_e32 vcc, v[234:235], v[236:237]
	v_add_u32_e32 v223, 16, v223
	s_cmp_lg_u32 s20, s16
	v_cndmask_b32_e32 v213, v213, v231, vcc
	v_cndmask_b32_e32 v212, v212, v230, vcc
	;; [unrolled: 1-line block ×5, first 2 shown]
	s_cbranch_scc1 .LBB104_43
.LBB104_44:
	s_waitcnt lgkmcnt(0)
	v_cmp_eq_f64_e32 vcc, 0, v[212:213]
	v_cmp_eq_f64_e64 s[0:1], 0, v[214:215]
	s_and_b64 s[0:1], vcc, s[0:1]
	s_and_saveexec_b64 s[16:17], s[0:1]
	s_xor_b64 s[0:1], exec, s[16:17]
; %bb.45:
	v_cmp_ne_u32_e32 vcc, 0, v226
	s_nop 1
	v_cndmask_b32_e32 v226, 3, v226, vcc
; %bb.46:
	s_andn2_saveexec_b64 s[0:1], s[0:1]
	s_cbranch_execz .LBB104_52
; %bb.47:
	v_cmp_ngt_f64_e64 s[16:17], |v[212:213]|, |v[214:215]|
	s_and_saveexec_b64 s[18:19], s[16:17]
	s_xor_b64 s[16:17], exec, s[18:19]
	s_cbranch_execz .LBB104_49
; %bb.48:
	v_div_scale_f64 v[230:231], s[18:19], v[214:215], v[214:215], v[212:213]
	v_rcp_f64_e32 v[232:233], v[230:231]
	v_div_scale_f64 v[234:235], vcc, v[212:213], v[214:215], v[212:213]
	v_fma_f64 v[236:237], -v[230:231], v[232:233], 1.0
	v_fmac_f64_e32 v[232:233], v[232:233], v[236:237]
	v_fma_f64 v[236:237], -v[230:231], v[232:233], 1.0
	v_fmac_f64_e32 v[232:233], v[232:233], v[236:237]
	v_mul_f64 v[236:237], v[234:235], v[232:233]
	v_fma_f64 v[230:231], -v[230:231], v[236:237], v[234:235]
	v_div_fmas_f64 v[230:231], v[230:231], v[232:233], v[236:237]
	v_div_fixup_f64 v[230:231], v[230:231], v[214:215], v[212:213]
	v_fmac_f64_e32 v[214:215], v[212:213], v[230:231]
	v_div_scale_f64 v[212:213], s[18:19], v[214:215], v[214:215], 1.0
	v_rcp_f64_e32 v[232:233], v[212:213]
	s_nop 0
	v_fma_f64 v[234:235], -v[212:213], v[232:233], 1.0
	v_fmac_f64_e32 v[232:233], v[232:233], v[234:235]
	v_fma_f64 v[234:235], -v[212:213], v[232:233], 1.0
	v_fmac_f64_e32 v[232:233], v[232:233], v[234:235]
	v_div_scale_f64 v[234:235], vcc, 1.0, v[214:215], 1.0
	v_mul_f64 v[236:237], v[234:235], v[232:233]
	v_fma_f64 v[212:213], -v[212:213], v[236:237], v[234:235]
	s_nop 1
	v_div_fmas_f64 v[212:213], v[212:213], v[232:233], v[236:237]
	v_div_fixup_f64 v[214:215], v[212:213], v[214:215], 1.0
	v_mul_f64 v[212:213], v[230:231], v[214:215]
	v_xor_b32_e32 v215, 0x80000000, v215
.LBB104_49:
	s_andn2_saveexec_b64 s[16:17], s[16:17]
	s_cbranch_execz .LBB104_51
; %bb.50:
	v_div_scale_f64 v[230:231], s[18:19], v[212:213], v[212:213], v[214:215]
	v_rcp_f64_e32 v[232:233], v[230:231]
	v_div_scale_f64 v[234:235], vcc, v[214:215], v[212:213], v[214:215]
	v_fma_f64 v[236:237], -v[230:231], v[232:233], 1.0
	v_fmac_f64_e32 v[232:233], v[232:233], v[236:237]
	v_fma_f64 v[236:237], -v[230:231], v[232:233], 1.0
	v_fmac_f64_e32 v[232:233], v[232:233], v[236:237]
	v_mul_f64 v[236:237], v[234:235], v[232:233]
	v_fma_f64 v[230:231], -v[230:231], v[236:237], v[234:235]
	v_div_fmas_f64 v[230:231], v[230:231], v[232:233], v[236:237]
	v_div_fixup_f64 v[230:231], v[230:231], v[212:213], v[214:215]
	v_fmac_f64_e32 v[212:213], v[214:215], v[230:231]
	v_div_scale_f64 v[214:215], s[18:19], v[212:213], v[212:213], 1.0
	v_rcp_f64_e32 v[232:233], v[214:215]
	s_nop 0
	v_fma_f64 v[234:235], -v[214:215], v[232:233], 1.0
	v_fmac_f64_e32 v[232:233], v[232:233], v[234:235]
	v_fma_f64 v[234:235], -v[214:215], v[232:233], 1.0
	v_fmac_f64_e32 v[232:233], v[232:233], v[234:235]
	v_div_scale_f64 v[234:235], vcc, 1.0, v[212:213], 1.0
	v_mul_f64 v[236:237], v[234:235], v[232:233]
	v_fma_f64 v[214:215], -v[214:215], v[236:237], v[234:235]
	s_nop 1
	v_div_fmas_f64 v[214:215], v[214:215], v[232:233], v[236:237]
	v_div_fixup_f64 v[212:213], v[214:215], v[212:213], 1.0
	v_mul_f64 v[214:215], v[230:231], -v[212:213]
.LBB104_51:
	s_or_b64 exec, exec, s[16:17]
.LBB104_52:
	s_or_b64 exec, exec, s[0:1]
	v_cmp_ne_u32_e32 vcc, v225, v222
	s_and_saveexec_b64 s[0:1], vcc
	s_xor_b64 s[0:1], exec, s[0:1]
	s_cbranch_execz .LBB104_58
; %bb.53:
	v_cmp_eq_u32_e32 vcc, 2, v225
	s_and_saveexec_b64 s[16:17], vcc
	s_cbranch_execz .LBB104_57
; %bb.54:
	v_cmp_ne_u32_e32 vcc, 2, v222
	s_xor_b64 s[18:19], s[14:15], -1
	s_and_b64 s[22:23], s[18:19], vcc
	s_and_saveexec_b64 s[18:19], s[22:23]
	s_cbranch_execz .LBB104_56
; %bb.55:
	v_ashrrev_i32_e32 v223, 31, v222
	v_lshl_add_u64 v[230:231], v[222:223], 2, v[220:221]
	global_load_dword v223, v[230:231], off
	global_load_dword v225, v[220:221], off offset:8
	s_waitcnt vmcnt(1)
	global_store_dword v[220:221], v223, off offset:8
	s_waitcnt vmcnt(1)
	global_store_dword v[230:231], v225, off
.LBB104_56:
	s_or_b64 exec, exec, s[18:19]
	v_mov_b32_e32 v225, v222
	v_mov_b32_e32 v227, v222
.LBB104_57:
	s_or_b64 exec, exec, s[16:17]
.LBB104_58:
	s_andn2_saveexec_b64 s[0:1], s[0:1]
	s_cbranch_execz .LBB104_60
; %bb.59:
	v_mov_b32_e32 v225, 2
	s_waitcnt vmcnt(49)
	ds_write2_b64 v224, v[200:201], v[202:203] offset0:6 offset1:7
	s_waitcnt vmcnt(48)
	ds_write2_b64 v224, v[196:197], v[198:199] offset0:8 offset1:9
	;; [unrolled: 2-line block ×50, first 2 shown]
.LBB104_60:
	s_or_b64 exec, exec, s[0:1]
	v_cmp_lt_i32_e32 vcc, 2, v225
	s_waitcnt lgkmcnt(0)
	s_barrier
	s_and_saveexec_b64 s[0:1], vcc
	s_cbranch_execz .LBB104_62
; %bb.61:
	ds_read2_b64 v[230:233], v224 offset0:6 offset1:7
	v_mul_f64 v[222:223], v[214:215], v[206:207]
	v_mul_f64 v[206:207], v[212:213], v[206:207]
	v_fma_f64 v[222:223], v[212:213], v[204:205], -v[222:223]
	v_fmac_f64_e32 v[206:207], v[214:215], v[204:205]
	ds_read2_b64 v[212:215], v224 offset0:8 offset1:9
	s_waitcnt lgkmcnt(1)
	v_mul_f64 v[204:205], v[232:233], v[206:207]
	v_fma_f64 v[204:205], v[230:231], v[222:223], -v[204:205]
	v_mul_f64 v[230:231], v[230:231], v[206:207]
	v_fmac_f64_e32 v[230:231], v[232:233], v[222:223]
	s_waitcnt vmcnt(49)
	v_add_f64 v[200:201], v[200:201], -v[204:205]
	s_waitcnt lgkmcnt(0)
	v_mul_f64 v[204:205], v[214:215], v[206:207]
	v_add_f64 v[202:203], v[202:203], -v[230:231]
	v_fma_f64 v[204:205], v[212:213], v[222:223], -v[204:205]
	v_mul_f64 v[212:213], v[212:213], v[206:207]
	ds_read2_b64 v[230:233], v224 offset0:10 offset1:11
	v_fmac_f64_e32 v[212:213], v[214:215], v[222:223]
	s_waitcnt vmcnt(48)
	v_add_f64 v[198:199], v[198:199], -v[212:213]
	ds_read2_b64 v[212:215], v224 offset0:12 offset1:13
	v_add_f64 v[196:197], v[196:197], -v[204:205]
	s_waitcnt lgkmcnt(1)
	v_mul_f64 v[204:205], v[232:233], v[206:207]
	v_fma_f64 v[204:205], v[230:231], v[222:223], -v[204:205]
	v_mul_f64 v[230:231], v[230:231], v[206:207]
	v_fmac_f64_e32 v[230:231], v[232:233], v[222:223]
	s_waitcnt vmcnt(47)
	v_add_f64 v[192:193], v[192:193], -v[204:205]
	s_waitcnt lgkmcnt(0)
	v_mul_f64 v[204:205], v[214:215], v[206:207]
	v_add_f64 v[194:195], v[194:195], -v[230:231]
	v_fma_f64 v[204:205], v[212:213], v[222:223], -v[204:205]
	v_mul_f64 v[212:213], v[212:213], v[206:207]
	ds_read2_b64 v[230:233], v224 offset0:14 offset1:15
	v_fmac_f64_e32 v[212:213], v[214:215], v[222:223]
	s_waitcnt vmcnt(46)
	v_add_f64 v[190:191], v[190:191], -v[212:213]
	ds_read2_b64 v[212:215], v224 offset0:16 offset1:17
	v_add_f64 v[188:189], v[188:189], -v[204:205]
	;; [unrolled: 18-line block ×24, first 2 shown]
	s_waitcnt lgkmcnt(1)
	v_mul_f64 v[204:205], v[232:233], v[206:207]
	v_fma_f64 v[204:205], v[230:231], v[222:223], -v[204:205]
	s_waitcnt vmcnt(1)
	v_add_f64 v[0:1], v[0:1], -v[204:205]
	s_waitcnt lgkmcnt(0)
	v_mul_f64 v[204:205], v[214:215], v[206:207]
	v_mul_f64 v[230:231], v[230:231], v[206:207]
	v_fma_f64 v[204:205], v[212:213], v[222:223], -v[204:205]
	v_mul_f64 v[212:213], v[212:213], v[206:207]
	v_fmac_f64_e32 v[230:231], v[232:233], v[222:223]
	v_fmac_f64_e32 v[212:213], v[214:215], v[222:223]
	v_add_f64 v[2:3], v[2:3], -v[230:231]
	s_waitcnt vmcnt(0)
	v_add_f64 v[208:209], v[208:209], -v[204:205]
	v_add_f64 v[210:211], v[210:211], -v[212:213]
	v_mov_b64_e32 v[204:205], v[222:223]
.LBB104_62:
	s_or_b64 exec, exec, s[0:1]
	v_lshl_add_u32 v212, v225, 4, v224
	s_barrier
	s_waitcnt vmcnt(49)
	ds_write2_b64 v212, v[200:201], v[202:203] offset1:1
	s_waitcnt lgkmcnt(0)
	s_barrier
	ds_read2_b64 v[212:215], v224 offset0:6 offset1:7
	s_mov_b32 s16, 4
	s_cmp_lt_i32 s20, 5
	v_mov_b32_e32 v222, 3
	s_cbranch_scc1 .LBB104_65
; %bb.63:
	v_add3_u32 v223, v228, 0, 64
	v_mov_b32_e32 v222, 3
.LBB104_64:                             ; =>This Inner Loop Header: Depth=1
	ds_read2_b64 v[228:231], v223 offset1:1
	s_waitcnt lgkmcnt(1)
	v_xor_b32_e32 v233, 0x80000000, v213
	v_xor_b32_e32 v235, 0x80000000, v215
	v_cmp_gt_f64_e32 vcc, 0, v[214:215]
	v_cmp_gt_f64_e64 s[0:1], 0, v[212:213]
	v_mov_b32_e32 v232, v212
	v_mov_b32_e32 v234, v214
	v_cndmask_b32_e64 v233, v213, v233, s[0:1]
	v_cndmask_b32_e32 v235, v215, v235, vcc
	v_add_f64 v[232:233], v[232:233], v[234:235]
	s_waitcnt lgkmcnt(0)
	v_xor_b32_e32 v235, 0x80000000, v229
	v_xor_b32_e32 v237, 0x80000000, v231
	v_cmp_gt_f64_e32 vcc, 0, v[230:231]
	v_cmp_gt_f64_e64 s[0:1], 0, v[228:229]
	v_mov_b32_e32 v234, v228
	v_mov_b32_e32 v236, v230
	v_cndmask_b32_e64 v235, v229, v235, s[0:1]
	v_cndmask_b32_e32 v237, v231, v237, vcc
	v_add_f64 v[234:235], v[234:235], v[236:237]
	v_mov_b32_e32 v238, s16
	s_add_i32 s16, s16, 1
	v_cmp_lt_f64_e32 vcc, v[232:233], v[234:235]
	v_add_u32_e32 v223, 16, v223
	s_cmp_lg_u32 s20, s16
	v_cndmask_b32_e32 v213, v213, v229, vcc
	v_cndmask_b32_e32 v212, v212, v228, vcc
	;; [unrolled: 1-line block ×5, first 2 shown]
	s_cbranch_scc1 .LBB104_64
.LBB104_65:
	s_waitcnt lgkmcnt(0)
	v_cmp_eq_f64_e32 vcc, 0, v[212:213]
	v_cmp_eq_f64_e64 s[0:1], 0, v[214:215]
	s_and_b64 s[0:1], vcc, s[0:1]
	s_and_saveexec_b64 s[16:17], s[0:1]
	s_xor_b64 s[0:1], exec, s[16:17]
; %bb.66:
	v_cmp_ne_u32_e32 vcc, 0, v226
	s_nop 1
	v_cndmask_b32_e32 v226, 4, v226, vcc
; %bb.67:
	s_andn2_saveexec_b64 s[0:1], s[0:1]
	s_cbranch_execz .LBB104_73
; %bb.68:
	v_cmp_ngt_f64_e64 s[16:17], |v[212:213]|, |v[214:215]|
	s_and_saveexec_b64 s[18:19], s[16:17]
	s_xor_b64 s[16:17], exec, s[18:19]
	s_cbranch_execz .LBB104_70
; %bb.69:
	v_div_scale_f64 v[228:229], s[18:19], v[214:215], v[214:215], v[212:213]
	v_rcp_f64_e32 v[230:231], v[228:229]
	v_div_scale_f64 v[232:233], vcc, v[212:213], v[214:215], v[212:213]
	v_fma_f64 v[234:235], -v[228:229], v[230:231], 1.0
	v_fmac_f64_e32 v[230:231], v[230:231], v[234:235]
	v_fma_f64 v[234:235], -v[228:229], v[230:231], 1.0
	v_fmac_f64_e32 v[230:231], v[230:231], v[234:235]
	v_mul_f64 v[234:235], v[232:233], v[230:231]
	v_fma_f64 v[228:229], -v[228:229], v[234:235], v[232:233]
	v_div_fmas_f64 v[228:229], v[228:229], v[230:231], v[234:235]
	v_div_fixup_f64 v[228:229], v[228:229], v[214:215], v[212:213]
	v_fmac_f64_e32 v[214:215], v[212:213], v[228:229]
	v_div_scale_f64 v[212:213], s[18:19], v[214:215], v[214:215], 1.0
	v_rcp_f64_e32 v[230:231], v[212:213]
	s_nop 0
	v_fma_f64 v[232:233], -v[212:213], v[230:231], 1.0
	v_fmac_f64_e32 v[230:231], v[230:231], v[232:233]
	v_fma_f64 v[232:233], -v[212:213], v[230:231], 1.0
	v_fmac_f64_e32 v[230:231], v[230:231], v[232:233]
	v_div_scale_f64 v[232:233], vcc, 1.0, v[214:215], 1.0
	v_mul_f64 v[234:235], v[232:233], v[230:231]
	v_fma_f64 v[212:213], -v[212:213], v[234:235], v[232:233]
	s_nop 1
	v_div_fmas_f64 v[212:213], v[212:213], v[230:231], v[234:235]
	v_div_fixup_f64 v[214:215], v[212:213], v[214:215], 1.0
	v_mul_f64 v[212:213], v[228:229], v[214:215]
	v_xor_b32_e32 v215, 0x80000000, v215
.LBB104_70:
	s_andn2_saveexec_b64 s[16:17], s[16:17]
	s_cbranch_execz .LBB104_72
; %bb.71:
	v_div_scale_f64 v[228:229], s[18:19], v[212:213], v[212:213], v[214:215]
	v_rcp_f64_e32 v[230:231], v[228:229]
	v_div_scale_f64 v[232:233], vcc, v[214:215], v[212:213], v[214:215]
	v_fma_f64 v[234:235], -v[228:229], v[230:231], 1.0
	v_fmac_f64_e32 v[230:231], v[230:231], v[234:235]
	v_fma_f64 v[234:235], -v[228:229], v[230:231], 1.0
	v_fmac_f64_e32 v[230:231], v[230:231], v[234:235]
	v_mul_f64 v[234:235], v[232:233], v[230:231]
	v_fma_f64 v[228:229], -v[228:229], v[234:235], v[232:233]
	v_div_fmas_f64 v[228:229], v[228:229], v[230:231], v[234:235]
	v_div_fixup_f64 v[228:229], v[228:229], v[212:213], v[214:215]
	v_fmac_f64_e32 v[212:213], v[214:215], v[228:229]
	v_div_scale_f64 v[214:215], s[18:19], v[212:213], v[212:213], 1.0
	v_rcp_f64_e32 v[230:231], v[214:215]
	s_nop 0
	v_fma_f64 v[232:233], -v[214:215], v[230:231], 1.0
	v_fmac_f64_e32 v[230:231], v[230:231], v[232:233]
	v_fma_f64 v[232:233], -v[214:215], v[230:231], 1.0
	v_fmac_f64_e32 v[230:231], v[230:231], v[232:233]
	v_div_scale_f64 v[232:233], vcc, 1.0, v[212:213], 1.0
	v_mul_f64 v[234:235], v[232:233], v[230:231]
	v_fma_f64 v[214:215], -v[214:215], v[234:235], v[232:233]
	s_nop 1
	v_div_fmas_f64 v[214:215], v[214:215], v[230:231], v[234:235]
	v_div_fixup_f64 v[212:213], v[214:215], v[212:213], 1.0
	v_mul_f64 v[214:215], v[228:229], -v[212:213]
.LBB104_72:
	s_or_b64 exec, exec, s[16:17]
.LBB104_73:
	s_or_b64 exec, exec, s[0:1]
	v_cmp_ne_u32_e32 vcc, v225, v222
	s_and_saveexec_b64 s[0:1], vcc
	s_xor_b64 s[0:1], exec, s[0:1]
	s_cbranch_execz .LBB104_79
; %bb.74:
	v_cmp_eq_u32_e32 vcc, 3, v225
	s_and_saveexec_b64 s[16:17], vcc
	s_cbranch_execz .LBB104_78
; %bb.75:
	v_cmp_ne_u32_e32 vcc, 3, v222
	s_xor_b64 s[18:19], s[14:15], -1
	s_and_b64 s[22:23], s[18:19], vcc
	s_and_saveexec_b64 s[18:19], s[22:23]
	s_cbranch_execz .LBB104_77
; %bb.76:
	v_ashrrev_i32_e32 v223, 31, v222
	v_lshl_add_u64 v[228:229], v[222:223], 2, v[220:221]
	global_load_dword v223, v[228:229], off
	global_load_dword v225, v[220:221], off offset:12
	s_waitcnt vmcnt(1)
	global_store_dword v[220:221], v223, off offset:12
	s_waitcnt vmcnt(1)
	global_store_dword v[228:229], v225, off
.LBB104_77:
	s_or_b64 exec, exec, s[18:19]
	v_mov_b32_e32 v225, v222
	v_mov_b32_e32 v227, v222
.LBB104_78:
	s_or_b64 exec, exec, s[16:17]
.LBB104_79:
	s_andn2_saveexec_b64 s[0:1], s[0:1]
	s_cbranch_execz .LBB104_81
; %bb.80:
	v_mov_b32_e32 v225, 3
	s_waitcnt vmcnt(48)
	ds_write2_b64 v224, v[196:197], v[198:199] offset0:8 offset1:9
	s_waitcnt vmcnt(47)
	ds_write2_b64 v224, v[192:193], v[194:195] offset0:10 offset1:11
	;; [unrolled: 2-line block ×49, first 2 shown]
.LBB104_81:
	s_or_b64 exec, exec, s[0:1]
	v_cmp_lt_i32_e32 vcc, 3, v225
	s_waitcnt lgkmcnt(0)
	s_barrier
	s_and_saveexec_b64 s[0:1], vcc
	s_cbranch_execz .LBB104_83
; %bb.82:
	ds_read2_b64 v[228:231], v224 offset0:8 offset1:9
	v_mul_f64 v[222:223], v[214:215], v[202:203]
	v_mul_f64 v[202:203], v[212:213], v[202:203]
	v_fmac_f64_e32 v[202:203], v[214:215], v[200:201]
	v_fma_f64 v[222:223], v[212:213], v[200:201], -v[222:223]
	ds_read2_b64 v[212:215], v224 offset0:10 offset1:11
	s_waitcnt lgkmcnt(1)
	v_mul_f64 v[200:201], v[230:231], v[202:203]
	v_fma_f64 v[200:201], v[228:229], v[222:223], -v[200:201]
	v_mul_f64 v[228:229], v[228:229], v[202:203]
	v_fmac_f64_e32 v[228:229], v[230:231], v[222:223]
	s_waitcnt vmcnt(48)
	v_add_f64 v[198:199], v[198:199], -v[228:229]
	ds_read2_b64 v[228:231], v224 offset0:12 offset1:13
	v_add_f64 v[196:197], v[196:197], -v[200:201]
	s_waitcnt lgkmcnt(1)
	v_mul_f64 v[200:201], v[214:215], v[202:203]
	v_fma_f64 v[200:201], v[212:213], v[222:223], -v[200:201]
	v_mul_f64 v[212:213], v[212:213], v[202:203]
	v_fmac_f64_e32 v[212:213], v[214:215], v[222:223]
	s_waitcnt vmcnt(47)
	v_add_f64 v[192:193], v[192:193], -v[200:201]
	v_add_f64 v[194:195], v[194:195], -v[212:213]
	ds_read2_b64 v[212:215], v224 offset0:14 offset1:15
	s_waitcnt lgkmcnt(1)
	v_mul_f64 v[200:201], v[230:231], v[202:203]
	v_fma_f64 v[200:201], v[228:229], v[222:223], -v[200:201]
	v_mul_f64 v[228:229], v[228:229], v[202:203]
	v_fmac_f64_e32 v[228:229], v[230:231], v[222:223]
	s_waitcnt vmcnt(46)
	v_add_f64 v[190:191], v[190:191], -v[228:229]
	ds_read2_b64 v[228:231], v224 offset0:16 offset1:17
	v_add_f64 v[188:189], v[188:189], -v[200:201]
	s_waitcnt lgkmcnt(1)
	v_mul_f64 v[200:201], v[214:215], v[202:203]
	v_fma_f64 v[200:201], v[212:213], v[222:223], -v[200:201]
	v_mul_f64 v[212:213], v[212:213], v[202:203]
	v_fmac_f64_e32 v[212:213], v[214:215], v[222:223]
	s_waitcnt vmcnt(45)
	v_add_f64 v[184:185], v[184:185], -v[200:201]
	v_add_f64 v[186:187], v[186:187], -v[212:213]
	;; [unrolled: 18-line block ×24, first 2 shown]
	s_waitcnt lgkmcnt(0)
	v_mul_f64 v[200:201], v[230:231], v[202:203]
	v_mul_f64 v[212:213], v[228:229], v[202:203]
	v_fma_f64 v[200:201], v[228:229], v[222:223], -v[200:201]
	v_fmac_f64_e32 v[212:213], v[230:231], v[222:223]
	s_waitcnt vmcnt(0)
	v_add_f64 v[208:209], v[208:209], -v[200:201]
	v_add_f64 v[210:211], v[210:211], -v[212:213]
	v_mov_b64_e32 v[200:201], v[222:223]
.LBB104_83:
	s_or_b64 exec, exec, s[0:1]
	v_lshl_add_u32 v212, v225, 4, v224
	s_barrier
	s_waitcnt vmcnt(48)
	ds_write2_b64 v212, v[196:197], v[198:199] offset1:1
	s_waitcnt lgkmcnt(0)
	s_barrier
	ds_read2_b64 v[212:215], v224 offset0:8 offset1:9
	s_cmp_lt_i32 s20, 6
	v_mov_b32_e32 v222, 4
	s_cbranch_scc1 .LBB104_86
; %bb.84:
	v_mov_b32_e32 v222, 4
	v_add_u32_e32 v223, 0x50, v224
	s_mov_b32 s16, 5
.LBB104_85:                             ; =>This Inner Loop Header: Depth=1
	ds_read2_b64 v[228:231], v223 offset1:1
	s_waitcnt lgkmcnt(1)
	v_xor_b32_e32 v233, 0x80000000, v213
	v_xor_b32_e32 v235, 0x80000000, v215
	v_cmp_gt_f64_e32 vcc, 0, v[214:215]
	v_cmp_gt_f64_e64 s[0:1], 0, v[212:213]
	v_mov_b32_e32 v232, v212
	v_mov_b32_e32 v234, v214
	v_cndmask_b32_e64 v233, v213, v233, s[0:1]
	v_cndmask_b32_e32 v235, v215, v235, vcc
	v_add_f64 v[232:233], v[232:233], v[234:235]
	s_waitcnt lgkmcnt(0)
	v_xor_b32_e32 v235, 0x80000000, v229
	v_xor_b32_e32 v237, 0x80000000, v231
	v_cmp_gt_f64_e32 vcc, 0, v[230:231]
	v_cmp_gt_f64_e64 s[0:1], 0, v[228:229]
	v_mov_b32_e32 v234, v228
	v_mov_b32_e32 v236, v230
	v_cndmask_b32_e64 v235, v229, v235, s[0:1]
	v_cndmask_b32_e32 v237, v231, v237, vcc
	v_add_f64 v[234:235], v[234:235], v[236:237]
	v_mov_b32_e32 v238, s16
	s_add_i32 s16, s16, 1
	v_cmp_lt_f64_e32 vcc, v[232:233], v[234:235]
	v_add_u32_e32 v223, 16, v223
	s_cmp_lg_u32 s20, s16
	v_cndmask_b32_e32 v213, v213, v229, vcc
	v_cndmask_b32_e32 v212, v212, v228, vcc
	;; [unrolled: 1-line block ×5, first 2 shown]
	s_cbranch_scc1 .LBB104_85
.LBB104_86:
	s_waitcnt lgkmcnt(0)
	v_cmp_eq_f64_e32 vcc, 0, v[212:213]
	v_cmp_eq_f64_e64 s[0:1], 0, v[214:215]
	s_and_b64 s[0:1], vcc, s[0:1]
	s_and_saveexec_b64 s[16:17], s[0:1]
	s_xor_b64 s[0:1], exec, s[16:17]
; %bb.87:
	v_cmp_ne_u32_e32 vcc, 0, v226
	s_nop 1
	v_cndmask_b32_e32 v226, 5, v226, vcc
; %bb.88:
	s_andn2_saveexec_b64 s[0:1], s[0:1]
	s_cbranch_execz .LBB104_94
; %bb.89:
	v_cmp_ngt_f64_e64 s[16:17], |v[212:213]|, |v[214:215]|
	s_and_saveexec_b64 s[18:19], s[16:17]
	s_xor_b64 s[16:17], exec, s[18:19]
	s_cbranch_execz .LBB104_91
; %bb.90:
	v_div_scale_f64 v[228:229], s[18:19], v[214:215], v[214:215], v[212:213]
	v_rcp_f64_e32 v[230:231], v[228:229]
	v_div_scale_f64 v[232:233], vcc, v[212:213], v[214:215], v[212:213]
	v_fma_f64 v[234:235], -v[228:229], v[230:231], 1.0
	v_fmac_f64_e32 v[230:231], v[230:231], v[234:235]
	v_fma_f64 v[234:235], -v[228:229], v[230:231], 1.0
	v_fmac_f64_e32 v[230:231], v[230:231], v[234:235]
	v_mul_f64 v[234:235], v[232:233], v[230:231]
	v_fma_f64 v[228:229], -v[228:229], v[234:235], v[232:233]
	v_div_fmas_f64 v[228:229], v[228:229], v[230:231], v[234:235]
	v_div_fixup_f64 v[228:229], v[228:229], v[214:215], v[212:213]
	v_fmac_f64_e32 v[214:215], v[212:213], v[228:229]
	v_div_scale_f64 v[212:213], s[18:19], v[214:215], v[214:215], 1.0
	v_rcp_f64_e32 v[230:231], v[212:213]
	s_nop 0
	v_fma_f64 v[232:233], -v[212:213], v[230:231], 1.0
	v_fmac_f64_e32 v[230:231], v[230:231], v[232:233]
	v_fma_f64 v[232:233], -v[212:213], v[230:231], 1.0
	v_fmac_f64_e32 v[230:231], v[230:231], v[232:233]
	v_div_scale_f64 v[232:233], vcc, 1.0, v[214:215], 1.0
	v_mul_f64 v[234:235], v[232:233], v[230:231]
	v_fma_f64 v[212:213], -v[212:213], v[234:235], v[232:233]
	s_nop 1
	v_div_fmas_f64 v[212:213], v[212:213], v[230:231], v[234:235]
	v_div_fixup_f64 v[214:215], v[212:213], v[214:215], 1.0
	v_mul_f64 v[212:213], v[228:229], v[214:215]
	v_xor_b32_e32 v215, 0x80000000, v215
.LBB104_91:
	s_andn2_saveexec_b64 s[16:17], s[16:17]
	s_cbranch_execz .LBB104_93
; %bb.92:
	v_div_scale_f64 v[228:229], s[18:19], v[212:213], v[212:213], v[214:215]
	v_rcp_f64_e32 v[230:231], v[228:229]
	v_div_scale_f64 v[232:233], vcc, v[214:215], v[212:213], v[214:215]
	v_fma_f64 v[234:235], -v[228:229], v[230:231], 1.0
	v_fmac_f64_e32 v[230:231], v[230:231], v[234:235]
	v_fma_f64 v[234:235], -v[228:229], v[230:231], 1.0
	v_fmac_f64_e32 v[230:231], v[230:231], v[234:235]
	v_mul_f64 v[234:235], v[232:233], v[230:231]
	v_fma_f64 v[228:229], -v[228:229], v[234:235], v[232:233]
	v_div_fmas_f64 v[228:229], v[228:229], v[230:231], v[234:235]
	v_div_fixup_f64 v[228:229], v[228:229], v[212:213], v[214:215]
	v_fmac_f64_e32 v[212:213], v[214:215], v[228:229]
	v_div_scale_f64 v[214:215], s[18:19], v[212:213], v[212:213], 1.0
	v_rcp_f64_e32 v[230:231], v[214:215]
	s_nop 0
	v_fma_f64 v[232:233], -v[214:215], v[230:231], 1.0
	v_fmac_f64_e32 v[230:231], v[230:231], v[232:233]
	v_fma_f64 v[232:233], -v[214:215], v[230:231], 1.0
	v_fmac_f64_e32 v[230:231], v[230:231], v[232:233]
	v_div_scale_f64 v[232:233], vcc, 1.0, v[212:213], 1.0
	v_mul_f64 v[234:235], v[232:233], v[230:231]
	v_fma_f64 v[214:215], -v[214:215], v[234:235], v[232:233]
	s_nop 1
	v_div_fmas_f64 v[214:215], v[214:215], v[230:231], v[234:235]
	v_div_fixup_f64 v[212:213], v[214:215], v[212:213], 1.0
	v_mul_f64 v[214:215], v[228:229], -v[212:213]
.LBB104_93:
	s_or_b64 exec, exec, s[16:17]
.LBB104_94:
	s_or_b64 exec, exec, s[0:1]
	v_cmp_ne_u32_e32 vcc, v225, v222
	s_and_saveexec_b64 s[0:1], vcc
	s_xor_b64 s[0:1], exec, s[0:1]
	s_cbranch_execz .LBB104_100
; %bb.95:
	v_cmp_eq_u32_e32 vcc, 4, v225
	s_and_saveexec_b64 s[16:17], vcc
	s_cbranch_execz .LBB104_99
; %bb.96:
	v_cmp_ne_u32_e32 vcc, 4, v222
	s_xor_b64 s[18:19], s[14:15], -1
	s_and_b64 s[22:23], s[18:19], vcc
	s_and_saveexec_b64 s[18:19], s[22:23]
	s_cbranch_execz .LBB104_98
; %bb.97:
	v_ashrrev_i32_e32 v223, 31, v222
	v_lshl_add_u64 v[228:229], v[222:223], 2, v[220:221]
	global_load_dword v223, v[228:229], off
	global_load_dword v225, v[220:221], off offset:16
	s_waitcnt vmcnt(1)
	global_store_dword v[220:221], v223, off offset:16
	s_waitcnt vmcnt(1)
	global_store_dword v[228:229], v225, off
.LBB104_98:
	s_or_b64 exec, exec, s[18:19]
	v_mov_b32_e32 v225, v222
	v_mov_b32_e32 v227, v222
.LBB104_99:
	s_or_b64 exec, exec, s[16:17]
.LBB104_100:
	s_andn2_saveexec_b64 s[0:1], s[0:1]
	s_cbranch_execz .LBB104_102
; %bb.101:
	v_mov_b32_e32 v225, 4
	s_waitcnt vmcnt(47)
	ds_write2_b64 v224, v[192:193], v[194:195] offset0:10 offset1:11
	s_waitcnt vmcnt(46)
	ds_write2_b64 v224, v[188:189], v[190:191] offset0:12 offset1:13
	;; [unrolled: 2-line block ×48, first 2 shown]
.LBB104_102:
	s_or_b64 exec, exec, s[0:1]
	v_cmp_lt_i32_e32 vcc, 4, v225
	s_waitcnt lgkmcnt(0)
	s_barrier
	s_and_saveexec_b64 s[0:1], vcc
	s_cbranch_execz .LBB104_104
; %bb.103:
	ds_read2_b64 v[228:231], v224 offset0:10 offset1:11
	v_mul_f64 v[222:223], v[214:215], v[198:199]
	v_mul_f64 v[198:199], v[212:213], v[198:199]
	v_fma_f64 v[222:223], v[212:213], v[196:197], -v[222:223]
	v_fmac_f64_e32 v[198:199], v[214:215], v[196:197]
	ds_read2_b64 v[212:215], v224 offset0:12 offset1:13
	s_waitcnt lgkmcnt(1)
	v_mul_f64 v[196:197], v[230:231], v[198:199]
	v_fma_f64 v[196:197], v[228:229], v[222:223], -v[196:197]
	v_mul_f64 v[228:229], v[228:229], v[198:199]
	v_fmac_f64_e32 v[228:229], v[230:231], v[222:223]
	s_waitcnt vmcnt(47)
	v_add_f64 v[192:193], v[192:193], -v[196:197]
	s_waitcnt lgkmcnt(0)
	v_mul_f64 v[196:197], v[214:215], v[198:199]
	v_add_f64 v[194:195], v[194:195], -v[228:229]
	v_fma_f64 v[196:197], v[212:213], v[222:223], -v[196:197]
	v_mul_f64 v[212:213], v[212:213], v[198:199]
	ds_read2_b64 v[228:231], v224 offset0:14 offset1:15
	v_fmac_f64_e32 v[212:213], v[214:215], v[222:223]
	s_waitcnt vmcnt(46)
	v_add_f64 v[190:191], v[190:191], -v[212:213]
	ds_read2_b64 v[212:215], v224 offset0:16 offset1:17
	v_add_f64 v[188:189], v[188:189], -v[196:197]
	s_waitcnt lgkmcnt(1)
	v_mul_f64 v[196:197], v[230:231], v[198:199]
	v_fma_f64 v[196:197], v[228:229], v[222:223], -v[196:197]
	v_mul_f64 v[228:229], v[228:229], v[198:199]
	v_fmac_f64_e32 v[228:229], v[230:231], v[222:223]
	s_waitcnt vmcnt(45)
	v_add_f64 v[184:185], v[184:185], -v[196:197]
	s_waitcnt lgkmcnt(0)
	v_mul_f64 v[196:197], v[214:215], v[198:199]
	v_add_f64 v[186:187], v[186:187], -v[228:229]
	v_fma_f64 v[196:197], v[212:213], v[222:223], -v[196:197]
	v_mul_f64 v[212:213], v[212:213], v[198:199]
	ds_read2_b64 v[228:231], v224 offset0:18 offset1:19
	v_fmac_f64_e32 v[212:213], v[214:215], v[222:223]
	s_waitcnt vmcnt(44)
	v_add_f64 v[182:183], v[182:183], -v[212:213]
	ds_read2_b64 v[212:215], v224 offset0:20 offset1:21
	v_add_f64 v[180:181], v[180:181], -v[196:197]
	;; [unrolled: 18-line block ×23, first 2 shown]
	s_waitcnt lgkmcnt(1)
	v_mul_f64 v[196:197], v[230:231], v[198:199]
	v_fma_f64 v[196:197], v[228:229], v[222:223], -v[196:197]
	s_waitcnt vmcnt(1)
	v_add_f64 v[0:1], v[0:1], -v[196:197]
	s_waitcnt lgkmcnt(0)
	v_mul_f64 v[196:197], v[214:215], v[198:199]
	v_mul_f64 v[228:229], v[228:229], v[198:199]
	v_fma_f64 v[196:197], v[212:213], v[222:223], -v[196:197]
	v_mul_f64 v[212:213], v[212:213], v[198:199]
	v_fmac_f64_e32 v[228:229], v[230:231], v[222:223]
	v_fmac_f64_e32 v[212:213], v[214:215], v[222:223]
	v_add_f64 v[2:3], v[2:3], -v[228:229]
	s_waitcnt vmcnt(0)
	v_add_f64 v[208:209], v[208:209], -v[196:197]
	v_add_f64 v[210:211], v[210:211], -v[212:213]
	v_mov_b64_e32 v[196:197], v[222:223]
.LBB104_104:
	s_or_b64 exec, exec, s[0:1]
	v_lshl_add_u32 v212, v225, 4, v224
	s_barrier
	s_waitcnt vmcnt(47)
	ds_write2_b64 v212, v[192:193], v[194:195] offset1:1
	s_waitcnt lgkmcnt(0)
	s_barrier
	ds_read2_b64 v[212:215], v224 offset0:10 offset1:11
	s_cmp_lt_i32 s20, 7
	v_mov_b32_e32 v222, 5
	s_cbranch_scc1 .LBB104_107
; %bb.105:
	v_add_u32_e32 v223, 0x60, v224
	s_mov_b32 s16, 6
	v_mov_b32_e32 v222, 5
.LBB104_106:                            ; =>This Inner Loop Header: Depth=1
	ds_read2_b64 v[228:231], v223 offset1:1
	s_waitcnt lgkmcnt(1)
	v_xor_b32_e32 v233, 0x80000000, v213
	v_xor_b32_e32 v235, 0x80000000, v215
	v_cmp_gt_f64_e32 vcc, 0, v[214:215]
	v_cmp_gt_f64_e64 s[0:1], 0, v[212:213]
	v_mov_b32_e32 v232, v212
	v_mov_b32_e32 v234, v214
	v_cndmask_b32_e64 v233, v213, v233, s[0:1]
	v_cndmask_b32_e32 v235, v215, v235, vcc
	v_add_f64 v[232:233], v[232:233], v[234:235]
	s_waitcnt lgkmcnt(0)
	v_xor_b32_e32 v235, 0x80000000, v229
	v_xor_b32_e32 v237, 0x80000000, v231
	v_cmp_gt_f64_e32 vcc, 0, v[230:231]
	v_cmp_gt_f64_e64 s[0:1], 0, v[228:229]
	v_mov_b32_e32 v234, v228
	v_mov_b32_e32 v236, v230
	v_cndmask_b32_e64 v235, v229, v235, s[0:1]
	v_cndmask_b32_e32 v237, v231, v237, vcc
	v_add_f64 v[234:235], v[234:235], v[236:237]
	v_mov_b32_e32 v238, s16
	s_add_i32 s16, s16, 1
	v_cmp_lt_f64_e32 vcc, v[232:233], v[234:235]
	v_add_u32_e32 v223, 16, v223
	s_cmp_lg_u32 s20, s16
	v_cndmask_b32_e32 v213, v213, v229, vcc
	v_cndmask_b32_e32 v212, v212, v228, vcc
	;; [unrolled: 1-line block ×5, first 2 shown]
	s_cbranch_scc1 .LBB104_106
.LBB104_107:
	s_waitcnt lgkmcnt(0)
	v_cmp_eq_f64_e32 vcc, 0, v[212:213]
	v_cmp_eq_f64_e64 s[0:1], 0, v[214:215]
	s_and_b64 s[0:1], vcc, s[0:1]
	s_and_saveexec_b64 s[16:17], s[0:1]
	s_xor_b64 s[0:1], exec, s[16:17]
; %bb.108:
	v_cmp_ne_u32_e32 vcc, 0, v226
	s_nop 1
	v_cndmask_b32_e32 v226, 6, v226, vcc
; %bb.109:
	s_andn2_saveexec_b64 s[0:1], s[0:1]
	s_cbranch_execz .LBB104_115
; %bb.110:
	v_cmp_ngt_f64_e64 s[16:17], |v[212:213]|, |v[214:215]|
	s_and_saveexec_b64 s[18:19], s[16:17]
	s_xor_b64 s[16:17], exec, s[18:19]
	s_cbranch_execz .LBB104_112
; %bb.111:
	v_div_scale_f64 v[228:229], s[18:19], v[214:215], v[214:215], v[212:213]
	v_rcp_f64_e32 v[230:231], v[228:229]
	v_div_scale_f64 v[232:233], vcc, v[212:213], v[214:215], v[212:213]
	v_fma_f64 v[234:235], -v[228:229], v[230:231], 1.0
	v_fmac_f64_e32 v[230:231], v[230:231], v[234:235]
	v_fma_f64 v[234:235], -v[228:229], v[230:231], 1.0
	v_fmac_f64_e32 v[230:231], v[230:231], v[234:235]
	v_mul_f64 v[234:235], v[232:233], v[230:231]
	v_fma_f64 v[228:229], -v[228:229], v[234:235], v[232:233]
	v_div_fmas_f64 v[228:229], v[228:229], v[230:231], v[234:235]
	v_div_fixup_f64 v[228:229], v[228:229], v[214:215], v[212:213]
	v_fmac_f64_e32 v[214:215], v[212:213], v[228:229]
	v_div_scale_f64 v[212:213], s[18:19], v[214:215], v[214:215], 1.0
	v_rcp_f64_e32 v[230:231], v[212:213]
	s_nop 0
	v_fma_f64 v[232:233], -v[212:213], v[230:231], 1.0
	v_fmac_f64_e32 v[230:231], v[230:231], v[232:233]
	v_fma_f64 v[232:233], -v[212:213], v[230:231], 1.0
	v_fmac_f64_e32 v[230:231], v[230:231], v[232:233]
	v_div_scale_f64 v[232:233], vcc, 1.0, v[214:215], 1.0
	v_mul_f64 v[234:235], v[232:233], v[230:231]
	v_fma_f64 v[212:213], -v[212:213], v[234:235], v[232:233]
	s_nop 1
	v_div_fmas_f64 v[212:213], v[212:213], v[230:231], v[234:235]
	v_div_fixup_f64 v[214:215], v[212:213], v[214:215], 1.0
	v_mul_f64 v[212:213], v[228:229], v[214:215]
	v_xor_b32_e32 v215, 0x80000000, v215
.LBB104_112:
	s_andn2_saveexec_b64 s[16:17], s[16:17]
	s_cbranch_execz .LBB104_114
; %bb.113:
	v_div_scale_f64 v[228:229], s[18:19], v[212:213], v[212:213], v[214:215]
	v_rcp_f64_e32 v[230:231], v[228:229]
	v_div_scale_f64 v[232:233], vcc, v[214:215], v[212:213], v[214:215]
	v_fma_f64 v[234:235], -v[228:229], v[230:231], 1.0
	v_fmac_f64_e32 v[230:231], v[230:231], v[234:235]
	v_fma_f64 v[234:235], -v[228:229], v[230:231], 1.0
	v_fmac_f64_e32 v[230:231], v[230:231], v[234:235]
	v_mul_f64 v[234:235], v[232:233], v[230:231]
	v_fma_f64 v[228:229], -v[228:229], v[234:235], v[232:233]
	v_div_fmas_f64 v[228:229], v[228:229], v[230:231], v[234:235]
	v_div_fixup_f64 v[228:229], v[228:229], v[212:213], v[214:215]
	v_fmac_f64_e32 v[212:213], v[214:215], v[228:229]
	v_div_scale_f64 v[214:215], s[18:19], v[212:213], v[212:213], 1.0
	v_rcp_f64_e32 v[230:231], v[214:215]
	s_nop 0
	v_fma_f64 v[232:233], -v[214:215], v[230:231], 1.0
	v_fmac_f64_e32 v[230:231], v[230:231], v[232:233]
	v_fma_f64 v[232:233], -v[214:215], v[230:231], 1.0
	v_fmac_f64_e32 v[230:231], v[230:231], v[232:233]
	v_div_scale_f64 v[232:233], vcc, 1.0, v[212:213], 1.0
	v_mul_f64 v[234:235], v[232:233], v[230:231]
	v_fma_f64 v[214:215], -v[214:215], v[234:235], v[232:233]
	s_nop 1
	v_div_fmas_f64 v[214:215], v[214:215], v[230:231], v[234:235]
	v_div_fixup_f64 v[212:213], v[214:215], v[212:213], 1.0
	v_mul_f64 v[214:215], v[228:229], -v[212:213]
.LBB104_114:
	s_or_b64 exec, exec, s[16:17]
.LBB104_115:
	s_or_b64 exec, exec, s[0:1]
	v_cmp_ne_u32_e32 vcc, v225, v222
	s_and_saveexec_b64 s[0:1], vcc
	s_xor_b64 s[0:1], exec, s[0:1]
	s_cbranch_execz .LBB104_121
; %bb.116:
	v_cmp_eq_u32_e32 vcc, 5, v225
	s_and_saveexec_b64 s[16:17], vcc
	s_cbranch_execz .LBB104_120
; %bb.117:
	v_cmp_ne_u32_e32 vcc, 5, v222
	s_xor_b64 s[18:19], s[14:15], -1
	s_and_b64 s[22:23], s[18:19], vcc
	s_and_saveexec_b64 s[18:19], s[22:23]
	s_cbranch_execz .LBB104_119
; %bb.118:
	v_ashrrev_i32_e32 v223, 31, v222
	v_lshl_add_u64 v[228:229], v[222:223], 2, v[220:221]
	global_load_dword v223, v[228:229], off
	global_load_dword v225, v[220:221], off offset:20
	s_waitcnt vmcnt(1)
	global_store_dword v[220:221], v223, off offset:20
	s_waitcnt vmcnt(1)
	global_store_dword v[228:229], v225, off
.LBB104_119:
	s_or_b64 exec, exec, s[18:19]
	v_mov_b32_e32 v225, v222
	v_mov_b32_e32 v227, v222
.LBB104_120:
	s_or_b64 exec, exec, s[16:17]
.LBB104_121:
	s_andn2_saveexec_b64 s[0:1], s[0:1]
	s_cbranch_execz .LBB104_123
; %bb.122:
	v_mov_b32_e32 v225, 5
	s_waitcnt vmcnt(46)
	ds_write2_b64 v224, v[188:189], v[190:191] offset0:12 offset1:13
	s_waitcnt vmcnt(45)
	ds_write2_b64 v224, v[184:185], v[186:187] offset0:14 offset1:15
	;; [unrolled: 2-line block ×47, first 2 shown]
.LBB104_123:
	s_or_b64 exec, exec, s[0:1]
	v_cmp_lt_i32_e32 vcc, 5, v225
	s_waitcnt lgkmcnt(0)
	s_barrier
	s_and_saveexec_b64 s[0:1], vcc
	s_cbranch_execz .LBB104_125
; %bb.124:
	ds_read2_b64 v[228:231], v224 offset0:12 offset1:13
	v_mul_f64 v[222:223], v[214:215], v[194:195]
	v_mul_f64 v[194:195], v[212:213], v[194:195]
	v_fmac_f64_e32 v[194:195], v[214:215], v[192:193]
	v_fma_f64 v[222:223], v[212:213], v[192:193], -v[222:223]
	ds_read2_b64 v[212:215], v224 offset0:14 offset1:15
	s_waitcnt lgkmcnt(1)
	v_mul_f64 v[192:193], v[230:231], v[194:195]
	v_fma_f64 v[192:193], v[228:229], v[222:223], -v[192:193]
	v_mul_f64 v[228:229], v[228:229], v[194:195]
	v_fmac_f64_e32 v[228:229], v[230:231], v[222:223]
	s_waitcnt vmcnt(46)
	v_add_f64 v[190:191], v[190:191], -v[228:229]
	ds_read2_b64 v[228:231], v224 offset0:16 offset1:17
	v_add_f64 v[188:189], v[188:189], -v[192:193]
	s_waitcnt lgkmcnt(1)
	v_mul_f64 v[192:193], v[214:215], v[194:195]
	v_fma_f64 v[192:193], v[212:213], v[222:223], -v[192:193]
	v_mul_f64 v[212:213], v[212:213], v[194:195]
	v_fmac_f64_e32 v[212:213], v[214:215], v[222:223]
	s_waitcnt vmcnt(45)
	v_add_f64 v[184:185], v[184:185], -v[192:193]
	v_add_f64 v[186:187], v[186:187], -v[212:213]
	ds_read2_b64 v[212:215], v224 offset0:18 offset1:19
	s_waitcnt lgkmcnt(1)
	v_mul_f64 v[192:193], v[230:231], v[194:195]
	v_fma_f64 v[192:193], v[228:229], v[222:223], -v[192:193]
	v_mul_f64 v[228:229], v[228:229], v[194:195]
	v_fmac_f64_e32 v[228:229], v[230:231], v[222:223]
	s_waitcnt vmcnt(44)
	v_add_f64 v[182:183], v[182:183], -v[228:229]
	ds_read2_b64 v[228:231], v224 offset0:20 offset1:21
	v_add_f64 v[180:181], v[180:181], -v[192:193]
	s_waitcnt lgkmcnt(1)
	v_mul_f64 v[192:193], v[214:215], v[194:195]
	v_fma_f64 v[192:193], v[212:213], v[222:223], -v[192:193]
	v_mul_f64 v[212:213], v[212:213], v[194:195]
	v_fmac_f64_e32 v[212:213], v[214:215], v[222:223]
	s_waitcnt vmcnt(43)
	v_add_f64 v[176:177], v[176:177], -v[192:193]
	v_add_f64 v[178:179], v[178:179], -v[212:213]
	;; [unrolled: 18-line block ×23, first 2 shown]
	s_waitcnt lgkmcnt(0)
	v_mul_f64 v[192:193], v[230:231], v[194:195]
	v_mul_f64 v[212:213], v[228:229], v[194:195]
	v_fma_f64 v[192:193], v[228:229], v[222:223], -v[192:193]
	v_fmac_f64_e32 v[212:213], v[230:231], v[222:223]
	s_waitcnt vmcnt(0)
	v_add_f64 v[208:209], v[208:209], -v[192:193]
	v_add_f64 v[210:211], v[210:211], -v[212:213]
	v_mov_b64_e32 v[192:193], v[222:223]
.LBB104_125:
	s_or_b64 exec, exec, s[0:1]
	v_lshl_add_u32 v212, v225, 4, v224
	s_barrier
	s_waitcnt vmcnt(46)
	ds_write2_b64 v212, v[188:189], v[190:191] offset1:1
	s_waitcnt lgkmcnt(0)
	s_barrier
	ds_read2_b64 v[212:215], v224 offset0:12 offset1:13
	s_cmp_lt_i32 s20, 8
	v_mov_b32_e32 v222, 6
	s_cbranch_scc1 .LBB104_128
; %bb.126:
	v_add_u32_e32 v223, 0x70, v224
	s_mov_b32 s16, 7
	v_mov_b32_e32 v222, 6
.LBB104_127:                            ; =>This Inner Loop Header: Depth=1
	ds_read2_b64 v[228:231], v223 offset1:1
	s_waitcnt lgkmcnt(1)
	v_xor_b32_e32 v233, 0x80000000, v213
	v_xor_b32_e32 v235, 0x80000000, v215
	v_cmp_gt_f64_e32 vcc, 0, v[214:215]
	v_cmp_gt_f64_e64 s[0:1], 0, v[212:213]
	v_mov_b32_e32 v232, v212
	v_mov_b32_e32 v234, v214
	v_cndmask_b32_e64 v233, v213, v233, s[0:1]
	v_cndmask_b32_e32 v235, v215, v235, vcc
	v_add_f64 v[232:233], v[232:233], v[234:235]
	s_waitcnt lgkmcnt(0)
	v_xor_b32_e32 v235, 0x80000000, v229
	v_xor_b32_e32 v237, 0x80000000, v231
	v_cmp_gt_f64_e32 vcc, 0, v[230:231]
	v_cmp_gt_f64_e64 s[0:1], 0, v[228:229]
	v_mov_b32_e32 v234, v228
	v_mov_b32_e32 v236, v230
	v_cndmask_b32_e64 v235, v229, v235, s[0:1]
	v_cndmask_b32_e32 v237, v231, v237, vcc
	v_add_f64 v[234:235], v[234:235], v[236:237]
	v_mov_b32_e32 v238, s16
	s_add_i32 s16, s16, 1
	v_cmp_lt_f64_e32 vcc, v[232:233], v[234:235]
	v_add_u32_e32 v223, 16, v223
	s_cmp_lg_u32 s20, s16
	v_cndmask_b32_e32 v213, v213, v229, vcc
	v_cndmask_b32_e32 v212, v212, v228, vcc
	;; [unrolled: 1-line block ×5, first 2 shown]
	s_cbranch_scc1 .LBB104_127
.LBB104_128:
	s_waitcnt lgkmcnt(0)
	v_cmp_eq_f64_e32 vcc, 0, v[212:213]
	v_cmp_eq_f64_e64 s[0:1], 0, v[214:215]
	s_and_b64 s[0:1], vcc, s[0:1]
	s_and_saveexec_b64 s[16:17], s[0:1]
	s_xor_b64 s[0:1], exec, s[16:17]
; %bb.129:
	v_cmp_ne_u32_e32 vcc, 0, v226
	s_nop 1
	v_cndmask_b32_e32 v226, 7, v226, vcc
; %bb.130:
	s_andn2_saveexec_b64 s[0:1], s[0:1]
	s_cbranch_execz .LBB104_136
; %bb.131:
	v_cmp_ngt_f64_e64 s[16:17], |v[212:213]|, |v[214:215]|
	s_and_saveexec_b64 s[18:19], s[16:17]
	s_xor_b64 s[16:17], exec, s[18:19]
	s_cbranch_execz .LBB104_133
; %bb.132:
	v_div_scale_f64 v[228:229], s[18:19], v[214:215], v[214:215], v[212:213]
	v_rcp_f64_e32 v[230:231], v[228:229]
	v_div_scale_f64 v[232:233], vcc, v[212:213], v[214:215], v[212:213]
	v_fma_f64 v[234:235], -v[228:229], v[230:231], 1.0
	v_fmac_f64_e32 v[230:231], v[230:231], v[234:235]
	v_fma_f64 v[234:235], -v[228:229], v[230:231], 1.0
	v_fmac_f64_e32 v[230:231], v[230:231], v[234:235]
	v_mul_f64 v[234:235], v[232:233], v[230:231]
	v_fma_f64 v[228:229], -v[228:229], v[234:235], v[232:233]
	v_div_fmas_f64 v[228:229], v[228:229], v[230:231], v[234:235]
	v_div_fixup_f64 v[228:229], v[228:229], v[214:215], v[212:213]
	v_fmac_f64_e32 v[214:215], v[212:213], v[228:229]
	v_div_scale_f64 v[212:213], s[18:19], v[214:215], v[214:215], 1.0
	v_rcp_f64_e32 v[230:231], v[212:213]
	s_nop 0
	v_fma_f64 v[232:233], -v[212:213], v[230:231], 1.0
	v_fmac_f64_e32 v[230:231], v[230:231], v[232:233]
	v_fma_f64 v[232:233], -v[212:213], v[230:231], 1.0
	v_fmac_f64_e32 v[230:231], v[230:231], v[232:233]
	v_div_scale_f64 v[232:233], vcc, 1.0, v[214:215], 1.0
	v_mul_f64 v[234:235], v[232:233], v[230:231]
	v_fma_f64 v[212:213], -v[212:213], v[234:235], v[232:233]
	s_nop 1
	v_div_fmas_f64 v[212:213], v[212:213], v[230:231], v[234:235]
	v_div_fixup_f64 v[214:215], v[212:213], v[214:215], 1.0
	v_mul_f64 v[212:213], v[228:229], v[214:215]
	v_xor_b32_e32 v215, 0x80000000, v215
.LBB104_133:
	s_andn2_saveexec_b64 s[16:17], s[16:17]
	s_cbranch_execz .LBB104_135
; %bb.134:
	v_div_scale_f64 v[228:229], s[18:19], v[212:213], v[212:213], v[214:215]
	v_rcp_f64_e32 v[230:231], v[228:229]
	v_div_scale_f64 v[232:233], vcc, v[214:215], v[212:213], v[214:215]
	v_fma_f64 v[234:235], -v[228:229], v[230:231], 1.0
	v_fmac_f64_e32 v[230:231], v[230:231], v[234:235]
	v_fma_f64 v[234:235], -v[228:229], v[230:231], 1.0
	v_fmac_f64_e32 v[230:231], v[230:231], v[234:235]
	v_mul_f64 v[234:235], v[232:233], v[230:231]
	v_fma_f64 v[228:229], -v[228:229], v[234:235], v[232:233]
	v_div_fmas_f64 v[228:229], v[228:229], v[230:231], v[234:235]
	v_div_fixup_f64 v[228:229], v[228:229], v[212:213], v[214:215]
	v_fmac_f64_e32 v[212:213], v[214:215], v[228:229]
	v_div_scale_f64 v[214:215], s[18:19], v[212:213], v[212:213], 1.0
	v_rcp_f64_e32 v[230:231], v[214:215]
	s_nop 0
	v_fma_f64 v[232:233], -v[214:215], v[230:231], 1.0
	v_fmac_f64_e32 v[230:231], v[230:231], v[232:233]
	v_fma_f64 v[232:233], -v[214:215], v[230:231], 1.0
	v_fmac_f64_e32 v[230:231], v[230:231], v[232:233]
	v_div_scale_f64 v[232:233], vcc, 1.0, v[212:213], 1.0
	v_mul_f64 v[234:235], v[232:233], v[230:231]
	v_fma_f64 v[214:215], -v[214:215], v[234:235], v[232:233]
	s_nop 1
	v_div_fmas_f64 v[214:215], v[214:215], v[230:231], v[234:235]
	v_div_fixup_f64 v[212:213], v[214:215], v[212:213], 1.0
	v_mul_f64 v[214:215], v[228:229], -v[212:213]
.LBB104_135:
	s_or_b64 exec, exec, s[16:17]
.LBB104_136:
	s_or_b64 exec, exec, s[0:1]
	v_cmp_ne_u32_e32 vcc, v225, v222
	s_and_saveexec_b64 s[0:1], vcc
	s_xor_b64 s[0:1], exec, s[0:1]
	s_cbranch_execz .LBB104_142
; %bb.137:
	v_cmp_eq_u32_e32 vcc, 6, v225
	s_and_saveexec_b64 s[16:17], vcc
	s_cbranch_execz .LBB104_141
; %bb.138:
	v_cmp_ne_u32_e32 vcc, 6, v222
	s_xor_b64 s[18:19], s[14:15], -1
	s_and_b64 s[22:23], s[18:19], vcc
	s_and_saveexec_b64 s[18:19], s[22:23]
	s_cbranch_execz .LBB104_140
; %bb.139:
	v_ashrrev_i32_e32 v223, 31, v222
	v_lshl_add_u64 v[228:229], v[222:223], 2, v[220:221]
	global_load_dword v223, v[228:229], off
	global_load_dword v225, v[220:221], off offset:24
	s_waitcnt vmcnt(1)
	global_store_dword v[220:221], v223, off offset:24
	s_waitcnt vmcnt(1)
	global_store_dword v[228:229], v225, off
.LBB104_140:
	s_or_b64 exec, exec, s[18:19]
	v_mov_b32_e32 v225, v222
	v_mov_b32_e32 v227, v222
.LBB104_141:
	s_or_b64 exec, exec, s[16:17]
.LBB104_142:
	s_andn2_saveexec_b64 s[0:1], s[0:1]
	s_cbranch_execz .LBB104_144
; %bb.143:
	v_mov_b32_e32 v225, 6
	s_waitcnt vmcnt(45)
	ds_write2_b64 v224, v[184:185], v[186:187] offset0:14 offset1:15
	s_waitcnt vmcnt(44)
	ds_write2_b64 v224, v[180:181], v[182:183] offset0:16 offset1:17
	;; [unrolled: 2-line block ×46, first 2 shown]
.LBB104_144:
	s_or_b64 exec, exec, s[0:1]
	v_cmp_lt_i32_e32 vcc, 6, v225
	s_waitcnt lgkmcnt(0)
	s_barrier
	s_and_saveexec_b64 s[0:1], vcc
	s_cbranch_execz .LBB104_146
; %bb.145:
	ds_read2_b64 v[228:231], v224 offset0:14 offset1:15
	v_mul_f64 v[222:223], v[214:215], v[190:191]
	v_mul_f64 v[190:191], v[212:213], v[190:191]
	v_fma_f64 v[222:223], v[212:213], v[188:189], -v[222:223]
	v_fmac_f64_e32 v[190:191], v[214:215], v[188:189]
	ds_read2_b64 v[212:215], v224 offset0:16 offset1:17
	s_waitcnt lgkmcnt(1)
	v_mul_f64 v[188:189], v[230:231], v[190:191]
	v_fma_f64 v[188:189], v[228:229], v[222:223], -v[188:189]
	v_mul_f64 v[228:229], v[228:229], v[190:191]
	v_fmac_f64_e32 v[228:229], v[230:231], v[222:223]
	s_waitcnt vmcnt(45)
	v_add_f64 v[184:185], v[184:185], -v[188:189]
	s_waitcnt lgkmcnt(0)
	v_mul_f64 v[188:189], v[214:215], v[190:191]
	v_add_f64 v[186:187], v[186:187], -v[228:229]
	v_fma_f64 v[188:189], v[212:213], v[222:223], -v[188:189]
	v_mul_f64 v[212:213], v[212:213], v[190:191]
	ds_read2_b64 v[228:231], v224 offset0:18 offset1:19
	v_fmac_f64_e32 v[212:213], v[214:215], v[222:223]
	s_waitcnt vmcnt(44)
	v_add_f64 v[182:183], v[182:183], -v[212:213]
	ds_read2_b64 v[212:215], v224 offset0:20 offset1:21
	v_add_f64 v[180:181], v[180:181], -v[188:189]
	s_waitcnt lgkmcnt(1)
	v_mul_f64 v[188:189], v[230:231], v[190:191]
	v_fma_f64 v[188:189], v[228:229], v[222:223], -v[188:189]
	v_mul_f64 v[228:229], v[228:229], v[190:191]
	v_fmac_f64_e32 v[228:229], v[230:231], v[222:223]
	s_waitcnt vmcnt(43)
	v_add_f64 v[176:177], v[176:177], -v[188:189]
	s_waitcnt lgkmcnt(0)
	v_mul_f64 v[188:189], v[214:215], v[190:191]
	v_add_f64 v[178:179], v[178:179], -v[228:229]
	v_fma_f64 v[188:189], v[212:213], v[222:223], -v[188:189]
	v_mul_f64 v[212:213], v[212:213], v[190:191]
	ds_read2_b64 v[228:231], v224 offset0:22 offset1:23
	v_fmac_f64_e32 v[212:213], v[214:215], v[222:223]
	s_waitcnt vmcnt(42)
	v_add_f64 v[174:175], v[174:175], -v[212:213]
	ds_read2_b64 v[212:215], v224 offset0:24 offset1:25
	v_add_f64 v[172:173], v[172:173], -v[188:189]
	;; [unrolled: 18-line block ×22, first 2 shown]
	s_waitcnt lgkmcnt(1)
	v_mul_f64 v[188:189], v[230:231], v[190:191]
	v_fma_f64 v[188:189], v[228:229], v[222:223], -v[188:189]
	s_waitcnt vmcnt(1)
	v_add_f64 v[0:1], v[0:1], -v[188:189]
	s_waitcnt lgkmcnt(0)
	v_mul_f64 v[188:189], v[214:215], v[190:191]
	v_mul_f64 v[228:229], v[228:229], v[190:191]
	v_fma_f64 v[188:189], v[212:213], v[222:223], -v[188:189]
	v_mul_f64 v[212:213], v[212:213], v[190:191]
	v_fmac_f64_e32 v[228:229], v[230:231], v[222:223]
	v_fmac_f64_e32 v[212:213], v[214:215], v[222:223]
	v_add_f64 v[2:3], v[2:3], -v[228:229]
	s_waitcnt vmcnt(0)
	v_add_f64 v[208:209], v[208:209], -v[188:189]
	v_add_f64 v[210:211], v[210:211], -v[212:213]
	v_mov_b64_e32 v[188:189], v[222:223]
.LBB104_146:
	s_or_b64 exec, exec, s[0:1]
	v_lshl_add_u32 v212, v225, 4, v224
	s_barrier
	s_waitcnt vmcnt(45)
	ds_write2_b64 v212, v[184:185], v[186:187] offset1:1
	s_waitcnt lgkmcnt(0)
	s_barrier
	ds_read2_b64 v[212:215], v224 offset0:14 offset1:15
	s_cmp_lt_i32 s20, 9
	v_mov_b32_e32 v222, 7
	s_cbranch_scc1 .LBB104_149
; %bb.147:
	v_add_u32_e32 v223, 0x80, v224
	s_mov_b32 s16, 8
	v_mov_b32_e32 v222, 7
.LBB104_148:                            ; =>This Inner Loop Header: Depth=1
	ds_read2_b64 v[228:231], v223 offset1:1
	s_waitcnt lgkmcnt(1)
	v_xor_b32_e32 v233, 0x80000000, v213
	v_xor_b32_e32 v235, 0x80000000, v215
	v_cmp_gt_f64_e32 vcc, 0, v[214:215]
	v_cmp_gt_f64_e64 s[0:1], 0, v[212:213]
	v_mov_b32_e32 v232, v212
	v_mov_b32_e32 v234, v214
	v_cndmask_b32_e64 v233, v213, v233, s[0:1]
	v_cndmask_b32_e32 v235, v215, v235, vcc
	v_add_f64 v[232:233], v[232:233], v[234:235]
	s_waitcnt lgkmcnt(0)
	v_xor_b32_e32 v235, 0x80000000, v229
	v_xor_b32_e32 v237, 0x80000000, v231
	v_cmp_gt_f64_e32 vcc, 0, v[230:231]
	v_cmp_gt_f64_e64 s[0:1], 0, v[228:229]
	v_mov_b32_e32 v234, v228
	v_mov_b32_e32 v236, v230
	v_cndmask_b32_e64 v235, v229, v235, s[0:1]
	v_cndmask_b32_e32 v237, v231, v237, vcc
	v_add_f64 v[234:235], v[234:235], v[236:237]
	v_mov_b32_e32 v238, s16
	s_add_i32 s16, s16, 1
	v_cmp_lt_f64_e32 vcc, v[232:233], v[234:235]
	v_add_u32_e32 v223, 16, v223
	s_cmp_lg_u32 s20, s16
	v_cndmask_b32_e32 v213, v213, v229, vcc
	v_cndmask_b32_e32 v212, v212, v228, vcc
	;; [unrolled: 1-line block ×5, first 2 shown]
	s_cbranch_scc1 .LBB104_148
.LBB104_149:
	s_waitcnt lgkmcnt(0)
	v_cmp_eq_f64_e32 vcc, 0, v[212:213]
	v_cmp_eq_f64_e64 s[0:1], 0, v[214:215]
	s_and_b64 s[0:1], vcc, s[0:1]
	s_and_saveexec_b64 s[16:17], s[0:1]
	s_xor_b64 s[0:1], exec, s[16:17]
; %bb.150:
	v_cmp_ne_u32_e32 vcc, 0, v226
	s_nop 1
	v_cndmask_b32_e32 v226, 8, v226, vcc
; %bb.151:
	s_andn2_saveexec_b64 s[0:1], s[0:1]
	s_cbranch_execz .LBB104_157
; %bb.152:
	v_cmp_ngt_f64_e64 s[16:17], |v[212:213]|, |v[214:215]|
	s_and_saveexec_b64 s[18:19], s[16:17]
	s_xor_b64 s[16:17], exec, s[18:19]
	s_cbranch_execz .LBB104_154
; %bb.153:
	v_div_scale_f64 v[228:229], s[18:19], v[214:215], v[214:215], v[212:213]
	v_rcp_f64_e32 v[230:231], v[228:229]
	v_div_scale_f64 v[232:233], vcc, v[212:213], v[214:215], v[212:213]
	v_fma_f64 v[234:235], -v[228:229], v[230:231], 1.0
	v_fmac_f64_e32 v[230:231], v[230:231], v[234:235]
	v_fma_f64 v[234:235], -v[228:229], v[230:231], 1.0
	v_fmac_f64_e32 v[230:231], v[230:231], v[234:235]
	v_mul_f64 v[234:235], v[232:233], v[230:231]
	v_fma_f64 v[228:229], -v[228:229], v[234:235], v[232:233]
	v_div_fmas_f64 v[228:229], v[228:229], v[230:231], v[234:235]
	v_div_fixup_f64 v[228:229], v[228:229], v[214:215], v[212:213]
	v_fmac_f64_e32 v[214:215], v[212:213], v[228:229]
	v_div_scale_f64 v[212:213], s[18:19], v[214:215], v[214:215], 1.0
	v_rcp_f64_e32 v[230:231], v[212:213]
	s_nop 0
	v_fma_f64 v[232:233], -v[212:213], v[230:231], 1.0
	v_fmac_f64_e32 v[230:231], v[230:231], v[232:233]
	v_fma_f64 v[232:233], -v[212:213], v[230:231], 1.0
	v_fmac_f64_e32 v[230:231], v[230:231], v[232:233]
	v_div_scale_f64 v[232:233], vcc, 1.0, v[214:215], 1.0
	v_mul_f64 v[234:235], v[232:233], v[230:231]
	v_fma_f64 v[212:213], -v[212:213], v[234:235], v[232:233]
	s_nop 1
	v_div_fmas_f64 v[212:213], v[212:213], v[230:231], v[234:235]
	v_div_fixup_f64 v[214:215], v[212:213], v[214:215], 1.0
	v_mul_f64 v[212:213], v[228:229], v[214:215]
	v_xor_b32_e32 v215, 0x80000000, v215
.LBB104_154:
	s_andn2_saveexec_b64 s[16:17], s[16:17]
	s_cbranch_execz .LBB104_156
; %bb.155:
	v_div_scale_f64 v[228:229], s[18:19], v[212:213], v[212:213], v[214:215]
	v_rcp_f64_e32 v[230:231], v[228:229]
	v_div_scale_f64 v[232:233], vcc, v[214:215], v[212:213], v[214:215]
	v_fma_f64 v[234:235], -v[228:229], v[230:231], 1.0
	v_fmac_f64_e32 v[230:231], v[230:231], v[234:235]
	v_fma_f64 v[234:235], -v[228:229], v[230:231], 1.0
	v_fmac_f64_e32 v[230:231], v[230:231], v[234:235]
	v_mul_f64 v[234:235], v[232:233], v[230:231]
	v_fma_f64 v[228:229], -v[228:229], v[234:235], v[232:233]
	v_div_fmas_f64 v[228:229], v[228:229], v[230:231], v[234:235]
	v_div_fixup_f64 v[228:229], v[228:229], v[212:213], v[214:215]
	v_fmac_f64_e32 v[212:213], v[214:215], v[228:229]
	v_div_scale_f64 v[214:215], s[18:19], v[212:213], v[212:213], 1.0
	v_rcp_f64_e32 v[230:231], v[214:215]
	s_nop 0
	v_fma_f64 v[232:233], -v[214:215], v[230:231], 1.0
	v_fmac_f64_e32 v[230:231], v[230:231], v[232:233]
	v_fma_f64 v[232:233], -v[214:215], v[230:231], 1.0
	v_fmac_f64_e32 v[230:231], v[230:231], v[232:233]
	v_div_scale_f64 v[232:233], vcc, 1.0, v[212:213], 1.0
	v_mul_f64 v[234:235], v[232:233], v[230:231]
	v_fma_f64 v[214:215], -v[214:215], v[234:235], v[232:233]
	s_nop 1
	v_div_fmas_f64 v[214:215], v[214:215], v[230:231], v[234:235]
	v_div_fixup_f64 v[212:213], v[214:215], v[212:213], 1.0
	v_mul_f64 v[214:215], v[228:229], -v[212:213]
.LBB104_156:
	s_or_b64 exec, exec, s[16:17]
.LBB104_157:
	s_or_b64 exec, exec, s[0:1]
	v_cmp_ne_u32_e32 vcc, v225, v222
	s_and_saveexec_b64 s[0:1], vcc
	s_xor_b64 s[0:1], exec, s[0:1]
	s_cbranch_execz .LBB104_163
; %bb.158:
	v_cmp_eq_u32_e32 vcc, 7, v225
	s_and_saveexec_b64 s[16:17], vcc
	s_cbranch_execz .LBB104_162
; %bb.159:
	v_cmp_ne_u32_e32 vcc, 7, v222
	s_xor_b64 s[18:19], s[14:15], -1
	s_and_b64 s[22:23], s[18:19], vcc
	s_and_saveexec_b64 s[18:19], s[22:23]
	s_cbranch_execz .LBB104_161
; %bb.160:
	v_ashrrev_i32_e32 v223, 31, v222
	v_lshl_add_u64 v[228:229], v[222:223], 2, v[220:221]
	global_load_dword v223, v[228:229], off
	global_load_dword v225, v[220:221], off offset:28
	s_waitcnt vmcnt(1)
	global_store_dword v[220:221], v223, off offset:28
	s_waitcnt vmcnt(1)
	global_store_dword v[228:229], v225, off
.LBB104_161:
	s_or_b64 exec, exec, s[18:19]
	v_mov_b32_e32 v225, v222
	v_mov_b32_e32 v227, v222
.LBB104_162:
	s_or_b64 exec, exec, s[16:17]
.LBB104_163:
	s_andn2_saveexec_b64 s[0:1], s[0:1]
	s_cbranch_execz .LBB104_165
; %bb.164:
	v_mov_b32_e32 v225, 7
	s_waitcnt vmcnt(44)
	ds_write2_b64 v224, v[180:181], v[182:183] offset0:16 offset1:17
	s_waitcnt vmcnt(43)
	ds_write2_b64 v224, v[176:177], v[178:179] offset0:18 offset1:19
	;; [unrolled: 2-line block ×45, first 2 shown]
.LBB104_165:
	s_or_b64 exec, exec, s[0:1]
	v_cmp_lt_i32_e32 vcc, 7, v225
	s_waitcnt lgkmcnt(0)
	s_barrier
	s_and_saveexec_b64 s[0:1], vcc
	s_cbranch_execz .LBB104_167
; %bb.166:
	ds_read2_b64 v[228:231], v224 offset0:16 offset1:17
	v_mul_f64 v[222:223], v[214:215], v[186:187]
	v_mul_f64 v[186:187], v[212:213], v[186:187]
	v_fmac_f64_e32 v[186:187], v[214:215], v[184:185]
	v_fma_f64 v[222:223], v[212:213], v[184:185], -v[222:223]
	ds_read2_b64 v[212:215], v224 offset0:18 offset1:19
	s_waitcnt lgkmcnt(1)
	v_mul_f64 v[184:185], v[230:231], v[186:187]
	v_fma_f64 v[184:185], v[228:229], v[222:223], -v[184:185]
	v_mul_f64 v[228:229], v[228:229], v[186:187]
	v_fmac_f64_e32 v[228:229], v[230:231], v[222:223]
	s_waitcnt vmcnt(44)
	v_add_f64 v[182:183], v[182:183], -v[228:229]
	ds_read2_b64 v[228:231], v224 offset0:20 offset1:21
	v_add_f64 v[180:181], v[180:181], -v[184:185]
	s_waitcnt lgkmcnt(1)
	v_mul_f64 v[184:185], v[214:215], v[186:187]
	v_fma_f64 v[184:185], v[212:213], v[222:223], -v[184:185]
	v_mul_f64 v[212:213], v[212:213], v[186:187]
	v_fmac_f64_e32 v[212:213], v[214:215], v[222:223]
	s_waitcnt vmcnt(43)
	v_add_f64 v[176:177], v[176:177], -v[184:185]
	v_add_f64 v[178:179], v[178:179], -v[212:213]
	ds_read2_b64 v[212:215], v224 offset0:22 offset1:23
	s_waitcnt lgkmcnt(1)
	v_mul_f64 v[184:185], v[230:231], v[186:187]
	v_fma_f64 v[184:185], v[228:229], v[222:223], -v[184:185]
	v_mul_f64 v[228:229], v[228:229], v[186:187]
	v_fmac_f64_e32 v[228:229], v[230:231], v[222:223]
	s_waitcnt vmcnt(42)
	v_add_f64 v[174:175], v[174:175], -v[228:229]
	ds_read2_b64 v[228:231], v224 offset0:24 offset1:25
	v_add_f64 v[172:173], v[172:173], -v[184:185]
	s_waitcnt lgkmcnt(1)
	v_mul_f64 v[184:185], v[214:215], v[186:187]
	v_fma_f64 v[184:185], v[212:213], v[222:223], -v[184:185]
	v_mul_f64 v[212:213], v[212:213], v[186:187]
	v_fmac_f64_e32 v[212:213], v[214:215], v[222:223]
	s_waitcnt vmcnt(41)
	v_add_f64 v[168:169], v[168:169], -v[184:185]
	v_add_f64 v[170:171], v[170:171], -v[212:213]
	;; [unrolled: 18-line block ×22, first 2 shown]
	s_waitcnt lgkmcnt(0)
	v_mul_f64 v[184:185], v[230:231], v[186:187]
	v_mul_f64 v[212:213], v[228:229], v[186:187]
	v_fma_f64 v[184:185], v[228:229], v[222:223], -v[184:185]
	v_fmac_f64_e32 v[212:213], v[230:231], v[222:223]
	s_waitcnt vmcnt(0)
	v_add_f64 v[208:209], v[208:209], -v[184:185]
	v_add_f64 v[210:211], v[210:211], -v[212:213]
	v_mov_b64_e32 v[184:185], v[222:223]
.LBB104_167:
	s_or_b64 exec, exec, s[0:1]
	v_lshl_add_u32 v212, v225, 4, v224
	s_barrier
	s_waitcnt vmcnt(44)
	ds_write2_b64 v212, v[180:181], v[182:183] offset1:1
	s_waitcnt lgkmcnt(0)
	s_barrier
	ds_read2_b64 v[212:215], v224 offset0:16 offset1:17
	s_cmp_lt_i32 s20, 10
	v_mov_b32_e32 v222, 8
	s_cbranch_scc1 .LBB104_170
; %bb.168:
	v_add_u32_e32 v223, 0x90, v224
	s_mov_b32 s16, 9
	v_mov_b32_e32 v222, 8
.LBB104_169:                            ; =>This Inner Loop Header: Depth=1
	ds_read2_b64 v[228:231], v223 offset1:1
	s_waitcnt lgkmcnt(1)
	v_xor_b32_e32 v233, 0x80000000, v213
	v_xor_b32_e32 v235, 0x80000000, v215
	v_cmp_gt_f64_e32 vcc, 0, v[214:215]
	v_cmp_gt_f64_e64 s[0:1], 0, v[212:213]
	v_mov_b32_e32 v232, v212
	v_mov_b32_e32 v234, v214
	v_cndmask_b32_e64 v233, v213, v233, s[0:1]
	v_cndmask_b32_e32 v235, v215, v235, vcc
	v_add_f64 v[232:233], v[232:233], v[234:235]
	s_waitcnt lgkmcnt(0)
	v_xor_b32_e32 v235, 0x80000000, v229
	v_xor_b32_e32 v237, 0x80000000, v231
	v_cmp_gt_f64_e32 vcc, 0, v[230:231]
	v_cmp_gt_f64_e64 s[0:1], 0, v[228:229]
	v_mov_b32_e32 v234, v228
	v_mov_b32_e32 v236, v230
	v_cndmask_b32_e64 v235, v229, v235, s[0:1]
	v_cndmask_b32_e32 v237, v231, v237, vcc
	v_add_f64 v[234:235], v[234:235], v[236:237]
	v_mov_b32_e32 v238, s16
	s_add_i32 s16, s16, 1
	v_cmp_lt_f64_e32 vcc, v[232:233], v[234:235]
	v_add_u32_e32 v223, 16, v223
	s_cmp_lg_u32 s20, s16
	v_cndmask_b32_e32 v213, v213, v229, vcc
	v_cndmask_b32_e32 v212, v212, v228, vcc
	;; [unrolled: 1-line block ×5, first 2 shown]
	s_cbranch_scc1 .LBB104_169
.LBB104_170:
	s_waitcnt lgkmcnt(0)
	v_cmp_eq_f64_e32 vcc, 0, v[212:213]
	v_cmp_eq_f64_e64 s[0:1], 0, v[214:215]
	s_and_b64 s[0:1], vcc, s[0:1]
	s_and_saveexec_b64 s[16:17], s[0:1]
	s_xor_b64 s[0:1], exec, s[16:17]
; %bb.171:
	v_cmp_ne_u32_e32 vcc, 0, v226
	s_nop 1
	v_cndmask_b32_e32 v226, 9, v226, vcc
; %bb.172:
	s_andn2_saveexec_b64 s[0:1], s[0:1]
	s_cbranch_execz .LBB104_178
; %bb.173:
	v_cmp_ngt_f64_e64 s[16:17], |v[212:213]|, |v[214:215]|
	s_and_saveexec_b64 s[18:19], s[16:17]
	s_xor_b64 s[16:17], exec, s[18:19]
	s_cbranch_execz .LBB104_175
; %bb.174:
	v_div_scale_f64 v[228:229], s[18:19], v[214:215], v[214:215], v[212:213]
	v_rcp_f64_e32 v[230:231], v[228:229]
	v_div_scale_f64 v[232:233], vcc, v[212:213], v[214:215], v[212:213]
	v_fma_f64 v[234:235], -v[228:229], v[230:231], 1.0
	v_fmac_f64_e32 v[230:231], v[230:231], v[234:235]
	v_fma_f64 v[234:235], -v[228:229], v[230:231], 1.0
	v_fmac_f64_e32 v[230:231], v[230:231], v[234:235]
	v_mul_f64 v[234:235], v[232:233], v[230:231]
	v_fma_f64 v[228:229], -v[228:229], v[234:235], v[232:233]
	v_div_fmas_f64 v[228:229], v[228:229], v[230:231], v[234:235]
	v_div_fixup_f64 v[228:229], v[228:229], v[214:215], v[212:213]
	v_fmac_f64_e32 v[214:215], v[212:213], v[228:229]
	v_div_scale_f64 v[212:213], s[18:19], v[214:215], v[214:215], 1.0
	v_rcp_f64_e32 v[230:231], v[212:213]
	s_nop 0
	v_fma_f64 v[232:233], -v[212:213], v[230:231], 1.0
	v_fmac_f64_e32 v[230:231], v[230:231], v[232:233]
	v_fma_f64 v[232:233], -v[212:213], v[230:231], 1.0
	v_fmac_f64_e32 v[230:231], v[230:231], v[232:233]
	v_div_scale_f64 v[232:233], vcc, 1.0, v[214:215], 1.0
	v_mul_f64 v[234:235], v[232:233], v[230:231]
	v_fma_f64 v[212:213], -v[212:213], v[234:235], v[232:233]
	s_nop 1
	v_div_fmas_f64 v[212:213], v[212:213], v[230:231], v[234:235]
	v_div_fixup_f64 v[214:215], v[212:213], v[214:215], 1.0
	v_mul_f64 v[212:213], v[228:229], v[214:215]
	v_xor_b32_e32 v215, 0x80000000, v215
.LBB104_175:
	s_andn2_saveexec_b64 s[16:17], s[16:17]
	s_cbranch_execz .LBB104_177
; %bb.176:
	v_div_scale_f64 v[228:229], s[18:19], v[212:213], v[212:213], v[214:215]
	v_rcp_f64_e32 v[230:231], v[228:229]
	v_div_scale_f64 v[232:233], vcc, v[214:215], v[212:213], v[214:215]
	v_fma_f64 v[234:235], -v[228:229], v[230:231], 1.0
	v_fmac_f64_e32 v[230:231], v[230:231], v[234:235]
	v_fma_f64 v[234:235], -v[228:229], v[230:231], 1.0
	v_fmac_f64_e32 v[230:231], v[230:231], v[234:235]
	v_mul_f64 v[234:235], v[232:233], v[230:231]
	v_fma_f64 v[228:229], -v[228:229], v[234:235], v[232:233]
	v_div_fmas_f64 v[228:229], v[228:229], v[230:231], v[234:235]
	v_div_fixup_f64 v[228:229], v[228:229], v[212:213], v[214:215]
	v_fmac_f64_e32 v[212:213], v[214:215], v[228:229]
	v_div_scale_f64 v[214:215], s[18:19], v[212:213], v[212:213], 1.0
	v_rcp_f64_e32 v[230:231], v[214:215]
	s_nop 0
	v_fma_f64 v[232:233], -v[214:215], v[230:231], 1.0
	v_fmac_f64_e32 v[230:231], v[230:231], v[232:233]
	v_fma_f64 v[232:233], -v[214:215], v[230:231], 1.0
	v_fmac_f64_e32 v[230:231], v[230:231], v[232:233]
	v_div_scale_f64 v[232:233], vcc, 1.0, v[212:213], 1.0
	v_mul_f64 v[234:235], v[232:233], v[230:231]
	v_fma_f64 v[214:215], -v[214:215], v[234:235], v[232:233]
	s_nop 1
	v_div_fmas_f64 v[214:215], v[214:215], v[230:231], v[234:235]
	v_div_fixup_f64 v[212:213], v[214:215], v[212:213], 1.0
	v_mul_f64 v[214:215], v[228:229], -v[212:213]
.LBB104_177:
	s_or_b64 exec, exec, s[16:17]
.LBB104_178:
	s_or_b64 exec, exec, s[0:1]
	v_cmp_ne_u32_e32 vcc, v225, v222
	s_and_saveexec_b64 s[0:1], vcc
	s_xor_b64 s[0:1], exec, s[0:1]
	s_cbranch_execz .LBB104_184
; %bb.179:
	v_cmp_eq_u32_e32 vcc, 8, v225
	s_and_saveexec_b64 s[16:17], vcc
	s_cbranch_execz .LBB104_183
; %bb.180:
	v_cmp_ne_u32_e32 vcc, 8, v222
	s_xor_b64 s[18:19], s[14:15], -1
	s_and_b64 s[22:23], s[18:19], vcc
	s_and_saveexec_b64 s[18:19], s[22:23]
	s_cbranch_execz .LBB104_182
; %bb.181:
	v_ashrrev_i32_e32 v223, 31, v222
	v_lshl_add_u64 v[228:229], v[222:223], 2, v[220:221]
	global_load_dword v223, v[228:229], off
	global_load_dword v225, v[220:221], off offset:32
	s_waitcnt vmcnt(1)
	global_store_dword v[220:221], v223, off offset:32
	s_waitcnt vmcnt(1)
	global_store_dword v[228:229], v225, off
.LBB104_182:
	s_or_b64 exec, exec, s[18:19]
	v_mov_b32_e32 v225, v222
	v_mov_b32_e32 v227, v222
.LBB104_183:
	s_or_b64 exec, exec, s[16:17]
.LBB104_184:
	s_andn2_saveexec_b64 s[0:1], s[0:1]
	s_cbranch_execz .LBB104_186
; %bb.185:
	v_mov_b32_e32 v225, 8
	s_waitcnt vmcnt(43)
	ds_write2_b64 v224, v[176:177], v[178:179] offset0:18 offset1:19
	s_waitcnt vmcnt(42)
	ds_write2_b64 v224, v[172:173], v[174:175] offset0:20 offset1:21
	;; [unrolled: 2-line block ×44, first 2 shown]
.LBB104_186:
	s_or_b64 exec, exec, s[0:1]
	v_cmp_lt_i32_e32 vcc, 8, v225
	s_waitcnt lgkmcnt(0)
	s_barrier
	s_and_saveexec_b64 s[0:1], vcc
	s_cbranch_execz .LBB104_188
; %bb.187:
	ds_read2_b64 v[228:231], v224 offset0:18 offset1:19
	v_mul_f64 v[222:223], v[214:215], v[182:183]
	v_mul_f64 v[182:183], v[212:213], v[182:183]
	v_fma_f64 v[222:223], v[212:213], v[180:181], -v[222:223]
	v_fmac_f64_e32 v[182:183], v[214:215], v[180:181]
	ds_read2_b64 v[212:215], v224 offset0:20 offset1:21
	s_waitcnt lgkmcnt(1)
	v_mul_f64 v[180:181], v[230:231], v[182:183]
	v_fma_f64 v[180:181], v[228:229], v[222:223], -v[180:181]
	v_mul_f64 v[228:229], v[228:229], v[182:183]
	v_fmac_f64_e32 v[228:229], v[230:231], v[222:223]
	s_waitcnt vmcnt(43)
	v_add_f64 v[176:177], v[176:177], -v[180:181]
	s_waitcnt lgkmcnt(0)
	v_mul_f64 v[180:181], v[214:215], v[182:183]
	v_add_f64 v[178:179], v[178:179], -v[228:229]
	v_fma_f64 v[180:181], v[212:213], v[222:223], -v[180:181]
	v_mul_f64 v[212:213], v[212:213], v[182:183]
	ds_read2_b64 v[228:231], v224 offset0:22 offset1:23
	v_fmac_f64_e32 v[212:213], v[214:215], v[222:223]
	s_waitcnt vmcnt(42)
	v_add_f64 v[174:175], v[174:175], -v[212:213]
	ds_read2_b64 v[212:215], v224 offset0:24 offset1:25
	v_add_f64 v[172:173], v[172:173], -v[180:181]
	s_waitcnt lgkmcnt(1)
	v_mul_f64 v[180:181], v[230:231], v[182:183]
	v_fma_f64 v[180:181], v[228:229], v[222:223], -v[180:181]
	v_mul_f64 v[228:229], v[228:229], v[182:183]
	v_fmac_f64_e32 v[228:229], v[230:231], v[222:223]
	s_waitcnt vmcnt(41)
	v_add_f64 v[168:169], v[168:169], -v[180:181]
	s_waitcnt lgkmcnt(0)
	v_mul_f64 v[180:181], v[214:215], v[182:183]
	v_add_f64 v[170:171], v[170:171], -v[228:229]
	v_fma_f64 v[180:181], v[212:213], v[222:223], -v[180:181]
	v_mul_f64 v[212:213], v[212:213], v[182:183]
	ds_read2_b64 v[228:231], v224 offset0:26 offset1:27
	v_fmac_f64_e32 v[212:213], v[214:215], v[222:223]
	s_waitcnt vmcnt(40)
	v_add_f64 v[166:167], v[166:167], -v[212:213]
	ds_read2_b64 v[212:215], v224 offset0:28 offset1:29
	v_add_f64 v[164:165], v[164:165], -v[180:181]
	;; [unrolled: 18-line block ×21, first 2 shown]
	s_waitcnt lgkmcnt(1)
	v_mul_f64 v[180:181], v[230:231], v[182:183]
	v_fma_f64 v[180:181], v[228:229], v[222:223], -v[180:181]
	s_waitcnt vmcnt(1)
	v_add_f64 v[0:1], v[0:1], -v[180:181]
	s_waitcnt lgkmcnt(0)
	v_mul_f64 v[180:181], v[214:215], v[182:183]
	v_mul_f64 v[228:229], v[228:229], v[182:183]
	v_fma_f64 v[180:181], v[212:213], v[222:223], -v[180:181]
	v_mul_f64 v[212:213], v[212:213], v[182:183]
	v_fmac_f64_e32 v[228:229], v[230:231], v[222:223]
	v_fmac_f64_e32 v[212:213], v[214:215], v[222:223]
	v_add_f64 v[2:3], v[2:3], -v[228:229]
	s_waitcnt vmcnt(0)
	v_add_f64 v[208:209], v[208:209], -v[180:181]
	v_add_f64 v[210:211], v[210:211], -v[212:213]
	v_mov_b64_e32 v[180:181], v[222:223]
.LBB104_188:
	s_or_b64 exec, exec, s[0:1]
	v_lshl_add_u32 v212, v225, 4, v224
	s_barrier
	s_waitcnt vmcnt(43)
	ds_write2_b64 v212, v[176:177], v[178:179] offset1:1
	s_waitcnt lgkmcnt(0)
	s_barrier
	ds_read2_b64 v[212:215], v224 offset0:18 offset1:19
	s_cmp_lt_i32 s20, 11
	v_mov_b32_e32 v222, 9
	s_cbranch_scc1 .LBB104_191
; %bb.189:
	v_add_u32_e32 v223, 0xa0, v224
	s_mov_b32 s16, 10
	v_mov_b32_e32 v222, 9
.LBB104_190:                            ; =>This Inner Loop Header: Depth=1
	ds_read2_b64 v[228:231], v223 offset1:1
	s_waitcnt lgkmcnt(1)
	v_xor_b32_e32 v233, 0x80000000, v213
	v_xor_b32_e32 v235, 0x80000000, v215
	v_cmp_gt_f64_e32 vcc, 0, v[214:215]
	v_cmp_gt_f64_e64 s[0:1], 0, v[212:213]
	v_mov_b32_e32 v232, v212
	v_mov_b32_e32 v234, v214
	v_cndmask_b32_e64 v233, v213, v233, s[0:1]
	v_cndmask_b32_e32 v235, v215, v235, vcc
	v_add_f64 v[232:233], v[232:233], v[234:235]
	s_waitcnt lgkmcnt(0)
	v_xor_b32_e32 v235, 0x80000000, v229
	v_xor_b32_e32 v237, 0x80000000, v231
	v_cmp_gt_f64_e32 vcc, 0, v[230:231]
	v_cmp_gt_f64_e64 s[0:1], 0, v[228:229]
	v_mov_b32_e32 v234, v228
	v_mov_b32_e32 v236, v230
	v_cndmask_b32_e64 v235, v229, v235, s[0:1]
	v_cndmask_b32_e32 v237, v231, v237, vcc
	v_add_f64 v[234:235], v[234:235], v[236:237]
	v_mov_b32_e32 v238, s16
	s_add_i32 s16, s16, 1
	v_cmp_lt_f64_e32 vcc, v[232:233], v[234:235]
	v_add_u32_e32 v223, 16, v223
	s_cmp_lg_u32 s20, s16
	v_cndmask_b32_e32 v213, v213, v229, vcc
	v_cndmask_b32_e32 v212, v212, v228, vcc
	;; [unrolled: 1-line block ×5, first 2 shown]
	s_cbranch_scc1 .LBB104_190
.LBB104_191:
	s_waitcnt lgkmcnt(0)
	v_cmp_eq_f64_e32 vcc, 0, v[212:213]
	v_cmp_eq_f64_e64 s[0:1], 0, v[214:215]
	s_and_b64 s[0:1], vcc, s[0:1]
	s_and_saveexec_b64 s[16:17], s[0:1]
	s_xor_b64 s[0:1], exec, s[16:17]
; %bb.192:
	v_cmp_ne_u32_e32 vcc, 0, v226
	s_nop 1
	v_cndmask_b32_e32 v226, 10, v226, vcc
; %bb.193:
	s_andn2_saveexec_b64 s[0:1], s[0:1]
	s_cbranch_execz .LBB104_199
; %bb.194:
	v_cmp_ngt_f64_e64 s[16:17], |v[212:213]|, |v[214:215]|
	s_and_saveexec_b64 s[18:19], s[16:17]
	s_xor_b64 s[16:17], exec, s[18:19]
	s_cbranch_execz .LBB104_196
; %bb.195:
	v_div_scale_f64 v[228:229], s[18:19], v[214:215], v[214:215], v[212:213]
	v_rcp_f64_e32 v[230:231], v[228:229]
	v_div_scale_f64 v[232:233], vcc, v[212:213], v[214:215], v[212:213]
	v_fma_f64 v[234:235], -v[228:229], v[230:231], 1.0
	v_fmac_f64_e32 v[230:231], v[230:231], v[234:235]
	v_fma_f64 v[234:235], -v[228:229], v[230:231], 1.0
	v_fmac_f64_e32 v[230:231], v[230:231], v[234:235]
	v_mul_f64 v[234:235], v[232:233], v[230:231]
	v_fma_f64 v[228:229], -v[228:229], v[234:235], v[232:233]
	v_div_fmas_f64 v[228:229], v[228:229], v[230:231], v[234:235]
	v_div_fixup_f64 v[228:229], v[228:229], v[214:215], v[212:213]
	v_fmac_f64_e32 v[214:215], v[212:213], v[228:229]
	v_div_scale_f64 v[212:213], s[18:19], v[214:215], v[214:215], 1.0
	v_rcp_f64_e32 v[230:231], v[212:213]
	s_nop 0
	v_fma_f64 v[232:233], -v[212:213], v[230:231], 1.0
	v_fmac_f64_e32 v[230:231], v[230:231], v[232:233]
	v_fma_f64 v[232:233], -v[212:213], v[230:231], 1.0
	v_fmac_f64_e32 v[230:231], v[230:231], v[232:233]
	v_div_scale_f64 v[232:233], vcc, 1.0, v[214:215], 1.0
	v_mul_f64 v[234:235], v[232:233], v[230:231]
	v_fma_f64 v[212:213], -v[212:213], v[234:235], v[232:233]
	s_nop 1
	v_div_fmas_f64 v[212:213], v[212:213], v[230:231], v[234:235]
	v_div_fixup_f64 v[214:215], v[212:213], v[214:215], 1.0
	v_mul_f64 v[212:213], v[228:229], v[214:215]
	v_xor_b32_e32 v215, 0x80000000, v215
.LBB104_196:
	s_andn2_saveexec_b64 s[16:17], s[16:17]
	s_cbranch_execz .LBB104_198
; %bb.197:
	v_div_scale_f64 v[228:229], s[18:19], v[212:213], v[212:213], v[214:215]
	v_rcp_f64_e32 v[230:231], v[228:229]
	v_div_scale_f64 v[232:233], vcc, v[214:215], v[212:213], v[214:215]
	v_fma_f64 v[234:235], -v[228:229], v[230:231], 1.0
	v_fmac_f64_e32 v[230:231], v[230:231], v[234:235]
	v_fma_f64 v[234:235], -v[228:229], v[230:231], 1.0
	v_fmac_f64_e32 v[230:231], v[230:231], v[234:235]
	v_mul_f64 v[234:235], v[232:233], v[230:231]
	v_fma_f64 v[228:229], -v[228:229], v[234:235], v[232:233]
	v_div_fmas_f64 v[228:229], v[228:229], v[230:231], v[234:235]
	v_div_fixup_f64 v[228:229], v[228:229], v[212:213], v[214:215]
	v_fmac_f64_e32 v[212:213], v[214:215], v[228:229]
	v_div_scale_f64 v[214:215], s[18:19], v[212:213], v[212:213], 1.0
	v_rcp_f64_e32 v[230:231], v[214:215]
	s_nop 0
	v_fma_f64 v[232:233], -v[214:215], v[230:231], 1.0
	v_fmac_f64_e32 v[230:231], v[230:231], v[232:233]
	v_fma_f64 v[232:233], -v[214:215], v[230:231], 1.0
	v_fmac_f64_e32 v[230:231], v[230:231], v[232:233]
	v_div_scale_f64 v[232:233], vcc, 1.0, v[212:213], 1.0
	v_mul_f64 v[234:235], v[232:233], v[230:231]
	v_fma_f64 v[214:215], -v[214:215], v[234:235], v[232:233]
	s_nop 1
	v_div_fmas_f64 v[214:215], v[214:215], v[230:231], v[234:235]
	v_div_fixup_f64 v[212:213], v[214:215], v[212:213], 1.0
	v_mul_f64 v[214:215], v[228:229], -v[212:213]
.LBB104_198:
	s_or_b64 exec, exec, s[16:17]
.LBB104_199:
	s_or_b64 exec, exec, s[0:1]
	v_cmp_ne_u32_e32 vcc, v225, v222
	s_and_saveexec_b64 s[0:1], vcc
	s_xor_b64 s[0:1], exec, s[0:1]
	s_cbranch_execz .LBB104_205
; %bb.200:
	v_cmp_eq_u32_e32 vcc, 9, v225
	s_and_saveexec_b64 s[16:17], vcc
	s_cbranch_execz .LBB104_204
; %bb.201:
	v_cmp_ne_u32_e32 vcc, 9, v222
	s_xor_b64 s[18:19], s[14:15], -1
	s_and_b64 s[22:23], s[18:19], vcc
	s_and_saveexec_b64 s[18:19], s[22:23]
	s_cbranch_execz .LBB104_203
; %bb.202:
	v_ashrrev_i32_e32 v223, 31, v222
	v_lshl_add_u64 v[228:229], v[222:223], 2, v[220:221]
	global_load_dword v223, v[228:229], off
	global_load_dword v225, v[220:221], off offset:36
	s_waitcnt vmcnt(1)
	global_store_dword v[220:221], v223, off offset:36
	s_waitcnt vmcnt(1)
	global_store_dword v[228:229], v225, off
.LBB104_203:
	s_or_b64 exec, exec, s[18:19]
	v_mov_b32_e32 v225, v222
	v_mov_b32_e32 v227, v222
.LBB104_204:
	s_or_b64 exec, exec, s[16:17]
.LBB104_205:
	s_andn2_saveexec_b64 s[0:1], s[0:1]
	s_cbranch_execz .LBB104_207
; %bb.206:
	v_mov_b32_e32 v225, 9
	s_waitcnt vmcnt(42)
	ds_write2_b64 v224, v[172:173], v[174:175] offset0:20 offset1:21
	s_waitcnt vmcnt(41)
	ds_write2_b64 v224, v[168:169], v[170:171] offset0:22 offset1:23
	;; [unrolled: 2-line block ×43, first 2 shown]
.LBB104_207:
	s_or_b64 exec, exec, s[0:1]
	v_cmp_lt_i32_e32 vcc, 9, v225
	s_waitcnt lgkmcnt(0)
	s_barrier
	s_and_saveexec_b64 s[0:1], vcc
	s_cbranch_execz .LBB104_209
; %bb.208:
	ds_read2_b64 v[228:231], v224 offset0:20 offset1:21
	v_mul_f64 v[222:223], v[214:215], v[178:179]
	v_mul_f64 v[178:179], v[212:213], v[178:179]
	v_fmac_f64_e32 v[178:179], v[214:215], v[176:177]
	v_fma_f64 v[222:223], v[212:213], v[176:177], -v[222:223]
	ds_read2_b64 v[212:215], v224 offset0:22 offset1:23
	s_waitcnt lgkmcnt(1)
	v_mul_f64 v[176:177], v[230:231], v[178:179]
	v_fma_f64 v[176:177], v[228:229], v[222:223], -v[176:177]
	v_mul_f64 v[228:229], v[228:229], v[178:179]
	v_fmac_f64_e32 v[228:229], v[230:231], v[222:223]
	s_waitcnt vmcnt(42)
	v_add_f64 v[174:175], v[174:175], -v[228:229]
	ds_read2_b64 v[228:231], v224 offset0:24 offset1:25
	v_add_f64 v[172:173], v[172:173], -v[176:177]
	s_waitcnt lgkmcnt(1)
	v_mul_f64 v[176:177], v[214:215], v[178:179]
	v_fma_f64 v[176:177], v[212:213], v[222:223], -v[176:177]
	v_mul_f64 v[212:213], v[212:213], v[178:179]
	v_fmac_f64_e32 v[212:213], v[214:215], v[222:223]
	s_waitcnt vmcnt(41)
	v_add_f64 v[168:169], v[168:169], -v[176:177]
	v_add_f64 v[170:171], v[170:171], -v[212:213]
	ds_read2_b64 v[212:215], v224 offset0:26 offset1:27
	s_waitcnt lgkmcnt(1)
	v_mul_f64 v[176:177], v[230:231], v[178:179]
	v_fma_f64 v[176:177], v[228:229], v[222:223], -v[176:177]
	v_mul_f64 v[228:229], v[228:229], v[178:179]
	v_fmac_f64_e32 v[228:229], v[230:231], v[222:223]
	s_waitcnt vmcnt(40)
	v_add_f64 v[166:167], v[166:167], -v[228:229]
	ds_read2_b64 v[228:231], v224 offset0:28 offset1:29
	v_add_f64 v[164:165], v[164:165], -v[176:177]
	s_waitcnt lgkmcnt(1)
	v_mul_f64 v[176:177], v[214:215], v[178:179]
	v_fma_f64 v[176:177], v[212:213], v[222:223], -v[176:177]
	v_mul_f64 v[212:213], v[212:213], v[178:179]
	v_fmac_f64_e32 v[212:213], v[214:215], v[222:223]
	s_waitcnt vmcnt(39)
	v_add_f64 v[160:161], v[160:161], -v[176:177]
	v_add_f64 v[162:163], v[162:163], -v[212:213]
	;; [unrolled: 18-line block ×21, first 2 shown]
	s_waitcnt lgkmcnt(0)
	v_mul_f64 v[176:177], v[230:231], v[178:179]
	v_mul_f64 v[212:213], v[228:229], v[178:179]
	v_fma_f64 v[176:177], v[228:229], v[222:223], -v[176:177]
	v_fmac_f64_e32 v[212:213], v[230:231], v[222:223]
	s_waitcnt vmcnt(0)
	v_add_f64 v[208:209], v[208:209], -v[176:177]
	v_add_f64 v[210:211], v[210:211], -v[212:213]
	v_mov_b64_e32 v[176:177], v[222:223]
.LBB104_209:
	s_or_b64 exec, exec, s[0:1]
	v_lshl_add_u32 v212, v225, 4, v224
	s_barrier
	s_waitcnt vmcnt(42)
	ds_write2_b64 v212, v[172:173], v[174:175] offset1:1
	s_waitcnt lgkmcnt(0)
	s_barrier
	ds_read2_b64 v[212:215], v224 offset0:20 offset1:21
	s_cmp_lt_i32 s20, 12
	v_mov_b32_e32 v222, 10
	s_cbranch_scc1 .LBB104_212
; %bb.210:
	v_add_u32_e32 v223, 0xb0, v224
	s_mov_b32 s16, 11
	v_mov_b32_e32 v222, 10
.LBB104_211:                            ; =>This Inner Loop Header: Depth=1
	ds_read2_b64 v[228:231], v223 offset1:1
	s_waitcnt lgkmcnt(1)
	v_xor_b32_e32 v233, 0x80000000, v213
	v_xor_b32_e32 v235, 0x80000000, v215
	v_cmp_gt_f64_e32 vcc, 0, v[214:215]
	v_cmp_gt_f64_e64 s[0:1], 0, v[212:213]
	v_mov_b32_e32 v232, v212
	v_mov_b32_e32 v234, v214
	v_cndmask_b32_e64 v233, v213, v233, s[0:1]
	v_cndmask_b32_e32 v235, v215, v235, vcc
	v_add_f64 v[232:233], v[232:233], v[234:235]
	s_waitcnt lgkmcnt(0)
	v_xor_b32_e32 v235, 0x80000000, v229
	v_xor_b32_e32 v237, 0x80000000, v231
	v_cmp_gt_f64_e32 vcc, 0, v[230:231]
	v_cmp_gt_f64_e64 s[0:1], 0, v[228:229]
	v_mov_b32_e32 v234, v228
	v_mov_b32_e32 v236, v230
	v_cndmask_b32_e64 v235, v229, v235, s[0:1]
	v_cndmask_b32_e32 v237, v231, v237, vcc
	v_add_f64 v[234:235], v[234:235], v[236:237]
	v_mov_b32_e32 v238, s16
	s_add_i32 s16, s16, 1
	v_cmp_lt_f64_e32 vcc, v[232:233], v[234:235]
	v_add_u32_e32 v223, 16, v223
	s_cmp_lg_u32 s20, s16
	v_cndmask_b32_e32 v213, v213, v229, vcc
	v_cndmask_b32_e32 v212, v212, v228, vcc
	;; [unrolled: 1-line block ×5, first 2 shown]
	s_cbranch_scc1 .LBB104_211
.LBB104_212:
	s_waitcnt lgkmcnt(0)
	v_cmp_eq_f64_e32 vcc, 0, v[212:213]
	v_cmp_eq_f64_e64 s[0:1], 0, v[214:215]
	s_and_b64 s[0:1], vcc, s[0:1]
	s_and_saveexec_b64 s[16:17], s[0:1]
	s_xor_b64 s[0:1], exec, s[16:17]
; %bb.213:
	v_cmp_ne_u32_e32 vcc, 0, v226
	s_nop 1
	v_cndmask_b32_e32 v226, 11, v226, vcc
; %bb.214:
	s_andn2_saveexec_b64 s[0:1], s[0:1]
	s_cbranch_execz .LBB104_220
; %bb.215:
	v_cmp_ngt_f64_e64 s[16:17], |v[212:213]|, |v[214:215]|
	s_and_saveexec_b64 s[18:19], s[16:17]
	s_xor_b64 s[16:17], exec, s[18:19]
	s_cbranch_execz .LBB104_217
; %bb.216:
	v_div_scale_f64 v[228:229], s[18:19], v[214:215], v[214:215], v[212:213]
	v_rcp_f64_e32 v[230:231], v[228:229]
	v_div_scale_f64 v[232:233], vcc, v[212:213], v[214:215], v[212:213]
	v_fma_f64 v[234:235], -v[228:229], v[230:231], 1.0
	v_fmac_f64_e32 v[230:231], v[230:231], v[234:235]
	v_fma_f64 v[234:235], -v[228:229], v[230:231], 1.0
	v_fmac_f64_e32 v[230:231], v[230:231], v[234:235]
	v_mul_f64 v[234:235], v[232:233], v[230:231]
	v_fma_f64 v[228:229], -v[228:229], v[234:235], v[232:233]
	v_div_fmas_f64 v[228:229], v[228:229], v[230:231], v[234:235]
	v_div_fixup_f64 v[228:229], v[228:229], v[214:215], v[212:213]
	v_fmac_f64_e32 v[214:215], v[212:213], v[228:229]
	v_div_scale_f64 v[212:213], s[18:19], v[214:215], v[214:215], 1.0
	v_rcp_f64_e32 v[230:231], v[212:213]
	s_nop 0
	v_fma_f64 v[232:233], -v[212:213], v[230:231], 1.0
	v_fmac_f64_e32 v[230:231], v[230:231], v[232:233]
	v_fma_f64 v[232:233], -v[212:213], v[230:231], 1.0
	v_fmac_f64_e32 v[230:231], v[230:231], v[232:233]
	v_div_scale_f64 v[232:233], vcc, 1.0, v[214:215], 1.0
	v_mul_f64 v[234:235], v[232:233], v[230:231]
	v_fma_f64 v[212:213], -v[212:213], v[234:235], v[232:233]
	s_nop 1
	v_div_fmas_f64 v[212:213], v[212:213], v[230:231], v[234:235]
	v_div_fixup_f64 v[214:215], v[212:213], v[214:215], 1.0
	v_mul_f64 v[212:213], v[228:229], v[214:215]
	v_xor_b32_e32 v215, 0x80000000, v215
.LBB104_217:
	s_andn2_saveexec_b64 s[16:17], s[16:17]
	s_cbranch_execz .LBB104_219
; %bb.218:
	v_div_scale_f64 v[228:229], s[18:19], v[212:213], v[212:213], v[214:215]
	v_rcp_f64_e32 v[230:231], v[228:229]
	v_div_scale_f64 v[232:233], vcc, v[214:215], v[212:213], v[214:215]
	v_fma_f64 v[234:235], -v[228:229], v[230:231], 1.0
	v_fmac_f64_e32 v[230:231], v[230:231], v[234:235]
	v_fma_f64 v[234:235], -v[228:229], v[230:231], 1.0
	v_fmac_f64_e32 v[230:231], v[230:231], v[234:235]
	v_mul_f64 v[234:235], v[232:233], v[230:231]
	v_fma_f64 v[228:229], -v[228:229], v[234:235], v[232:233]
	v_div_fmas_f64 v[228:229], v[228:229], v[230:231], v[234:235]
	v_div_fixup_f64 v[228:229], v[228:229], v[212:213], v[214:215]
	v_fmac_f64_e32 v[212:213], v[214:215], v[228:229]
	v_div_scale_f64 v[214:215], s[18:19], v[212:213], v[212:213], 1.0
	v_rcp_f64_e32 v[230:231], v[214:215]
	s_nop 0
	v_fma_f64 v[232:233], -v[214:215], v[230:231], 1.0
	v_fmac_f64_e32 v[230:231], v[230:231], v[232:233]
	v_fma_f64 v[232:233], -v[214:215], v[230:231], 1.0
	v_fmac_f64_e32 v[230:231], v[230:231], v[232:233]
	v_div_scale_f64 v[232:233], vcc, 1.0, v[212:213], 1.0
	v_mul_f64 v[234:235], v[232:233], v[230:231]
	v_fma_f64 v[214:215], -v[214:215], v[234:235], v[232:233]
	s_nop 1
	v_div_fmas_f64 v[214:215], v[214:215], v[230:231], v[234:235]
	v_div_fixup_f64 v[212:213], v[214:215], v[212:213], 1.0
	v_mul_f64 v[214:215], v[228:229], -v[212:213]
.LBB104_219:
	s_or_b64 exec, exec, s[16:17]
.LBB104_220:
	s_or_b64 exec, exec, s[0:1]
	v_cmp_ne_u32_e32 vcc, v225, v222
	s_and_saveexec_b64 s[0:1], vcc
	s_xor_b64 s[0:1], exec, s[0:1]
	s_cbranch_execz .LBB104_226
; %bb.221:
	v_cmp_eq_u32_e32 vcc, 10, v225
	s_and_saveexec_b64 s[16:17], vcc
	s_cbranch_execz .LBB104_225
; %bb.222:
	v_cmp_ne_u32_e32 vcc, 10, v222
	s_xor_b64 s[18:19], s[14:15], -1
	s_and_b64 s[22:23], s[18:19], vcc
	s_and_saveexec_b64 s[18:19], s[22:23]
	s_cbranch_execz .LBB104_224
; %bb.223:
	v_ashrrev_i32_e32 v223, 31, v222
	v_lshl_add_u64 v[228:229], v[222:223], 2, v[220:221]
	global_load_dword v223, v[228:229], off
	global_load_dword v225, v[220:221], off offset:40
	s_waitcnt vmcnt(1)
	global_store_dword v[220:221], v223, off offset:40
	s_waitcnt vmcnt(1)
	global_store_dword v[228:229], v225, off
.LBB104_224:
	s_or_b64 exec, exec, s[18:19]
	v_mov_b32_e32 v225, v222
	v_mov_b32_e32 v227, v222
.LBB104_225:
	s_or_b64 exec, exec, s[16:17]
.LBB104_226:
	s_andn2_saveexec_b64 s[0:1], s[0:1]
	s_cbranch_execz .LBB104_228
; %bb.227:
	v_mov_b32_e32 v225, 10
	s_waitcnt vmcnt(41)
	ds_write2_b64 v224, v[168:169], v[170:171] offset0:22 offset1:23
	s_waitcnt vmcnt(40)
	ds_write2_b64 v224, v[164:165], v[166:167] offset0:24 offset1:25
	s_waitcnt vmcnt(39)
	ds_write2_b64 v224, v[160:161], v[162:163] offset0:26 offset1:27
	s_waitcnt vmcnt(38)
	ds_write2_b64 v224, v[156:157], v[158:159] offset0:28 offset1:29
	s_waitcnt vmcnt(37)
	ds_write2_b64 v224, v[152:153], v[154:155] offset0:30 offset1:31
	s_waitcnt vmcnt(36)
	ds_write2_b64 v224, v[148:149], v[150:151] offset0:32 offset1:33
	s_waitcnt vmcnt(35)
	ds_write2_b64 v224, v[140:141], v[142:143] offset0:34 offset1:35
	s_waitcnt vmcnt(34)
	ds_write2_b64 v224, v[132:133], v[134:135] offset0:36 offset1:37
	s_waitcnt vmcnt(33)
	ds_write2_b64 v224, v[128:129], v[130:131] offset0:38 offset1:39
	s_waitcnt vmcnt(32)
	ds_write2_b64 v224, v[124:125], v[126:127] offset0:40 offset1:41
	s_waitcnt vmcnt(31)
	ds_write2_b64 v224, v[120:121], v[122:123] offset0:42 offset1:43
	s_waitcnt vmcnt(30)
	ds_write2_b64 v224, v[116:117], v[118:119] offset0:44 offset1:45
	s_waitcnt vmcnt(29)
	ds_write2_b64 v224, v[112:113], v[114:115] offset0:46 offset1:47
	s_waitcnt vmcnt(28)
	ds_write2_b64 v224, v[108:109], v[110:111] offset0:48 offset1:49
	s_waitcnt vmcnt(27)
	ds_write2_b64 v224, v[104:105], v[106:107] offset0:50 offset1:51
	s_waitcnt vmcnt(26)
	ds_write2_b64 v224, v[100:101], v[102:103] offset0:52 offset1:53
	s_waitcnt vmcnt(25)
	ds_write2_b64 v224, v[96:97], v[98:99] offset0:54 offset1:55
	s_waitcnt vmcnt(24)
	ds_write2_b64 v224, v[92:93], v[94:95] offset0:56 offset1:57
	s_waitcnt vmcnt(23)
	ds_write2_b64 v224, v[88:89], v[90:91] offset0:58 offset1:59
	s_waitcnt vmcnt(22)
	ds_write2_b64 v224, v[84:85], v[86:87] offset0:60 offset1:61
	s_waitcnt vmcnt(21)
	ds_write2_b64 v224, v[80:81], v[82:83] offset0:62 offset1:63
	s_waitcnt vmcnt(20)
	ds_write2_b64 v224, v[76:77], v[78:79] offset0:64 offset1:65
	s_waitcnt vmcnt(19)
	ds_write2_b64 v224, v[72:73], v[74:75] offset0:66 offset1:67
	s_waitcnt vmcnt(18)
	ds_write2_b64 v224, v[68:69], v[70:71] offset0:68 offset1:69
	s_waitcnt vmcnt(17)
	ds_write2_b64 v224, v[64:65], v[66:67] offset0:70 offset1:71
	s_waitcnt vmcnt(16)
	ds_write2_b64 v224, v[60:61], v[62:63] offset0:72 offset1:73
	s_waitcnt vmcnt(15)
	ds_write2_b64 v224, v[56:57], v[58:59] offset0:74 offset1:75
	s_waitcnt vmcnt(14)
	ds_write2_b64 v224, v[52:53], v[54:55] offset0:76 offset1:77
	s_waitcnt vmcnt(13)
	ds_write2_b64 v224, v[48:49], v[50:51] offset0:78 offset1:79
	s_waitcnt vmcnt(12)
	ds_write2_b64 v224, v[44:45], v[46:47] offset0:80 offset1:81
	s_waitcnt vmcnt(11)
	ds_write2_b64 v224, v[40:41], v[42:43] offset0:82 offset1:83
	s_waitcnt vmcnt(10)
	ds_write2_b64 v224, v[36:37], v[38:39] offset0:84 offset1:85
	s_waitcnt vmcnt(9)
	ds_write2_b64 v224, v[32:33], v[34:35] offset0:86 offset1:87
	s_waitcnt vmcnt(8)
	ds_write2_b64 v224, v[28:29], v[30:31] offset0:88 offset1:89
	s_waitcnt vmcnt(7)
	ds_write2_b64 v224, v[24:25], v[26:27] offset0:90 offset1:91
	s_waitcnt vmcnt(6)
	ds_write2_b64 v224, v[20:21], v[22:23] offset0:92 offset1:93
	s_waitcnt vmcnt(5)
	ds_write2_b64 v224, v[16:17], v[18:19] offset0:94 offset1:95
	s_waitcnt vmcnt(4)
	ds_write2_b64 v224, v[12:13], v[14:15] offset0:96 offset1:97
	s_waitcnt vmcnt(3)
	ds_write2_b64 v224, v[8:9], v[10:11] offset0:98 offset1:99
	s_waitcnt vmcnt(2)
	ds_write2_b64 v224, v[4:5], v[6:7] offset0:100 offset1:101
	s_waitcnt vmcnt(1)
	ds_write2_b64 v224, v[0:1], v[2:3] offset0:102 offset1:103
	s_waitcnt vmcnt(0)
	ds_write2_b64 v224, v[208:209], v[210:211] offset0:104 offset1:105
.LBB104_228:
	s_or_b64 exec, exec, s[0:1]
	v_cmp_lt_i32_e32 vcc, 10, v225
	s_waitcnt lgkmcnt(0)
	s_barrier
	s_and_saveexec_b64 s[0:1], vcc
	s_cbranch_execz .LBB104_230
; %bb.229:
	ds_read2_b64 v[228:231], v224 offset0:22 offset1:23
	v_mul_f64 v[222:223], v[214:215], v[174:175]
	v_mul_f64 v[174:175], v[212:213], v[174:175]
	v_fma_f64 v[222:223], v[212:213], v[172:173], -v[222:223]
	v_fmac_f64_e32 v[174:175], v[214:215], v[172:173]
	ds_read2_b64 v[212:215], v224 offset0:24 offset1:25
	s_waitcnt lgkmcnt(1)
	v_mul_f64 v[172:173], v[230:231], v[174:175]
	v_fma_f64 v[172:173], v[228:229], v[222:223], -v[172:173]
	v_mul_f64 v[228:229], v[228:229], v[174:175]
	v_fmac_f64_e32 v[228:229], v[230:231], v[222:223]
	s_waitcnt vmcnt(41)
	v_add_f64 v[168:169], v[168:169], -v[172:173]
	s_waitcnt lgkmcnt(0)
	v_mul_f64 v[172:173], v[214:215], v[174:175]
	v_add_f64 v[170:171], v[170:171], -v[228:229]
	v_fma_f64 v[172:173], v[212:213], v[222:223], -v[172:173]
	v_mul_f64 v[212:213], v[212:213], v[174:175]
	ds_read2_b64 v[228:231], v224 offset0:26 offset1:27
	v_fmac_f64_e32 v[212:213], v[214:215], v[222:223]
	s_waitcnt vmcnt(40)
	v_add_f64 v[166:167], v[166:167], -v[212:213]
	ds_read2_b64 v[212:215], v224 offset0:28 offset1:29
	v_add_f64 v[164:165], v[164:165], -v[172:173]
	s_waitcnt lgkmcnt(1)
	v_mul_f64 v[172:173], v[230:231], v[174:175]
	v_fma_f64 v[172:173], v[228:229], v[222:223], -v[172:173]
	v_mul_f64 v[228:229], v[228:229], v[174:175]
	v_fmac_f64_e32 v[228:229], v[230:231], v[222:223]
	s_waitcnt vmcnt(39)
	v_add_f64 v[160:161], v[160:161], -v[172:173]
	s_waitcnt lgkmcnt(0)
	v_mul_f64 v[172:173], v[214:215], v[174:175]
	v_add_f64 v[162:163], v[162:163], -v[228:229]
	v_fma_f64 v[172:173], v[212:213], v[222:223], -v[172:173]
	v_mul_f64 v[212:213], v[212:213], v[174:175]
	ds_read2_b64 v[228:231], v224 offset0:30 offset1:31
	v_fmac_f64_e32 v[212:213], v[214:215], v[222:223]
	s_waitcnt vmcnt(38)
	v_add_f64 v[158:159], v[158:159], -v[212:213]
	ds_read2_b64 v[212:215], v224 offset0:32 offset1:33
	v_add_f64 v[156:157], v[156:157], -v[172:173]
	;; [unrolled: 18-line block ×20, first 2 shown]
	s_waitcnt lgkmcnt(1)
	v_mul_f64 v[172:173], v[230:231], v[174:175]
	v_fma_f64 v[172:173], v[228:229], v[222:223], -v[172:173]
	s_waitcnt vmcnt(1)
	v_add_f64 v[0:1], v[0:1], -v[172:173]
	s_waitcnt lgkmcnt(0)
	v_mul_f64 v[172:173], v[214:215], v[174:175]
	v_mul_f64 v[228:229], v[228:229], v[174:175]
	v_fma_f64 v[172:173], v[212:213], v[222:223], -v[172:173]
	v_mul_f64 v[212:213], v[212:213], v[174:175]
	v_fmac_f64_e32 v[228:229], v[230:231], v[222:223]
	v_fmac_f64_e32 v[212:213], v[214:215], v[222:223]
	v_add_f64 v[2:3], v[2:3], -v[228:229]
	s_waitcnt vmcnt(0)
	v_add_f64 v[208:209], v[208:209], -v[172:173]
	v_add_f64 v[210:211], v[210:211], -v[212:213]
	v_mov_b64_e32 v[172:173], v[222:223]
.LBB104_230:
	s_or_b64 exec, exec, s[0:1]
	v_lshl_add_u32 v212, v225, 4, v224
	s_barrier
	s_waitcnt vmcnt(41)
	ds_write2_b64 v212, v[168:169], v[170:171] offset1:1
	s_waitcnt lgkmcnt(0)
	s_barrier
	ds_read2_b64 v[212:215], v224 offset0:22 offset1:23
	s_cmp_lt_i32 s20, 13
	v_mov_b32_e32 v222, 11
	s_cbranch_scc1 .LBB104_233
; %bb.231:
	v_add_u32_e32 v223, 0xc0, v224
	s_mov_b32 s16, 12
	v_mov_b32_e32 v222, 11
.LBB104_232:                            ; =>This Inner Loop Header: Depth=1
	ds_read2_b64 v[228:231], v223 offset1:1
	s_waitcnt lgkmcnt(1)
	v_xor_b32_e32 v233, 0x80000000, v213
	v_xor_b32_e32 v235, 0x80000000, v215
	v_cmp_gt_f64_e32 vcc, 0, v[214:215]
	v_cmp_gt_f64_e64 s[0:1], 0, v[212:213]
	v_mov_b32_e32 v232, v212
	v_mov_b32_e32 v234, v214
	v_cndmask_b32_e64 v233, v213, v233, s[0:1]
	v_cndmask_b32_e32 v235, v215, v235, vcc
	v_add_f64 v[232:233], v[232:233], v[234:235]
	s_waitcnt lgkmcnt(0)
	v_xor_b32_e32 v235, 0x80000000, v229
	v_xor_b32_e32 v237, 0x80000000, v231
	v_cmp_gt_f64_e32 vcc, 0, v[230:231]
	v_cmp_gt_f64_e64 s[0:1], 0, v[228:229]
	v_mov_b32_e32 v234, v228
	v_mov_b32_e32 v236, v230
	v_cndmask_b32_e64 v235, v229, v235, s[0:1]
	v_cndmask_b32_e32 v237, v231, v237, vcc
	v_add_f64 v[234:235], v[234:235], v[236:237]
	v_mov_b32_e32 v238, s16
	s_add_i32 s16, s16, 1
	v_cmp_lt_f64_e32 vcc, v[232:233], v[234:235]
	v_add_u32_e32 v223, 16, v223
	s_cmp_lg_u32 s20, s16
	v_cndmask_b32_e32 v213, v213, v229, vcc
	v_cndmask_b32_e32 v212, v212, v228, vcc
	v_cndmask_b32_e32 v215, v215, v231, vcc
	v_cndmask_b32_e32 v214, v214, v230, vcc
	v_cndmask_b32_e32 v222, v222, v238, vcc
	s_cbranch_scc1 .LBB104_232
.LBB104_233:
	s_waitcnt lgkmcnt(0)
	v_cmp_eq_f64_e32 vcc, 0, v[212:213]
	v_cmp_eq_f64_e64 s[0:1], 0, v[214:215]
	s_and_b64 s[0:1], vcc, s[0:1]
	s_and_saveexec_b64 s[16:17], s[0:1]
	s_xor_b64 s[0:1], exec, s[16:17]
; %bb.234:
	v_cmp_ne_u32_e32 vcc, 0, v226
	s_nop 1
	v_cndmask_b32_e32 v226, 12, v226, vcc
; %bb.235:
	s_andn2_saveexec_b64 s[0:1], s[0:1]
	s_cbranch_execz .LBB104_241
; %bb.236:
	v_cmp_ngt_f64_e64 s[16:17], |v[212:213]|, |v[214:215]|
	s_and_saveexec_b64 s[18:19], s[16:17]
	s_xor_b64 s[16:17], exec, s[18:19]
	s_cbranch_execz .LBB104_238
; %bb.237:
	v_div_scale_f64 v[228:229], s[18:19], v[214:215], v[214:215], v[212:213]
	v_rcp_f64_e32 v[230:231], v[228:229]
	v_div_scale_f64 v[232:233], vcc, v[212:213], v[214:215], v[212:213]
	v_fma_f64 v[234:235], -v[228:229], v[230:231], 1.0
	v_fmac_f64_e32 v[230:231], v[230:231], v[234:235]
	v_fma_f64 v[234:235], -v[228:229], v[230:231], 1.0
	v_fmac_f64_e32 v[230:231], v[230:231], v[234:235]
	v_mul_f64 v[234:235], v[232:233], v[230:231]
	v_fma_f64 v[228:229], -v[228:229], v[234:235], v[232:233]
	v_div_fmas_f64 v[228:229], v[228:229], v[230:231], v[234:235]
	v_div_fixup_f64 v[228:229], v[228:229], v[214:215], v[212:213]
	v_fmac_f64_e32 v[214:215], v[212:213], v[228:229]
	v_div_scale_f64 v[212:213], s[18:19], v[214:215], v[214:215], 1.0
	v_rcp_f64_e32 v[230:231], v[212:213]
	s_nop 0
	v_fma_f64 v[232:233], -v[212:213], v[230:231], 1.0
	v_fmac_f64_e32 v[230:231], v[230:231], v[232:233]
	v_fma_f64 v[232:233], -v[212:213], v[230:231], 1.0
	v_fmac_f64_e32 v[230:231], v[230:231], v[232:233]
	v_div_scale_f64 v[232:233], vcc, 1.0, v[214:215], 1.0
	v_mul_f64 v[234:235], v[232:233], v[230:231]
	v_fma_f64 v[212:213], -v[212:213], v[234:235], v[232:233]
	s_nop 1
	v_div_fmas_f64 v[212:213], v[212:213], v[230:231], v[234:235]
	v_div_fixup_f64 v[214:215], v[212:213], v[214:215], 1.0
	v_mul_f64 v[212:213], v[228:229], v[214:215]
	v_xor_b32_e32 v215, 0x80000000, v215
.LBB104_238:
	s_andn2_saveexec_b64 s[16:17], s[16:17]
	s_cbranch_execz .LBB104_240
; %bb.239:
	v_div_scale_f64 v[228:229], s[18:19], v[212:213], v[212:213], v[214:215]
	v_rcp_f64_e32 v[230:231], v[228:229]
	v_div_scale_f64 v[232:233], vcc, v[214:215], v[212:213], v[214:215]
	v_fma_f64 v[234:235], -v[228:229], v[230:231], 1.0
	v_fmac_f64_e32 v[230:231], v[230:231], v[234:235]
	v_fma_f64 v[234:235], -v[228:229], v[230:231], 1.0
	v_fmac_f64_e32 v[230:231], v[230:231], v[234:235]
	v_mul_f64 v[234:235], v[232:233], v[230:231]
	v_fma_f64 v[228:229], -v[228:229], v[234:235], v[232:233]
	v_div_fmas_f64 v[228:229], v[228:229], v[230:231], v[234:235]
	v_div_fixup_f64 v[228:229], v[228:229], v[212:213], v[214:215]
	v_fmac_f64_e32 v[212:213], v[214:215], v[228:229]
	v_div_scale_f64 v[214:215], s[18:19], v[212:213], v[212:213], 1.0
	v_rcp_f64_e32 v[230:231], v[214:215]
	s_nop 0
	v_fma_f64 v[232:233], -v[214:215], v[230:231], 1.0
	v_fmac_f64_e32 v[230:231], v[230:231], v[232:233]
	v_fma_f64 v[232:233], -v[214:215], v[230:231], 1.0
	v_fmac_f64_e32 v[230:231], v[230:231], v[232:233]
	v_div_scale_f64 v[232:233], vcc, 1.0, v[212:213], 1.0
	v_mul_f64 v[234:235], v[232:233], v[230:231]
	v_fma_f64 v[214:215], -v[214:215], v[234:235], v[232:233]
	s_nop 1
	v_div_fmas_f64 v[214:215], v[214:215], v[230:231], v[234:235]
	v_div_fixup_f64 v[212:213], v[214:215], v[212:213], 1.0
	v_mul_f64 v[214:215], v[228:229], -v[212:213]
.LBB104_240:
	s_or_b64 exec, exec, s[16:17]
.LBB104_241:
	s_or_b64 exec, exec, s[0:1]
	v_cmp_ne_u32_e32 vcc, v225, v222
	s_and_saveexec_b64 s[0:1], vcc
	s_xor_b64 s[0:1], exec, s[0:1]
	s_cbranch_execz .LBB104_247
; %bb.242:
	v_cmp_eq_u32_e32 vcc, 11, v225
	s_and_saveexec_b64 s[16:17], vcc
	s_cbranch_execz .LBB104_246
; %bb.243:
	v_cmp_ne_u32_e32 vcc, 11, v222
	s_xor_b64 s[18:19], s[14:15], -1
	s_and_b64 s[22:23], s[18:19], vcc
	s_and_saveexec_b64 s[18:19], s[22:23]
	s_cbranch_execz .LBB104_245
; %bb.244:
	v_ashrrev_i32_e32 v223, 31, v222
	v_lshl_add_u64 v[228:229], v[222:223], 2, v[220:221]
	global_load_dword v223, v[228:229], off
	global_load_dword v225, v[220:221], off offset:44
	s_waitcnt vmcnt(1)
	global_store_dword v[220:221], v223, off offset:44
	s_waitcnt vmcnt(1)
	global_store_dword v[228:229], v225, off
.LBB104_245:
	s_or_b64 exec, exec, s[18:19]
	v_mov_b32_e32 v225, v222
	v_mov_b32_e32 v227, v222
.LBB104_246:
	s_or_b64 exec, exec, s[16:17]
.LBB104_247:
	s_andn2_saveexec_b64 s[0:1], s[0:1]
	s_cbranch_execz .LBB104_249
; %bb.248:
	v_mov_b32_e32 v225, 11
	s_waitcnt vmcnt(40)
	ds_write2_b64 v224, v[164:165], v[166:167] offset0:24 offset1:25
	s_waitcnt vmcnt(39)
	ds_write2_b64 v224, v[160:161], v[162:163] offset0:26 offset1:27
	;; [unrolled: 2-line block ×41, first 2 shown]
.LBB104_249:
	s_or_b64 exec, exec, s[0:1]
	v_cmp_lt_i32_e32 vcc, 11, v225
	s_waitcnt lgkmcnt(0)
	s_barrier
	s_and_saveexec_b64 s[0:1], vcc
	s_cbranch_execz .LBB104_251
; %bb.250:
	ds_read2_b64 v[228:231], v224 offset0:24 offset1:25
	v_mul_f64 v[222:223], v[214:215], v[170:171]
	v_mul_f64 v[170:171], v[212:213], v[170:171]
	v_fmac_f64_e32 v[170:171], v[214:215], v[168:169]
	v_fma_f64 v[222:223], v[212:213], v[168:169], -v[222:223]
	ds_read2_b64 v[212:215], v224 offset0:26 offset1:27
	s_waitcnt lgkmcnt(1)
	v_mul_f64 v[168:169], v[230:231], v[170:171]
	v_fma_f64 v[168:169], v[228:229], v[222:223], -v[168:169]
	v_mul_f64 v[228:229], v[228:229], v[170:171]
	v_fmac_f64_e32 v[228:229], v[230:231], v[222:223]
	s_waitcnt vmcnt(40)
	v_add_f64 v[166:167], v[166:167], -v[228:229]
	ds_read2_b64 v[228:231], v224 offset0:28 offset1:29
	v_add_f64 v[164:165], v[164:165], -v[168:169]
	s_waitcnt lgkmcnt(1)
	v_mul_f64 v[168:169], v[214:215], v[170:171]
	v_fma_f64 v[168:169], v[212:213], v[222:223], -v[168:169]
	v_mul_f64 v[212:213], v[212:213], v[170:171]
	v_fmac_f64_e32 v[212:213], v[214:215], v[222:223]
	s_waitcnt vmcnt(39)
	v_add_f64 v[160:161], v[160:161], -v[168:169]
	v_add_f64 v[162:163], v[162:163], -v[212:213]
	ds_read2_b64 v[212:215], v224 offset0:30 offset1:31
	s_waitcnt lgkmcnt(1)
	v_mul_f64 v[168:169], v[230:231], v[170:171]
	v_fma_f64 v[168:169], v[228:229], v[222:223], -v[168:169]
	v_mul_f64 v[228:229], v[228:229], v[170:171]
	v_fmac_f64_e32 v[228:229], v[230:231], v[222:223]
	s_waitcnt vmcnt(38)
	v_add_f64 v[158:159], v[158:159], -v[228:229]
	ds_read2_b64 v[228:231], v224 offset0:32 offset1:33
	v_add_f64 v[156:157], v[156:157], -v[168:169]
	s_waitcnt lgkmcnt(1)
	v_mul_f64 v[168:169], v[214:215], v[170:171]
	v_fma_f64 v[168:169], v[212:213], v[222:223], -v[168:169]
	v_mul_f64 v[212:213], v[212:213], v[170:171]
	v_fmac_f64_e32 v[212:213], v[214:215], v[222:223]
	s_waitcnt vmcnt(37)
	v_add_f64 v[152:153], v[152:153], -v[168:169]
	v_add_f64 v[154:155], v[154:155], -v[212:213]
	;; [unrolled: 18-line block ×20, first 2 shown]
	s_waitcnt lgkmcnt(0)
	v_mul_f64 v[168:169], v[230:231], v[170:171]
	v_mul_f64 v[212:213], v[228:229], v[170:171]
	v_fma_f64 v[168:169], v[228:229], v[222:223], -v[168:169]
	v_fmac_f64_e32 v[212:213], v[230:231], v[222:223]
	s_waitcnt vmcnt(0)
	v_add_f64 v[208:209], v[208:209], -v[168:169]
	v_add_f64 v[210:211], v[210:211], -v[212:213]
	v_mov_b64_e32 v[168:169], v[222:223]
.LBB104_251:
	s_or_b64 exec, exec, s[0:1]
	v_lshl_add_u32 v212, v225, 4, v224
	s_barrier
	s_waitcnt vmcnt(40)
	ds_write2_b64 v212, v[164:165], v[166:167] offset1:1
	s_waitcnt lgkmcnt(0)
	s_barrier
	ds_read2_b64 v[212:215], v224 offset0:24 offset1:25
	s_cmp_lt_i32 s20, 14
	v_mov_b32_e32 v222, 12
	s_cbranch_scc1 .LBB104_254
; %bb.252:
	v_add_u32_e32 v223, 0xd0, v224
	s_mov_b32 s16, 13
	v_mov_b32_e32 v222, 12
.LBB104_253:                            ; =>This Inner Loop Header: Depth=1
	ds_read2_b64 v[228:231], v223 offset1:1
	s_waitcnt lgkmcnt(1)
	v_xor_b32_e32 v233, 0x80000000, v213
	v_xor_b32_e32 v235, 0x80000000, v215
	v_cmp_gt_f64_e32 vcc, 0, v[214:215]
	v_cmp_gt_f64_e64 s[0:1], 0, v[212:213]
	v_mov_b32_e32 v232, v212
	v_mov_b32_e32 v234, v214
	v_cndmask_b32_e64 v233, v213, v233, s[0:1]
	v_cndmask_b32_e32 v235, v215, v235, vcc
	v_add_f64 v[232:233], v[232:233], v[234:235]
	s_waitcnt lgkmcnt(0)
	v_xor_b32_e32 v235, 0x80000000, v229
	v_xor_b32_e32 v237, 0x80000000, v231
	v_cmp_gt_f64_e32 vcc, 0, v[230:231]
	v_cmp_gt_f64_e64 s[0:1], 0, v[228:229]
	v_mov_b32_e32 v234, v228
	v_mov_b32_e32 v236, v230
	v_cndmask_b32_e64 v235, v229, v235, s[0:1]
	v_cndmask_b32_e32 v237, v231, v237, vcc
	v_add_f64 v[234:235], v[234:235], v[236:237]
	v_mov_b32_e32 v238, s16
	s_add_i32 s16, s16, 1
	v_cmp_lt_f64_e32 vcc, v[232:233], v[234:235]
	v_add_u32_e32 v223, 16, v223
	s_cmp_lg_u32 s20, s16
	v_cndmask_b32_e32 v213, v213, v229, vcc
	v_cndmask_b32_e32 v212, v212, v228, vcc
	;; [unrolled: 1-line block ×5, first 2 shown]
	s_cbranch_scc1 .LBB104_253
.LBB104_254:
	s_waitcnt lgkmcnt(0)
	v_cmp_eq_f64_e32 vcc, 0, v[212:213]
	v_cmp_eq_f64_e64 s[0:1], 0, v[214:215]
	s_and_b64 s[0:1], vcc, s[0:1]
	s_and_saveexec_b64 s[16:17], s[0:1]
	s_xor_b64 s[0:1], exec, s[16:17]
; %bb.255:
	v_cmp_ne_u32_e32 vcc, 0, v226
	s_nop 1
	v_cndmask_b32_e32 v226, 13, v226, vcc
; %bb.256:
	s_andn2_saveexec_b64 s[0:1], s[0:1]
	s_cbranch_execz .LBB104_262
; %bb.257:
	v_cmp_ngt_f64_e64 s[16:17], |v[212:213]|, |v[214:215]|
	s_and_saveexec_b64 s[18:19], s[16:17]
	s_xor_b64 s[16:17], exec, s[18:19]
	s_cbranch_execz .LBB104_259
; %bb.258:
	v_div_scale_f64 v[228:229], s[18:19], v[214:215], v[214:215], v[212:213]
	v_rcp_f64_e32 v[230:231], v[228:229]
	v_div_scale_f64 v[232:233], vcc, v[212:213], v[214:215], v[212:213]
	v_fma_f64 v[234:235], -v[228:229], v[230:231], 1.0
	v_fmac_f64_e32 v[230:231], v[230:231], v[234:235]
	v_fma_f64 v[234:235], -v[228:229], v[230:231], 1.0
	v_fmac_f64_e32 v[230:231], v[230:231], v[234:235]
	v_mul_f64 v[234:235], v[232:233], v[230:231]
	v_fma_f64 v[228:229], -v[228:229], v[234:235], v[232:233]
	v_div_fmas_f64 v[228:229], v[228:229], v[230:231], v[234:235]
	v_div_fixup_f64 v[228:229], v[228:229], v[214:215], v[212:213]
	v_fmac_f64_e32 v[214:215], v[212:213], v[228:229]
	v_div_scale_f64 v[212:213], s[18:19], v[214:215], v[214:215], 1.0
	v_rcp_f64_e32 v[230:231], v[212:213]
	s_nop 0
	v_fma_f64 v[232:233], -v[212:213], v[230:231], 1.0
	v_fmac_f64_e32 v[230:231], v[230:231], v[232:233]
	v_fma_f64 v[232:233], -v[212:213], v[230:231], 1.0
	v_fmac_f64_e32 v[230:231], v[230:231], v[232:233]
	v_div_scale_f64 v[232:233], vcc, 1.0, v[214:215], 1.0
	v_mul_f64 v[234:235], v[232:233], v[230:231]
	v_fma_f64 v[212:213], -v[212:213], v[234:235], v[232:233]
	s_nop 1
	v_div_fmas_f64 v[212:213], v[212:213], v[230:231], v[234:235]
	v_div_fixup_f64 v[214:215], v[212:213], v[214:215], 1.0
	v_mul_f64 v[212:213], v[228:229], v[214:215]
	v_xor_b32_e32 v215, 0x80000000, v215
.LBB104_259:
	s_andn2_saveexec_b64 s[16:17], s[16:17]
	s_cbranch_execz .LBB104_261
; %bb.260:
	v_div_scale_f64 v[228:229], s[18:19], v[212:213], v[212:213], v[214:215]
	v_rcp_f64_e32 v[230:231], v[228:229]
	v_div_scale_f64 v[232:233], vcc, v[214:215], v[212:213], v[214:215]
	v_fma_f64 v[234:235], -v[228:229], v[230:231], 1.0
	v_fmac_f64_e32 v[230:231], v[230:231], v[234:235]
	v_fma_f64 v[234:235], -v[228:229], v[230:231], 1.0
	v_fmac_f64_e32 v[230:231], v[230:231], v[234:235]
	v_mul_f64 v[234:235], v[232:233], v[230:231]
	v_fma_f64 v[228:229], -v[228:229], v[234:235], v[232:233]
	v_div_fmas_f64 v[228:229], v[228:229], v[230:231], v[234:235]
	v_div_fixup_f64 v[228:229], v[228:229], v[212:213], v[214:215]
	v_fmac_f64_e32 v[212:213], v[214:215], v[228:229]
	v_div_scale_f64 v[214:215], s[18:19], v[212:213], v[212:213], 1.0
	v_rcp_f64_e32 v[230:231], v[214:215]
	s_nop 0
	v_fma_f64 v[232:233], -v[214:215], v[230:231], 1.0
	v_fmac_f64_e32 v[230:231], v[230:231], v[232:233]
	v_fma_f64 v[232:233], -v[214:215], v[230:231], 1.0
	v_fmac_f64_e32 v[230:231], v[230:231], v[232:233]
	v_div_scale_f64 v[232:233], vcc, 1.0, v[212:213], 1.0
	v_mul_f64 v[234:235], v[232:233], v[230:231]
	v_fma_f64 v[214:215], -v[214:215], v[234:235], v[232:233]
	s_nop 1
	v_div_fmas_f64 v[214:215], v[214:215], v[230:231], v[234:235]
	v_div_fixup_f64 v[212:213], v[214:215], v[212:213], 1.0
	v_mul_f64 v[214:215], v[228:229], -v[212:213]
.LBB104_261:
	s_or_b64 exec, exec, s[16:17]
.LBB104_262:
	s_or_b64 exec, exec, s[0:1]
	v_cmp_ne_u32_e32 vcc, v225, v222
	s_and_saveexec_b64 s[0:1], vcc
	s_xor_b64 s[0:1], exec, s[0:1]
	s_cbranch_execz .LBB104_268
; %bb.263:
	v_cmp_eq_u32_e32 vcc, 12, v225
	s_and_saveexec_b64 s[16:17], vcc
	s_cbranch_execz .LBB104_267
; %bb.264:
	v_cmp_ne_u32_e32 vcc, 12, v222
	s_xor_b64 s[18:19], s[14:15], -1
	s_and_b64 s[22:23], s[18:19], vcc
	s_and_saveexec_b64 s[18:19], s[22:23]
	s_cbranch_execz .LBB104_266
; %bb.265:
	v_ashrrev_i32_e32 v223, 31, v222
	v_lshl_add_u64 v[228:229], v[222:223], 2, v[220:221]
	global_load_dword v223, v[228:229], off
	global_load_dword v225, v[220:221], off offset:48
	s_waitcnt vmcnt(1)
	global_store_dword v[220:221], v223, off offset:48
	s_waitcnt vmcnt(1)
	global_store_dword v[228:229], v225, off
.LBB104_266:
	s_or_b64 exec, exec, s[18:19]
	v_mov_b32_e32 v225, v222
	v_mov_b32_e32 v227, v222
.LBB104_267:
	s_or_b64 exec, exec, s[16:17]
.LBB104_268:
	s_andn2_saveexec_b64 s[0:1], s[0:1]
	s_cbranch_execz .LBB104_270
; %bb.269:
	v_mov_b32_e32 v225, 12
	s_waitcnt vmcnt(39)
	ds_write2_b64 v224, v[160:161], v[162:163] offset0:26 offset1:27
	s_waitcnt vmcnt(38)
	ds_write2_b64 v224, v[156:157], v[158:159] offset0:28 offset1:29
	;; [unrolled: 2-line block ×40, first 2 shown]
.LBB104_270:
	s_or_b64 exec, exec, s[0:1]
	v_cmp_lt_i32_e32 vcc, 12, v225
	s_waitcnt lgkmcnt(0)
	s_barrier
	s_and_saveexec_b64 s[0:1], vcc
	s_cbranch_execz .LBB104_272
; %bb.271:
	ds_read2_b64 v[228:231], v224 offset0:26 offset1:27
	v_mul_f64 v[222:223], v[214:215], v[166:167]
	v_mul_f64 v[166:167], v[212:213], v[166:167]
	v_fma_f64 v[222:223], v[212:213], v[164:165], -v[222:223]
	v_fmac_f64_e32 v[166:167], v[214:215], v[164:165]
	ds_read2_b64 v[212:215], v224 offset0:28 offset1:29
	s_waitcnt lgkmcnt(1)
	v_mul_f64 v[164:165], v[230:231], v[166:167]
	v_fma_f64 v[164:165], v[228:229], v[222:223], -v[164:165]
	v_mul_f64 v[228:229], v[228:229], v[166:167]
	v_fmac_f64_e32 v[228:229], v[230:231], v[222:223]
	s_waitcnt vmcnt(39)
	v_add_f64 v[160:161], v[160:161], -v[164:165]
	s_waitcnt lgkmcnt(0)
	v_mul_f64 v[164:165], v[214:215], v[166:167]
	v_add_f64 v[162:163], v[162:163], -v[228:229]
	v_fma_f64 v[164:165], v[212:213], v[222:223], -v[164:165]
	v_mul_f64 v[212:213], v[212:213], v[166:167]
	ds_read2_b64 v[228:231], v224 offset0:30 offset1:31
	v_fmac_f64_e32 v[212:213], v[214:215], v[222:223]
	s_waitcnt vmcnt(38)
	v_add_f64 v[158:159], v[158:159], -v[212:213]
	ds_read2_b64 v[212:215], v224 offset0:32 offset1:33
	v_add_f64 v[156:157], v[156:157], -v[164:165]
	s_waitcnt lgkmcnt(1)
	v_mul_f64 v[164:165], v[230:231], v[166:167]
	v_fma_f64 v[164:165], v[228:229], v[222:223], -v[164:165]
	v_mul_f64 v[228:229], v[228:229], v[166:167]
	v_fmac_f64_e32 v[228:229], v[230:231], v[222:223]
	s_waitcnt vmcnt(37)
	v_add_f64 v[152:153], v[152:153], -v[164:165]
	s_waitcnt lgkmcnt(0)
	v_mul_f64 v[164:165], v[214:215], v[166:167]
	v_add_f64 v[154:155], v[154:155], -v[228:229]
	v_fma_f64 v[164:165], v[212:213], v[222:223], -v[164:165]
	v_mul_f64 v[212:213], v[212:213], v[166:167]
	ds_read2_b64 v[228:231], v224 offset0:34 offset1:35
	v_fmac_f64_e32 v[212:213], v[214:215], v[222:223]
	s_waitcnt vmcnt(36)
	v_add_f64 v[150:151], v[150:151], -v[212:213]
	ds_read2_b64 v[212:215], v224 offset0:36 offset1:37
	v_add_f64 v[148:149], v[148:149], -v[164:165]
	;; [unrolled: 18-line block ×19, first 2 shown]
	s_waitcnt lgkmcnt(1)
	v_mul_f64 v[164:165], v[230:231], v[166:167]
	v_fma_f64 v[164:165], v[228:229], v[222:223], -v[164:165]
	s_waitcnt vmcnt(1)
	v_add_f64 v[0:1], v[0:1], -v[164:165]
	s_waitcnt lgkmcnt(0)
	v_mul_f64 v[164:165], v[214:215], v[166:167]
	v_mul_f64 v[228:229], v[228:229], v[166:167]
	v_fma_f64 v[164:165], v[212:213], v[222:223], -v[164:165]
	v_mul_f64 v[212:213], v[212:213], v[166:167]
	v_fmac_f64_e32 v[228:229], v[230:231], v[222:223]
	v_fmac_f64_e32 v[212:213], v[214:215], v[222:223]
	v_add_f64 v[2:3], v[2:3], -v[228:229]
	s_waitcnt vmcnt(0)
	v_add_f64 v[208:209], v[208:209], -v[164:165]
	v_add_f64 v[210:211], v[210:211], -v[212:213]
	v_mov_b64_e32 v[164:165], v[222:223]
.LBB104_272:
	s_or_b64 exec, exec, s[0:1]
	v_lshl_add_u32 v212, v225, 4, v224
	s_barrier
	s_waitcnt vmcnt(39)
	ds_write2_b64 v212, v[160:161], v[162:163] offset1:1
	s_waitcnt lgkmcnt(0)
	s_barrier
	ds_read2_b64 v[212:215], v224 offset0:26 offset1:27
	s_cmp_lt_i32 s20, 15
	v_mov_b32_e32 v222, 13
	s_cbranch_scc1 .LBB104_275
; %bb.273:
	v_add_u32_e32 v223, 0xe0, v224
	s_mov_b32 s16, 14
	v_mov_b32_e32 v222, 13
.LBB104_274:                            ; =>This Inner Loop Header: Depth=1
	ds_read2_b64 v[228:231], v223 offset1:1
	s_waitcnt lgkmcnt(1)
	v_xor_b32_e32 v233, 0x80000000, v213
	v_xor_b32_e32 v235, 0x80000000, v215
	v_cmp_gt_f64_e32 vcc, 0, v[214:215]
	v_cmp_gt_f64_e64 s[0:1], 0, v[212:213]
	v_mov_b32_e32 v232, v212
	v_mov_b32_e32 v234, v214
	v_cndmask_b32_e64 v233, v213, v233, s[0:1]
	v_cndmask_b32_e32 v235, v215, v235, vcc
	v_add_f64 v[232:233], v[232:233], v[234:235]
	s_waitcnt lgkmcnt(0)
	v_xor_b32_e32 v235, 0x80000000, v229
	v_xor_b32_e32 v237, 0x80000000, v231
	v_cmp_gt_f64_e32 vcc, 0, v[230:231]
	v_cmp_gt_f64_e64 s[0:1], 0, v[228:229]
	v_mov_b32_e32 v234, v228
	v_mov_b32_e32 v236, v230
	v_cndmask_b32_e64 v235, v229, v235, s[0:1]
	v_cndmask_b32_e32 v237, v231, v237, vcc
	v_add_f64 v[234:235], v[234:235], v[236:237]
	v_mov_b32_e32 v238, s16
	s_add_i32 s16, s16, 1
	v_cmp_lt_f64_e32 vcc, v[232:233], v[234:235]
	v_add_u32_e32 v223, 16, v223
	s_cmp_lg_u32 s20, s16
	v_cndmask_b32_e32 v213, v213, v229, vcc
	v_cndmask_b32_e32 v212, v212, v228, vcc
	;; [unrolled: 1-line block ×5, first 2 shown]
	s_cbranch_scc1 .LBB104_274
.LBB104_275:
	s_waitcnt lgkmcnt(0)
	v_cmp_eq_f64_e32 vcc, 0, v[212:213]
	v_cmp_eq_f64_e64 s[0:1], 0, v[214:215]
	s_and_b64 s[0:1], vcc, s[0:1]
	s_and_saveexec_b64 s[16:17], s[0:1]
	s_xor_b64 s[0:1], exec, s[16:17]
; %bb.276:
	v_cmp_ne_u32_e32 vcc, 0, v226
	s_nop 1
	v_cndmask_b32_e32 v226, 14, v226, vcc
; %bb.277:
	s_andn2_saveexec_b64 s[0:1], s[0:1]
	s_cbranch_execz .LBB104_283
; %bb.278:
	v_cmp_ngt_f64_e64 s[16:17], |v[212:213]|, |v[214:215]|
	s_and_saveexec_b64 s[18:19], s[16:17]
	s_xor_b64 s[16:17], exec, s[18:19]
	s_cbranch_execz .LBB104_280
; %bb.279:
	v_div_scale_f64 v[228:229], s[18:19], v[214:215], v[214:215], v[212:213]
	v_rcp_f64_e32 v[230:231], v[228:229]
	v_div_scale_f64 v[232:233], vcc, v[212:213], v[214:215], v[212:213]
	v_fma_f64 v[234:235], -v[228:229], v[230:231], 1.0
	v_fmac_f64_e32 v[230:231], v[230:231], v[234:235]
	v_fma_f64 v[234:235], -v[228:229], v[230:231], 1.0
	v_fmac_f64_e32 v[230:231], v[230:231], v[234:235]
	v_mul_f64 v[234:235], v[232:233], v[230:231]
	v_fma_f64 v[228:229], -v[228:229], v[234:235], v[232:233]
	v_div_fmas_f64 v[228:229], v[228:229], v[230:231], v[234:235]
	v_div_fixup_f64 v[228:229], v[228:229], v[214:215], v[212:213]
	v_fmac_f64_e32 v[214:215], v[212:213], v[228:229]
	v_div_scale_f64 v[212:213], s[18:19], v[214:215], v[214:215], 1.0
	v_rcp_f64_e32 v[230:231], v[212:213]
	s_nop 0
	v_fma_f64 v[232:233], -v[212:213], v[230:231], 1.0
	v_fmac_f64_e32 v[230:231], v[230:231], v[232:233]
	v_fma_f64 v[232:233], -v[212:213], v[230:231], 1.0
	v_fmac_f64_e32 v[230:231], v[230:231], v[232:233]
	v_div_scale_f64 v[232:233], vcc, 1.0, v[214:215], 1.0
	v_mul_f64 v[234:235], v[232:233], v[230:231]
	v_fma_f64 v[212:213], -v[212:213], v[234:235], v[232:233]
	s_nop 1
	v_div_fmas_f64 v[212:213], v[212:213], v[230:231], v[234:235]
	v_div_fixup_f64 v[214:215], v[212:213], v[214:215], 1.0
	v_mul_f64 v[212:213], v[228:229], v[214:215]
	v_xor_b32_e32 v215, 0x80000000, v215
.LBB104_280:
	s_andn2_saveexec_b64 s[16:17], s[16:17]
	s_cbranch_execz .LBB104_282
; %bb.281:
	v_div_scale_f64 v[228:229], s[18:19], v[212:213], v[212:213], v[214:215]
	v_rcp_f64_e32 v[230:231], v[228:229]
	v_div_scale_f64 v[232:233], vcc, v[214:215], v[212:213], v[214:215]
	v_fma_f64 v[234:235], -v[228:229], v[230:231], 1.0
	v_fmac_f64_e32 v[230:231], v[230:231], v[234:235]
	v_fma_f64 v[234:235], -v[228:229], v[230:231], 1.0
	v_fmac_f64_e32 v[230:231], v[230:231], v[234:235]
	v_mul_f64 v[234:235], v[232:233], v[230:231]
	v_fma_f64 v[228:229], -v[228:229], v[234:235], v[232:233]
	v_div_fmas_f64 v[228:229], v[228:229], v[230:231], v[234:235]
	v_div_fixup_f64 v[228:229], v[228:229], v[212:213], v[214:215]
	v_fmac_f64_e32 v[212:213], v[214:215], v[228:229]
	v_div_scale_f64 v[214:215], s[18:19], v[212:213], v[212:213], 1.0
	v_rcp_f64_e32 v[230:231], v[214:215]
	s_nop 0
	v_fma_f64 v[232:233], -v[214:215], v[230:231], 1.0
	v_fmac_f64_e32 v[230:231], v[230:231], v[232:233]
	v_fma_f64 v[232:233], -v[214:215], v[230:231], 1.0
	v_fmac_f64_e32 v[230:231], v[230:231], v[232:233]
	v_div_scale_f64 v[232:233], vcc, 1.0, v[212:213], 1.0
	v_mul_f64 v[234:235], v[232:233], v[230:231]
	v_fma_f64 v[214:215], -v[214:215], v[234:235], v[232:233]
	s_nop 1
	v_div_fmas_f64 v[214:215], v[214:215], v[230:231], v[234:235]
	v_div_fixup_f64 v[212:213], v[214:215], v[212:213], 1.0
	v_mul_f64 v[214:215], v[228:229], -v[212:213]
.LBB104_282:
	s_or_b64 exec, exec, s[16:17]
.LBB104_283:
	s_or_b64 exec, exec, s[0:1]
	v_cmp_ne_u32_e32 vcc, v225, v222
	s_and_saveexec_b64 s[0:1], vcc
	s_xor_b64 s[0:1], exec, s[0:1]
	s_cbranch_execz .LBB104_289
; %bb.284:
	v_cmp_eq_u32_e32 vcc, 13, v225
	s_and_saveexec_b64 s[16:17], vcc
	s_cbranch_execz .LBB104_288
; %bb.285:
	v_cmp_ne_u32_e32 vcc, 13, v222
	s_xor_b64 s[18:19], s[14:15], -1
	s_and_b64 s[22:23], s[18:19], vcc
	s_and_saveexec_b64 s[18:19], s[22:23]
	s_cbranch_execz .LBB104_287
; %bb.286:
	v_ashrrev_i32_e32 v223, 31, v222
	v_lshl_add_u64 v[228:229], v[222:223], 2, v[220:221]
	global_load_dword v223, v[228:229], off
	global_load_dword v225, v[220:221], off offset:52
	s_waitcnt vmcnt(1)
	global_store_dword v[220:221], v223, off offset:52
	s_waitcnt vmcnt(1)
	global_store_dword v[228:229], v225, off
.LBB104_287:
	s_or_b64 exec, exec, s[18:19]
	v_mov_b32_e32 v225, v222
	v_mov_b32_e32 v227, v222
.LBB104_288:
	s_or_b64 exec, exec, s[16:17]
.LBB104_289:
	s_andn2_saveexec_b64 s[0:1], s[0:1]
	s_cbranch_execz .LBB104_291
; %bb.290:
	v_mov_b32_e32 v225, 13
	s_waitcnt vmcnt(38)
	ds_write2_b64 v224, v[156:157], v[158:159] offset0:28 offset1:29
	s_waitcnt vmcnt(37)
	ds_write2_b64 v224, v[152:153], v[154:155] offset0:30 offset1:31
	;; [unrolled: 2-line block ×39, first 2 shown]
.LBB104_291:
	s_or_b64 exec, exec, s[0:1]
	v_cmp_lt_i32_e32 vcc, 13, v225
	s_waitcnt lgkmcnt(0)
	s_barrier
	s_and_saveexec_b64 s[0:1], vcc
	s_cbranch_execz .LBB104_293
; %bb.292:
	ds_read2_b64 v[228:231], v224 offset0:28 offset1:29
	v_mul_f64 v[222:223], v[214:215], v[162:163]
	v_mul_f64 v[162:163], v[212:213], v[162:163]
	v_fmac_f64_e32 v[162:163], v[214:215], v[160:161]
	v_fma_f64 v[222:223], v[212:213], v[160:161], -v[222:223]
	ds_read2_b64 v[212:215], v224 offset0:30 offset1:31
	s_waitcnt lgkmcnt(1)
	v_mul_f64 v[160:161], v[230:231], v[162:163]
	v_fma_f64 v[160:161], v[228:229], v[222:223], -v[160:161]
	v_mul_f64 v[228:229], v[228:229], v[162:163]
	v_fmac_f64_e32 v[228:229], v[230:231], v[222:223]
	s_waitcnt vmcnt(38)
	v_add_f64 v[158:159], v[158:159], -v[228:229]
	ds_read2_b64 v[228:231], v224 offset0:32 offset1:33
	v_add_f64 v[156:157], v[156:157], -v[160:161]
	s_waitcnt lgkmcnt(1)
	v_mul_f64 v[160:161], v[214:215], v[162:163]
	v_fma_f64 v[160:161], v[212:213], v[222:223], -v[160:161]
	v_mul_f64 v[212:213], v[212:213], v[162:163]
	v_fmac_f64_e32 v[212:213], v[214:215], v[222:223]
	s_waitcnt vmcnt(37)
	v_add_f64 v[152:153], v[152:153], -v[160:161]
	v_add_f64 v[154:155], v[154:155], -v[212:213]
	ds_read2_b64 v[212:215], v224 offset0:34 offset1:35
	s_waitcnt lgkmcnt(1)
	v_mul_f64 v[160:161], v[230:231], v[162:163]
	v_fma_f64 v[160:161], v[228:229], v[222:223], -v[160:161]
	v_mul_f64 v[228:229], v[228:229], v[162:163]
	v_fmac_f64_e32 v[228:229], v[230:231], v[222:223]
	s_waitcnt vmcnt(36)
	v_add_f64 v[150:151], v[150:151], -v[228:229]
	ds_read2_b64 v[228:231], v224 offset0:36 offset1:37
	v_add_f64 v[148:149], v[148:149], -v[160:161]
	s_waitcnt lgkmcnt(1)
	v_mul_f64 v[160:161], v[214:215], v[162:163]
	v_fma_f64 v[160:161], v[212:213], v[222:223], -v[160:161]
	v_mul_f64 v[212:213], v[212:213], v[162:163]
	v_fmac_f64_e32 v[212:213], v[214:215], v[222:223]
	s_waitcnt vmcnt(35)
	v_add_f64 v[140:141], v[140:141], -v[160:161]
	v_add_f64 v[142:143], v[142:143], -v[212:213]
	;; [unrolled: 18-line block ×19, first 2 shown]
	s_waitcnt lgkmcnt(0)
	v_mul_f64 v[160:161], v[230:231], v[162:163]
	v_mul_f64 v[212:213], v[228:229], v[162:163]
	v_fma_f64 v[160:161], v[228:229], v[222:223], -v[160:161]
	v_fmac_f64_e32 v[212:213], v[230:231], v[222:223]
	s_waitcnt vmcnt(0)
	v_add_f64 v[208:209], v[208:209], -v[160:161]
	v_add_f64 v[210:211], v[210:211], -v[212:213]
	v_mov_b64_e32 v[160:161], v[222:223]
.LBB104_293:
	s_or_b64 exec, exec, s[0:1]
	v_lshl_add_u32 v212, v225, 4, v224
	s_barrier
	s_waitcnt vmcnt(38)
	ds_write2_b64 v212, v[156:157], v[158:159] offset1:1
	s_waitcnt lgkmcnt(0)
	s_barrier
	ds_read2_b64 v[212:215], v224 offset0:28 offset1:29
	s_cmp_lt_i32 s20, 16
	v_mov_b32_e32 v222, 14
	s_cbranch_scc1 .LBB104_296
; %bb.294:
	v_add_u32_e32 v223, 0xf0, v224
	s_mov_b32 s16, 15
	v_mov_b32_e32 v222, 14
.LBB104_295:                            ; =>This Inner Loop Header: Depth=1
	ds_read2_b64 v[228:231], v223 offset1:1
	s_waitcnt lgkmcnt(1)
	v_xor_b32_e32 v233, 0x80000000, v213
	v_xor_b32_e32 v235, 0x80000000, v215
	v_cmp_gt_f64_e32 vcc, 0, v[214:215]
	v_cmp_gt_f64_e64 s[0:1], 0, v[212:213]
	v_mov_b32_e32 v232, v212
	v_mov_b32_e32 v234, v214
	v_cndmask_b32_e64 v233, v213, v233, s[0:1]
	v_cndmask_b32_e32 v235, v215, v235, vcc
	v_add_f64 v[232:233], v[232:233], v[234:235]
	s_waitcnt lgkmcnt(0)
	v_xor_b32_e32 v235, 0x80000000, v229
	v_xor_b32_e32 v237, 0x80000000, v231
	v_cmp_gt_f64_e32 vcc, 0, v[230:231]
	v_cmp_gt_f64_e64 s[0:1], 0, v[228:229]
	v_mov_b32_e32 v234, v228
	v_mov_b32_e32 v236, v230
	v_cndmask_b32_e64 v235, v229, v235, s[0:1]
	v_cndmask_b32_e32 v237, v231, v237, vcc
	v_add_f64 v[234:235], v[234:235], v[236:237]
	v_mov_b32_e32 v238, s16
	s_add_i32 s16, s16, 1
	v_cmp_lt_f64_e32 vcc, v[232:233], v[234:235]
	v_add_u32_e32 v223, 16, v223
	s_cmp_lg_u32 s20, s16
	v_cndmask_b32_e32 v213, v213, v229, vcc
	v_cndmask_b32_e32 v212, v212, v228, vcc
	;; [unrolled: 1-line block ×5, first 2 shown]
	s_cbranch_scc1 .LBB104_295
.LBB104_296:
	s_waitcnt lgkmcnt(0)
	v_cmp_eq_f64_e32 vcc, 0, v[212:213]
	v_cmp_eq_f64_e64 s[0:1], 0, v[214:215]
	s_and_b64 s[0:1], vcc, s[0:1]
	s_and_saveexec_b64 s[16:17], s[0:1]
	s_xor_b64 s[0:1], exec, s[16:17]
; %bb.297:
	v_cmp_ne_u32_e32 vcc, 0, v226
	s_nop 1
	v_cndmask_b32_e32 v226, 15, v226, vcc
; %bb.298:
	s_andn2_saveexec_b64 s[0:1], s[0:1]
	s_cbranch_execz .LBB104_304
; %bb.299:
	v_cmp_ngt_f64_e64 s[16:17], |v[212:213]|, |v[214:215]|
	s_and_saveexec_b64 s[18:19], s[16:17]
	s_xor_b64 s[16:17], exec, s[18:19]
	s_cbranch_execz .LBB104_301
; %bb.300:
	v_div_scale_f64 v[228:229], s[18:19], v[214:215], v[214:215], v[212:213]
	v_rcp_f64_e32 v[230:231], v[228:229]
	v_div_scale_f64 v[232:233], vcc, v[212:213], v[214:215], v[212:213]
	v_fma_f64 v[234:235], -v[228:229], v[230:231], 1.0
	v_fmac_f64_e32 v[230:231], v[230:231], v[234:235]
	v_fma_f64 v[234:235], -v[228:229], v[230:231], 1.0
	v_fmac_f64_e32 v[230:231], v[230:231], v[234:235]
	v_mul_f64 v[234:235], v[232:233], v[230:231]
	v_fma_f64 v[228:229], -v[228:229], v[234:235], v[232:233]
	v_div_fmas_f64 v[228:229], v[228:229], v[230:231], v[234:235]
	v_div_fixup_f64 v[228:229], v[228:229], v[214:215], v[212:213]
	v_fmac_f64_e32 v[214:215], v[212:213], v[228:229]
	v_div_scale_f64 v[212:213], s[18:19], v[214:215], v[214:215], 1.0
	v_rcp_f64_e32 v[230:231], v[212:213]
	s_nop 0
	v_fma_f64 v[232:233], -v[212:213], v[230:231], 1.0
	v_fmac_f64_e32 v[230:231], v[230:231], v[232:233]
	v_fma_f64 v[232:233], -v[212:213], v[230:231], 1.0
	v_fmac_f64_e32 v[230:231], v[230:231], v[232:233]
	v_div_scale_f64 v[232:233], vcc, 1.0, v[214:215], 1.0
	v_mul_f64 v[234:235], v[232:233], v[230:231]
	v_fma_f64 v[212:213], -v[212:213], v[234:235], v[232:233]
	s_nop 1
	v_div_fmas_f64 v[212:213], v[212:213], v[230:231], v[234:235]
	v_div_fixup_f64 v[214:215], v[212:213], v[214:215], 1.0
	v_mul_f64 v[212:213], v[228:229], v[214:215]
	v_xor_b32_e32 v215, 0x80000000, v215
.LBB104_301:
	s_andn2_saveexec_b64 s[16:17], s[16:17]
	s_cbranch_execz .LBB104_303
; %bb.302:
	v_div_scale_f64 v[228:229], s[18:19], v[212:213], v[212:213], v[214:215]
	v_rcp_f64_e32 v[230:231], v[228:229]
	v_div_scale_f64 v[232:233], vcc, v[214:215], v[212:213], v[214:215]
	v_fma_f64 v[234:235], -v[228:229], v[230:231], 1.0
	v_fmac_f64_e32 v[230:231], v[230:231], v[234:235]
	v_fma_f64 v[234:235], -v[228:229], v[230:231], 1.0
	v_fmac_f64_e32 v[230:231], v[230:231], v[234:235]
	v_mul_f64 v[234:235], v[232:233], v[230:231]
	v_fma_f64 v[228:229], -v[228:229], v[234:235], v[232:233]
	v_div_fmas_f64 v[228:229], v[228:229], v[230:231], v[234:235]
	v_div_fixup_f64 v[228:229], v[228:229], v[212:213], v[214:215]
	v_fmac_f64_e32 v[212:213], v[214:215], v[228:229]
	v_div_scale_f64 v[214:215], s[18:19], v[212:213], v[212:213], 1.0
	v_rcp_f64_e32 v[230:231], v[214:215]
	s_nop 0
	v_fma_f64 v[232:233], -v[214:215], v[230:231], 1.0
	v_fmac_f64_e32 v[230:231], v[230:231], v[232:233]
	v_fma_f64 v[232:233], -v[214:215], v[230:231], 1.0
	v_fmac_f64_e32 v[230:231], v[230:231], v[232:233]
	v_div_scale_f64 v[232:233], vcc, 1.0, v[212:213], 1.0
	v_mul_f64 v[234:235], v[232:233], v[230:231]
	v_fma_f64 v[214:215], -v[214:215], v[234:235], v[232:233]
	s_nop 1
	v_div_fmas_f64 v[214:215], v[214:215], v[230:231], v[234:235]
	v_div_fixup_f64 v[212:213], v[214:215], v[212:213], 1.0
	v_mul_f64 v[214:215], v[228:229], -v[212:213]
.LBB104_303:
	s_or_b64 exec, exec, s[16:17]
.LBB104_304:
	s_or_b64 exec, exec, s[0:1]
	v_cmp_ne_u32_e32 vcc, v225, v222
	s_and_saveexec_b64 s[0:1], vcc
	s_xor_b64 s[0:1], exec, s[0:1]
	s_cbranch_execz .LBB104_310
; %bb.305:
	v_cmp_eq_u32_e32 vcc, 14, v225
	s_and_saveexec_b64 s[16:17], vcc
	s_cbranch_execz .LBB104_309
; %bb.306:
	v_cmp_ne_u32_e32 vcc, 14, v222
	s_xor_b64 s[18:19], s[14:15], -1
	s_and_b64 s[22:23], s[18:19], vcc
	s_and_saveexec_b64 s[18:19], s[22:23]
	s_cbranch_execz .LBB104_308
; %bb.307:
	v_ashrrev_i32_e32 v223, 31, v222
	v_lshl_add_u64 v[228:229], v[222:223], 2, v[220:221]
	global_load_dword v223, v[228:229], off
	global_load_dword v225, v[220:221], off offset:56
	s_waitcnt vmcnt(1)
	global_store_dword v[220:221], v223, off offset:56
	s_waitcnt vmcnt(1)
	global_store_dword v[228:229], v225, off
.LBB104_308:
	s_or_b64 exec, exec, s[18:19]
	v_mov_b32_e32 v225, v222
	v_mov_b32_e32 v227, v222
.LBB104_309:
	s_or_b64 exec, exec, s[16:17]
.LBB104_310:
	s_andn2_saveexec_b64 s[0:1], s[0:1]
	s_cbranch_execz .LBB104_312
; %bb.311:
	v_mov_b32_e32 v225, 14
	s_waitcnt vmcnt(37)
	ds_write2_b64 v224, v[152:153], v[154:155] offset0:30 offset1:31
	s_waitcnt vmcnt(36)
	ds_write2_b64 v224, v[148:149], v[150:151] offset0:32 offset1:33
	s_waitcnt vmcnt(35)
	ds_write2_b64 v224, v[140:141], v[142:143] offset0:34 offset1:35
	s_waitcnt vmcnt(34)
	ds_write2_b64 v224, v[132:133], v[134:135] offset0:36 offset1:37
	s_waitcnt vmcnt(33)
	ds_write2_b64 v224, v[128:129], v[130:131] offset0:38 offset1:39
	s_waitcnt vmcnt(32)
	ds_write2_b64 v224, v[124:125], v[126:127] offset0:40 offset1:41
	s_waitcnt vmcnt(31)
	ds_write2_b64 v224, v[120:121], v[122:123] offset0:42 offset1:43
	s_waitcnt vmcnt(30)
	ds_write2_b64 v224, v[116:117], v[118:119] offset0:44 offset1:45
	s_waitcnt vmcnt(29)
	ds_write2_b64 v224, v[112:113], v[114:115] offset0:46 offset1:47
	s_waitcnt vmcnt(28)
	ds_write2_b64 v224, v[108:109], v[110:111] offset0:48 offset1:49
	s_waitcnt vmcnt(27)
	ds_write2_b64 v224, v[104:105], v[106:107] offset0:50 offset1:51
	s_waitcnt vmcnt(26)
	ds_write2_b64 v224, v[100:101], v[102:103] offset0:52 offset1:53
	s_waitcnt vmcnt(25)
	ds_write2_b64 v224, v[96:97], v[98:99] offset0:54 offset1:55
	s_waitcnt vmcnt(24)
	ds_write2_b64 v224, v[92:93], v[94:95] offset0:56 offset1:57
	s_waitcnt vmcnt(23)
	ds_write2_b64 v224, v[88:89], v[90:91] offset0:58 offset1:59
	s_waitcnt vmcnt(22)
	ds_write2_b64 v224, v[84:85], v[86:87] offset0:60 offset1:61
	s_waitcnt vmcnt(21)
	ds_write2_b64 v224, v[80:81], v[82:83] offset0:62 offset1:63
	s_waitcnt vmcnt(20)
	ds_write2_b64 v224, v[76:77], v[78:79] offset0:64 offset1:65
	s_waitcnt vmcnt(19)
	ds_write2_b64 v224, v[72:73], v[74:75] offset0:66 offset1:67
	s_waitcnt vmcnt(18)
	ds_write2_b64 v224, v[68:69], v[70:71] offset0:68 offset1:69
	s_waitcnt vmcnt(17)
	ds_write2_b64 v224, v[64:65], v[66:67] offset0:70 offset1:71
	s_waitcnt vmcnt(16)
	ds_write2_b64 v224, v[60:61], v[62:63] offset0:72 offset1:73
	s_waitcnt vmcnt(15)
	ds_write2_b64 v224, v[56:57], v[58:59] offset0:74 offset1:75
	s_waitcnt vmcnt(14)
	ds_write2_b64 v224, v[52:53], v[54:55] offset0:76 offset1:77
	s_waitcnt vmcnt(13)
	ds_write2_b64 v224, v[48:49], v[50:51] offset0:78 offset1:79
	s_waitcnt vmcnt(12)
	ds_write2_b64 v224, v[44:45], v[46:47] offset0:80 offset1:81
	s_waitcnt vmcnt(11)
	ds_write2_b64 v224, v[40:41], v[42:43] offset0:82 offset1:83
	s_waitcnt vmcnt(10)
	ds_write2_b64 v224, v[36:37], v[38:39] offset0:84 offset1:85
	s_waitcnt vmcnt(9)
	ds_write2_b64 v224, v[32:33], v[34:35] offset0:86 offset1:87
	s_waitcnt vmcnt(8)
	ds_write2_b64 v224, v[28:29], v[30:31] offset0:88 offset1:89
	s_waitcnt vmcnt(7)
	ds_write2_b64 v224, v[24:25], v[26:27] offset0:90 offset1:91
	s_waitcnt vmcnt(6)
	ds_write2_b64 v224, v[20:21], v[22:23] offset0:92 offset1:93
	s_waitcnt vmcnt(5)
	ds_write2_b64 v224, v[16:17], v[18:19] offset0:94 offset1:95
	s_waitcnt vmcnt(4)
	ds_write2_b64 v224, v[12:13], v[14:15] offset0:96 offset1:97
	s_waitcnt vmcnt(3)
	ds_write2_b64 v224, v[8:9], v[10:11] offset0:98 offset1:99
	s_waitcnt vmcnt(2)
	ds_write2_b64 v224, v[4:5], v[6:7] offset0:100 offset1:101
	s_waitcnt vmcnt(1)
	ds_write2_b64 v224, v[0:1], v[2:3] offset0:102 offset1:103
	s_waitcnt vmcnt(0)
	ds_write2_b64 v224, v[208:209], v[210:211] offset0:104 offset1:105
.LBB104_312:
	s_or_b64 exec, exec, s[0:1]
	v_cmp_lt_i32_e32 vcc, 14, v225
	s_waitcnt lgkmcnt(0)
	s_barrier
	s_and_saveexec_b64 s[0:1], vcc
	s_cbranch_execz .LBB104_314
; %bb.313:
	ds_read2_b64 v[228:231], v224 offset0:30 offset1:31
	v_mul_f64 v[222:223], v[214:215], v[158:159]
	v_mul_f64 v[158:159], v[212:213], v[158:159]
	v_fma_f64 v[222:223], v[212:213], v[156:157], -v[222:223]
	v_fmac_f64_e32 v[158:159], v[214:215], v[156:157]
	ds_read2_b64 v[212:215], v224 offset0:32 offset1:33
	s_waitcnt lgkmcnt(1)
	v_mul_f64 v[156:157], v[230:231], v[158:159]
	v_fma_f64 v[156:157], v[228:229], v[222:223], -v[156:157]
	v_mul_f64 v[228:229], v[228:229], v[158:159]
	v_fmac_f64_e32 v[228:229], v[230:231], v[222:223]
	s_waitcnt vmcnt(37)
	v_add_f64 v[152:153], v[152:153], -v[156:157]
	s_waitcnt lgkmcnt(0)
	v_mul_f64 v[156:157], v[214:215], v[158:159]
	v_add_f64 v[154:155], v[154:155], -v[228:229]
	v_fma_f64 v[156:157], v[212:213], v[222:223], -v[156:157]
	v_mul_f64 v[212:213], v[212:213], v[158:159]
	ds_read2_b64 v[228:231], v224 offset0:34 offset1:35
	v_fmac_f64_e32 v[212:213], v[214:215], v[222:223]
	s_waitcnt vmcnt(36)
	v_add_f64 v[150:151], v[150:151], -v[212:213]
	ds_read2_b64 v[212:215], v224 offset0:36 offset1:37
	v_add_f64 v[148:149], v[148:149], -v[156:157]
	s_waitcnt lgkmcnt(1)
	v_mul_f64 v[156:157], v[230:231], v[158:159]
	v_fma_f64 v[156:157], v[228:229], v[222:223], -v[156:157]
	v_mul_f64 v[228:229], v[228:229], v[158:159]
	v_fmac_f64_e32 v[228:229], v[230:231], v[222:223]
	s_waitcnt vmcnt(35)
	v_add_f64 v[140:141], v[140:141], -v[156:157]
	s_waitcnt lgkmcnt(0)
	v_mul_f64 v[156:157], v[214:215], v[158:159]
	v_add_f64 v[142:143], v[142:143], -v[228:229]
	v_fma_f64 v[156:157], v[212:213], v[222:223], -v[156:157]
	v_mul_f64 v[212:213], v[212:213], v[158:159]
	ds_read2_b64 v[228:231], v224 offset0:38 offset1:39
	v_fmac_f64_e32 v[212:213], v[214:215], v[222:223]
	s_waitcnt vmcnt(34)
	v_add_f64 v[134:135], v[134:135], -v[212:213]
	ds_read2_b64 v[212:215], v224 offset0:40 offset1:41
	v_add_f64 v[132:133], v[132:133], -v[156:157]
	;; [unrolled: 18-line block ×18, first 2 shown]
	s_waitcnt lgkmcnt(1)
	v_mul_f64 v[156:157], v[230:231], v[158:159]
	v_fma_f64 v[156:157], v[228:229], v[222:223], -v[156:157]
	s_waitcnt vmcnt(1)
	v_add_f64 v[0:1], v[0:1], -v[156:157]
	s_waitcnt lgkmcnt(0)
	v_mul_f64 v[156:157], v[214:215], v[158:159]
	v_mul_f64 v[228:229], v[228:229], v[158:159]
	v_fma_f64 v[156:157], v[212:213], v[222:223], -v[156:157]
	v_mul_f64 v[212:213], v[212:213], v[158:159]
	v_fmac_f64_e32 v[228:229], v[230:231], v[222:223]
	v_fmac_f64_e32 v[212:213], v[214:215], v[222:223]
	v_add_f64 v[2:3], v[2:3], -v[228:229]
	s_waitcnt vmcnt(0)
	v_add_f64 v[208:209], v[208:209], -v[156:157]
	v_add_f64 v[210:211], v[210:211], -v[212:213]
	v_mov_b64_e32 v[156:157], v[222:223]
.LBB104_314:
	s_or_b64 exec, exec, s[0:1]
	v_lshl_add_u32 v212, v225, 4, v224
	s_barrier
	s_waitcnt vmcnt(37)
	ds_write2_b64 v212, v[152:153], v[154:155] offset1:1
	s_waitcnt lgkmcnt(0)
	s_barrier
	ds_read2_b64 v[212:215], v224 offset0:30 offset1:31
	s_cmp_lt_i32 s20, 17
	v_mov_b32_e32 v222, 15
	s_cbranch_scc1 .LBB104_317
; %bb.315:
	v_add_u32_e32 v223, 0x100, v224
	s_mov_b32 s16, 16
	v_mov_b32_e32 v222, 15
.LBB104_316:                            ; =>This Inner Loop Header: Depth=1
	ds_read2_b64 v[228:231], v223 offset1:1
	s_waitcnt lgkmcnt(1)
	v_xor_b32_e32 v233, 0x80000000, v213
	v_xor_b32_e32 v235, 0x80000000, v215
	v_cmp_gt_f64_e32 vcc, 0, v[214:215]
	v_cmp_gt_f64_e64 s[0:1], 0, v[212:213]
	v_mov_b32_e32 v232, v212
	v_mov_b32_e32 v234, v214
	v_cndmask_b32_e64 v233, v213, v233, s[0:1]
	v_cndmask_b32_e32 v235, v215, v235, vcc
	v_add_f64 v[232:233], v[232:233], v[234:235]
	s_waitcnt lgkmcnt(0)
	v_xor_b32_e32 v235, 0x80000000, v229
	v_xor_b32_e32 v237, 0x80000000, v231
	v_cmp_gt_f64_e32 vcc, 0, v[230:231]
	v_cmp_gt_f64_e64 s[0:1], 0, v[228:229]
	v_mov_b32_e32 v234, v228
	v_mov_b32_e32 v236, v230
	v_cndmask_b32_e64 v235, v229, v235, s[0:1]
	v_cndmask_b32_e32 v237, v231, v237, vcc
	v_add_f64 v[234:235], v[234:235], v[236:237]
	v_mov_b32_e32 v238, s16
	s_add_i32 s16, s16, 1
	v_cmp_lt_f64_e32 vcc, v[232:233], v[234:235]
	v_add_u32_e32 v223, 16, v223
	s_cmp_lg_u32 s20, s16
	v_cndmask_b32_e32 v213, v213, v229, vcc
	v_cndmask_b32_e32 v212, v212, v228, vcc
	;; [unrolled: 1-line block ×5, first 2 shown]
	s_cbranch_scc1 .LBB104_316
.LBB104_317:
	s_waitcnt lgkmcnt(0)
	v_cmp_eq_f64_e32 vcc, 0, v[212:213]
	v_cmp_eq_f64_e64 s[0:1], 0, v[214:215]
	s_and_b64 s[0:1], vcc, s[0:1]
	s_and_saveexec_b64 s[16:17], s[0:1]
	s_xor_b64 s[0:1], exec, s[16:17]
; %bb.318:
	v_cmp_ne_u32_e32 vcc, 0, v226
	s_nop 1
	v_cndmask_b32_e32 v226, 16, v226, vcc
; %bb.319:
	s_andn2_saveexec_b64 s[0:1], s[0:1]
	s_cbranch_execz .LBB104_325
; %bb.320:
	v_cmp_ngt_f64_e64 s[16:17], |v[212:213]|, |v[214:215]|
	s_and_saveexec_b64 s[18:19], s[16:17]
	s_xor_b64 s[16:17], exec, s[18:19]
	s_cbranch_execz .LBB104_322
; %bb.321:
	v_div_scale_f64 v[228:229], s[18:19], v[214:215], v[214:215], v[212:213]
	v_rcp_f64_e32 v[230:231], v[228:229]
	v_div_scale_f64 v[232:233], vcc, v[212:213], v[214:215], v[212:213]
	v_fma_f64 v[234:235], -v[228:229], v[230:231], 1.0
	v_fmac_f64_e32 v[230:231], v[230:231], v[234:235]
	v_fma_f64 v[234:235], -v[228:229], v[230:231], 1.0
	v_fmac_f64_e32 v[230:231], v[230:231], v[234:235]
	v_mul_f64 v[234:235], v[232:233], v[230:231]
	v_fma_f64 v[228:229], -v[228:229], v[234:235], v[232:233]
	v_div_fmas_f64 v[228:229], v[228:229], v[230:231], v[234:235]
	v_div_fixup_f64 v[228:229], v[228:229], v[214:215], v[212:213]
	v_fmac_f64_e32 v[214:215], v[212:213], v[228:229]
	v_div_scale_f64 v[212:213], s[18:19], v[214:215], v[214:215], 1.0
	v_rcp_f64_e32 v[230:231], v[212:213]
	s_nop 0
	v_fma_f64 v[232:233], -v[212:213], v[230:231], 1.0
	v_fmac_f64_e32 v[230:231], v[230:231], v[232:233]
	v_fma_f64 v[232:233], -v[212:213], v[230:231], 1.0
	v_fmac_f64_e32 v[230:231], v[230:231], v[232:233]
	v_div_scale_f64 v[232:233], vcc, 1.0, v[214:215], 1.0
	v_mul_f64 v[234:235], v[232:233], v[230:231]
	v_fma_f64 v[212:213], -v[212:213], v[234:235], v[232:233]
	s_nop 1
	v_div_fmas_f64 v[212:213], v[212:213], v[230:231], v[234:235]
	v_div_fixup_f64 v[214:215], v[212:213], v[214:215], 1.0
	v_mul_f64 v[212:213], v[228:229], v[214:215]
	v_xor_b32_e32 v215, 0x80000000, v215
.LBB104_322:
	s_andn2_saveexec_b64 s[16:17], s[16:17]
	s_cbranch_execz .LBB104_324
; %bb.323:
	v_div_scale_f64 v[228:229], s[18:19], v[212:213], v[212:213], v[214:215]
	v_rcp_f64_e32 v[230:231], v[228:229]
	v_div_scale_f64 v[232:233], vcc, v[214:215], v[212:213], v[214:215]
	v_fma_f64 v[234:235], -v[228:229], v[230:231], 1.0
	v_fmac_f64_e32 v[230:231], v[230:231], v[234:235]
	v_fma_f64 v[234:235], -v[228:229], v[230:231], 1.0
	v_fmac_f64_e32 v[230:231], v[230:231], v[234:235]
	v_mul_f64 v[234:235], v[232:233], v[230:231]
	v_fma_f64 v[228:229], -v[228:229], v[234:235], v[232:233]
	v_div_fmas_f64 v[228:229], v[228:229], v[230:231], v[234:235]
	v_div_fixup_f64 v[228:229], v[228:229], v[212:213], v[214:215]
	v_fmac_f64_e32 v[212:213], v[214:215], v[228:229]
	v_div_scale_f64 v[214:215], s[18:19], v[212:213], v[212:213], 1.0
	v_rcp_f64_e32 v[230:231], v[214:215]
	s_nop 0
	v_fma_f64 v[232:233], -v[214:215], v[230:231], 1.0
	v_fmac_f64_e32 v[230:231], v[230:231], v[232:233]
	v_fma_f64 v[232:233], -v[214:215], v[230:231], 1.0
	v_fmac_f64_e32 v[230:231], v[230:231], v[232:233]
	v_div_scale_f64 v[232:233], vcc, 1.0, v[212:213], 1.0
	v_mul_f64 v[234:235], v[232:233], v[230:231]
	v_fma_f64 v[214:215], -v[214:215], v[234:235], v[232:233]
	s_nop 1
	v_div_fmas_f64 v[214:215], v[214:215], v[230:231], v[234:235]
	v_div_fixup_f64 v[212:213], v[214:215], v[212:213], 1.0
	v_mul_f64 v[214:215], v[228:229], -v[212:213]
.LBB104_324:
	s_or_b64 exec, exec, s[16:17]
.LBB104_325:
	s_or_b64 exec, exec, s[0:1]
	v_cmp_ne_u32_e32 vcc, v225, v222
	s_and_saveexec_b64 s[0:1], vcc
	s_xor_b64 s[0:1], exec, s[0:1]
	s_cbranch_execz .LBB104_331
; %bb.326:
	v_cmp_eq_u32_e32 vcc, 15, v225
	s_and_saveexec_b64 s[16:17], vcc
	s_cbranch_execz .LBB104_330
; %bb.327:
	v_cmp_ne_u32_e32 vcc, 15, v222
	s_xor_b64 s[18:19], s[14:15], -1
	s_and_b64 s[22:23], s[18:19], vcc
	s_and_saveexec_b64 s[18:19], s[22:23]
	s_cbranch_execz .LBB104_329
; %bb.328:
	v_ashrrev_i32_e32 v223, 31, v222
	v_lshl_add_u64 v[228:229], v[222:223], 2, v[220:221]
	global_load_dword v223, v[228:229], off
	global_load_dword v225, v[220:221], off offset:60
	s_waitcnt vmcnt(1)
	global_store_dword v[220:221], v223, off offset:60
	s_waitcnt vmcnt(1)
	global_store_dword v[228:229], v225, off
.LBB104_329:
	s_or_b64 exec, exec, s[18:19]
	v_mov_b32_e32 v225, v222
	v_mov_b32_e32 v227, v222
.LBB104_330:
	s_or_b64 exec, exec, s[16:17]
.LBB104_331:
	s_andn2_saveexec_b64 s[0:1], s[0:1]
	s_cbranch_execz .LBB104_333
; %bb.332:
	v_mov_b32_e32 v225, 15
	s_waitcnt vmcnt(36)
	ds_write2_b64 v224, v[148:149], v[150:151] offset0:32 offset1:33
	s_waitcnt vmcnt(35)
	ds_write2_b64 v224, v[140:141], v[142:143] offset0:34 offset1:35
	;; [unrolled: 2-line block ×37, first 2 shown]
.LBB104_333:
	s_or_b64 exec, exec, s[0:1]
	v_cmp_lt_i32_e32 vcc, 15, v225
	s_waitcnt lgkmcnt(0)
	s_barrier
	s_and_saveexec_b64 s[0:1], vcc
	s_cbranch_execz .LBB104_335
; %bb.334:
	ds_read2_b64 v[228:231], v224 offset0:32 offset1:33
	v_mul_f64 v[222:223], v[214:215], v[154:155]
	v_mul_f64 v[154:155], v[212:213], v[154:155]
	v_fmac_f64_e32 v[154:155], v[214:215], v[152:153]
	v_fma_f64 v[222:223], v[212:213], v[152:153], -v[222:223]
	ds_read2_b64 v[212:215], v224 offset0:34 offset1:35
	s_waitcnt lgkmcnt(1)
	v_mul_f64 v[152:153], v[230:231], v[154:155]
	v_fma_f64 v[152:153], v[228:229], v[222:223], -v[152:153]
	v_mul_f64 v[228:229], v[228:229], v[154:155]
	v_fmac_f64_e32 v[228:229], v[230:231], v[222:223]
	s_waitcnt vmcnt(36)
	v_add_f64 v[150:151], v[150:151], -v[228:229]
	ds_read2_b64 v[228:231], v224 offset0:36 offset1:37
	v_add_f64 v[148:149], v[148:149], -v[152:153]
	s_waitcnt lgkmcnt(1)
	v_mul_f64 v[152:153], v[214:215], v[154:155]
	v_fma_f64 v[152:153], v[212:213], v[222:223], -v[152:153]
	v_mul_f64 v[212:213], v[212:213], v[154:155]
	v_fmac_f64_e32 v[212:213], v[214:215], v[222:223]
	s_waitcnt vmcnt(35)
	v_add_f64 v[140:141], v[140:141], -v[152:153]
	v_add_f64 v[142:143], v[142:143], -v[212:213]
	ds_read2_b64 v[212:215], v224 offset0:38 offset1:39
	s_waitcnt lgkmcnt(1)
	v_mul_f64 v[152:153], v[230:231], v[154:155]
	v_fma_f64 v[152:153], v[228:229], v[222:223], -v[152:153]
	v_mul_f64 v[228:229], v[228:229], v[154:155]
	v_fmac_f64_e32 v[228:229], v[230:231], v[222:223]
	s_waitcnt vmcnt(34)
	v_add_f64 v[134:135], v[134:135], -v[228:229]
	ds_read2_b64 v[228:231], v224 offset0:40 offset1:41
	v_add_f64 v[132:133], v[132:133], -v[152:153]
	s_waitcnt lgkmcnt(1)
	v_mul_f64 v[152:153], v[214:215], v[154:155]
	v_fma_f64 v[152:153], v[212:213], v[222:223], -v[152:153]
	v_mul_f64 v[212:213], v[212:213], v[154:155]
	v_fmac_f64_e32 v[212:213], v[214:215], v[222:223]
	s_waitcnt vmcnt(33)
	v_add_f64 v[128:129], v[128:129], -v[152:153]
	v_add_f64 v[130:131], v[130:131], -v[212:213]
	;; [unrolled: 18-line block ×18, first 2 shown]
	s_waitcnt lgkmcnt(0)
	v_mul_f64 v[152:153], v[230:231], v[154:155]
	v_mul_f64 v[212:213], v[228:229], v[154:155]
	v_fma_f64 v[152:153], v[228:229], v[222:223], -v[152:153]
	v_fmac_f64_e32 v[212:213], v[230:231], v[222:223]
	s_waitcnt vmcnt(0)
	v_add_f64 v[208:209], v[208:209], -v[152:153]
	v_add_f64 v[210:211], v[210:211], -v[212:213]
	v_mov_b64_e32 v[152:153], v[222:223]
.LBB104_335:
	s_or_b64 exec, exec, s[0:1]
	v_lshl_add_u32 v212, v225, 4, v224
	s_barrier
	s_waitcnt vmcnt(36)
	ds_write2_b64 v212, v[148:149], v[150:151] offset1:1
	s_waitcnt lgkmcnt(0)
	s_barrier
	ds_read2_b64 v[212:215], v224 offset0:32 offset1:33
	s_cmp_lt_i32 s20, 18
	v_mov_b32_e32 v222, 16
	s_cbranch_scc1 .LBB104_338
; %bb.336:
	v_add_u32_e32 v223, 0x110, v224
	s_mov_b32 s16, 17
	v_mov_b32_e32 v222, 16
.LBB104_337:                            ; =>This Inner Loop Header: Depth=1
	ds_read2_b64 v[228:231], v223 offset1:1
	s_waitcnt lgkmcnt(1)
	v_xor_b32_e32 v233, 0x80000000, v213
	v_xor_b32_e32 v235, 0x80000000, v215
	v_cmp_gt_f64_e32 vcc, 0, v[214:215]
	v_cmp_gt_f64_e64 s[0:1], 0, v[212:213]
	v_mov_b32_e32 v232, v212
	v_mov_b32_e32 v234, v214
	v_cndmask_b32_e64 v233, v213, v233, s[0:1]
	v_cndmask_b32_e32 v235, v215, v235, vcc
	v_add_f64 v[232:233], v[232:233], v[234:235]
	s_waitcnt lgkmcnt(0)
	v_xor_b32_e32 v235, 0x80000000, v229
	v_xor_b32_e32 v237, 0x80000000, v231
	v_cmp_gt_f64_e32 vcc, 0, v[230:231]
	v_cmp_gt_f64_e64 s[0:1], 0, v[228:229]
	v_mov_b32_e32 v234, v228
	v_mov_b32_e32 v236, v230
	v_cndmask_b32_e64 v235, v229, v235, s[0:1]
	v_cndmask_b32_e32 v237, v231, v237, vcc
	v_add_f64 v[234:235], v[234:235], v[236:237]
	v_mov_b32_e32 v238, s16
	s_add_i32 s16, s16, 1
	v_cmp_lt_f64_e32 vcc, v[232:233], v[234:235]
	v_add_u32_e32 v223, 16, v223
	s_cmp_lg_u32 s20, s16
	v_cndmask_b32_e32 v213, v213, v229, vcc
	v_cndmask_b32_e32 v212, v212, v228, vcc
	;; [unrolled: 1-line block ×5, first 2 shown]
	s_cbranch_scc1 .LBB104_337
.LBB104_338:
	s_waitcnt lgkmcnt(0)
	v_cmp_eq_f64_e32 vcc, 0, v[212:213]
	v_cmp_eq_f64_e64 s[0:1], 0, v[214:215]
	s_and_b64 s[0:1], vcc, s[0:1]
	s_and_saveexec_b64 s[16:17], s[0:1]
	s_xor_b64 s[0:1], exec, s[16:17]
; %bb.339:
	v_cmp_ne_u32_e32 vcc, 0, v226
	s_nop 1
	v_cndmask_b32_e32 v226, 17, v226, vcc
; %bb.340:
	s_andn2_saveexec_b64 s[0:1], s[0:1]
	s_cbranch_execz .LBB104_346
; %bb.341:
	v_cmp_ngt_f64_e64 s[16:17], |v[212:213]|, |v[214:215]|
	s_and_saveexec_b64 s[18:19], s[16:17]
	s_xor_b64 s[16:17], exec, s[18:19]
	s_cbranch_execz .LBB104_343
; %bb.342:
	v_div_scale_f64 v[228:229], s[18:19], v[214:215], v[214:215], v[212:213]
	v_rcp_f64_e32 v[230:231], v[228:229]
	v_div_scale_f64 v[232:233], vcc, v[212:213], v[214:215], v[212:213]
	v_fma_f64 v[234:235], -v[228:229], v[230:231], 1.0
	v_fmac_f64_e32 v[230:231], v[230:231], v[234:235]
	v_fma_f64 v[234:235], -v[228:229], v[230:231], 1.0
	v_fmac_f64_e32 v[230:231], v[230:231], v[234:235]
	v_mul_f64 v[234:235], v[232:233], v[230:231]
	v_fma_f64 v[228:229], -v[228:229], v[234:235], v[232:233]
	v_div_fmas_f64 v[228:229], v[228:229], v[230:231], v[234:235]
	v_div_fixup_f64 v[228:229], v[228:229], v[214:215], v[212:213]
	v_fmac_f64_e32 v[214:215], v[212:213], v[228:229]
	v_div_scale_f64 v[212:213], s[18:19], v[214:215], v[214:215], 1.0
	v_rcp_f64_e32 v[230:231], v[212:213]
	s_nop 0
	v_fma_f64 v[232:233], -v[212:213], v[230:231], 1.0
	v_fmac_f64_e32 v[230:231], v[230:231], v[232:233]
	v_fma_f64 v[232:233], -v[212:213], v[230:231], 1.0
	v_fmac_f64_e32 v[230:231], v[230:231], v[232:233]
	v_div_scale_f64 v[232:233], vcc, 1.0, v[214:215], 1.0
	v_mul_f64 v[234:235], v[232:233], v[230:231]
	v_fma_f64 v[212:213], -v[212:213], v[234:235], v[232:233]
	s_nop 1
	v_div_fmas_f64 v[212:213], v[212:213], v[230:231], v[234:235]
	v_div_fixup_f64 v[214:215], v[212:213], v[214:215], 1.0
	v_mul_f64 v[212:213], v[228:229], v[214:215]
	v_xor_b32_e32 v215, 0x80000000, v215
.LBB104_343:
	s_andn2_saveexec_b64 s[16:17], s[16:17]
	s_cbranch_execz .LBB104_345
; %bb.344:
	v_div_scale_f64 v[228:229], s[18:19], v[212:213], v[212:213], v[214:215]
	v_rcp_f64_e32 v[230:231], v[228:229]
	v_div_scale_f64 v[232:233], vcc, v[214:215], v[212:213], v[214:215]
	v_fma_f64 v[234:235], -v[228:229], v[230:231], 1.0
	v_fmac_f64_e32 v[230:231], v[230:231], v[234:235]
	v_fma_f64 v[234:235], -v[228:229], v[230:231], 1.0
	v_fmac_f64_e32 v[230:231], v[230:231], v[234:235]
	v_mul_f64 v[234:235], v[232:233], v[230:231]
	v_fma_f64 v[228:229], -v[228:229], v[234:235], v[232:233]
	v_div_fmas_f64 v[228:229], v[228:229], v[230:231], v[234:235]
	v_div_fixup_f64 v[228:229], v[228:229], v[212:213], v[214:215]
	v_fmac_f64_e32 v[212:213], v[214:215], v[228:229]
	v_div_scale_f64 v[214:215], s[18:19], v[212:213], v[212:213], 1.0
	v_rcp_f64_e32 v[230:231], v[214:215]
	s_nop 0
	v_fma_f64 v[232:233], -v[214:215], v[230:231], 1.0
	v_fmac_f64_e32 v[230:231], v[230:231], v[232:233]
	v_fma_f64 v[232:233], -v[214:215], v[230:231], 1.0
	v_fmac_f64_e32 v[230:231], v[230:231], v[232:233]
	v_div_scale_f64 v[232:233], vcc, 1.0, v[212:213], 1.0
	v_mul_f64 v[234:235], v[232:233], v[230:231]
	v_fma_f64 v[214:215], -v[214:215], v[234:235], v[232:233]
	s_nop 1
	v_div_fmas_f64 v[214:215], v[214:215], v[230:231], v[234:235]
	v_div_fixup_f64 v[212:213], v[214:215], v[212:213], 1.0
	v_mul_f64 v[214:215], v[228:229], -v[212:213]
.LBB104_345:
	s_or_b64 exec, exec, s[16:17]
.LBB104_346:
	s_or_b64 exec, exec, s[0:1]
	v_cmp_ne_u32_e32 vcc, v225, v222
	s_and_saveexec_b64 s[0:1], vcc
	s_xor_b64 s[0:1], exec, s[0:1]
	s_cbranch_execz .LBB104_352
; %bb.347:
	v_cmp_eq_u32_e32 vcc, 16, v225
	s_and_saveexec_b64 s[16:17], vcc
	s_cbranch_execz .LBB104_351
; %bb.348:
	v_cmp_ne_u32_e32 vcc, 16, v222
	s_xor_b64 s[18:19], s[14:15], -1
	s_and_b64 s[22:23], s[18:19], vcc
	s_and_saveexec_b64 s[18:19], s[22:23]
	s_cbranch_execz .LBB104_350
; %bb.349:
	v_ashrrev_i32_e32 v223, 31, v222
	v_lshl_add_u64 v[228:229], v[222:223], 2, v[220:221]
	global_load_dword v223, v[228:229], off
	global_load_dword v225, v[220:221], off offset:64
	s_waitcnt vmcnt(1)
	global_store_dword v[220:221], v223, off offset:64
	s_waitcnt vmcnt(1)
	global_store_dword v[228:229], v225, off
.LBB104_350:
	s_or_b64 exec, exec, s[18:19]
	v_mov_b32_e32 v225, v222
	v_mov_b32_e32 v227, v222
.LBB104_351:
	s_or_b64 exec, exec, s[16:17]
.LBB104_352:
	s_andn2_saveexec_b64 s[0:1], s[0:1]
	s_cbranch_execz .LBB104_354
; %bb.353:
	v_mov_b32_e32 v225, 16
	s_waitcnt vmcnt(35)
	ds_write2_b64 v224, v[140:141], v[142:143] offset0:34 offset1:35
	s_waitcnt vmcnt(34)
	ds_write2_b64 v224, v[132:133], v[134:135] offset0:36 offset1:37
	;; [unrolled: 2-line block ×36, first 2 shown]
.LBB104_354:
	s_or_b64 exec, exec, s[0:1]
	v_cmp_lt_i32_e32 vcc, 16, v225
	s_waitcnt lgkmcnt(0)
	s_barrier
	s_and_saveexec_b64 s[0:1], vcc
	s_cbranch_execz .LBB104_356
; %bb.355:
	ds_read2_b64 v[228:231], v224 offset0:34 offset1:35
	v_mul_f64 v[222:223], v[214:215], v[150:151]
	v_mul_f64 v[150:151], v[212:213], v[150:151]
	v_fma_f64 v[222:223], v[212:213], v[148:149], -v[222:223]
	v_fmac_f64_e32 v[150:151], v[214:215], v[148:149]
	ds_read2_b64 v[212:215], v224 offset0:36 offset1:37
	s_waitcnt lgkmcnt(1)
	v_mul_f64 v[148:149], v[230:231], v[150:151]
	v_fma_f64 v[148:149], v[228:229], v[222:223], -v[148:149]
	v_mul_f64 v[228:229], v[228:229], v[150:151]
	v_fmac_f64_e32 v[228:229], v[230:231], v[222:223]
	s_waitcnt vmcnt(35)
	v_add_f64 v[140:141], v[140:141], -v[148:149]
	s_waitcnt lgkmcnt(0)
	v_mul_f64 v[148:149], v[214:215], v[150:151]
	v_add_f64 v[142:143], v[142:143], -v[228:229]
	v_fma_f64 v[148:149], v[212:213], v[222:223], -v[148:149]
	v_mul_f64 v[212:213], v[212:213], v[150:151]
	ds_read2_b64 v[228:231], v224 offset0:38 offset1:39
	v_fmac_f64_e32 v[212:213], v[214:215], v[222:223]
	s_waitcnt vmcnt(34)
	v_add_f64 v[134:135], v[134:135], -v[212:213]
	ds_read2_b64 v[212:215], v224 offset0:40 offset1:41
	v_add_f64 v[132:133], v[132:133], -v[148:149]
	s_waitcnt lgkmcnt(1)
	v_mul_f64 v[148:149], v[230:231], v[150:151]
	v_fma_f64 v[148:149], v[228:229], v[222:223], -v[148:149]
	v_mul_f64 v[228:229], v[228:229], v[150:151]
	v_fmac_f64_e32 v[228:229], v[230:231], v[222:223]
	s_waitcnt vmcnt(33)
	v_add_f64 v[128:129], v[128:129], -v[148:149]
	s_waitcnt lgkmcnt(0)
	v_mul_f64 v[148:149], v[214:215], v[150:151]
	v_add_f64 v[130:131], v[130:131], -v[228:229]
	v_fma_f64 v[148:149], v[212:213], v[222:223], -v[148:149]
	v_mul_f64 v[212:213], v[212:213], v[150:151]
	ds_read2_b64 v[228:231], v224 offset0:42 offset1:43
	v_fmac_f64_e32 v[212:213], v[214:215], v[222:223]
	s_waitcnt vmcnt(32)
	v_add_f64 v[126:127], v[126:127], -v[212:213]
	ds_read2_b64 v[212:215], v224 offset0:44 offset1:45
	v_add_f64 v[124:125], v[124:125], -v[148:149]
	s_waitcnt lgkmcnt(1)
	v_mul_f64 v[148:149], v[230:231], v[150:151]
	v_fma_f64 v[148:149], v[228:229], v[222:223], -v[148:149]
	v_mul_f64 v[228:229], v[228:229], v[150:151]
	v_fmac_f64_e32 v[228:229], v[230:231], v[222:223]
	s_waitcnt vmcnt(31)
	v_add_f64 v[120:121], v[120:121], -v[148:149]
	s_waitcnt lgkmcnt(0)
	v_mul_f64 v[148:149], v[214:215], v[150:151]
	v_add_f64 v[122:123], v[122:123], -v[228:229]
	v_fma_f64 v[148:149], v[212:213], v[222:223], -v[148:149]
	v_mul_f64 v[212:213], v[212:213], v[150:151]
	ds_read2_b64 v[228:231], v224 offset0:46 offset1:47
	v_fmac_f64_e32 v[212:213], v[214:215], v[222:223]
	s_waitcnt vmcnt(30)
	v_add_f64 v[118:119], v[118:119], -v[212:213]
	ds_read2_b64 v[212:215], v224 offset0:48 offset1:49
	v_add_f64 v[116:117], v[116:117], -v[148:149]
	s_waitcnt lgkmcnt(1)
	v_mul_f64 v[148:149], v[230:231], v[150:151]
	v_fma_f64 v[148:149], v[228:229], v[222:223], -v[148:149]
	v_mul_f64 v[228:229], v[228:229], v[150:151]
	v_fmac_f64_e32 v[228:229], v[230:231], v[222:223]
	s_waitcnt vmcnt(29)
	v_add_f64 v[112:113], v[112:113], -v[148:149]
	s_waitcnt lgkmcnt(0)
	v_mul_f64 v[148:149], v[214:215], v[150:151]
	v_add_f64 v[114:115], v[114:115], -v[228:229]
	v_fma_f64 v[148:149], v[212:213], v[222:223], -v[148:149]
	v_mul_f64 v[212:213], v[212:213], v[150:151]
	ds_read2_b64 v[228:231], v224 offset0:50 offset1:51
	v_fmac_f64_e32 v[212:213], v[214:215], v[222:223]
	s_waitcnt vmcnt(28)
	v_add_f64 v[110:111], v[110:111], -v[212:213]
	ds_read2_b64 v[212:215], v224 offset0:52 offset1:53
	v_add_f64 v[108:109], v[108:109], -v[148:149]
	s_waitcnt lgkmcnt(1)
	v_mul_f64 v[148:149], v[230:231], v[150:151]
	v_fma_f64 v[148:149], v[228:229], v[222:223], -v[148:149]
	v_mul_f64 v[228:229], v[228:229], v[150:151]
	v_fmac_f64_e32 v[228:229], v[230:231], v[222:223]
	s_waitcnt vmcnt(27)
	v_add_f64 v[104:105], v[104:105], -v[148:149]
	s_waitcnt lgkmcnt(0)
	v_mul_f64 v[148:149], v[214:215], v[150:151]
	v_add_f64 v[106:107], v[106:107], -v[228:229]
	v_fma_f64 v[148:149], v[212:213], v[222:223], -v[148:149]
	v_mul_f64 v[212:213], v[212:213], v[150:151]
	ds_read2_b64 v[228:231], v224 offset0:54 offset1:55
	v_fmac_f64_e32 v[212:213], v[214:215], v[222:223]
	s_waitcnt vmcnt(26)
	v_add_f64 v[102:103], v[102:103], -v[212:213]
	ds_read2_b64 v[212:215], v224 offset0:56 offset1:57
	v_add_f64 v[100:101], v[100:101], -v[148:149]
	s_waitcnt lgkmcnt(1)
	v_mul_f64 v[148:149], v[230:231], v[150:151]
	v_fma_f64 v[148:149], v[228:229], v[222:223], -v[148:149]
	v_mul_f64 v[228:229], v[228:229], v[150:151]
	v_fmac_f64_e32 v[228:229], v[230:231], v[222:223]
	s_waitcnt vmcnt(25)
	v_add_f64 v[96:97], v[96:97], -v[148:149]
	s_waitcnt lgkmcnt(0)
	v_mul_f64 v[148:149], v[214:215], v[150:151]
	v_add_f64 v[98:99], v[98:99], -v[228:229]
	v_fma_f64 v[148:149], v[212:213], v[222:223], -v[148:149]
	v_mul_f64 v[212:213], v[212:213], v[150:151]
	ds_read2_b64 v[228:231], v224 offset0:58 offset1:59
	v_fmac_f64_e32 v[212:213], v[214:215], v[222:223]
	s_waitcnt vmcnt(24)
	v_add_f64 v[94:95], v[94:95], -v[212:213]
	ds_read2_b64 v[212:215], v224 offset0:60 offset1:61
	v_add_f64 v[92:93], v[92:93], -v[148:149]
	s_waitcnt lgkmcnt(1)
	v_mul_f64 v[148:149], v[230:231], v[150:151]
	v_fma_f64 v[148:149], v[228:229], v[222:223], -v[148:149]
	v_mul_f64 v[228:229], v[228:229], v[150:151]
	v_fmac_f64_e32 v[228:229], v[230:231], v[222:223]
	s_waitcnt vmcnt(23)
	v_add_f64 v[88:89], v[88:89], -v[148:149]
	s_waitcnt lgkmcnt(0)
	v_mul_f64 v[148:149], v[214:215], v[150:151]
	v_add_f64 v[90:91], v[90:91], -v[228:229]
	v_fma_f64 v[148:149], v[212:213], v[222:223], -v[148:149]
	v_mul_f64 v[212:213], v[212:213], v[150:151]
	ds_read2_b64 v[228:231], v224 offset0:62 offset1:63
	v_fmac_f64_e32 v[212:213], v[214:215], v[222:223]
	s_waitcnt vmcnt(22)
	v_add_f64 v[86:87], v[86:87], -v[212:213]
	ds_read2_b64 v[212:215], v224 offset0:64 offset1:65
	v_add_f64 v[84:85], v[84:85], -v[148:149]
	s_waitcnt lgkmcnt(1)
	v_mul_f64 v[148:149], v[230:231], v[150:151]
	v_fma_f64 v[148:149], v[228:229], v[222:223], -v[148:149]
	v_mul_f64 v[228:229], v[228:229], v[150:151]
	v_fmac_f64_e32 v[228:229], v[230:231], v[222:223]
	s_waitcnt vmcnt(21)
	v_add_f64 v[80:81], v[80:81], -v[148:149]
	s_waitcnt lgkmcnt(0)
	v_mul_f64 v[148:149], v[214:215], v[150:151]
	v_add_f64 v[82:83], v[82:83], -v[228:229]
	v_fma_f64 v[148:149], v[212:213], v[222:223], -v[148:149]
	v_mul_f64 v[212:213], v[212:213], v[150:151]
	ds_read2_b64 v[228:231], v224 offset0:66 offset1:67
	v_fmac_f64_e32 v[212:213], v[214:215], v[222:223]
	s_waitcnt vmcnt(20)
	v_add_f64 v[78:79], v[78:79], -v[212:213]
	ds_read2_b64 v[212:215], v224 offset0:68 offset1:69
	v_add_f64 v[76:77], v[76:77], -v[148:149]
	s_waitcnt lgkmcnt(1)
	v_mul_f64 v[148:149], v[230:231], v[150:151]
	v_fma_f64 v[148:149], v[228:229], v[222:223], -v[148:149]
	v_mul_f64 v[228:229], v[228:229], v[150:151]
	v_fmac_f64_e32 v[228:229], v[230:231], v[222:223]
	s_waitcnt vmcnt(19)
	v_add_f64 v[72:73], v[72:73], -v[148:149]
	s_waitcnt lgkmcnt(0)
	v_mul_f64 v[148:149], v[214:215], v[150:151]
	v_add_f64 v[74:75], v[74:75], -v[228:229]
	v_fma_f64 v[148:149], v[212:213], v[222:223], -v[148:149]
	v_mul_f64 v[212:213], v[212:213], v[150:151]
	ds_read2_b64 v[228:231], v224 offset0:70 offset1:71
	v_fmac_f64_e32 v[212:213], v[214:215], v[222:223]
	s_waitcnt vmcnt(18)
	v_add_f64 v[70:71], v[70:71], -v[212:213]
	ds_read2_b64 v[212:215], v224 offset0:72 offset1:73
	v_add_f64 v[68:69], v[68:69], -v[148:149]
	s_waitcnt lgkmcnt(1)
	v_mul_f64 v[148:149], v[230:231], v[150:151]
	v_fma_f64 v[148:149], v[228:229], v[222:223], -v[148:149]
	v_mul_f64 v[228:229], v[228:229], v[150:151]
	v_fmac_f64_e32 v[228:229], v[230:231], v[222:223]
	s_waitcnt vmcnt(17)
	v_add_f64 v[64:65], v[64:65], -v[148:149]
	s_waitcnt lgkmcnt(0)
	v_mul_f64 v[148:149], v[214:215], v[150:151]
	v_add_f64 v[66:67], v[66:67], -v[228:229]
	v_fma_f64 v[148:149], v[212:213], v[222:223], -v[148:149]
	v_mul_f64 v[212:213], v[212:213], v[150:151]
	ds_read2_b64 v[228:231], v224 offset0:74 offset1:75
	v_fmac_f64_e32 v[212:213], v[214:215], v[222:223]
	s_waitcnt vmcnt(16)
	v_add_f64 v[62:63], v[62:63], -v[212:213]
	ds_read2_b64 v[212:215], v224 offset0:76 offset1:77
	v_add_f64 v[60:61], v[60:61], -v[148:149]
	s_waitcnt lgkmcnt(1)
	v_mul_f64 v[148:149], v[230:231], v[150:151]
	v_fma_f64 v[148:149], v[228:229], v[222:223], -v[148:149]
	v_mul_f64 v[228:229], v[228:229], v[150:151]
	v_fmac_f64_e32 v[228:229], v[230:231], v[222:223]
	s_waitcnt vmcnt(15)
	v_add_f64 v[56:57], v[56:57], -v[148:149]
	s_waitcnt lgkmcnt(0)
	v_mul_f64 v[148:149], v[214:215], v[150:151]
	v_add_f64 v[58:59], v[58:59], -v[228:229]
	v_fma_f64 v[148:149], v[212:213], v[222:223], -v[148:149]
	v_mul_f64 v[212:213], v[212:213], v[150:151]
	ds_read2_b64 v[228:231], v224 offset0:78 offset1:79
	v_fmac_f64_e32 v[212:213], v[214:215], v[222:223]
	s_waitcnt vmcnt(14)
	v_add_f64 v[54:55], v[54:55], -v[212:213]
	ds_read2_b64 v[212:215], v224 offset0:80 offset1:81
	v_add_f64 v[52:53], v[52:53], -v[148:149]
	s_waitcnt lgkmcnt(1)
	v_mul_f64 v[148:149], v[230:231], v[150:151]
	v_fma_f64 v[148:149], v[228:229], v[222:223], -v[148:149]
	v_mul_f64 v[228:229], v[228:229], v[150:151]
	v_fmac_f64_e32 v[228:229], v[230:231], v[222:223]
	s_waitcnt vmcnt(13)
	v_add_f64 v[48:49], v[48:49], -v[148:149]
	s_waitcnt lgkmcnt(0)
	v_mul_f64 v[148:149], v[214:215], v[150:151]
	v_add_f64 v[50:51], v[50:51], -v[228:229]
	v_fma_f64 v[148:149], v[212:213], v[222:223], -v[148:149]
	v_mul_f64 v[212:213], v[212:213], v[150:151]
	ds_read2_b64 v[228:231], v224 offset0:82 offset1:83
	v_fmac_f64_e32 v[212:213], v[214:215], v[222:223]
	s_waitcnt vmcnt(12)
	v_add_f64 v[46:47], v[46:47], -v[212:213]
	ds_read2_b64 v[212:215], v224 offset0:84 offset1:85
	v_add_f64 v[44:45], v[44:45], -v[148:149]
	s_waitcnt lgkmcnt(1)
	v_mul_f64 v[148:149], v[230:231], v[150:151]
	v_fma_f64 v[148:149], v[228:229], v[222:223], -v[148:149]
	v_mul_f64 v[228:229], v[228:229], v[150:151]
	v_fmac_f64_e32 v[228:229], v[230:231], v[222:223]
	s_waitcnt vmcnt(11)
	v_add_f64 v[40:41], v[40:41], -v[148:149]
	s_waitcnt lgkmcnt(0)
	v_mul_f64 v[148:149], v[214:215], v[150:151]
	v_add_f64 v[42:43], v[42:43], -v[228:229]
	v_fma_f64 v[148:149], v[212:213], v[222:223], -v[148:149]
	v_mul_f64 v[212:213], v[212:213], v[150:151]
	ds_read2_b64 v[228:231], v224 offset0:86 offset1:87
	v_fmac_f64_e32 v[212:213], v[214:215], v[222:223]
	s_waitcnt vmcnt(10)
	v_add_f64 v[38:39], v[38:39], -v[212:213]
	ds_read2_b64 v[212:215], v224 offset0:88 offset1:89
	v_add_f64 v[36:37], v[36:37], -v[148:149]
	s_waitcnt lgkmcnt(1)
	v_mul_f64 v[148:149], v[230:231], v[150:151]
	v_fma_f64 v[148:149], v[228:229], v[222:223], -v[148:149]
	v_mul_f64 v[228:229], v[228:229], v[150:151]
	v_fmac_f64_e32 v[228:229], v[230:231], v[222:223]
	s_waitcnt vmcnt(9)
	v_add_f64 v[32:33], v[32:33], -v[148:149]
	s_waitcnt lgkmcnt(0)
	v_mul_f64 v[148:149], v[214:215], v[150:151]
	v_add_f64 v[34:35], v[34:35], -v[228:229]
	v_fma_f64 v[148:149], v[212:213], v[222:223], -v[148:149]
	v_mul_f64 v[212:213], v[212:213], v[150:151]
	ds_read2_b64 v[228:231], v224 offset0:90 offset1:91
	v_fmac_f64_e32 v[212:213], v[214:215], v[222:223]
	s_waitcnt vmcnt(8)
	v_add_f64 v[30:31], v[30:31], -v[212:213]
	ds_read2_b64 v[212:215], v224 offset0:92 offset1:93
	v_add_f64 v[28:29], v[28:29], -v[148:149]
	s_waitcnt lgkmcnt(1)
	v_mul_f64 v[148:149], v[230:231], v[150:151]
	v_fma_f64 v[148:149], v[228:229], v[222:223], -v[148:149]
	v_mul_f64 v[228:229], v[228:229], v[150:151]
	v_fmac_f64_e32 v[228:229], v[230:231], v[222:223]
	s_waitcnt vmcnt(7)
	v_add_f64 v[24:25], v[24:25], -v[148:149]
	s_waitcnt lgkmcnt(0)
	v_mul_f64 v[148:149], v[214:215], v[150:151]
	v_add_f64 v[26:27], v[26:27], -v[228:229]
	v_fma_f64 v[148:149], v[212:213], v[222:223], -v[148:149]
	v_mul_f64 v[212:213], v[212:213], v[150:151]
	ds_read2_b64 v[228:231], v224 offset0:94 offset1:95
	v_fmac_f64_e32 v[212:213], v[214:215], v[222:223]
	s_waitcnt vmcnt(6)
	v_add_f64 v[22:23], v[22:23], -v[212:213]
	ds_read2_b64 v[212:215], v224 offset0:96 offset1:97
	v_add_f64 v[20:21], v[20:21], -v[148:149]
	s_waitcnt lgkmcnt(1)
	v_mul_f64 v[148:149], v[230:231], v[150:151]
	v_fma_f64 v[148:149], v[228:229], v[222:223], -v[148:149]
	v_mul_f64 v[228:229], v[228:229], v[150:151]
	v_fmac_f64_e32 v[228:229], v[230:231], v[222:223]
	s_waitcnt vmcnt(5)
	v_add_f64 v[16:17], v[16:17], -v[148:149]
	s_waitcnt lgkmcnt(0)
	v_mul_f64 v[148:149], v[214:215], v[150:151]
	v_add_f64 v[18:19], v[18:19], -v[228:229]
	v_fma_f64 v[148:149], v[212:213], v[222:223], -v[148:149]
	v_mul_f64 v[212:213], v[212:213], v[150:151]
	ds_read2_b64 v[228:231], v224 offset0:98 offset1:99
	v_fmac_f64_e32 v[212:213], v[214:215], v[222:223]
	s_waitcnt vmcnt(4)
	v_add_f64 v[14:15], v[14:15], -v[212:213]
	ds_read2_b64 v[212:215], v224 offset0:100 offset1:101
	v_add_f64 v[12:13], v[12:13], -v[148:149]
	s_waitcnt lgkmcnt(1)
	v_mul_f64 v[148:149], v[230:231], v[150:151]
	v_fma_f64 v[148:149], v[228:229], v[222:223], -v[148:149]
	v_mul_f64 v[228:229], v[228:229], v[150:151]
	v_fmac_f64_e32 v[228:229], v[230:231], v[222:223]
	s_waitcnt vmcnt(3)
	v_add_f64 v[8:9], v[8:9], -v[148:149]
	s_waitcnt lgkmcnt(0)
	v_mul_f64 v[148:149], v[214:215], v[150:151]
	v_add_f64 v[10:11], v[10:11], -v[228:229]
	v_fma_f64 v[148:149], v[212:213], v[222:223], -v[148:149]
	v_mul_f64 v[212:213], v[212:213], v[150:151]
	ds_read2_b64 v[228:231], v224 offset0:102 offset1:103
	v_fmac_f64_e32 v[212:213], v[214:215], v[222:223]
	s_waitcnt vmcnt(2)
	v_add_f64 v[6:7], v[6:7], -v[212:213]
	ds_read2_b64 v[212:215], v224 offset0:104 offset1:105
	v_add_f64 v[4:5], v[4:5], -v[148:149]
	s_waitcnt lgkmcnt(1)
	v_mul_f64 v[148:149], v[230:231], v[150:151]
	v_fma_f64 v[148:149], v[228:229], v[222:223], -v[148:149]
	s_waitcnt vmcnt(1)
	v_add_f64 v[0:1], v[0:1], -v[148:149]
	s_waitcnt lgkmcnt(0)
	v_mul_f64 v[148:149], v[214:215], v[150:151]
	v_mul_f64 v[228:229], v[228:229], v[150:151]
	v_fma_f64 v[148:149], v[212:213], v[222:223], -v[148:149]
	v_mul_f64 v[212:213], v[212:213], v[150:151]
	v_fmac_f64_e32 v[228:229], v[230:231], v[222:223]
	v_fmac_f64_e32 v[212:213], v[214:215], v[222:223]
	v_add_f64 v[2:3], v[2:3], -v[228:229]
	s_waitcnt vmcnt(0)
	v_add_f64 v[208:209], v[208:209], -v[148:149]
	v_add_f64 v[210:211], v[210:211], -v[212:213]
	v_mov_b64_e32 v[148:149], v[222:223]
.LBB104_356:
	s_or_b64 exec, exec, s[0:1]
	v_lshl_add_u32 v212, v225, 4, v224
	s_barrier
	s_waitcnt vmcnt(35)
	ds_write2_b64 v212, v[140:141], v[142:143] offset1:1
	s_waitcnt lgkmcnt(0)
	s_barrier
	ds_read2_b64 v[212:215], v224 offset0:34 offset1:35
	s_cmp_lt_i32 s20, 19
	v_mov_b32_e32 v222, 17
	s_cbranch_scc1 .LBB104_359
; %bb.357:
	v_add_u32_e32 v223, 0x120, v224
	s_mov_b32 s16, 18
	v_mov_b32_e32 v222, 17
.LBB104_358:                            ; =>This Inner Loop Header: Depth=1
	ds_read2_b64 v[228:231], v223 offset1:1
	s_waitcnt lgkmcnt(1)
	v_xor_b32_e32 v233, 0x80000000, v213
	v_xor_b32_e32 v235, 0x80000000, v215
	v_cmp_gt_f64_e32 vcc, 0, v[214:215]
	v_cmp_gt_f64_e64 s[0:1], 0, v[212:213]
	v_mov_b32_e32 v232, v212
	v_mov_b32_e32 v234, v214
	v_cndmask_b32_e64 v233, v213, v233, s[0:1]
	v_cndmask_b32_e32 v235, v215, v235, vcc
	v_add_f64 v[232:233], v[232:233], v[234:235]
	s_waitcnt lgkmcnt(0)
	v_xor_b32_e32 v235, 0x80000000, v229
	v_xor_b32_e32 v237, 0x80000000, v231
	v_cmp_gt_f64_e32 vcc, 0, v[230:231]
	v_cmp_gt_f64_e64 s[0:1], 0, v[228:229]
	v_mov_b32_e32 v234, v228
	v_mov_b32_e32 v236, v230
	v_cndmask_b32_e64 v235, v229, v235, s[0:1]
	v_cndmask_b32_e32 v237, v231, v237, vcc
	v_add_f64 v[234:235], v[234:235], v[236:237]
	v_mov_b32_e32 v238, s16
	s_add_i32 s16, s16, 1
	v_cmp_lt_f64_e32 vcc, v[232:233], v[234:235]
	v_add_u32_e32 v223, 16, v223
	s_cmp_lg_u32 s20, s16
	v_cndmask_b32_e32 v213, v213, v229, vcc
	v_cndmask_b32_e32 v212, v212, v228, vcc
	v_cndmask_b32_e32 v215, v215, v231, vcc
	v_cndmask_b32_e32 v214, v214, v230, vcc
	v_cndmask_b32_e32 v222, v222, v238, vcc
	s_cbranch_scc1 .LBB104_358
.LBB104_359:
	s_waitcnt lgkmcnt(0)
	v_cmp_eq_f64_e32 vcc, 0, v[212:213]
	v_cmp_eq_f64_e64 s[0:1], 0, v[214:215]
	s_and_b64 s[0:1], vcc, s[0:1]
	s_and_saveexec_b64 s[16:17], s[0:1]
	s_xor_b64 s[0:1], exec, s[16:17]
; %bb.360:
	v_cmp_ne_u32_e32 vcc, 0, v226
	s_nop 1
	v_cndmask_b32_e32 v226, 18, v226, vcc
; %bb.361:
	s_andn2_saveexec_b64 s[0:1], s[0:1]
	s_cbranch_execz .LBB104_367
; %bb.362:
	v_cmp_ngt_f64_e64 s[16:17], |v[212:213]|, |v[214:215]|
	s_and_saveexec_b64 s[18:19], s[16:17]
	s_xor_b64 s[16:17], exec, s[18:19]
	s_cbranch_execz .LBB104_364
; %bb.363:
	v_div_scale_f64 v[228:229], s[18:19], v[214:215], v[214:215], v[212:213]
	v_rcp_f64_e32 v[230:231], v[228:229]
	v_div_scale_f64 v[232:233], vcc, v[212:213], v[214:215], v[212:213]
	v_fma_f64 v[234:235], -v[228:229], v[230:231], 1.0
	v_fmac_f64_e32 v[230:231], v[230:231], v[234:235]
	v_fma_f64 v[234:235], -v[228:229], v[230:231], 1.0
	v_fmac_f64_e32 v[230:231], v[230:231], v[234:235]
	v_mul_f64 v[234:235], v[232:233], v[230:231]
	v_fma_f64 v[228:229], -v[228:229], v[234:235], v[232:233]
	v_div_fmas_f64 v[228:229], v[228:229], v[230:231], v[234:235]
	v_div_fixup_f64 v[228:229], v[228:229], v[214:215], v[212:213]
	v_fmac_f64_e32 v[214:215], v[212:213], v[228:229]
	v_div_scale_f64 v[212:213], s[18:19], v[214:215], v[214:215], 1.0
	v_rcp_f64_e32 v[230:231], v[212:213]
	s_nop 0
	v_fma_f64 v[232:233], -v[212:213], v[230:231], 1.0
	v_fmac_f64_e32 v[230:231], v[230:231], v[232:233]
	v_fma_f64 v[232:233], -v[212:213], v[230:231], 1.0
	v_fmac_f64_e32 v[230:231], v[230:231], v[232:233]
	v_div_scale_f64 v[232:233], vcc, 1.0, v[214:215], 1.0
	v_mul_f64 v[234:235], v[232:233], v[230:231]
	v_fma_f64 v[212:213], -v[212:213], v[234:235], v[232:233]
	s_nop 1
	v_div_fmas_f64 v[212:213], v[212:213], v[230:231], v[234:235]
	v_div_fixup_f64 v[214:215], v[212:213], v[214:215], 1.0
	v_mul_f64 v[212:213], v[228:229], v[214:215]
	v_xor_b32_e32 v215, 0x80000000, v215
.LBB104_364:
	s_andn2_saveexec_b64 s[16:17], s[16:17]
	s_cbranch_execz .LBB104_366
; %bb.365:
	v_div_scale_f64 v[228:229], s[18:19], v[212:213], v[212:213], v[214:215]
	v_rcp_f64_e32 v[230:231], v[228:229]
	v_div_scale_f64 v[232:233], vcc, v[214:215], v[212:213], v[214:215]
	v_fma_f64 v[234:235], -v[228:229], v[230:231], 1.0
	v_fmac_f64_e32 v[230:231], v[230:231], v[234:235]
	v_fma_f64 v[234:235], -v[228:229], v[230:231], 1.0
	v_fmac_f64_e32 v[230:231], v[230:231], v[234:235]
	v_mul_f64 v[234:235], v[232:233], v[230:231]
	v_fma_f64 v[228:229], -v[228:229], v[234:235], v[232:233]
	v_div_fmas_f64 v[228:229], v[228:229], v[230:231], v[234:235]
	v_div_fixup_f64 v[228:229], v[228:229], v[212:213], v[214:215]
	v_fmac_f64_e32 v[212:213], v[214:215], v[228:229]
	v_div_scale_f64 v[214:215], s[18:19], v[212:213], v[212:213], 1.0
	v_rcp_f64_e32 v[230:231], v[214:215]
	s_nop 0
	v_fma_f64 v[232:233], -v[214:215], v[230:231], 1.0
	v_fmac_f64_e32 v[230:231], v[230:231], v[232:233]
	v_fma_f64 v[232:233], -v[214:215], v[230:231], 1.0
	v_fmac_f64_e32 v[230:231], v[230:231], v[232:233]
	v_div_scale_f64 v[232:233], vcc, 1.0, v[212:213], 1.0
	v_mul_f64 v[234:235], v[232:233], v[230:231]
	v_fma_f64 v[214:215], -v[214:215], v[234:235], v[232:233]
	s_nop 1
	v_div_fmas_f64 v[214:215], v[214:215], v[230:231], v[234:235]
	v_div_fixup_f64 v[212:213], v[214:215], v[212:213], 1.0
	v_mul_f64 v[214:215], v[228:229], -v[212:213]
.LBB104_366:
	s_or_b64 exec, exec, s[16:17]
.LBB104_367:
	s_or_b64 exec, exec, s[0:1]
	v_cmp_ne_u32_e32 vcc, v225, v222
	s_and_saveexec_b64 s[0:1], vcc
	s_xor_b64 s[0:1], exec, s[0:1]
	s_cbranch_execz .LBB104_373
; %bb.368:
	v_cmp_eq_u32_e32 vcc, 17, v225
	s_and_saveexec_b64 s[16:17], vcc
	s_cbranch_execz .LBB104_372
; %bb.369:
	v_cmp_ne_u32_e32 vcc, 17, v222
	s_xor_b64 s[18:19], s[14:15], -1
	s_and_b64 s[22:23], s[18:19], vcc
	s_and_saveexec_b64 s[18:19], s[22:23]
	s_cbranch_execz .LBB104_371
; %bb.370:
	v_ashrrev_i32_e32 v223, 31, v222
	v_lshl_add_u64 v[228:229], v[222:223], 2, v[220:221]
	global_load_dword v223, v[228:229], off
	global_load_dword v225, v[220:221], off offset:68
	s_waitcnt vmcnt(1)
	global_store_dword v[220:221], v223, off offset:68
	s_waitcnt vmcnt(1)
	global_store_dword v[228:229], v225, off
.LBB104_371:
	s_or_b64 exec, exec, s[18:19]
	v_mov_b32_e32 v225, v222
	v_mov_b32_e32 v227, v222
.LBB104_372:
	s_or_b64 exec, exec, s[16:17]
.LBB104_373:
	s_andn2_saveexec_b64 s[0:1], s[0:1]
	s_cbranch_execz .LBB104_375
; %bb.374:
	v_mov_b32_e32 v225, 17
	s_waitcnt vmcnt(34)
	ds_write2_b64 v224, v[132:133], v[134:135] offset0:36 offset1:37
	s_waitcnt vmcnt(33)
	ds_write2_b64 v224, v[128:129], v[130:131] offset0:38 offset1:39
	;; [unrolled: 2-line block ×35, first 2 shown]
.LBB104_375:
	s_or_b64 exec, exec, s[0:1]
	v_cmp_lt_i32_e32 vcc, 17, v225
	s_waitcnt lgkmcnt(0)
	s_barrier
	s_and_saveexec_b64 s[0:1], vcc
	s_cbranch_execz .LBB104_377
; %bb.376:
	ds_read2_b64 v[228:231], v224 offset0:36 offset1:37
	v_mul_f64 v[222:223], v[214:215], v[142:143]
	v_mul_f64 v[142:143], v[212:213], v[142:143]
	v_fmac_f64_e32 v[142:143], v[214:215], v[140:141]
	v_fma_f64 v[222:223], v[212:213], v[140:141], -v[222:223]
	ds_read2_b64 v[212:215], v224 offset0:38 offset1:39
	s_waitcnt lgkmcnt(1)
	v_mul_f64 v[140:141], v[230:231], v[142:143]
	v_fma_f64 v[140:141], v[228:229], v[222:223], -v[140:141]
	v_mul_f64 v[228:229], v[228:229], v[142:143]
	v_fmac_f64_e32 v[228:229], v[230:231], v[222:223]
	s_waitcnt vmcnt(34)
	v_add_f64 v[134:135], v[134:135], -v[228:229]
	ds_read2_b64 v[228:231], v224 offset0:40 offset1:41
	v_add_f64 v[132:133], v[132:133], -v[140:141]
	s_waitcnt lgkmcnt(1)
	v_mul_f64 v[140:141], v[214:215], v[142:143]
	v_fma_f64 v[140:141], v[212:213], v[222:223], -v[140:141]
	v_mul_f64 v[212:213], v[212:213], v[142:143]
	v_fmac_f64_e32 v[212:213], v[214:215], v[222:223]
	s_waitcnt vmcnt(33)
	v_add_f64 v[128:129], v[128:129], -v[140:141]
	v_add_f64 v[130:131], v[130:131], -v[212:213]
	ds_read2_b64 v[212:215], v224 offset0:42 offset1:43
	s_waitcnt lgkmcnt(1)
	v_mul_f64 v[140:141], v[230:231], v[142:143]
	v_fma_f64 v[140:141], v[228:229], v[222:223], -v[140:141]
	v_mul_f64 v[228:229], v[228:229], v[142:143]
	v_fmac_f64_e32 v[228:229], v[230:231], v[222:223]
	s_waitcnt vmcnt(32)
	v_add_f64 v[126:127], v[126:127], -v[228:229]
	ds_read2_b64 v[228:231], v224 offset0:44 offset1:45
	v_add_f64 v[124:125], v[124:125], -v[140:141]
	s_waitcnt lgkmcnt(1)
	v_mul_f64 v[140:141], v[214:215], v[142:143]
	v_fma_f64 v[140:141], v[212:213], v[222:223], -v[140:141]
	v_mul_f64 v[212:213], v[212:213], v[142:143]
	v_fmac_f64_e32 v[212:213], v[214:215], v[222:223]
	s_waitcnt vmcnt(31)
	v_add_f64 v[120:121], v[120:121], -v[140:141]
	v_add_f64 v[122:123], v[122:123], -v[212:213]
	;; [unrolled: 18-line block ×17, first 2 shown]
	s_waitcnt lgkmcnt(0)
	v_mul_f64 v[140:141], v[230:231], v[142:143]
	v_mul_f64 v[212:213], v[228:229], v[142:143]
	v_fma_f64 v[140:141], v[228:229], v[222:223], -v[140:141]
	v_fmac_f64_e32 v[212:213], v[230:231], v[222:223]
	s_waitcnt vmcnt(0)
	v_add_f64 v[208:209], v[208:209], -v[140:141]
	v_add_f64 v[210:211], v[210:211], -v[212:213]
	v_mov_b64_e32 v[140:141], v[222:223]
.LBB104_377:
	s_or_b64 exec, exec, s[0:1]
	v_lshl_add_u32 v212, v225, 4, v224
	s_barrier
	s_waitcnt vmcnt(34)
	ds_write2_b64 v212, v[132:133], v[134:135] offset1:1
	s_waitcnt lgkmcnt(0)
	s_barrier
	ds_read2_b64 v[212:215], v224 offset0:36 offset1:37
	s_cmp_lt_i32 s20, 20
	v_mov_b32_e32 v222, 18
	s_cbranch_scc1 .LBB104_380
; %bb.378:
	v_add_u32_e32 v223, 0x130, v224
	s_mov_b32 s16, 19
	v_mov_b32_e32 v222, 18
.LBB104_379:                            ; =>This Inner Loop Header: Depth=1
	ds_read2_b64 v[228:231], v223 offset1:1
	s_waitcnt lgkmcnt(1)
	v_xor_b32_e32 v233, 0x80000000, v213
	v_xor_b32_e32 v235, 0x80000000, v215
	v_cmp_gt_f64_e32 vcc, 0, v[214:215]
	v_cmp_gt_f64_e64 s[0:1], 0, v[212:213]
	v_mov_b32_e32 v232, v212
	v_mov_b32_e32 v234, v214
	v_cndmask_b32_e64 v233, v213, v233, s[0:1]
	v_cndmask_b32_e32 v235, v215, v235, vcc
	v_add_f64 v[232:233], v[232:233], v[234:235]
	s_waitcnt lgkmcnt(0)
	v_xor_b32_e32 v235, 0x80000000, v229
	v_xor_b32_e32 v237, 0x80000000, v231
	v_cmp_gt_f64_e32 vcc, 0, v[230:231]
	v_cmp_gt_f64_e64 s[0:1], 0, v[228:229]
	v_mov_b32_e32 v234, v228
	v_mov_b32_e32 v236, v230
	v_cndmask_b32_e64 v235, v229, v235, s[0:1]
	v_cndmask_b32_e32 v237, v231, v237, vcc
	v_add_f64 v[234:235], v[234:235], v[236:237]
	v_mov_b32_e32 v238, s16
	s_add_i32 s16, s16, 1
	v_cmp_lt_f64_e32 vcc, v[232:233], v[234:235]
	v_add_u32_e32 v223, 16, v223
	s_cmp_lg_u32 s20, s16
	v_cndmask_b32_e32 v213, v213, v229, vcc
	v_cndmask_b32_e32 v212, v212, v228, vcc
	;; [unrolled: 1-line block ×5, first 2 shown]
	s_cbranch_scc1 .LBB104_379
.LBB104_380:
	s_waitcnt lgkmcnt(0)
	v_cmp_eq_f64_e32 vcc, 0, v[212:213]
	v_cmp_eq_f64_e64 s[0:1], 0, v[214:215]
	s_and_b64 s[0:1], vcc, s[0:1]
	s_and_saveexec_b64 s[16:17], s[0:1]
	s_xor_b64 s[0:1], exec, s[16:17]
; %bb.381:
	v_cmp_ne_u32_e32 vcc, 0, v226
	s_nop 1
	v_cndmask_b32_e32 v226, 19, v226, vcc
; %bb.382:
	s_andn2_saveexec_b64 s[0:1], s[0:1]
	s_cbranch_execz .LBB104_388
; %bb.383:
	v_cmp_ngt_f64_e64 s[16:17], |v[212:213]|, |v[214:215]|
	s_and_saveexec_b64 s[18:19], s[16:17]
	s_xor_b64 s[16:17], exec, s[18:19]
	s_cbranch_execz .LBB104_385
; %bb.384:
	v_div_scale_f64 v[228:229], s[18:19], v[214:215], v[214:215], v[212:213]
	v_rcp_f64_e32 v[230:231], v[228:229]
	v_div_scale_f64 v[232:233], vcc, v[212:213], v[214:215], v[212:213]
	v_fma_f64 v[234:235], -v[228:229], v[230:231], 1.0
	v_fmac_f64_e32 v[230:231], v[230:231], v[234:235]
	v_fma_f64 v[234:235], -v[228:229], v[230:231], 1.0
	v_fmac_f64_e32 v[230:231], v[230:231], v[234:235]
	v_mul_f64 v[234:235], v[232:233], v[230:231]
	v_fma_f64 v[228:229], -v[228:229], v[234:235], v[232:233]
	v_div_fmas_f64 v[228:229], v[228:229], v[230:231], v[234:235]
	v_div_fixup_f64 v[228:229], v[228:229], v[214:215], v[212:213]
	v_fmac_f64_e32 v[214:215], v[212:213], v[228:229]
	v_div_scale_f64 v[212:213], s[18:19], v[214:215], v[214:215], 1.0
	v_rcp_f64_e32 v[230:231], v[212:213]
	s_nop 0
	v_fma_f64 v[232:233], -v[212:213], v[230:231], 1.0
	v_fmac_f64_e32 v[230:231], v[230:231], v[232:233]
	v_fma_f64 v[232:233], -v[212:213], v[230:231], 1.0
	v_fmac_f64_e32 v[230:231], v[230:231], v[232:233]
	v_div_scale_f64 v[232:233], vcc, 1.0, v[214:215], 1.0
	v_mul_f64 v[234:235], v[232:233], v[230:231]
	v_fma_f64 v[212:213], -v[212:213], v[234:235], v[232:233]
	s_nop 1
	v_div_fmas_f64 v[212:213], v[212:213], v[230:231], v[234:235]
	v_div_fixup_f64 v[214:215], v[212:213], v[214:215], 1.0
	v_mul_f64 v[212:213], v[228:229], v[214:215]
	v_xor_b32_e32 v215, 0x80000000, v215
.LBB104_385:
	s_andn2_saveexec_b64 s[16:17], s[16:17]
	s_cbranch_execz .LBB104_387
; %bb.386:
	v_div_scale_f64 v[228:229], s[18:19], v[212:213], v[212:213], v[214:215]
	v_rcp_f64_e32 v[230:231], v[228:229]
	v_div_scale_f64 v[232:233], vcc, v[214:215], v[212:213], v[214:215]
	v_fma_f64 v[234:235], -v[228:229], v[230:231], 1.0
	v_fmac_f64_e32 v[230:231], v[230:231], v[234:235]
	v_fma_f64 v[234:235], -v[228:229], v[230:231], 1.0
	v_fmac_f64_e32 v[230:231], v[230:231], v[234:235]
	v_mul_f64 v[234:235], v[232:233], v[230:231]
	v_fma_f64 v[228:229], -v[228:229], v[234:235], v[232:233]
	v_div_fmas_f64 v[228:229], v[228:229], v[230:231], v[234:235]
	v_div_fixup_f64 v[228:229], v[228:229], v[212:213], v[214:215]
	v_fmac_f64_e32 v[212:213], v[214:215], v[228:229]
	v_div_scale_f64 v[214:215], s[18:19], v[212:213], v[212:213], 1.0
	v_rcp_f64_e32 v[230:231], v[214:215]
	s_nop 0
	v_fma_f64 v[232:233], -v[214:215], v[230:231], 1.0
	v_fmac_f64_e32 v[230:231], v[230:231], v[232:233]
	v_fma_f64 v[232:233], -v[214:215], v[230:231], 1.0
	v_fmac_f64_e32 v[230:231], v[230:231], v[232:233]
	v_div_scale_f64 v[232:233], vcc, 1.0, v[212:213], 1.0
	v_mul_f64 v[234:235], v[232:233], v[230:231]
	v_fma_f64 v[214:215], -v[214:215], v[234:235], v[232:233]
	s_nop 1
	v_div_fmas_f64 v[214:215], v[214:215], v[230:231], v[234:235]
	v_div_fixup_f64 v[212:213], v[214:215], v[212:213], 1.0
	v_mul_f64 v[214:215], v[228:229], -v[212:213]
.LBB104_387:
	s_or_b64 exec, exec, s[16:17]
.LBB104_388:
	s_or_b64 exec, exec, s[0:1]
	v_cmp_ne_u32_e32 vcc, v225, v222
	s_and_saveexec_b64 s[0:1], vcc
	s_xor_b64 s[0:1], exec, s[0:1]
	s_cbranch_execz .LBB104_394
; %bb.389:
	v_cmp_eq_u32_e32 vcc, 18, v225
	s_and_saveexec_b64 s[16:17], vcc
	s_cbranch_execz .LBB104_393
; %bb.390:
	v_cmp_ne_u32_e32 vcc, 18, v222
	s_xor_b64 s[18:19], s[14:15], -1
	s_and_b64 s[22:23], s[18:19], vcc
	s_and_saveexec_b64 s[18:19], s[22:23]
	s_cbranch_execz .LBB104_392
; %bb.391:
	v_ashrrev_i32_e32 v223, 31, v222
	v_lshl_add_u64 v[228:229], v[222:223], 2, v[220:221]
	global_load_dword v223, v[228:229], off
	global_load_dword v225, v[220:221], off offset:72
	s_waitcnt vmcnt(1)
	global_store_dword v[220:221], v223, off offset:72
	s_waitcnt vmcnt(1)
	global_store_dword v[228:229], v225, off
.LBB104_392:
	s_or_b64 exec, exec, s[18:19]
	v_mov_b32_e32 v225, v222
	v_mov_b32_e32 v227, v222
.LBB104_393:
	s_or_b64 exec, exec, s[16:17]
.LBB104_394:
	s_andn2_saveexec_b64 s[0:1], s[0:1]
	s_cbranch_execz .LBB104_396
; %bb.395:
	v_mov_b32_e32 v225, 18
	s_waitcnt vmcnt(33)
	ds_write2_b64 v224, v[128:129], v[130:131] offset0:38 offset1:39
	s_waitcnt vmcnt(32)
	ds_write2_b64 v224, v[124:125], v[126:127] offset0:40 offset1:41
	;; [unrolled: 2-line block ×34, first 2 shown]
.LBB104_396:
	s_or_b64 exec, exec, s[0:1]
	v_cmp_lt_i32_e32 vcc, 18, v225
	s_waitcnt lgkmcnt(0)
	s_barrier
	s_and_saveexec_b64 s[0:1], vcc
	s_cbranch_execz .LBB104_398
; %bb.397:
	ds_read2_b64 v[228:231], v224 offset0:38 offset1:39
	v_mul_f64 v[222:223], v[214:215], v[134:135]
	v_mul_f64 v[134:135], v[212:213], v[134:135]
	v_fma_f64 v[222:223], v[212:213], v[132:133], -v[222:223]
	v_fmac_f64_e32 v[134:135], v[214:215], v[132:133]
	ds_read2_b64 v[212:215], v224 offset0:40 offset1:41
	s_waitcnt lgkmcnt(1)
	v_mul_f64 v[132:133], v[230:231], v[134:135]
	v_fma_f64 v[132:133], v[228:229], v[222:223], -v[132:133]
	v_mul_f64 v[228:229], v[228:229], v[134:135]
	v_fmac_f64_e32 v[228:229], v[230:231], v[222:223]
	s_waitcnt vmcnt(33)
	v_add_f64 v[128:129], v[128:129], -v[132:133]
	s_waitcnt lgkmcnt(0)
	v_mul_f64 v[132:133], v[214:215], v[134:135]
	v_add_f64 v[130:131], v[130:131], -v[228:229]
	v_fma_f64 v[132:133], v[212:213], v[222:223], -v[132:133]
	v_mul_f64 v[212:213], v[212:213], v[134:135]
	ds_read2_b64 v[228:231], v224 offset0:42 offset1:43
	v_fmac_f64_e32 v[212:213], v[214:215], v[222:223]
	s_waitcnt vmcnt(32)
	v_add_f64 v[126:127], v[126:127], -v[212:213]
	ds_read2_b64 v[212:215], v224 offset0:44 offset1:45
	v_add_f64 v[124:125], v[124:125], -v[132:133]
	s_waitcnt lgkmcnt(1)
	v_mul_f64 v[132:133], v[230:231], v[134:135]
	v_fma_f64 v[132:133], v[228:229], v[222:223], -v[132:133]
	v_mul_f64 v[228:229], v[228:229], v[134:135]
	v_fmac_f64_e32 v[228:229], v[230:231], v[222:223]
	s_waitcnt vmcnt(31)
	v_add_f64 v[120:121], v[120:121], -v[132:133]
	s_waitcnt lgkmcnt(0)
	v_mul_f64 v[132:133], v[214:215], v[134:135]
	v_add_f64 v[122:123], v[122:123], -v[228:229]
	v_fma_f64 v[132:133], v[212:213], v[222:223], -v[132:133]
	v_mul_f64 v[212:213], v[212:213], v[134:135]
	ds_read2_b64 v[228:231], v224 offset0:46 offset1:47
	v_fmac_f64_e32 v[212:213], v[214:215], v[222:223]
	s_waitcnt vmcnt(30)
	v_add_f64 v[118:119], v[118:119], -v[212:213]
	ds_read2_b64 v[212:215], v224 offset0:48 offset1:49
	v_add_f64 v[116:117], v[116:117], -v[132:133]
	;; [unrolled: 18-line block ×16, first 2 shown]
	s_waitcnt lgkmcnt(1)
	v_mul_f64 v[132:133], v[230:231], v[134:135]
	v_fma_f64 v[132:133], v[228:229], v[222:223], -v[132:133]
	s_waitcnt vmcnt(1)
	v_add_f64 v[0:1], v[0:1], -v[132:133]
	s_waitcnt lgkmcnt(0)
	v_mul_f64 v[132:133], v[214:215], v[134:135]
	v_mul_f64 v[228:229], v[228:229], v[134:135]
	v_fma_f64 v[132:133], v[212:213], v[222:223], -v[132:133]
	v_mul_f64 v[212:213], v[212:213], v[134:135]
	v_fmac_f64_e32 v[228:229], v[230:231], v[222:223]
	v_fmac_f64_e32 v[212:213], v[214:215], v[222:223]
	v_add_f64 v[2:3], v[2:3], -v[228:229]
	s_waitcnt vmcnt(0)
	v_add_f64 v[208:209], v[208:209], -v[132:133]
	v_add_f64 v[210:211], v[210:211], -v[212:213]
	v_mov_b64_e32 v[132:133], v[222:223]
.LBB104_398:
	s_or_b64 exec, exec, s[0:1]
	v_lshl_add_u32 v212, v225, 4, v224
	s_barrier
	s_waitcnt vmcnt(33)
	ds_write2_b64 v212, v[128:129], v[130:131] offset1:1
	s_waitcnt lgkmcnt(0)
	s_barrier
	ds_read2_b64 v[212:215], v224 offset0:38 offset1:39
	s_cmp_lt_i32 s20, 21
	v_mov_b32_e32 v222, 19
	s_cbranch_scc1 .LBB104_401
; %bb.399:
	v_add_u32_e32 v223, 0x140, v224
	s_mov_b32 s16, 20
	v_mov_b32_e32 v222, 19
.LBB104_400:                            ; =>This Inner Loop Header: Depth=1
	ds_read2_b64 v[228:231], v223 offset1:1
	s_waitcnt lgkmcnt(1)
	v_xor_b32_e32 v233, 0x80000000, v213
	v_xor_b32_e32 v235, 0x80000000, v215
	v_cmp_gt_f64_e32 vcc, 0, v[214:215]
	v_cmp_gt_f64_e64 s[0:1], 0, v[212:213]
	v_mov_b32_e32 v232, v212
	v_mov_b32_e32 v234, v214
	v_cndmask_b32_e64 v233, v213, v233, s[0:1]
	v_cndmask_b32_e32 v235, v215, v235, vcc
	v_add_f64 v[232:233], v[232:233], v[234:235]
	s_waitcnt lgkmcnt(0)
	v_xor_b32_e32 v235, 0x80000000, v229
	v_xor_b32_e32 v237, 0x80000000, v231
	v_cmp_gt_f64_e32 vcc, 0, v[230:231]
	v_cmp_gt_f64_e64 s[0:1], 0, v[228:229]
	v_mov_b32_e32 v234, v228
	v_mov_b32_e32 v236, v230
	v_cndmask_b32_e64 v235, v229, v235, s[0:1]
	v_cndmask_b32_e32 v237, v231, v237, vcc
	v_add_f64 v[234:235], v[234:235], v[236:237]
	v_mov_b32_e32 v238, s16
	s_add_i32 s16, s16, 1
	v_cmp_lt_f64_e32 vcc, v[232:233], v[234:235]
	v_add_u32_e32 v223, 16, v223
	s_cmp_lg_u32 s20, s16
	v_cndmask_b32_e32 v213, v213, v229, vcc
	v_cndmask_b32_e32 v212, v212, v228, vcc
	;; [unrolled: 1-line block ×5, first 2 shown]
	s_cbranch_scc1 .LBB104_400
.LBB104_401:
	s_waitcnt lgkmcnt(0)
	v_cmp_eq_f64_e32 vcc, 0, v[212:213]
	v_cmp_eq_f64_e64 s[0:1], 0, v[214:215]
	s_and_b64 s[0:1], vcc, s[0:1]
	s_and_saveexec_b64 s[16:17], s[0:1]
	s_xor_b64 s[0:1], exec, s[16:17]
; %bb.402:
	v_cmp_ne_u32_e32 vcc, 0, v226
	s_nop 1
	v_cndmask_b32_e32 v226, 20, v226, vcc
; %bb.403:
	s_andn2_saveexec_b64 s[0:1], s[0:1]
	s_cbranch_execz .LBB104_409
; %bb.404:
	v_cmp_ngt_f64_e64 s[16:17], |v[212:213]|, |v[214:215]|
	s_and_saveexec_b64 s[18:19], s[16:17]
	s_xor_b64 s[16:17], exec, s[18:19]
	s_cbranch_execz .LBB104_406
; %bb.405:
	v_div_scale_f64 v[228:229], s[18:19], v[214:215], v[214:215], v[212:213]
	v_rcp_f64_e32 v[230:231], v[228:229]
	v_div_scale_f64 v[232:233], vcc, v[212:213], v[214:215], v[212:213]
	v_fma_f64 v[234:235], -v[228:229], v[230:231], 1.0
	v_fmac_f64_e32 v[230:231], v[230:231], v[234:235]
	v_fma_f64 v[234:235], -v[228:229], v[230:231], 1.0
	v_fmac_f64_e32 v[230:231], v[230:231], v[234:235]
	v_mul_f64 v[234:235], v[232:233], v[230:231]
	v_fma_f64 v[228:229], -v[228:229], v[234:235], v[232:233]
	v_div_fmas_f64 v[228:229], v[228:229], v[230:231], v[234:235]
	v_div_fixup_f64 v[228:229], v[228:229], v[214:215], v[212:213]
	v_fmac_f64_e32 v[214:215], v[212:213], v[228:229]
	v_div_scale_f64 v[212:213], s[18:19], v[214:215], v[214:215], 1.0
	v_rcp_f64_e32 v[230:231], v[212:213]
	s_nop 0
	v_fma_f64 v[232:233], -v[212:213], v[230:231], 1.0
	v_fmac_f64_e32 v[230:231], v[230:231], v[232:233]
	v_fma_f64 v[232:233], -v[212:213], v[230:231], 1.0
	v_fmac_f64_e32 v[230:231], v[230:231], v[232:233]
	v_div_scale_f64 v[232:233], vcc, 1.0, v[214:215], 1.0
	v_mul_f64 v[234:235], v[232:233], v[230:231]
	v_fma_f64 v[212:213], -v[212:213], v[234:235], v[232:233]
	s_nop 1
	v_div_fmas_f64 v[212:213], v[212:213], v[230:231], v[234:235]
	v_div_fixup_f64 v[214:215], v[212:213], v[214:215], 1.0
	v_mul_f64 v[212:213], v[228:229], v[214:215]
	v_xor_b32_e32 v215, 0x80000000, v215
.LBB104_406:
	s_andn2_saveexec_b64 s[16:17], s[16:17]
	s_cbranch_execz .LBB104_408
; %bb.407:
	v_div_scale_f64 v[228:229], s[18:19], v[212:213], v[212:213], v[214:215]
	v_rcp_f64_e32 v[230:231], v[228:229]
	v_div_scale_f64 v[232:233], vcc, v[214:215], v[212:213], v[214:215]
	v_fma_f64 v[234:235], -v[228:229], v[230:231], 1.0
	v_fmac_f64_e32 v[230:231], v[230:231], v[234:235]
	v_fma_f64 v[234:235], -v[228:229], v[230:231], 1.0
	v_fmac_f64_e32 v[230:231], v[230:231], v[234:235]
	v_mul_f64 v[234:235], v[232:233], v[230:231]
	v_fma_f64 v[228:229], -v[228:229], v[234:235], v[232:233]
	v_div_fmas_f64 v[228:229], v[228:229], v[230:231], v[234:235]
	v_div_fixup_f64 v[228:229], v[228:229], v[212:213], v[214:215]
	v_fmac_f64_e32 v[212:213], v[214:215], v[228:229]
	v_div_scale_f64 v[214:215], s[18:19], v[212:213], v[212:213], 1.0
	v_rcp_f64_e32 v[230:231], v[214:215]
	s_nop 0
	v_fma_f64 v[232:233], -v[214:215], v[230:231], 1.0
	v_fmac_f64_e32 v[230:231], v[230:231], v[232:233]
	v_fma_f64 v[232:233], -v[214:215], v[230:231], 1.0
	v_fmac_f64_e32 v[230:231], v[230:231], v[232:233]
	v_div_scale_f64 v[232:233], vcc, 1.0, v[212:213], 1.0
	v_mul_f64 v[234:235], v[232:233], v[230:231]
	v_fma_f64 v[214:215], -v[214:215], v[234:235], v[232:233]
	s_nop 1
	v_div_fmas_f64 v[214:215], v[214:215], v[230:231], v[234:235]
	v_div_fixup_f64 v[212:213], v[214:215], v[212:213], 1.0
	v_mul_f64 v[214:215], v[228:229], -v[212:213]
.LBB104_408:
	s_or_b64 exec, exec, s[16:17]
.LBB104_409:
	s_or_b64 exec, exec, s[0:1]
	v_cmp_ne_u32_e32 vcc, v225, v222
	s_and_saveexec_b64 s[0:1], vcc
	s_xor_b64 s[0:1], exec, s[0:1]
	s_cbranch_execz .LBB104_415
; %bb.410:
	v_cmp_eq_u32_e32 vcc, 19, v225
	s_and_saveexec_b64 s[16:17], vcc
	s_cbranch_execz .LBB104_414
; %bb.411:
	v_cmp_ne_u32_e32 vcc, 19, v222
	s_xor_b64 s[18:19], s[14:15], -1
	s_and_b64 s[22:23], s[18:19], vcc
	s_and_saveexec_b64 s[18:19], s[22:23]
	s_cbranch_execz .LBB104_413
; %bb.412:
	v_ashrrev_i32_e32 v223, 31, v222
	v_lshl_add_u64 v[228:229], v[222:223], 2, v[220:221]
	global_load_dword v223, v[228:229], off
	global_load_dword v225, v[220:221], off offset:76
	s_waitcnt vmcnt(1)
	global_store_dword v[220:221], v223, off offset:76
	s_waitcnt vmcnt(1)
	global_store_dword v[228:229], v225, off
.LBB104_413:
	s_or_b64 exec, exec, s[18:19]
	v_mov_b32_e32 v225, v222
	v_mov_b32_e32 v227, v222
.LBB104_414:
	s_or_b64 exec, exec, s[16:17]
.LBB104_415:
	s_andn2_saveexec_b64 s[0:1], s[0:1]
	s_cbranch_execz .LBB104_417
; %bb.416:
	v_mov_b32_e32 v225, 19
	s_waitcnt vmcnt(32)
	ds_write2_b64 v224, v[124:125], v[126:127] offset0:40 offset1:41
	s_waitcnt vmcnt(31)
	ds_write2_b64 v224, v[120:121], v[122:123] offset0:42 offset1:43
	;; [unrolled: 2-line block ×33, first 2 shown]
.LBB104_417:
	s_or_b64 exec, exec, s[0:1]
	v_cmp_lt_i32_e32 vcc, 19, v225
	s_waitcnt lgkmcnt(0)
	s_barrier
	s_and_saveexec_b64 s[0:1], vcc
	s_cbranch_execz .LBB104_419
; %bb.418:
	ds_read2_b64 v[228:231], v224 offset0:40 offset1:41
	v_mul_f64 v[222:223], v[214:215], v[130:131]
	v_mul_f64 v[130:131], v[212:213], v[130:131]
	v_fmac_f64_e32 v[130:131], v[214:215], v[128:129]
	v_fma_f64 v[222:223], v[212:213], v[128:129], -v[222:223]
	ds_read2_b64 v[212:215], v224 offset0:42 offset1:43
	s_waitcnt lgkmcnt(1)
	v_mul_f64 v[128:129], v[230:231], v[130:131]
	v_fma_f64 v[128:129], v[228:229], v[222:223], -v[128:129]
	v_mul_f64 v[228:229], v[228:229], v[130:131]
	v_fmac_f64_e32 v[228:229], v[230:231], v[222:223]
	s_waitcnt vmcnt(32)
	v_add_f64 v[126:127], v[126:127], -v[228:229]
	ds_read2_b64 v[228:231], v224 offset0:44 offset1:45
	v_add_f64 v[124:125], v[124:125], -v[128:129]
	s_waitcnt lgkmcnt(1)
	v_mul_f64 v[128:129], v[214:215], v[130:131]
	v_fma_f64 v[128:129], v[212:213], v[222:223], -v[128:129]
	v_mul_f64 v[212:213], v[212:213], v[130:131]
	v_fmac_f64_e32 v[212:213], v[214:215], v[222:223]
	s_waitcnt vmcnt(31)
	v_add_f64 v[120:121], v[120:121], -v[128:129]
	v_add_f64 v[122:123], v[122:123], -v[212:213]
	ds_read2_b64 v[212:215], v224 offset0:46 offset1:47
	s_waitcnt lgkmcnt(1)
	v_mul_f64 v[128:129], v[230:231], v[130:131]
	v_fma_f64 v[128:129], v[228:229], v[222:223], -v[128:129]
	v_mul_f64 v[228:229], v[228:229], v[130:131]
	v_fmac_f64_e32 v[228:229], v[230:231], v[222:223]
	s_waitcnt vmcnt(30)
	v_add_f64 v[118:119], v[118:119], -v[228:229]
	ds_read2_b64 v[228:231], v224 offset0:48 offset1:49
	v_add_f64 v[116:117], v[116:117], -v[128:129]
	s_waitcnt lgkmcnt(1)
	v_mul_f64 v[128:129], v[214:215], v[130:131]
	v_fma_f64 v[128:129], v[212:213], v[222:223], -v[128:129]
	v_mul_f64 v[212:213], v[212:213], v[130:131]
	v_fmac_f64_e32 v[212:213], v[214:215], v[222:223]
	s_waitcnt vmcnt(29)
	v_add_f64 v[112:113], v[112:113], -v[128:129]
	v_add_f64 v[114:115], v[114:115], -v[212:213]
	;; [unrolled: 18-line block ×16, first 2 shown]
	s_waitcnt lgkmcnt(0)
	v_mul_f64 v[128:129], v[230:231], v[130:131]
	v_mul_f64 v[212:213], v[228:229], v[130:131]
	v_fma_f64 v[128:129], v[228:229], v[222:223], -v[128:129]
	v_fmac_f64_e32 v[212:213], v[230:231], v[222:223]
	s_waitcnt vmcnt(0)
	v_add_f64 v[208:209], v[208:209], -v[128:129]
	v_add_f64 v[210:211], v[210:211], -v[212:213]
	v_mov_b64_e32 v[128:129], v[222:223]
.LBB104_419:
	s_or_b64 exec, exec, s[0:1]
	v_lshl_add_u32 v212, v225, 4, v224
	s_barrier
	s_waitcnt vmcnt(32)
	ds_write2_b64 v212, v[124:125], v[126:127] offset1:1
	s_waitcnt lgkmcnt(0)
	s_barrier
	ds_read2_b64 v[212:215], v224 offset0:40 offset1:41
	s_cmp_lt_i32 s20, 22
	v_mov_b32_e32 v222, 20
	s_cbranch_scc1 .LBB104_422
; %bb.420:
	v_add_u32_e32 v223, 0x150, v224
	s_mov_b32 s16, 21
	v_mov_b32_e32 v222, 20
.LBB104_421:                            ; =>This Inner Loop Header: Depth=1
	ds_read2_b64 v[228:231], v223 offset1:1
	s_waitcnt lgkmcnt(1)
	v_xor_b32_e32 v233, 0x80000000, v213
	v_xor_b32_e32 v235, 0x80000000, v215
	v_cmp_gt_f64_e32 vcc, 0, v[214:215]
	v_cmp_gt_f64_e64 s[0:1], 0, v[212:213]
	v_mov_b32_e32 v232, v212
	v_mov_b32_e32 v234, v214
	v_cndmask_b32_e64 v233, v213, v233, s[0:1]
	v_cndmask_b32_e32 v235, v215, v235, vcc
	v_add_f64 v[232:233], v[232:233], v[234:235]
	s_waitcnt lgkmcnt(0)
	v_xor_b32_e32 v235, 0x80000000, v229
	v_xor_b32_e32 v237, 0x80000000, v231
	v_cmp_gt_f64_e32 vcc, 0, v[230:231]
	v_cmp_gt_f64_e64 s[0:1], 0, v[228:229]
	v_mov_b32_e32 v234, v228
	v_mov_b32_e32 v236, v230
	v_cndmask_b32_e64 v235, v229, v235, s[0:1]
	v_cndmask_b32_e32 v237, v231, v237, vcc
	v_add_f64 v[234:235], v[234:235], v[236:237]
	v_mov_b32_e32 v238, s16
	s_add_i32 s16, s16, 1
	v_cmp_lt_f64_e32 vcc, v[232:233], v[234:235]
	v_add_u32_e32 v223, 16, v223
	s_cmp_lg_u32 s20, s16
	v_cndmask_b32_e32 v213, v213, v229, vcc
	v_cndmask_b32_e32 v212, v212, v228, vcc
	;; [unrolled: 1-line block ×5, first 2 shown]
	s_cbranch_scc1 .LBB104_421
.LBB104_422:
	s_waitcnt lgkmcnt(0)
	v_cmp_eq_f64_e32 vcc, 0, v[212:213]
	v_cmp_eq_f64_e64 s[0:1], 0, v[214:215]
	s_and_b64 s[0:1], vcc, s[0:1]
	s_and_saveexec_b64 s[16:17], s[0:1]
	s_xor_b64 s[0:1], exec, s[16:17]
; %bb.423:
	v_cmp_ne_u32_e32 vcc, 0, v226
	s_nop 1
	v_cndmask_b32_e32 v226, 21, v226, vcc
; %bb.424:
	s_andn2_saveexec_b64 s[0:1], s[0:1]
	s_cbranch_execz .LBB104_430
; %bb.425:
	v_cmp_ngt_f64_e64 s[16:17], |v[212:213]|, |v[214:215]|
	s_and_saveexec_b64 s[18:19], s[16:17]
	s_xor_b64 s[16:17], exec, s[18:19]
	s_cbranch_execz .LBB104_427
; %bb.426:
	v_div_scale_f64 v[228:229], s[18:19], v[214:215], v[214:215], v[212:213]
	v_rcp_f64_e32 v[230:231], v[228:229]
	v_div_scale_f64 v[232:233], vcc, v[212:213], v[214:215], v[212:213]
	v_fma_f64 v[234:235], -v[228:229], v[230:231], 1.0
	v_fmac_f64_e32 v[230:231], v[230:231], v[234:235]
	v_fma_f64 v[234:235], -v[228:229], v[230:231], 1.0
	v_fmac_f64_e32 v[230:231], v[230:231], v[234:235]
	v_mul_f64 v[234:235], v[232:233], v[230:231]
	v_fma_f64 v[228:229], -v[228:229], v[234:235], v[232:233]
	v_div_fmas_f64 v[228:229], v[228:229], v[230:231], v[234:235]
	v_div_fixup_f64 v[228:229], v[228:229], v[214:215], v[212:213]
	v_fmac_f64_e32 v[214:215], v[212:213], v[228:229]
	v_div_scale_f64 v[212:213], s[18:19], v[214:215], v[214:215], 1.0
	v_rcp_f64_e32 v[230:231], v[212:213]
	s_nop 0
	v_fma_f64 v[232:233], -v[212:213], v[230:231], 1.0
	v_fmac_f64_e32 v[230:231], v[230:231], v[232:233]
	v_fma_f64 v[232:233], -v[212:213], v[230:231], 1.0
	v_fmac_f64_e32 v[230:231], v[230:231], v[232:233]
	v_div_scale_f64 v[232:233], vcc, 1.0, v[214:215], 1.0
	v_mul_f64 v[234:235], v[232:233], v[230:231]
	v_fma_f64 v[212:213], -v[212:213], v[234:235], v[232:233]
	s_nop 1
	v_div_fmas_f64 v[212:213], v[212:213], v[230:231], v[234:235]
	v_div_fixup_f64 v[214:215], v[212:213], v[214:215], 1.0
	v_mul_f64 v[212:213], v[228:229], v[214:215]
	v_xor_b32_e32 v215, 0x80000000, v215
.LBB104_427:
	s_andn2_saveexec_b64 s[16:17], s[16:17]
	s_cbranch_execz .LBB104_429
; %bb.428:
	v_div_scale_f64 v[228:229], s[18:19], v[212:213], v[212:213], v[214:215]
	v_rcp_f64_e32 v[230:231], v[228:229]
	v_div_scale_f64 v[232:233], vcc, v[214:215], v[212:213], v[214:215]
	v_fma_f64 v[234:235], -v[228:229], v[230:231], 1.0
	v_fmac_f64_e32 v[230:231], v[230:231], v[234:235]
	v_fma_f64 v[234:235], -v[228:229], v[230:231], 1.0
	v_fmac_f64_e32 v[230:231], v[230:231], v[234:235]
	v_mul_f64 v[234:235], v[232:233], v[230:231]
	v_fma_f64 v[228:229], -v[228:229], v[234:235], v[232:233]
	v_div_fmas_f64 v[228:229], v[228:229], v[230:231], v[234:235]
	v_div_fixup_f64 v[228:229], v[228:229], v[212:213], v[214:215]
	v_fmac_f64_e32 v[212:213], v[214:215], v[228:229]
	v_div_scale_f64 v[214:215], s[18:19], v[212:213], v[212:213], 1.0
	v_rcp_f64_e32 v[230:231], v[214:215]
	s_nop 0
	v_fma_f64 v[232:233], -v[214:215], v[230:231], 1.0
	v_fmac_f64_e32 v[230:231], v[230:231], v[232:233]
	v_fma_f64 v[232:233], -v[214:215], v[230:231], 1.0
	v_fmac_f64_e32 v[230:231], v[230:231], v[232:233]
	v_div_scale_f64 v[232:233], vcc, 1.0, v[212:213], 1.0
	v_mul_f64 v[234:235], v[232:233], v[230:231]
	v_fma_f64 v[214:215], -v[214:215], v[234:235], v[232:233]
	s_nop 1
	v_div_fmas_f64 v[214:215], v[214:215], v[230:231], v[234:235]
	v_div_fixup_f64 v[212:213], v[214:215], v[212:213], 1.0
	v_mul_f64 v[214:215], v[228:229], -v[212:213]
.LBB104_429:
	s_or_b64 exec, exec, s[16:17]
.LBB104_430:
	s_or_b64 exec, exec, s[0:1]
	v_cmp_ne_u32_e32 vcc, v225, v222
	s_and_saveexec_b64 s[0:1], vcc
	s_xor_b64 s[0:1], exec, s[0:1]
	s_cbranch_execz .LBB104_436
; %bb.431:
	v_cmp_eq_u32_e32 vcc, 20, v225
	s_and_saveexec_b64 s[16:17], vcc
	s_cbranch_execz .LBB104_435
; %bb.432:
	v_cmp_ne_u32_e32 vcc, 20, v222
	s_xor_b64 s[18:19], s[14:15], -1
	s_and_b64 s[22:23], s[18:19], vcc
	s_and_saveexec_b64 s[18:19], s[22:23]
	s_cbranch_execz .LBB104_434
; %bb.433:
	v_ashrrev_i32_e32 v223, 31, v222
	v_lshl_add_u64 v[228:229], v[222:223], 2, v[220:221]
	global_load_dword v223, v[228:229], off
	global_load_dword v225, v[220:221], off offset:80
	s_waitcnt vmcnt(1)
	global_store_dword v[220:221], v223, off offset:80
	s_waitcnt vmcnt(1)
	global_store_dword v[228:229], v225, off
.LBB104_434:
	s_or_b64 exec, exec, s[18:19]
	v_mov_b32_e32 v225, v222
	v_mov_b32_e32 v227, v222
.LBB104_435:
	s_or_b64 exec, exec, s[16:17]
.LBB104_436:
	s_andn2_saveexec_b64 s[0:1], s[0:1]
	s_cbranch_execz .LBB104_438
; %bb.437:
	v_mov_b32_e32 v225, 20
	s_waitcnt vmcnt(31)
	ds_write2_b64 v224, v[120:121], v[122:123] offset0:42 offset1:43
	s_waitcnt vmcnt(30)
	ds_write2_b64 v224, v[116:117], v[118:119] offset0:44 offset1:45
	s_waitcnt vmcnt(29)
	ds_write2_b64 v224, v[112:113], v[114:115] offset0:46 offset1:47
	s_waitcnt vmcnt(28)
	ds_write2_b64 v224, v[108:109], v[110:111] offset0:48 offset1:49
	s_waitcnt vmcnt(27)
	ds_write2_b64 v224, v[104:105], v[106:107] offset0:50 offset1:51
	s_waitcnt vmcnt(26)
	ds_write2_b64 v224, v[100:101], v[102:103] offset0:52 offset1:53
	s_waitcnt vmcnt(25)
	ds_write2_b64 v224, v[96:97], v[98:99] offset0:54 offset1:55
	s_waitcnt vmcnt(24)
	ds_write2_b64 v224, v[92:93], v[94:95] offset0:56 offset1:57
	s_waitcnt vmcnt(23)
	ds_write2_b64 v224, v[88:89], v[90:91] offset0:58 offset1:59
	s_waitcnt vmcnt(22)
	ds_write2_b64 v224, v[84:85], v[86:87] offset0:60 offset1:61
	s_waitcnt vmcnt(21)
	ds_write2_b64 v224, v[80:81], v[82:83] offset0:62 offset1:63
	s_waitcnt vmcnt(20)
	ds_write2_b64 v224, v[76:77], v[78:79] offset0:64 offset1:65
	s_waitcnt vmcnt(19)
	ds_write2_b64 v224, v[72:73], v[74:75] offset0:66 offset1:67
	s_waitcnt vmcnt(18)
	ds_write2_b64 v224, v[68:69], v[70:71] offset0:68 offset1:69
	s_waitcnt vmcnt(17)
	ds_write2_b64 v224, v[64:65], v[66:67] offset0:70 offset1:71
	s_waitcnt vmcnt(16)
	ds_write2_b64 v224, v[60:61], v[62:63] offset0:72 offset1:73
	s_waitcnt vmcnt(15)
	ds_write2_b64 v224, v[56:57], v[58:59] offset0:74 offset1:75
	s_waitcnt vmcnt(14)
	ds_write2_b64 v224, v[52:53], v[54:55] offset0:76 offset1:77
	s_waitcnt vmcnt(13)
	ds_write2_b64 v224, v[48:49], v[50:51] offset0:78 offset1:79
	s_waitcnt vmcnt(12)
	ds_write2_b64 v224, v[44:45], v[46:47] offset0:80 offset1:81
	s_waitcnt vmcnt(11)
	ds_write2_b64 v224, v[40:41], v[42:43] offset0:82 offset1:83
	s_waitcnt vmcnt(10)
	ds_write2_b64 v224, v[36:37], v[38:39] offset0:84 offset1:85
	s_waitcnt vmcnt(9)
	ds_write2_b64 v224, v[32:33], v[34:35] offset0:86 offset1:87
	s_waitcnt vmcnt(8)
	ds_write2_b64 v224, v[28:29], v[30:31] offset0:88 offset1:89
	s_waitcnt vmcnt(7)
	ds_write2_b64 v224, v[24:25], v[26:27] offset0:90 offset1:91
	s_waitcnt vmcnt(6)
	ds_write2_b64 v224, v[20:21], v[22:23] offset0:92 offset1:93
	s_waitcnt vmcnt(5)
	ds_write2_b64 v224, v[16:17], v[18:19] offset0:94 offset1:95
	s_waitcnt vmcnt(4)
	ds_write2_b64 v224, v[12:13], v[14:15] offset0:96 offset1:97
	s_waitcnt vmcnt(3)
	ds_write2_b64 v224, v[8:9], v[10:11] offset0:98 offset1:99
	s_waitcnt vmcnt(2)
	ds_write2_b64 v224, v[4:5], v[6:7] offset0:100 offset1:101
	s_waitcnt vmcnt(1)
	ds_write2_b64 v224, v[0:1], v[2:3] offset0:102 offset1:103
	s_waitcnt vmcnt(0)
	ds_write2_b64 v224, v[208:209], v[210:211] offset0:104 offset1:105
.LBB104_438:
	s_or_b64 exec, exec, s[0:1]
	v_cmp_lt_i32_e32 vcc, 20, v225
	s_waitcnt lgkmcnt(0)
	s_barrier
	s_and_saveexec_b64 s[0:1], vcc
	s_cbranch_execz .LBB104_440
; %bb.439:
	ds_read2_b64 v[228:231], v224 offset0:42 offset1:43
	v_mul_f64 v[222:223], v[214:215], v[126:127]
	v_mul_f64 v[126:127], v[212:213], v[126:127]
	v_fma_f64 v[222:223], v[212:213], v[124:125], -v[222:223]
	v_fmac_f64_e32 v[126:127], v[214:215], v[124:125]
	ds_read2_b64 v[212:215], v224 offset0:44 offset1:45
	s_waitcnt lgkmcnt(1)
	v_mul_f64 v[124:125], v[230:231], v[126:127]
	v_fma_f64 v[124:125], v[228:229], v[222:223], -v[124:125]
	v_mul_f64 v[228:229], v[228:229], v[126:127]
	v_fmac_f64_e32 v[228:229], v[230:231], v[222:223]
	s_waitcnt vmcnt(31)
	v_add_f64 v[120:121], v[120:121], -v[124:125]
	s_waitcnt lgkmcnt(0)
	v_mul_f64 v[124:125], v[214:215], v[126:127]
	v_add_f64 v[122:123], v[122:123], -v[228:229]
	v_fma_f64 v[124:125], v[212:213], v[222:223], -v[124:125]
	v_mul_f64 v[212:213], v[212:213], v[126:127]
	ds_read2_b64 v[228:231], v224 offset0:46 offset1:47
	v_fmac_f64_e32 v[212:213], v[214:215], v[222:223]
	s_waitcnt vmcnt(30)
	v_add_f64 v[118:119], v[118:119], -v[212:213]
	ds_read2_b64 v[212:215], v224 offset0:48 offset1:49
	v_add_f64 v[116:117], v[116:117], -v[124:125]
	s_waitcnt lgkmcnt(1)
	v_mul_f64 v[124:125], v[230:231], v[126:127]
	v_fma_f64 v[124:125], v[228:229], v[222:223], -v[124:125]
	v_mul_f64 v[228:229], v[228:229], v[126:127]
	v_fmac_f64_e32 v[228:229], v[230:231], v[222:223]
	s_waitcnt vmcnt(29)
	v_add_f64 v[112:113], v[112:113], -v[124:125]
	s_waitcnt lgkmcnt(0)
	v_mul_f64 v[124:125], v[214:215], v[126:127]
	v_add_f64 v[114:115], v[114:115], -v[228:229]
	v_fma_f64 v[124:125], v[212:213], v[222:223], -v[124:125]
	v_mul_f64 v[212:213], v[212:213], v[126:127]
	ds_read2_b64 v[228:231], v224 offset0:50 offset1:51
	v_fmac_f64_e32 v[212:213], v[214:215], v[222:223]
	s_waitcnt vmcnt(28)
	v_add_f64 v[110:111], v[110:111], -v[212:213]
	ds_read2_b64 v[212:215], v224 offset0:52 offset1:53
	v_add_f64 v[108:109], v[108:109], -v[124:125]
	;; [unrolled: 18-line block ×15, first 2 shown]
	s_waitcnt lgkmcnt(1)
	v_mul_f64 v[124:125], v[230:231], v[126:127]
	v_fma_f64 v[124:125], v[228:229], v[222:223], -v[124:125]
	s_waitcnt vmcnt(1)
	v_add_f64 v[0:1], v[0:1], -v[124:125]
	s_waitcnt lgkmcnt(0)
	v_mul_f64 v[124:125], v[214:215], v[126:127]
	v_mul_f64 v[228:229], v[228:229], v[126:127]
	v_fma_f64 v[124:125], v[212:213], v[222:223], -v[124:125]
	v_mul_f64 v[212:213], v[212:213], v[126:127]
	v_fmac_f64_e32 v[228:229], v[230:231], v[222:223]
	v_fmac_f64_e32 v[212:213], v[214:215], v[222:223]
	v_add_f64 v[2:3], v[2:3], -v[228:229]
	s_waitcnt vmcnt(0)
	v_add_f64 v[208:209], v[208:209], -v[124:125]
	v_add_f64 v[210:211], v[210:211], -v[212:213]
	v_mov_b64_e32 v[124:125], v[222:223]
.LBB104_440:
	s_or_b64 exec, exec, s[0:1]
	v_lshl_add_u32 v212, v225, 4, v224
	s_barrier
	s_waitcnt vmcnt(31)
	ds_write2_b64 v212, v[120:121], v[122:123] offset1:1
	s_waitcnt lgkmcnt(0)
	s_barrier
	ds_read2_b64 v[212:215], v224 offset0:42 offset1:43
	s_cmp_lt_i32 s20, 23
	v_mov_b32_e32 v222, 21
	s_cbranch_scc1 .LBB104_443
; %bb.441:
	v_add_u32_e32 v223, 0x160, v224
	s_mov_b32 s16, 22
	v_mov_b32_e32 v222, 21
.LBB104_442:                            ; =>This Inner Loop Header: Depth=1
	ds_read2_b64 v[228:231], v223 offset1:1
	s_waitcnt lgkmcnt(1)
	v_xor_b32_e32 v233, 0x80000000, v213
	v_xor_b32_e32 v235, 0x80000000, v215
	v_cmp_gt_f64_e32 vcc, 0, v[214:215]
	v_cmp_gt_f64_e64 s[0:1], 0, v[212:213]
	v_mov_b32_e32 v232, v212
	v_mov_b32_e32 v234, v214
	v_cndmask_b32_e64 v233, v213, v233, s[0:1]
	v_cndmask_b32_e32 v235, v215, v235, vcc
	v_add_f64 v[232:233], v[232:233], v[234:235]
	s_waitcnt lgkmcnt(0)
	v_xor_b32_e32 v235, 0x80000000, v229
	v_xor_b32_e32 v237, 0x80000000, v231
	v_cmp_gt_f64_e32 vcc, 0, v[230:231]
	v_cmp_gt_f64_e64 s[0:1], 0, v[228:229]
	v_mov_b32_e32 v234, v228
	v_mov_b32_e32 v236, v230
	v_cndmask_b32_e64 v235, v229, v235, s[0:1]
	v_cndmask_b32_e32 v237, v231, v237, vcc
	v_add_f64 v[234:235], v[234:235], v[236:237]
	v_mov_b32_e32 v238, s16
	s_add_i32 s16, s16, 1
	v_cmp_lt_f64_e32 vcc, v[232:233], v[234:235]
	v_add_u32_e32 v223, 16, v223
	s_cmp_lg_u32 s20, s16
	v_cndmask_b32_e32 v213, v213, v229, vcc
	v_cndmask_b32_e32 v212, v212, v228, vcc
	;; [unrolled: 1-line block ×5, first 2 shown]
	s_cbranch_scc1 .LBB104_442
.LBB104_443:
	s_waitcnt lgkmcnt(0)
	v_cmp_eq_f64_e32 vcc, 0, v[212:213]
	v_cmp_eq_f64_e64 s[0:1], 0, v[214:215]
	s_and_b64 s[0:1], vcc, s[0:1]
	s_and_saveexec_b64 s[16:17], s[0:1]
	s_xor_b64 s[0:1], exec, s[16:17]
; %bb.444:
	v_cmp_ne_u32_e32 vcc, 0, v226
	s_nop 1
	v_cndmask_b32_e32 v226, 22, v226, vcc
; %bb.445:
	s_andn2_saveexec_b64 s[0:1], s[0:1]
	s_cbranch_execz .LBB104_451
; %bb.446:
	v_cmp_ngt_f64_e64 s[16:17], |v[212:213]|, |v[214:215]|
	s_and_saveexec_b64 s[18:19], s[16:17]
	s_xor_b64 s[16:17], exec, s[18:19]
	s_cbranch_execz .LBB104_448
; %bb.447:
	v_div_scale_f64 v[228:229], s[18:19], v[214:215], v[214:215], v[212:213]
	v_rcp_f64_e32 v[230:231], v[228:229]
	v_div_scale_f64 v[232:233], vcc, v[212:213], v[214:215], v[212:213]
	v_fma_f64 v[234:235], -v[228:229], v[230:231], 1.0
	v_fmac_f64_e32 v[230:231], v[230:231], v[234:235]
	v_fma_f64 v[234:235], -v[228:229], v[230:231], 1.0
	v_fmac_f64_e32 v[230:231], v[230:231], v[234:235]
	v_mul_f64 v[234:235], v[232:233], v[230:231]
	v_fma_f64 v[228:229], -v[228:229], v[234:235], v[232:233]
	v_div_fmas_f64 v[228:229], v[228:229], v[230:231], v[234:235]
	v_div_fixup_f64 v[228:229], v[228:229], v[214:215], v[212:213]
	v_fmac_f64_e32 v[214:215], v[212:213], v[228:229]
	v_div_scale_f64 v[212:213], s[18:19], v[214:215], v[214:215], 1.0
	v_rcp_f64_e32 v[230:231], v[212:213]
	s_nop 0
	v_fma_f64 v[232:233], -v[212:213], v[230:231], 1.0
	v_fmac_f64_e32 v[230:231], v[230:231], v[232:233]
	v_fma_f64 v[232:233], -v[212:213], v[230:231], 1.0
	v_fmac_f64_e32 v[230:231], v[230:231], v[232:233]
	v_div_scale_f64 v[232:233], vcc, 1.0, v[214:215], 1.0
	v_mul_f64 v[234:235], v[232:233], v[230:231]
	v_fma_f64 v[212:213], -v[212:213], v[234:235], v[232:233]
	s_nop 1
	v_div_fmas_f64 v[212:213], v[212:213], v[230:231], v[234:235]
	v_div_fixup_f64 v[214:215], v[212:213], v[214:215], 1.0
	v_mul_f64 v[212:213], v[228:229], v[214:215]
	v_xor_b32_e32 v215, 0x80000000, v215
.LBB104_448:
	s_andn2_saveexec_b64 s[16:17], s[16:17]
	s_cbranch_execz .LBB104_450
; %bb.449:
	v_div_scale_f64 v[228:229], s[18:19], v[212:213], v[212:213], v[214:215]
	v_rcp_f64_e32 v[230:231], v[228:229]
	v_div_scale_f64 v[232:233], vcc, v[214:215], v[212:213], v[214:215]
	v_fma_f64 v[234:235], -v[228:229], v[230:231], 1.0
	v_fmac_f64_e32 v[230:231], v[230:231], v[234:235]
	v_fma_f64 v[234:235], -v[228:229], v[230:231], 1.0
	v_fmac_f64_e32 v[230:231], v[230:231], v[234:235]
	v_mul_f64 v[234:235], v[232:233], v[230:231]
	v_fma_f64 v[228:229], -v[228:229], v[234:235], v[232:233]
	v_div_fmas_f64 v[228:229], v[228:229], v[230:231], v[234:235]
	v_div_fixup_f64 v[228:229], v[228:229], v[212:213], v[214:215]
	v_fmac_f64_e32 v[212:213], v[214:215], v[228:229]
	v_div_scale_f64 v[214:215], s[18:19], v[212:213], v[212:213], 1.0
	v_rcp_f64_e32 v[230:231], v[214:215]
	s_nop 0
	v_fma_f64 v[232:233], -v[214:215], v[230:231], 1.0
	v_fmac_f64_e32 v[230:231], v[230:231], v[232:233]
	v_fma_f64 v[232:233], -v[214:215], v[230:231], 1.0
	v_fmac_f64_e32 v[230:231], v[230:231], v[232:233]
	v_div_scale_f64 v[232:233], vcc, 1.0, v[212:213], 1.0
	v_mul_f64 v[234:235], v[232:233], v[230:231]
	v_fma_f64 v[214:215], -v[214:215], v[234:235], v[232:233]
	s_nop 1
	v_div_fmas_f64 v[214:215], v[214:215], v[230:231], v[234:235]
	v_div_fixup_f64 v[212:213], v[214:215], v[212:213], 1.0
	v_mul_f64 v[214:215], v[228:229], -v[212:213]
.LBB104_450:
	s_or_b64 exec, exec, s[16:17]
.LBB104_451:
	s_or_b64 exec, exec, s[0:1]
	v_cmp_ne_u32_e32 vcc, v225, v222
	s_and_saveexec_b64 s[0:1], vcc
	s_xor_b64 s[0:1], exec, s[0:1]
	s_cbranch_execz .LBB104_457
; %bb.452:
	v_cmp_eq_u32_e32 vcc, 21, v225
	s_and_saveexec_b64 s[16:17], vcc
	s_cbranch_execz .LBB104_456
; %bb.453:
	v_cmp_ne_u32_e32 vcc, 21, v222
	s_xor_b64 s[18:19], s[14:15], -1
	s_and_b64 s[22:23], s[18:19], vcc
	s_and_saveexec_b64 s[18:19], s[22:23]
	s_cbranch_execz .LBB104_455
; %bb.454:
	v_ashrrev_i32_e32 v223, 31, v222
	v_lshl_add_u64 v[228:229], v[222:223], 2, v[220:221]
	global_load_dword v223, v[228:229], off
	global_load_dword v225, v[220:221], off offset:84
	s_waitcnt vmcnt(1)
	global_store_dword v[220:221], v223, off offset:84
	s_waitcnt vmcnt(1)
	global_store_dword v[228:229], v225, off
.LBB104_455:
	s_or_b64 exec, exec, s[18:19]
	v_mov_b32_e32 v225, v222
	v_mov_b32_e32 v227, v222
.LBB104_456:
	s_or_b64 exec, exec, s[16:17]
.LBB104_457:
	s_andn2_saveexec_b64 s[0:1], s[0:1]
	s_cbranch_execz .LBB104_459
; %bb.458:
	v_mov_b32_e32 v225, 21
	s_waitcnt vmcnt(30)
	ds_write2_b64 v224, v[116:117], v[118:119] offset0:44 offset1:45
	s_waitcnt vmcnt(29)
	ds_write2_b64 v224, v[112:113], v[114:115] offset0:46 offset1:47
	;; [unrolled: 2-line block ×31, first 2 shown]
.LBB104_459:
	s_or_b64 exec, exec, s[0:1]
	v_cmp_lt_i32_e32 vcc, 21, v225
	s_waitcnt lgkmcnt(0)
	s_barrier
	s_and_saveexec_b64 s[0:1], vcc
	s_cbranch_execz .LBB104_461
; %bb.460:
	ds_read2_b64 v[228:231], v224 offset0:44 offset1:45
	v_mul_f64 v[222:223], v[214:215], v[122:123]
	v_mul_f64 v[122:123], v[212:213], v[122:123]
	v_fmac_f64_e32 v[122:123], v[214:215], v[120:121]
	v_fma_f64 v[222:223], v[212:213], v[120:121], -v[222:223]
	ds_read2_b64 v[212:215], v224 offset0:46 offset1:47
	s_waitcnt lgkmcnt(1)
	v_mul_f64 v[120:121], v[230:231], v[122:123]
	v_fma_f64 v[120:121], v[228:229], v[222:223], -v[120:121]
	v_mul_f64 v[228:229], v[228:229], v[122:123]
	v_fmac_f64_e32 v[228:229], v[230:231], v[222:223]
	s_waitcnt vmcnt(30)
	v_add_f64 v[118:119], v[118:119], -v[228:229]
	ds_read2_b64 v[228:231], v224 offset0:48 offset1:49
	v_add_f64 v[116:117], v[116:117], -v[120:121]
	s_waitcnt lgkmcnt(1)
	v_mul_f64 v[120:121], v[214:215], v[122:123]
	v_fma_f64 v[120:121], v[212:213], v[222:223], -v[120:121]
	v_mul_f64 v[212:213], v[212:213], v[122:123]
	v_fmac_f64_e32 v[212:213], v[214:215], v[222:223]
	s_waitcnt vmcnt(29)
	v_add_f64 v[112:113], v[112:113], -v[120:121]
	v_add_f64 v[114:115], v[114:115], -v[212:213]
	ds_read2_b64 v[212:215], v224 offset0:50 offset1:51
	s_waitcnt lgkmcnt(1)
	v_mul_f64 v[120:121], v[230:231], v[122:123]
	v_fma_f64 v[120:121], v[228:229], v[222:223], -v[120:121]
	v_mul_f64 v[228:229], v[228:229], v[122:123]
	v_fmac_f64_e32 v[228:229], v[230:231], v[222:223]
	s_waitcnt vmcnt(28)
	v_add_f64 v[110:111], v[110:111], -v[228:229]
	ds_read2_b64 v[228:231], v224 offset0:52 offset1:53
	v_add_f64 v[108:109], v[108:109], -v[120:121]
	s_waitcnt lgkmcnt(1)
	v_mul_f64 v[120:121], v[214:215], v[122:123]
	v_fma_f64 v[120:121], v[212:213], v[222:223], -v[120:121]
	v_mul_f64 v[212:213], v[212:213], v[122:123]
	v_fmac_f64_e32 v[212:213], v[214:215], v[222:223]
	s_waitcnt vmcnt(27)
	v_add_f64 v[104:105], v[104:105], -v[120:121]
	v_add_f64 v[106:107], v[106:107], -v[212:213]
	;; [unrolled: 18-line block ×15, first 2 shown]
	s_waitcnt lgkmcnt(0)
	v_mul_f64 v[120:121], v[230:231], v[122:123]
	v_mul_f64 v[212:213], v[228:229], v[122:123]
	v_fma_f64 v[120:121], v[228:229], v[222:223], -v[120:121]
	v_fmac_f64_e32 v[212:213], v[230:231], v[222:223]
	s_waitcnt vmcnt(0)
	v_add_f64 v[208:209], v[208:209], -v[120:121]
	v_add_f64 v[210:211], v[210:211], -v[212:213]
	v_mov_b64_e32 v[120:121], v[222:223]
.LBB104_461:
	s_or_b64 exec, exec, s[0:1]
	v_lshl_add_u32 v212, v225, 4, v224
	s_barrier
	s_waitcnt vmcnt(30)
	ds_write2_b64 v212, v[116:117], v[118:119] offset1:1
	s_waitcnt lgkmcnt(0)
	s_barrier
	ds_read2_b64 v[212:215], v224 offset0:44 offset1:45
	s_cmp_lt_i32 s20, 24
	v_mov_b32_e32 v222, 22
	s_cbranch_scc1 .LBB104_464
; %bb.462:
	v_add_u32_e32 v223, 0x170, v224
	s_mov_b32 s16, 23
	v_mov_b32_e32 v222, 22
.LBB104_463:                            ; =>This Inner Loop Header: Depth=1
	ds_read2_b64 v[228:231], v223 offset1:1
	s_waitcnt lgkmcnt(1)
	v_xor_b32_e32 v233, 0x80000000, v213
	v_xor_b32_e32 v235, 0x80000000, v215
	v_cmp_gt_f64_e32 vcc, 0, v[214:215]
	v_cmp_gt_f64_e64 s[0:1], 0, v[212:213]
	v_mov_b32_e32 v232, v212
	v_mov_b32_e32 v234, v214
	v_cndmask_b32_e64 v233, v213, v233, s[0:1]
	v_cndmask_b32_e32 v235, v215, v235, vcc
	v_add_f64 v[232:233], v[232:233], v[234:235]
	s_waitcnt lgkmcnt(0)
	v_xor_b32_e32 v235, 0x80000000, v229
	v_xor_b32_e32 v237, 0x80000000, v231
	v_cmp_gt_f64_e32 vcc, 0, v[230:231]
	v_cmp_gt_f64_e64 s[0:1], 0, v[228:229]
	v_mov_b32_e32 v234, v228
	v_mov_b32_e32 v236, v230
	v_cndmask_b32_e64 v235, v229, v235, s[0:1]
	v_cndmask_b32_e32 v237, v231, v237, vcc
	v_add_f64 v[234:235], v[234:235], v[236:237]
	v_mov_b32_e32 v238, s16
	s_add_i32 s16, s16, 1
	v_cmp_lt_f64_e32 vcc, v[232:233], v[234:235]
	v_add_u32_e32 v223, 16, v223
	s_cmp_lg_u32 s20, s16
	v_cndmask_b32_e32 v213, v213, v229, vcc
	v_cndmask_b32_e32 v212, v212, v228, vcc
	;; [unrolled: 1-line block ×5, first 2 shown]
	s_cbranch_scc1 .LBB104_463
.LBB104_464:
	s_waitcnt lgkmcnt(0)
	v_cmp_eq_f64_e32 vcc, 0, v[212:213]
	v_cmp_eq_f64_e64 s[0:1], 0, v[214:215]
	s_and_b64 s[0:1], vcc, s[0:1]
	s_and_saveexec_b64 s[16:17], s[0:1]
	s_xor_b64 s[0:1], exec, s[16:17]
; %bb.465:
	v_cmp_ne_u32_e32 vcc, 0, v226
	s_nop 1
	v_cndmask_b32_e32 v226, 23, v226, vcc
; %bb.466:
	s_andn2_saveexec_b64 s[0:1], s[0:1]
	s_cbranch_execz .LBB104_472
; %bb.467:
	v_cmp_ngt_f64_e64 s[16:17], |v[212:213]|, |v[214:215]|
	s_and_saveexec_b64 s[18:19], s[16:17]
	s_xor_b64 s[16:17], exec, s[18:19]
	s_cbranch_execz .LBB104_469
; %bb.468:
	v_div_scale_f64 v[228:229], s[18:19], v[214:215], v[214:215], v[212:213]
	v_rcp_f64_e32 v[230:231], v[228:229]
	v_div_scale_f64 v[232:233], vcc, v[212:213], v[214:215], v[212:213]
	v_fma_f64 v[234:235], -v[228:229], v[230:231], 1.0
	v_fmac_f64_e32 v[230:231], v[230:231], v[234:235]
	v_fma_f64 v[234:235], -v[228:229], v[230:231], 1.0
	v_fmac_f64_e32 v[230:231], v[230:231], v[234:235]
	v_mul_f64 v[234:235], v[232:233], v[230:231]
	v_fma_f64 v[228:229], -v[228:229], v[234:235], v[232:233]
	v_div_fmas_f64 v[228:229], v[228:229], v[230:231], v[234:235]
	v_div_fixup_f64 v[228:229], v[228:229], v[214:215], v[212:213]
	v_fmac_f64_e32 v[214:215], v[212:213], v[228:229]
	v_div_scale_f64 v[212:213], s[18:19], v[214:215], v[214:215], 1.0
	v_rcp_f64_e32 v[230:231], v[212:213]
	s_nop 0
	v_fma_f64 v[232:233], -v[212:213], v[230:231], 1.0
	v_fmac_f64_e32 v[230:231], v[230:231], v[232:233]
	v_fma_f64 v[232:233], -v[212:213], v[230:231], 1.0
	v_fmac_f64_e32 v[230:231], v[230:231], v[232:233]
	v_div_scale_f64 v[232:233], vcc, 1.0, v[214:215], 1.0
	v_mul_f64 v[234:235], v[232:233], v[230:231]
	v_fma_f64 v[212:213], -v[212:213], v[234:235], v[232:233]
	s_nop 1
	v_div_fmas_f64 v[212:213], v[212:213], v[230:231], v[234:235]
	v_div_fixup_f64 v[214:215], v[212:213], v[214:215], 1.0
	v_mul_f64 v[212:213], v[228:229], v[214:215]
	v_xor_b32_e32 v215, 0x80000000, v215
.LBB104_469:
	s_andn2_saveexec_b64 s[16:17], s[16:17]
	s_cbranch_execz .LBB104_471
; %bb.470:
	v_div_scale_f64 v[228:229], s[18:19], v[212:213], v[212:213], v[214:215]
	v_rcp_f64_e32 v[230:231], v[228:229]
	v_div_scale_f64 v[232:233], vcc, v[214:215], v[212:213], v[214:215]
	v_fma_f64 v[234:235], -v[228:229], v[230:231], 1.0
	v_fmac_f64_e32 v[230:231], v[230:231], v[234:235]
	v_fma_f64 v[234:235], -v[228:229], v[230:231], 1.0
	v_fmac_f64_e32 v[230:231], v[230:231], v[234:235]
	v_mul_f64 v[234:235], v[232:233], v[230:231]
	v_fma_f64 v[228:229], -v[228:229], v[234:235], v[232:233]
	v_div_fmas_f64 v[228:229], v[228:229], v[230:231], v[234:235]
	v_div_fixup_f64 v[228:229], v[228:229], v[212:213], v[214:215]
	v_fmac_f64_e32 v[212:213], v[214:215], v[228:229]
	v_div_scale_f64 v[214:215], s[18:19], v[212:213], v[212:213], 1.0
	v_rcp_f64_e32 v[230:231], v[214:215]
	s_nop 0
	v_fma_f64 v[232:233], -v[214:215], v[230:231], 1.0
	v_fmac_f64_e32 v[230:231], v[230:231], v[232:233]
	v_fma_f64 v[232:233], -v[214:215], v[230:231], 1.0
	v_fmac_f64_e32 v[230:231], v[230:231], v[232:233]
	v_div_scale_f64 v[232:233], vcc, 1.0, v[212:213], 1.0
	v_mul_f64 v[234:235], v[232:233], v[230:231]
	v_fma_f64 v[214:215], -v[214:215], v[234:235], v[232:233]
	s_nop 1
	v_div_fmas_f64 v[214:215], v[214:215], v[230:231], v[234:235]
	v_div_fixup_f64 v[212:213], v[214:215], v[212:213], 1.0
	v_mul_f64 v[214:215], v[228:229], -v[212:213]
.LBB104_471:
	s_or_b64 exec, exec, s[16:17]
.LBB104_472:
	s_or_b64 exec, exec, s[0:1]
	v_cmp_ne_u32_e32 vcc, v225, v222
	s_and_saveexec_b64 s[0:1], vcc
	s_xor_b64 s[0:1], exec, s[0:1]
	s_cbranch_execz .LBB104_478
; %bb.473:
	v_cmp_eq_u32_e32 vcc, 22, v225
	s_and_saveexec_b64 s[16:17], vcc
	s_cbranch_execz .LBB104_477
; %bb.474:
	v_cmp_ne_u32_e32 vcc, 22, v222
	s_xor_b64 s[18:19], s[14:15], -1
	s_and_b64 s[22:23], s[18:19], vcc
	s_and_saveexec_b64 s[18:19], s[22:23]
	s_cbranch_execz .LBB104_476
; %bb.475:
	v_ashrrev_i32_e32 v223, 31, v222
	v_lshl_add_u64 v[228:229], v[222:223], 2, v[220:221]
	global_load_dword v223, v[228:229], off
	global_load_dword v225, v[220:221], off offset:88
	s_waitcnt vmcnt(1)
	global_store_dword v[220:221], v223, off offset:88
	s_waitcnt vmcnt(1)
	global_store_dword v[228:229], v225, off
.LBB104_476:
	s_or_b64 exec, exec, s[18:19]
	v_mov_b32_e32 v225, v222
	v_mov_b32_e32 v227, v222
.LBB104_477:
	s_or_b64 exec, exec, s[16:17]
.LBB104_478:
	s_andn2_saveexec_b64 s[0:1], s[0:1]
	s_cbranch_execz .LBB104_480
; %bb.479:
	v_mov_b32_e32 v225, 22
	s_waitcnt vmcnt(29)
	ds_write2_b64 v224, v[112:113], v[114:115] offset0:46 offset1:47
	s_waitcnt vmcnt(28)
	ds_write2_b64 v224, v[108:109], v[110:111] offset0:48 offset1:49
	s_waitcnt vmcnt(27)
	ds_write2_b64 v224, v[104:105], v[106:107] offset0:50 offset1:51
	s_waitcnt vmcnt(26)
	ds_write2_b64 v224, v[100:101], v[102:103] offset0:52 offset1:53
	s_waitcnt vmcnt(25)
	ds_write2_b64 v224, v[96:97], v[98:99] offset0:54 offset1:55
	s_waitcnt vmcnt(24)
	ds_write2_b64 v224, v[92:93], v[94:95] offset0:56 offset1:57
	s_waitcnt vmcnt(23)
	ds_write2_b64 v224, v[88:89], v[90:91] offset0:58 offset1:59
	s_waitcnt vmcnt(22)
	ds_write2_b64 v224, v[84:85], v[86:87] offset0:60 offset1:61
	s_waitcnt vmcnt(21)
	ds_write2_b64 v224, v[80:81], v[82:83] offset0:62 offset1:63
	s_waitcnt vmcnt(20)
	ds_write2_b64 v224, v[76:77], v[78:79] offset0:64 offset1:65
	s_waitcnt vmcnt(19)
	ds_write2_b64 v224, v[72:73], v[74:75] offset0:66 offset1:67
	s_waitcnt vmcnt(18)
	ds_write2_b64 v224, v[68:69], v[70:71] offset0:68 offset1:69
	s_waitcnt vmcnt(17)
	ds_write2_b64 v224, v[64:65], v[66:67] offset0:70 offset1:71
	s_waitcnt vmcnt(16)
	ds_write2_b64 v224, v[60:61], v[62:63] offset0:72 offset1:73
	s_waitcnt vmcnt(15)
	ds_write2_b64 v224, v[56:57], v[58:59] offset0:74 offset1:75
	s_waitcnt vmcnt(14)
	ds_write2_b64 v224, v[52:53], v[54:55] offset0:76 offset1:77
	s_waitcnt vmcnt(13)
	ds_write2_b64 v224, v[48:49], v[50:51] offset0:78 offset1:79
	s_waitcnt vmcnt(12)
	ds_write2_b64 v224, v[44:45], v[46:47] offset0:80 offset1:81
	s_waitcnt vmcnt(11)
	ds_write2_b64 v224, v[40:41], v[42:43] offset0:82 offset1:83
	s_waitcnt vmcnt(10)
	ds_write2_b64 v224, v[36:37], v[38:39] offset0:84 offset1:85
	s_waitcnt vmcnt(9)
	ds_write2_b64 v224, v[32:33], v[34:35] offset0:86 offset1:87
	s_waitcnt vmcnt(8)
	ds_write2_b64 v224, v[28:29], v[30:31] offset0:88 offset1:89
	s_waitcnt vmcnt(7)
	ds_write2_b64 v224, v[24:25], v[26:27] offset0:90 offset1:91
	s_waitcnt vmcnt(6)
	ds_write2_b64 v224, v[20:21], v[22:23] offset0:92 offset1:93
	s_waitcnt vmcnt(5)
	ds_write2_b64 v224, v[16:17], v[18:19] offset0:94 offset1:95
	s_waitcnt vmcnt(4)
	ds_write2_b64 v224, v[12:13], v[14:15] offset0:96 offset1:97
	s_waitcnt vmcnt(3)
	ds_write2_b64 v224, v[8:9], v[10:11] offset0:98 offset1:99
	s_waitcnt vmcnt(2)
	ds_write2_b64 v224, v[4:5], v[6:7] offset0:100 offset1:101
	s_waitcnt vmcnt(1)
	ds_write2_b64 v224, v[0:1], v[2:3] offset0:102 offset1:103
	s_waitcnt vmcnt(0)
	ds_write2_b64 v224, v[208:209], v[210:211] offset0:104 offset1:105
.LBB104_480:
	s_or_b64 exec, exec, s[0:1]
	v_cmp_lt_i32_e32 vcc, 22, v225
	s_waitcnt lgkmcnt(0)
	s_barrier
	s_and_saveexec_b64 s[0:1], vcc
	s_cbranch_execz .LBB104_482
; %bb.481:
	ds_read2_b64 v[228:231], v224 offset0:46 offset1:47
	v_mul_f64 v[222:223], v[214:215], v[118:119]
	v_mul_f64 v[118:119], v[212:213], v[118:119]
	v_fma_f64 v[222:223], v[212:213], v[116:117], -v[222:223]
	v_fmac_f64_e32 v[118:119], v[214:215], v[116:117]
	ds_read2_b64 v[212:215], v224 offset0:48 offset1:49
	s_waitcnt lgkmcnt(1)
	v_mul_f64 v[116:117], v[230:231], v[118:119]
	v_fma_f64 v[116:117], v[228:229], v[222:223], -v[116:117]
	v_mul_f64 v[228:229], v[228:229], v[118:119]
	v_fmac_f64_e32 v[228:229], v[230:231], v[222:223]
	s_waitcnt vmcnt(29)
	v_add_f64 v[112:113], v[112:113], -v[116:117]
	s_waitcnt lgkmcnt(0)
	v_mul_f64 v[116:117], v[214:215], v[118:119]
	v_add_f64 v[114:115], v[114:115], -v[228:229]
	v_fma_f64 v[116:117], v[212:213], v[222:223], -v[116:117]
	v_mul_f64 v[212:213], v[212:213], v[118:119]
	ds_read2_b64 v[228:231], v224 offset0:50 offset1:51
	v_fmac_f64_e32 v[212:213], v[214:215], v[222:223]
	s_waitcnt vmcnt(28)
	v_add_f64 v[110:111], v[110:111], -v[212:213]
	ds_read2_b64 v[212:215], v224 offset0:52 offset1:53
	v_add_f64 v[108:109], v[108:109], -v[116:117]
	s_waitcnt lgkmcnt(1)
	v_mul_f64 v[116:117], v[230:231], v[118:119]
	v_fma_f64 v[116:117], v[228:229], v[222:223], -v[116:117]
	v_mul_f64 v[228:229], v[228:229], v[118:119]
	v_fmac_f64_e32 v[228:229], v[230:231], v[222:223]
	s_waitcnt vmcnt(27)
	v_add_f64 v[104:105], v[104:105], -v[116:117]
	s_waitcnt lgkmcnt(0)
	v_mul_f64 v[116:117], v[214:215], v[118:119]
	v_add_f64 v[106:107], v[106:107], -v[228:229]
	v_fma_f64 v[116:117], v[212:213], v[222:223], -v[116:117]
	v_mul_f64 v[212:213], v[212:213], v[118:119]
	ds_read2_b64 v[228:231], v224 offset0:54 offset1:55
	v_fmac_f64_e32 v[212:213], v[214:215], v[222:223]
	s_waitcnt vmcnt(26)
	v_add_f64 v[102:103], v[102:103], -v[212:213]
	ds_read2_b64 v[212:215], v224 offset0:56 offset1:57
	v_add_f64 v[100:101], v[100:101], -v[116:117]
	s_waitcnt lgkmcnt(1)
	v_mul_f64 v[116:117], v[230:231], v[118:119]
	v_fma_f64 v[116:117], v[228:229], v[222:223], -v[116:117]
	v_mul_f64 v[228:229], v[228:229], v[118:119]
	v_fmac_f64_e32 v[228:229], v[230:231], v[222:223]
	s_waitcnt vmcnt(25)
	v_add_f64 v[96:97], v[96:97], -v[116:117]
	s_waitcnt lgkmcnt(0)
	v_mul_f64 v[116:117], v[214:215], v[118:119]
	v_add_f64 v[98:99], v[98:99], -v[228:229]
	v_fma_f64 v[116:117], v[212:213], v[222:223], -v[116:117]
	v_mul_f64 v[212:213], v[212:213], v[118:119]
	ds_read2_b64 v[228:231], v224 offset0:58 offset1:59
	v_fmac_f64_e32 v[212:213], v[214:215], v[222:223]
	s_waitcnt vmcnt(24)
	v_add_f64 v[94:95], v[94:95], -v[212:213]
	ds_read2_b64 v[212:215], v224 offset0:60 offset1:61
	v_add_f64 v[92:93], v[92:93], -v[116:117]
	s_waitcnt lgkmcnt(1)
	v_mul_f64 v[116:117], v[230:231], v[118:119]
	v_fma_f64 v[116:117], v[228:229], v[222:223], -v[116:117]
	v_mul_f64 v[228:229], v[228:229], v[118:119]
	v_fmac_f64_e32 v[228:229], v[230:231], v[222:223]
	s_waitcnt vmcnt(23)
	v_add_f64 v[88:89], v[88:89], -v[116:117]
	s_waitcnt lgkmcnt(0)
	v_mul_f64 v[116:117], v[214:215], v[118:119]
	v_add_f64 v[90:91], v[90:91], -v[228:229]
	v_fma_f64 v[116:117], v[212:213], v[222:223], -v[116:117]
	v_mul_f64 v[212:213], v[212:213], v[118:119]
	ds_read2_b64 v[228:231], v224 offset0:62 offset1:63
	v_fmac_f64_e32 v[212:213], v[214:215], v[222:223]
	s_waitcnt vmcnt(22)
	v_add_f64 v[86:87], v[86:87], -v[212:213]
	ds_read2_b64 v[212:215], v224 offset0:64 offset1:65
	v_add_f64 v[84:85], v[84:85], -v[116:117]
	s_waitcnt lgkmcnt(1)
	v_mul_f64 v[116:117], v[230:231], v[118:119]
	v_fma_f64 v[116:117], v[228:229], v[222:223], -v[116:117]
	v_mul_f64 v[228:229], v[228:229], v[118:119]
	v_fmac_f64_e32 v[228:229], v[230:231], v[222:223]
	s_waitcnt vmcnt(21)
	v_add_f64 v[80:81], v[80:81], -v[116:117]
	s_waitcnt lgkmcnt(0)
	v_mul_f64 v[116:117], v[214:215], v[118:119]
	v_add_f64 v[82:83], v[82:83], -v[228:229]
	v_fma_f64 v[116:117], v[212:213], v[222:223], -v[116:117]
	v_mul_f64 v[212:213], v[212:213], v[118:119]
	ds_read2_b64 v[228:231], v224 offset0:66 offset1:67
	v_fmac_f64_e32 v[212:213], v[214:215], v[222:223]
	s_waitcnt vmcnt(20)
	v_add_f64 v[78:79], v[78:79], -v[212:213]
	ds_read2_b64 v[212:215], v224 offset0:68 offset1:69
	v_add_f64 v[76:77], v[76:77], -v[116:117]
	s_waitcnt lgkmcnt(1)
	v_mul_f64 v[116:117], v[230:231], v[118:119]
	v_fma_f64 v[116:117], v[228:229], v[222:223], -v[116:117]
	v_mul_f64 v[228:229], v[228:229], v[118:119]
	v_fmac_f64_e32 v[228:229], v[230:231], v[222:223]
	s_waitcnt vmcnt(19)
	v_add_f64 v[72:73], v[72:73], -v[116:117]
	s_waitcnt lgkmcnt(0)
	v_mul_f64 v[116:117], v[214:215], v[118:119]
	v_add_f64 v[74:75], v[74:75], -v[228:229]
	v_fma_f64 v[116:117], v[212:213], v[222:223], -v[116:117]
	v_mul_f64 v[212:213], v[212:213], v[118:119]
	ds_read2_b64 v[228:231], v224 offset0:70 offset1:71
	v_fmac_f64_e32 v[212:213], v[214:215], v[222:223]
	s_waitcnt vmcnt(18)
	v_add_f64 v[70:71], v[70:71], -v[212:213]
	ds_read2_b64 v[212:215], v224 offset0:72 offset1:73
	v_add_f64 v[68:69], v[68:69], -v[116:117]
	s_waitcnt lgkmcnt(1)
	v_mul_f64 v[116:117], v[230:231], v[118:119]
	v_fma_f64 v[116:117], v[228:229], v[222:223], -v[116:117]
	v_mul_f64 v[228:229], v[228:229], v[118:119]
	v_fmac_f64_e32 v[228:229], v[230:231], v[222:223]
	s_waitcnt vmcnt(17)
	v_add_f64 v[64:65], v[64:65], -v[116:117]
	s_waitcnt lgkmcnt(0)
	v_mul_f64 v[116:117], v[214:215], v[118:119]
	v_add_f64 v[66:67], v[66:67], -v[228:229]
	v_fma_f64 v[116:117], v[212:213], v[222:223], -v[116:117]
	v_mul_f64 v[212:213], v[212:213], v[118:119]
	ds_read2_b64 v[228:231], v224 offset0:74 offset1:75
	v_fmac_f64_e32 v[212:213], v[214:215], v[222:223]
	s_waitcnt vmcnt(16)
	v_add_f64 v[62:63], v[62:63], -v[212:213]
	ds_read2_b64 v[212:215], v224 offset0:76 offset1:77
	v_add_f64 v[60:61], v[60:61], -v[116:117]
	s_waitcnt lgkmcnt(1)
	v_mul_f64 v[116:117], v[230:231], v[118:119]
	v_fma_f64 v[116:117], v[228:229], v[222:223], -v[116:117]
	v_mul_f64 v[228:229], v[228:229], v[118:119]
	v_fmac_f64_e32 v[228:229], v[230:231], v[222:223]
	s_waitcnt vmcnt(15)
	v_add_f64 v[56:57], v[56:57], -v[116:117]
	s_waitcnt lgkmcnt(0)
	v_mul_f64 v[116:117], v[214:215], v[118:119]
	v_add_f64 v[58:59], v[58:59], -v[228:229]
	v_fma_f64 v[116:117], v[212:213], v[222:223], -v[116:117]
	v_mul_f64 v[212:213], v[212:213], v[118:119]
	ds_read2_b64 v[228:231], v224 offset0:78 offset1:79
	v_fmac_f64_e32 v[212:213], v[214:215], v[222:223]
	s_waitcnt vmcnt(14)
	v_add_f64 v[54:55], v[54:55], -v[212:213]
	ds_read2_b64 v[212:215], v224 offset0:80 offset1:81
	v_add_f64 v[52:53], v[52:53], -v[116:117]
	s_waitcnt lgkmcnt(1)
	v_mul_f64 v[116:117], v[230:231], v[118:119]
	v_fma_f64 v[116:117], v[228:229], v[222:223], -v[116:117]
	v_mul_f64 v[228:229], v[228:229], v[118:119]
	v_fmac_f64_e32 v[228:229], v[230:231], v[222:223]
	s_waitcnt vmcnt(13)
	v_add_f64 v[48:49], v[48:49], -v[116:117]
	s_waitcnt lgkmcnt(0)
	v_mul_f64 v[116:117], v[214:215], v[118:119]
	v_add_f64 v[50:51], v[50:51], -v[228:229]
	v_fma_f64 v[116:117], v[212:213], v[222:223], -v[116:117]
	v_mul_f64 v[212:213], v[212:213], v[118:119]
	ds_read2_b64 v[228:231], v224 offset0:82 offset1:83
	v_fmac_f64_e32 v[212:213], v[214:215], v[222:223]
	s_waitcnt vmcnt(12)
	v_add_f64 v[46:47], v[46:47], -v[212:213]
	ds_read2_b64 v[212:215], v224 offset0:84 offset1:85
	v_add_f64 v[44:45], v[44:45], -v[116:117]
	s_waitcnt lgkmcnt(1)
	v_mul_f64 v[116:117], v[230:231], v[118:119]
	v_fma_f64 v[116:117], v[228:229], v[222:223], -v[116:117]
	v_mul_f64 v[228:229], v[228:229], v[118:119]
	v_fmac_f64_e32 v[228:229], v[230:231], v[222:223]
	s_waitcnt vmcnt(11)
	v_add_f64 v[40:41], v[40:41], -v[116:117]
	s_waitcnt lgkmcnt(0)
	v_mul_f64 v[116:117], v[214:215], v[118:119]
	v_add_f64 v[42:43], v[42:43], -v[228:229]
	v_fma_f64 v[116:117], v[212:213], v[222:223], -v[116:117]
	v_mul_f64 v[212:213], v[212:213], v[118:119]
	ds_read2_b64 v[228:231], v224 offset0:86 offset1:87
	v_fmac_f64_e32 v[212:213], v[214:215], v[222:223]
	s_waitcnt vmcnt(10)
	v_add_f64 v[38:39], v[38:39], -v[212:213]
	ds_read2_b64 v[212:215], v224 offset0:88 offset1:89
	v_add_f64 v[36:37], v[36:37], -v[116:117]
	s_waitcnt lgkmcnt(1)
	v_mul_f64 v[116:117], v[230:231], v[118:119]
	v_fma_f64 v[116:117], v[228:229], v[222:223], -v[116:117]
	v_mul_f64 v[228:229], v[228:229], v[118:119]
	v_fmac_f64_e32 v[228:229], v[230:231], v[222:223]
	s_waitcnt vmcnt(9)
	v_add_f64 v[32:33], v[32:33], -v[116:117]
	s_waitcnt lgkmcnt(0)
	v_mul_f64 v[116:117], v[214:215], v[118:119]
	v_add_f64 v[34:35], v[34:35], -v[228:229]
	v_fma_f64 v[116:117], v[212:213], v[222:223], -v[116:117]
	v_mul_f64 v[212:213], v[212:213], v[118:119]
	ds_read2_b64 v[228:231], v224 offset0:90 offset1:91
	v_fmac_f64_e32 v[212:213], v[214:215], v[222:223]
	s_waitcnt vmcnt(8)
	v_add_f64 v[30:31], v[30:31], -v[212:213]
	ds_read2_b64 v[212:215], v224 offset0:92 offset1:93
	v_add_f64 v[28:29], v[28:29], -v[116:117]
	s_waitcnt lgkmcnt(1)
	v_mul_f64 v[116:117], v[230:231], v[118:119]
	v_fma_f64 v[116:117], v[228:229], v[222:223], -v[116:117]
	v_mul_f64 v[228:229], v[228:229], v[118:119]
	v_fmac_f64_e32 v[228:229], v[230:231], v[222:223]
	s_waitcnt vmcnt(7)
	v_add_f64 v[24:25], v[24:25], -v[116:117]
	s_waitcnt lgkmcnt(0)
	v_mul_f64 v[116:117], v[214:215], v[118:119]
	v_add_f64 v[26:27], v[26:27], -v[228:229]
	v_fma_f64 v[116:117], v[212:213], v[222:223], -v[116:117]
	v_mul_f64 v[212:213], v[212:213], v[118:119]
	ds_read2_b64 v[228:231], v224 offset0:94 offset1:95
	v_fmac_f64_e32 v[212:213], v[214:215], v[222:223]
	s_waitcnt vmcnt(6)
	v_add_f64 v[22:23], v[22:23], -v[212:213]
	ds_read2_b64 v[212:215], v224 offset0:96 offset1:97
	v_add_f64 v[20:21], v[20:21], -v[116:117]
	s_waitcnt lgkmcnt(1)
	v_mul_f64 v[116:117], v[230:231], v[118:119]
	v_fma_f64 v[116:117], v[228:229], v[222:223], -v[116:117]
	v_mul_f64 v[228:229], v[228:229], v[118:119]
	v_fmac_f64_e32 v[228:229], v[230:231], v[222:223]
	s_waitcnt vmcnt(5)
	v_add_f64 v[16:17], v[16:17], -v[116:117]
	s_waitcnt lgkmcnt(0)
	v_mul_f64 v[116:117], v[214:215], v[118:119]
	v_add_f64 v[18:19], v[18:19], -v[228:229]
	v_fma_f64 v[116:117], v[212:213], v[222:223], -v[116:117]
	v_mul_f64 v[212:213], v[212:213], v[118:119]
	ds_read2_b64 v[228:231], v224 offset0:98 offset1:99
	v_fmac_f64_e32 v[212:213], v[214:215], v[222:223]
	s_waitcnt vmcnt(4)
	v_add_f64 v[14:15], v[14:15], -v[212:213]
	ds_read2_b64 v[212:215], v224 offset0:100 offset1:101
	v_add_f64 v[12:13], v[12:13], -v[116:117]
	s_waitcnt lgkmcnt(1)
	v_mul_f64 v[116:117], v[230:231], v[118:119]
	v_fma_f64 v[116:117], v[228:229], v[222:223], -v[116:117]
	v_mul_f64 v[228:229], v[228:229], v[118:119]
	v_fmac_f64_e32 v[228:229], v[230:231], v[222:223]
	s_waitcnt vmcnt(3)
	v_add_f64 v[8:9], v[8:9], -v[116:117]
	s_waitcnt lgkmcnt(0)
	v_mul_f64 v[116:117], v[214:215], v[118:119]
	v_add_f64 v[10:11], v[10:11], -v[228:229]
	v_fma_f64 v[116:117], v[212:213], v[222:223], -v[116:117]
	v_mul_f64 v[212:213], v[212:213], v[118:119]
	ds_read2_b64 v[228:231], v224 offset0:102 offset1:103
	v_fmac_f64_e32 v[212:213], v[214:215], v[222:223]
	s_waitcnt vmcnt(2)
	v_add_f64 v[6:7], v[6:7], -v[212:213]
	ds_read2_b64 v[212:215], v224 offset0:104 offset1:105
	v_add_f64 v[4:5], v[4:5], -v[116:117]
	s_waitcnt lgkmcnt(1)
	v_mul_f64 v[116:117], v[230:231], v[118:119]
	v_fma_f64 v[116:117], v[228:229], v[222:223], -v[116:117]
	s_waitcnt vmcnt(1)
	v_add_f64 v[0:1], v[0:1], -v[116:117]
	s_waitcnt lgkmcnt(0)
	v_mul_f64 v[116:117], v[214:215], v[118:119]
	v_mul_f64 v[228:229], v[228:229], v[118:119]
	v_fma_f64 v[116:117], v[212:213], v[222:223], -v[116:117]
	v_mul_f64 v[212:213], v[212:213], v[118:119]
	v_fmac_f64_e32 v[228:229], v[230:231], v[222:223]
	v_fmac_f64_e32 v[212:213], v[214:215], v[222:223]
	v_add_f64 v[2:3], v[2:3], -v[228:229]
	s_waitcnt vmcnt(0)
	v_add_f64 v[208:209], v[208:209], -v[116:117]
	v_add_f64 v[210:211], v[210:211], -v[212:213]
	v_mov_b64_e32 v[116:117], v[222:223]
.LBB104_482:
	s_or_b64 exec, exec, s[0:1]
	v_lshl_add_u32 v212, v225, 4, v224
	s_barrier
	s_waitcnt vmcnt(29)
	ds_write2_b64 v212, v[112:113], v[114:115] offset1:1
	s_waitcnt lgkmcnt(0)
	s_barrier
	ds_read2_b64 v[212:215], v224 offset0:46 offset1:47
	s_cmp_lt_i32 s20, 25
	v_mov_b32_e32 v222, 23
	s_cbranch_scc1 .LBB104_485
; %bb.483:
	v_add_u32_e32 v223, 0x180, v224
	s_mov_b32 s16, 24
	v_mov_b32_e32 v222, 23
.LBB104_484:                            ; =>This Inner Loop Header: Depth=1
	ds_read2_b64 v[228:231], v223 offset1:1
	s_waitcnt lgkmcnt(1)
	v_xor_b32_e32 v233, 0x80000000, v213
	v_xor_b32_e32 v235, 0x80000000, v215
	v_cmp_gt_f64_e32 vcc, 0, v[214:215]
	v_cmp_gt_f64_e64 s[0:1], 0, v[212:213]
	v_mov_b32_e32 v232, v212
	v_mov_b32_e32 v234, v214
	v_cndmask_b32_e64 v233, v213, v233, s[0:1]
	v_cndmask_b32_e32 v235, v215, v235, vcc
	v_add_f64 v[232:233], v[232:233], v[234:235]
	s_waitcnt lgkmcnt(0)
	v_xor_b32_e32 v235, 0x80000000, v229
	v_xor_b32_e32 v237, 0x80000000, v231
	v_cmp_gt_f64_e32 vcc, 0, v[230:231]
	v_cmp_gt_f64_e64 s[0:1], 0, v[228:229]
	v_mov_b32_e32 v234, v228
	v_mov_b32_e32 v236, v230
	v_cndmask_b32_e64 v235, v229, v235, s[0:1]
	v_cndmask_b32_e32 v237, v231, v237, vcc
	v_add_f64 v[234:235], v[234:235], v[236:237]
	v_mov_b32_e32 v238, s16
	s_add_i32 s16, s16, 1
	v_cmp_lt_f64_e32 vcc, v[232:233], v[234:235]
	v_add_u32_e32 v223, 16, v223
	s_cmp_lg_u32 s20, s16
	v_cndmask_b32_e32 v213, v213, v229, vcc
	v_cndmask_b32_e32 v212, v212, v228, vcc
	;; [unrolled: 1-line block ×5, first 2 shown]
	s_cbranch_scc1 .LBB104_484
.LBB104_485:
	s_waitcnt lgkmcnt(0)
	v_cmp_eq_f64_e32 vcc, 0, v[212:213]
	v_cmp_eq_f64_e64 s[0:1], 0, v[214:215]
	s_and_b64 s[0:1], vcc, s[0:1]
	s_and_saveexec_b64 s[16:17], s[0:1]
	s_xor_b64 s[0:1], exec, s[16:17]
; %bb.486:
	v_cmp_ne_u32_e32 vcc, 0, v226
	s_nop 1
	v_cndmask_b32_e32 v226, 24, v226, vcc
; %bb.487:
	s_andn2_saveexec_b64 s[0:1], s[0:1]
	s_cbranch_execz .LBB104_493
; %bb.488:
	v_cmp_ngt_f64_e64 s[16:17], |v[212:213]|, |v[214:215]|
	s_and_saveexec_b64 s[18:19], s[16:17]
	s_xor_b64 s[16:17], exec, s[18:19]
	s_cbranch_execz .LBB104_490
; %bb.489:
	v_div_scale_f64 v[228:229], s[18:19], v[214:215], v[214:215], v[212:213]
	v_rcp_f64_e32 v[230:231], v[228:229]
	v_div_scale_f64 v[232:233], vcc, v[212:213], v[214:215], v[212:213]
	v_fma_f64 v[234:235], -v[228:229], v[230:231], 1.0
	v_fmac_f64_e32 v[230:231], v[230:231], v[234:235]
	v_fma_f64 v[234:235], -v[228:229], v[230:231], 1.0
	v_fmac_f64_e32 v[230:231], v[230:231], v[234:235]
	v_mul_f64 v[234:235], v[232:233], v[230:231]
	v_fma_f64 v[228:229], -v[228:229], v[234:235], v[232:233]
	v_div_fmas_f64 v[228:229], v[228:229], v[230:231], v[234:235]
	v_div_fixup_f64 v[228:229], v[228:229], v[214:215], v[212:213]
	v_fmac_f64_e32 v[214:215], v[212:213], v[228:229]
	v_div_scale_f64 v[212:213], s[18:19], v[214:215], v[214:215], 1.0
	v_rcp_f64_e32 v[230:231], v[212:213]
	s_nop 0
	v_fma_f64 v[232:233], -v[212:213], v[230:231], 1.0
	v_fmac_f64_e32 v[230:231], v[230:231], v[232:233]
	v_fma_f64 v[232:233], -v[212:213], v[230:231], 1.0
	v_fmac_f64_e32 v[230:231], v[230:231], v[232:233]
	v_div_scale_f64 v[232:233], vcc, 1.0, v[214:215], 1.0
	v_mul_f64 v[234:235], v[232:233], v[230:231]
	v_fma_f64 v[212:213], -v[212:213], v[234:235], v[232:233]
	s_nop 1
	v_div_fmas_f64 v[212:213], v[212:213], v[230:231], v[234:235]
	v_div_fixup_f64 v[214:215], v[212:213], v[214:215], 1.0
	v_mul_f64 v[212:213], v[228:229], v[214:215]
	v_xor_b32_e32 v215, 0x80000000, v215
.LBB104_490:
	s_andn2_saveexec_b64 s[16:17], s[16:17]
	s_cbranch_execz .LBB104_492
; %bb.491:
	v_div_scale_f64 v[228:229], s[18:19], v[212:213], v[212:213], v[214:215]
	v_rcp_f64_e32 v[230:231], v[228:229]
	v_div_scale_f64 v[232:233], vcc, v[214:215], v[212:213], v[214:215]
	v_fma_f64 v[234:235], -v[228:229], v[230:231], 1.0
	v_fmac_f64_e32 v[230:231], v[230:231], v[234:235]
	v_fma_f64 v[234:235], -v[228:229], v[230:231], 1.0
	v_fmac_f64_e32 v[230:231], v[230:231], v[234:235]
	v_mul_f64 v[234:235], v[232:233], v[230:231]
	v_fma_f64 v[228:229], -v[228:229], v[234:235], v[232:233]
	v_div_fmas_f64 v[228:229], v[228:229], v[230:231], v[234:235]
	v_div_fixup_f64 v[228:229], v[228:229], v[212:213], v[214:215]
	v_fmac_f64_e32 v[212:213], v[214:215], v[228:229]
	v_div_scale_f64 v[214:215], s[18:19], v[212:213], v[212:213], 1.0
	v_rcp_f64_e32 v[230:231], v[214:215]
	s_nop 0
	v_fma_f64 v[232:233], -v[214:215], v[230:231], 1.0
	v_fmac_f64_e32 v[230:231], v[230:231], v[232:233]
	v_fma_f64 v[232:233], -v[214:215], v[230:231], 1.0
	v_fmac_f64_e32 v[230:231], v[230:231], v[232:233]
	v_div_scale_f64 v[232:233], vcc, 1.0, v[212:213], 1.0
	v_mul_f64 v[234:235], v[232:233], v[230:231]
	v_fma_f64 v[214:215], -v[214:215], v[234:235], v[232:233]
	s_nop 1
	v_div_fmas_f64 v[214:215], v[214:215], v[230:231], v[234:235]
	v_div_fixup_f64 v[212:213], v[214:215], v[212:213], 1.0
	v_mul_f64 v[214:215], v[228:229], -v[212:213]
.LBB104_492:
	s_or_b64 exec, exec, s[16:17]
.LBB104_493:
	s_or_b64 exec, exec, s[0:1]
	v_cmp_ne_u32_e32 vcc, v225, v222
	s_and_saveexec_b64 s[0:1], vcc
	s_xor_b64 s[0:1], exec, s[0:1]
	s_cbranch_execz .LBB104_499
; %bb.494:
	v_cmp_eq_u32_e32 vcc, 23, v225
	s_and_saveexec_b64 s[16:17], vcc
	s_cbranch_execz .LBB104_498
; %bb.495:
	v_cmp_ne_u32_e32 vcc, 23, v222
	s_xor_b64 s[18:19], s[14:15], -1
	s_and_b64 s[22:23], s[18:19], vcc
	s_and_saveexec_b64 s[18:19], s[22:23]
	s_cbranch_execz .LBB104_497
; %bb.496:
	v_ashrrev_i32_e32 v223, 31, v222
	v_lshl_add_u64 v[228:229], v[222:223], 2, v[220:221]
	global_load_dword v223, v[228:229], off
	global_load_dword v225, v[220:221], off offset:92
	s_waitcnt vmcnt(1)
	global_store_dword v[220:221], v223, off offset:92
	s_waitcnt vmcnt(1)
	global_store_dword v[228:229], v225, off
.LBB104_497:
	s_or_b64 exec, exec, s[18:19]
	v_mov_b32_e32 v225, v222
	v_mov_b32_e32 v227, v222
.LBB104_498:
	s_or_b64 exec, exec, s[16:17]
.LBB104_499:
	s_andn2_saveexec_b64 s[0:1], s[0:1]
	s_cbranch_execz .LBB104_501
; %bb.500:
	v_mov_b32_e32 v225, 23
	s_waitcnt vmcnt(28)
	ds_write2_b64 v224, v[108:109], v[110:111] offset0:48 offset1:49
	s_waitcnt vmcnt(27)
	ds_write2_b64 v224, v[104:105], v[106:107] offset0:50 offset1:51
	;; [unrolled: 2-line block ×29, first 2 shown]
.LBB104_501:
	s_or_b64 exec, exec, s[0:1]
	v_cmp_lt_i32_e32 vcc, 23, v225
	s_waitcnt lgkmcnt(0)
	s_barrier
	s_and_saveexec_b64 s[0:1], vcc
	s_cbranch_execz .LBB104_503
; %bb.502:
	ds_read2_b64 v[228:231], v224 offset0:48 offset1:49
	v_mul_f64 v[222:223], v[214:215], v[114:115]
	v_mul_f64 v[114:115], v[212:213], v[114:115]
	v_fmac_f64_e32 v[114:115], v[214:215], v[112:113]
	v_fma_f64 v[222:223], v[212:213], v[112:113], -v[222:223]
	ds_read2_b64 v[212:215], v224 offset0:50 offset1:51
	s_waitcnt lgkmcnt(1)
	v_mul_f64 v[112:113], v[230:231], v[114:115]
	v_fma_f64 v[112:113], v[228:229], v[222:223], -v[112:113]
	v_mul_f64 v[228:229], v[228:229], v[114:115]
	v_fmac_f64_e32 v[228:229], v[230:231], v[222:223]
	s_waitcnt vmcnt(28)
	v_add_f64 v[110:111], v[110:111], -v[228:229]
	ds_read2_b64 v[228:231], v224 offset0:52 offset1:53
	v_add_f64 v[108:109], v[108:109], -v[112:113]
	s_waitcnt lgkmcnt(1)
	v_mul_f64 v[112:113], v[214:215], v[114:115]
	v_fma_f64 v[112:113], v[212:213], v[222:223], -v[112:113]
	v_mul_f64 v[212:213], v[212:213], v[114:115]
	v_fmac_f64_e32 v[212:213], v[214:215], v[222:223]
	s_waitcnt vmcnt(27)
	v_add_f64 v[104:105], v[104:105], -v[112:113]
	v_add_f64 v[106:107], v[106:107], -v[212:213]
	ds_read2_b64 v[212:215], v224 offset0:54 offset1:55
	s_waitcnt lgkmcnt(1)
	v_mul_f64 v[112:113], v[230:231], v[114:115]
	v_fma_f64 v[112:113], v[228:229], v[222:223], -v[112:113]
	v_mul_f64 v[228:229], v[228:229], v[114:115]
	v_fmac_f64_e32 v[228:229], v[230:231], v[222:223]
	s_waitcnt vmcnt(26)
	v_add_f64 v[102:103], v[102:103], -v[228:229]
	ds_read2_b64 v[228:231], v224 offset0:56 offset1:57
	v_add_f64 v[100:101], v[100:101], -v[112:113]
	s_waitcnt lgkmcnt(1)
	v_mul_f64 v[112:113], v[214:215], v[114:115]
	v_fma_f64 v[112:113], v[212:213], v[222:223], -v[112:113]
	v_mul_f64 v[212:213], v[212:213], v[114:115]
	v_fmac_f64_e32 v[212:213], v[214:215], v[222:223]
	s_waitcnt vmcnt(25)
	v_add_f64 v[96:97], v[96:97], -v[112:113]
	v_add_f64 v[98:99], v[98:99], -v[212:213]
	;; [unrolled: 18-line block ×14, first 2 shown]
	s_waitcnt lgkmcnt(0)
	v_mul_f64 v[112:113], v[230:231], v[114:115]
	v_mul_f64 v[212:213], v[228:229], v[114:115]
	v_fma_f64 v[112:113], v[228:229], v[222:223], -v[112:113]
	v_fmac_f64_e32 v[212:213], v[230:231], v[222:223]
	s_waitcnt vmcnt(0)
	v_add_f64 v[208:209], v[208:209], -v[112:113]
	v_add_f64 v[210:211], v[210:211], -v[212:213]
	v_mov_b64_e32 v[112:113], v[222:223]
.LBB104_503:
	s_or_b64 exec, exec, s[0:1]
	v_lshl_add_u32 v212, v225, 4, v224
	s_barrier
	s_waitcnt vmcnt(28)
	ds_write2_b64 v212, v[108:109], v[110:111] offset1:1
	s_waitcnt lgkmcnt(0)
	s_barrier
	ds_read2_b64 v[212:215], v224 offset0:48 offset1:49
	s_cmp_lt_i32 s20, 26
	v_mov_b32_e32 v222, 24
	s_cbranch_scc1 .LBB104_506
; %bb.504:
	v_add_u32_e32 v223, 0x190, v224
	s_mov_b32 s16, 25
	v_mov_b32_e32 v222, 24
.LBB104_505:                            ; =>This Inner Loop Header: Depth=1
	ds_read2_b64 v[228:231], v223 offset1:1
	s_waitcnt lgkmcnt(1)
	v_xor_b32_e32 v233, 0x80000000, v213
	v_xor_b32_e32 v235, 0x80000000, v215
	v_cmp_gt_f64_e32 vcc, 0, v[214:215]
	v_cmp_gt_f64_e64 s[0:1], 0, v[212:213]
	v_mov_b32_e32 v232, v212
	v_mov_b32_e32 v234, v214
	v_cndmask_b32_e64 v233, v213, v233, s[0:1]
	v_cndmask_b32_e32 v235, v215, v235, vcc
	v_add_f64 v[232:233], v[232:233], v[234:235]
	s_waitcnt lgkmcnt(0)
	v_xor_b32_e32 v235, 0x80000000, v229
	v_xor_b32_e32 v237, 0x80000000, v231
	v_cmp_gt_f64_e32 vcc, 0, v[230:231]
	v_cmp_gt_f64_e64 s[0:1], 0, v[228:229]
	v_mov_b32_e32 v234, v228
	v_mov_b32_e32 v236, v230
	v_cndmask_b32_e64 v235, v229, v235, s[0:1]
	v_cndmask_b32_e32 v237, v231, v237, vcc
	v_add_f64 v[234:235], v[234:235], v[236:237]
	v_mov_b32_e32 v238, s16
	s_add_i32 s16, s16, 1
	v_cmp_lt_f64_e32 vcc, v[232:233], v[234:235]
	v_add_u32_e32 v223, 16, v223
	s_cmp_lg_u32 s20, s16
	v_cndmask_b32_e32 v213, v213, v229, vcc
	v_cndmask_b32_e32 v212, v212, v228, vcc
	;; [unrolled: 1-line block ×5, first 2 shown]
	s_cbranch_scc1 .LBB104_505
.LBB104_506:
	s_waitcnt lgkmcnt(0)
	v_cmp_eq_f64_e32 vcc, 0, v[212:213]
	v_cmp_eq_f64_e64 s[0:1], 0, v[214:215]
	s_and_b64 s[0:1], vcc, s[0:1]
	s_and_saveexec_b64 s[16:17], s[0:1]
	s_xor_b64 s[0:1], exec, s[16:17]
; %bb.507:
	v_cmp_ne_u32_e32 vcc, 0, v226
	s_nop 1
	v_cndmask_b32_e32 v226, 25, v226, vcc
; %bb.508:
	s_andn2_saveexec_b64 s[0:1], s[0:1]
	s_cbranch_execz .LBB104_514
; %bb.509:
	v_cmp_ngt_f64_e64 s[16:17], |v[212:213]|, |v[214:215]|
	s_and_saveexec_b64 s[18:19], s[16:17]
	s_xor_b64 s[16:17], exec, s[18:19]
	s_cbranch_execz .LBB104_511
; %bb.510:
	v_div_scale_f64 v[228:229], s[18:19], v[214:215], v[214:215], v[212:213]
	v_rcp_f64_e32 v[230:231], v[228:229]
	v_div_scale_f64 v[232:233], vcc, v[212:213], v[214:215], v[212:213]
	v_fma_f64 v[234:235], -v[228:229], v[230:231], 1.0
	v_fmac_f64_e32 v[230:231], v[230:231], v[234:235]
	v_fma_f64 v[234:235], -v[228:229], v[230:231], 1.0
	v_fmac_f64_e32 v[230:231], v[230:231], v[234:235]
	v_mul_f64 v[234:235], v[232:233], v[230:231]
	v_fma_f64 v[228:229], -v[228:229], v[234:235], v[232:233]
	v_div_fmas_f64 v[228:229], v[228:229], v[230:231], v[234:235]
	v_div_fixup_f64 v[228:229], v[228:229], v[214:215], v[212:213]
	v_fmac_f64_e32 v[214:215], v[212:213], v[228:229]
	v_div_scale_f64 v[212:213], s[18:19], v[214:215], v[214:215], 1.0
	v_rcp_f64_e32 v[230:231], v[212:213]
	s_nop 0
	v_fma_f64 v[232:233], -v[212:213], v[230:231], 1.0
	v_fmac_f64_e32 v[230:231], v[230:231], v[232:233]
	v_fma_f64 v[232:233], -v[212:213], v[230:231], 1.0
	v_fmac_f64_e32 v[230:231], v[230:231], v[232:233]
	v_div_scale_f64 v[232:233], vcc, 1.0, v[214:215], 1.0
	v_mul_f64 v[234:235], v[232:233], v[230:231]
	v_fma_f64 v[212:213], -v[212:213], v[234:235], v[232:233]
	s_nop 1
	v_div_fmas_f64 v[212:213], v[212:213], v[230:231], v[234:235]
	v_div_fixup_f64 v[214:215], v[212:213], v[214:215], 1.0
	v_mul_f64 v[212:213], v[228:229], v[214:215]
	v_xor_b32_e32 v215, 0x80000000, v215
.LBB104_511:
	s_andn2_saveexec_b64 s[16:17], s[16:17]
	s_cbranch_execz .LBB104_513
; %bb.512:
	v_div_scale_f64 v[228:229], s[18:19], v[212:213], v[212:213], v[214:215]
	v_rcp_f64_e32 v[230:231], v[228:229]
	v_div_scale_f64 v[232:233], vcc, v[214:215], v[212:213], v[214:215]
	v_fma_f64 v[234:235], -v[228:229], v[230:231], 1.0
	v_fmac_f64_e32 v[230:231], v[230:231], v[234:235]
	v_fma_f64 v[234:235], -v[228:229], v[230:231], 1.0
	v_fmac_f64_e32 v[230:231], v[230:231], v[234:235]
	v_mul_f64 v[234:235], v[232:233], v[230:231]
	v_fma_f64 v[228:229], -v[228:229], v[234:235], v[232:233]
	v_div_fmas_f64 v[228:229], v[228:229], v[230:231], v[234:235]
	v_div_fixup_f64 v[228:229], v[228:229], v[212:213], v[214:215]
	v_fmac_f64_e32 v[212:213], v[214:215], v[228:229]
	v_div_scale_f64 v[214:215], s[18:19], v[212:213], v[212:213], 1.0
	v_rcp_f64_e32 v[230:231], v[214:215]
	s_nop 0
	v_fma_f64 v[232:233], -v[214:215], v[230:231], 1.0
	v_fmac_f64_e32 v[230:231], v[230:231], v[232:233]
	v_fma_f64 v[232:233], -v[214:215], v[230:231], 1.0
	v_fmac_f64_e32 v[230:231], v[230:231], v[232:233]
	v_div_scale_f64 v[232:233], vcc, 1.0, v[212:213], 1.0
	v_mul_f64 v[234:235], v[232:233], v[230:231]
	v_fma_f64 v[214:215], -v[214:215], v[234:235], v[232:233]
	s_nop 1
	v_div_fmas_f64 v[214:215], v[214:215], v[230:231], v[234:235]
	v_div_fixup_f64 v[212:213], v[214:215], v[212:213], 1.0
	v_mul_f64 v[214:215], v[228:229], -v[212:213]
.LBB104_513:
	s_or_b64 exec, exec, s[16:17]
.LBB104_514:
	s_or_b64 exec, exec, s[0:1]
	v_cmp_ne_u32_e32 vcc, v225, v222
	s_and_saveexec_b64 s[0:1], vcc
	s_xor_b64 s[0:1], exec, s[0:1]
	s_cbranch_execz .LBB104_520
; %bb.515:
	v_cmp_eq_u32_e32 vcc, 24, v225
	s_and_saveexec_b64 s[16:17], vcc
	s_cbranch_execz .LBB104_519
; %bb.516:
	v_cmp_ne_u32_e32 vcc, 24, v222
	s_xor_b64 s[18:19], s[14:15], -1
	s_and_b64 s[22:23], s[18:19], vcc
	s_and_saveexec_b64 s[18:19], s[22:23]
	s_cbranch_execz .LBB104_518
; %bb.517:
	v_ashrrev_i32_e32 v223, 31, v222
	v_lshl_add_u64 v[228:229], v[222:223], 2, v[220:221]
	global_load_dword v223, v[228:229], off
	global_load_dword v225, v[220:221], off offset:96
	s_waitcnt vmcnt(1)
	global_store_dword v[220:221], v223, off offset:96
	s_waitcnt vmcnt(1)
	global_store_dword v[228:229], v225, off
.LBB104_518:
	s_or_b64 exec, exec, s[18:19]
	v_mov_b32_e32 v225, v222
	v_mov_b32_e32 v227, v222
.LBB104_519:
	s_or_b64 exec, exec, s[16:17]
.LBB104_520:
	s_andn2_saveexec_b64 s[0:1], s[0:1]
	s_cbranch_execz .LBB104_522
; %bb.521:
	v_mov_b32_e32 v225, 24
	s_waitcnt vmcnt(27)
	ds_write2_b64 v224, v[104:105], v[106:107] offset0:50 offset1:51
	s_waitcnt vmcnt(26)
	ds_write2_b64 v224, v[100:101], v[102:103] offset0:52 offset1:53
	;; [unrolled: 2-line block ×28, first 2 shown]
.LBB104_522:
	s_or_b64 exec, exec, s[0:1]
	v_cmp_lt_i32_e32 vcc, 24, v225
	s_waitcnt lgkmcnt(0)
	s_barrier
	s_and_saveexec_b64 s[0:1], vcc
	s_cbranch_execz .LBB104_524
; %bb.523:
	ds_read2_b64 v[228:231], v224 offset0:50 offset1:51
	v_mul_f64 v[222:223], v[214:215], v[110:111]
	v_mul_f64 v[110:111], v[212:213], v[110:111]
	v_fma_f64 v[222:223], v[212:213], v[108:109], -v[222:223]
	v_fmac_f64_e32 v[110:111], v[214:215], v[108:109]
	ds_read2_b64 v[212:215], v224 offset0:52 offset1:53
	s_waitcnt lgkmcnt(1)
	v_mul_f64 v[108:109], v[230:231], v[110:111]
	v_fma_f64 v[108:109], v[228:229], v[222:223], -v[108:109]
	v_mul_f64 v[228:229], v[228:229], v[110:111]
	v_fmac_f64_e32 v[228:229], v[230:231], v[222:223]
	s_waitcnt vmcnt(27)
	v_add_f64 v[104:105], v[104:105], -v[108:109]
	s_waitcnt lgkmcnt(0)
	v_mul_f64 v[108:109], v[214:215], v[110:111]
	v_add_f64 v[106:107], v[106:107], -v[228:229]
	v_fma_f64 v[108:109], v[212:213], v[222:223], -v[108:109]
	v_mul_f64 v[212:213], v[212:213], v[110:111]
	ds_read2_b64 v[228:231], v224 offset0:54 offset1:55
	v_fmac_f64_e32 v[212:213], v[214:215], v[222:223]
	s_waitcnt vmcnt(26)
	v_add_f64 v[102:103], v[102:103], -v[212:213]
	ds_read2_b64 v[212:215], v224 offset0:56 offset1:57
	v_add_f64 v[100:101], v[100:101], -v[108:109]
	s_waitcnt lgkmcnt(1)
	v_mul_f64 v[108:109], v[230:231], v[110:111]
	v_fma_f64 v[108:109], v[228:229], v[222:223], -v[108:109]
	v_mul_f64 v[228:229], v[228:229], v[110:111]
	v_fmac_f64_e32 v[228:229], v[230:231], v[222:223]
	s_waitcnt vmcnt(25)
	v_add_f64 v[96:97], v[96:97], -v[108:109]
	s_waitcnt lgkmcnt(0)
	v_mul_f64 v[108:109], v[214:215], v[110:111]
	v_add_f64 v[98:99], v[98:99], -v[228:229]
	v_fma_f64 v[108:109], v[212:213], v[222:223], -v[108:109]
	v_mul_f64 v[212:213], v[212:213], v[110:111]
	ds_read2_b64 v[228:231], v224 offset0:58 offset1:59
	v_fmac_f64_e32 v[212:213], v[214:215], v[222:223]
	s_waitcnt vmcnt(24)
	v_add_f64 v[94:95], v[94:95], -v[212:213]
	ds_read2_b64 v[212:215], v224 offset0:60 offset1:61
	v_add_f64 v[92:93], v[92:93], -v[108:109]
	;; [unrolled: 18-line block ×13, first 2 shown]
	s_waitcnt lgkmcnt(1)
	v_mul_f64 v[108:109], v[230:231], v[110:111]
	v_fma_f64 v[108:109], v[228:229], v[222:223], -v[108:109]
	s_waitcnt vmcnt(1)
	v_add_f64 v[0:1], v[0:1], -v[108:109]
	s_waitcnt lgkmcnt(0)
	v_mul_f64 v[108:109], v[214:215], v[110:111]
	v_mul_f64 v[228:229], v[228:229], v[110:111]
	v_fma_f64 v[108:109], v[212:213], v[222:223], -v[108:109]
	v_mul_f64 v[212:213], v[212:213], v[110:111]
	v_fmac_f64_e32 v[228:229], v[230:231], v[222:223]
	v_fmac_f64_e32 v[212:213], v[214:215], v[222:223]
	v_add_f64 v[2:3], v[2:3], -v[228:229]
	s_waitcnt vmcnt(0)
	v_add_f64 v[208:209], v[208:209], -v[108:109]
	v_add_f64 v[210:211], v[210:211], -v[212:213]
	v_mov_b64_e32 v[108:109], v[222:223]
.LBB104_524:
	s_or_b64 exec, exec, s[0:1]
	v_lshl_add_u32 v212, v225, 4, v224
	s_barrier
	s_waitcnt vmcnt(27)
	ds_write2_b64 v212, v[104:105], v[106:107] offset1:1
	s_waitcnt lgkmcnt(0)
	s_barrier
	ds_read2_b64 v[212:215], v224 offset0:50 offset1:51
	s_cmp_lt_i32 s20, 27
	v_mov_b32_e32 v222, 25
	s_cbranch_scc1 .LBB104_527
; %bb.525:
	v_add_u32_e32 v223, 0x1a0, v224
	s_mov_b32 s16, 26
	v_mov_b32_e32 v222, 25
.LBB104_526:                            ; =>This Inner Loop Header: Depth=1
	ds_read2_b64 v[228:231], v223 offset1:1
	s_waitcnt lgkmcnt(1)
	v_xor_b32_e32 v233, 0x80000000, v213
	v_xor_b32_e32 v235, 0x80000000, v215
	v_cmp_gt_f64_e32 vcc, 0, v[214:215]
	v_cmp_gt_f64_e64 s[0:1], 0, v[212:213]
	v_mov_b32_e32 v232, v212
	v_mov_b32_e32 v234, v214
	v_cndmask_b32_e64 v233, v213, v233, s[0:1]
	v_cndmask_b32_e32 v235, v215, v235, vcc
	v_add_f64 v[232:233], v[232:233], v[234:235]
	s_waitcnt lgkmcnt(0)
	v_xor_b32_e32 v235, 0x80000000, v229
	v_xor_b32_e32 v237, 0x80000000, v231
	v_cmp_gt_f64_e32 vcc, 0, v[230:231]
	v_cmp_gt_f64_e64 s[0:1], 0, v[228:229]
	v_mov_b32_e32 v234, v228
	v_mov_b32_e32 v236, v230
	v_cndmask_b32_e64 v235, v229, v235, s[0:1]
	v_cndmask_b32_e32 v237, v231, v237, vcc
	v_add_f64 v[234:235], v[234:235], v[236:237]
	v_mov_b32_e32 v238, s16
	s_add_i32 s16, s16, 1
	v_cmp_lt_f64_e32 vcc, v[232:233], v[234:235]
	v_add_u32_e32 v223, 16, v223
	s_cmp_lg_u32 s20, s16
	v_cndmask_b32_e32 v213, v213, v229, vcc
	v_cndmask_b32_e32 v212, v212, v228, vcc
	;; [unrolled: 1-line block ×5, first 2 shown]
	s_cbranch_scc1 .LBB104_526
.LBB104_527:
	s_waitcnt lgkmcnt(0)
	v_cmp_eq_f64_e32 vcc, 0, v[212:213]
	v_cmp_eq_f64_e64 s[0:1], 0, v[214:215]
	s_and_b64 s[0:1], vcc, s[0:1]
	s_and_saveexec_b64 s[16:17], s[0:1]
	s_xor_b64 s[0:1], exec, s[16:17]
; %bb.528:
	v_cmp_ne_u32_e32 vcc, 0, v226
	s_nop 1
	v_cndmask_b32_e32 v226, 26, v226, vcc
; %bb.529:
	s_andn2_saveexec_b64 s[0:1], s[0:1]
	s_cbranch_execz .LBB104_535
; %bb.530:
	v_cmp_ngt_f64_e64 s[16:17], |v[212:213]|, |v[214:215]|
	s_and_saveexec_b64 s[18:19], s[16:17]
	s_xor_b64 s[16:17], exec, s[18:19]
	s_cbranch_execz .LBB104_532
; %bb.531:
	v_div_scale_f64 v[228:229], s[18:19], v[214:215], v[214:215], v[212:213]
	v_rcp_f64_e32 v[230:231], v[228:229]
	v_div_scale_f64 v[232:233], vcc, v[212:213], v[214:215], v[212:213]
	v_fma_f64 v[234:235], -v[228:229], v[230:231], 1.0
	v_fmac_f64_e32 v[230:231], v[230:231], v[234:235]
	v_fma_f64 v[234:235], -v[228:229], v[230:231], 1.0
	v_fmac_f64_e32 v[230:231], v[230:231], v[234:235]
	v_mul_f64 v[234:235], v[232:233], v[230:231]
	v_fma_f64 v[228:229], -v[228:229], v[234:235], v[232:233]
	v_div_fmas_f64 v[228:229], v[228:229], v[230:231], v[234:235]
	v_div_fixup_f64 v[228:229], v[228:229], v[214:215], v[212:213]
	v_fmac_f64_e32 v[214:215], v[212:213], v[228:229]
	v_div_scale_f64 v[212:213], s[18:19], v[214:215], v[214:215], 1.0
	v_rcp_f64_e32 v[230:231], v[212:213]
	s_nop 0
	v_fma_f64 v[232:233], -v[212:213], v[230:231], 1.0
	v_fmac_f64_e32 v[230:231], v[230:231], v[232:233]
	v_fma_f64 v[232:233], -v[212:213], v[230:231], 1.0
	v_fmac_f64_e32 v[230:231], v[230:231], v[232:233]
	v_div_scale_f64 v[232:233], vcc, 1.0, v[214:215], 1.0
	v_mul_f64 v[234:235], v[232:233], v[230:231]
	v_fma_f64 v[212:213], -v[212:213], v[234:235], v[232:233]
	s_nop 1
	v_div_fmas_f64 v[212:213], v[212:213], v[230:231], v[234:235]
	v_div_fixup_f64 v[214:215], v[212:213], v[214:215], 1.0
	v_mul_f64 v[212:213], v[228:229], v[214:215]
	v_xor_b32_e32 v215, 0x80000000, v215
.LBB104_532:
	s_andn2_saveexec_b64 s[16:17], s[16:17]
	s_cbranch_execz .LBB104_534
; %bb.533:
	v_div_scale_f64 v[228:229], s[18:19], v[212:213], v[212:213], v[214:215]
	v_rcp_f64_e32 v[230:231], v[228:229]
	v_div_scale_f64 v[232:233], vcc, v[214:215], v[212:213], v[214:215]
	v_fma_f64 v[234:235], -v[228:229], v[230:231], 1.0
	v_fmac_f64_e32 v[230:231], v[230:231], v[234:235]
	v_fma_f64 v[234:235], -v[228:229], v[230:231], 1.0
	v_fmac_f64_e32 v[230:231], v[230:231], v[234:235]
	v_mul_f64 v[234:235], v[232:233], v[230:231]
	v_fma_f64 v[228:229], -v[228:229], v[234:235], v[232:233]
	v_div_fmas_f64 v[228:229], v[228:229], v[230:231], v[234:235]
	v_div_fixup_f64 v[228:229], v[228:229], v[212:213], v[214:215]
	v_fmac_f64_e32 v[212:213], v[214:215], v[228:229]
	v_div_scale_f64 v[214:215], s[18:19], v[212:213], v[212:213], 1.0
	v_rcp_f64_e32 v[230:231], v[214:215]
	s_nop 0
	v_fma_f64 v[232:233], -v[214:215], v[230:231], 1.0
	v_fmac_f64_e32 v[230:231], v[230:231], v[232:233]
	v_fma_f64 v[232:233], -v[214:215], v[230:231], 1.0
	v_fmac_f64_e32 v[230:231], v[230:231], v[232:233]
	v_div_scale_f64 v[232:233], vcc, 1.0, v[212:213], 1.0
	v_mul_f64 v[234:235], v[232:233], v[230:231]
	v_fma_f64 v[214:215], -v[214:215], v[234:235], v[232:233]
	s_nop 1
	v_div_fmas_f64 v[214:215], v[214:215], v[230:231], v[234:235]
	v_div_fixup_f64 v[212:213], v[214:215], v[212:213], 1.0
	v_mul_f64 v[214:215], v[228:229], -v[212:213]
.LBB104_534:
	s_or_b64 exec, exec, s[16:17]
.LBB104_535:
	s_or_b64 exec, exec, s[0:1]
	v_cmp_ne_u32_e32 vcc, v225, v222
	s_and_saveexec_b64 s[0:1], vcc
	s_xor_b64 s[0:1], exec, s[0:1]
	s_cbranch_execz .LBB104_541
; %bb.536:
	v_cmp_eq_u32_e32 vcc, 25, v225
	s_and_saveexec_b64 s[16:17], vcc
	s_cbranch_execz .LBB104_540
; %bb.537:
	v_cmp_ne_u32_e32 vcc, 25, v222
	s_xor_b64 s[18:19], s[14:15], -1
	s_and_b64 s[22:23], s[18:19], vcc
	s_and_saveexec_b64 s[18:19], s[22:23]
	s_cbranch_execz .LBB104_539
; %bb.538:
	v_ashrrev_i32_e32 v223, 31, v222
	v_lshl_add_u64 v[228:229], v[222:223], 2, v[220:221]
	global_load_dword v223, v[228:229], off
	global_load_dword v225, v[220:221], off offset:100
	s_waitcnt vmcnt(1)
	global_store_dword v[220:221], v223, off offset:100
	s_waitcnt vmcnt(1)
	global_store_dword v[228:229], v225, off
.LBB104_539:
	s_or_b64 exec, exec, s[18:19]
	v_mov_b32_e32 v225, v222
	v_mov_b32_e32 v227, v222
.LBB104_540:
	s_or_b64 exec, exec, s[16:17]
.LBB104_541:
	s_andn2_saveexec_b64 s[0:1], s[0:1]
	s_cbranch_execz .LBB104_543
; %bb.542:
	v_mov_b32_e32 v225, 25
	s_waitcnt vmcnt(26)
	ds_write2_b64 v224, v[100:101], v[102:103] offset0:52 offset1:53
	s_waitcnt vmcnt(25)
	ds_write2_b64 v224, v[96:97], v[98:99] offset0:54 offset1:55
	;; [unrolled: 2-line block ×27, first 2 shown]
.LBB104_543:
	s_or_b64 exec, exec, s[0:1]
	v_cmp_lt_i32_e32 vcc, 25, v225
	s_waitcnt lgkmcnt(0)
	s_barrier
	s_and_saveexec_b64 s[0:1], vcc
	s_cbranch_execz .LBB104_545
; %bb.544:
	ds_read2_b64 v[228:231], v224 offset0:52 offset1:53
	v_mul_f64 v[222:223], v[214:215], v[106:107]
	v_mul_f64 v[106:107], v[212:213], v[106:107]
	v_fmac_f64_e32 v[106:107], v[214:215], v[104:105]
	v_fma_f64 v[222:223], v[212:213], v[104:105], -v[222:223]
	ds_read2_b64 v[212:215], v224 offset0:54 offset1:55
	s_waitcnt lgkmcnt(1)
	v_mul_f64 v[104:105], v[230:231], v[106:107]
	v_fma_f64 v[104:105], v[228:229], v[222:223], -v[104:105]
	v_mul_f64 v[228:229], v[228:229], v[106:107]
	v_fmac_f64_e32 v[228:229], v[230:231], v[222:223]
	s_waitcnt vmcnt(26)
	v_add_f64 v[102:103], v[102:103], -v[228:229]
	ds_read2_b64 v[228:231], v224 offset0:56 offset1:57
	v_add_f64 v[100:101], v[100:101], -v[104:105]
	s_waitcnt lgkmcnt(1)
	v_mul_f64 v[104:105], v[214:215], v[106:107]
	v_fma_f64 v[104:105], v[212:213], v[222:223], -v[104:105]
	v_mul_f64 v[212:213], v[212:213], v[106:107]
	v_fmac_f64_e32 v[212:213], v[214:215], v[222:223]
	s_waitcnt vmcnt(25)
	v_add_f64 v[96:97], v[96:97], -v[104:105]
	v_add_f64 v[98:99], v[98:99], -v[212:213]
	ds_read2_b64 v[212:215], v224 offset0:58 offset1:59
	s_waitcnt lgkmcnt(1)
	v_mul_f64 v[104:105], v[230:231], v[106:107]
	v_fma_f64 v[104:105], v[228:229], v[222:223], -v[104:105]
	v_mul_f64 v[228:229], v[228:229], v[106:107]
	v_fmac_f64_e32 v[228:229], v[230:231], v[222:223]
	s_waitcnt vmcnt(24)
	v_add_f64 v[94:95], v[94:95], -v[228:229]
	ds_read2_b64 v[228:231], v224 offset0:60 offset1:61
	v_add_f64 v[92:93], v[92:93], -v[104:105]
	s_waitcnt lgkmcnt(1)
	v_mul_f64 v[104:105], v[214:215], v[106:107]
	v_fma_f64 v[104:105], v[212:213], v[222:223], -v[104:105]
	v_mul_f64 v[212:213], v[212:213], v[106:107]
	v_fmac_f64_e32 v[212:213], v[214:215], v[222:223]
	s_waitcnt vmcnt(23)
	v_add_f64 v[88:89], v[88:89], -v[104:105]
	v_add_f64 v[90:91], v[90:91], -v[212:213]
	;; [unrolled: 18-line block ×13, first 2 shown]
	s_waitcnt lgkmcnt(0)
	v_mul_f64 v[104:105], v[230:231], v[106:107]
	v_mul_f64 v[212:213], v[228:229], v[106:107]
	v_fma_f64 v[104:105], v[228:229], v[222:223], -v[104:105]
	v_fmac_f64_e32 v[212:213], v[230:231], v[222:223]
	s_waitcnt vmcnt(0)
	v_add_f64 v[208:209], v[208:209], -v[104:105]
	v_add_f64 v[210:211], v[210:211], -v[212:213]
	v_mov_b64_e32 v[104:105], v[222:223]
.LBB104_545:
	s_or_b64 exec, exec, s[0:1]
	v_lshl_add_u32 v212, v225, 4, v224
	s_barrier
	s_waitcnt vmcnt(26)
	ds_write2_b64 v212, v[100:101], v[102:103] offset1:1
	s_waitcnt lgkmcnt(0)
	s_barrier
	ds_read2_b64 v[212:215], v224 offset0:52 offset1:53
	s_cmp_lt_i32 s20, 28
	v_mov_b32_e32 v222, 26
	s_cbranch_scc1 .LBB104_548
; %bb.546:
	v_add_u32_e32 v223, 0x1b0, v224
	s_mov_b32 s16, 27
	v_mov_b32_e32 v222, 26
.LBB104_547:                            ; =>This Inner Loop Header: Depth=1
	ds_read2_b64 v[228:231], v223 offset1:1
	s_waitcnt lgkmcnt(1)
	v_xor_b32_e32 v233, 0x80000000, v213
	v_xor_b32_e32 v235, 0x80000000, v215
	v_cmp_gt_f64_e32 vcc, 0, v[214:215]
	v_cmp_gt_f64_e64 s[0:1], 0, v[212:213]
	v_mov_b32_e32 v232, v212
	v_mov_b32_e32 v234, v214
	v_cndmask_b32_e64 v233, v213, v233, s[0:1]
	v_cndmask_b32_e32 v235, v215, v235, vcc
	v_add_f64 v[232:233], v[232:233], v[234:235]
	s_waitcnt lgkmcnt(0)
	v_xor_b32_e32 v235, 0x80000000, v229
	v_xor_b32_e32 v237, 0x80000000, v231
	v_cmp_gt_f64_e32 vcc, 0, v[230:231]
	v_cmp_gt_f64_e64 s[0:1], 0, v[228:229]
	v_mov_b32_e32 v234, v228
	v_mov_b32_e32 v236, v230
	v_cndmask_b32_e64 v235, v229, v235, s[0:1]
	v_cndmask_b32_e32 v237, v231, v237, vcc
	v_add_f64 v[234:235], v[234:235], v[236:237]
	v_mov_b32_e32 v238, s16
	s_add_i32 s16, s16, 1
	v_cmp_lt_f64_e32 vcc, v[232:233], v[234:235]
	v_add_u32_e32 v223, 16, v223
	s_cmp_lg_u32 s20, s16
	v_cndmask_b32_e32 v213, v213, v229, vcc
	v_cndmask_b32_e32 v212, v212, v228, vcc
	;; [unrolled: 1-line block ×5, first 2 shown]
	s_cbranch_scc1 .LBB104_547
.LBB104_548:
	s_waitcnt lgkmcnt(0)
	v_cmp_eq_f64_e32 vcc, 0, v[212:213]
	v_cmp_eq_f64_e64 s[0:1], 0, v[214:215]
	s_and_b64 s[0:1], vcc, s[0:1]
	s_and_saveexec_b64 s[16:17], s[0:1]
	s_xor_b64 s[0:1], exec, s[16:17]
; %bb.549:
	v_cmp_ne_u32_e32 vcc, 0, v226
	s_nop 1
	v_cndmask_b32_e32 v226, 27, v226, vcc
; %bb.550:
	s_andn2_saveexec_b64 s[0:1], s[0:1]
	s_cbranch_execz .LBB104_556
; %bb.551:
	v_cmp_ngt_f64_e64 s[16:17], |v[212:213]|, |v[214:215]|
	s_and_saveexec_b64 s[18:19], s[16:17]
	s_xor_b64 s[16:17], exec, s[18:19]
	s_cbranch_execz .LBB104_553
; %bb.552:
	v_div_scale_f64 v[228:229], s[18:19], v[214:215], v[214:215], v[212:213]
	v_rcp_f64_e32 v[230:231], v[228:229]
	v_div_scale_f64 v[232:233], vcc, v[212:213], v[214:215], v[212:213]
	v_fma_f64 v[234:235], -v[228:229], v[230:231], 1.0
	v_fmac_f64_e32 v[230:231], v[230:231], v[234:235]
	v_fma_f64 v[234:235], -v[228:229], v[230:231], 1.0
	v_fmac_f64_e32 v[230:231], v[230:231], v[234:235]
	v_mul_f64 v[234:235], v[232:233], v[230:231]
	v_fma_f64 v[228:229], -v[228:229], v[234:235], v[232:233]
	v_div_fmas_f64 v[228:229], v[228:229], v[230:231], v[234:235]
	v_div_fixup_f64 v[228:229], v[228:229], v[214:215], v[212:213]
	v_fmac_f64_e32 v[214:215], v[212:213], v[228:229]
	v_div_scale_f64 v[212:213], s[18:19], v[214:215], v[214:215], 1.0
	v_rcp_f64_e32 v[230:231], v[212:213]
	s_nop 0
	v_fma_f64 v[232:233], -v[212:213], v[230:231], 1.0
	v_fmac_f64_e32 v[230:231], v[230:231], v[232:233]
	v_fma_f64 v[232:233], -v[212:213], v[230:231], 1.0
	v_fmac_f64_e32 v[230:231], v[230:231], v[232:233]
	v_div_scale_f64 v[232:233], vcc, 1.0, v[214:215], 1.0
	v_mul_f64 v[234:235], v[232:233], v[230:231]
	v_fma_f64 v[212:213], -v[212:213], v[234:235], v[232:233]
	s_nop 1
	v_div_fmas_f64 v[212:213], v[212:213], v[230:231], v[234:235]
	v_div_fixup_f64 v[214:215], v[212:213], v[214:215], 1.0
	v_mul_f64 v[212:213], v[228:229], v[214:215]
	v_xor_b32_e32 v215, 0x80000000, v215
.LBB104_553:
	s_andn2_saveexec_b64 s[16:17], s[16:17]
	s_cbranch_execz .LBB104_555
; %bb.554:
	v_div_scale_f64 v[228:229], s[18:19], v[212:213], v[212:213], v[214:215]
	v_rcp_f64_e32 v[230:231], v[228:229]
	v_div_scale_f64 v[232:233], vcc, v[214:215], v[212:213], v[214:215]
	v_fma_f64 v[234:235], -v[228:229], v[230:231], 1.0
	v_fmac_f64_e32 v[230:231], v[230:231], v[234:235]
	v_fma_f64 v[234:235], -v[228:229], v[230:231], 1.0
	v_fmac_f64_e32 v[230:231], v[230:231], v[234:235]
	v_mul_f64 v[234:235], v[232:233], v[230:231]
	v_fma_f64 v[228:229], -v[228:229], v[234:235], v[232:233]
	v_div_fmas_f64 v[228:229], v[228:229], v[230:231], v[234:235]
	v_div_fixup_f64 v[228:229], v[228:229], v[212:213], v[214:215]
	v_fmac_f64_e32 v[212:213], v[214:215], v[228:229]
	v_div_scale_f64 v[214:215], s[18:19], v[212:213], v[212:213], 1.0
	v_rcp_f64_e32 v[230:231], v[214:215]
	s_nop 0
	v_fma_f64 v[232:233], -v[214:215], v[230:231], 1.0
	v_fmac_f64_e32 v[230:231], v[230:231], v[232:233]
	v_fma_f64 v[232:233], -v[214:215], v[230:231], 1.0
	v_fmac_f64_e32 v[230:231], v[230:231], v[232:233]
	v_div_scale_f64 v[232:233], vcc, 1.0, v[212:213], 1.0
	v_mul_f64 v[234:235], v[232:233], v[230:231]
	v_fma_f64 v[214:215], -v[214:215], v[234:235], v[232:233]
	s_nop 1
	v_div_fmas_f64 v[214:215], v[214:215], v[230:231], v[234:235]
	v_div_fixup_f64 v[212:213], v[214:215], v[212:213], 1.0
	v_mul_f64 v[214:215], v[228:229], -v[212:213]
.LBB104_555:
	s_or_b64 exec, exec, s[16:17]
.LBB104_556:
	s_or_b64 exec, exec, s[0:1]
	v_cmp_ne_u32_e32 vcc, v225, v222
	s_and_saveexec_b64 s[0:1], vcc
	s_xor_b64 s[0:1], exec, s[0:1]
	s_cbranch_execz .LBB104_562
; %bb.557:
	v_cmp_eq_u32_e32 vcc, 26, v225
	s_and_saveexec_b64 s[16:17], vcc
	s_cbranch_execz .LBB104_561
; %bb.558:
	v_cmp_ne_u32_e32 vcc, 26, v222
	s_xor_b64 s[18:19], s[14:15], -1
	s_and_b64 s[22:23], s[18:19], vcc
	s_and_saveexec_b64 s[18:19], s[22:23]
	s_cbranch_execz .LBB104_560
; %bb.559:
	v_ashrrev_i32_e32 v223, 31, v222
	v_lshl_add_u64 v[228:229], v[222:223], 2, v[220:221]
	global_load_dword v223, v[228:229], off
	global_load_dword v225, v[220:221], off offset:104
	s_waitcnt vmcnt(1)
	global_store_dword v[220:221], v223, off offset:104
	s_waitcnt vmcnt(1)
	global_store_dword v[228:229], v225, off
.LBB104_560:
	s_or_b64 exec, exec, s[18:19]
	v_mov_b32_e32 v225, v222
	v_mov_b32_e32 v227, v222
.LBB104_561:
	s_or_b64 exec, exec, s[16:17]
.LBB104_562:
	s_andn2_saveexec_b64 s[0:1], s[0:1]
	s_cbranch_execz .LBB104_564
; %bb.563:
	v_mov_b32_e32 v225, 26
	s_waitcnt vmcnt(25)
	ds_write2_b64 v224, v[96:97], v[98:99] offset0:54 offset1:55
	s_waitcnt vmcnt(24)
	ds_write2_b64 v224, v[92:93], v[94:95] offset0:56 offset1:57
	;; [unrolled: 2-line block ×26, first 2 shown]
.LBB104_564:
	s_or_b64 exec, exec, s[0:1]
	v_cmp_lt_i32_e32 vcc, 26, v225
	s_waitcnt lgkmcnt(0)
	s_barrier
	s_and_saveexec_b64 s[0:1], vcc
	s_cbranch_execz .LBB104_566
; %bb.565:
	ds_read2_b64 v[228:231], v224 offset0:54 offset1:55
	v_mul_f64 v[222:223], v[214:215], v[102:103]
	v_mul_f64 v[102:103], v[212:213], v[102:103]
	v_fma_f64 v[222:223], v[212:213], v[100:101], -v[222:223]
	v_fmac_f64_e32 v[102:103], v[214:215], v[100:101]
	ds_read2_b64 v[212:215], v224 offset0:56 offset1:57
	s_waitcnt lgkmcnt(1)
	v_mul_f64 v[100:101], v[230:231], v[102:103]
	v_fma_f64 v[100:101], v[228:229], v[222:223], -v[100:101]
	v_mul_f64 v[228:229], v[228:229], v[102:103]
	v_fmac_f64_e32 v[228:229], v[230:231], v[222:223]
	s_waitcnt vmcnt(25)
	v_add_f64 v[96:97], v[96:97], -v[100:101]
	s_waitcnt lgkmcnt(0)
	v_mul_f64 v[100:101], v[214:215], v[102:103]
	v_add_f64 v[98:99], v[98:99], -v[228:229]
	v_fma_f64 v[100:101], v[212:213], v[222:223], -v[100:101]
	v_mul_f64 v[212:213], v[212:213], v[102:103]
	ds_read2_b64 v[228:231], v224 offset0:58 offset1:59
	v_fmac_f64_e32 v[212:213], v[214:215], v[222:223]
	s_waitcnt vmcnt(24)
	v_add_f64 v[94:95], v[94:95], -v[212:213]
	ds_read2_b64 v[212:215], v224 offset0:60 offset1:61
	v_add_f64 v[92:93], v[92:93], -v[100:101]
	s_waitcnt lgkmcnt(1)
	v_mul_f64 v[100:101], v[230:231], v[102:103]
	v_fma_f64 v[100:101], v[228:229], v[222:223], -v[100:101]
	v_mul_f64 v[228:229], v[228:229], v[102:103]
	v_fmac_f64_e32 v[228:229], v[230:231], v[222:223]
	s_waitcnt vmcnt(23)
	v_add_f64 v[88:89], v[88:89], -v[100:101]
	s_waitcnt lgkmcnt(0)
	v_mul_f64 v[100:101], v[214:215], v[102:103]
	v_add_f64 v[90:91], v[90:91], -v[228:229]
	v_fma_f64 v[100:101], v[212:213], v[222:223], -v[100:101]
	v_mul_f64 v[212:213], v[212:213], v[102:103]
	ds_read2_b64 v[228:231], v224 offset0:62 offset1:63
	v_fmac_f64_e32 v[212:213], v[214:215], v[222:223]
	s_waitcnt vmcnt(22)
	v_add_f64 v[86:87], v[86:87], -v[212:213]
	ds_read2_b64 v[212:215], v224 offset0:64 offset1:65
	v_add_f64 v[84:85], v[84:85], -v[100:101]
	;; [unrolled: 18-line block ×12, first 2 shown]
	s_waitcnt lgkmcnt(1)
	v_mul_f64 v[100:101], v[230:231], v[102:103]
	v_fma_f64 v[100:101], v[228:229], v[222:223], -v[100:101]
	s_waitcnt vmcnt(1)
	v_add_f64 v[0:1], v[0:1], -v[100:101]
	s_waitcnt lgkmcnt(0)
	v_mul_f64 v[100:101], v[214:215], v[102:103]
	v_mul_f64 v[228:229], v[228:229], v[102:103]
	v_fma_f64 v[100:101], v[212:213], v[222:223], -v[100:101]
	v_mul_f64 v[212:213], v[212:213], v[102:103]
	v_fmac_f64_e32 v[228:229], v[230:231], v[222:223]
	v_fmac_f64_e32 v[212:213], v[214:215], v[222:223]
	v_add_f64 v[2:3], v[2:3], -v[228:229]
	s_waitcnt vmcnt(0)
	v_add_f64 v[208:209], v[208:209], -v[100:101]
	v_add_f64 v[210:211], v[210:211], -v[212:213]
	v_mov_b64_e32 v[100:101], v[222:223]
.LBB104_566:
	s_or_b64 exec, exec, s[0:1]
	v_lshl_add_u32 v212, v225, 4, v224
	s_barrier
	s_waitcnt vmcnt(25)
	ds_write2_b64 v212, v[96:97], v[98:99] offset1:1
	s_waitcnt lgkmcnt(0)
	s_barrier
	ds_read2_b64 v[212:215], v224 offset0:54 offset1:55
	s_cmp_lt_i32 s20, 29
	v_mov_b32_e32 v222, 27
	s_cbranch_scc1 .LBB104_569
; %bb.567:
	v_add_u32_e32 v223, 0x1c0, v224
	s_mov_b32 s16, 28
	v_mov_b32_e32 v222, 27
.LBB104_568:                            ; =>This Inner Loop Header: Depth=1
	ds_read2_b64 v[228:231], v223 offset1:1
	s_waitcnt lgkmcnt(1)
	v_xor_b32_e32 v233, 0x80000000, v213
	v_xor_b32_e32 v235, 0x80000000, v215
	v_cmp_gt_f64_e32 vcc, 0, v[214:215]
	v_cmp_gt_f64_e64 s[0:1], 0, v[212:213]
	v_mov_b32_e32 v232, v212
	v_mov_b32_e32 v234, v214
	v_cndmask_b32_e64 v233, v213, v233, s[0:1]
	v_cndmask_b32_e32 v235, v215, v235, vcc
	v_add_f64 v[232:233], v[232:233], v[234:235]
	s_waitcnt lgkmcnt(0)
	v_xor_b32_e32 v235, 0x80000000, v229
	v_xor_b32_e32 v237, 0x80000000, v231
	v_cmp_gt_f64_e32 vcc, 0, v[230:231]
	v_cmp_gt_f64_e64 s[0:1], 0, v[228:229]
	v_mov_b32_e32 v234, v228
	v_mov_b32_e32 v236, v230
	v_cndmask_b32_e64 v235, v229, v235, s[0:1]
	v_cndmask_b32_e32 v237, v231, v237, vcc
	v_add_f64 v[234:235], v[234:235], v[236:237]
	v_mov_b32_e32 v238, s16
	s_add_i32 s16, s16, 1
	v_cmp_lt_f64_e32 vcc, v[232:233], v[234:235]
	v_add_u32_e32 v223, 16, v223
	s_cmp_lg_u32 s20, s16
	v_cndmask_b32_e32 v213, v213, v229, vcc
	v_cndmask_b32_e32 v212, v212, v228, vcc
	;; [unrolled: 1-line block ×5, first 2 shown]
	s_cbranch_scc1 .LBB104_568
.LBB104_569:
	s_waitcnt lgkmcnt(0)
	v_cmp_eq_f64_e32 vcc, 0, v[212:213]
	v_cmp_eq_f64_e64 s[0:1], 0, v[214:215]
	s_and_b64 s[0:1], vcc, s[0:1]
	s_and_saveexec_b64 s[16:17], s[0:1]
	s_xor_b64 s[0:1], exec, s[16:17]
; %bb.570:
	v_cmp_ne_u32_e32 vcc, 0, v226
	s_nop 1
	v_cndmask_b32_e32 v226, 28, v226, vcc
; %bb.571:
	s_andn2_saveexec_b64 s[0:1], s[0:1]
	s_cbranch_execz .LBB104_577
; %bb.572:
	v_cmp_ngt_f64_e64 s[16:17], |v[212:213]|, |v[214:215]|
	s_and_saveexec_b64 s[18:19], s[16:17]
	s_xor_b64 s[16:17], exec, s[18:19]
	s_cbranch_execz .LBB104_574
; %bb.573:
	v_div_scale_f64 v[228:229], s[18:19], v[214:215], v[214:215], v[212:213]
	v_rcp_f64_e32 v[230:231], v[228:229]
	v_div_scale_f64 v[232:233], vcc, v[212:213], v[214:215], v[212:213]
	v_fma_f64 v[234:235], -v[228:229], v[230:231], 1.0
	v_fmac_f64_e32 v[230:231], v[230:231], v[234:235]
	v_fma_f64 v[234:235], -v[228:229], v[230:231], 1.0
	v_fmac_f64_e32 v[230:231], v[230:231], v[234:235]
	v_mul_f64 v[234:235], v[232:233], v[230:231]
	v_fma_f64 v[228:229], -v[228:229], v[234:235], v[232:233]
	v_div_fmas_f64 v[228:229], v[228:229], v[230:231], v[234:235]
	v_div_fixup_f64 v[228:229], v[228:229], v[214:215], v[212:213]
	v_fmac_f64_e32 v[214:215], v[212:213], v[228:229]
	v_div_scale_f64 v[212:213], s[18:19], v[214:215], v[214:215], 1.0
	v_rcp_f64_e32 v[230:231], v[212:213]
	s_nop 0
	v_fma_f64 v[232:233], -v[212:213], v[230:231], 1.0
	v_fmac_f64_e32 v[230:231], v[230:231], v[232:233]
	v_fma_f64 v[232:233], -v[212:213], v[230:231], 1.0
	v_fmac_f64_e32 v[230:231], v[230:231], v[232:233]
	v_div_scale_f64 v[232:233], vcc, 1.0, v[214:215], 1.0
	v_mul_f64 v[234:235], v[232:233], v[230:231]
	v_fma_f64 v[212:213], -v[212:213], v[234:235], v[232:233]
	s_nop 1
	v_div_fmas_f64 v[212:213], v[212:213], v[230:231], v[234:235]
	v_div_fixup_f64 v[214:215], v[212:213], v[214:215], 1.0
	v_mul_f64 v[212:213], v[228:229], v[214:215]
	v_xor_b32_e32 v215, 0x80000000, v215
.LBB104_574:
	s_andn2_saveexec_b64 s[16:17], s[16:17]
	s_cbranch_execz .LBB104_576
; %bb.575:
	v_div_scale_f64 v[228:229], s[18:19], v[212:213], v[212:213], v[214:215]
	v_rcp_f64_e32 v[230:231], v[228:229]
	v_div_scale_f64 v[232:233], vcc, v[214:215], v[212:213], v[214:215]
	v_fma_f64 v[234:235], -v[228:229], v[230:231], 1.0
	v_fmac_f64_e32 v[230:231], v[230:231], v[234:235]
	v_fma_f64 v[234:235], -v[228:229], v[230:231], 1.0
	v_fmac_f64_e32 v[230:231], v[230:231], v[234:235]
	v_mul_f64 v[234:235], v[232:233], v[230:231]
	v_fma_f64 v[228:229], -v[228:229], v[234:235], v[232:233]
	v_div_fmas_f64 v[228:229], v[228:229], v[230:231], v[234:235]
	v_div_fixup_f64 v[228:229], v[228:229], v[212:213], v[214:215]
	v_fmac_f64_e32 v[212:213], v[214:215], v[228:229]
	v_div_scale_f64 v[214:215], s[18:19], v[212:213], v[212:213], 1.0
	v_rcp_f64_e32 v[230:231], v[214:215]
	s_nop 0
	v_fma_f64 v[232:233], -v[214:215], v[230:231], 1.0
	v_fmac_f64_e32 v[230:231], v[230:231], v[232:233]
	v_fma_f64 v[232:233], -v[214:215], v[230:231], 1.0
	v_fmac_f64_e32 v[230:231], v[230:231], v[232:233]
	v_div_scale_f64 v[232:233], vcc, 1.0, v[212:213], 1.0
	v_mul_f64 v[234:235], v[232:233], v[230:231]
	v_fma_f64 v[214:215], -v[214:215], v[234:235], v[232:233]
	s_nop 1
	v_div_fmas_f64 v[214:215], v[214:215], v[230:231], v[234:235]
	v_div_fixup_f64 v[212:213], v[214:215], v[212:213], 1.0
	v_mul_f64 v[214:215], v[228:229], -v[212:213]
.LBB104_576:
	s_or_b64 exec, exec, s[16:17]
.LBB104_577:
	s_or_b64 exec, exec, s[0:1]
	v_cmp_ne_u32_e32 vcc, v225, v222
	s_and_saveexec_b64 s[0:1], vcc
	s_xor_b64 s[0:1], exec, s[0:1]
	s_cbranch_execz .LBB104_583
; %bb.578:
	v_cmp_eq_u32_e32 vcc, 27, v225
	s_and_saveexec_b64 s[16:17], vcc
	s_cbranch_execz .LBB104_582
; %bb.579:
	v_cmp_ne_u32_e32 vcc, 27, v222
	s_xor_b64 s[18:19], s[14:15], -1
	s_and_b64 s[22:23], s[18:19], vcc
	s_and_saveexec_b64 s[18:19], s[22:23]
	s_cbranch_execz .LBB104_581
; %bb.580:
	v_ashrrev_i32_e32 v223, 31, v222
	v_lshl_add_u64 v[228:229], v[222:223], 2, v[220:221]
	global_load_dword v223, v[228:229], off
	global_load_dword v225, v[220:221], off offset:108
	s_waitcnt vmcnt(1)
	global_store_dword v[220:221], v223, off offset:108
	s_waitcnt vmcnt(1)
	global_store_dword v[228:229], v225, off
.LBB104_581:
	s_or_b64 exec, exec, s[18:19]
	v_mov_b32_e32 v225, v222
	v_mov_b32_e32 v227, v222
.LBB104_582:
	s_or_b64 exec, exec, s[16:17]
.LBB104_583:
	s_andn2_saveexec_b64 s[0:1], s[0:1]
	s_cbranch_execz .LBB104_585
; %bb.584:
	v_mov_b32_e32 v225, 27
	s_waitcnt vmcnt(24)
	ds_write2_b64 v224, v[92:93], v[94:95] offset0:56 offset1:57
	s_waitcnt vmcnt(23)
	ds_write2_b64 v224, v[88:89], v[90:91] offset0:58 offset1:59
	;; [unrolled: 2-line block ×25, first 2 shown]
.LBB104_585:
	s_or_b64 exec, exec, s[0:1]
	v_cmp_lt_i32_e32 vcc, 27, v225
	s_waitcnt lgkmcnt(0)
	s_barrier
	s_and_saveexec_b64 s[0:1], vcc
	s_cbranch_execz .LBB104_587
; %bb.586:
	ds_read2_b64 v[228:231], v224 offset0:56 offset1:57
	v_mul_f64 v[222:223], v[214:215], v[98:99]
	v_mul_f64 v[98:99], v[212:213], v[98:99]
	v_fmac_f64_e32 v[98:99], v[214:215], v[96:97]
	v_fma_f64 v[222:223], v[212:213], v[96:97], -v[222:223]
	ds_read2_b64 v[212:215], v224 offset0:58 offset1:59
	s_waitcnt lgkmcnt(1)
	v_mul_f64 v[96:97], v[230:231], v[98:99]
	v_fma_f64 v[96:97], v[228:229], v[222:223], -v[96:97]
	v_mul_f64 v[228:229], v[228:229], v[98:99]
	v_fmac_f64_e32 v[228:229], v[230:231], v[222:223]
	s_waitcnt vmcnt(24)
	v_add_f64 v[94:95], v[94:95], -v[228:229]
	ds_read2_b64 v[228:231], v224 offset0:60 offset1:61
	v_add_f64 v[92:93], v[92:93], -v[96:97]
	s_waitcnt lgkmcnt(1)
	v_mul_f64 v[96:97], v[214:215], v[98:99]
	v_fma_f64 v[96:97], v[212:213], v[222:223], -v[96:97]
	v_mul_f64 v[212:213], v[212:213], v[98:99]
	v_fmac_f64_e32 v[212:213], v[214:215], v[222:223]
	s_waitcnt vmcnt(23)
	v_add_f64 v[88:89], v[88:89], -v[96:97]
	v_add_f64 v[90:91], v[90:91], -v[212:213]
	ds_read2_b64 v[212:215], v224 offset0:62 offset1:63
	s_waitcnt lgkmcnt(1)
	v_mul_f64 v[96:97], v[230:231], v[98:99]
	v_fma_f64 v[96:97], v[228:229], v[222:223], -v[96:97]
	v_mul_f64 v[228:229], v[228:229], v[98:99]
	v_fmac_f64_e32 v[228:229], v[230:231], v[222:223]
	s_waitcnt vmcnt(22)
	v_add_f64 v[86:87], v[86:87], -v[228:229]
	ds_read2_b64 v[228:231], v224 offset0:64 offset1:65
	v_add_f64 v[84:85], v[84:85], -v[96:97]
	s_waitcnt lgkmcnt(1)
	v_mul_f64 v[96:97], v[214:215], v[98:99]
	v_fma_f64 v[96:97], v[212:213], v[222:223], -v[96:97]
	v_mul_f64 v[212:213], v[212:213], v[98:99]
	v_fmac_f64_e32 v[212:213], v[214:215], v[222:223]
	s_waitcnt vmcnt(21)
	v_add_f64 v[80:81], v[80:81], -v[96:97]
	v_add_f64 v[82:83], v[82:83], -v[212:213]
	;; [unrolled: 18-line block ×12, first 2 shown]
	s_waitcnt lgkmcnt(0)
	v_mul_f64 v[96:97], v[230:231], v[98:99]
	v_mul_f64 v[212:213], v[228:229], v[98:99]
	v_fma_f64 v[96:97], v[228:229], v[222:223], -v[96:97]
	v_fmac_f64_e32 v[212:213], v[230:231], v[222:223]
	s_waitcnt vmcnt(0)
	v_add_f64 v[208:209], v[208:209], -v[96:97]
	v_add_f64 v[210:211], v[210:211], -v[212:213]
	v_mov_b64_e32 v[96:97], v[222:223]
.LBB104_587:
	s_or_b64 exec, exec, s[0:1]
	v_lshl_add_u32 v212, v225, 4, v224
	s_barrier
	s_waitcnt vmcnt(24)
	ds_write2_b64 v212, v[92:93], v[94:95] offset1:1
	s_waitcnt lgkmcnt(0)
	s_barrier
	ds_read2_b64 v[212:215], v224 offset0:56 offset1:57
	s_cmp_lt_i32 s20, 30
	v_mov_b32_e32 v222, 28
	s_cbranch_scc1 .LBB104_590
; %bb.588:
	v_add_u32_e32 v223, 0x1d0, v224
	s_mov_b32 s16, 29
	v_mov_b32_e32 v222, 28
.LBB104_589:                            ; =>This Inner Loop Header: Depth=1
	ds_read2_b64 v[228:231], v223 offset1:1
	s_waitcnt lgkmcnt(1)
	v_xor_b32_e32 v233, 0x80000000, v213
	v_xor_b32_e32 v235, 0x80000000, v215
	v_cmp_gt_f64_e32 vcc, 0, v[214:215]
	v_cmp_gt_f64_e64 s[0:1], 0, v[212:213]
	v_mov_b32_e32 v232, v212
	v_mov_b32_e32 v234, v214
	v_cndmask_b32_e64 v233, v213, v233, s[0:1]
	v_cndmask_b32_e32 v235, v215, v235, vcc
	v_add_f64 v[232:233], v[232:233], v[234:235]
	s_waitcnt lgkmcnt(0)
	v_xor_b32_e32 v235, 0x80000000, v229
	v_xor_b32_e32 v237, 0x80000000, v231
	v_cmp_gt_f64_e32 vcc, 0, v[230:231]
	v_cmp_gt_f64_e64 s[0:1], 0, v[228:229]
	v_mov_b32_e32 v234, v228
	v_mov_b32_e32 v236, v230
	v_cndmask_b32_e64 v235, v229, v235, s[0:1]
	v_cndmask_b32_e32 v237, v231, v237, vcc
	v_add_f64 v[234:235], v[234:235], v[236:237]
	v_mov_b32_e32 v238, s16
	s_add_i32 s16, s16, 1
	v_cmp_lt_f64_e32 vcc, v[232:233], v[234:235]
	v_add_u32_e32 v223, 16, v223
	s_cmp_lg_u32 s20, s16
	v_cndmask_b32_e32 v213, v213, v229, vcc
	v_cndmask_b32_e32 v212, v212, v228, vcc
	;; [unrolled: 1-line block ×5, first 2 shown]
	s_cbranch_scc1 .LBB104_589
.LBB104_590:
	s_waitcnt lgkmcnt(0)
	v_cmp_eq_f64_e32 vcc, 0, v[212:213]
	v_cmp_eq_f64_e64 s[0:1], 0, v[214:215]
	s_and_b64 s[0:1], vcc, s[0:1]
	s_and_saveexec_b64 s[16:17], s[0:1]
	s_xor_b64 s[0:1], exec, s[16:17]
; %bb.591:
	v_cmp_ne_u32_e32 vcc, 0, v226
	s_nop 1
	v_cndmask_b32_e32 v226, 29, v226, vcc
; %bb.592:
	s_andn2_saveexec_b64 s[0:1], s[0:1]
	s_cbranch_execz .LBB104_598
; %bb.593:
	v_cmp_ngt_f64_e64 s[16:17], |v[212:213]|, |v[214:215]|
	s_and_saveexec_b64 s[18:19], s[16:17]
	s_xor_b64 s[16:17], exec, s[18:19]
	s_cbranch_execz .LBB104_595
; %bb.594:
	v_div_scale_f64 v[228:229], s[18:19], v[214:215], v[214:215], v[212:213]
	v_rcp_f64_e32 v[230:231], v[228:229]
	v_div_scale_f64 v[232:233], vcc, v[212:213], v[214:215], v[212:213]
	v_fma_f64 v[234:235], -v[228:229], v[230:231], 1.0
	v_fmac_f64_e32 v[230:231], v[230:231], v[234:235]
	v_fma_f64 v[234:235], -v[228:229], v[230:231], 1.0
	v_fmac_f64_e32 v[230:231], v[230:231], v[234:235]
	v_mul_f64 v[234:235], v[232:233], v[230:231]
	v_fma_f64 v[228:229], -v[228:229], v[234:235], v[232:233]
	v_div_fmas_f64 v[228:229], v[228:229], v[230:231], v[234:235]
	v_div_fixup_f64 v[228:229], v[228:229], v[214:215], v[212:213]
	v_fmac_f64_e32 v[214:215], v[212:213], v[228:229]
	v_div_scale_f64 v[212:213], s[18:19], v[214:215], v[214:215], 1.0
	v_rcp_f64_e32 v[230:231], v[212:213]
	s_nop 0
	v_fma_f64 v[232:233], -v[212:213], v[230:231], 1.0
	v_fmac_f64_e32 v[230:231], v[230:231], v[232:233]
	v_fma_f64 v[232:233], -v[212:213], v[230:231], 1.0
	v_fmac_f64_e32 v[230:231], v[230:231], v[232:233]
	v_div_scale_f64 v[232:233], vcc, 1.0, v[214:215], 1.0
	v_mul_f64 v[234:235], v[232:233], v[230:231]
	v_fma_f64 v[212:213], -v[212:213], v[234:235], v[232:233]
	s_nop 1
	v_div_fmas_f64 v[212:213], v[212:213], v[230:231], v[234:235]
	v_div_fixup_f64 v[214:215], v[212:213], v[214:215], 1.0
	v_mul_f64 v[212:213], v[228:229], v[214:215]
	v_xor_b32_e32 v215, 0x80000000, v215
.LBB104_595:
	s_andn2_saveexec_b64 s[16:17], s[16:17]
	s_cbranch_execz .LBB104_597
; %bb.596:
	v_div_scale_f64 v[228:229], s[18:19], v[212:213], v[212:213], v[214:215]
	v_rcp_f64_e32 v[230:231], v[228:229]
	v_div_scale_f64 v[232:233], vcc, v[214:215], v[212:213], v[214:215]
	v_fma_f64 v[234:235], -v[228:229], v[230:231], 1.0
	v_fmac_f64_e32 v[230:231], v[230:231], v[234:235]
	v_fma_f64 v[234:235], -v[228:229], v[230:231], 1.0
	v_fmac_f64_e32 v[230:231], v[230:231], v[234:235]
	v_mul_f64 v[234:235], v[232:233], v[230:231]
	v_fma_f64 v[228:229], -v[228:229], v[234:235], v[232:233]
	v_div_fmas_f64 v[228:229], v[228:229], v[230:231], v[234:235]
	v_div_fixup_f64 v[228:229], v[228:229], v[212:213], v[214:215]
	v_fmac_f64_e32 v[212:213], v[214:215], v[228:229]
	v_div_scale_f64 v[214:215], s[18:19], v[212:213], v[212:213], 1.0
	v_rcp_f64_e32 v[230:231], v[214:215]
	s_nop 0
	v_fma_f64 v[232:233], -v[214:215], v[230:231], 1.0
	v_fmac_f64_e32 v[230:231], v[230:231], v[232:233]
	v_fma_f64 v[232:233], -v[214:215], v[230:231], 1.0
	v_fmac_f64_e32 v[230:231], v[230:231], v[232:233]
	v_div_scale_f64 v[232:233], vcc, 1.0, v[212:213], 1.0
	v_mul_f64 v[234:235], v[232:233], v[230:231]
	v_fma_f64 v[214:215], -v[214:215], v[234:235], v[232:233]
	s_nop 1
	v_div_fmas_f64 v[214:215], v[214:215], v[230:231], v[234:235]
	v_div_fixup_f64 v[212:213], v[214:215], v[212:213], 1.0
	v_mul_f64 v[214:215], v[228:229], -v[212:213]
.LBB104_597:
	s_or_b64 exec, exec, s[16:17]
.LBB104_598:
	s_or_b64 exec, exec, s[0:1]
	v_cmp_ne_u32_e32 vcc, v225, v222
	s_and_saveexec_b64 s[0:1], vcc
	s_xor_b64 s[0:1], exec, s[0:1]
	s_cbranch_execz .LBB104_604
; %bb.599:
	v_cmp_eq_u32_e32 vcc, 28, v225
	s_and_saveexec_b64 s[16:17], vcc
	s_cbranch_execz .LBB104_603
; %bb.600:
	v_cmp_ne_u32_e32 vcc, 28, v222
	s_xor_b64 s[18:19], s[14:15], -1
	s_and_b64 s[22:23], s[18:19], vcc
	s_and_saveexec_b64 s[18:19], s[22:23]
	s_cbranch_execz .LBB104_602
; %bb.601:
	v_ashrrev_i32_e32 v223, 31, v222
	v_lshl_add_u64 v[228:229], v[222:223], 2, v[220:221]
	global_load_dword v223, v[228:229], off
	global_load_dword v225, v[220:221], off offset:112
	s_waitcnt vmcnt(1)
	global_store_dword v[220:221], v223, off offset:112
	s_waitcnt vmcnt(1)
	global_store_dword v[228:229], v225, off
.LBB104_602:
	s_or_b64 exec, exec, s[18:19]
	v_mov_b32_e32 v225, v222
	v_mov_b32_e32 v227, v222
.LBB104_603:
	s_or_b64 exec, exec, s[16:17]
.LBB104_604:
	s_andn2_saveexec_b64 s[0:1], s[0:1]
	s_cbranch_execz .LBB104_606
; %bb.605:
	v_mov_b32_e32 v225, 28
	s_waitcnt vmcnt(23)
	ds_write2_b64 v224, v[88:89], v[90:91] offset0:58 offset1:59
	s_waitcnt vmcnt(22)
	ds_write2_b64 v224, v[84:85], v[86:87] offset0:60 offset1:61
	;; [unrolled: 2-line block ×24, first 2 shown]
.LBB104_606:
	s_or_b64 exec, exec, s[0:1]
	v_cmp_lt_i32_e32 vcc, 28, v225
	s_waitcnt lgkmcnt(0)
	s_barrier
	s_and_saveexec_b64 s[0:1], vcc
	s_cbranch_execz .LBB104_608
; %bb.607:
	ds_read2_b64 v[228:231], v224 offset0:58 offset1:59
	v_mul_f64 v[222:223], v[214:215], v[94:95]
	v_mul_f64 v[94:95], v[212:213], v[94:95]
	v_fma_f64 v[222:223], v[212:213], v[92:93], -v[222:223]
	v_fmac_f64_e32 v[94:95], v[214:215], v[92:93]
	ds_read2_b64 v[212:215], v224 offset0:60 offset1:61
	s_waitcnt lgkmcnt(1)
	v_mul_f64 v[92:93], v[230:231], v[94:95]
	v_fma_f64 v[92:93], v[228:229], v[222:223], -v[92:93]
	v_mul_f64 v[228:229], v[228:229], v[94:95]
	v_fmac_f64_e32 v[228:229], v[230:231], v[222:223]
	s_waitcnt vmcnt(23)
	v_add_f64 v[88:89], v[88:89], -v[92:93]
	s_waitcnt lgkmcnt(0)
	v_mul_f64 v[92:93], v[214:215], v[94:95]
	v_add_f64 v[90:91], v[90:91], -v[228:229]
	v_fma_f64 v[92:93], v[212:213], v[222:223], -v[92:93]
	v_mul_f64 v[212:213], v[212:213], v[94:95]
	ds_read2_b64 v[228:231], v224 offset0:62 offset1:63
	v_fmac_f64_e32 v[212:213], v[214:215], v[222:223]
	s_waitcnt vmcnt(22)
	v_add_f64 v[86:87], v[86:87], -v[212:213]
	ds_read2_b64 v[212:215], v224 offset0:64 offset1:65
	v_add_f64 v[84:85], v[84:85], -v[92:93]
	s_waitcnt lgkmcnt(1)
	v_mul_f64 v[92:93], v[230:231], v[94:95]
	v_fma_f64 v[92:93], v[228:229], v[222:223], -v[92:93]
	v_mul_f64 v[228:229], v[228:229], v[94:95]
	v_fmac_f64_e32 v[228:229], v[230:231], v[222:223]
	s_waitcnt vmcnt(21)
	v_add_f64 v[80:81], v[80:81], -v[92:93]
	s_waitcnt lgkmcnt(0)
	v_mul_f64 v[92:93], v[214:215], v[94:95]
	v_add_f64 v[82:83], v[82:83], -v[228:229]
	v_fma_f64 v[92:93], v[212:213], v[222:223], -v[92:93]
	v_mul_f64 v[212:213], v[212:213], v[94:95]
	ds_read2_b64 v[228:231], v224 offset0:66 offset1:67
	v_fmac_f64_e32 v[212:213], v[214:215], v[222:223]
	s_waitcnt vmcnt(20)
	v_add_f64 v[78:79], v[78:79], -v[212:213]
	ds_read2_b64 v[212:215], v224 offset0:68 offset1:69
	v_add_f64 v[76:77], v[76:77], -v[92:93]
	;; [unrolled: 18-line block ×11, first 2 shown]
	s_waitcnt lgkmcnt(1)
	v_mul_f64 v[92:93], v[230:231], v[94:95]
	v_fma_f64 v[92:93], v[228:229], v[222:223], -v[92:93]
	s_waitcnt vmcnt(1)
	v_add_f64 v[0:1], v[0:1], -v[92:93]
	s_waitcnt lgkmcnt(0)
	v_mul_f64 v[92:93], v[214:215], v[94:95]
	v_mul_f64 v[228:229], v[228:229], v[94:95]
	v_fma_f64 v[92:93], v[212:213], v[222:223], -v[92:93]
	v_mul_f64 v[212:213], v[212:213], v[94:95]
	v_fmac_f64_e32 v[228:229], v[230:231], v[222:223]
	v_fmac_f64_e32 v[212:213], v[214:215], v[222:223]
	v_add_f64 v[2:3], v[2:3], -v[228:229]
	s_waitcnt vmcnt(0)
	v_add_f64 v[208:209], v[208:209], -v[92:93]
	v_add_f64 v[210:211], v[210:211], -v[212:213]
	v_mov_b64_e32 v[92:93], v[222:223]
.LBB104_608:
	s_or_b64 exec, exec, s[0:1]
	v_lshl_add_u32 v212, v225, 4, v224
	s_barrier
	s_waitcnt vmcnt(23)
	ds_write2_b64 v212, v[88:89], v[90:91] offset1:1
	s_waitcnt lgkmcnt(0)
	s_barrier
	ds_read2_b64 v[212:215], v224 offset0:58 offset1:59
	s_cmp_lt_i32 s20, 31
	v_mov_b32_e32 v222, 29
	s_cbranch_scc1 .LBB104_611
; %bb.609:
	v_add_u32_e32 v223, 0x1e0, v224
	s_mov_b32 s16, 30
	v_mov_b32_e32 v222, 29
.LBB104_610:                            ; =>This Inner Loop Header: Depth=1
	ds_read2_b64 v[228:231], v223 offset1:1
	s_waitcnt lgkmcnt(1)
	v_xor_b32_e32 v233, 0x80000000, v213
	v_xor_b32_e32 v235, 0x80000000, v215
	v_cmp_gt_f64_e32 vcc, 0, v[214:215]
	v_cmp_gt_f64_e64 s[0:1], 0, v[212:213]
	v_mov_b32_e32 v232, v212
	v_mov_b32_e32 v234, v214
	v_cndmask_b32_e64 v233, v213, v233, s[0:1]
	v_cndmask_b32_e32 v235, v215, v235, vcc
	v_add_f64 v[232:233], v[232:233], v[234:235]
	s_waitcnt lgkmcnt(0)
	v_xor_b32_e32 v235, 0x80000000, v229
	v_xor_b32_e32 v237, 0x80000000, v231
	v_cmp_gt_f64_e32 vcc, 0, v[230:231]
	v_cmp_gt_f64_e64 s[0:1], 0, v[228:229]
	v_mov_b32_e32 v234, v228
	v_mov_b32_e32 v236, v230
	v_cndmask_b32_e64 v235, v229, v235, s[0:1]
	v_cndmask_b32_e32 v237, v231, v237, vcc
	v_add_f64 v[234:235], v[234:235], v[236:237]
	v_mov_b32_e32 v238, s16
	s_add_i32 s16, s16, 1
	v_cmp_lt_f64_e32 vcc, v[232:233], v[234:235]
	v_add_u32_e32 v223, 16, v223
	s_cmp_lg_u32 s20, s16
	v_cndmask_b32_e32 v213, v213, v229, vcc
	v_cndmask_b32_e32 v212, v212, v228, vcc
	;; [unrolled: 1-line block ×5, first 2 shown]
	s_cbranch_scc1 .LBB104_610
.LBB104_611:
	s_waitcnt lgkmcnt(0)
	v_cmp_eq_f64_e32 vcc, 0, v[212:213]
	v_cmp_eq_f64_e64 s[0:1], 0, v[214:215]
	s_and_b64 s[0:1], vcc, s[0:1]
	s_and_saveexec_b64 s[16:17], s[0:1]
	s_xor_b64 s[0:1], exec, s[16:17]
; %bb.612:
	v_cmp_ne_u32_e32 vcc, 0, v226
	s_nop 1
	v_cndmask_b32_e32 v226, 30, v226, vcc
; %bb.613:
	s_andn2_saveexec_b64 s[0:1], s[0:1]
	s_cbranch_execz .LBB104_619
; %bb.614:
	v_cmp_ngt_f64_e64 s[16:17], |v[212:213]|, |v[214:215]|
	s_and_saveexec_b64 s[18:19], s[16:17]
	s_xor_b64 s[16:17], exec, s[18:19]
	s_cbranch_execz .LBB104_616
; %bb.615:
	v_div_scale_f64 v[228:229], s[18:19], v[214:215], v[214:215], v[212:213]
	v_rcp_f64_e32 v[230:231], v[228:229]
	v_div_scale_f64 v[232:233], vcc, v[212:213], v[214:215], v[212:213]
	v_fma_f64 v[234:235], -v[228:229], v[230:231], 1.0
	v_fmac_f64_e32 v[230:231], v[230:231], v[234:235]
	v_fma_f64 v[234:235], -v[228:229], v[230:231], 1.0
	v_fmac_f64_e32 v[230:231], v[230:231], v[234:235]
	v_mul_f64 v[234:235], v[232:233], v[230:231]
	v_fma_f64 v[228:229], -v[228:229], v[234:235], v[232:233]
	v_div_fmas_f64 v[228:229], v[228:229], v[230:231], v[234:235]
	v_div_fixup_f64 v[228:229], v[228:229], v[214:215], v[212:213]
	v_fmac_f64_e32 v[214:215], v[212:213], v[228:229]
	v_div_scale_f64 v[212:213], s[18:19], v[214:215], v[214:215], 1.0
	v_rcp_f64_e32 v[230:231], v[212:213]
	s_nop 0
	v_fma_f64 v[232:233], -v[212:213], v[230:231], 1.0
	v_fmac_f64_e32 v[230:231], v[230:231], v[232:233]
	v_fma_f64 v[232:233], -v[212:213], v[230:231], 1.0
	v_fmac_f64_e32 v[230:231], v[230:231], v[232:233]
	v_div_scale_f64 v[232:233], vcc, 1.0, v[214:215], 1.0
	v_mul_f64 v[234:235], v[232:233], v[230:231]
	v_fma_f64 v[212:213], -v[212:213], v[234:235], v[232:233]
	s_nop 1
	v_div_fmas_f64 v[212:213], v[212:213], v[230:231], v[234:235]
	v_div_fixup_f64 v[214:215], v[212:213], v[214:215], 1.0
	v_mul_f64 v[212:213], v[228:229], v[214:215]
	v_xor_b32_e32 v215, 0x80000000, v215
.LBB104_616:
	s_andn2_saveexec_b64 s[16:17], s[16:17]
	s_cbranch_execz .LBB104_618
; %bb.617:
	v_div_scale_f64 v[228:229], s[18:19], v[212:213], v[212:213], v[214:215]
	v_rcp_f64_e32 v[230:231], v[228:229]
	v_div_scale_f64 v[232:233], vcc, v[214:215], v[212:213], v[214:215]
	v_fma_f64 v[234:235], -v[228:229], v[230:231], 1.0
	v_fmac_f64_e32 v[230:231], v[230:231], v[234:235]
	v_fma_f64 v[234:235], -v[228:229], v[230:231], 1.0
	v_fmac_f64_e32 v[230:231], v[230:231], v[234:235]
	v_mul_f64 v[234:235], v[232:233], v[230:231]
	v_fma_f64 v[228:229], -v[228:229], v[234:235], v[232:233]
	v_div_fmas_f64 v[228:229], v[228:229], v[230:231], v[234:235]
	v_div_fixup_f64 v[228:229], v[228:229], v[212:213], v[214:215]
	v_fmac_f64_e32 v[212:213], v[214:215], v[228:229]
	v_div_scale_f64 v[214:215], s[18:19], v[212:213], v[212:213], 1.0
	v_rcp_f64_e32 v[230:231], v[214:215]
	s_nop 0
	v_fma_f64 v[232:233], -v[214:215], v[230:231], 1.0
	v_fmac_f64_e32 v[230:231], v[230:231], v[232:233]
	v_fma_f64 v[232:233], -v[214:215], v[230:231], 1.0
	v_fmac_f64_e32 v[230:231], v[230:231], v[232:233]
	v_div_scale_f64 v[232:233], vcc, 1.0, v[212:213], 1.0
	v_mul_f64 v[234:235], v[232:233], v[230:231]
	v_fma_f64 v[214:215], -v[214:215], v[234:235], v[232:233]
	s_nop 1
	v_div_fmas_f64 v[214:215], v[214:215], v[230:231], v[234:235]
	v_div_fixup_f64 v[212:213], v[214:215], v[212:213], 1.0
	v_mul_f64 v[214:215], v[228:229], -v[212:213]
.LBB104_618:
	s_or_b64 exec, exec, s[16:17]
.LBB104_619:
	s_or_b64 exec, exec, s[0:1]
	v_cmp_ne_u32_e32 vcc, v225, v222
	s_and_saveexec_b64 s[0:1], vcc
	s_xor_b64 s[0:1], exec, s[0:1]
	s_cbranch_execz .LBB104_625
; %bb.620:
	v_cmp_eq_u32_e32 vcc, 29, v225
	s_and_saveexec_b64 s[16:17], vcc
	s_cbranch_execz .LBB104_624
; %bb.621:
	v_cmp_ne_u32_e32 vcc, 29, v222
	s_xor_b64 s[18:19], s[14:15], -1
	s_and_b64 s[22:23], s[18:19], vcc
	s_and_saveexec_b64 s[18:19], s[22:23]
	s_cbranch_execz .LBB104_623
; %bb.622:
	v_ashrrev_i32_e32 v223, 31, v222
	v_lshl_add_u64 v[228:229], v[222:223], 2, v[220:221]
	global_load_dword v223, v[228:229], off
	global_load_dword v225, v[220:221], off offset:116
	s_waitcnt vmcnt(1)
	global_store_dword v[220:221], v223, off offset:116
	s_waitcnt vmcnt(1)
	global_store_dword v[228:229], v225, off
.LBB104_623:
	s_or_b64 exec, exec, s[18:19]
	v_mov_b32_e32 v225, v222
	v_mov_b32_e32 v227, v222
.LBB104_624:
	s_or_b64 exec, exec, s[16:17]
.LBB104_625:
	s_andn2_saveexec_b64 s[0:1], s[0:1]
	s_cbranch_execz .LBB104_627
; %bb.626:
	v_mov_b32_e32 v225, 29
	s_waitcnt vmcnt(22)
	ds_write2_b64 v224, v[84:85], v[86:87] offset0:60 offset1:61
	s_waitcnt vmcnt(21)
	ds_write2_b64 v224, v[80:81], v[82:83] offset0:62 offset1:63
	;; [unrolled: 2-line block ×23, first 2 shown]
.LBB104_627:
	s_or_b64 exec, exec, s[0:1]
	v_cmp_lt_i32_e32 vcc, 29, v225
	s_waitcnt lgkmcnt(0)
	s_barrier
	s_and_saveexec_b64 s[0:1], vcc
	s_cbranch_execz .LBB104_629
; %bb.628:
	ds_read2_b64 v[228:231], v224 offset0:60 offset1:61
	v_mul_f64 v[222:223], v[214:215], v[90:91]
	v_mul_f64 v[90:91], v[212:213], v[90:91]
	v_fmac_f64_e32 v[90:91], v[214:215], v[88:89]
	v_fma_f64 v[222:223], v[212:213], v[88:89], -v[222:223]
	ds_read2_b64 v[212:215], v224 offset0:62 offset1:63
	s_waitcnt lgkmcnt(1)
	v_mul_f64 v[88:89], v[230:231], v[90:91]
	v_fma_f64 v[88:89], v[228:229], v[222:223], -v[88:89]
	v_mul_f64 v[228:229], v[228:229], v[90:91]
	v_fmac_f64_e32 v[228:229], v[230:231], v[222:223]
	s_waitcnt vmcnt(22)
	v_add_f64 v[86:87], v[86:87], -v[228:229]
	ds_read2_b64 v[228:231], v224 offset0:64 offset1:65
	v_add_f64 v[84:85], v[84:85], -v[88:89]
	s_waitcnt lgkmcnt(1)
	v_mul_f64 v[88:89], v[214:215], v[90:91]
	v_fma_f64 v[88:89], v[212:213], v[222:223], -v[88:89]
	v_mul_f64 v[212:213], v[212:213], v[90:91]
	v_fmac_f64_e32 v[212:213], v[214:215], v[222:223]
	s_waitcnt vmcnt(21)
	v_add_f64 v[80:81], v[80:81], -v[88:89]
	v_add_f64 v[82:83], v[82:83], -v[212:213]
	ds_read2_b64 v[212:215], v224 offset0:66 offset1:67
	s_waitcnt lgkmcnt(1)
	v_mul_f64 v[88:89], v[230:231], v[90:91]
	v_fma_f64 v[88:89], v[228:229], v[222:223], -v[88:89]
	v_mul_f64 v[228:229], v[228:229], v[90:91]
	v_fmac_f64_e32 v[228:229], v[230:231], v[222:223]
	s_waitcnt vmcnt(20)
	v_add_f64 v[78:79], v[78:79], -v[228:229]
	ds_read2_b64 v[228:231], v224 offset0:68 offset1:69
	v_add_f64 v[76:77], v[76:77], -v[88:89]
	s_waitcnt lgkmcnt(1)
	v_mul_f64 v[88:89], v[214:215], v[90:91]
	v_fma_f64 v[88:89], v[212:213], v[222:223], -v[88:89]
	v_mul_f64 v[212:213], v[212:213], v[90:91]
	v_fmac_f64_e32 v[212:213], v[214:215], v[222:223]
	s_waitcnt vmcnt(19)
	v_add_f64 v[72:73], v[72:73], -v[88:89]
	v_add_f64 v[74:75], v[74:75], -v[212:213]
	;; [unrolled: 18-line block ×11, first 2 shown]
	s_waitcnt lgkmcnt(0)
	v_mul_f64 v[88:89], v[230:231], v[90:91]
	v_mul_f64 v[212:213], v[228:229], v[90:91]
	v_fma_f64 v[88:89], v[228:229], v[222:223], -v[88:89]
	v_fmac_f64_e32 v[212:213], v[230:231], v[222:223]
	s_waitcnt vmcnt(0)
	v_add_f64 v[208:209], v[208:209], -v[88:89]
	v_add_f64 v[210:211], v[210:211], -v[212:213]
	v_mov_b64_e32 v[88:89], v[222:223]
.LBB104_629:
	s_or_b64 exec, exec, s[0:1]
	v_lshl_add_u32 v212, v225, 4, v224
	s_barrier
	s_waitcnt vmcnt(22)
	ds_write2_b64 v212, v[84:85], v[86:87] offset1:1
	s_waitcnt lgkmcnt(0)
	s_barrier
	ds_read2_b64 v[212:215], v224 offset0:60 offset1:61
	s_cmp_lt_i32 s20, 32
	v_mov_b32_e32 v222, 30
	s_cbranch_scc1 .LBB104_632
; %bb.630:
	v_add_u32_e32 v223, 0x1f0, v224
	s_mov_b32 s16, 31
	v_mov_b32_e32 v222, 30
.LBB104_631:                            ; =>This Inner Loop Header: Depth=1
	ds_read2_b64 v[228:231], v223 offset1:1
	s_waitcnt lgkmcnt(1)
	v_xor_b32_e32 v233, 0x80000000, v213
	v_xor_b32_e32 v235, 0x80000000, v215
	v_cmp_gt_f64_e32 vcc, 0, v[214:215]
	v_cmp_gt_f64_e64 s[0:1], 0, v[212:213]
	v_mov_b32_e32 v232, v212
	v_mov_b32_e32 v234, v214
	v_cndmask_b32_e64 v233, v213, v233, s[0:1]
	v_cndmask_b32_e32 v235, v215, v235, vcc
	v_add_f64 v[232:233], v[232:233], v[234:235]
	s_waitcnt lgkmcnt(0)
	v_xor_b32_e32 v235, 0x80000000, v229
	v_xor_b32_e32 v237, 0x80000000, v231
	v_cmp_gt_f64_e32 vcc, 0, v[230:231]
	v_cmp_gt_f64_e64 s[0:1], 0, v[228:229]
	v_mov_b32_e32 v234, v228
	v_mov_b32_e32 v236, v230
	v_cndmask_b32_e64 v235, v229, v235, s[0:1]
	v_cndmask_b32_e32 v237, v231, v237, vcc
	v_add_f64 v[234:235], v[234:235], v[236:237]
	v_mov_b32_e32 v238, s16
	s_add_i32 s16, s16, 1
	v_cmp_lt_f64_e32 vcc, v[232:233], v[234:235]
	v_add_u32_e32 v223, 16, v223
	s_cmp_lg_u32 s20, s16
	v_cndmask_b32_e32 v213, v213, v229, vcc
	v_cndmask_b32_e32 v212, v212, v228, vcc
	;; [unrolled: 1-line block ×5, first 2 shown]
	s_cbranch_scc1 .LBB104_631
.LBB104_632:
	s_waitcnt lgkmcnt(0)
	v_cmp_eq_f64_e32 vcc, 0, v[212:213]
	v_cmp_eq_f64_e64 s[0:1], 0, v[214:215]
	s_and_b64 s[0:1], vcc, s[0:1]
	s_and_saveexec_b64 s[16:17], s[0:1]
	s_xor_b64 s[0:1], exec, s[16:17]
; %bb.633:
	v_cmp_ne_u32_e32 vcc, 0, v226
	s_nop 1
	v_cndmask_b32_e32 v226, 31, v226, vcc
; %bb.634:
	s_andn2_saveexec_b64 s[0:1], s[0:1]
	s_cbranch_execz .LBB104_640
; %bb.635:
	v_cmp_ngt_f64_e64 s[16:17], |v[212:213]|, |v[214:215]|
	s_and_saveexec_b64 s[18:19], s[16:17]
	s_xor_b64 s[16:17], exec, s[18:19]
	s_cbranch_execz .LBB104_637
; %bb.636:
	v_div_scale_f64 v[228:229], s[18:19], v[214:215], v[214:215], v[212:213]
	v_rcp_f64_e32 v[230:231], v[228:229]
	v_div_scale_f64 v[232:233], vcc, v[212:213], v[214:215], v[212:213]
	v_fma_f64 v[234:235], -v[228:229], v[230:231], 1.0
	v_fmac_f64_e32 v[230:231], v[230:231], v[234:235]
	v_fma_f64 v[234:235], -v[228:229], v[230:231], 1.0
	v_fmac_f64_e32 v[230:231], v[230:231], v[234:235]
	v_mul_f64 v[234:235], v[232:233], v[230:231]
	v_fma_f64 v[228:229], -v[228:229], v[234:235], v[232:233]
	v_div_fmas_f64 v[228:229], v[228:229], v[230:231], v[234:235]
	v_div_fixup_f64 v[228:229], v[228:229], v[214:215], v[212:213]
	v_fmac_f64_e32 v[214:215], v[212:213], v[228:229]
	v_div_scale_f64 v[212:213], s[18:19], v[214:215], v[214:215], 1.0
	v_rcp_f64_e32 v[230:231], v[212:213]
	s_nop 0
	v_fma_f64 v[232:233], -v[212:213], v[230:231], 1.0
	v_fmac_f64_e32 v[230:231], v[230:231], v[232:233]
	v_fma_f64 v[232:233], -v[212:213], v[230:231], 1.0
	v_fmac_f64_e32 v[230:231], v[230:231], v[232:233]
	v_div_scale_f64 v[232:233], vcc, 1.0, v[214:215], 1.0
	v_mul_f64 v[234:235], v[232:233], v[230:231]
	v_fma_f64 v[212:213], -v[212:213], v[234:235], v[232:233]
	s_nop 1
	v_div_fmas_f64 v[212:213], v[212:213], v[230:231], v[234:235]
	v_div_fixup_f64 v[214:215], v[212:213], v[214:215], 1.0
	v_mul_f64 v[212:213], v[228:229], v[214:215]
	v_xor_b32_e32 v215, 0x80000000, v215
.LBB104_637:
	s_andn2_saveexec_b64 s[16:17], s[16:17]
	s_cbranch_execz .LBB104_639
; %bb.638:
	v_div_scale_f64 v[228:229], s[18:19], v[212:213], v[212:213], v[214:215]
	v_rcp_f64_e32 v[230:231], v[228:229]
	v_div_scale_f64 v[232:233], vcc, v[214:215], v[212:213], v[214:215]
	v_fma_f64 v[234:235], -v[228:229], v[230:231], 1.0
	v_fmac_f64_e32 v[230:231], v[230:231], v[234:235]
	v_fma_f64 v[234:235], -v[228:229], v[230:231], 1.0
	v_fmac_f64_e32 v[230:231], v[230:231], v[234:235]
	v_mul_f64 v[234:235], v[232:233], v[230:231]
	v_fma_f64 v[228:229], -v[228:229], v[234:235], v[232:233]
	v_div_fmas_f64 v[228:229], v[228:229], v[230:231], v[234:235]
	v_div_fixup_f64 v[228:229], v[228:229], v[212:213], v[214:215]
	v_fmac_f64_e32 v[212:213], v[214:215], v[228:229]
	v_div_scale_f64 v[214:215], s[18:19], v[212:213], v[212:213], 1.0
	v_rcp_f64_e32 v[230:231], v[214:215]
	s_nop 0
	v_fma_f64 v[232:233], -v[214:215], v[230:231], 1.0
	v_fmac_f64_e32 v[230:231], v[230:231], v[232:233]
	v_fma_f64 v[232:233], -v[214:215], v[230:231], 1.0
	v_fmac_f64_e32 v[230:231], v[230:231], v[232:233]
	v_div_scale_f64 v[232:233], vcc, 1.0, v[212:213], 1.0
	v_mul_f64 v[234:235], v[232:233], v[230:231]
	v_fma_f64 v[214:215], -v[214:215], v[234:235], v[232:233]
	s_nop 1
	v_div_fmas_f64 v[214:215], v[214:215], v[230:231], v[234:235]
	v_div_fixup_f64 v[212:213], v[214:215], v[212:213], 1.0
	v_mul_f64 v[214:215], v[228:229], -v[212:213]
.LBB104_639:
	s_or_b64 exec, exec, s[16:17]
.LBB104_640:
	s_or_b64 exec, exec, s[0:1]
	v_cmp_ne_u32_e32 vcc, v225, v222
	s_and_saveexec_b64 s[0:1], vcc
	s_xor_b64 s[0:1], exec, s[0:1]
	s_cbranch_execz .LBB104_646
; %bb.641:
	v_cmp_eq_u32_e32 vcc, 30, v225
	s_and_saveexec_b64 s[16:17], vcc
	s_cbranch_execz .LBB104_645
; %bb.642:
	v_cmp_ne_u32_e32 vcc, 30, v222
	s_xor_b64 s[18:19], s[14:15], -1
	s_and_b64 s[22:23], s[18:19], vcc
	s_and_saveexec_b64 s[18:19], s[22:23]
	s_cbranch_execz .LBB104_644
; %bb.643:
	v_ashrrev_i32_e32 v223, 31, v222
	v_lshl_add_u64 v[228:229], v[222:223], 2, v[220:221]
	global_load_dword v223, v[228:229], off
	global_load_dword v225, v[220:221], off offset:120
	s_waitcnt vmcnt(1)
	global_store_dword v[220:221], v223, off offset:120
	s_waitcnt vmcnt(1)
	global_store_dword v[228:229], v225, off
.LBB104_644:
	s_or_b64 exec, exec, s[18:19]
	v_mov_b32_e32 v225, v222
	v_mov_b32_e32 v227, v222
.LBB104_645:
	s_or_b64 exec, exec, s[16:17]
.LBB104_646:
	s_andn2_saveexec_b64 s[0:1], s[0:1]
	s_cbranch_execz .LBB104_648
; %bb.647:
	v_mov_b32_e32 v225, 30
	s_waitcnt vmcnt(21)
	ds_write2_b64 v224, v[80:81], v[82:83] offset0:62 offset1:63
	s_waitcnt vmcnt(20)
	ds_write2_b64 v224, v[76:77], v[78:79] offset0:64 offset1:65
	s_waitcnt vmcnt(19)
	ds_write2_b64 v224, v[72:73], v[74:75] offset0:66 offset1:67
	s_waitcnt vmcnt(18)
	ds_write2_b64 v224, v[68:69], v[70:71] offset0:68 offset1:69
	s_waitcnt vmcnt(17)
	ds_write2_b64 v224, v[64:65], v[66:67] offset0:70 offset1:71
	s_waitcnt vmcnt(16)
	ds_write2_b64 v224, v[60:61], v[62:63] offset0:72 offset1:73
	s_waitcnt vmcnt(15)
	ds_write2_b64 v224, v[56:57], v[58:59] offset0:74 offset1:75
	s_waitcnt vmcnt(14)
	ds_write2_b64 v224, v[52:53], v[54:55] offset0:76 offset1:77
	s_waitcnt vmcnt(13)
	ds_write2_b64 v224, v[48:49], v[50:51] offset0:78 offset1:79
	s_waitcnt vmcnt(12)
	ds_write2_b64 v224, v[44:45], v[46:47] offset0:80 offset1:81
	s_waitcnt vmcnt(11)
	ds_write2_b64 v224, v[40:41], v[42:43] offset0:82 offset1:83
	s_waitcnt vmcnt(10)
	ds_write2_b64 v224, v[36:37], v[38:39] offset0:84 offset1:85
	s_waitcnt vmcnt(9)
	ds_write2_b64 v224, v[32:33], v[34:35] offset0:86 offset1:87
	s_waitcnt vmcnt(8)
	ds_write2_b64 v224, v[28:29], v[30:31] offset0:88 offset1:89
	s_waitcnt vmcnt(7)
	ds_write2_b64 v224, v[24:25], v[26:27] offset0:90 offset1:91
	s_waitcnt vmcnt(6)
	ds_write2_b64 v224, v[20:21], v[22:23] offset0:92 offset1:93
	s_waitcnt vmcnt(5)
	ds_write2_b64 v224, v[16:17], v[18:19] offset0:94 offset1:95
	s_waitcnt vmcnt(4)
	ds_write2_b64 v224, v[12:13], v[14:15] offset0:96 offset1:97
	s_waitcnt vmcnt(3)
	ds_write2_b64 v224, v[8:9], v[10:11] offset0:98 offset1:99
	s_waitcnt vmcnt(2)
	ds_write2_b64 v224, v[4:5], v[6:7] offset0:100 offset1:101
	s_waitcnt vmcnt(1)
	ds_write2_b64 v224, v[0:1], v[2:3] offset0:102 offset1:103
	s_waitcnt vmcnt(0)
	ds_write2_b64 v224, v[208:209], v[210:211] offset0:104 offset1:105
.LBB104_648:
	s_or_b64 exec, exec, s[0:1]
	v_cmp_lt_i32_e32 vcc, 30, v225
	s_waitcnt lgkmcnt(0)
	s_barrier
	s_and_saveexec_b64 s[0:1], vcc
	s_cbranch_execz .LBB104_650
; %bb.649:
	ds_read2_b64 v[228:231], v224 offset0:62 offset1:63
	v_mul_f64 v[222:223], v[214:215], v[86:87]
	v_mul_f64 v[86:87], v[212:213], v[86:87]
	v_fma_f64 v[222:223], v[212:213], v[84:85], -v[222:223]
	v_fmac_f64_e32 v[86:87], v[214:215], v[84:85]
	ds_read2_b64 v[212:215], v224 offset0:64 offset1:65
	s_waitcnt lgkmcnt(1)
	v_mul_f64 v[84:85], v[230:231], v[86:87]
	v_fma_f64 v[84:85], v[228:229], v[222:223], -v[84:85]
	v_mul_f64 v[228:229], v[228:229], v[86:87]
	v_fmac_f64_e32 v[228:229], v[230:231], v[222:223]
	s_waitcnt vmcnt(21)
	v_add_f64 v[80:81], v[80:81], -v[84:85]
	s_waitcnt lgkmcnt(0)
	v_mul_f64 v[84:85], v[214:215], v[86:87]
	v_add_f64 v[82:83], v[82:83], -v[228:229]
	v_fma_f64 v[84:85], v[212:213], v[222:223], -v[84:85]
	v_mul_f64 v[212:213], v[212:213], v[86:87]
	ds_read2_b64 v[228:231], v224 offset0:66 offset1:67
	v_fmac_f64_e32 v[212:213], v[214:215], v[222:223]
	s_waitcnt vmcnt(20)
	v_add_f64 v[78:79], v[78:79], -v[212:213]
	ds_read2_b64 v[212:215], v224 offset0:68 offset1:69
	v_add_f64 v[76:77], v[76:77], -v[84:85]
	s_waitcnt lgkmcnt(1)
	v_mul_f64 v[84:85], v[230:231], v[86:87]
	v_fma_f64 v[84:85], v[228:229], v[222:223], -v[84:85]
	v_mul_f64 v[228:229], v[228:229], v[86:87]
	v_fmac_f64_e32 v[228:229], v[230:231], v[222:223]
	s_waitcnt vmcnt(19)
	v_add_f64 v[72:73], v[72:73], -v[84:85]
	s_waitcnt lgkmcnt(0)
	v_mul_f64 v[84:85], v[214:215], v[86:87]
	v_add_f64 v[74:75], v[74:75], -v[228:229]
	v_fma_f64 v[84:85], v[212:213], v[222:223], -v[84:85]
	v_mul_f64 v[212:213], v[212:213], v[86:87]
	ds_read2_b64 v[228:231], v224 offset0:70 offset1:71
	v_fmac_f64_e32 v[212:213], v[214:215], v[222:223]
	s_waitcnt vmcnt(18)
	v_add_f64 v[70:71], v[70:71], -v[212:213]
	ds_read2_b64 v[212:215], v224 offset0:72 offset1:73
	v_add_f64 v[68:69], v[68:69], -v[84:85]
	;; [unrolled: 18-line block ×10, first 2 shown]
	s_waitcnt lgkmcnt(1)
	v_mul_f64 v[84:85], v[230:231], v[86:87]
	v_fma_f64 v[84:85], v[228:229], v[222:223], -v[84:85]
	s_waitcnt vmcnt(1)
	v_add_f64 v[0:1], v[0:1], -v[84:85]
	s_waitcnt lgkmcnt(0)
	v_mul_f64 v[84:85], v[214:215], v[86:87]
	v_mul_f64 v[228:229], v[228:229], v[86:87]
	v_fma_f64 v[84:85], v[212:213], v[222:223], -v[84:85]
	v_mul_f64 v[212:213], v[212:213], v[86:87]
	v_fmac_f64_e32 v[228:229], v[230:231], v[222:223]
	v_fmac_f64_e32 v[212:213], v[214:215], v[222:223]
	v_add_f64 v[2:3], v[2:3], -v[228:229]
	s_waitcnt vmcnt(0)
	v_add_f64 v[208:209], v[208:209], -v[84:85]
	v_add_f64 v[210:211], v[210:211], -v[212:213]
	v_mov_b64_e32 v[84:85], v[222:223]
.LBB104_650:
	s_or_b64 exec, exec, s[0:1]
	v_lshl_add_u32 v212, v225, 4, v224
	s_barrier
	s_waitcnt vmcnt(21)
	ds_write2_b64 v212, v[80:81], v[82:83] offset1:1
	s_waitcnt lgkmcnt(0)
	s_barrier
	ds_read2_b64 v[212:215], v224 offset0:62 offset1:63
	s_cmp_lt_i32 s20, 33
	v_mov_b32_e32 v222, 31
	s_cbranch_scc1 .LBB104_653
; %bb.651:
	v_add_u32_e32 v223, 0x200, v224
	s_mov_b32 s16, 32
	v_mov_b32_e32 v222, 31
.LBB104_652:                            ; =>This Inner Loop Header: Depth=1
	ds_read2_b64 v[228:231], v223 offset1:1
	s_waitcnt lgkmcnt(1)
	v_xor_b32_e32 v233, 0x80000000, v213
	v_xor_b32_e32 v235, 0x80000000, v215
	v_cmp_gt_f64_e32 vcc, 0, v[214:215]
	v_cmp_gt_f64_e64 s[0:1], 0, v[212:213]
	v_mov_b32_e32 v232, v212
	v_mov_b32_e32 v234, v214
	v_cndmask_b32_e64 v233, v213, v233, s[0:1]
	v_cndmask_b32_e32 v235, v215, v235, vcc
	v_add_f64 v[232:233], v[232:233], v[234:235]
	s_waitcnt lgkmcnt(0)
	v_xor_b32_e32 v235, 0x80000000, v229
	v_xor_b32_e32 v237, 0x80000000, v231
	v_cmp_gt_f64_e32 vcc, 0, v[230:231]
	v_cmp_gt_f64_e64 s[0:1], 0, v[228:229]
	v_mov_b32_e32 v234, v228
	v_mov_b32_e32 v236, v230
	v_cndmask_b32_e64 v235, v229, v235, s[0:1]
	v_cndmask_b32_e32 v237, v231, v237, vcc
	v_add_f64 v[234:235], v[234:235], v[236:237]
	v_mov_b32_e32 v238, s16
	s_add_i32 s16, s16, 1
	v_cmp_lt_f64_e32 vcc, v[232:233], v[234:235]
	v_add_u32_e32 v223, 16, v223
	s_cmp_lg_u32 s20, s16
	v_cndmask_b32_e32 v213, v213, v229, vcc
	v_cndmask_b32_e32 v212, v212, v228, vcc
	v_cndmask_b32_e32 v215, v215, v231, vcc
	v_cndmask_b32_e32 v214, v214, v230, vcc
	v_cndmask_b32_e32 v222, v222, v238, vcc
	s_cbranch_scc1 .LBB104_652
.LBB104_653:
	s_waitcnt lgkmcnt(0)
	v_cmp_eq_f64_e32 vcc, 0, v[212:213]
	v_cmp_eq_f64_e64 s[0:1], 0, v[214:215]
	s_and_b64 s[0:1], vcc, s[0:1]
	s_and_saveexec_b64 s[16:17], s[0:1]
	s_xor_b64 s[0:1], exec, s[16:17]
; %bb.654:
	v_cmp_ne_u32_e32 vcc, 0, v226
	s_nop 1
	v_cndmask_b32_e32 v226, 32, v226, vcc
; %bb.655:
	s_andn2_saveexec_b64 s[0:1], s[0:1]
	s_cbranch_execz .LBB104_661
; %bb.656:
	v_cmp_ngt_f64_e64 s[16:17], |v[212:213]|, |v[214:215]|
	s_and_saveexec_b64 s[18:19], s[16:17]
	s_xor_b64 s[16:17], exec, s[18:19]
	s_cbranch_execz .LBB104_658
; %bb.657:
	v_div_scale_f64 v[228:229], s[18:19], v[214:215], v[214:215], v[212:213]
	v_rcp_f64_e32 v[230:231], v[228:229]
	v_div_scale_f64 v[232:233], vcc, v[212:213], v[214:215], v[212:213]
	v_fma_f64 v[234:235], -v[228:229], v[230:231], 1.0
	v_fmac_f64_e32 v[230:231], v[230:231], v[234:235]
	v_fma_f64 v[234:235], -v[228:229], v[230:231], 1.0
	v_fmac_f64_e32 v[230:231], v[230:231], v[234:235]
	v_mul_f64 v[234:235], v[232:233], v[230:231]
	v_fma_f64 v[228:229], -v[228:229], v[234:235], v[232:233]
	v_div_fmas_f64 v[228:229], v[228:229], v[230:231], v[234:235]
	v_div_fixup_f64 v[228:229], v[228:229], v[214:215], v[212:213]
	v_fmac_f64_e32 v[214:215], v[212:213], v[228:229]
	v_div_scale_f64 v[212:213], s[18:19], v[214:215], v[214:215], 1.0
	v_rcp_f64_e32 v[230:231], v[212:213]
	s_nop 0
	v_fma_f64 v[232:233], -v[212:213], v[230:231], 1.0
	v_fmac_f64_e32 v[230:231], v[230:231], v[232:233]
	v_fma_f64 v[232:233], -v[212:213], v[230:231], 1.0
	v_fmac_f64_e32 v[230:231], v[230:231], v[232:233]
	v_div_scale_f64 v[232:233], vcc, 1.0, v[214:215], 1.0
	v_mul_f64 v[234:235], v[232:233], v[230:231]
	v_fma_f64 v[212:213], -v[212:213], v[234:235], v[232:233]
	s_nop 1
	v_div_fmas_f64 v[212:213], v[212:213], v[230:231], v[234:235]
	v_div_fixup_f64 v[214:215], v[212:213], v[214:215], 1.0
	v_mul_f64 v[212:213], v[228:229], v[214:215]
	v_xor_b32_e32 v215, 0x80000000, v215
.LBB104_658:
	s_andn2_saveexec_b64 s[16:17], s[16:17]
	s_cbranch_execz .LBB104_660
; %bb.659:
	v_div_scale_f64 v[228:229], s[18:19], v[212:213], v[212:213], v[214:215]
	v_rcp_f64_e32 v[230:231], v[228:229]
	v_div_scale_f64 v[232:233], vcc, v[214:215], v[212:213], v[214:215]
	v_fma_f64 v[234:235], -v[228:229], v[230:231], 1.0
	v_fmac_f64_e32 v[230:231], v[230:231], v[234:235]
	v_fma_f64 v[234:235], -v[228:229], v[230:231], 1.0
	v_fmac_f64_e32 v[230:231], v[230:231], v[234:235]
	v_mul_f64 v[234:235], v[232:233], v[230:231]
	v_fma_f64 v[228:229], -v[228:229], v[234:235], v[232:233]
	v_div_fmas_f64 v[228:229], v[228:229], v[230:231], v[234:235]
	v_div_fixup_f64 v[228:229], v[228:229], v[212:213], v[214:215]
	v_fmac_f64_e32 v[212:213], v[214:215], v[228:229]
	v_div_scale_f64 v[214:215], s[18:19], v[212:213], v[212:213], 1.0
	v_rcp_f64_e32 v[230:231], v[214:215]
	s_nop 0
	v_fma_f64 v[232:233], -v[214:215], v[230:231], 1.0
	v_fmac_f64_e32 v[230:231], v[230:231], v[232:233]
	v_fma_f64 v[232:233], -v[214:215], v[230:231], 1.0
	v_fmac_f64_e32 v[230:231], v[230:231], v[232:233]
	v_div_scale_f64 v[232:233], vcc, 1.0, v[212:213], 1.0
	v_mul_f64 v[234:235], v[232:233], v[230:231]
	v_fma_f64 v[214:215], -v[214:215], v[234:235], v[232:233]
	s_nop 1
	v_div_fmas_f64 v[214:215], v[214:215], v[230:231], v[234:235]
	v_div_fixup_f64 v[212:213], v[214:215], v[212:213], 1.0
	v_mul_f64 v[214:215], v[228:229], -v[212:213]
.LBB104_660:
	s_or_b64 exec, exec, s[16:17]
.LBB104_661:
	s_or_b64 exec, exec, s[0:1]
	v_cmp_ne_u32_e32 vcc, v225, v222
	s_and_saveexec_b64 s[0:1], vcc
	s_xor_b64 s[0:1], exec, s[0:1]
	s_cbranch_execz .LBB104_667
; %bb.662:
	v_cmp_eq_u32_e32 vcc, 31, v225
	s_and_saveexec_b64 s[16:17], vcc
	s_cbranch_execz .LBB104_666
; %bb.663:
	v_cmp_ne_u32_e32 vcc, 31, v222
	s_xor_b64 s[18:19], s[14:15], -1
	s_and_b64 s[22:23], s[18:19], vcc
	s_and_saveexec_b64 s[18:19], s[22:23]
	s_cbranch_execz .LBB104_665
; %bb.664:
	v_ashrrev_i32_e32 v223, 31, v222
	v_lshl_add_u64 v[228:229], v[222:223], 2, v[220:221]
	global_load_dword v223, v[228:229], off
	global_load_dword v225, v[220:221], off offset:124
	s_waitcnt vmcnt(1)
	global_store_dword v[220:221], v223, off offset:124
	s_waitcnt vmcnt(1)
	global_store_dword v[228:229], v225, off
.LBB104_665:
	s_or_b64 exec, exec, s[18:19]
	v_mov_b32_e32 v225, v222
	v_mov_b32_e32 v227, v222
.LBB104_666:
	s_or_b64 exec, exec, s[16:17]
.LBB104_667:
	s_andn2_saveexec_b64 s[0:1], s[0:1]
	s_cbranch_execz .LBB104_669
; %bb.668:
	v_mov_b32_e32 v225, 31
	s_waitcnt vmcnt(20)
	ds_write2_b64 v224, v[76:77], v[78:79] offset0:64 offset1:65
	s_waitcnt vmcnt(19)
	ds_write2_b64 v224, v[72:73], v[74:75] offset0:66 offset1:67
	;; [unrolled: 2-line block ×21, first 2 shown]
.LBB104_669:
	s_or_b64 exec, exec, s[0:1]
	v_cmp_lt_i32_e32 vcc, 31, v225
	s_waitcnt lgkmcnt(0)
	s_barrier
	s_and_saveexec_b64 s[0:1], vcc
	s_cbranch_execz .LBB104_671
; %bb.670:
	ds_read2_b64 v[228:231], v224 offset0:64 offset1:65
	v_mul_f64 v[222:223], v[214:215], v[82:83]
	v_mul_f64 v[82:83], v[212:213], v[82:83]
	v_fmac_f64_e32 v[82:83], v[214:215], v[80:81]
	v_fma_f64 v[222:223], v[212:213], v[80:81], -v[222:223]
	ds_read2_b64 v[212:215], v224 offset0:66 offset1:67
	s_waitcnt lgkmcnt(1)
	v_mul_f64 v[80:81], v[230:231], v[82:83]
	v_fma_f64 v[80:81], v[228:229], v[222:223], -v[80:81]
	v_mul_f64 v[228:229], v[228:229], v[82:83]
	v_fmac_f64_e32 v[228:229], v[230:231], v[222:223]
	s_waitcnt vmcnt(20)
	v_add_f64 v[78:79], v[78:79], -v[228:229]
	ds_read2_b64 v[228:231], v224 offset0:68 offset1:69
	v_add_f64 v[76:77], v[76:77], -v[80:81]
	s_waitcnt lgkmcnt(1)
	v_mul_f64 v[80:81], v[214:215], v[82:83]
	v_fma_f64 v[80:81], v[212:213], v[222:223], -v[80:81]
	v_mul_f64 v[212:213], v[212:213], v[82:83]
	v_fmac_f64_e32 v[212:213], v[214:215], v[222:223]
	s_waitcnt vmcnt(19)
	v_add_f64 v[72:73], v[72:73], -v[80:81]
	v_add_f64 v[74:75], v[74:75], -v[212:213]
	ds_read2_b64 v[212:215], v224 offset0:70 offset1:71
	s_waitcnt lgkmcnt(1)
	v_mul_f64 v[80:81], v[230:231], v[82:83]
	v_fma_f64 v[80:81], v[228:229], v[222:223], -v[80:81]
	v_mul_f64 v[228:229], v[228:229], v[82:83]
	v_fmac_f64_e32 v[228:229], v[230:231], v[222:223]
	s_waitcnt vmcnt(18)
	v_add_f64 v[70:71], v[70:71], -v[228:229]
	ds_read2_b64 v[228:231], v224 offset0:72 offset1:73
	v_add_f64 v[68:69], v[68:69], -v[80:81]
	s_waitcnt lgkmcnt(1)
	v_mul_f64 v[80:81], v[214:215], v[82:83]
	v_fma_f64 v[80:81], v[212:213], v[222:223], -v[80:81]
	v_mul_f64 v[212:213], v[212:213], v[82:83]
	v_fmac_f64_e32 v[212:213], v[214:215], v[222:223]
	s_waitcnt vmcnt(17)
	v_add_f64 v[64:65], v[64:65], -v[80:81]
	v_add_f64 v[66:67], v[66:67], -v[212:213]
	;; [unrolled: 18-line block ×10, first 2 shown]
	s_waitcnt lgkmcnt(0)
	v_mul_f64 v[80:81], v[230:231], v[82:83]
	v_mul_f64 v[212:213], v[228:229], v[82:83]
	v_fma_f64 v[80:81], v[228:229], v[222:223], -v[80:81]
	v_fmac_f64_e32 v[212:213], v[230:231], v[222:223]
	s_waitcnt vmcnt(0)
	v_add_f64 v[208:209], v[208:209], -v[80:81]
	v_add_f64 v[210:211], v[210:211], -v[212:213]
	v_mov_b64_e32 v[80:81], v[222:223]
.LBB104_671:
	s_or_b64 exec, exec, s[0:1]
	v_lshl_add_u32 v212, v225, 4, v224
	s_barrier
	s_waitcnt vmcnt(20)
	ds_write2_b64 v212, v[76:77], v[78:79] offset1:1
	s_waitcnt lgkmcnt(0)
	s_barrier
	ds_read2_b64 v[212:215], v224 offset0:64 offset1:65
	s_cmp_lt_i32 s20, 34
	v_mov_b32_e32 v222, 32
	s_cbranch_scc1 .LBB104_674
; %bb.672:
	v_add_u32_e32 v223, 0x210, v224
	s_mov_b32 s16, 33
	v_mov_b32_e32 v222, 32
.LBB104_673:                            ; =>This Inner Loop Header: Depth=1
	ds_read2_b64 v[228:231], v223 offset1:1
	s_waitcnt lgkmcnt(1)
	v_xor_b32_e32 v233, 0x80000000, v213
	v_xor_b32_e32 v235, 0x80000000, v215
	v_cmp_gt_f64_e32 vcc, 0, v[214:215]
	v_cmp_gt_f64_e64 s[0:1], 0, v[212:213]
	v_mov_b32_e32 v232, v212
	v_mov_b32_e32 v234, v214
	v_cndmask_b32_e64 v233, v213, v233, s[0:1]
	v_cndmask_b32_e32 v235, v215, v235, vcc
	v_add_f64 v[232:233], v[232:233], v[234:235]
	s_waitcnt lgkmcnt(0)
	v_xor_b32_e32 v235, 0x80000000, v229
	v_xor_b32_e32 v237, 0x80000000, v231
	v_cmp_gt_f64_e32 vcc, 0, v[230:231]
	v_cmp_gt_f64_e64 s[0:1], 0, v[228:229]
	v_mov_b32_e32 v234, v228
	v_mov_b32_e32 v236, v230
	v_cndmask_b32_e64 v235, v229, v235, s[0:1]
	v_cndmask_b32_e32 v237, v231, v237, vcc
	v_add_f64 v[234:235], v[234:235], v[236:237]
	v_mov_b32_e32 v238, s16
	s_add_i32 s16, s16, 1
	v_cmp_lt_f64_e32 vcc, v[232:233], v[234:235]
	v_add_u32_e32 v223, 16, v223
	s_cmp_lg_u32 s20, s16
	v_cndmask_b32_e32 v213, v213, v229, vcc
	v_cndmask_b32_e32 v212, v212, v228, vcc
	;; [unrolled: 1-line block ×5, first 2 shown]
	s_cbranch_scc1 .LBB104_673
.LBB104_674:
	s_waitcnt lgkmcnt(0)
	v_cmp_eq_f64_e32 vcc, 0, v[212:213]
	v_cmp_eq_f64_e64 s[0:1], 0, v[214:215]
	s_and_b64 s[0:1], vcc, s[0:1]
	s_and_saveexec_b64 s[16:17], s[0:1]
	s_xor_b64 s[0:1], exec, s[16:17]
; %bb.675:
	v_cmp_ne_u32_e32 vcc, 0, v226
	s_nop 1
	v_cndmask_b32_e32 v226, 33, v226, vcc
; %bb.676:
	s_andn2_saveexec_b64 s[0:1], s[0:1]
	s_cbranch_execz .LBB104_682
; %bb.677:
	v_cmp_ngt_f64_e64 s[16:17], |v[212:213]|, |v[214:215]|
	s_and_saveexec_b64 s[18:19], s[16:17]
	s_xor_b64 s[16:17], exec, s[18:19]
	s_cbranch_execz .LBB104_679
; %bb.678:
	v_div_scale_f64 v[228:229], s[18:19], v[214:215], v[214:215], v[212:213]
	v_rcp_f64_e32 v[230:231], v[228:229]
	v_div_scale_f64 v[232:233], vcc, v[212:213], v[214:215], v[212:213]
	v_fma_f64 v[234:235], -v[228:229], v[230:231], 1.0
	v_fmac_f64_e32 v[230:231], v[230:231], v[234:235]
	v_fma_f64 v[234:235], -v[228:229], v[230:231], 1.0
	v_fmac_f64_e32 v[230:231], v[230:231], v[234:235]
	v_mul_f64 v[234:235], v[232:233], v[230:231]
	v_fma_f64 v[228:229], -v[228:229], v[234:235], v[232:233]
	v_div_fmas_f64 v[228:229], v[228:229], v[230:231], v[234:235]
	v_div_fixup_f64 v[228:229], v[228:229], v[214:215], v[212:213]
	v_fmac_f64_e32 v[214:215], v[212:213], v[228:229]
	v_div_scale_f64 v[212:213], s[18:19], v[214:215], v[214:215], 1.0
	v_rcp_f64_e32 v[230:231], v[212:213]
	s_nop 0
	v_fma_f64 v[232:233], -v[212:213], v[230:231], 1.0
	v_fmac_f64_e32 v[230:231], v[230:231], v[232:233]
	v_fma_f64 v[232:233], -v[212:213], v[230:231], 1.0
	v_fmac_f64_e32 v[230:231], v[230:231], v[232:233]
	v_div_scale_f64 v[232:233], vcc, 1.0, v[214:215], 1.0
	v_mul_f64 v[234:235], v[232:233], v[230:231]
	v_fma_f64 v[212:213], -v[212:213], v[234:235], v[232:233]
	s_nop 1
	v_div_fmas_f64 v[212:213], v[212:213], v[230:231], v[234:235]
	v_div_fixup_f64 v[214:215], v[212:213], v[214:215], 1.0
	v_mul_f64 v[212:213], v[228:229], v[214:215]
	v_xor_b32_e32 v215, 0x80000000, v215
.LBB104_679:
	s_andn2_saveexec_b64 s[16:17], s[16:17]
	s_cbranch_execz .LBB104_681
; %bb.680:
	v_div_scale_f64 v[228:229], s[18:19], v[212:213], v[212:213], v[214:215]
	v_rcp_f64_e32 v[230:231], v[228:229]
	v_div_scale_f64 v[232:233], vcc, v[214:215], v[212:213], v[214:215]
	v_fma_f64 v[234:235], -v[228:229], v[230:231], 1.0
	v_fmac_f64_e32 v[230:231], v[230:231], v[234:235]
	v_fma_f64 v[234:235], -v[228:229], v[230:231], 1.0
	v_fmac_f64_e32 v[230:231], v[230:231], v[234:235]
	v_mul_f64 v[234:235], v[232:233], v[230:231]
	v_fma_f64 v[228:229], -v[228:229], v[234:235], v[232:233]
	v_div_fmas_f64 v[228:229], v[228:229], v[230:231], v[234:235]
	v_div_fixup_f64 v[228:229], v[228:229], v[212:213], v[214:215]
	v_fmac_f64_e32 v[212:213], v[214:215], v[228:229]
	v_div_scale_f64 v[214:215], s[18:19], v[212:213], v[212:213], 1.0
	v_rcp_f64_e32 v[230:231], v[214:215]
	s_nop 0
	v_fma_f64 v[232:233], -v[214:215], v[230:231], 1.0
	v_fmac_f64_e32 v[230:231], v[230:231], v[232:233]
	v_fma_f64 v[232:233], -v[214:215], v[230:231], 1.0
	v_fmac_f64_e32 v[230:231], v[230:231], v[232:233]
	v_div_scale_f64 v[232:233], vcc, 1.0, v[212:213], 1.0
	v_mul_f64 v[234:235], v[232:233], v[230:231]
	v_fma_f64 v[214:215], -v[214:215], v[234:235], v[232:233]
	s_nop 1
	v_div_fmas_f64 v[214:215], v[214:215], v[230:231], v[234:235]
	v_div_fixup_f64 v[212:213], v[214:215], v[212:213], 1.0
	v_mul_f64 v[214:215], v[228:229], -v[212:213]
.LBB104_681:
	s_or_b64 exec, exec, s[16:17]
.LBB104_682:
	s_or_b64 exec, exec, s[0:1]
	v_cmp_ne_u32_e32 vcc, v225, v222
	s_and_saveexec_b64 s[0:1], vcc
	s_xor_b64 s[0:1], exec, s[0:1]
	s_cbranch_execz .LBB104_688
; %bb.683:
	v_cmp_eq_u32_e32 vcc, 32, v225
	s_and_saveexec_b64 s[16:17], vcc
	s_cbranch_execz .LBB104_687
; %bb.684:
	v_cmp_ne_u32_e32 vcc, 32, v222
	s_xor_b64 s[18:19], s[14:15], -1
	s_and_b64 s[22:23], s[18:19], vcc
	s_and_saveexec_b64 s[18:19], s[22:23]
	s_cbranch_execz .LBB104_686
; %bb.685:
	v_ashrrev_i32_e32 v223, 31, v222
	v_lshl_add_u64 v[228:229], v[222:223], 2, v[220:221]
	global_load_dword v223, v[228:229], off
	global_load_dword v225, v[220:221], off offset:128
	s_waitcnt vmcnt(1)
	global_store_dword v[220:221], v223, off offset:128
	s_waitcnt vmcnt(1)
	global_store_dword v[228:229], v225, off
.LBB104_686:
	s_or_b64 exec, exec, s[18:19]
	v_mov_b32_e32 v225, v222
	v_mov_b32_e32 v227, v222
.LBB104_687:
	s_or_b64 exec, exec, s[16:17]
.LBB104_688:
	s_andn2_saveexec_b64 s[0:1], s[0:1]
	s_cbranch_execz .LBB104_690
; %bb.689:
	v_mov_b32_e32 v225, 32
	s_waitcnt vmcnt(19)
	ds_write2_b64 v224, v[72:73], v[74:75] offset0:66 offset1:67
	s_waitcnt vmcnt(18)
	ds_write2_b64 v224, v[68:69], v[70:71] offset0:68 offset1:69
	;; [unrolled: 2-line block ×20, first 2 shown]
.LBB104_690:
	s_or_b64 exec, exec, s[0:1]
	v_cmp_lt_i32_e32 vcc, 32, v225
	s_waitcnt lgkmcnt(0)
	s_barrier
	s_and_saveexec_b64 s[0:1], vcc
	s_cbranch_execz .LBB104_692
; %bb.691:
	ds_read2_b64 v[228:231], v224 offset0:66 offset1:67
	v_mul_f64 v[222:223], v[214:215], v[78:79]
	v_mul_f64 v[78:79], v[212:213], v[78:79]
	v_fma_f64 v[222:223], v[212:213], v[76:77], -v[222:223]
	v_fmac_f64_e32 v[78:79], v[214:215], v[76:77]
	ds_read2_b64 v[212:215], v224 offset0:68 offset1:69
	s_waitcnt lgkmcnt(1)
	v_mul_f64 v[76:77], v[230:231], v[78:79]
	v_fma_f64 v[76:77], v[228:229], v[222:223], -v[76:77]
	v_mul_f64 v[228:229], v[228:229], v[78:79]
	v_fmac_f64_e32 v[228:229], v[230:231], v[222:223]
	s_waitcnt vmcnt(19)
	v_add_f64 v[72:73], v[72:73], -v[76:77]
	s_waitcnt lgkmcnt(0)
	v_mul_f64 v[76:77], v[214:215], v[78:79]
	v_add_f64 v[74:75], v[74:75], -v[228:229]
	v_fma_f64 v[76:77], v[212:213], v[222:223], -v[76:77]
	v_mul_f64 v[212:213], v[212:213], v[78:79]
	ds_read2_b64 v[228:231], v224 offset0:70 offset1:71
	v_fmac_f64_e32 v[212:213], v[214:215], v[222:223]
	s_waitcnt vmcnt(18)
	v_add_f64 v[70:71], v[70:71], -v[212:213]
	ds_read2_b64 v[212:215], v224 offset0:72 offset1:73
	v_add_f64 v[68:69], v[68:69], -v[76:77]
	s_waitcnt lgkmcnt(1)
	v_mul_f64 v[76:77], v[230:231], v[78:79]
	v_fma_f64 v[76:77], v[228:229], v[222:223], -v[76:77]
	v_mul_f64 v[228:229], v[228:229], v[78:79]
	v_fmac_f64_e32 v[228:229], v[230:231], v[222:223]
	s_waitcnt vmcnt(17)
	v_add_f64 v[64:65], v[64:65], -v[76:77]
	s_waitcnt lgkmcnt(0)
	v_mul_f64 v[76:77], v[214:215], v[78:79]
	v_add_f64 v[66:67], v[66:67], -v[228:229]
	v_fma_f64 v[76:77], v[212:213], v[222:223], -v[76:77]
	v_mul_f64 v[212:213], v[212:213], v[78:79]
	ds_read2_b64 v[228:231], v224 offset0:74 offset1:75
	v_fmac_f64_e32 v[212:213], v[214:215], v[222:223]
	s_waitcnt vmcnt(16)
	v_add_f64 v[62:63], v[62:63], -v[212:213]
	ds_read2_b64 v[212:215], v224 offset0:76 offset1:77
	v_add_f64 v[60:61], v[60:61], -v[76:77]
	;; [unrolled: 18-line block ×9, first 2 shown]
	s_waitcnt lgkmcnt(1)
	v_mul_f64 v[76:77], v[230:231], v[78:79]
	v_fma_f64 v[76:77], v[228:229], v[222:223], -v[76:77]
	s_waitcnt vmcnt(1)
	v_add_f64 v[0:1], v[0:1], -v[76:77]
	s_waitcnt lgkmcnt(0)
	v_mul_f64 v[76:77], v[214:215], v[78:79]
	v_mul_f64 v[228:229], v[228:229], v[78:79]
	v_fma_f64 v[76:77], v[212:213], v[222:223], -v[76:77]
	v_mul_f64 v[212:213], v[212:213], v[78:79]
	v_fmac_f64_e32 v[228:229], v[230:231], v[222:223]
	v_fmac_f64_e32 v[212:213], v[214:215], v[222:223]
	v_add_f64 v[2:3], v[2:3], -v[228:229]
	s_waitcnt vmcnt(0)
	v_add_f64 v[208:209], v[208:209], -v[76:77]
	v_add_f64 v[210:211], v[210:211], -v[212:213]
	v_mov_b64_e32 v[76:77], v[222:223]
.LBB104_692:
	s_or_b64 exec, exec, s[0:1]
	v_lshl_add_u32 v212, v225, 4, v224
	s_barrier
	s_waitcnt vmcnt(19)
	ds_write2_b64 v212, v[72:73], v[74:75] offset1:1
	s_waitcnt lgkmcnt(0)
	s_barrier
	ds_read2_b64 v[212:215], v224 offset0:66 offset1:67
	s_cmp_lt_i32 s20, 35
	v_mov_b32_e32 v222, 33
	s_cbranch_scc1 .LBB104_695
; %bb.693:
	v_add_u32_e32 v223, 0x220, v224
	s_mov_b32 s16, 34
	v_mov_b32_e32 v222, 33
.LBB104_694:                            ; =>This Inner Loop Header: Depth=1
	ds_read2_b64 v[228:231], v223 offset1:1
	s_waitcnt lgkmcnt(1)
	v_xor_b32_e32 v233, 0x80000000, v213
	v_xor_b32_e32 v235, 0x80000000, v215
	v_cmp_gt_f64_e32 vcc, 0, v[214:215]
	v_cmp_gt_f64_e64 s[0:1], 0, v[212:213]
	v_mov_b32_e32 v232, v212
	v_mov_b32_e32 v234, v214
	v_cndmask_b32_e64 v233, v213, v233, s[0:1]
	v_cndmask_b32_e32 v235, v215, v235, vcc
	v_add_f64 v[232:233], v[232:233], v[234:235]
	s_waitcnt lgkmcnt(0)
	v_xor_b32_e32 v235, 0x80000000, v229
	v_xor_b32_e32 v237, 0x80000000, v231
	v_cmp_gt_f64_e32 vcc, 0, v[230:231]
	v_cmp_gt_f64_e64 s[0:1], 0, v[228:229]
	v_mov_b32_e32 v234, v228
	v_mov_b32_e32 v236, v230
	v_cndmask_b32_e64 v235, v229, v235, s[0:1]
	v_cndmask_b32_e32 v237, v231, v237, vcc
	v_add_f64 v[234:235], v[234:235], v[236:237]
	v_mov_b32_e32 v238, s16
	s_add_i32 s16, s16, 1
	v_cmp_lt_f64_e32 vcc, v[232:233], v[234:235]
	v_add_u32_e32 v223, 16, v223
	s_cmp_lg_u32 s20, s16
	v_cndmask_b32_e32 v213, v213, v229, vcc
	v_cndmask_b32_e32 v212, v212, v228, vcc
	;; [unrolled: 1-line block ×5, first 2 shown]
	s_cbranch_scc1 .LBB104_694
.LBB104_695:
	s_waitcnt lgkmcnt(0)
	v_cmp_eq_f64_e32 vcc, 0, v[212:213]
	v_cmp_eq_f64_e64 s[0:1], 0, v[214:215]
	s_and_b64 s[0:1], vcc, s[0:1]
	s_and_saveexec_b64 s[16:17], s[0:1]
	s_xor_b64 s[0:1], exec, s[16:17]
; %bb.696:
	v_cmp_ne_u32_e32 vcc, 0, v226
	s_nop 1
	v_cndmask_b32_e32 v226, 34, v226, vcc
; %bb.697:
	s_andn2_saveexec_b64 s[0:1], s[0:1]
	s_cbranch_execz .LBB104_703
; %bb.698:
	v_cmp_ngt_f64_e64 s[16:17], |v[212:213]|, |v[214:215]|
	s_and_saveexec_b64 s[18:19], s[16:17]
	s_xor_b64 s[16:17], exec, s[18:19]
	s_cbranch_execz .LBB104_700
; %bb.699:
	v_div_scale_f64 v[228:229], s[18:19], v[214:215], v[214:215], v[212:213]
	v_rcp_f64_e32 v[230:231], v[228:229]
	v_div_scale_f64 v[232:233], vcc, v[212:213], v[214:215], v[212:213]
	v_fma_f64 v[234:235], -v[228:229], v[230:231], 1.0
	v_fmac_f64_e32 v[230:231], v[230:231], v[234:235]
	v_fma_f64 v[234:235], -v[228:229], v[230:231], 1.0
	v_fmac_f64_e32 v[230:231], v[230:231], v[234:235]
	v_mul_f64 v[234:235], v[232:233], v[230:231]
	v_fma_f64 v[228:229], -v[228:229], v[234:235], v[232:233]
	v_div_fmas_f64 v[228:229], v[228:229], v[230:231], v[234:235]
	v_div_fixup_f64 v[228:229], v[228:229], v[214:215], v[212:213]
	v_fmac_f64_e32 v[214:215], v[212:213], v[228:229]
	v_div_scale_f64 v[212:213], s[18:19], v[214:215], v[214:215], 1.0
	v_rcp_f64_e32 v[230:231], v[212:213]
	s_nop 0
	v_fma_f64 v[232:233], -v[212:213], v[230:231], 1.0
	v_fmac_f64_e32 v[230:231], v[230:231], v[232:233]
	v_fma_f64 v[232:233], -v[212:213], v[230:231], 1.0
	v_fmac_f64_e32 v[230:231], v[230:231], v[232:233]
	v_div_scale_f64 v[232:233], vcc, 1.0, v[214:215], 1.0
	v_mul_f64 v[234:235], v[232:233], v[230:231]
	v_fma_f64 v[212:213], -v[212:213], v[234:235], v[232:233]
	s_nop 1
	v_div_fmas_f64 v[212:213], v[212:213], v[230:231], v[234:235]
	v_div_fixup_f64 v[214:215], v[212:213], v[214:215], 1.0
	v_mul_f64 v[212:213], v[228:229], v[214:215]
	v_xor_b32_e32 v215, 0x80000000, v215
.LBB104_700:
	s_andn2_saveexec_b64 s[16:17], s[16:17]
	s_cbranch_execz .LBB104_702
; %bb.701:
	v_div_scale_f64 v[228:229], s[18:19], v[212:213], v[212:213], v[214:215]
	v_rcp_f64_e32 v[230:231], v[228:229]
	v_div_scale_f64 v[232:233], vcc, v[214:215], v[212:213], v[214:215]
	v_fma_f64 v[234:235], -v[228:229], v[230:231], 1.0
	v_fmac_f64_e32 v[230:231], v[230:231], v[234:235]
	v_fma_f64 v[234:235], -v[228:229], v[230:231], 1.0
	v_fmac_f64_e32 v[230:231], v[230:231], v[234:235]
	v_mul_f64 v[234:235], v[232:233], v[230:231]
	v_fma_f64 v[228:229], -v[228:229], v[234:235], v[232:233]
	v_div_fmas_f64 v[228:229], v[228:229], v[230:231], v[234:235]
	v_div_fixup_f64 v[228:229], v[228:229], v[212:213], v[214:215]
	v_fmac_f64_e32 v[212:213], v[214:215], v[228:229]
	v_div_scale_f64 v[214:215], s[18:19], v[212:213], v[212:213], 1.0
	v_rcp_f64_e32 v[230:231], v[214:215]
	s_nop 0
	v_fma_f64 v[232:233], -v[214:215], v[230:231], 1.0
	v_fmac_f64_e32 v[230:231], v[230:231], v[232:233]
	v_fma_f64 v[232:233], -v[214:215], v[230:231], 1.0
	v_fmac_f64_e32 v[230:231], v[230:231], v[232:233]
	v_div_scale_f64 v[232:233], vcc, 1.0, v[212:213], 1.0
	v_mul_f64 v[234:235], v[232:233], v[230:231]
	v_fma_f64 v[214:215], -v[214:215], v[234:235], v[232:233]
	s_nop 1
	v_div_fmas_f64 v[214:215], v[214:215], v[230:231], v[234:235]
	v_div_fixup_f64 v[212:213], v[214:215], v[212:213], 1.0
	v_mul_f64 v[214:215], v[228:229], -v[212:213]
.LBB104_702:
	s_or_b64 exec, exec, s[16:17]
.LBB104_703:
	s_or_b64 exec, exec, s[0:1]
	v_cmp_ne_u32_e32 vcc, v225, v222
	s_and_saveexec_b64 s[0:1], vcc
	s_xor_b64 s[0:1], exec, s[0:1]
	s_cbranch_execz .LBB104_709
; %bb.704:
	v_cmp_eq_u32_e32 vcc, 33, v225
	s_and_saveexec_b64 s[16:17], vcc
	s_cbranch_execz .LBB104_708
; %bb.705:
	v_cmp_ne_u32_e32 vcc, 33, v222
	s_xor_b64 s[18:19], s[14:15], -1
	s_and_b64 s[22:23], s[18:19], vcc
	s_and_saveexec_b64 s[18:19], s[22:23]
	s_cbranch_execz .LBB104_707
; %bb.706:
	v_ashrrev_i32_e32 v223, 31, v222
	v_lshl_add_u64 v[228:229], v[222:223], 2, v[220:221]
	global_load_dword v223, v[228:229], off
	global_load_dword v225, v[220:221], off offset:132
	s_waitcnt vmcnt(1)
	global_store_dword v[220:221], v223, off offset:132
	s_waitcnt vmcnt(1)
	global_store_dword v[228:229], v225, off
.LBB104_707:
	s_or_b64 exec, exec, s[18:19]
	v_mov_b32_e32 v225, v222
	v_mov_b32_e32 v227, v222
.LBB104_708:
	s_or_b64 exec, exec, s[16:17]
.LBB104_709:
	s_andn2_saveexec_b64 s[0:1], s[0:1]
	s_cbranch_execz .LBB104_711
; %bb.710:
	v_mov_b32_e32 v225, 33
	s_waitcnt vmcnt(18)
	ds_write2_b64 v224, v[68:69], v[70:71] offset0:68 offset1:69
	s_waitcnt vmcnt(17)
	ds_write2_b64 v224, v[64:65], v[66:67] offset0:70 offset1:71
	s_waitcnt vmcnt(16)
	ds_write2_b64 v224, v[60:61], v[62:63] offset0:72 offset1:73
	s_waitcnt vmcnt(15)
	ds_write2_b64 v224, v[56:57], v[58:59] offset0:74 offset1:75
	s_waitcnt vmcnt(14)
	ds_write2_b64 v224, v[52:53], v[54:55] offset0:76 offset1:77
	s_waitcnt vmcnt(13)
	ds_write2_b64 v224, v[48:49], v[50:51] offset0:78 offset1:79
	s_waitcnt vmcnt(12)
	ds_write2_b64 v224, v[44:45], v[46:47] offset0:80 offset1:81
	s_waitcnt vmcnt(11)
	ds_write2_b64 v224, v[40:41], v[42:43] offset0:82 offset1:83
	s_waitcnt vmcnt(10)
	ds_write2_b64 v224, v[36:37], v[38:39] offset0:84 offset1:85
	s_waitcnt vmcnt(9)
	ds_write2_b64 v224, v[32:33], v[34:35] offset0:86 offset1:87
	s_waitcnt vmcnt(8)
	ds_write2_b64 v224, v[28:29], v[30:31] offset0:88 offset1:89
	s_waitcnt vmcnt(7)
	ds_write2_b64 v224, v[24:25], v[26:27] offset0:90 offset1:91
	s_waitcnt vmcnt(6)
	ds_write2_b64 v224, v[20:21], v[22:23] offset0:92 offset1:93
	s_waitcnt vmcnt(5)
	ds_write2_b64 v224, v[16:17], v[18:19] offset0:94 offset1:95
	s_waitcnt vmcnt(4)
	ds_write2_b64 v224, v[12:13], v[14:15] offset0:96 offset1:97
	s_waitcnt vmcnt(3)
	ds_write2_b64 v224, v[8:9], v[10:11] offset0:98 offset1:99
	s_waitcnt vmcnt(2)
	ds_write2_b64 v224, v[4:5], v[6:7] offset0:100 offset1:101
	s_waitcnt vmcnt(1)
	ds_write2_b64 v224, v[0:1], v[2:3] offset0:102 offset1:103
	s_waitcnt vmcnt(0)
	ds_write2_b64 v224, v[208:209], v[210:211] offset0:104 offset1:105
.LBB104_711:
	s_or_b64 exec, exec, s[0:1]
	v_cmp_lt_i32_e32 vcc, 33, v225
	s_waitcnt lgkmcnt(0)
	s_barrier
	s_and_saveexec_b64 s[0:1], vcc
	s_cbranch_execz .LBB104_713
; %bb.712:
	ds_read2_b64 v[228:231], v224 offset0:68 offset1:69
	v_mul_f64 v[222:223], v[214:215], v[74:75]
	v_mul_f64 v[74:75], v[212:213], v[74:75]
	v_fmac_f64_e32 v[74:75], v[214:215], v[72:73]
	v_fma_f64 v[222:223], v[212:213], v[72:73], -v[222:223]
	ds_read2_b64 v[212:215], v224 offset0:70 offset1:71
	s_waitcnt lgkmcnt(1)
	v_mul_f64 v[72:73], v[230:231], v[74:75]
	v_fma_f64 v[72:73], v[228:229], v[222:223], -v[72:73]
	v_mul_f64 v[228:229], v[228:229], v[74:75]
	v_fmac_f64_e32 v[228:229], v[230:231], v[222:223]
	s_waitcnt vmcnt(18)
	v_add_f64 v[70:71], v[70:71], -v[228:229]
	ds_read2_b64 v[228:231], v224 offset0:72 offset1:73
	v_add_f64 v[68:69], v[68:69], -v[72:73]
	s_waitcnt lgkmcnt(1)
	v_mul_f64 v[72:73], v[214:215], v[74:75]
	v_fma_f64 v[72:73], v[212:213], v[222:223], -v[72:73]
	v_mul_f64 v[212:213], v[212:213], v[74:75]
	v_fmac_f64_e32 v[212:213], v[214:215], v[222:223]
	s_waitcnt vmcnt(17)
	v_add_f64 v[64:65], v[64:65], -v[72:73]
	v_add_f64 v[66:67], v[66:67], -v[212:213]
	ds_read2_b64 v[212:215], v224 offset0:74 offset1:75
	s_waitcnt lgkmcnt(1)
	v_mul_f64 v[72:73], v[230:231], v[74:75]
	v_fma_f64 v[72:73], v[228:229], v[222:223], -v[72:73]
	v_mul_f64 v[228:229], v[228:229], v[74:75]
	v_fmac_f64_e32 v[228:229], v[230:231], v[222:223]
	s_waitcnt vmcnt(16)
	v_add_f64 v[62:63], v[62:63], -v[228:229]
	ds_read2_b64 v[228:231], v224 offset0:76 offset1:77
	v_add_f64 v[60:61], v[60:61], -v[72:73]
	s_waitcnt lgkmcnt(1)
	v_mul_f64 v[72:73], v[214:215], v[74:75]
	v_fma_f64 v[72:73], v[212:213], v[222:223], -v[72:73]
	v_mul_f64 v[212:213], v[212:213], v[74:75]
	v_fmac_f64_e32 v[212:213], v[214:215], v[222:223]
	s_waitcnt vmcnt(15)
	v_add_f64 v[56:57], v[56:57], -v[72:73]
	v_add_f64 v[58:59], v[58:59], -v[212:213]
	;; [unrolled: 18-line block ×9, first 2 shown]
	s_waitcnt lgkmcnt(0)
	v_mul_f64 v[72:73], v[230:231], v[74:75]
	v_mul_f64 v[212:213], v[228:229], v[74:75]
	v_fma_f64 v[72:73], v[228:229], v[222:223], -v[72:73]
	v_fmac_f64_e32 v[212:213], v[230:231], v[222:223]
	s_waitcnt vmcnt(0)
	v_add_f64 v[208:209], v[208:209], -v[72:73]
	v_add_f64 v[210:211], v[210:211], -v[212:213]
	v_mov_b64_e32 v[72:73], v[222:223]
.LBB104_713:
	s_or_b64 exec, exec, s[0:1]
	v_lshl_add_u32 v212, v225, 4, v224
	s_barrier
	s_waitcnt vmcnt(18)
	ds_write2_b64 v212, v[68:69], v[70:71] offset1:1
	s_waitcnt lgkmcnt(0)
	s_barrier
	ds_read2_b64 v[212:215], v224 offset0:68 offset1:69
	s_cmp_lt_i32 s20, 36
	v_mov_b32_e32 v222, 34
	s_cbranch_scc1 .LBB104_716
; %bb.714:
	v_add_u32_e32 v223, 0x230, v224
	s_mov_b32 s16, 35
	v_mov_b32_e32 v222, 34
.LBB104_715:                            ; =>This Inner Loop Header: Depth=1
	ds_read2_b64 v[228:231], v223 offset1:1
	s_waitcnt lgkmcnt(1)
	v_xor_b32_e32 v233, 0x80000000, v213
	v_xor_b32_e32 v235, 0x80000000, v215
	v_cmp_gt_f64_e32 vcc, 0, v[214:215]
	v_cmp_gt_f64_e64 s[0:1], 0, v[212:213]
	v_mov_b32_e32 v232, v212
	v_mov_b32_e32 v234, v214
	v_cndmask_b32_e64 v233, v213, v233, s[0:1]
	v_cndmask_b32_e32 v235, v215, v235, vcc
	v_add_f64 v[232:233], v[232:233], v[234:235]
	s_waitcnt lgkmcnt(0)
	v_xor_b32_e32 v235, 0x80000000, v229
	v_xor_b32_e32 v237, 0x80000000, v231
	v_cmp_gt_f64_e32 vcc, 0, v[230:231]
	v_cmp_gt_f64_e64 s[0:1], 0, v[228:229]
	v_mov_b32_e32 v234, v228
	v_mov_b32_e32 v236, v230
	v_cndmask_b32_e64 v235, v229, v235, s[0:1]
	v_cndmask_b32_e32 v237, v231, v237, vcc
	v_add_f64 v[234:235], v[234:235], v[236:237]
	v_mov_b32_e32 v238, s16
	s_add_i32 s16, s16, 1
	v_cmp_lt_f64_e32 vcc, v[232:233], v[234:235]
	v_add_u32_e32 v223, 16, v223
	s_cmp_lg_u32 s20, s16
	v_cndmask_b32_e32 v213, v213, v229, vcc
	v_cndmask_b32_e32 v212, v212, v228, vcc
	;; [unrolled: 1-line block ×5, first 2 shown]
	s_cbranch_scc1 .LBB104_715
.LBB104_716:
	s_waitcnt lgkmcnt(0)
	v_cmp_eq_f64_e32 vcc, 0, v[212:213]
	v_cmp_eq_f64_e64 s[0:1], 0, v[214:215]
	s_and_b64 s[0:1], vcc, s[0:1]
	s_and_saveexec_b64 s[16:17], s[0:1]
	s_xor_b64 s[0:1], exec, s[16:17]
; %bb.717:
	v_cmp_ne_u32_e32 vcc, 0, v226
	s_nop 1
	v_cndmask_b32_e32 v226, 35, v226, vcc
; %bb.718:
	s_andn2_saveexec_b64 s[0:1], s[0:1]
	s_cbranch_execz .LBB104_724
; %bb.719:
	v_cmp_ngt_f64_e64 s[16:17], |v[212:213]|, |v[214:215]|
	s_and_saveexec_b64 s[18:19], s[16:17]
	s_xor_b64 s[16:17], exec, s[18:19]
	s_cbranch_execz .LBB104_721
; %bb.720:
	v_div_scale_f64 v[228:229], s[18:19], v[214:215], v[214:215], v[212:213]
	v_rcp_f64_e32 v[230:231], v[228:229]
	v_div_scale_f64 v[232:233], vcc, v[212:213], v[214:215], v[212:213]
	v_fma_f64 v[234:235], -v[228:229], v[230:231], 1.0
	v_fmac_f64_e32 v[230:231], v[230:231], v[234:235]
	v_fma_f64 v[234:235], -v[228:229], v[230:231], 1.0
	v_fmac_f64_e32 v[230:231], v[230:231], v[234:235]
	v_mul_f64 v[234:235], v[232:233], v[230:231]
	v_fma_f64 v[228:229], -v[228:229], v[234:235], v[232:233]
	v_div_fmas_f64 v[228:229], v[228:229], v[230:231], v[234:235]
	v_div_fixup_f64 v[228:229], v[228:229], v[214:215], v[212:213]
	v_fmac_f64_e32 v[214:215], v[212:213], v[228:229]
	v_div_scale_f64 v[212:213], s[18:19], v[214:215], v[214:215], 1.0
	v_rcp_f64_e32 v[230:231], v[212:213]
	s_nop 0
	v_fma_f64 v[232:233], -v[212:213], v[230:231], 1.0
	v_fmac_f64_e32 v[230:231], v[230:231], v[232:233]
	v_fma_f64 v[232:233], -v[212:213], v[230:231], 1.0
	v_fmac_f64_e32 v[230:231], v[230:231], v[232:233]
	v_div_scale_f64 v[232:233], vcc, 1.0, v[214:215], 1.0
	v_mul_f64 v[234:235], v[232:233], v[230:231]
	v_fma_f64 v[212:213], -v[212:213], v[234:235], v[232:233]
	s_nop 1
	v_div_fmas_f64 v[212:213], v[212:213], v[230:231], v[234:235]
	v_div_fixup_f64 v[214:215], v[212:213], v[214:215], 1.0
	v_mul_f64 v[212:213], v[228:229], v[214:215]
	v_xor_b32_e32 v215, 0x80000000, v215
.LBB104_721:
	s_andn2_saveexec_b64 s[16:17], s[16:17]
	s_cbranch_execz .LBB104_723
; %bb.722:
	v_div_scale_f64 v[228:229], s[18:19], v[212:213], v[212:213], v[214:215]
	v_rcp_f64_e32 v[230:231], v[228:229]
	v_div_scale_f64 v[232:233], vcc, v[214:215], v[212:213], v[214:215]
	v_fma_f64 v[234:235], -v[228:229], v[230:231], 1.0
	v_fmac_f64_e32 v[230:231], v[230:231], v[234:235]
	v_fma_f64 v[234:235], -v[228:229], v[230:231], 1.0
	v_fmac_f64_e32 v[230:231], v[230:231], v[234:235]
	v_mul_f64 v[234:235], v[232:233], v[230:231]
	v_fma_f64 v[228:229], -v[228:229], v[234:235], v[232:233]
	v_div_fmas_f64 v[228:229], v[228:229], v[230:231], v[234:235]
	v_div_fixup_f64 v[228:229], v[228:229], v[212:213], v[214:215]
	v_fmac_f64_e32 v[212:213], v[214:215], v[228:229]
	v_div_scale_f64 v[214:215], s[18:19], v[212:213], v[212:213], 1.0
	v_rcp_f64_e32 v[230:231], v[214:215]
	s_nop 0
	v_fma_f64 v[232:233], -v[214:215], v[230:231], 1.0
	v_fmac_f64_e32 v[230:231], v[230:231], v[232:233]
	v_fma_f64 v[232:233], -v[214:215], v[230:231], 1.0
	v_fmac_f64_e32 v[230:231], v[230:231], v[232:233]
	v_div_scale_f64 v[232:233], vcc, 1.0, v[212:213], 1.0
	v_mul_f64 v[234:235], v[232:233], v[230:231]
	v_fma_f64 v[214:215], -v[214:215], v[234:235], v[232:233]
	s_nop 1
	v_div_fmas_f64 v[214:215], v[214:215], v[230:231], v[234:235]
	v_div_fixup_f64 v[212:213], v[214:215], v[212:213], 1.0
	v_mul_f64 v[214:215], v[228:229], -v[212:213]
.LBB104_723:
	s_or_b64 exec, exec, s[16:17]
.LBB104_724:
	s_or_b64 exec, exec, s[0:1]
	v_cmp_ne_u32_e32 vcc, v225, v222
	s_and_saveexec_b64 s[0:1], vcc
	s_xor_b64 s[0:1], exec, s[0:1]
	s_cbranch_execz .LBB104_730
; %bb.725:
	v_cmp_eq_u32_e32 vcc, 34, v225
	s_and_saveexec_b64 s[16:17], vcc
	s_cbranch_execz .LBB104_729
; %bb.726:
	v_cmp_ne_u32_e32 vcc, 34, v222
	s_xor_b64 s[18:19], s[14:15], -1
	s_and_b64 s[22:23], s[18:19], vcc
	s_and_saveexec_b64 s[18:19], s[22:23]
	s_cbranch_execz .LBB104_728
; %bb.727:
	v_ashrrev_i32_e32 v223, 31, v222
	v_lshl_add_u64 v[228:229], v[222:223], 2, v[220:221]
	global_load_dword v223, v[228:229], off
	global_load_dword v225, v[220:221], off offset:136
	s_waitcnt vmcnt(1)
	global_store_dword v[220:221], v223, off offset:136
	s_waitcnt vmcnt(1)
	global_store_dword v[228:229], v225, off
.LBB104_728:
	s_or_b64 exec, exec, s[18:19]
	v_mov_b32_e32 v225, v222
	v_mov_b32_e32 v227, v222
.LBB104_729:
	s_or_b64 exec, exec, s[16:17]
.LBB104_730:
	s_andn2_saveexec_b64 s[0:1], s[0:1]
	s_cbranch_execz .LBB104_732
; %bb.731:
	v_mov_b32_e32 v225, 34
	s_waitcnt vmcnt(17)
	ds_write2_b64 v224, v[64:65], v[66:67] offset0:70 offset1:71
	s_waitcnt vmcnt(16)
	ds_write2_b64 v224, v[60:61], v[62:63] offset0:72 offset1:73
	;; [unrolled: 2-line block ×18, first 2 shown]
.LBB104_732:
	s_or_b64 exec, exec, s[0:1]
	v_cmp_lt_i32_e32 vcc, 34, v225
	s_waitcnt lgkmcnt(0)
	s_barrier
	s_and_saveexec_b64 s[0:1], vcc
	s_cbranch_execz .LBB104_734
; %bb.733:
	ds_read2_b64 v[228:231], v224 offset0:70 offset1:71
	v_mul_f64 v[222:223], v[214:215], v[70:71]
	v_mul_f64 v[70:71], v[212:213], v[70:71]
	v_fma_f64 v[222:223], v[212:213], v[68:69], -v[222:223]
	v_fmac_f64_e32 v[70:71], v[214:215], v[68:69]
	ds_read2_b64 v[212:215], v224 offset0:72 offset1:73
	s_waitcnt lgkmcnt(1)
	v_mul_f64 v[68:69], v[230:231], v[70:71]
	v_fma_f64 v[68:69], v[228:229], v[222:223], -v[68:69]
	v_mul_f64 v[228:229], v[228:229], v[70:71]
	v_fmac_f64_e32 v[228:229], v[230:231], v[222:223]
	s_waitcnt vmcnt(17)
	v_add_f64 v[64:65], v[64:65], -v[68:69]
	s_waitcnt lgkmcnt(0)
	v_mul_f64 v[68:69], v[214:215], v[70:71]
	v_add_f64 v[66:67], v[66:67], -v[228:229]
	v_fma_f64 v[68:69], v[212:213], v[222:223], -v[68:69]
	v_mul_f64 v[212:213], v[212:213], v[70:71]
	ds_read2_b64 v[228:231], v224 offset0:74 offset1:75
	v_fmac_f64_e32 v[212:213], v[214:215], v[222:223]
	s_waitcnt vmcnt(16)
	v_add_f64 v[62:63], v[62:63], -v[212:213]
	ds_read2_b64 v[212:215], v224 offset0:76 offset1:77
	v_add_f64 v[60:61], v[60:61], -v[68:69]
	s_waitcnt lgkmcnt(1)
	v_mul_f64 v[68:69], v[230:231], v[70:71]
	v_fma_f64 v[68:69], v[228:229], v[222:223], -v[68:69]
	v_mul_f64 v[228:229], v[228:229], v[70:71]
	v_fmac_f64_e32 v[228:229], v[230:231], v[222:223]
	s_waitcnt vmcnt(15)
	v_add_f64 v[56:57], v[56:57], -v[68:69]
	s_waitcnt lgkmcnt(0)
	v_mul_f64 v[68:69], v[214:215], v[70:71]
	v_add_f64 v[58:59], v[58:59], -v[228:229]
	v_fma_f64 v[68:69], v[212:213], v[222:223], -v[68:69]
	v_mul_f64 v[212:213], v[212:213], v[70:71]
	ds_read2_b64 v[228:231], v224 offset0:78 offset1:79
	v_fmac_f64_e32 v[212:213], v[214:215], v[222:223]
	s_waitcnt vmcnt(14)
	v_add_f64 v[54:55], v[54:55], -v[212:213]
	ds_read2_b64 v[212:215], v224 offset0:80 offset1:81
	v_add_f64 v[52:53], v[52:53], -v[68:69]
	;; [unrolled: 18-line block ×8, first 2 shown]
	s_waitcnt lgkmcnt(1)
	v_mul_f64 v[68:69], v[230:231], v[70:71]
	v_fma_f64 v[68:69], v[228:229], v[222:223], -v[68:69]
	s_waitcnt vmcnt(1)
	v_add_f64 v[0:1], v[0:1], -v[68:69]
	s_waitcnt lgkmcnt(0)
	v_mul_f64 v[68:69], v[214:215], v[70:71]
	v_mul_f64 v[228:229], v[228:229], v[70:71]
	v_fma_f64 v[68:69], v[212:213], v[222:223], -v[68:69]
	v_mul_f64 v[212:213], v[212:213], v[70:71]
	v_fmac_f64_e32 v[228:229], v[230:231], v[222:223]
	v_fmac_f64_e32 v[212:213], v[214:215], v[222:223]
	v_add_f64 v[2:3], v[2:3], -v[228:229]
	s_waitcnt vmcnt(0)
	v_add_f64 v[208:209], v[208:209], -v[68:69]
	v_add_f64 v[210:211], v[210:211], -v[212:213]
	v_mov_b64_e32 v[68:69], v[222:223]
.LBB104_734:
	s_or_b64 exec, exec, s[0:1]
	v_lshl_add_u32 v212, v225, 4, v224
	s_barrier
	s_waitcnt vmcnt(17)
	ds_write2_b64 v212, v[64:65], v[66:67] offset1:1
	s_waitcnt lgkmcnt(0)
	s_barrier
	ds_read2_b64 v[212:215], v224 offset0:70 offset1:71
	s_cmp_lt_i32 s20, 37
	v_mov_b32_e32 v222, 35
	s_cbranch_scc1 .LBB104_737
; %bb.735:
	v_add_u32_e32 v223, 0x240, v224
	s_mov_b32 s16, 36
	v_mov_b32_e32 v222, 35
.LBB104_736:                            ; =>This Inner Loop Header: Depth=1
	ds_read2_b64 v[228:231], v223 offset1:1
	s_waitcnt lgkmcnt(1)
	v_xor_b32_e32 v233, 0x80000000, v213
	v_xor_b32_e32 v235, 0x80000000, v215
	v_cmp_gt_f64_e32 vcc, 0, v[214:215]
	v_cmp_gt_f64_e64 s[0:1], 0, v[212:213]
	v_mov_b32_e32 v232, v212
	v_mov_b32_e32 v234, v214
	v_cndmask_b32_e64 v233, v213, v233, s[0:1]
	v_cndmask_b32_e32 v235, v215, v235, vcc
	v_add_f64 v[232:233], v[232:233], v[234:235]
	s_waitcnt lgkmcnt(0)
	v_xor_b32_e32 v235, 0x80000000, v229
	v_xor_b32_e32 v237, 0x80000000, v231
	v_cmp_gt_f64_e32 vcc, 0, v[230:231]
	v_cmp_gt_f64_e64 s[0:1], 0, v[228:229]
	v_mov_b32_e32 v234, v228
	v_mov_b32_e32 v236, v230
	v_cndmask_b32_e64 v235, v229, v235, s[0:1]
	v_cndmask_b32_e32 v237, v231, v237, vcc
	v_add_f64 v[234:235], v[234:235], v[236:237]
	v_mov_b32_e32 v238, s16
	s_add_i32 s16, s16, 1
	v_cmp_lt_f64_e32 vcc, v[232:233], v[234:235]
	v_add_u32_e32 v223, 16, v223
	s_cmp_lg_u32 s20, s16
	v_cndmask_b32_e32 v213, v213, v229, vcc
	v_cndmask_b32_e32 v212, v212, v228, vcc
	;; [unrolled: 1-line block ×5, first 2 shown]
	s_cbranch_scc1 .LBB104_736
.LBB104_737:
	s_waitcnt lgkmcnt(0)
	v_cmp_eq_f64_e32 vcc, 0, v[212:213]
	v_cmp_eq_f64_e64 s[0:1], 0, v[214:215]
	s_and_b64 s[0:1], vcc, s[0:1]
	s_and_saveexec_b64 s[16:17], s[0:1]
	s_xor_b64 s[0:1], exec, s[16:17]
; %bb.738:
	v_cmp_ne_u32_e32 vcc, 0, v226
	s_nop 1
	v_cndmask_b32_e32 v226, 36, v226, vcc
; %bb.739:
	s_andn2_saveexec_b64 s[0:1], s[0:1]
	s_cbranch_execz .LBB104_745
; %bb.740:
	v_cmp_ngt_f64_e64 s[16:17], |v[212:213]|, |v[214:215]|
	s_and_saveexec_b64 s[18:19], s[16:17]
	s_xor_b64 s[16:17], exec, s[18:19]
	s_cbranch_execz .LBB104_742
; %bb.741:
	v_div_scale_f64 v[228:229], s[18:19], v[214:215], v[214:215], v[212:213]
	v_rcp_f64_e32 v[230:231], v[228:229]
	v_div_scale_f64 v[232:233], vcc, v[212:213], v[214:215], v[212:213]
	v_fma_f64 v[234:235], -v[228:229], v[230:231], 1.0
	v_fmac_f64_e32 v[230:231], v[230:231], v[234:235]
	v_fma_f64 v[234:235], -v[228:229], v[230:231], 1.0
	v_fmac_f64_e32 v[230:231], v[230:231], v[234:235]
	v_mul_f64 v[234:235], v[232:233], v[230:231]
	v_fma_f64 v[228:229], -v[228:229], v[234:235], v[232:233]
	v_div_fmas_f64 v[228:229], v[228:229], v[230:231], v[234:235]
	v_div_fixup_f64 v[228:229], v[228:229], v[214:215], v[212:213]
	v_fmac_f64_e32 v[214:215], v[212:213], v[228:229]
	v_div_scale_f64 v[212:213], s[18:19], v[214:215], v[214:215], 1.0
	v_rcp_f64_e32 v[230:231], v[212:213]
	s_nop 0
	v_fma_f64 v[232:233], -v[212:213], v[230:231], 1.0
	v_fmac_f64_e32 v[230:231], v[230:231], v[232:233]
	v_fma_f64 v[232:233], -v[212:213], v[230:231], 1.0
	v_fmac_f64_e32 v[230:231], v[230:231], v[232:233]
	v_div_scale_f64 v[232:233], vcc, 1.0, v[214:215], 1.0
	v_mul_f64 v[234:235], v[232:233], v[230:231]
	v_fma_f64 v[212:213], -v[212:213], v[234:235], v[232:233]
	s_nop 1
	v_div_fmas_f64 v[212:213], v[212:213], v[230:231], v[234:235]
	v_div_fixup_f64 v[214:215], v[212:213], v[214:215], 1.0
	v_mul_f64 v[212:213], v[228:229], v[214:215]
	v_xor_b32_e32 v215, 0x80000000, v215
.LBB104_742:
	s_andn2_saveexec_b64 s[16:17], s[16:17]
	s_cbranch_execz .LBB104_744
; %bb.743:
	v_div_scale_f64 v[228:229], s[18:19], v[212:213], v[212:213], v[214:215]
	v_rcp_f64_e32 v[230:231], v[228:229]
	v_div_scale_f64 v[232:233], vcc, v[214:215], v[212:213], v[214:215]
	v_fma_f64 v[234:235], -v[228:229], v[230:231], 1.0
	v_fmac_f64_e32 v[230:231], v[230:231], v[234:235]
	v_fma_f64 v[234:235], -v[228:229], v[230:231], 1.0
	v_fmac_f64_e32 v[230:231], v[230:231], v[234:235]
	v_mul_f64 v[234:235], v[232:233], v[230:231]
	v_fma_f64 v[228:229], -v[228:229], v[234:235], v[232:233]
	v_div_fmas_f64 v[228:229], v[228:229], v[230:231], v[234:235]
	v_div_fixup_f64 v[228:229], v[228:229], v[212:213], v[214:215]
	v_fmac_f64_e32 v[212:213], v[214:215], v[228:229]
	v_div_scale_f64 v[214:215], s[18:19], v[212:213], v[212:213], 1.0
	v_rcp_f64_e32 v[230:231], v[214:215]
	s_nop 0
	v_fma_f64 v[232:233], -v[214:215], v[230:231], 1.0
	v_fmac_f64_e32 v[230:231], v[230:231], v[232:233]
	v_fma_f64 v[232:233], -v[214:215], v[230:231], 1.0
	v_fmac_f64_e32 v[230:231], v[230:231], v[232:233]
	v_div_scale_f64 v[232:233], vcc, 1.0, v[212:213], 1.0
	v_mul_f64 v[234:235], v[232:233], v[230:231]
	v_fma_f64 v[214:215], -v[214:215], v[234:235], v[232:233]
	s_nop 1
	v_div_fmas_f64 v[214:215], v[214:215], v[230:231], v[234:235]
	v_div_fixup_f64 v[212:213], v[214:215], v[212:213], 1.0
	v_mul_f64 v[214:215], v[228:229], -v[212:213]
.LBB104_744:
	s_or_b64 exec, exec, s[16:17]
.LBB104_745:
	s_or_b64 exec, exec, s[0:1]
	v_cmp_ne_u32_e32 vcc, v225, v222
	s_and_saveexec_b64 s[0:1], vcc
	s_xor_b64 s[0:1], exec, s[0:1]
	s_cbranch_execz .LBB104_751
; %bb.746:
	v_cmp_eq_u32_e32 vcc, 35, v225
	s_and_saveexec_b64 s[16:17], vcc
	s_cbranch_execz .LBB104_750
; %bb.747:
	v_cmp_ne_u32_e32 vcc, 35, v222
	s_xor_b64 s[18:19], s[14:15], -1
	s_and_b64 s[22:23], s[18:19], vcc
	s_and_saveexec_b64 s[18:19], s[22:23]
	s_cbranch_execz .LBB104_749
; %bb.748:
	v_ashrrev_i32_e32 v223, 31, v222
	v_lshl_add_u64 v[228:229], v[222:223], 2, v[220:221]
	global_load_dword v223, v[228:229], off
	global_load_dword v225, v[220:221], off offset:140
	s_waitcnt vmcnt(1)
	global_store_dword v[220:221], v223, off offset:140
	s_waitcnt vmcnt(1)
	global_store_dword v[228:229], v225, off
.LBB104_749:
	s_or_b64 exec, exec, s[18:19]
	v_mov_b32_e32 v225, v222
	v_mov_b32_e32 v227, v222
.LBB104_750:
	s_or_b64 exec, exec, s[16:17]
.LBB104_751:
	s_andn2_saveexec_b64 s[0:1], s[0:1]
	s_cbranch_execz .LBB104_753
; %bb.752:
	v_mov_b32_e32 v225, 35
	s_waitcnt vmcnt(16)
	ds_write2_b64 v224, v[60:61], v[62:63] offset0:72 offset1:73
	s_waitcnt vmcnt(15)
	ds_write2_b64 v224, v[56:57], v[58:59] offset0:74 offset1:75
	s_waitcnt vmcnt(14)
	ds_write2_b64 v224, v[52:53], v[54:55] offset0:76 offset1:77
	s_waitcnt vmcnt(13)
	ds_write2_b64 v224, v[48:49], v[50:51] offset0:78 offset1:79
	s_waitcnt vmcnt(12)
	ds_write2_b64 v224, v[44:45], v[46:47] offset0:80 offset1:81
	s_waitcnt vmcnt(11)
	ds_write2_b64 v224, v[40:41], v[42:43] offset0:82 offset1:83
	s_waitcnt vmcnt(10)
	ds_write2_b64 v224, v[36:37], v[38:39] offset0:84 offset1:85
	s_waitcnt vmcnt(9)
	ds_write2_b64 v224, v[32:33], v[34:35] offset0:86 offset1:87
	s_waitcnt vmcnt(8)
	ds_write2_b64 v224, v[28:29], v[30:31] offset0:88 offset1:89
	s_waitcnt vmcnt(7)
	ds_write2_b64 v224, v[24:25], v[26:27] offset0:90 offset1:91
	s_waitcnt vmcnt(6)
	ds_write2_b64 v224, v[20:21], v[22:23] offset0:92 offset1:93
	s_waitcnt vmcnt(5)
	ds_write2_b64 v224, v[16:17], v[18:19] offset0:94 offset1:95
	s_waitcnt vmcnt(4)
	ds_write2_b64 v224, v[12:13], v[14:15] offset0:96 offset1:97
	s_waitcnt vmcnt(3)
	ds_write2_b64 v224, v[8:9], v[10:11] offset0:98 offset1:99
	s_waitcnt vmcnt(2)
	ds_write2_b64 v224, v[4:5], v[6:7] offset0:100 offset1:101
	s_waitcnt vmcnt(1)
	ds_write2_b64 v224, v[0:1], v[2:3] offset0:102 offset1:103
	s_waitcnt vmcnt(0)
	ds_write2_b64 v224, v[208:209], v[210:211] offset0:104 offset1:105
.LBB104_753:
	s_or_b64 exec, exec, s[0:1]
	v_cmp_lt_i32_e32 vcc, 35, v225
	s_waitcnt lgkmcnt(0)
	s_barrier
	s_and_saveexec_b64 s[0:1], vcc
	s_cbranch_execz .LBB104_755
; %bb.754:
	ds_read2_b64 v[228:231], v224 offset0:72 offset1:73
	v_mul_f64 v[222:223], v[214:215], v[66:67]
	v_mul_f64 v[66:67], v[212:213], v[66:67]
	v_fmac_f64_e32 v[66:67], v[214:215], v[64:65]
	v_fma_f64 v[222:223], v[212:213], v[64:65], -v[222:223]
	ds_read2_b64 v[212:215], v224 offset0:74 offset1:75
	s_waitcnt lgkmcnt(1)
	v_mul_f64 v[64:65], v[230:231], v[66:67]
	v_fma_f64 v[64:65], v[228:229], v[222:223], -v[64:65]
	v_mul_f64 v[228:229], v[228:229], v[66:67]
	v_fmac_f64_e32 v[228:229], v[230:231], v[222:223]
	s_waitcnt vmcnt(16)
	v_add_f64 v[62:63], v[62:63], -v[228:229]
	ds_read2_b64 v[228:231], v224 offset0:76 offset1:77
	v_add_f64 v[60:61], v[60:61], -v[64:65]
	s_waitcnt lgkmcnt(1)
	v_mul_f64 v[64:65], v[214:215], v[66:67]
	v_fma_f64 v[64:65], v[212:213], v[222:223], -v[64:65]
	v_mul_f64 v[212:213], v[212:213], v[66:67]
	v_fmac_f64_e32 v[212:213], v[214:215], v[222:223]
	s_waitcnt vmcnt(15)
	v_add_f64 v[56:57], v[56:57], -v[64:65]
	v_add_f64 v[58:59], v[58:59], -v[212:213]
	ds_read2_b64 v[212:215], v224 offset0:78 offset1:79
	s_waitcnt lgkmcnt(1)
	v_mul_f64 v[64:65], v[230:231], v[66:67]
	v_fma_f64 v[64:65], v[228:229], v[222:223], -v[64:65]
	v_mul_f64 v[228:229], v[228:229], v[66:67]
	v_fmac_f64_e32 v[228:229], v[230:231], v[222:223]
	s_waitcnt vmcnt(14)
	v_add_f64 v[54:55], v[54:55], -v[228:229]
	ds_read2_b64 v[228:231], v224 offset0:80 offset1:81
	v_add_f64 v[52:53], v[52:53], -v[64:65]
	s_waitcnt lgkmcnt(1)
	v_mul_f64 v[64:65], v[214:215], v[66:67]
	v_fma_f64 v[64:65], v[212:213], v[222:223], -v[64:65]
	v_mul_f64 v[212:213], v[212:213], v[66:67]
	v_fmac_f64_e32 v[212:213], v[214:215], v[222:223]
	s_waitcnt vmcnt(13)
	v_add_f64 v[48:49], v[48:49], -v[64:65]
	v_add_f64 v[50:51], v[50:51], -v[212:213]
	;; [unrolled: 18-line block ×8, first 2 shown]
	s_waitcnt lgkmcnt(0)
	v_mul_f64 v[64:65], v[230:231], v[66:67]
	v_mul_f64 v[212:213], v[228:229], v[66:67]
	v_fma_f64 v[64:65], v[228:229], v[222:223], -v[64:65]
	v_fmac_f64_e32 v[212:213], v[230:231], v[222:223]
	s_waitcnt vmcnt(0)
	v_add_f64 v[208:209], v[208:209], -v[64:65]
	v_add_f64 v[210:211], v[210:211], -v[212:213]
	v_mov_b64_e32 v[64:65], v[222:223]
.LBB104_755:
	s_or_b64 exec, exec, s[0:1]
	v_lshl_add_u32 v212, v225, 4, v224
	s_barrier
	s_waitcnt vmcnt(16)
	ds_write2_b64 v212, v[60:61], v[62:63] offset1:1
	s_waitcnt lgkmcnt(0)
	s_barrier
	ds_read2_b64 v[212:215], v224 offset0:72 offset1:73
	s_cmp_lt_i32 s20, 38
	v_mov_b32_e32 v222, 36
	s_cbranch_scc1 .LBB104_758
; %bb.756:
	v_add_u32_e32 v223, 0x250, v224
	s_mov_b32 s16, 37
	v_mov_b32_e32 v222, 36
.LBB104_757:                            ; =>This Inner Loop Header: Depth=1
	ds_read2_b64 v[228:231], v223 offset1:1
	s_waitcnt lgkmcnt(1)
	v_xor_b32_e32 v233, 0x80000000, v213
	v_xor_b32_e32 v235, 0x80000000, v215
	v_cmp_gt_f64_e32 vcc, 0, v[214:215]
	v_cmp_gt_f64_e64 s[0:1], 0, v[212:213]
	v_mov_b32_e32 v232, v212
	v_mov_b32_e32 v234, v214
	v_cndmask_b32_e64 v233, v213, v233, s[0:1]
	v_cndmask_b32_e32 v235, v215, v235, vcc
	v_add_f64 v[232:233], v[232:233], v[234:235]
	s_waitcnt lgkmcnt(0)
	v_xor_b32_e32 v235, 0x80000000, v229
	v_xor_b32_e32 v237, 0x80000000, v231
	v_cmp_gt_f64_e32 vcc, 0, v[230:231]
	v_cmp_gt_f64_e64 s[0:1], 0, v[228:229]
	v_mov_b32_e32 v234, v228
	v_mov_b32_e32 v236, v230
	v_cndmask_b32_e64 v235, v229, v235, s[0:1]
	v_cndmask_b32_e32 v237, v231, v237, vcc
	v_add_f64 v[234:235], v[234:235], v[236:237]
	v_mov_b32_e32 v238, s16
	s_add_i32 s16, s16, 1
	v_cmp_lt_f64_e32 vcc, v[232:233], v[234:235]
	v_add_u32_e32 v223, 16, v223
	s_cmp_lg_u32 s20, s16
	v_cndmask_b32_e32 v213, v213, v229, vcc
	v_cndmask_b32_e32 v212, v212, v228, vcc
	;; [unrolled: 1-line block ×5, first 2 shown]
	s_cbranch_scc1 .LBB104_757
.LBB104_758:
	s_waitcnt lgkmcnt(0)
	v_cmp_eq_f64_e32 vcc, 0, v[212:213]
	v_cmp_eq_f64_e64 s[0:1], 0, v[214:215]
	s_and_b64 s[0:1], vcc, s[0:1]
	s_and_saveexec_b64 s[16:17], s[0:1]
	s_xor_b64 s[0:1], exec, s[16:17]
; %bb.759:
	v_cmp_ne_u32_e32 vcc, 0, v226
	s_nop 1
	v_cndmask_b32_e32 v226, 37, v226, vcc
; %bb.760:
	s_andn2_saveexec_b64 s[0:1], s[0:1]
	s_cbranch_execz .LBB104_766
; %bb.761:
	v_cmp_ngt_f64_e64 s[16:17], |v[212:213]|, |v[214:215]|
	s_and_saveexec_b64 s[18:19], s[16:17]
	s_xor_b64 s[16:17], exec, s[18:19]
	s_cbranch_execz .LBB104_763
; %bb.762:
	v_div_scale_f64 v[228:229], s[18:19], v[214:215], v[214:215], v[212:213]
	v_rcp_f64_e32 v[230:231], v[228:229]
	v_div_scale_f64 v[232:233], vcc, v[212:213], v[214:215], v[212:213]
	v_fma_f64 v[234:235], -v[228:229], v[230:231], 1.0
	v_fmac_f64_e32 v[230:231], v[230:231], v[234:235]
	v_fma_f64 v[234:235], -v[228:229], v[230:231], 1.0
	v_fmac_f64_e32 v[230:231], v[230:231], v[234:235]
	v_mul_f64 v[234:235], v[232:233], v[230:231]
	v_fma_f64 v[228:229], -v[228:229], v[234:235], v[232:233]
	v_div_fmas_f64 v[228:229], v[228:229], v[230:231], v[234:235]
	v_div_fixup_f64 v[228:229], v[228:229], v[214:215], v[212:213]
	v_fmac_f64_e32 v[214:215], v[212:213], v[228:229]
	v_div_scale_f64 v[212:213], s[18:19], v[214:215], v[214:215], 1.0
	v_rcp_f64_e32 v[230:231], v[212:213]
	s_nop 0
	v_fma_f64 v[232:233], -v[212:213], v[230:231], 1.0
	v_fmac_f64_e32 v[230:231], v[230:231], v[232:233]
	v_fma_f64 v[232:233], -v[212:213], v[230:231], 1.0
	v_fmac_f64_e32 v[230:231], v[230:231], v[232:233]
	v_div_scale_f64 v[232:233], vcc, 1.0, v[214:215], 1.0
	v_mul_f64 v[234:235], v[232:233], v[230:231]
	v_fma_f64 v[212:213], -v[212:213], v[234:235], v[232:233]
	s_nop 1
	v_div_fmas_f64 v[212:213], v[212:213], v[230:231], v[234:235]
	v_div_fixup_f64 v[214:215], v[212:213], v[214:215], 1.0
	v_mul_f64 v[212:213], v[228:229], v[214:215]
	v_xor_b32_e32 v215, 0x80000000, v215
.LBB104_763:
	s_andn2_saveexec_b64 s[16:17], s[16:17]
	s_cbranch_execz .LBB104_765
; %bb.764:
	v_div_scale_f64 v[228:229], s[18:19], v[212:213], v[212:213], v[214:215]
	v_rcp_f64_e32 v[230:231], v[228:229]
	v_div_scale_f64 v[232:233], vcc, v[214:215], v[212:213], v[214:215]
	v_fma_f64 v[234:235], -v[228:229], v[230:231], 1.0
	v_fmac_f64_e32 v[230:231], v[230:231], v[234:235]
	v_fma_f64 v[234:235], -v[228:229], v[230:231], 1.0
	v_fmac_f64_e32 v[230:231], v[230:231], v[234:235]
	v_mul_f64 v[234:235], v[232:233], v[230:231]
	v_fma_f64 v[228:229], -v[228:229], v[234:235], v[232:233]
	v_div_fmas_f64 v[228:229], v[228:229], v[230:231], v[234:235]
	v_div_fixup_f64 v[228:229], v[228:229], v[212:213], v[214:215]
	v_fmac_f64_e32 v[212:213], v[214:215], v[228:229]
	v_div_scale_f64 v[214:215], s[18:19], v[212:213], v[212:213], 1.0
	v_rcp_f64_e32 v[230:231], v[214:215]
	s_nop 0
	v_fma_f64 v[232:233], -v[214:215], v[230:231], 1.0
	v_fmac_f64_e32 v[230:231], v[230:231], v[232:233]
	v_fma_f64 v[232:233], -v[214:215], v[230:231], 1.0
	v_fmac_f64_e32 v[230:231], v[230:231], v[232:233]
	v_div_scale_f64 v[232:233], vcc, 1.0, v[212:213], 1.0
	v_mul_f64 v[234:235], v[232:233], v[230:231]
	v_fma_f64 v[214:215], -v[214:215], v[234:235], v[232:233]
	s_nop 1
	v_div_fmas_f64 v[214:215], v[214:215], v[230:231], v[234:235]
	v_div_fixup_f64 v[212:213], v[214:215], v[212:213], 1.0
	v_mul_f64 v[214:215], v[228:229], -v[212:213]
.LBB104_765:
	s_or_b64 exec, exec, s[16:17]
.LBB104_766:
	s_or_b64 exec, exec, s[0:1]
	v_cmp_ne_u32_e32 vcc, v225, v222
	s_and_saveexec_b64 s[0:1], vcc
	s_xor_b64 s[0:1], exec, s[0:1]
	s_cbranch_execz .LBB104_772
; %bb.767:
	v_cmp_eq_u32_e32 vcc, 36, v225
	s_and_saveexec_b64 s[16:17], vcc
	s_cbranch_execz .LBB104_771
; %bb.768:
	v_cmp_ne_u32_e32 vcc, 36, v222
	s_xor_b64 s[18:19], s[14:15], -1
	s_and_b64 s[22:23], s[18:19], vcc
	s_and_saveexec_b64 s[18:19], s[22:23]
	s_cbranch_execz .LBB104_770
; %bb.769:
	v_ashrrev_i32_e32 v223, 31, v222
	v_lshl_add_u64 v[228:229], v[222:223], 2, v[220:221]
	global_load_dword v223, v[228:229], off
	global_load_dword v225, v[220:221], off offset:144
	s_waitcnt vmcnt(1)
	global_store_dword v[220:221], v223, off offset:144
	s_waitcnt vmcnt(1)
	global_store_dword v[228:229], v225, off
.LBB104_770:
	s_or_b64 exec, exec, s[18:19]
	v_mov_b32_e32 v225, v222
	v_mov_b32_e32 v227, v222
.LBB104_771:
	s_or_b64 exec, exec, s[16:17]
.LBB104_772:
	s_andn2_saveexec_b64 s[0:1], s[0:1]
	s_cbranch_execz .LBB104_774
; %bb.773:
	v_mov_b32_e32 v225, 36
	s_waitcnt vmcnt(15)
	ds_write2_b64 v224, v[56:57], v[58:59] offset0:74 offset1:75
	s_waitcnt vmcnt(14)
	ds_write2_b64 v224, v[52:53], v[54:55] offset0:76 offset1:77
	;; [unrolled: 2-line block ×16, first 2 shown]
.LBB104_774:
	s_or_b64 exec, exec, s[0:1]
	v_cmp_lt_i32_e32 vcc, 36, v225
	s_waitcnt lgkmcnt(0)
	s_barrier
	s_and_saveexec_b64 s[0:1], vcc
	s_cbranch_execz .LBB104_776
; %bb.775:
	ds_read2_b64 v[228:231], v224 offset0:74 offset1:75
	v_mul_f64 v[222:223], v[212:213], v[62:63]
	v_mul_f64 v[62:63], v[214:215], v[62:63]
	v_fmac_f64_e32 v[222:223], v[214:215], v[60:61]
	v_fma_f64 v[60:61], v[212:213], v[60:61], -v[62:63]
	ds_read2_b64 v[212:215], v224 offset0:76 offset1:77
	s_waitcnt lgkmcnt(1)
	v_mul_f64 v[62:63], v[230:231], v[222:223]
	v_fma_f64 v[62:63], v[228:229], v[60:61], -v[62:63]
	v_mul_f64 v[228:229], v[228:229], v[222:223]
	v_fmac_f64_e32 v[228:229], v[230:231], v[60:61]
	s_waitcnt vmcnt(15)
	v_add_f64 v[56:57], v[56:57], -v[62:63]
	s_waitcnt lgkmcnt(0)
	v_mul_f64 v[62:63], v[214:215], v[222:223]
	v_add_f64 v[58:59], v[58:59], -v[228:229]
	v_fma_f64 v[62:63], v[212:213], v[60:61], -v[62:63]
	v_mul_f64 v[212:213], v[212:213], v[222:223]
	ds_read2_b64 v[228:231], v224 offset0:78 offset1:79
	v_fmac_f64_e32 v[212:213], v[214:215], v[60:61]
	s_waitcnt vmcnt(14)
	v_add_f64 v[54:55], v[54:55], -v[212:213]
	ds_read2_b64 v[212:215], v224 offset0:80 offset1:81
	v_add_f64 v[52:53], v[52:53], -v[62:63]
	s_waitcnt lgkmcnt(1)
	v_mul_f64 v[62:63], v[230:231], v[222:223]
	v_fma_f64 v[62:63], v[228:229], v[60:61], -v[62:63]
	v_mul_f64 v[228:229], v[228:229], v[222:223]
	v_fmac_f64_e32 v[228:229], v[230:231], v[60:61]
	s_waitcnt vmcnt(13)
	v_add_f64 v[48:49], v[48:49], -v[62:63]
	s_waitcnt lgkmcnt(0)
	v_mul_f64 v[62:63], v[214:215], v[222:223]
	v_add_f64 v[50:51], v[50:51], -v[228:229]
	v_fma_f64 v[62:63], v[212:213], v[60:61], -v[62:63]
	v_mul_f64 v[212:213], v[212:213], v[222:223]
	ds_read2_b64 v[228:231], v224 offset0:82 offset1:83
	v_fmac_f64_e32 v[212:213], v[214:215], v[60:61]
	s_waitcnt vmcnt(12)
	v_add_f64 v[46:47], v[46:47], -v[212:213]
	ds_read2_b64 v[212:215], v224 offset0:84 offset1:85
	v_add_f64 v[44:45], v[44:45], -v[62:63]
	s_waitcnt lgkmcnt(1)
	v_mul_f64 v[62:63], v[230:231], v[222:223]
	v_fma_f64 v[62:63], v[228:229], v[60:61], -v[62:63]
	v_mul_f64 v[228:229], v[228:229], v[222:223]
	v_fmac_f64_e32 v[228:229], v[230:231], v[60:61]
	s_waitcnt vmcnt(11)
	v_add_f64 v[40:41], v[40:41], -v[62:63]
	s_waitcnt lgkmcnt(0)
	v_mul_f64 v[62:63], v[214:215], v[222:223]
	v_add_f64 v[42:43], v[42:43], -v[228:229]
	v_fma_f64 v[62:63], v[212:213], v[60:61], -v[62:63]
	v_mul_f64 v[212:213], v[212:213], v[222:223]
	ds_read2_b64 v[228:231], v224 offset0:86 offset1:87
	v_fmac_f64_e32 v[212:213], v[214:215], v[60:61]
	s_waitcnt vmcnt(10)
	v_add_f64 v[38:39], v[38:39], -v[212:213]
	ds_read2_b64 v[212:215], v224 offset0:88 offset1:89
	v_add_f64 v[36:37], v[36:37], -v[62:63]
	s_waitcnt lgkmcnt(1)
	v_mul_f64 v[62:63], v[230:231], v[222:223]
	v_fma_f64 v[62:63], v[228:229], v[60:61], -v[62:63]
	v_mul_f64 v[228:229], v[228:229], v[222:223]
	v_fmac_f64_e32 v[228:229], v[230:231], v[60:61]
	s_waitcnt vmcnt(9)
	v_add_f64 v[32:33], v[32:33], -v[62:63]
	s_waitcnt lgkmcnt(0)
	v_mul_f64 v[62:63], v[214:215], v[222:223]
	v_add_f64 v[34:35], v[34:35], -v[228:229]
	v_fma_f64 v[62:63], v[212:213], v[60:61], -v[62:63]
	v_mul_f64 v[212:213], v[212:213], v[222:223]
	ds_read2_b64 v[228:231], v224 offset0:90 offset1:91
	v_fmac_f64_e32 v[212:213], v[214:215], v[60:61]
	s_waitcnt vmcnt(8)
	v_add_f64 v[30:31], v[30:31], -v[212:213]
	ds_read2_b64 v[212:215], v224 offset0:92 offset1:93
	v_add_f64 v[28:29], v[28:29], -v[62:63]
	s_waitcnt lgkmcnt(1)
	v_mul_f64 v[62:63], v[230:231], v[222:223]
	v_fma_f64 v[62:63], v[228:229], v[60:61], -v[62:63]
	v_mul_f64 v[228:229], v[228:229], v[222:223]
	v_fmac_f64_e32 v[228:229], v[230:231], v[60:61]
	s_waitcnt vmcnt(7)
	v_add_f64 v[24:25], v[24:25], -v[62:63]
	s_waitcnt lgkmcnt(0)
	v_mul_f64 v[62:63], v[214:215], v[222:223]
	v_add_f64 v[26:27], v[26:27], -v[228:229]
	v_fma_f64 v[62:63], v[212:213], v[60:61], -v[62:63]
	v_mul_f64 v[212:213], v[212:213], v[222:223]
	ds_read2_b64 v[228:231], v224 offset0:94 offset1:95
	v_fmac_f64_e32 v[212:213], v[214:215], v[60:61]
	s_waitcnt vmcnt(6)
	v_add_f64 v[22:23], v[22:23], -v[212:213]
	ds_read2_b64 v[212:215], v224 offset0:96 offset1:97
	v_add_f64 v[20:21], v[20:21], -v[62:63]
	s_waitcnt lgkmcnt(1)
	v_mul_f64 v[62:63], v[230:231], v[222:223]
	v_fma_f64 v[62:63], v[228:229], v[60:61], -v[62:63]
	v_mul_f64 v[228:229], v[228:229], v[222:223]
	v_fmac_f64_e32 v[228:229], v[230:231], v[60:61]
	s_waitcnt vmcnt(5)
	v_add_f64 v[16:17], v[16:17], -v[62:63]
	s_waitcnt lgkmcnt(0)
	v_mul_f64 v[62:63], v[214:215], v[222:223]
	v_add_f64 v[18:19], v[18:19], -v[228:229]
	v_fma_f64 v[62:63], v[212:213], v[60:61], -v[62:63]
	v_mul_f64 v[212:213], v[212:213], v[222:223]
	ds_read2_b64 v[228:231], v224 offset0:98 offset1:99
	v_fmac_f64_e32 v[212:213], v[214:215], v[60:61]
	s_waitcnt vmcnt(4)
	v_add_f64 v[14:15], v[14:15], -v[212:213]
	ds_read2_b64 v[212:215], v224 offset0:100 offset1:101
	v_add_f64 v[12:13], v[12:13], -v[62:63]
	s_waitcnt lgkmcnt(1)
	v_mul_f64 v[62:63], v[230:231], v[222:223]
	v_fma_f64 v[62:63], v[228:229], v[60:61], -v[62:63]
	v_mul_f64 v[228:229], v[228:229], v[222:223]
	v_fmac_f64_e32 v[228:229], v[230:231], v[60:61]
	s_waitcnt vmcnt(3)
	v_add_f64 v[8:9], v[8:9], -v[62:63]
	s_waitcnt lgkmcnt(0)
	v_mul_f64 v[62:63], v[214:215], v[222:223]
	v_add_f64 v[10:11], v[10:11], -v[228:229]
	v_fma_f64 v[62:63], v[212:213], v[60:61], -v[62:63]
	v_mul_f64 v[212:213], v[212:213], v[222:223]
	ds_read2_b64 v[228:231], v224 offset0:102 offset1:103
	v_fmac_f64_e32 v[212:213], v[214:215], v[60:61]
	s_waitcnt vmcnt(2)
	v_add_f64 v[6:7], v[6:7], -v[212:213]
	ds_read2_b64 v[212:215], v224 offset0:104 offset1:105
	v_add_f64 v[4:5], v[4:5], -v[62:63]
	s_waitcnt lgkmcnt(1)
	v_mul_f64 v[62:63], v[230:231], v[222:223]
	v_fma_f64 v[62:63], v[228:229], v[60:61], -v[62:63]
	s_waitcnt vmcnt(1)
	v_add_f64 v[0:1], v[0:1], -v[62:63]
	s_waitcnt lgkmcnt(0)
	v_mul_f64 v[62:63], v[214:215], v[222:223]
	v_mul_f64 v[228:229], v[228:229], v[222:223]
	v_fma_f64 v[62:63], v[212:213], v[60:61], -v[62:63]
	v_mul_f64 v[212:213], v[212:213], v[222:223]
	v_fmac_f64_e32 v[228:229], v[230:231], v[60:61]
	v_fmac_f64_e32 v[212:213], v[214:215], v[60:61]
	v_add_f64 v[2:3], v[2:3], -v[228:229]
	s_waitcnt vmcnt(0)
	v_add_f64 v[208:209], v[208:209], -v[62:63]
	v_add_f64 v[210:211], v[210:211], -v[212:213]
	v_mov_b64_e32 v[62:63], v[222:223]
.LBB104_776:
	s_or_b64 exec, exec, s[0:1]
	v_lshl_add_u32 v212, v225, 4, v224
	s_barrier
	s_waitcnt vmcnt(15)
	ds_write2_b64 v212, v[56:57], v[58:59] offset1:1
	s_waitcnt lgkmcnt(0)
	s_barrier
	ds_read2_b64 v[212:215], v224 offset0:74 offset1:75
	s_cmp_lt_i32 s20, 39
	v_mov_b32_e32 v222, 37
	s_cbranch_scc1 .LBB104_779
; %bb.777:
	v_add_u32_e32 v223, 0x260, v224
	s_mov_b32 s16, 38
	v_mov_b32_e32 v222, 37
.LBB104_778:                            ; =>This Inner Loop Header: Depth=1
	ds_read2_b64 v[228:231], v223 offset1:1
	s_waitcnt lgkmcnt(1)
	v_xor_b32_e32 v233, 0x80000000, v213
	v_xor_b32_e32 v235, 0x80000000, v215
	v_cmp_gt_f64_e32 vcc, 0, v[214:215]
	v_cmp_gt_f64_e64 s[0:1], 0, v[212:213]
	v_mov_b32_e32 v232, v212
	v_mov_b32_e32 v234, v214
	v_cndmask_b32_e64 v233, v213, v233, s[0:1]
	v_cndmask_b32_e32 v235, v215, v235, vcc
	v_add_f64 v[232:233], v[232:233], v[234:235]
	s_waitcnt lgkmcnt(0)
	v_xor_b32_e32 v235, 0x80000000, v229
	v_xor_b32_e32 v237, 0x80000000, v231
	v_cmp_gt_f64_e32 vcc, 0, v[230:231]
	v_cmp_gt_f64_e64 s[0:1], 0, v[228:229]
	v_mov_b32_e32 v234, v228
	v_mov_b32_e32 v236, v230
	v_cndmask_b32_e64 v235, v229, v235, s[0:1]
	v_cndmask_b32_e32 v237, v231, v237, vcc
	v_add_f64 v[234:235], v[234:235], v[236:237]
	v_mov_b32_e32 v238, s16
	s_add_i32 s16, s16, 1
	v_cmp_lt_f64_e32 vcc, v[232:233], v[234:235]
	v_add_u32_e32 v223, 16, v223
	s_cmp_lg_u32 s20, s16
	v_cndmask_b32_e32 v213, v213, v229, vcc
	v_cndmask_b32_e32 v212, v212, v228, vcc
	;; [unrolled: 1-line block ×5, first 2 shown]
	s_cbranch_scc1 .LBB104_778
.LBB104_779:
	s_waitcnt lgkmcnt(0)
	v_cmp_eq_f64_e32 vcc, 0, v[212:213]
	v_cmp_eq_f64_e64 s[0:1], 0, v[214:215]
	s_and_b64 s[0:1], vcc, s[0:1]
	s_and_saveexec_b64 s[16:17], s[0:1]
	s_xor_b64 s[0:1], exec, s[16:17]
; %bb.780:
	v_cmp_ne_u32_e32 vcc, 0, v226
	s_nop 1
	v_cndmask_b32_e32 v226, 38, v226, vcc
; %bb.781:
	s_andn2_saveexec_b64 s[0:1], s[0:1]
	s_cbranch_execz .LBB104_787
; %bb.782:
	v_cmp_ngt_f64_e64 s[16:17], |v[212:213]|, |v[214:215]|
	s_and_saveexec_b64 s[18:19], s[16:17]
	s_xor_b64 s[16:17], exec, s[18:19]
	s_cbranch_execz .LBB104_784
; %bb.783:
	v_div_scale_f64 v[228:229], s[18:19], v[214:215], v[214:215], v[212:213]
	v_rcp_f64_e32 v[230:231], v[228:229]
	v_div_scale_f64 v[232:233], vcc, v[212:213], v[214:215], v[212:213]
	v_fma_f64 v[234:235], -v[228:229], v[230:231], 1.0
	v_fmac_f64_e32 v[230:231], v[230:231], v[234:235]
	v_fma_f64 v[234:235], -v[228:229], v[230:231], 1.0
	v_fmac_f64_e32 v[230:231], v[230:231], v[234:235]
	v_mul_f64 v[234:235], v[232:233], v[230:231]
	v_fma_f64 v[228:229], -v[228:229], v[234:235], v[232:233]
	v_div_fmas_f64 v[228:229], v[228:229], v[230:231], v[234:235]
	v_div_fixup_f64 v[228:229], v[228:229], v[214:215], v[212:213]
	v_fmac_f64_e32 v[214:215], v[212:213], v[228:229]
	v_div_scale_f64 v[212:213], s[18:19], v[214:215], v[214:215], 1.0
	v_rcp_f64_e32 v[230:231], v[212:213]
	s_nop 0
	v_fma_f64 v[232:233], -v[212:213], v[230:231], 1.0
	v_fmac_f64_e32 v[230:231], v[230:231], v[232:233]
	v_fma_f64 v[232:233], -v[212:213], v[230:231], 1.0
	v_fmac_f64_e32 v[230:231], v[230:231], v[232:233]
	v_div_scale_f64 v[232:233], vcc, 1.0, v[214:215], 1.0
	v_mul_f64 v[234:235], v[232:233], v[230:231]
	v_fma_f64 v[212:213], -v[212:213], v[234:235], v[232:233]
	s_nop 1
	v_div_fmas_f64 v[212:213], v[212:213], v[230:231], v[234:235]
	v_div_fixup_f64 v[214:215], v[212:213], v[214:215], 1.0
	v_mul_f64 v[212:213], v[228:229], v[214:215]
	v_xor_b32_e32 v215, 0x80000000, v215
.LBB104_784:
	s_andn2_saveexec_b64 s[16:17], s[16:17]
	s_cbranch_execz .LBB104_786
; %bb.785:
	v_div_scale_f64 v[228:229], s[18:19], v[212:213], v[212:213], v[214:215]
	v_rcp_f64_e32 v[230:231], v[228:229]
	v_div_scale_f64 v[232:233], vcc, v[214:215], v[212:213], v[214:215]
	v_fma_f64 v[234:235], -v[228:229], v[230:231], 1.0
	v_fmac_f64_e32 v[230:231], v[230:231], v[234:235]
	v_fma_f64 v[234:235], -v[228:229], v[230:231], 1.0
	v_fmac_f64_e32 v[230:231], v[230:231], v[234:235]
	v_mul_f64 v[234:235], v[232:233], v[230:231]
	v_fma_f64 v[228:229], -v[228:229], v[234:235], v[232:233]
	v_div_fmas_f64 v[228:229], v[228:229], v[230:231], v[234:235]
	v_div_fixup_f64 v[228:229], v[228:229], v[212:213], v[214:215]
	v_fmac_f64_e32 v[212:213], v[214:215], v[228:229]
	v_div_scale_f64 v[214:215], s[18:19], v[212:213], v[212:213], 1.0
	v_rcp_f64_e32 v[230:231], v[214:215]
	s_nop 0
	v_fma_f64 v[232:233], -v[214:215], v[230:231], 1.0
	v_fmac_f64_e32 v[230:231], v[230:231], v[232:233]
	v_fma_f64 v[232:233], -v[214:215], v[230:231], 1.0
	v_fmac_f64_e32 v[230:231], v[230:231], v[232:233]
	v_div_scale_f64 v[232:233], vcc, 1.0, v[212:213], 1.0
	v_mul_f64 v[234:235], v[232:233], v[230:231]
	v_fma_f64 v[214:215], -v[214:215], v[234:235], v[232:233]
	s_nop 1
	v_div_fmas_f64 v[214:215], v[214:215], v[230:231], v[234:235]
	v_div_fixup_f64 v[212:213], v[214:215], v[212:213], 1.0
	v_mul_f64 v[214:215], v[228:229], -v[212:213]
.LBB104_786:
	s_or_b64 exec, exec, s[16:17]
.LBB104_787:
	s_or_b64 exec, exec, s[0:1]
	v_cmp_ne_u32_e32 vcc, v225, v222
	s_and_saveexec_b64 s[0:1], vcc
	s_xor_b64 s[0:1], exec, s[0:1]
	s_cbranch_execz .LBB104_793
; %bb.788:
	v_cmp_eq_u32_e32 vcc, 37, v225
	s_and_saveexec_b64 s[16:17], vcc
	s_cbranch_execz .LBB104_792
; %bb.789:
	v_cmp_ne_u32_e32 vcc, 37, v222
	s_xor_b64 s[18:19], s[14:15], -1
	s_and_b64 s[22:23], s[18:19], vcc
	s_and_saveexec_b64 s[18:19], s[22:23]
	s_cbranch_execz .LBB104_791
; %bb.790:
	v_ashrrev_i32_e32 v223, 31, v222
	v_lshl_add_u64 v[228:229], v[222:223], 2, v[220:221]
	global_load_dword v223, v[228:229], off
	global_load_dword v225, v[220:221], off offset:148
	s_waitcnt vmcnt(1)
	global_store_dword v[220:221], v223, off offset:148
	s_waitcnt vmcnt(1)
	global_store_dword v[228:229], v225, off
.LBB104_791:
	s_or_b64 exec, exec, s[18:19]
	v_mov_b32_e32 v225, v222
	v_mov_b32_e32 v227, v222
.LBB104_792:
	s_or_b64 exec, exec, s[16:17]
.LBB104_793:
	s_andn2_saveexec_b64 s[0:1], s[0:1]
	s_cbranch_execz .LBB104_795
; %bb.794:
	v_mov_b32_e32 v225, 37
	s_waitcnt vmcnt(14)
	ds_write2_b64 v224, v[52:53], v[54:55] offset0:76 offset1:77
	s_waitcnt vmcnt(13)
	ds_write2_b64 v224, v[48:49], v[50:51] offset0:78 offset1:79
	;; [unrolled: 2-line block ×15, first 2 shown]
.LBB104_795:
	s_or_b64 exec, exec, s[0:1]
	v_cmp_lt_i32_e32 vcc, 37, v225
	s_waitcnt lgkmcnt(0)
	s_barrier
	s_and_saveexec_b64 s[0:1], vcc
	s_cbranch_execz .LBB104_797
; %bb.796:
	ds_read2_b64 v[228:231], v224 offset0:76 offset1:77
	v_mul_f64 v[222:223], v[212:213], v[58:59]
	v_fmac_f64_e32 v[222:223], v[214:215], v[56:57]
	v_mul_f64 v[58:59], v[214:215], v[58:59]
	v_fma_f64 v[56:57], v[212:213], v[56:57], -v[58:59]
	ds_read2_b64 v[212:215], v224 offset0:78 offset1:79
	s_waitcnt lgkmcnt(1)
	v_mul_f64 v[58:59], v[230:231], v[222:223]
	v_fma_f64 v[58:59], v[228:229], v[56:57], -v[58:59]
	v_mul_f64 v[228:229], v[228:229], v[222:223]
	v_fmac_f64_e32 v[228:229], v[230:231], v[56:57]
	s_waitcnt vmcnt(14)
	v_add_f64 v[54:55], v[54:55], -v[228:229]
	ds_read2_b64 v[228:231], v224 offset0:80 offset1:81
	v_add_f64 v[52:53], v[52:53], -v[58:59]
	s_waitcnt lgkmcnt(1)
	v_mul_f64 v[58:59], v[214:215], v[222:223]
	v_fma_f64 v[58:59], v[212:213], v[56:57], -v[58:59]
	v_mul_f64 v[212:213], v[212:213], v[222:223]
	v_fmac_f64_e32 v[212:213], v[214:215], v[56:57]
	s_waitcnt vmcnt(13)
	v_add_f64 v[48:49], v[48:49], -v[58:59]
	v_add_f64 v[50:51], v[50:51], -v[212:213]
	ds_read2_b64 v[212:215], v224 offset0:82 offset1:83
	s_waitcnt lgkmcnt(1)
	v_mul_f64 v[58:59], v[230:231], v[222:223]
	v_fma_f64 v[58:59], v[228:229], v[56:57], -v[58:59]
	v_mul_f64 v[228:229], v[228:229], v[222:223]
	v_fmac_f64_e32 v[228:229], v[230:231], v[56:57]
	s_waitcnt vmcnt(12)
	v_add_f64 v[46:47], v[46:47], -v[228:229]
	ds_read2_b64 v[228:231], v224 offset0:84 offset1:85
	v_add_f64 v[44:45], v[44:45], -v[58:59]
	s_waitcnt lgkmcnt(1)
	v_mul_f64 v[58:59], v[214:215], v[222:223]
	v_fma_f64 v[58:59], v[212:213], v[56:57], -v[58:59]
	v_mul_f64 v[212:213], v[212:213], v[222:223]
	v_fmac_f64_e32 v[212:213], v[214:215], v[56:57]
	s_waitcnt vmcnt(11)
	v_add_f64 v[40:41], v[40:41], -v[58:59]
	v_add_f64 v[42:43], v[42:43], -v[212:213]
	;; [unrolled: 18-line block ×7, first 2 shown]
	s_waitcnt lgkmcnt(0)
	v_mul_f64 v[58:59], v[230:231], v[222:223]
	v_mul_f64 v[212:213], v[228:229], v[222:223]
	v_fma_f64 v[58:59], v[228:229], v[56:57], -v[58:59]
	v_fmac_f64_e32 v[212:213], v[230:231], v[56:57]
	s_waitcnt vmcnt(0)
	v_add_f64 v[208:209], v[208:209], -v[58:59]
	v_add_f64 v[210:211], v[210:211], -v[212:213]
	v_mov_b64_e32 v[58:59], v[222:223]
.LBB104_797:
	s_or_b64 exec, exec, s[0:1]
	v_lshl_add_u32 v212, v225, 4, v224
	s_barrier
	s_waitcnt vmcnt(14)
	ds_write2_b64 v212, v[52:53], v[54:55] offset1:1
	s_waitcnt lgkmcnt(0)
	s_barrier
	ds_read2_b64 v[212:215], v224 offset0:76 offset1:77
	s_cmp_lt_i32 s20, 40
	v_mov_b32_e32 v222, 38
	s_cbranch_scc1 .LBB104_800
; %bb.798:
	v_add_u32_e32 v223, 0x270, v224
	s_mov_b32 s16, 39
	v_mov_b32_e32 v222, 38
.LBB104_799:                            ; =>This Inner Loop Header: Depth=1
	ds_read2_b64 v[228:231], v223 offset1:1
	s_waitcnt lgkmcnt(1)
	v_xor_b32_e32 v233, 0x80000000, v213
	v_xor_b32_e32 v235, 0x80000000, v215
	v_cmp_gt_f64_e32 vcc, 0, v[214:215]
	v_cmp_gt_f64_e64 s[0:1], 0, v[212:213]
	v_mov_b32_e32 v232, v212
	v_mov_b32_e32 v234, v214
	v_cndmask_b32_e64 v233, v213, v233, s[0:1]
	v_cndmask_b32_e32 v235, v215, v235, vcc
	v_add_f64 v[232:233], v[232:233], v[234:235]
	s_waitcnt lgkmcnt(0)
	v_xor_b32_e32 v235, 0x80000000, v229
	v_xor_b32_e32 v237, 0x80000000, v231
	v_cmp_gt_f64_e32 vcc, 0, v[230:231]
	v_cmp_gt_f64_e64 s[0:1], 0, v[228:229]
	v_mov_b32_e32 v234, v228
	v_mov_b32_e32 v236, v230
	v_cndmask_b32_e64 v235, v229, v235, s[0:1]
	v_cndmask_b32_e32 v237, v231, v237, vcc
	v_add_f64 v[234:235], v[234:235], v[236:237]
	v_mov_b32_e32 v238, s16
	s_add_i32 s16, s16, 1
	v_cmp_lt_f64_e32 vcc, v[232:233], v[234:235]
	v_add_u32_e32 v223, 16, v223
	s_cmp_lg_u32 s20, s16
	v_cndmask_b32_e32 v213, v213, v229, vcc
	v_cndmask_b32_e32 v212, v212, v228, vcc
	;; [unrolled: 1-line block ×5, first 2 shown]
	s_cbranch_scc1 .LBB104_799
.LBB104_800:
	s_waitcnt lgkmcnt(0)
	v_cmp_eq_f64_e32 vcc, 0, v[212:213]
	v_cmp_eq_f64_e64 s[0:1], 0, v[214:215]
	s_and_b64 s[0:1], vcc, s[0:1]
	s_and_saveexec_b64 s[16:17], s[0:1]
	s_xor_b64 s[0:1], exec, s[16:17]
; %bb.801:
	v_cmp_ne_u32_e32 vcc, 0, v226
	s_nop 1
	v_cndmask_b32_e32 v226, 39, v226, vcc
; %bb.802:
	s_andn2_saveexec_b64 s[0:1], s[0:1]
	s_cbranch_execz .LBB104_808
; %bb.803:
	v_cmp_ngt_f64_e64 s[16:17], |v[212:213]|, |v[214:215]|
	s_and_saveexec_b64 s[18:19], s[16:17]
	s_xor_b64 s[16:17], exec, s[18:19]
	s_cbranch_execz .LBB104_805
; %bb.804:
	v_div_scale_f64 v[228:229], s[18:19], v[214:215], v[214:215], v[212:213]
	v_rcp_f64_e32 v[230:231], v[228:229]
	v_div_scale_f64 v[232:233], vcc, v[212:213], v[214:215], v[212:213]
	v_fma_f64 v[234:235], -v[228:229], v[230:231], 1.0
	v_fmac_f64_e32 v[230:231], v[230:231], v[234:235]
	v_fma_f64 v[234:235], -v[228:229], v[230:231], 1.0
	v_fmac_f64_e32 v[230:231], v[230:231], v[234:235]
	v_mul_f64 v[234:235], v[232:233], v[230:231]
	v_fma_f64 v[228:229], -v[228:229], v[234:235], v[232:233]
	v_div_fmas_f64 v[228:229], v[228:229], v[230:231], v[234:235]
	v_div_fixup_f64 v[228:229], v[228:229], v[214:215], v[212:213]
	v_fmac_f64_e32 v[214:215], v[212:213], v[228:229]
	v_div_scale_f64 v[212:213], s[18:19], v[214:215], v[214:215], 1.0
	v_rcp_f64_e32 v[230:231], v[212:213]
	s_nop 0
	v_fma_f64 v[232:233], -v[212:213], v[230:231], 1.0
	v_fmac_f64_e32 v[230:231], v[230:231], v[232:233]
	v_fma_f64 v[232:233], -v[212:213], v[230:231], 1.0
	v_fmac_f64_e32 v[230:231], v[230:231], v[232:233]
	v_div_scale_f64 v[232:233], vcc, 1.0, v[214:215], 1.0
	v_mul_f64 v[234:235], v[232:233], v[230:231]
	v_fma_f64 v[212:213], -v[212:213], v[234:235], v[232:233]
	s_nop 1
	v_div_fmas_f64 v[212:213], v[212:213], v[230:231], v[234:235]
	v_div_fixup_f64 v[214:215], v[212:213], v[214:215], 1.0
	v_mul_f64 v[212:213], v[228:229], v[214:215]
	v_xor_b32_e32 v215, 0x80000000, v215
.LBB104_805:
	s_andn2_saveexec_b64 s[16:17], s[16:17]
	s_cbranch_execz .LBB104_807
; %bb.806:
	v_div_scale_f64 v[228:229], s[18:19], v[212:213], v[212:213], v[214:215]
	v_rcp_f64_e32 v[230:231], v[228:229]
	v_div_scale_f64 v[232:233], vcc, v[214:215], v[212:213], v[214:215]
	v_fma_f64 v[234:235], -v[228:229], v[230:231], 1.0
	v_fmac_f64_e32 v[230:231], v[230:231], v[234:235]
	v_fma_f64 v[234:235], -v[228:229], v[230:231], 1.0
	v_fmac_f64_e32 v[230:231], v[230:231], v[234:235]
	v_mul_f64 v[234:235], v[232:233], v[230:231]
	v_fma_f64 v[228:229], -v[228:229], v[234:235], v[232:233]
	v_div_fmas_f64 v[228:229], v[228:229], v[230:231], v[234:235]
	v_div_fixup_f64 v[228:229], v[228:229], v[212:213], v[214:215]
	v_fmac_f64_e32 v[212:213], v[214:215], v[228:229]
	v_div_scale_f64 v[214:215], s[18:19], v[212:213], v[212:213], 1.0
	v_rcp_f64_e32 v[230:231], v[214:215]
	s_nop 0
	v_fma_f64 v[232:233], -v[214:215], v[230:231], 1.0
	v_fmac_f64_e32 v[230:231], v[230:231], v[232:233]
	v_fma_f64 v[232:233], -v[214:215], v[230:231], 1.0
	v_fmac_f64_e32 v[230:231], v[230:231], v[232:233]
	v_div_scale_f64 v[232:233], vcc, 1.0, v[212:213], 1.0
	v_mul_f64 v[234:235], v[232:233], v[230:231]
	v_fma_f64 v[214:215], -v[214:215], v[234:235], v[232:233]
	s_nop 1
	v_div_fmas_f64 v[214:215], v[214:215], v[230:231], v[234:235]
	v_div_fixup_f64 v[212:213], v[214:215], v[212:213], 1.0
	v_mul_f64 v[214:215], v[228:229], -v[212:213]
.LBB104_807:
	s_or_b64 exec, exec, s[16:17]
.LBB104_808:
	s_or_b64 exec, exec, s[0:1]
	v_cmp_ne_u32_e32 vcc, v225, v222
	s_and_saveexec_b64 s[0:1], vcc
	s_xor_b64 s[0:1], exec, s[0:1]
	s_cbranch_execz .LBB104_814
; %bb.809:
	v_cmp_eq_u32_e32 vcc, 38, v225
	s_and_saveexec_b64 s[16:17], vcc
	s_cbranch_execz .LBB104_813
; %bb.810:
	v_cmp_ne_u32_e32 vcc, 38, v222
	s_xor_b64 s[18:19], s[14:15], -1
	s_and_b64 s[22:23], s[18:19], vcc
	s_and_saveexec_b64 s[18:19], s[22:23]
	s_cbranch_execz .LBB104_812
; %bb.811:
	v_ashrrev_i32_e32 v223, 31, v222
	v_lshl_add_u64 v[228:229], v[222:223], 2, v[220:221]
	global_load_dword v223, v[228:229], off
	global_load_dword v225, v[220:221], off offset:152
	s_waitcnt vmcnt(1)
	global_store_dword v[220:221], v223, off offset:152
	s_waitcnt vmcnt(1)
	global_store_dword v[228:229], v225, off
.LBB104_812:
	s_or_b64 exec, exec, s[18:19]
	v_mov_b32_e32 v225, v222
	v_mov_b32_e32 v227, v222
.LBB104_813:
	s_or_b64 exec, exec, s[16:17]
.LBB104_814:
	s_andn2_saveexec_b64 s[0:1], s[0:1]
	s_cbranch_execz .LBB104_816
; %bb.815:
	v_mov_b32_e32 v225, 38
	s_waitcnt vmcnt(13)
	ds_write2_b64 v224, v[48:49], v[50:51] offset0:78 offset1:79
	s_waitcnt vmcnt(12)
	ds_write2_b64 v224, v[44:45], v[46:47] offset0:80 offset1:81
	;; [unrolled: 2-line block ×14, first 2 shown]
.LBB104_816:
	s_or_b64 exec, exec, s[0:1]
	v_cmp_lt_i32_e32 vcc, 38, v225
	s_waitcnt lgkmcnt(0)
	s_barrier
	s_and_saveexec_b64 s[0:1], vcc
	s_cbranch_execz .LBB104_818
; %bb.817:
	ds_read2_b64 v[228:231], v224 offset0:78 offset1:79
	v_mul_f64 v[222:223], v[212:213], v[54:55]
	v_mul_f64 v[54:55], v[214:215], v[54:55]
	v_fmac_f64_e32 v[222:223], v[214:215], v[52:53]
	v_fma_f64 v[52:53], v[212:213], v[52:53], -v[54:55]
	ds_read2_b64 v[212:215], v224 offset0:80 offset1:81
	s_waitcnt lgkmcnt(1)
	v_mul_f64 v[54:55], v[230:231], v[222:223]
	v_fma_f64 v[54:55], v[228:229], v[52:53], -v[54:55]
	v_mul_f64 v[228:229], v[228:229], v[222:223]
	v_fmac_f64_e32 v[228:229], v[230:231], v[52:53]
	s_waitcnt vmcnt(13)
	v_add_f64 v[48:49], v[48:49], -v[54:55]
	s_waitcnt lgkmcnt(0)
	v_mul_f64 v[54:55], v[214:215], v[222:223]
	v_add_f64 v[50:51], v[50:51], -v[228:229]
	v_fma_f64 v[54:55], v[212:213], v[52:53], -v[54:55]
	v_mul_f64 v[212:213], v[212:213], v[222:223]
	ds_read2_b64 v[228:231], v224 offset0:82 offset1:83
	v_fmac_f64_e32 v[212:213], v[214:215], v[52:53]
	s_waitcnt vmcnt(12)
	v_add_f64 v[46:47], v[46:47], -v[212:213]
	ds_read2_b64 v[212:215], v224 offset0:84 offset1:85
	v_add_f64 v[44:45], v[44:45], -v[54:55]
	s_waitcnt lgkmcnt(1)
	v_mul_f64 v[54:55], v[230:231], v[222:223]
	v_fma_f64 v[54:55], v[228:229], v[52:53], -v[54:55]
	v_mul_f64 v[228:229], v[228:229], v[222:223]
	v_fmac_f64_e32 v[228:229], v[230:231], v[52:53]
	s_waitcnt vmcnt(11)
	v_add_f64 v[40:41], v[40:41], -v[54:55]
	s_waitcnt lgkmcnt(0)
	v_mul_f64 v[54:55], v[214:215], v[222:223]
	v_add_f64 v[42:43], v[42:43], -v[228:229]
	v_fma_f64 v[54:55], v[212:213], v[52:53], -v[54:55]
	v_mul_f64 v[212:213], v[212:213], v[222:223]
	ds_read2_b64 v[228:231], v224 offset0:86 offset1:87
	v_fmac_f64_e32 v[212:213], v[214:215], v[52:53]
	s_waitcnt vmcnt(10)
	v_add_f64 v[38:39], v[38:39], -v[212:213]
	ds_read2_b64 v[212:215], v224 offset0:88 offset1:89
	v_add_f64 v[36:37], v[36:37], -v[54:55]
	;; [unrolled: 18-line block ×6, first 2 shown]
	s_waitcnt lgkmcnt(1)
	v_mul_f64 v[54:55], v[230:231], v[222:223]
	v_fma_f64 v[54:55], v[228:229], v[52:53], -v[54:55]
	s_waitcnt vmcnt(1)
	v_add_f64 v[0:1], v[0:1], -v[54:55]
	s_waitcnt lgkmcnt(0)
	v_mul_f64 v[54:55], v[214:215], v[222:223]
	v_mul_f64 v[228:229], v[228:229], v[222:223]
	v_fma_f64 v[54:55], v[212:213], v[52:53], -v[54:55]
	v_mul_f64 v[212:213], v[212:213], v[222:223]
	v_fmac_f64_e32 v[228:229], v[230:231], v[52:53]
	v_fmac_f64_e32 v[212:213], v[214:215], v[52:53]
	v_add_f64 v[2:3], v[2:3], -v[228:229]
	s_waitcnt vmcnt(0)
	v_add_f64 v[208:209], v[208:209], -v[54:55]
	v_add_f64 v[210:211], v[210:211], -v[212:213]
	v_mov_b64_e32 v[54:55], v[222:223]
.LBB104_818:
	s_or_b64 exec, exec, s[0:1]
	v_lshl_add_u32 v212, v225, 4, v224
	s_barrier
	s_waitcnt vmcnt(13)
	ds_write2_b64 v212, v[48:49], v[50:51] offset1:1
	s_waitcnt lgkmcnt(0)
	s_barrier
	ds_read2_b64 v[212:215], v224 offset0:78 offset1:79
	s_cmp_lt_i32 s20, 41
	v_mov_b32_e32 v222, 39
	s_cbranch_scc1 .LBB104_821
; %bb.819:
	v_add_u32_e32 v223, 0x280, v224
	s_mov_b32 s16, 40
	v_mov_b32_e32 v222, 39
.LBB104_820:                            ; =>This Inner Loop Header: Depth=1
	ds_read2_b64 v[228:231], v223 offset1:1
	s_waitcnt lgkmcnt(1)
	v_xor_b32_e32 v233, 0x80000000, v213
	v_xor_b32_e32 v235, 0x80000000, v215
	v_cmp_gt_f64_e32 vcc, 0, v[214:215]
	v_cmp_gt_f64_e64 s[0:1], 0, v[212:213]
	v_mov_b32_e32 v232, v212
	v_mov_b32_e32 v234, v214
	v_cndmask_b32_e64 v233, v213, v233, s[0:1]
	v_cndmask_b32_e32 v235, v215, v235, vcc
	v_add_f64 v[232:233], v[232:233], v[234:235]
	s_waitcnt lgkmcnt(0)
	v_xor_b32_e32 v235, 0x80000000, v229
	v_xor_b32_e32 v237, 0x80000000, v231
	v_cmp_gt_f64_e32 vcc, 0, v[230:231]
	v_cmp_gt_f64_e64 s[0:1], 0, v[228:229]
	v_mov_b32_e32 v234, v228
	v_mov_b32_e32 v236, v230
	v_cndmask_b32_e64 v235, v229, v235, s[0:1]
	v_cndmask_b32_e32 v237, v231, v237, vcc
	v_add_f64 v[234:235], v[234:235], v[236:237]
	v_mov_b32_e32 v238, s16
	s_add_i32 s16, s16, 1
	v_cmp_lt_f64_e32 vcc, v[232:233], v[234:235]
	v_add_u32_e32 v223, 16, v223
	s_cmp_lg_u32 s20, s16
	v_cndmask_b32_e32 v213, v213, v229, vcc
	v_cndmask_b32_e32 v212, v212, v228, vcc
	;; [unrolled: 1-line block ×5, first 2 shown]
	s_cbranch_scc1 .LBB104_820
.LBB104_821:
	s_waitcnt lgkmcnt(0)
	v_cmp_eq_f64_e32 vcc, 0, v[212:213]
	v_cmp_eq_f64_e64 s[0:1], 0, v[214:215]
	s_and_b64 s[0:1], vcc, s[0:1]
	s_and_saveexec_b64 s[16:17], s[0:1]
	s_xor_b64 s[0:1], exec, s[16:17]
; %bb.822:
	v_cmp_ne_u32_e32 vcc, 0, v226
	s_nop 1
	v_cndmask_b32_e32 v226, 40, v226, vcc
; %bb.823:
	s_andn2_saveexec_b64 s[0:1], s[0:1]
	s_cbranch_execz .LBB104_829
; %bb.824:
	v_cmp_ngt_f64_e64 s[16:17], |v[212:213]|, |v[214:215]|
	s_and_saveexec_b64 s[18:19], s[16:17]
	s_xor_b64 s[16:17], exec, s[18:19]
	s_cbranch_execz .LBB104_826
; %bb.825:
	v_div_scale_f64 v[228:229], s[18:19], v[214:215], v[214:215], v[212:213]
	v_rcp_f64_e32 v[230:231], v[228:229]
	v_div_scale_f64 v[232:233], vcc, v[212:213], v[214:215], v[212:213]
	v_fma_f64 v[234:235], -v[228:229], v[230:231], 1.0
	v_fmac_f64_e32 v[230:231], v[230:231], v[234:235]
	v_fma_f64 v[234:235], -v[228:229], v[230:231], 1.0
	v_fmac_f64_e32 v[230:231], v[230:231], v[234:235]
	v_mul_f64 v[234:235], v[232:233], v[230:231]
	v_fma_f64 v[228:229], -v[228:229], v[234:235], v[232:233]
	v_div_fmas_f64 v[228:229], v[228:229], v[230:231], v[234:235]
	v_div_fixup_f64 v[228:229], v[228:229], v[214:215], v[212:213]
	v_fmac_f64_e32 v[214:215], v[212:213], v[228:229]
	v_div_scale_f64 v[212:213], s[18:19], v[214:215], v[214:215], 1.0
	v_rcp_f64_e32 v[230:231], v[212:213]
	s_nop 0
	v_fma_f64 v[232:233], -v[212:213], v[230:231], 1.0
	v_fmac_f64_e32 v[230:231], v[230:231], v[232:233]
	v_fma_f64 v[232:233], -v[212:213], v[230:231], 1.0
	v_fmac_f64_e32 v[230:231], v[230:231], v[232:233]
	v_div_scale_f64 v[232:233], vcc, 1.0, v[214:215], 1.0
	v_mul_f64 v[234:235], v[232:233], v[230:231]
	v_fma_f64 v[212:213], -v[212:213], v[234:235], v[232:233]
	s_nop 1
	v_div_fmas_f64 v[212:213], v[212:213], v[230:231], v[234:235]
	v_div_fixup_f64 v[214:215], v[212:213], v[214:215], 1.0
	v_mul_f64 v[212:213], v[228:229], v[214:215]
	v_xor_b32_e32 v215, 0x80000000, v215
.LBB104_826:
	s_andn2_saveexec_b64 s[16:17], s[16:17]
	s_cbranch_execz .LBB104_828
; %bb.827:
	v_div_scale_f64 v[228:229], s[18:19], v[212:213], v[212:213], v[214:215]
	v_rcp_f64_e32 v[230:231], v[228:229]
	v_div_scale_f64 v[232:233], vcc, v[214:215], v[212:213], v[214:215]
	v_fma_f64 v[234:235], -v[228:229], v[230:231], 1.0
	v_fmac_f64_e32 v[230:231], v[230:231], v[234:235]
	v_fma_f64 v[234:235], -v[228:229], v[230:231], 1.0
	v_fmac_f64_e32 v[230:231], v[230:231], v[234:235]
	v_mul_f64 v[234:235], v[232:233], v[230:231]
	v_fma_f64 v[228:229], -v[228:229], v[234:235], v[232:233]
	v_div_fmas_f64 v[228:229], v[228:229], v[230:231], v[234:235]
	v_div_fixup_f64 v[228:229], v[228:229], v[212:213], v[214:215]
	v_fmac_f64_e32 v[212:213], v[214:215], v[228:229]
	v_div_scale_f64 v[214:215], s[18:19], v[212:213], v[212:213], 1.0
	v_rcp_f64_e32 v[230:231], v[214:215]
	s_nop 0
	v_fma_f64 v[232:233], -v[214:215], v[230:231], 1.0
	v_fmac_f64_e32 v[230:231], v[230:231], v[232:233]
	v_fma_f64 v[232:233], -v[214:215], v[230:231], 1.0
	v_fmac_f64_e32 v[230:231], v[230:231], v[232:233]
	v_div_scale_f64 v[232:233], vcc, 1.0, v[212:213], 1.0
	v_mul_f64 v[234:235], v[232:233], v[230:231]
	v_fma_f64 v[214:215], -v[214:215], v[234:235], v[232:233]
	s_nop 1
	v_div_fmas_f64 v[214:215], v[214:215], v[230:231], v[234:235]
	v_div_fixup_f64 v[212:213], v[214:215], v[212:213], 1.0
	v_mul_f64 v[214:215], v[228:229], -v[212:213]
.LBB104_828:
	s_or_b64 exec, exec, s[16:17]
.LBB104_829:
	s_or_b64 exec, exec, s[0:1]
	v_cmp_ne_u32_e32 vcc, v225, v222
	s_and_saveexec_b64 s[0:1], vcc
	s_xor_b64 s[0:1], exec, s[0:1]
	s_cbranch_execz .LBB104_835
; %bb.830:
	v_cmp_eq_u32_e32 vcc, 39, v225
	s_and_saveexec_b64 s[16:17], vcc
	s_cbranch_execz .LBB104_834
; %bb.831:
	v_cmp_ne_u32_e32 vcc, 39, v222
	s_xor_b64 s[18:19], s[14:15], -1
	s_and_b64 s[22:23], s[18:19], vcc
	s_and_saveexec_b64 s[18:19], s[22:23]
	s_cbranch_execz .LBB104_833
; %bb.832:
	v_ashrrev_i32_e32 v223, 31, v222
	v_lshl_add_u64 v[228:229], v[222:223], 2, v[220:221]
	global_load_dword v223, v[228:229], off
	global_load_dword v225, v[220:221], off offset:156
	s_waitcnt vmcnt(1)
	global_store_dword v[220:221], v223, off offset:156
	s_waitcnt vmcnt(1)
	global_store_dword v[228:229], v225, off
.LBB104_833:
	s_or_b64 exec, exec, s[18:19]
	v_mov_b32_e32 v225, v222
	v_mov_b32_e32 v227, v222
.LBB104_834:
	s_or_b64 exec, exec, s[16:17]
.LBB104_835:
	s_andn2_saveexec_b64 s[0:1], s[0:1]
	s_cbranch_execz .LBB104_837
; %bb.836:
	v_mov_b32_e32 v225, 39
	s_waitcnt vmcnt(12)
	ds_write2_b64 v224, v[44:45], v[46:47] offset0:80 offset1:81
	s_waitcnt vmcnt(11)
	ds_write2_b64 v224, v[40:41], v[42:43] offset0:82 offset1:83
	;; [unrolled: 2-line block ×13, first 2 shown]
.LBB104_837:
	s_or_b64 exec, exec, s[0:1]
	v_cmp_lt_i32_e32 vcc, 39, v225
	s_waitcnt lgkmcnt(0)
	s_barrier
	s_and_saveexec_b64 s[0:1], vcc
	s_cbranch_execz .LBB104_839
; %bb.838:
	ds_read2_b64 v[228:231], v224 offset0:80 offset1:81
	v_mul_f64 v[222:223], v[212:213], v[50:51]
	v_fmac_f64_e32 v[222:223], v[214:215], v[48:49]
	v_mul_f64 v[50:51], v[214:215], v[50:51]
	v_fma_f64 v[48:49], v[212:213], v[48:49], -v[50:51]
	ds_read2_b64 v[212:215], v224 offset0:82 offset1:83
	s_waitcnt lgkmcnt(1)
	v_mul_f64 v[50:51], v[230:231], v[222:223]
	v_fma_f64 v[50:51], v[228:229], v[48:49], -v[50:51]
	v_mul_f64 v[228:229], v[228:229], v[222:223]
	v_fmac_f64_e32 v[228:229], v[230:231], v[48:49]
	s_waitcnt vmcnt(12)
	v_add_f64 v[46:47], v[46:47], -v[228:229]
	ds_read2_b64 v[228:231], v224 offset0:84 offset1:85
	v_add_f64 v[44:45], v[44:45], -v[50:51]
	s_waitcnt lgkmcnt(1)
	v_mul_f64 v[50:51], v[214:215], v[222:223]
	v_fma_f64 v[50:51], v[212:213], v[48:49], -v[50:51]
	v_mul_f64 v[212:213], v[212:213], v[222:223]
	v_fmac_f64_e32 v[212:213], v[214:215], v[48:49]
	s_waitcnt vmcnt(11)
	v_add_f64 v[40:41], v[40:41], -v[50:51]
	v_add_f64 v[42:43], v[42:43], -v[212:213]
	ds_read2_b64 v[212:215], v224 offset0:86 offset1:87
	s_waitcnt lgkmcnt(1)
	v_mul_f64 v[50:51], v[230:231], v[222:223]
	v_fma_f64 v[50:51], v[228:229], v[48:49], -v[50:51]
	v_mul_f64 v[228:229], v[228:229], v[222:223]
	v_fmac_f64_e32 v[228:229], v[230:231], v[48:49]
	s_waitcnt vmcnt(10)
	v_add_f64 v[38:39], v[38:39], -v[228:229]
	ds_read2_b64 v[228:231], v224 offset0:88 offset1:89
	v_add_f64 v[36:37], v[36:37], -v[50:51]
	s_waitcnt lgkmcnt(1)
	v_mul_f64 v[50:51], v[214:215], v[222:223]
	v_fma_f64 v[50:51], v[212:213], v[48:49], -v[50:51]
	v_mul_f64 v[212:213], v[212:213], v[222:223]
	v_fmac_f64_e32 v[212:213], v[214:215], v[48:49]
	s_waitcnt vmcnt(9)
	v_add_f64 v[32:33], v[32:33], -v[50:51]
	v_add_f64 v[34:35], v[34:35], -v[212:213]
	;; [unrolled: 18-line block ×6, first 2 shown]
	s_waitcnt lgkmcnt(0)
	v_mul_f64 v[50:51], v[230:231], v[222:223]
	v_mul_f64 v[212:213], v[228:229], v[222:223]
	v_fma_f64 v[50:51], v[228:229], v[48:49], -v[50:51]
	v_fmac_f64_e32 v[212:213], v[230:231], v[48:49]
	s_waitcnt vmcnt(0)
	v_add_f64 v[208:209], v[208:209], -v[50:51]
	v_add_f64 v[210:211], v[210:211], -v[212:213]
	v_mov_b64_e32 v[50:51], v[222:223]
.LBB104_839:
	s_or_b64 exec, exec, s[0:1]
	v_lshl_add_u32 v212, v225, 4, v224
	s_barrier
	s_waitcnt vmcnt(12)
	ds_write2_b64 v212, v[44:45], v[46:47] offset1:1
	s_waitcnt lgkmcnt(0)
	s_barrier
	ds_read2_b64 v[212:215], v224 offset0:80 offset1:81
	s_cmp_lt_i32 s20, 42
	v_mov_b32_e32 v222, 40
	s_cbranch_scc1 .LBB104_842
; %bb.840:
	v_add_u32_e32 v223, 0x290, v224
	s_mov_b32 s16, 41
	v_mov_b32_e32 v222, 40
.LBB104_841:                            ; =>This Inner Loop Header: Depth=1
	ds_read2_b64 v[228:231], v223 offset1:1
	s_waitcnt lgkmcnt(1)
	v_xor_b32_e32 v233, 0x80000000, v213
	v_xor_b32_e32 v235, 0x80000000, v215
	v_cmp_gt_f64_e32 vcc, 0, v[214:215]
	v_cmp_gt_f64_e64 s[0:1], 0, v[212:213]
	v_mov_b32_e32 v232, v212
	v_mov_b32_e32 v234, v214
	v_cndmask_b32_e64 v233, v213, v233, s[0:1]
	v_cndmask_b32_e32 v235, v215, v235, vcc
	v_add_f64 v[232:233], v[232:233], v[234:235]
	s_waitcnt lgkmcnt(0)
	v_xor_b32_e32 v235, 0x80000000, v229
	v_xor_b32_e32 v237, 0x80000000, v231
	v_cmp_gt_f64_e32 vcc, 0, v[230:231]
	v_cmp_gt_f64_e64 s[0:1], 0, v[228:229]
	v_mov_b32_e32 v234, v228
	v_mov_b32_e32 v236, v230
	v_cndmask_b32_e64 v235, v229, v235, s[0:1]
	v_cndmask_b32_e32 v237, v231, v237, vcc
	v_add_f64 v[234:235], v[234:235], v[236:237]
	v_mov_b32_e32 v238, s16
	s_add_i32 s16, s16, 1
	v_cmp_lt_f64_e32 vcc, v[232:233], v[234:235]
	v_add_u32_e32 v223, 16, v223
	s_cmp_lg_u32 s20, s16
	v_cndmask_b32_e32 v213, v213, v229, vcc
	v_cndmask_b32_e32 v212, v212, v228, vcc
	;; [unrolled: 1-line block ×5, first 2 shown]
	s_cbranch_scc1 .LBB104_841
.LBB104_842:
	s_waitcnt lgkmcnt(0)
	v_cmp_eq_f64_e32 vcc, 0, v[212:213]
	v_cmp_eq_f64_e64 s[0:1], 0, v[214:215]
	s_and_b64 s[0:1], vcc, s[0:1]
	s_and_saveexec_b64 s[16:17], s[0:1]
	s_xor_b64 s[0:1], exec, s[16:17]
; %bb.843:
	v_cmp_ne_u32_e32 vcc, 0, v226
	s_nop 1
	v_cndmask_b32_e32 v226, 41, v226, vcc
; %bb.844:
	s_andn2_saveexec_b64 s[0:1], s[0:1]
	s_cbranch_execz .LBB104_850
; %bb.845:
	v_cmp_ngt_f64_e64 s[16:17], |v[212:213]|, |v[214:215]|
	s_and_saveexec_b64 s[18:19], s[16:17]
	s_xor_b64 s[16:17], exec, s[18:19]
	s_cbranch_execz .LBB104_847
; %bb.846:
	v_div_scale_f64 v[228:229], s[18:19], v[214:215], v[214:215], v[212:213]
	v_rcp_f64_e32 v[230:231], v[228:229]
	v_div_scale_f64 v[232:233], vcc, v[212:213], v[214:215], v[212:213]
	v_fma_f64 v[234:235], -v[228:229], v[230:231], 1.0
	v_fmac_f64_e32 v[230:231], v[230:231], v[234:235]
	v_fma_f64 v[234:235], -v[228:229], v[230:231], 1.0
	v_fmac_f64_e32 v[230:231], v[230:231], v[234:235]
	v_mul_f64 v[234:235], v[232:233], v[230:231]
	v_fma_f64 v[228:229], -v[228:229], v[234:235], v[232:233]
	v_div_fmas_f64 v[228:229], v[228:229], v[230:231], v[234:235]
	v_div_fixup_f64 v[228:229], v[228:229], v[214:215], v[212:213]
	v_fmac_f64_e32 v[214:215], v[212:213], v[228:229]
	v_div_scale_f64 v[212:213], s[18:19], v[214:215], v[214:215], 1.0
	v_rcp_f64_e32 v[230:231], v[212:213]
	s_nop 0
	v_fma_f64 v[232:233], -v[212:213], v[230:231], 1.0
	v_fmac_f64_e32 v[230:231], v[230:231], v[232:233]
	v_fma_f64 v[232:233], -v[212:213], v[230:231], 1.0
	v_fmac_f64_e32 v[230:231], v[230:231], v[232:233]
	v_div_scale_f64 v[232:233], vcc, 1.0, v[214:215], 1.0
	v_mul_f64 v[234:235], v[232:233], v[230:231]
	v_fma_f64 v[212:213], -v[212:213], v[234:235], v[232:233]
	s_nop 1
	v_div_fmas_f64 v[212:213], v[212:213], v[230:231], v[234:235]
	v_div_fixup_f64 v[214:215], v[212:213], v[214:215], 1.0
	v_mul_f64 v[212:213], v[228:229], v[214:215]
	v_xor_b32_e32 v215, 0x80000000, v215
.LBB104_847:
	s_andn2_saveexec_b64 s[16:17], s[16:17]
	s_cbranch_execz .LBB104_849
; %bb.848:
	v_div_scale_f64 v[228:229], s[18:19], v[212:213], v[212:213], v[214:215]
	v_rcp_f64_e32 v[230:231], v[228:229]
	v_div_scale_f64 v[232:233], vcc, v[214:215], v[212:213], v[214:215]
	v_fma_f64 v[234:235], -v[228:229], v[230:231], 1.0
	v_fmac_f64_e32 v[230:231], v[230:231], v[234:235]
	v_fma_f64 v[234:235], -v[228:229], v[230:231], 1.0
	v_fmac_f64_e32 v[230:231], v[230:231], v[234:235]
	v_mul_f64 v[234:235], v[232:233], v[230:231]
	v_fma_f64 v[228:229], -v[228:229], v[234:235], v[232:233]
	v_div_fmas_f64 v[228:229], v[228:229], v[230:231], v[234:235]
	v_div_fixup_f64 v[228:229], v[228:229], v[212:213], v[214:215]
	v_fmac_f64_e32 v[212:213], v[214:215], v[228:229]
	v_div_scale_f64 v[214:215], s[18:19], v[212:213], v[212:213], 1.0
	v_rcp_f64_e32 v[230:231], v[214:215]
	s_nop 0
	v_fma_f64 v[232:233], -v[214:215], v[230:231], 1.0
	v_fmac_f64_e32 v[230:231], v[230:231], v[232:233]
	v_fma_f64 v[232:233], -v[214:215], v[230:231], 1.0
	v_fmac_f64_e32 v[230:231], v[230:231], v[232:233]
	v_div_scale_f64 v[232:233], vcc, 1.0, v[212:213], 1.0
	v_mul_f64 v[234:235], v[232:233], v[230:231]
	v_fma_f64 v[214:215], -v[214:215], v[234:235], v[232:233]
	s_nop 1
	v_div_fmas_f64 v[214:215], v[214:215], v[230:231], v[234:235]
	v_div_fixup_f64 v[212:213], v[214:215], v[212:213], 1.0
	v_mul_f64 v[214:215], v[228:229], -v[212:213]
.LBB104_849:
	s_or_b64 exec, exec, s[16:17]
.LBB104_850:
	s_or_b64 exec, exec, s[0:1]
	v_cmp_ne_u32_e32 vcc, v225, v222
	s_and_saveexec_b64 s[0:1], vcc
	s_xor_b64 s[0:1], exec, s[0:1]
	s_cbranch_execz .LBB104_856
; %bb.851:
	v_cmp_eq_u32_e32 vcc, 40, v225
	s_and_saveexec_b64 s[16:17], vcc
	s_cbranch_execz .LBB104_855
; %bb.852:
	v_cmp_ne_u32_e32 vcc, 40, v222
	s_xor_b64 s[18:19], s[14:15], -1
	s_and_b64 s[22:23], s[18:19], vcc
	s_and_saveexec_b64 s[18:19], s[22:23]
	s_cbranch_execz .LBB104_854
; %bb.853:
	v_ashrrev_i32_e32 v223, 31, v222
	v_lshl_add_u64 v[228:229], v[222:223], 2, v[220:221]
	global_load_dword v223, v[228:229], off
	global_load_dword v225, v[220:221], off offset:160
	s_waitcnt vmcnt(1)
	global_store_dword v[220:221], v223, off offset:160
	s_waitcnt vmcnt(1)
	global_store_dword v[228:229], v225, off
.LBB104_854:
	s_or_b64 exec, exec, s[18:19]
	v_mov_b32_e32 v225, v222
	v_mov_b32_e32 v227, v222
.LBB104_855:
	s_or_b64 exec, exec, s[16:17]
.LBB104_856:
	s_andn2_saveexec_b64 s[0:1], s[0:1]
	s_cbranch_execz .LBB104_858
; %bb.857:
	v_mov_b32_e32 v225, 40
	s_waitcnt vmcnt(11)
	ds_write2_b64 v224, v[40:41], v[42:43] offset0:82 offset1:83
	s_waitcnt vmcnt(10)
	ds_write2_b64 v224, v[36:37], v[38:39] offset0:84 offset1:85
	;; [unrolled: 2-line block ×12, first 2 shown]
.LBB104_858:
	s_or_b64 exec, exec, s[0:1]
	v_cmp_lt_i32_e32 vcc, 40, v225
	s_waitcnt lgkmcnt(0)
	s_barrier
	s_and_saveexec_b64 s[0:1], vcc
	s_cbranch_execz .LBB104_860
; %bb.859:
	ds_read2_b64 v[228:231], v224 offset0:82 offset1:83
	v_mul_f64 v[222:223], v[212:213], v[46:47]
	v_mul_f64 v[46:47], v[214:215], v[46:47]
	v_fmac_f64_e32 v[222:223], v[214:215], v[44:45]
	v_fma_f64 v[44:45], v[212:213], v[44:45], -v[46:47]
	ds_read2_b64 v[212:215], v224 offset0:84 offset1:85
	s_waitcnt lgkmcnt(1)
	v_mul_f64 v[46:47], v[230:231], v[222:223]
	v_fma_f64 v[46:47], v[228:229], v[44:45], -v[46:47]
	v_mul_f64 v[228:229], v[228:229], v[222:223]
	v_fmac_f64_e32 v[228:229], v[230:231], v[44:45]
	s_waitcnt vmcnt(11)
	v_add_f64 v[40:41], v[40:41], -v[46:47]
	s_waitcnt lgkmcnt(0)
	v_mul_f64 v[46:47], v[214:215], v[222:223]
	v_add_f64 v[42:43], v[42:43], -v[228:229]
	v_fma_f64 v[46:47], v[212:213], v[44:45], -v[46:47]
	v_mul_f64 v[212:213], v[212:213], v[222:223]
	ds_read2_b64 v[228:231], v224 offset0:86 offset1:87
	v_fmac_f64_e32 v[212:213], v[214:215], v[44:45]
	s_waitcnt vmcnt(10)
	v_add_f64 v[38:39], v[38:39], -v[212:213]
	ds_read2_b64 v[212:215], v224 offset0:88 offset1:89
	v_add_f64 v[36:37], v[36:37], -v[46:47]
	s_waitcnt lgkmcnt(1)
	v_mul_f64 v[46:47], v[230:231], v[222:223]
	v_fma_f64 v[46:47], v[228:229], v[44:45], -v[46:47]
	v_mul_f64 v[228:229], v[228:229], v[222:223]
	v_fmac_f64_e32 v[228:229], v[230:231], v[44:45]
	s_waitcnt vmcnt(9)
	v_add_f64 v[32:33], v[32:33], -v[46:47]
	s_waitcnt lgkmcnt(0)
	v_mul_f64 v[46:47], v[214:215], v[222:223]
	v_add_f64 v[34:35], v[34:35], -v[228:229]
	v_fma_f64 v[46:47], v[212:213], v[44:45], -v[46:47]
	v_mul_f64 v[212:213], v[212:213], v[222:223]
	ds_read2_b64 v[228:231], v224 offset0:90 offset1:91
	v_fmac_f64_e32 v[212:213], v[214:215], v[44:45]
	s_waitcnt vmcnt(8)
	v_add_f64 v[30:31], v[30:31], -v[212:213]
	ds_read2_b64 v[212:215], v224 offset0:92 offset1:93
	v_add_f64 v[28:29], v[28:29], -v[46:47]
	;; [unrolled: 18-line block ×5, first 2 shown]
	s_waitcnt lgkmcnt(1)
	v_mul_f64 v[46:47], v[230:231], v[222:223]
	v_fma_f64 v[46:47], v[228:229], v[44:45], -v[46:47]
	s_waitcnt vmcnt(1)
	v_add_f64 v[0:1], v[0:1], -v[46:47]
	s_waitcnt lgkmcnt(0)
	v_mul_f64 v[46:47], v[214:215], v[222:223]
	v_mul_f64 v[228:229], v[228:229], v[222:223]
	v_fma_f64 v[46:47], v[212:213], v[44:45], -v[46:47]
	v_mul_f64 v[212:213], v[212:213], v[222:223]
	v_fmac_f64_e32 v[228:229], v[230:231], v[44:45]
	v_fmac_f64_e32 v[212:213], v[214:215], v[44:45]
	v_add_f64 v[2:3], v[2:3], -v[228:229]
	s_waitcnt vmcnt(0)
	v_add_f64 v[208:209], v[208:209], -v[46:47]
	v_add_f64 v[210:211], v[210:211], -v[212:213]
	v_mov_b64_e32 v[46:47], v[222:223]
.LBB104_860:
	s_or_b64 exec, exec, s[0:1]
	v_lshl_add_u32 v212, v225, 4, v224
	s_barrier
	s_waitcnt vmcnt(11)
	ds_write2_b64 v212, v[40:41], v[42:43] offset1:1
	s_waitcnt lgkmcnt(0)
	s_barrier
	ds_read2_b64 v[212:215], v224 offset0:82 offset1:83
	s_cmp_lt_i32 s20, 43
	v_mov_b32_e32 v222, 41
	s_cbranch_scc1 .LBB104_863
; %bb.861:
	v_add_u32_e32 v223, 0x2a0, v224
	s_mov_b32 s16, 42
	v_mov_b32_e32 v222, 41
.LBB104_862:                            ; =>This Inner Loop Header: Depth=1
	ds_read2_b64 v[228:231], v223 offset1:1
	s_waitcnt lgkmcnt(1)
	v_xor_b32_e32 v233, 0x80000000, v213
	v_xor_b32_e32 v235, 0x80000000, v215
	v_cmp_gt_f64_e32 vcc, 0, v[214:215]
	v_cmp_gt_f64_e64 s[0:1], 0, v[212:213]
	v_mov_b32_e32 v232, v212
	v_mov_b32_e32 v234, v214
	v_cndmask_b32_e64 v233, v213, v233, s[0:1]
	v_cndmask_b32_e32 v235, v215, v235, vcc
	v_add_f64 v[232:233], v[232:233], v[234:235]
	s_waitcnt lgkmcnt(0)
	v_xor_b32_e32 v235, 0x80000000, v229
	v_xor_b32_e32 v237, 0x80000000, v231
	v_cmp_gt_f64_e32 vcc, 0, v[230:231]
	v_cmp_gt_f64_e64 s[0:1], 0, v[228:229]
	v_mov_b32_e32 v234, v228
	v_mov_b32_e32 v236, v230
	v_cndmask_b32_e64 v235, v229, v235, s[0:1]
	v_cndmask_b32_e32 v237, v231, v237, vcc
	v_add_f64 v[234:235], v[234:235], v[236:237]
	v_mov_b32_e32 v238, s16
	s_add_i32 s16, s16, 1
	v_cmp_lt_f64_e32 vcc, v[232:233], v[234:235]
	v_add_u32_e32 v223, 16, v223
	s_cmp_lg_u32 s20, s16
	v_cndmask_b32_e32 v213, v213, v229, vcc
	v_cndmask_b32_e32 v212, v212, v228, vcc
	;; [unrolled: 1-line block ×5, first 2 shown]
	s_cbranch_scc1 .LBB104_862
.LBB104_863:
	s_waitcnt lgkmcnt(0)
	v_cmp_eq_f64_e32 vcc, 0, v[212:213]
	v_cmp_eq_f64_e64 s[0:1], 0, v[214:215]
	s_and_b64 s[0:1], vcc, s[0:1]
	s_and_saveexec_b64 s[16:17], s[0:1]
	s_xor_b64 s[0:1], exec, s[16:17]
; %bb.864:
	v_cmp_ne_u32_e32 vcc, 0, v226
	s_nop 1
	v_cndmask_b32_e32 v226, 42, v226, vcc
; %bb.865:
	s_andn2_saveexec_b64 s[0:1], s[0:1]
	s_cbranch_execz .LBB104_871
; %bb.866:
	v_cmp_ngt_f64_e64 s[16:17], |v[212:213]|, |v[214:215]|
	s_and_saveexec_b64 s[18:19], s[16:17]
	s_xor_b64 s[16:17], exec, s[18:19]
	s_cbranch_execz .LBB104_868
; %bb.867:
	v_div_scale_f64 v[228:229], s[18:19], v[214:215], v[214:215], v[212:213]
	v_rcp_f64_e32 v[230:231], v[228:229]
	v_div_scale_f64 v[232:233], vcc, v[212:213], v[214:215], v[212:213]
	v_fma_f64 v[234:235], -v[228:229], v[230:231], 1.0
	v_fmac_f64_e32 v[230:231], v[230:231], v[234:235]
	v_fma_f64 v[234:235], -v[228:229], v[230:231], 1.0
	v_fmac_f64_e32 v[230:231], v[230:231], v[234:235]
	v_mul_f64 v[234:235], v[232:233], v[230:231]
	v_fma_f64 v[228:229], -v[228:229], v[234:235], v[232:233]
	v_div_fmas_f64 v[228:229], v[228:229], v[230:231], v[234:235]
	v_div_fixup_f64 v[228:229], v[228:229], v[214:215], v[212:213]
	v_fmac_f64_e32 v[214:215], v[212:213], v[228:229]
	v_div_scale_f64 v[212:213], s[18:19], v[214:215], v[214:215], 1.0
	v_rcp_f64_e32 v[230:231], v[212:213]
	s_nop 0
	v_fma_f64 v[232:233], -v[212:213], v[230:231], 1.0
	v_fmac_f64_e32 v[230:231], v[230:231], v[232:233]
	v_fma_f64 v[232:233], -v[212:213], v[230:231], 1.0
	v_fmac_f64_e32 v[230:231], v[230:231], v[232:233]
	v_div_scale_f64 v[232:233], vcc, 1.0, v[214:215], 1.0
	v_mul_f64 v[234:235], v[232:233], v[230:231]
	v_fma_f64 v[212:213], -v[212:213], v[234:235], v[232:233]
	s_nop 1
	v_div_fmas_f64 v[212:213], v[212:213], v[230:231], v[234:235]
	v_div_fixup_f64 v[214:215], v[212:213], v[214:215], 1.0
	v_mul_f64 v[212:213], v[228:229], v[214:215]
	v_xor_b32_e32 v215, 0x80000000, v215
.LBB104_868:
	s_andn2_saveexec_b64 s[16:17], s[16:17]
	s_cbranch_execz .LBB104_870
; %bb.869:
	v_div_scale_f64 v[228:229], s[18:19], v[212:213], v[212:213], v[214:215]
	v_rcp_f64_e32 v[230:231], v[228:229]
	v_div_scale_f64 v[232:233], vcc, v[214:215], v[212:213], v[214:215]
	v_fma_f64 v[234:235], -v[228:229], v[230:231], 1.0
	v_fmac_f64_e32 v[230:231], v[230:231], v[234:235]
	v_fma_f64 v[234:235], -v[228:229], v[230:231], 1.0
	v_fmac_f64_e32 v[230:231], v[230:231], v[234:235]
	v_mul_f64 v[234:235], v[232:233], v[230:231]
	v_fma_f64 v[228:229], -v[228:229], v[234:235], v[232:233]
	v_div_fmas_f64 v[228:229], v[228:229], v[230:231], v[234:235]
	v_div_fixup_f64 v[228:229], v[228:229], v[212:213], v[214:215]
	v_fmac_f64_e32 v[212:213], v[214:215], v[228:229]
	v_div_scale_f64 v[214:215], s[18:19], v[212:213], v[212:213], 1.0
	v_rcp_f64_e32 v[230:231], v[214:215]
	s_nop 0
	v_fma_f64 v[232:233], -v[214:215], v[230:231], 1.0
	v_fmac_f64_e32 v[230:231], v[230:231], v[232:233]
	v_fma_f64 v[232:233], -v[214:215], v[230:231], 1.0
	v_fmac_f64_e32 v[230:231], v[230:231], v[232:233]
	v_div_scale_f64 v[232:233], vcc, 1.0, v[212:213], 1.0
	v_mul_f64 v[234:235], v[232:233], v[230:231]
	v_fma_f64 v[214:215], -v[214:215], v[234:235], v[232:233]
	s_nop 1
	v_div_fmas_f64 v[214:215], v[214:215], v[230:231], v[234:235]
	v_div_fixup_f64 v[212:213], v[214:215], v[212:213], 1.0
	v_mul_f64 v[214:215], v[228:229], -v[212:213]
.LBB104_870:
	s_or_b64 exec, exec, s[16:17]
.LBB104_871:
	s_or_b64 exec, exec, s[0:1]
	v_cmp_ne_u32_e32 vcc, v225, v222
	s_and_saveexec_b64 s[0:1], vcc
	s_xor_b64 s[0:1], exec, s[0:1]
	s_cbranch_execz .LBB104_877
; %bb.872:
	v_cmp_eq_u32_e32 vcc, 41, v225
	s_and_saveexec_b64 s[16:17], vcc
	s_cbranch_execz .LBB104_876
; %bb.873:
	v_cmp_ne_u32_e32 vcc, 41, v222
	s_xor_b64 s[18:19], s[14:15], -1
	s_and_b64 s[22:23], s[18:19], vcc
	s_and_saveexec_b64 s[18:19], s[22:23]
	s_cbranch_execz .LBB104_875
; %bb.874:
	v_ashrrev_i32_e32 v223, 31, v222
	v_lshl_add_u64 v[228:229], v[222:223], 2, v[220:221]
	global_load_dword v223, v[228:229], off
	global_load_dword v225, v[220:221], off offset:164
	s_waitcnt vmcnt(1)
	global_store_dword v[220:221], v223, off offset:164
	s_waitcnt vmcnt(1)
	global_store_dword v[228:229], v225, off
.LBB104_875:
	s_or_b64 exec, exec, s[18:19]
	v_mov_b32_e32 v225, v222
	v_mov_b32_e32 v227, v222
.LBB104_876:
	s_or_b64 exec, exec, s[16:17]
.LBB104_877:
	s_andn2_saveexec_b64 s[0:1], s[0:1]
	s_cbranch_execz .LBB104_879
; %bb.878:
	v_mov_b32_e32 v225, 41
	s_waitcnt vmcnt(10)
	ds_write2_b64 v224, v[36:37], v[38:39] offset0:84 offset1:85
	s_waitcnt vmcnt(9)
	ds_write2_b64 v224, v[32:33], v[34:35] offset0:86 offset1:87
	;; [unrolled: 2-line block ×11, first 2 shown]
.LBB104_879:
	s_or_b64 exec, exec, s[0:1]
	v_cmp_lt_i32_e32 vcc, 41, v225
	s_waitcnt lgkmcnt(0)
	s_barrier
	s_and_saveexec_b64 s[0:1], vcc
	s_cbranch_execz .LBB104_881
; %bb.880:
	ds_read2_b64 v[228:231], v224 offset0:84 offset1:85
	v_mul_f64 v[222:223], v[212:213], v[42:43]
	v_fmac_f64_e32 v[222:223], v[214:215], v[40:41]
	v_mul_f64 v[42:43], v[214:215], v[42:43]
	v_fma_f64 v[40:41], v[212:213], v[40:41], -v[42:43]
	ds_read2_b64 v[212:215], v224 offset0:86 offset1:87
	s_waitcnt lgkmcnt(1)
	v_mul_f64 v[42:43], v[230:231], v[222:223]
	v_fma_f64 v[42:43], v[228:229], v[40:41], -v[42:43]
	v_mul_f64 v[228:229], v[228:229], v[222:223]
	v_fmac_f64_e32 v[228:229], v[230:231], v[40:41]
	s_waitcnt vmcnt(10)
	v_add_f64 v[38:39], v[38:39], -v[228:229]
	ds_read2_b64 v[228:231], v224 offset0:88 offset1:89
	v_add_f64 v[36:37], v[36:37], -v[42:43]
	s_waitcnt lgkmcnt(1)
	v_mul_f64 v[42:43], v[214:215], v[222:223]
	v_fma_f64 v[42:43], v[212:213], v[40:41], -v[42:43]
	v_mul_f64 v[212:213], v[212:213], v[222:223]
	v_fmac_f64_e32 v[212:213], v[214:215], v[40:41]
	s_waitcnt vmcnt(9)
	v_add_f64 v[32:33], v[32:33], -v[42:43]
	v_add_f64 v[34:35], v[34:35], -v[212:213]
	ds_read2_b64 v[212:215], v224 offset0:90 offset1:91
	s_waitcnt lgkmcnt(1)
	v_mul_f64 v[42:43], v[230:231], v[222:223]
	v_fma_f64 v[42:43], v[228:229], v[40:41], -v[42:43]
	v_mul_f64 v[228:229], v[228:229], v[222:223]
	v_fmac_f64_e32 v[228:229], v[230:231], v[40:41]
	s_waitcnt vmcnt(8)
	v_add_f64 v[30:31], v[30:31], -v[228:229]
	ds_read2_b64 v[228:231], v224 offset0:92 offset1:93
	v_add_f64 v[28:29], v[28:29], -v[42:43]
	s_waitcnt lgkmcnt(1)
	v_mul_f64 v[42:43], v[214:215], v[222:223]
	v_fma_f64 v[42:43], v[212:213], v[40:41], -v[42:43]
	v_mul_f64 v[212:213], v[212:213], v[222:223]
	v_fmac_f64_e32 v[212:213], v[214:215], v[40:41]
	s_waitcnt vmcnt(7)
	v_add_f64 v[24:25], v[24:25], -v[42:43]
	v_add_f64 v[26:27], v[26:27], -v[212:213]
	;; [unrolled: 18-line block ×5, first 2 shown]
	s_waitcnt lgkmcnt(0)
	v_mul_f64 v[42:43], v[230:231], v[222:223]
	v_mul_f64 v[212:213], v[228:229], v[222:223]
	v_fma_f64 v[42:43], v[228:229], v[40:41], -v[42:43]
	v_fmac_f64_e32 v[212:213], v[230:231], v[40:41]
	s_waitcnt vmcnt(0)
	v_add_f64 v[208:209], v[208:209], -v[42:43]
	v_add_f64 v[210:211], v[210:211], -v[212:213]
	v_mov_b64_e32 v[42:43], v[222:223]
.LBB104_881:
	s_or_b64 exec, exec, s[0:1]
	v_lshl_add_u32 v212, v225, 4, v224
	s_barrier
	s_waitcnt vmcnt(10)
	ds_write2_b64 v212, v[36:37], v[38:39] offset1:1
	s_waitcnt lgkmcnt(0)
	s_barrier
	ds_read2_b64 v[212:215], v224 offset0:84 offset1:85
	s_cmp_lt_i32 s20, 44
	v_mov_b32_e32 v222, 42
	s_cbranch_scc1 .LBB104_884
; %bb.882:
	v_add_u32_e32 v223, 0x2b0, v224
	s_mov_b32 s16, 43
	v_mov_b32_e32 v222, 42
.LBB104_883:                            ; =>This Inner Loop Header: Depth=1
	ds_read2_b64 v[228:231], v223 offset1:1
	s_waitcnt lgkmcnt(1)
	v_xor_b32_e32 v233, 0x80000000, v213
	v_xor_b32_e32 v235, 0x80000000, v215
	v_cmp_gt_f64_e32 vcc, 0, v[214:215]
	v_cmp_gt_f64_e64 s[0:1], 0, v[212:213]
	v_mov_b32_e32 v232, v212
	v_mov_b32_e32 v234, v214
	v_cndmask_b32_e64 v233, v213, v233, s[0:1]
	v_cndmask_b32_e32 v235, v215, v235, vcc
	v_add_f64 v[232:233], v[232:233], v[234:235]
	s_waitcnt lgkmcnt(0)
	v_xor_b32_e32 v235, 0x80000000, v229
	v_xor_b32_e32 v237, 0x80000000, v231
	v_cmp_gt_f64_e32 vcc, 0, v[230:231]
	v_cmp_gt_f64_e64 s[0:1], 0, v[228:229]
	v_mov_b32_e32 v234, v228
	v_mov_b32_e32 v236, v230
	v_cndmask_b32_e64 v235, v229, v235, s[0:1]
	v_cndmask_b32_e32 v237, v231, v237, vcc
	v_add_f64 v[234:235], v[234:235], v[236:237]
	v_mov_b32_e32 v238, s16
	s_add_i32 s16, s16, 1
	v_cmp_lt_f64_e32 vcc, v[232:233], v[234:235]
	v_add_u32_e32 v223, 16, v223
	s_cmp_lg_u32 s20, s16
	v_cndmask_b32_e32 v213, v213, v229, vcc
	v_cndmask_b32_e32 v212, v212, v228, vcc
	;; [unrolled: 1-line block ×5, first 2 shown]
	s_cbranch_scc1 .LBB104_883
.LBB104_884:
	s_waitcnt lgkmcnt(0)
	v_cmp_eq_f64_e32 vcc, 0, v[212:213]
	v_cmp_eq_f64_e64 s[0:1], 0, v[214:215]
	s_and_b64 s[0:1], vcc, s[0:1]
	s_and_saveexec_b64 s[16:17], s[0:1]
	s_xor_b64 s[0:1], exec, s[16:17]
; %bb.885:
	v_cmp_ne_u32_e32 vcc, 0, v226
	s_nop 1
	v_cndmask_b32_e32 v226, 43, v226, vcc
; %bb.886:
	s_andn2_saveexec_b64 s[0:1], s[0:1]
	s_cbranch_execz .LBB104_892
; %bb.887:
	v_cmp_ngt_f64_e64 s[16:17], |v[212:213]|, |v[214:215]|
	s_and_saveexec_b64 s[18:19], s[16:17]
	s_xor_b64 s[16:17], exec, s[18:19]
	s_cbranch_execz .LBB104_889
; %bb.888:
	v_div_scale_f64 v[228:229], s[18:19], v[214:215], v[214:215], v[212:213]
	v_rcp_f64_e32 v[230:231], v[228:229]
	v_div_scale_f64 v[232:233], vcc, v[212:213], v[214:215], v[212:213]
	v_fma_f64 v[234:235], -v[228:229], v[230:231], 1.0
	v_fmac_f64_e32 v[230:231], v[230:231], v[234:235]
	v_fma_f64 v[234:235], -v[228:229], v[230:231], 1.0
	v_fmac_f64_e32 v[230:231], v[230:231], v[234:235]
	v_mul_f64 v[234:235], v[232:233], v[230:231]
	v_fma_f64 v[228:229], -v[228:229], v[234:235], v[232:233]
	v_div_fmas_f64 v[228:229], v[228:229], v[230:231], v[234:235]
	v_div_fixup_f64 v[228:229], v[228:229], v[214:215], v[212:213]
	v_fmac_f64_e32 v[214:215], v[212:213], v[228:229]
	v_div_scale_f64 v[212:213], s[18:19], v[214:215], v[214:215], 1.0
	v_rcp_f64_e32 v[230:231], v[212:213]
	s_nop 0
	v_fma_f64 v[232:233], -v[212:213], v[230:231], 1.0
	v_fmac_f64_e32 v[230:231], v[230:231], v[232:233]
	v_fma_f64 v[232:233], -v[212:213], v[230:231], 1.0
	v_fmac_f64_e32 v[230:231], v[230:231], v[232:233]
	v_div_scale_f64 v[232:233], vcc, 1.0, v[214:215], 1.0
	v_mul_f64 v[234:235], v[232:233], v[230:231]
	v_fma_f64 v[212:213], -v[212:213], v[234:235], v[232:233]
	s_nop 1
	v_div_fmas_f64 v[212:213], v[212:213], v[230:231], v[234:235]
	v_div_fixup_f64 v[214:215], v[212:213], v[214:215], 1.0
	v_mul_f64 v[212:213], v[228:229], v[214:215]
	v_xor_b32_e32 v215, 0x80000000, v215
.LBB104_889:
	s_andn2_saveexec_b64 s[16:17], s[16:17]
	s_cbranch_execz .LBB104_891
; %bb.890:
	v_div_scale_f64 v[228:229], s[18:19], v[212:213], v[212:213], v[214:215]
	v_rcp_f64_e32 v[230:231], v[228:229]
	v_div_scale_f64 v[232:233], vcc, v[214:215], v[212:213], v[214:215]
	v_fma_f64 v[234:235], -v[228:229], v[230:231], 1.0
	v_fmac_f64_e32 v[230:231], v[230:231], v[234:235]
	v_fma_f64 v[234:235], -v[228:229], v[230:231], 1.0
	v_fmac_f64_e32 v[230:231], v[230:231], v[234:235]
	v_mul_f64 v[234:235], v[232:233], v[230:231]
	v_fma_f64 v[228:229], -v[228:229], v[234:235], v[232:233]
	v_div_fmas_f64 v[228:229], v[228:229], v[230:231], v[234:235]
	v_div_fixup_f64 v[228:229], v[228:229], v[212:213], v[214:215]
	v_fmac_f64_e32 v[212:213], v[214:215], v[228:229]
	v_div_scale_f64 v[214:215], s[18:19], v[212:213], v[212:213], 1.0
	v_rcp_f64_e32 v[230:231], v[214:215]
	s_nop 0
	v_fma_f64 v[232:233], -v[214:215], v[230:231], 1.0
	v_fmac_f64_e32 v[230:231], v[230:231], v[232:233]
	v_fma_f64 v[232:233], -v[214:215], v[230:231], 1.0
	v_fmac_f64_e32 v[230:231], v[230:231], v[232:233]
	v_div_scale_f64 v[232:233], vcc, 1.0, v[212:213], 1.0
	v_mul_f64 v[234:235], v[232:233], v[230:231]
	v_fma_f64 v[214:215], -v[214:215], v[234:235], v[232:233]
	s_nop 1
	v_div_fmas_f64 v[214:215], v[214:215], v[230:231], v[234:235]
	v_div_fixup_f64 v[212:213], v[214:215], v[212:213], 1.0
	v_mul_f64 v[214:215], v[228:229], -v[212:213]
.LBB104_891:
	s_or_b64 exec, exec, s[16:17]
.LBB104_892:
	s_or_b64 exec, exec, s[0:1]
	v_cmp_ne_u32_e32 vcc, v225, v222
	s_and_saveexec_b64 s[0:1], vcc
	s_xor_b64 s[0:1], exec, s[0:1]
	s_cbranch_execz .LBB104_898
; %bb.893:
	v_cmp_eq_u32_e32 vcc, 42, v225
	s_and_saveexec_b64 s[16:17], vcc
	s_cbranch_execz .LBB104_897
; %bb.894:
	v_cmp_ne_u32_e32 vcc, 42, v222
	s_xor_b64 s[18:19], s[14:15], -1
	s_and_b64 s[22:23], s[18:19], vcc
	s_and_saveexec_b64 s[18:19], s[22:23]
	s_cbranch_execz .LBB104_896
; %bb.895:
	v_ashrrev_i32_e32 v223, 31, v222
	v_lshl_add_u64 v[228:229], v[222:223], 2, v[220:221]
	global_load_dword v223, v[228:229], off
	global_load_dword v225, v[220:221], off offset:168
	s_waitcnt vmcnt(1)
	global_store_dword v[220:221], v223, off offset:168
	s_waitcnt vmcnt(1)
	global_store_dword v[228:229], v225, off
.LBB104_896:
	s_or_b64 exec, exec, s[18:19]
	v_mov_b32_e32 v225, v222
	v_mov_b32_e32 v227, v222
.LBB104_897:
	s_or_b64 exec, exec, s[16:17]
.LBB104_898:
	s_andn2_saveexec_b64 s[0:1], s[0:1]
	s_cbranch_execz .LBB104_900
; %bb.899:
	v_mov_b32_e32 v225, 42
	s_waitcnt vmcnt(9)
	ds_write2_b64 v224, v[32:33], v[34:35] offset0:86 offset1:87
	s_waitcnt vmcnt(8)
	ds_write2_b64 v224, v[28:29], v[30:31] offset0:88 offset1:89
	;; [unrolled: 2-line block ×10, first 2 shown]
.LBB104_900:
	s_or_b64 exec, exec, s[0:1]
	v_cmp_lt_i32_e32 vcc, 42, v225
	s_waitcnt lgkmcnt(0)
	s_barrier
	s_and_saveexec_b64 s[0:1], vcc
	s_cbranch_execz .LBB104_902
; %bb.901:
	ds_read2_b64 v[228:231], v224 offset0:86 offset1:87
	v_mul_f64 v[222:223], v[212:213], v[38:39]
	v_mul_f64 v[38:39], v[214:215], v[38:39]
	v_fmac_f64_e32 v[222:223], v[214:215], v[36:37]
	v_fma_f64 v[36:37], v[212:213], v[36:37], -v[38:39]
	ds_read2_b64 v[212:215], v224 offset0:88 offset1:89
	s_waitcnt lgkmcnt(1)
	v_mul_f64 v[38:39], v[230:231], v[222:223]
	v_fma_f64 v[38:39], v[228:229], v[36:37], -v[38:39]
	v_mul_f64 v[228:229], v[228:229], v[222:223]
	v_fmac_f64_e32 v[228:229], v[230:231], v[36:37]
	s_waitcnt vmcnt(9)
	v_add_f64 v[32:33], v[32:33], -v[38:39]
	s_waitcnt lgkmcnt(0)
	v_mul_f64 v[38:39], v[214:215], v[222:223]
	v_add_f64 v[34:35], v[34:35], -v[228:229]
	v_fma_f64 v[38:39], v[212:213], v[36:37], -v[38:39]
	v_mul_f64 v[212:213], v[212:213], v[222:223]
	ds_read2_b64 v[228:231], v224 offset0:90 offset1:91
	v_fmac_f64_e32 v[212:213], v[214:215], v[36:37]
	s_waitcnt vmcnt(8)
	v_add_f64 v[30:31], v[30:31], -v[212:213]
	ds_read2_b64 v[212:215], v224 offset0:92 offset1:93
	v_add_f64 v[28:29], v[28:29], -v[38:39]
	s_waitcnt lgkmcnt(1)
	v_mul_f64 v[38:39], v[230:231], v[222:223]
	v_fma_f64 v[38:39], v[228:229], v[36:37], -v[38:39]
	v_mul_f64 v[228:229], v[228:229], v[222:223]
	v_fmac_f64_e32 v[228:229], v[230:231], v[36:37]
	s_waitcnt vmcnt(7)
	v_add_f64 v[24:25], v[24:25], -v[38:39]
	s_waitcnt lgkmcnt(0)
	v_mul_f64 v[38:39], v[214:215], v[222:223]
	v_add_f64 v[26:27], v[26:27], -v[228:229]
	v_fma_f64 v[38:39], v[212:213], v[36:37], -v[38:39]
	v_mul_f64 v[212:213], v[212:213], v[222:223]
	ds_read2_b64 v[228:231], v224 offset0:94 offset1:95
	v_fmac_f64_e32 v[212:213], v[214:215], v[36:37]
	s_waitcnt vmcnt(6)
	v_add_f64 v[22:23], v[22:23], -v[212:213]
	ds_read2_b64 v[212:215], v224 offset0:96 offset1:97
	v_add_f64 v[20:21], v[20:21], -v[38:39]
	;; [unrolled: 18-line block ×4, first 2 shown]
	s_waitcnt lgkmcnt(1)
	v_mul_f64 v[38:39], v[230:231], v[222:223]
	v_fma_f64 v[38:39], v[228:229], v[36:37], -v[38:39]
	s_waitcnt vmcnt(1)
	v_add_f64 v[0:1], v[0:1], -v[38:39]
	s_waitcnt lgkmcnt(0)
	v_mul_f64 v[38:39], v[214:215], v[222:223]
	v_mul_f64 v[228:229], v[228:229], v[222:223]
	v_fma_f64 v[38:39], v[212:213], v[36:37], -v[38:39]
	v_mul_f64 v[212:213], v[212:213], v[222:223]
	v_fmac_f64_e32 v[228:229], v[230:231], v[36:37]
	v_fmac_f64_e32 v[212:213], v[214:215], v[36:37]
	v_add_f64 v[2:3], v[2:3], -v[228:229]
	s_waitcnt vmcnt(0)
	v_add_f64 v[208:209], v[208:209], -v[38:39]
	v_add_f64 v[210:211], v[210:211], -v[212:213]
	v_mov_b64_e32 v[38:39], v[222:223]
.LBB104_902:
	s_or_b64 exec, exec, s[0:1]
	v_lshl_add_u32 v212, v225, 4, v224
	s_barrier
	s_waitcnt vmcnt(9)
	ds_write2_b64 v212, v[32:33], v[34:35] offset1:1
	s_waitcnt lgkmcnt(0)
	s_barrier
	ds_read2_b64 v[212:215], v224 offset0:86 offset1:87
	s_cmp_lt_i32 s20, 45
	v_mov_b32_e32 v222, 43
	s_cbranch_scc1 .LBB104_905
; %bb.903:
	v_add_u32_e32 v223, 0x2c0, v224
	s_mov_b32 s16, 44
	v_mov_b32_e32 v222, 43
.LBB104_904:                            ; =>This Inner Loop Header: Depth=1
	ds_read2_b64 v[228:231], v223 offset1:1
	s_waitcnt lgkmcnt(1)
	v_xor_b32_e32 v233, 0x80000000, v213
	v_xor_b32_e32 v235, 0x80000000, v215
	v_cmp_gt_f64_e32 vcc, 0, v[214:215]
	v_cmp_gt_f64_e64 s[0:1], 0, v[212:213]
	v_mov_b32_e32 v232, v212
	v_mov_b32_e32 v234, v214
	v_cndmask_b32_e64 v233, v213, v233, s[0:1]
	v_cndmask_b32_e32 v235, v215, v235, vcc
	v_add_f64 v[232:233], v[232:233], v[234:235]
	s_waitcnt lgkmcnt(0)
	v_xor_b32_e32 v235, 0x80000000, v229
	v_xor_b32_e32 v237, 0x80000000, v231
	v_cmp_gt_f64_e32 vcc, 0, v[230:231]
	v_cmp_gt_f64_e64 s[0:1], 0, v[228:229]
	v_mov_b32_e32 v234, v228
	v_mov_b32_e32 v236, v230
	v_cndmask_b32_e64 v235, v229, v235, s[0:1]
	v_cndmask_b32_e32 v237, v231, v237, vcc
	v_add_f64 v[234:235], v[234:235], v[236:237]
	v_mov_b32_e32 v238, s16
	s_add_i32 s16, s16, 1
	v_cmp_lt_f64_e32 vcc, v[232:233], v[234:235]
	v_add_u32_e32 v223, 16, v223
	s_cmp_lg_u32 s20, s16
	v_cndmask_b32_e32 v213, v213, v229, vcc
	v_cndmask_b32_e32 v212, v212, v228, vcc
	;; [unrolled: 1-line block ×5, first 2 shown]
	s_cbranch_scc1 .LBB104_904
.LBB104_905:
	s_waitcnt lgkmcnt(0)
	v_cmp_eq_f64_e32 vcc, 0, v[212:213]
	v_cmp_eq_f64_e64 s[0:1], 0, v[214:215]
	s_and_b64 s[0:1], vcc, s[0:1]
	s_and_saveexec_b64 s[16:17], s[0:1]
	s_xor_b64 s[0:1], exec, s[16:17]
; %bb.906:
	v_cmp_ne_u32_e32 vcc, 0, v226
	s_nop 1
	v_cndmask_b32_e32 v226, 44, v226, vcc
; %bb.907:
	s_andn2_saveexec_b64 s[0:1], s[0:1]
	s_cbranch_execz .LBB104_913
; %bb.908:
	v_cmp_ngt_f64_e64 s[16:17], |v[212:213]|, |v[214:215]|
	s_and_saveexec_b64 s[18:19], s[16:17]
	s_xor_b64 s[16:17], exec, s[18:19]
	s_cbranch_execz .LBB104_910
; %bb.909:
	v_div_scale_f64 v[228:229], s[18:19], v[214:215], v[214:215], v[212:213]
	v_rcp_f64_e32 v[230:231], v[228:229]
	v_div_scale_f64 v[232:233], vcc, v[212:213], v[214:215], v[212:213]
	v_fma_f64 v[234:235], -v[228:229], v[230:231], 1.0
	v_fmac_f64_e32 v[230:231], v[230:231], v[234:235]
	v_fma_f64 v[234:235], -v[228:229], v[230:231], 1.0
	v_fmac_f64_e32 v[230:231], v[230:231], v[234:235]
	v_mul_f64 v[234:235], v[232:233], v[230:231]
	v_fma_f64 v[228:229], -v[228:229], v[234:235], v[232:233]
	v_div_fmas_f64 v[228:229], v[228:229], v[230:231], v[234:235]
	v_div_fixup_f64 v[228:229], v[228:229], v[214:215], v[212:213]
	v_fmac_f64_e32 v[214:215], v[212:213], v[228:229]
	v_div_scale_f64 v[212:213], s[18:19], v[214:215], v[214:215], 1.0
	v_rcp_f64_e32 v[230:231], v[212:213]
	s_nop 0
	v_fma_f64 v[232:233], -v[212:213], v[230:231], 1.0
	v_fmac_f64_e32 v[230:231], v[230:231], v[232:233]
	v_fma_f64 v[232:233], -v[212:213], v[230:231], 1.0
	v_fmac_f64_e32 v[230:231], v[230:231], v[232:233]
	v_div_scale_f64 v[232:233], vcc, 1.0, v[214:215], 1.0
	v_mul_f64 v[234:235], v[232:233], v[230:231]
	v_fma_f64 v[212:213], -v[212:213], v[234:235], v[232:233]
	s_nop 1
	v_div_fmas_f64 v[212:213], v[212:213], v[230:231], v[234:235]
	v_div_fixup_f64 v[214:215], v[212:213], v[214:215], 1.0
	v_mul_f64 v[212:213], v[228:229], v[214:215]
	v_xor_b32_e32 v215, 0x80000000, v215
.LBB104_910:
	s_andn2_saveexec_b64 s[16:17], s[16:17]
	s_cbranch_execz .LBB104_912
; %bb.911:
	v_div_scale_f64 v[228:229], s[18:19], v[212:213], v[212:213], v[214:215]
	v_rcp_f64_e32 v[230:231], v[228:229]
	v_div_scale_f64 v[232:233], vcc, v[214:215], v[212:213], v[214:215]
	v_fma_f64 v[234:235], -v[228:229], v[230:231], 1.0
	v_fmac_f64_e32 v[230:231], v[230:231], v[234:235]
	v_fma_f64 v[234:235], -v[228:229], v[230:231], 1.0
	v_fmac_f64_e32 v[230:231], v[230:231], v[234:235]
	v_mul_f64 v[234:235], v[232:233], v[230:231]
	v_fma_f64 v[228:229], -v[228:229], v[234:235], v[232:233]
	v_div_fmas_f64 v[228:229], v[228:229], v[230:231], v[234:235]
	v_div_fixup_f64 v[228:229], v[228:229], v[212:213], v[214:215]
	v_fmac_f64_e32 v[212:213], v[214:215], v[228:229]
	v_div_scale_f64 v[214:215], s[18:19], v[212:213], v[212:213], 1.0
	v_rcp_f64_e32 v[230:231], v[214:215]
	s_nop 0
	v_fma_f64 v[232:233], -v[214:215], v[230:231], 1.0
	v_fmac_f64_e32 v[230:231], v[230:231], v[232:233]
	v_fma_f64 v[232:233], -v[214:215], v[230:231], 1.0
	v_fmac_f64_e32 v[230:231], v[230:231], v[232:233]
	v_div_scale_f64 v[232:233], vcc, 1.0, v[212:213], 1.0
	v_mul_f64 v[234:235], v[232:233], v[230:231]
	v_fma_f64 v[214:215], -v[214:215], v[234:235], v[232:233]
	s_nop 1
	v_div_fmas_f64 v[214:215], v[214:215], v[230:231], v[234:235]
	v_div_fixup_f64 v[212:213], v[214:215], v[212:213], 1.0
	v_mul_f64 v[214:215], v[228:229], -v[212:213]
.LBB104_912:
	s_or_b64 exec, exec, s[16:17]
.LBB104_913:
	s_or_b64 exec, exec, s[0:1]
	v_cmp_ne_u32_e32 vcc, v225, v222
	s_and_saveexec_b64 s[0:1], vcc
	s_xor_b64 s[0:1], exec, s[0:1]
	s_cbranch_execz .LBB104_919
; %bb.914:
	v_cmp_eq_u32_e32 vcc, 43, v225
	s_and_saveexec_b64 s[16:17], vcc
	s_cbranch_execz .LBB104_918
; %bb.915:
	v_cmp_ne_u32_e32 vcc, 43, v222
	s_xor_b64 s[18:19], s[14:15], -1
	s_and_b64 s[22:23], s[18:19], vcc
	s_and_saveexec_b64 s[18:19], s[22:23]
	s_cbranch_execz .LBB104_917
; %bb.916:
	v_ashrrev_i32_e32 v223, 31, v222
	v_lshl_add_u64 v[228:229], v[222:223], 2, v[220:221]
	global_load_dword v223, v[228:229], off
	global_load_dword v225, v[220:221], off offset:172
	s_waitcnt vmcnt(1)
	global_store_dword v[220:221], v223, off offset:172
	s_waitcnt vmcnt(1)
	global_store_dword v[228:229], v225, off
.LBB104_917:
	s_or_b64 exec, exec, s[18:19]
	v_mov_b32_e32 v225, v222
	v_mov_b32_e32 v227, v222
.LBB104_918:
	s_or_b64 exec, exec, s[16:17]
.LBB104_919:
	s_andn2_saveexec_b64 s[0:1], s[0:1]
	s_cbranch_execz .LBB104_921
; %bb.920:
	v_mov_b32_e32 v225, 43
	s_waitcnt vmcnt(8)
	ds_write2_b64 v224, v[28:29], v[30:31] offset0:88 offset1:89
	s_waitcnt vmcnt(7)
	ds_write2_b64 v224, v[24:25], v[26:27] offset0:90 offset1:91
	;; [unrolled: 2-line block ×9, first 2 shown]
.LBB104_921:
	s_or_b64 exec, exec, s[0:1]
	v_cmp_lt_i32_e32 vcc, 43, v225
	s_waitcnt lgkmcnt(0)
	s_barrier
	s_and_saveexec_b64 s[0:1], vcc
	s_cbranch_execz .LBB104_923
; %bb.922:
	ds_read2_b64 v[228:231], v224 offset0:88 offset1:89
	v_mul_f64 v[222:223], v[212:213], v[34:35]
	v_fmac_f64_e32 v[222:223], v[214:215], v[32:33]
	v_mul_f64 v[34:35], v[214:215], v[34:35]
	v_fma_f64 v[32:33], v[212:213], v[32:33], -v[34:35]
	ds_read2_b64 v[212:215], v224 offset0:90 offset1:91
	s_waitcnt lgkmcnt(1)
	v_mul_f64 v[34:35], v[230:231], v[222:223]
	v_fma_f64 v[34:35], v[228:229], v[32:33], -v[34:35]
	v_mul_f64 v[228:229], v[228:229], v[222:223]
	v_fmac_f64_e32 v[228:229], v[230:231], v[32:33]
	s_waitcnt vmcnt(8)
	v_add_f64 v[30:31], v[30:31], -v[228:229]
	ds_read2_b64 v[228:231], v224 offset0:92 offset1:93
	v_add_f64 v[28:29], v[28:29], -v[34:35]
	s_waitcnt lgkmcnt(1)
	v_mul_f64 v[34:35], v[214:215], v[222:223]
	v_fma_f64 v[34:35], v[212:213], v[32:33], -v[34:35]
	v_mul_f64 v[212:213], v[212:213], v[222:223]
	v_fmac_f64_e32 v[212:213], v[214:215], v[32:33]
	s_waitcnt vmcnt(7)
	v_add_f64 v[24:25], v[24:25], -v[34:35]
	v_add_f64 v[26:27], v[26:27], -v[212:213]
	ds_read2_b64 v[212:215], v224 offset0:94 offset1:95
	s_waitcnt lgkmcnt(1)
	v_mul_f64 v[34:35], v[230:231], v[222:223]
	v_fma_f64 v[34:35], v[228:229], v[32:33], -v[34:35]
	v_mul_f64 v[228:229], v[228:229], v[222:223]
	v_fmac_f64_e32 v[228:229], v[230:231], v[32:33]
	s_waitcnt vmcnt(6)
	v_add_f64 v[22:23], v[22:23], -v[228:229]
	ds_read2_b64 v[228:231], v224 offset0:96 offset1:97
	v_add_f64 v[20:21], v[20:21], -v[34:35]
	s_waitcnt lgkmcnt(1)
	v_mul_f64 v[34:35], v[214:215], v[222:223]
	v_fma_f64 v[34:35], v[212:213], v[32:33], -v[34:35]
	v_mul_f64 v[212:213], v[212:213], v[222:223]
	v_fmac_f64_e32 v[212:213], v[214:215], v[32:33]
	s_waitcnt vmcnt(5)
	v_add_f64 v[16:17], v[16:17], -v[34:35]
	v_add_f64 v[18:19], v[18:19], -v[212:213]
	;; [unrolled: 18-line block ×4, first 2 shown]
	s_waitcnt lgkmcnt(0)
	v_mul_f64 v[34:35], v[230:231], v[222:223]
	v_mul_f64 v[212:213], v[228:229], v[222:223]
	v_fma_f64 v[34:35], v[228:229], v[32:33], -v[34:35]
	v_fmac_f64_e32 v[212:213], v[230:231], v[32:33]
	s_waitcnt vmcnt(0)
	v_add_f64 v[208:209], v[208:209], -v[34:35]
	v_add_f64 v[210:211], v[210:211], -v[212:213]
	v_mov_b64_e32 v[34:35], v[222:223]
.LBB104_923:
	s_or_b64 exec, exec, s[0:1]
	v_lshl_add_u32 v212, v225, 4, v224
	s_barrier
	s_waitcnt vmcnt(8)
	ds_write2_b64 v212, v[28:29], v[30:31] offset1:1
	s_waitcnt lgkmcnt(0)
	s_barrier
	ds_read2_b64 v[212:215], v224 offset0:88 offset1:89
	s_cmp_lt_i32 s20, 46
	v_mov_b32_e32 v222, 44
	s_cbranch_scc1 .LBB104_926
; %bb.924:
	v_add_u32_e32 v223, 0x2d0, v224
	s_mov_b32 s16, 45
	v_mov_b32_e32 v222, 44
.LBB104_925:                            ; =>This Inner Loop Header: Depth=1
	ds_read2_b64 v[228:231], v223 offset1:1
	s_waitcnt lgkmcnt(1)
	v_xor_b32_e32 v233, 0x80000000, v213
	v_xor_b32_e32 v235, 0x80000000, v215
	v_cmp_gt_f64_e32 vcc, 0, v[214:215]
	v_cmp_gt_f64_e64 s[0:1], 0, v[212:213]
	v_mov_b32_e32 v232, v212
	v_mov_b32_e32 v234, v214
	v_cndmask_b32_e64 v233, v213, v233, s[0:1]
	v_cndmask_b32_e32 v235, v215, v235, vcc
	v_add_f64 v[232:233], v[232:233], v[234:235]
	s_waitcnt lgkmcnt(0)
	v_xor_b32_e32 v235, 0x80000000, v229
	v_xor_b32_e32 v237, 0x80000000, v231
	v_cmp_gt_f64_e32 vcc, 0, v[230:231]
	v_cmp_gt_f64_e64 s[0:1], 0, v[228:229]
	v_mov_b32_e32 v234, v228
	v_mov_b32_e32 v236, v230
	v_cndmask_b32_e64 v235, v229, v235, s[0:1]
	v_cndmask_b32_e32 v237, v231, v237, vcc
	v_add_f64 v[234:235], v[234:235], v[236:237]
	v_mov_b32_e32 v238, s16
	s_add_i32 s16, s16, 1
	v_cmp_lt_f64_e32 vcc, v[232:233], v[234:235]
	v_add_u32_e32 v223, 16, v223
	s_cmp_lg_u32 s20, s16
	v_cndmask_b32_e32 v213, v213, v229, vcc
	v_cndmask_b32_e32 v212, v212, v228, vcc
	;; [unrolled: 1-line block ×5, first 2 shown]
	s_cbranch_scc1 .LBB104_925
.LBB104_926:
	s_waitcnt lgkmcnt(0)
	v_cmp_eq_f64_e32 vcc, 0, v[212:213]
	v_cmp_eq_f64_e64 s[0:1], 0, v[214:215]
	s_and_b64 s[0:1], vcc, s[0:1]
	s_and_saveexec_b64 s[16:17], s[0:1]
	s_xor_b64 s[0:1], exec, s[16:17]
; %bb.927:
	v_cmp_ne_u32_e32 vcc, 0, v226
	s_nop 1
	v_cndmask_b32_e32 v226, 45, v226, vcc
; %bb.928:
	s_andn2_saveexec_b64 s[0:1], s[0:1]
	s_cbranch_execz .LBB104_934
; %bb.929:
	v_cmp_ngt_f64_e64 s[16:17], |v[212:213]|, |v[214:215]|
	s_and_saveexec_b64 s[18:19], s[16:17]
	s_xor_b64 s[16:17], exec, s[18:19]
	s_cbranch_execz .LBB104_931
; %bb.930:
	v_div_scale_f64 v[228:229], s[18:19], v[214:215], v[214:215], v[212:213]
	v_rcp_f64_e32 v[230:231], v[228:229]
	v_div_scale_f64 v[232:233], vcc, v[212:213], v[214:215], v[212:213]
	v_fma_f64 v[234:235], -v[228:229], v[230:231], 1.0
	v_fmac_f64_e32 v[230:231], v[230:231], v[234:235]
	v_fma_f64 v[234:235], -v[228:229], v[230:231], 1.0
	v_fmac_f64_e32 v[230:231], v[230:231], v[234:235]
	v_mul_f64 v[234:235], v[232:233], v[230:231]
	v_fma_f64 v[228:229], -v[228:229], v[234:235], v[232:233]
	v_div_fmas_f64 v[228:229], v[228:229], v[230:231], v[234:235]
	v_div_fixup_f64 v[228:229], v[228:229], v[214:215], v[212:213]
	v_fmac_f64_e32 v[214:215], v[212:213], v[228:229]
	v_div_scale_f64 v[212:213], s[18:19], v[214:215], v[214:215], 1.0
	v_rcp_f64_e32 v[230:231], v[212:213]
	s_nop 0
	v_fma_f64 v[232:233], -v[212:213], v[230:231], 1.0
	v_fmac_f64_e32 v[230:231], v[230:231], v[232:233]
	v_fma_f64 v[232:233], -v[212:213], v[230:231], 1.0
	v_fmac_f64_e32 v[230:231], v[230:231], v[232:233]
	v_div_scale_f64 v[232:233], vcc, 1.0, v[214:215], 1.0
	v_mul_f64 v[234:235], v[232:233], v[230:231]
	v_fma_f64 v[212:213], -v[212:213], v[234:235], v[232:233]
	s_nop 1
	v_div_fmas_f64 v[212:213], v[212:213], v[230:231], v[234:235]
	v_div_fixup_f64 v[214:215], v[212:213], v[214:215], 1.0
	v_mul_f64 v[212:213], v[228:229], v[214:215]
	v_xor_b32_e32 v215, 0x80000000, v215
.LBB104_931:
	s_andn2_saveexec_b64 s[16:17], s[16:17]
	s_cbranch_execz .LBB104_933
; %bb.932:
	v_div_scale_f64 v[228:229], s[18:19], v[212:213], v[212:213], v[214:215]
	v_rcp_f64_e32 v[230:231], v[228:229]
	v_div_scale_f64 v[232:233], vcc, v[214:215], v[212:213], v[214:215]
	v_fma_f64 v[234:235], -v[228:229], v[230:231], 1.0
	v_fmac_f64_e32 v[230:231], v[230:231], v[234:235]
	v_fma_f64 v[234:235], -v[228:229], v[230:231], 1.0
	v_fmac_f64_e32 v[230:231], v[230:231], v[234:235]
	v_mul_f64 v[234:235], v[232:233], v[230:231]
	v_fma_f64 v[228:229], -v[228:229], v[234:235], v[232:233]
	v_div_fmas_f64 v[228:229], v[228:229], v[230:231], v[234:235]
	v_div_fixup_f64 v[228:229], v[228:229], v[212:213], v[214:215]
	v_fmac_f64_e32 v[212:213], v[214:215], v[228:229]
	v_div_scale_f64 v[214:215], s[18:19], v[212:213], v[212:213], 1.0
	v_rcp_f64_e32 v[230:231], v[214:215]
	s_nop 0
	v_fma_f64 v[232:233], -v[214:215], v[230:231], 1.0
	v_fmac_f64_e32 v[230:231], v[230:231], v[232:233]
	v_fma_f64 v[232:233], -v[214:215], v[230:231], 1.0
	v_fmac_f64_e32 v[230:231], v[230:231], v[232:233]
	v_div_scale_f64 v[232:233], vcc, 1.0, v[212:213], 1.0
	v_mul_f64 v[234:235], v[232:233], v[230:231]
	v_fma_f64 v[214:215], -v[214:215], v[234:235], v[232:233]
	s_nop 1
	v_div_fmas_f64 v[214:215], v[214:215], v[230:231], v[234:235]
	v_div_fixup_f64 v[212:213], v[214:215], v[212:213], 1.0
	v_mul_f64 v[214:215], v[228:229], -v[212:213]
.LBB104_933:
	s_or_b64 exec, exec, s[16:17]
.LBB104_934:
	s_or_b64 exec, exec, s[0:1]
	v_cmp_ne_u32_e32 vcc, v225, v222
	s_and_saveexec_b64 s[0:1], vcc
	s_xor_b64 s[0:1], exec, s[0:1]
	s_cbranch_execz .LBB104_940
; %bb.935:
	v_cmp_eq_u32_e32 vcc, 44, v225
	s_and_saveexec_b64 s[16:17], vcc
	s_cbranch_execz .LBB104_939
; %bb.936:
	v_cmp_ne_u32_e32 vcc, 44, v222
	s_xor_b64 s[18:19], s[14:15], -1
	s_and_b64 s[22:23], s[18:19], vcc
	s_and_saveexec_b64 s[18:19], s[22:23]
	s_cbranch_execz .LBB104_938
; %bb.937:
	v_ashrrev_i32_e32 v223, 31, v222
	v_lshl_add_u64 v[228:229], v[222:223], 2, v[220:221]
	global_load_dword v223, v[228:229], off
	global_load_dword v225, v[220:221], off offset:176
	s_waitcnt vmcnt(1)
	global_store_dword v[220:221], v223, off offset:176
	s_waitcnt vmcnt(1)
	global_store_dword v[228:229], v225, off
.LBB104_938:
	s_or_b64 exec, exec, s[18:19]
	v_mov_b32_e32 v225, v222
	v_mov_b32_e32 v227, v222
.LBB104_939:
	s_or_b64 exec, exec, s[16:17]
.LBB104_940:
	s_andn2_saveexec_b64 s[0:1], s[0:1]
	s_cbranch_execz .LBB104_942
; %bb.941:
	v_mov_b32_e32 v225, 44
	s_waitcnt vmcnt(7)
	ds_write2_b64 v224, v[24:25], v[26:27] offset0:90 offset1:91
	s_waitcnt vmcnt(6)
	ds_write2_b64 v224, v[20:21], v[22:23] offset0:92 offset1:93
	;; [unrolled: 2-line block ×8, first 2 shown]
.LBB104_942:
	s_or_b64 exec, exec, s[0:1]
	v_cmp_lt_i32_e32 vcc, 44, v225
	s_waitcnt lgkmcnt(0)
	s_barrier
	s_and_saveexec_b64 s[0:1], vcc
	s_cbranch_execz .LBB104_944
; %bb.943:
	ds_read2_b64 v[228:231], v224 offset0:90 offset1:91
	v_mul_f64 v[222:223], v[212:213], v[30:31]
	v_mul_f64 v[30:31], v[214:215], v[30:31]
	v_fmac_f64_e32 v[222:223], v[214:215], v[28:29]
	v_fma_f64 v[28:29], v[212:213], v[28:29], -v[30:31]
	ds_read2_b64 v[212:215], v224 offset0:92 offset1:93
	s_waitcnt lgkmcnt(1)
	v_mul_f64 v[30:31], v[230:231], v[222:223]
	v_fma_f64 v[30:31], v[228:229], v[28:29], -v[30:31]
	v_mul_f64 v[228:229], v[228:229], v[222:223]
	v_fmac_f64_e32 v[228:229], v[230:231], v[28:29]
	s_waitcnt vmcnt(7)
	v_add_f64 v[24:25], v[24:25], -v[30:31]
	s_waitcnt lgkmcnt(0)
	v_mul_f64 v[30:31], v[214:215], v[222:223]
	v_add_f64 v[26:27], v[26:27], -v[228:229]
	v_fma_f64 v[30:31], v[212:213], v[28:29], -v[30:31]
	v_mul_f64 v[212:213], v[212:213], v[222:223]
	ds_read2_b64 v[228:231], v224 offset0:94 offset1:95
	v_fmac_f64_e32 v[212:213], v[214:215], v[28:29]
	s_waitcnt vmcnt(6)
	v_add_f64 v[22:23], v[22:23], -v[212:213]
	ds_read2_b64 v[212:215], v224 offset0:96 offset1:97
	v_add_f64 v[20:21], v[20:21], -v[30:31]
	s_waitcnt lgkmcnt(1)
	v_mul_f64 v[30:31], v[230:231], v[222:223]
	v_fma_f64 v[30:31], v[228:229], v[28:29], -v[30:31]
	v_mul_f64 v[228:229], v[228:229], v[222:223]
	v_fmac_f64_e32 v[228:229], v[230:231], v[28:29]
	s_waitcnt vmcnt(5)
	v_add_f64 v[16:17], v[16:17], -v[30:31]
	s_waitcnt lgkmcnt(0)
	v_mul_f64 v[30:31], v[214:215], v[222:223]
	v_add_f64 v[18:19], v[18:19], -v[228:229]
	v_fma_f64 v[30:31], v[212:213], v[28:29], -v[30:31]
	v_mul_f64 v[212:213], v[212:213], v[222:223]
	ds_read2_b64 v[228:231], v224 offset0:98 offset1:99
	v_fmac_f64_e32 v[212:213], v[214:215], v[28:29]
	s_waitcnt vmcnt(4)
	v_add_f64 v[14:15], v[14:15], -v[212:213]
	ds_read2_b64 v[212:215], v224 offset0:100 offset1:101
	v_add_f64 v[12:13], v[12:13], -v[30:31]
	;; [unrolled: 18-line block ×3, first 2 shown]
	s_waitcnt lgkmcnt(1)
	v_mul_f64 v[30:31], v[230:231], v[222:223]
	v_fma_f64 v[30:31], v[228:229], v[28:29], -v[30:31]
	s_waitcnt vmcnt(1)
	v_add_f64 v[0:1], v[0:1], -v[30:31]
	s_waitcnt lgkmcnt(0)
	v_mul_f64 v[30:31], v[214:215], v[222:223]
	v_mul_f64 v[228:229], v[228:229], v[222:223]
	v_fma_f64 v[30:31], v[212:213], v[28:29], -v[30:31]
	v_mul_f64 v[212:213], v[212:213], v[222:223]
	v_fmac_f64_e32 v[228:229], v[230:231], v[28:29]
	v_fmac_f64_e32 v[212:213], v[214:215], v[28:29]
	v_add_f64 v[2:3], v[2:3], -v[228:229]
	s_waitcnt vmcnt(0)
	v_add_f64 v[208:209], v[208:209], -v[30:31]
	v_add_f64 v[210:211], v[210:211], -v[212:213]
	v_mov_b64_e32 v[30:31], v[222:223]
.LBB104_944:
	s_or_b64 exec, exec, s[0:1]
	v_lshl_add_u32 v212, v225, 4, v224
	s_barrier
	s_waitcnt vmcnt(7)
	ds_write2_b64 v212, v[24:25], v[26:27] offset1:1
	s_waitcnt lgkmcnt(0)
	s_barrier
	ds_read2_b64 v[212:215], v224 offset0:90 offset1:91
	s_cmp_lt_i32 s20, 47
	v_mov_b32_e32 v222, 45
	s_cbranch_scc1 .LBB104_947
; %bb.945:
	v_add_u32_e32 v223, 0x2e0, v224
	s_mov_b32 s16, 46
	v_mov_b32_e32 v222, 45
.LBB104_946:                            ; =>This Inner Loop Header: Depth=1
	ds_read2_b64 v[228:231], v223 offset1:1
	s_waitcnt lgkmcnt(1)
	v_xor_b32_e32 v233, 0x80000000, v213
	v_xor_b32_e32 v235, 0x80000000, v215
	v_cmp_gt_f64_e32 vcc, 0, v[214:215]
	v_cmp_gt_f64_e64 s[0:1], 0, v[212:213]
	v_mov_b32_e32 v232, v212
	v_mov_b32_e32 v234, v214
	v_cndmask_b32_e64 v233, v213, v233, s[0:1]
	v_cndmask_b32_e32 v235, v215, v235, vcc
	v_add_f64 v[232:233], v[232:233], v[234:235]
	s_waitcnt lgkmcnt(0)
	v_xor_b32_e32 v235, 0x80000000, v229
	v_xor_b32_e32 v237, 0x80000000, v231
	v_cmp_gt_f64_e32 vcc, 0, v[230:231]
	v_cmp_gt_f64_e64 s[0:1], 0, v[228:229]
	v_mov_b32_e32 v234, v228
	v_mov_b32_e32 v236, v230
	v_cndmask_b32_e64 v235, v229, v235, s[0:1]
	v_cndmask_b32_e32 v237, v231, v237, vcc
	v_add_f64 v[234:235], v[234:235], v[236:237]
	v_mov_b32_e32 v238, s16
	s_add_i32 s16, s16, 1
	v_cmp_lt_f64_e32 vcc, v[232:233], v[234:235]
	v_add_u32_e32 v223, 16, v223
	s_cmp_lg_u32 s20, s16
	v_cndmask_b32_e32 v213, v213, v229, vcc
	v_cndmask_b32_e32 v212, v212, v228, vcc
	;; [unrolled: 1-line block ×5, first 2 shown]
	s_cbranch_scc1 .LBB104_946
.LBB104_947:
	s_waitcnt lgkmcnt(0)
	v_cmp_eq_f64_e32 vcc, 0, v[212:213]
	v_cmp_eq_f64_e64 s[0:1], 0, v[214:215]
	s_and_b64 s[0:1], vcc, s[0:1]
	s_and_saveexec_b64 s[16:17], s[0:1]
	s_xor_b64 s[0:1], exec, s[16:17]
; %bb.948:
	v_cmp_ne_u32_e32 vcc, 0, v226
	s_nop 1
	v_cndmask_b32_e32 v226, 46, v226, vcc
; %bb.949:
	s_andn2_saveexec_b64 s[0:1], s[0:1]
	s_cbranch_execz .LBB104_955
; %bb.950:
	v_cmp_ngt_f64_e64 s[16:17], |v[212:213]|, |v[214:215]|
	s_and_saveexec_b64 s[18:19], s[16:17]
	s_xor_b64 s[16:17], exec, s[18:19]
	s_cbranch_execz .LBB104_952
; %bb.951:
	v_div_scale_f64 v[228:229], s[18:19], v[214:215], v[214:215], v[212:213]
	v_rcp_f64_e32 v[230:231], v[228:229]
	v_div_scale_f64 v[232:233], vcc, v[212:213], v[214:215], v[212:213]
	v_fma_f64 v[234:235], -v[228:229], v[230:231], 1.0
	v_fmac_f64_e32 v[230:231], v[230:231], v[234:235]
	v_fma_f64 v[234:235], -v[228:229], v[230:231], 1.0
	v_fmac_f64_e32 v[230:231], v[230:231], v[234:235]
	v_mul_f64 v[234:235], v[232:233], v[230:231]
	v_fma_f64 v[228:229], -v[228:229], v[234:235], v[232:233]
	v_div_fmas_f64 v[228:229], v[228:229], v[230:231], v[234:235]
	v_div_fixup_f64 v[228:229], v[228:229], v[214:215], v[212:213]
	v_fmac_f64_e32 v[214:215], v[212:213], v[228:229]
	v_div_scale_f64 v[212:213], s[18:19], v[214:215], v[214:215], 1.0
	v_rcp_f64_e32 v[230:231], v[212:213]
	s_nop 0
	v_fma_f64 v[232:233], -v[212:213], v[230:231], 1.0
	v_fmac_f64_e32 v[230:231], v[230:231], v[232:233]
	v_fma_f64 v[232:233], -v[212:213], v[230:231], 1.0
	v_fmac_f64_e32 v[230:231], v[230:231], v[232:233]
	v_div_scale_f64 v[232:233], vcc, 1.0, v[214:215], 1.0
	v_mul_f64 v[234:235], v[232:233], v[230:231]
	v_fma_f64 v[212:213], -v[212:213], v[234:235], v[232:233]
	s_nop 1
	v_div_fmas_f64 v[212:213], v[212:213], v[230:231], v[234:235]
	v_div_fixup_f64 v[214:215], v[212:213], v[214:215], 1.0
	v_mul_f64 v[212:213], v[228:229], v[214:215]
	v_xor_b32_e32 v215, 0x80000000, v215
.LBB104_952:
	s_andn2_saveexec_b64 s[16:17], s[16:17]
	s_cbranch_execz .LBB104_954
; %bb.953:
	v_div_scale_f64 v[228:229], s[18:19], v[212:213], v[212:213], v[214:215]
	v_rcp_f64_e32 v[230:231], v[228:229]
	v_div_scale_f64 v[232:233], vcc, v[214:215], v[212:213], v[214:215]
	v_fma_f64 v[234:235], -v[228:229], v[230:231], 1.0
	v_fmac_f64_e32 v[230:231], v[230:231], v[234:235]
	v_fma_f64 v[234:235], -v[228:229], v[230:231], 1.0
	v_fmac_f64_e32 v[230:231], v[230:231], v[234:235]
	v_mul_f64 v[234:235], v[232:233], v[230:231]
	v_fma_f64 v[228:229], -v[228:229], v[234:235], v[232:233]
	v_div_fmas_f64 v[228:229], v[228:229], v[230:231], v[234:235]
	v_div_fixup_f64 v[228:229], v[228:229], v[212:213], v[214:215]
	v_fmac_f64_e32 v[212:213], v[214:215], v[228:229]
	v_div_scale_f64 v[214:215], s[18:19], v[212:213], v[212:213], 1.0
	v_rcp_f64_e32 v[230:231], v[214:215]
	s_nop 0
	v_fma_f64 v[232:233], -v[214:215], v[230:231], 1.0
	v_fmac_f64_e32 v[230:231], v[230:231], v[232:233]
	v_fma_f64 v[232:233], -v[214:215], v[230:231], 1.0
	v_fmac_f64_e32 v[230:231], v[230:231], v[232:233]
	v_div_scale_f64 v[232:233], vcc, 1.0, v[212:213], 1.0
	v_mul_f64 v[234:235], v[232:233], v[230:231]
	v_fma_f64 v[214:215], -v[214:215], v[234:235], v[232:233]
	s_nop 1
	v_div_fmas_f64 v[214:215], v[214:215], v[230:231], v[234:235]
	v_div_fixup_f64 v[212:213], v[214:215], v[212:213], 1.0
	v_mul_f64 v[214:215], v[228:229], -v[212:213]
.LBB104_954:
	s_or_b64 exec, exec, s[16:17]
.LBB104_955:
	s_or_b64 exec, exec, s[0:1]
	v_cmp_ne_u32_e32 vcc, v225, v222
	s_and_saveexec_b64 s[0:1], vcc
	s_xor_b64 s[0:1], exec, s[0:1]
	s_cbranch_execz .LBB104_961
; %bb.956:
	v_cmp_eq_u32_e32 vcc, 45, v225
	s_and_saveexec_b64 s[16:17], vcc
	s_cbranch_execz .LBB104_960
; %bb.957:
	v_cmp_ne_u32_e32 vcc, 45, v222
	s_xor_b64 s[18:19], s[14:15], -1
	s_and_b64 s[22:23], s[18:19], vcc
	s_and_saveexec_b64 s[18:19], s[22:23]
	s_cbranch_execz .LBB104_959
; %bb.958:
	v_ashrrev_i32_e32 v223, 31, v222
	v_lshl_add_u64 v[228:229], v[222:223], 2, v[220:221]
	global_load_dword v223, v[228:229], off
	global_load_dword v225, v[220:221], off offset:180
	s_waitcnt vmcnt(1)
	global_store_dword v[220:221], v223, off offset:180
	s_waitcnt vmcnt(1)
	global_store_dword v[228:229], v225, off
.LBB104_959:
	s_or_b64 exec, exec, s[18:19]
	v_mov_b32_e32 v225, v222
	v_mov_b32_e32 v227, v222
.LBB104_960:
	s_or_b64 exec, exec, s[16:17]
.LBB104_961:
	s_andn2_saveexec_b64 s[0:1], s[0:1]
	s_cbranch_execz .LBB104_963
; %bb.962:
	v_mov_b32_e32 v225, 45
	s_waitcnt vmcnt(6)
	ds_write2_b64 v224, v[20:21], v[22:23] offset0:92 offset1:93
	s_waitcnt vmcnt(5)
	ds_write2_b64 v224, v[16:17], v[18:19] offset0:94 offset1:95
	;; [unrolled: 2-line block ×7, first 2 shown]
.LBB104_963:
	s_or_b64 exec, exec, s[0:1]
	v_cmp_lt_i32_e32 vcc, 45, v225
	s_waitcnt lgkmcnt(0)
	s_barrier
	s_and_saveexec_b64 s[0:1], vcc
	s_cbranch_execz .LBB104_965
; %bb.964:
	ds_read2_b64 v[228:231], v224 offset0:92 offset1:93
	v_mul_f64 v[222:223], v[212:213], v[26:27]
	v_fmac_f64_e32 v[222:223], v[214:215], v[24:25]
	v_mul_f64 v[26:27], v[214:215], v[26:27]
	v_fma_f64 v[24:25], v[212:213], v[24:25], -v[26:27]
	ds_read2_b64 v[212:215], v224 offset0:94 offset1:95
	s_waitcnt lgkmcnt(1)
	v_mul_f64 v[26:27], v[230:231], v[222:223]
	v_fma_f64 v[26:27], v[228:229], v[24:25], -v[26:27]
	v_mul_f64 v[228:229], v[228:229], v[222:223]
	v_fmac_f64_e32 v[228:229], v[230:231], v[24:25]
	s_waitcnt vmcnt(6)
	v_add_f64 v[22:23], v[22:23], -v[228:229]
	ds_read2_b64 v[228:231], v224 offset0:96 offset1:97
	v_add_f64 v[20:21], v[20:21], -v[26:27]
	s_waitcnt lgkmcnt(1)
	v_mul_f64 v[26:27], v[214:215], v[222:223]
	v_fma_f64 v[26:27], v[212:213], v[24:25], -v[26:27]
	v_mul_f64 v[212:213], v[212:213], v[222:223]
	v_fmac_f64_e32 v[212:213], v[214:215], v[24:25]
	s_waitcnt vmcnt(5)
	v_add_f64 v[16:17], v[16:17], -v[26:27]
	v_add_f64 v[18:19], v[18:19], -v[212:213]
	ds_read2_b64 v[212:215], v224 offset0:98 offset1:99
	s_waitcnt lgkmcnt(1)
	v_mul_f64 v[26:27], v[230:231], v[222:223]
	v_fma_f64 v[26:27], v[228:229], v[24:25], -v[26:27]
	v_mul_f64 v[228:229], v[228:229], v[222:223]
	v_fmac_f64_e32 v[228:229], v[230:231], v[24:25]
	s_waitcnt vmcnt(4)
	v_add_f64 v[14:15], v[14:15], -v[228:229]
	ds_read2_b64 v[228:231], v224 offset0:100 offset1:101
	v_add_f64 v[12:13], v[12:13], -v[26:27]
	s_waitcnt lgkmcnt(1)
	v_mul_f64 v[26:27], v[214:215], v[222:223]
	v_fma_f64 v[26:27], v[212:213], v[24:25], -v[26:27]
	v_mul_f64 v[212:213], v[212:213], v[222:223]
	v_fmac_f64_e32 v[212:213], v[214:215], v[24:25]
	s_waitcnt vmcnt(3)
	v_add_f64 v[8:9], v[8:9], -v[26:27]
	v_add_f64 v[10:11], v[10:11], -v[212:213]
	;; [unrolled: 18-line block ×3, first 2 shown]
	s_waitcnt lgkmcnt(0)
	v_mul_f64 v[26:27], v[230:231], v[222:223]
	v_mul_f64 v[212:213], v[228:229], v[222:223]
	v_fma_f64 v[26:27], v[228:229], v[24:25], -v[26:27]
	v_fmac_f64_e32 v[212:213], v[230:231], v[24:25]
	s_waitcnt vmcnt(0)
	v_add_f64 v[208:209], v[208:209], -v[26:27]
	v_add_f64 v[210:211], v[210:211], -v[212:213]
	v_mov_b64_e32 v[26:27], v[222:223]
.LBB104_965:
	s_or_b64 exec, exec, s[0:1]
	v_lshl_add_u32 v212, v225, 4, v224
	s_barrier
	s_waitcnt vmcnt(6)
	ds_write2_b64 v212, v[20:21], v[22:23] offset1:1
	s_waitcnt lgkmcnt(0)
	s_barrier
	ds_read2_b64 v[212:215], v224 offset0:92 offset1:93
	s_cmp_lt_i32 s20, 48
	v_mov_b32_e32 v222, 46
	s_cbranch_scc1 .LBB104_968
; %bb.966:
	v_add_u32_e32 v223, 0x2f0, v224
	s_mov_b32 s16, 47
	v_mov_b32_e32 v222, 46
.LBB104_967:                            ; =>This Inner Loop Header: Depth=1
	ds_read2_b64 v[228:231], v223 offset1:1
	s_waitcnt lgkmcnt(1)
	v_xor_b32_e32 v233, 0x80000000, v213
	v_xor_b32_e32 v235, 0x80000000, v215
	v_cmp_gt_f64_e32 vcc, 0, v[214:215]
	v_cmp_gt_f64_e64 s[0:1], 0, v[212:213]
	v_mov_b32_e32 v232, v212
	v_mov_b32_e32 v234, v214
	v_cndmask_b32_e64 v233, v213, v233, s[0:1]
	v_cndmask_b32_e32 v235, v215, v235, vcc
	v_add_f64 v[232:233], v[232:233], v[234:235]
	s_waitcnt lgkmcnt(0)
	v_xor_b32_e32 v235, 0x80000000, v229
	v_xor_b32_e32 v237, 0x80000000, v231
	v_cmp_gt_f64_e32 vcc, 0, v[230:231]
	v_cmp_gt_f64_e64 s[0:1], 0, v[228:229]
	v_mov_b32_e32 v234, v228
	v_mov_b32_e32 v236, v230
	v_cndmask_b32_e64 v235, v229, v235, s[0:1]
	v_cndmask_b32_e32 v237, v231, v237, vcc
	v_add_f64 v[234:235], v[234:235], v[236:237]
	v_mov_b32_e32 v238, s16
	s_add_i32 s16, s16, 1
	v_cmp_lt_f64_e32 vcc, v[232:233], v[234:235]
	v_add_u32_e32 v223, 16, v223
	s_cmp_lg_u32 s20, s16
	v_cndmask_b32_e32 v213, v213, v229, vcc
	v_cndmask_b32_e32 v212, v212, v228, vcc
	;; [unrolled: 1-line block ×5, first 2 shown]
	s_cbranch_scc1 .LBB104_967
.LBB104_968:
	s_waitcnt lgkmcnt(0)
	v_cmp_eq_f64_e32 vcc, 0, v[212:213]
	v_cmp_eq_f64_e64 s[0:1], 0, v[214:215]
	s_and_b64 s[0:1], vcc, s[0:1]
	s_and_saveexec_b64 s[16:17], s[0:1]
	s_xor_b64 s[0:1], exec, s[16:17]
; %bb.969:
	v_cmp_ne_u32_e32 vcc, 0, v226
	s_nop 1
	v_cndmask_b32_e32 v226, 47, v226, vcc
; %bb.970:
	s_andn2_saveexec_b64 s[0:1], s[0:1]
	s_cbranch_execz .LBB104_976
; %bb.971:
	v_cmp_ngt_f64_e64 s[16:17], |v[212:213]|, |v[214:215]|
	s_and_saveexec_b64 s[18:19], s[16:17]
	s_xor_b64 s[16:17], exec, s[18:19]
	s_cbranch_execz .LBB104_973
; %bb.972:
	v_div_scale_f64 v[228:229], s[18:19], v[214:215], v[214:215], v[212:213]
	v_rcp_f64_e32 v[230:231], v[228:229]
	v_div_scale_f64 v[232:233], vcc, v[212:213], v[214:215], v[212:213]
	v_fma_f64 v[234:235], -v[228:229], v[230:231], 1.0
	v_fmac_f64_e32 v[230:231], v[230:231], v[234:235]
	v_fma_f64 v[234:235], -v[228:229], v[230:231], 1.0
	v_fmac_f64_e32 v[230:231], v[230:231], v[234:235]
	v_mul_f64 v[234:235], v[232:233], v[230:231]
	v_fma_f64 v[228:229], -v[228:229], v[234:235], v[232:233]
	v_div_fmas_f64 v[228:229], v[228:229], v[230:231], v[234:235]
	v_div_fixup_f64 v[228:229], v[228:229], v[214:215], v[212:213]
	v_fmac_f64_e32 v[214:215], v[212:213], v[228:229]
	v_div_scale_f64 v[212:213], s[18:19], v[214:215], v[214:215], 1.0
	v_rcp_f64_e32 v[230:231], v[212:213]
	s_nop 0
	v_fma_f64 v[232:233], -v[212:213], v[230:231], 1.0
	v_fmac_f64_e32 v[230:231], v[230:231], v[232:233]
	v_fma_f64 v[232:233], -v[212:213], v[230:231], 1.0
	v_fmac_f64_e32 v[230:231], v[230:231], v[232:233]
	v_div_scale_f64 v[232:233], vcc, 1.0, v[214:215], 1.0
	v_mul_f64 v[234:235], v[232:233], v[230:231]
	v_fma_f64 v[212:213], -v[212:213], v[234:235], v[232:233]
	s_nop 1
	v_div_fmas_f64 v[212:213], v[212:213], v[230:231], v[234:235]
	v_div_fixup_f64 v[214:215], v[212:213], v[214:215], 1.0
	v_mul_f64 v[212:213], v[228:229], v[214:215]
	v_xor_b32_e32 v215, 0x80000000, v215
.LBB104_973:
	s_andn2_saveexec_b64 s[16:17], s[16:17]
	s_cbranch_execz .LBB104_975
; %bb.974:
	v_div_scale_f64 v[228:229], s[18:19], v[212:213], v[212:213], v[214:215]
	v_rcp_f64_e32 v[230:231], v[228:229]
	v_div_scale_f64 v[232:233], vcc, v[214:215], v[212:213], v[214:215]
	v_fma_f64 v[234:235], -v[228:229], v[230:231], 1.0
	v_fmac_f64_e32 v[230:231], v[230:231], v[234:235]
	v_fma_f64 v[234:235], -v[228:229], v[230:231], 1.0
	v_fmac_f64_e32 v[230:231], v[230:231], v[234:235]
	v_mul_f64 v[234:235], v[232:233], v[230:231]
	v_fma_f64 v[228:229], -v[228:229], v[234:235], v[232:233]
	v_div_fmas_f64 v[228:229], v[228:229], v[230:231], v[234:235]
	v_div_fixup_f64 v[228:229], v[228:229], v[212:213], v[214:215]
	v_fmac_f64_e32 v[212:213], v[214:215], v[228:229]
	v_div_scale_f64 v[214:215], s[18:19], v[212:213], v[212:213], 1.0
	v_rcp_f64_e32 v[230:231], v[214:215]
	s_nop 0
	v_fma_f64 v[232:233], -v[214:215], v[230:231], 1.0
	v_fmac_f64_e32 v[230:231], v[230:231], v[232:233]
	v_fma_f64 v[232:233], -v[214:215], v[230:231], 1.0
	v_fmac_f64_e32 v[230:231], v[230:231], v[232:233]
	v_div_scale_f64 v[232:233], vcc, 1.0, v[212:213], 1.0
	v_mul_f64 v[234:235], v[232:233], v[230:231]
	v_fma_f64 v[214:215], -v[214:215], v[234:235], v[232:233]
	s_nop 1
	v_div_fmas_f64 v[214:215], v[214:215], v[230:231], v[234:235]
	v_div_fixup_f64 v[212:213], v[214:215], v[212:213], 1.0
	v_mul_f64 v[214:215], v[228:229], -v[212:213]
.LBB104_975:
	s_or_b64 exec, exec, s[16:17]
.LBB104_976:
	s_or_b64 exec, exec, s[0:1]
	v_cmp_ne_u32_e32 vcc, v225, v222
	s_and_saveexec_b64 s[0:1], vcc
	s_xor_b64 s[0:1], exec, s[0:1]
	s_cbranch_execz .LBB104_982
; %bb.977:
	v_cmp_eq_u32_e32 vcc, 46, v225
	s_and_saveexec_b64 s[16:17], vcc
	s_cbranch_execz .LBB104_981
; %bb.978:
	v_cmp_ne_u32_e32 vcc, 46, v222
	s_xor_b64 s[18:19], s[14:15], -1
	s_and_b64 s[22:23], s[18:19], vcc
	s_and_saveexec_b64 s[18:19], s[22:23]
	s_cbranch_execz .LBB104_980
; %bb.979:
	v_ashrrev_i32_e32 v223, 31, v222
	v_lshl_add_u64 v[228:229], v[222:223], 2, v[220:221]
	global_load_dword v223, v[228:229], off
	global_load_dword v225, v[220:221], off offset:184
	s_waitcnt vmcnt(1)
	global_store_dword v[220:221], v223, off offset:184
	s_waitcnt vmcnt(1)
	global_store_dword v[228:229], v225, off
.LBB104_980:
	s_or_b64 exec, exec, s[18:19]
	v_mov_b32_e32 v225, v222
	v_mov_b32_e32 v227, v222
.LBB104_981:
	s_or_b64 exec, exec, s[16:17]
.LBB104_982:
	s_andn2_saveexec_b64 s[0:1], s[0:1]
	s_cbranch_execz .LBB104_984
; %bb.983:
	v_mov_b32_e32 v225, 46
	s_waitcnt vmcnt(5)
	ds_write2_b64 v224, v[16:17], v[18:19] offset0:94 offset1:95
	s_waitcnt vmcnt(4)
	ds_write2_b64 v224, v[12:13], v[14:15] offset0:96 offset1:97
	;; [unrolled: 2-line block ×6, first 2 shown]
.LBB104_984:
	s_or_b64 exec, exec, s[0:1]
	v_cmp_lt_i32_e32 vcc, 46, v225
	s_waitcnt lgkmcnt(0)
	s_barrier
	s_and_saveexec_b64 s[0:1], vcc
	s_cbranch_execz .LBB104_986
; %bb.985:
	ds_read2_b64 v[228:231], v224 offset0:94 offset1:95
	v_mul_f64 v[222:223], v[212:213], v[22:23]
	v_mul_f64 v[22:23], v[214:215], v[22:23]
	v_fmac_f64_e32 v[222:223], v[214:215], v[20:21]
	v_fma_f64 v[20:21], v[212:213], v[20:21], -v[22:23]
	ds_read2_b64 v[212:215], v224 offset0:96 offset1:97
	s_waitcnt lgkmcnt(1)
	v_mul_f64 v[22:23], v[230:231], v[222:223]
	v_fma_f64 v[22:23], v[228:229], v[20:21], -v[22:23]
	v_mul_f64 v[228:229], v[228:229], v[222:223]
	v_fmac_f64_e32 v[228:229], v[230:231], v[20:21]
	s_waitcnt vmcnt(5)
	v_add_f64 v[16:17], v[16:17], -v[22:23]
	s_waitcnt lgkmcnt(0)
	v_mul_f64 v[22:23], v[214:215], v[222:223]
	v_add_f64 v[18:19], v[18:19], -v[228:229]
	v_fma_f64 v[22:23], v[212:213], v[20:21], -v[22:23]
	v_mul_f64 v[212:213], v[212:213], v[222:223]
	ds_read2_b64 v[228:231], v224 offset0:98 offset1:99
	v_fmac_f64_e32 v[212:213], v[214:215], v[20:21]
	s_waitcnt vmcnt(4)
	v_add_f64 v[14:15], v[14:15], -v[212:213]
	ds_read2_b64 v[212:215], v224 offset0:100 offset1:101
	v_add_f64 v[12:13], v[12:13], -v[22:23]
	s_waitcnt lgkmcnt(1)
	v_mul_f64 v[22:23], v[230:231], v[222:223]
	v_fma_f64 v[22:23], v[228:229], v[20:21], -v[22:23]
	v_mul_f64 v[228:229], v[228:229], v[222:223]
	v_fmac_f64_e32 v[228:229], v[230:231], v[20:21]
	s_waitcnt vmcnt(3)
	v_add_f64 v[8:9], v[8:9], -v[22:23]
	s_waitcnt lgkmcnt(0)
	v_mul_f64 v[22:23], v[214:215], v[222:223]
	v_add_f64 v[10:11], v[10:11], -v[228:229]
	v_fma_f64 v[22:23], v[212:213], v[20:21], -v[22:23]
	v_mul_f64 v[212:213], v[212:213], v[222:223]
	ds_read2_b64 v[228:231], v224 offset0:102 offset1:103
	v_fmac_f64_e32 v[212:213], v[214:215], v[20:21]
	s_waitcnt vmcnt(2)
	v_add_f64 v[6:7], v[6:7], -v[212:213]
	ds_read2_b64 v[212:215], v224 offset0:104 offset1:105
	v_add_f64 v[4:5], v[4:5], -v[22:23]
	s_waitcnt lgkmcnt(1)
	v_mul_f64 v[22:23], v[230:231], v[222:223]
	v_fma_f64 v[22:23], v[228:229], v[20:21], -v[22:23]
	s_waitcnt vmcnt(1)
	v_add_f64 v[0:1], v[0:1], -v[22:23]
	s_waitcnt lgkmcnt(0)
	v_mul_f64 v[22:23], v[214:215], v[222:223]
	v_mul_f64 v[228:229], v[228:229], v[222:223]
	v_fma_f64 v[22:23], v[212:213], v[20:21], -v[22:23]
	v_mul_f64 v[212:213], v[212:213], v[222:223]
	v_fmac_f64_e32 v[228:229], v[230:231], v[20:21]
	v_fmac_f64_e32 v[212:213], v[214:215], v[20:21]
	v_add_f64 v[2:3], v[2:3], -v[228:229]
	s_waitcnt vmcnt(0)
	v_add_f64 v[208:209], v[208:209], -v[22:23]
	v_add_f64 v[210:211], v[210:211], -v[212:213]
	v_mov_b64_e32 v[22:23], v[222:223]
.LBB104_986:
	s_or_b64 exec, exec, s[0:1]
	v_lshl_add_u32 v212, v225, 4, v224
	s_barrier
	s_waitcnt vmcnt(5)
	ds_write2_b64 v212, v[16:17], v[18:19] offset1:1
	s_waitcnt lgkmcnt(0)
	s_barrier
	ds_read2_b64 v[212:215], v224 offset0:94 offset1:95
	s_cmp_lt_i32 s20, 49
	v_mov_b32_e32 v222, 47
	s_cbranch_scc1 .LBB104_989
; %bb.987:
	v_add_u32_e32 v223, 0x300, v224
	s_mov_b32 s16, 48
	v_mov_b32_e32 v222, 47
.LBB104_988:                            ; =>This Inner Loop Header: Depth=1
	ds_read2_b64 v[228:231], v223 offset1:1
	s_waitcnt lgkmcnt(1)
	v_xor_b32_e32 v233, 0x80000000, v213
	v_xor_b32_e32 v235, 0x80000000, v215
	v_cmp_gt_f64_e32 vcc, 0, v[214:215]
	v_cmp_gt_f64_e64 s[0:1], 0, v[212:213]
	v_mov_b32_e32 v232, v212
	v_mov_b32_e32 v234, v214
	v_cndmask_b32_e64 v233, v213, v233, s[0:1]
	v_cndmask_b32_e32 v235, v215, v235, vcc
	v_add_f64 v[232:233], v[232:233], v[234:235]
	s_waitcnt lgkmcnt(0)
	v_xor_b32_e32 v235, 0x80000000, v229
	v_xor_b32_e32 v237, 0x80000000, v231
	v_cmp_gt_f64_e32 vcc, 0, v[230:231]
	v_cmp_gt_f64_e64 s[0:1], 0, v[228:229]
	v_mov_b32_e32 v234, v228
	v_mov_b32_e32 v236, v230
	v_cndmask_b32_e64 v235, v229, v235, s[0:1]
	v_cndmask_b32_e32 v237, v231, v237, vcc
	v_add_f64 v[234:235], v[234:235], v[236:237]
	v_mov_b32_e32 v238, s16
	s_add_i32 s16, s16, 1
	v_cmp_lt_f64_e32 vcc, v[232:233], v[234:235]
	v_add_u32_e32 v223, 16, v223
	s_cmp_lg_u32 s20, s16
	v_cndmask_b32_e32 v213, v213, v229, vcc
	v_cndmask_b32_e32 v212, v212, v228, vcc
	;; [unrolled: 1-line block ×5, first 2 shown]
	s_cbranch_scc1 .LBB104_988
.LBB104_989:
	s_waitcnt lgkmcnt(0)
	v_cmp_eq_f64_e32 vcc, 0, v[212:213]
	v_cmp_eq_f64_e64 s[0:1], 0, v[214:215]
	s_and_b64 s[0:1], vcc, s[0:1]
	s_and_saveexec_b64 s[16:17], s[0:1]
	s_xor_b64 s[0:1], exec, s[16:17]
; %bb.990:
	v_cmp_ne_u32_e32 vcc, 0, v226
	s_nop 1
	v_cndmask_b32_e32 v226, 48, v226, vcc
; %bb.991:
	s_andn2_saveexec_b64 s[0:1], s[0:1]
	s_cbranch_execz .LBB104_997
; %bb.992:
	v_cmp_ngt_f64_e64 s[16:17], |v[212:213]|, |v[214:215]|
	s_and_saveexec_b64 s[18:19], s[16:17]
	s_xor_b64 s[16:17], exec, s[18:19]
	s_cbranch_execz .LBB104_994
; %bb.993:
	v_div_scale_f64 v[228:229], s[18:19], v[214:215], v[214:215], v[212:213]
	v_rcp_f64_e32 v[230:231], v[228:229]
	v_div_scale_f64 v[232:233], vcc, v[212:213], v[214:215], v[212:213]
	v_fma_f64 v[234:235], -v[228:229], v[230:231], 1.0
	v_fmac_f64_e32 v[230:231], v[230:231], v[234:235]
	v_fma_f64 v[234:235], -v[228:229], v[230:231], 1.0
	v_fmac_f64_e32 v[230:231], v[230:231], v[234:235]
	v_mul_f64 v[234:235], v[232:233], v[230:231]
	v_fma_f64 v[228:229], -v[228:229], v[234:235], v[232:233]
	v_div_fmas_f64 v[228:229], v[228:229], v[230:231], v[234:235]
	v_div_fixup_f64 v[228:229], v[228:229], v[214:215], v[212:213]
	v_fmac_f64_e32 v[214:215], v[212:213], v[228:229]
	v_div_scale_f64 v[212:213], s[18:19], v[214:215], v[214:215], 1.0
	v_rcp_f64_e32 v[230:231], v[212:213]
	s_nop 0
	v_fma_f64 v[232:233], -v[212:213], v[230:231], 1.0
	v_fmac_f64_e32 v[230:231], v[230:231], v[232:233]
	v_fma_f64 v[232:233], -v[212:213], v[230:231], 1.0
	v_fmac_f64_e32 v[230:231], v[230:231], v[232:233]
	v_div_scale_f64 v[232:233], vcc, 1.0, v[214:215], 1.0
	v_mul_f64 v[234:235], v[232:233], v[230:231]
	v_fma_f64 v[212:213], -v[212:213], v[234:235], v[232:233]
	s_nop 1
	v_div_fmas_f64 v[212:213], v[212:213], v[230:231], v[234:235]
	v_div_fixup_f64 v[214:215], v[212:213], v[214:215], 1.0
	v_mul_f64 v[212:213], v[228:229], v[214:215]
	v_xor_b32_e32 v215, 0x80000000, v215
.LBB104_994:
	s_andn2_saveexec_b64 s[16:17], s[16:17]
	s_cbranch_execz .LBB104_996
; %bb.995:
	v_div_scale_f64 v[228:229], s[18:19], v[212:213], v[212:213], v[214:215]
	v_rcp_f64_e32 v[230:231], v[228:229]
	v_div_scale_f64 v[232:233], vcc, v[214:215], v[212:213], v[214:215]
	v_fma_f64 v[234:235], -v[228:229], v[230:231], 1.0
	v_fmac_f64_e32 v[230:231], v[230:231], v[234:235]
	v_fma_f64 v[234:235], -v[228:229], v[230:231], 1.0
	v_fmac_f64_e32 v[230:231], v[230:231], v[234:235]
	v_mul_f64 v[234:235], v[232:233], v[230:231]
	v_fma_f64 v[228:229], -v[228:229], v[234:235], v[232:233]
	v_div_fmas_f64 v[228:229], v[228:229], v[230:231], v[234:235]
	v_div_fixup_f64 v[228:229], v[228:229], v[212:213], v[214:215]
	v_fmac_f64_e32 v[212:213], v[214:215], v[228:229]
	v_div_scale_f64 v[214:215], s[18:19], v[212:213], v[212:213], 1.0
	v_rcp_f64_e32 v[230:231], v[214:215]
	s_nop 0
	v_fma_f64 v[232:233], -v[214:215], v[230:231], 1.0
	v_fmac_f64_e32 v[230:231], v[230:231], v[232:233]
	v_fma_f64 v[232:233], -v[214:215], v[230:231], 1.0
	v_fmac_f64_e32 v[230:231], v[230:231], v[232:233]
	v_div_scale_f64 v[232:233], vcc, 1.0, v[212:213], 1.0
	v_mul_f64 v[234:235], v[232:233], v[230:231]
	v_fma_f64 v[214:215], -v[214:215], v[234:235], v[232:233]
	s_nop 1
	v_div_fmas_f64 v[214:215], v[214:215], v[230:231], v[234:235]
	v_div_fixup_f64 v[212:213], v[214:215], v[212:213], 1.0
	v_mul_f64 v[214:215], v[228:229], -v[212:213]
.LBB104_996:
	s_or_b64 exec, exec, s[16:17]
.LBB104_997:
	s_or_b64 exec, exec, s[0:1]
	v_cmp_ne_u32_e32 vcc, v225, v222
	s_and_saveexec_b64 s[0:1], vcc
	s_xor_b64 s[0:1], exec, s[0:1]
	s_cbranch_execz .LBB104_1003
; %bb.998:
	v_cmp_eq_u32_e32 vcc, 47, v225
	s_and_saveexec_b64 s[16:17], vcc
	s_cbranch_execz .LBB104_1002
; %bb.999:
	v_cmp_ne_u32_e32 vcc, 47, v222
	s_xor_b64 s[18:19], s[14:15], -1
	s_and_b64 s[22:23], s[18:19], vcc
	s_and_saveexec_b64 s[18:19], s[22:23]
	s_cbranch_execz .LBB104_1001
; %bb.1000:
	v_ashrrev_i32_e32 v223, 31, v222
	v_lshl_add_u64 v[228:229], v[222:223], 2, v[220:221]
	global_load_dword v223, v[228:229], off
	global_load_dword v225, v[220:221], off offset:188
	s_waitcnt vmcnt(1)
	global_store_dword v[220:221], v223, off offset:188
	s_waitcnt vmcnt(1)
	global_store_dword v[228:229], v225, off
.LBB104_1001:
	s_or_b64 exec, exec, s[18:19]
	v_mov_b32_e32 v225, v222
	v_mov_b32_e32 v227, v222
.LBB104_1002:
	s_or_b64 exec, exec, s[16:17]
.LBB104_1003:
	s_andn2_saveexec_b64 s[0:1], s[0:1]
	s_cbranch_execz .LBB104_1005
; %bb.1004:
	v_mov_b32_e32 v225, 47
	s_waitcnt vmcnt(4)
	ds_write2_b64 v224, v[12:13], v[14:15] offset0:96 offset1:97
	s_waitcnt vmcnt(3)
	ds_write2_b64 v224, v[8:9], v[10:11] offset0:98 offset1:99
	;; [unrolled: 2-line block ×5, first 2 shown]
.LBB104_1005:
	s_or_b64 exec, exec, s[0:1]
	v_cmp_lt_i32_e32 vcc, 47, v225
	s_waitcnt lgkmcnt(0)
	s_barrier
	s_and_saveexec_b64 s[0:1], vcc
	s_cbranch_execz .LBB104_1007
; %bb.1006:
	ds_read2_b64 v[228:231], v224 offset0:96 offset1:97
	v_mul_f64 v[222:223], v[212:213], v[18:19]
	v_fmac_f64_e32 v[222:223], v[214:215], v[16:17]
	v_mul_f64 v[18:19], v[214:215], v[18:19]
	v_fma_f64 v[16:17], v[212:213], v[16:17], -v[18:19]
	ds_read2_b64 v[212:215], v224 offset0:98 offset1:99
	s_waitcnt lgkmcnt(1)
	v_mul_f64 v[18:19], v[230:231], v[222:223]
	v_fma_f64 v[18:19], v[228:229], v[16:17], -v[18:19]
	v_mul_f64 v[228:229], v[228:229], v[222:223]
	v_fmac_f64_e32 v[228:229], v[230:231], v[16:17]
	s_waitcnt vmcnt(4)
	v_add_f64 v[14:15], v[14:15], -v[228:229]
	ds_read2_b64 v[228:231], v224 offset0:100 offset1:101
	v_add_f64 v[12:13], v[12:13], -v[18:19]
	s_waitcnt lgkmcnt(1)
	v_mul_f64 v[18:19], v[214:215], v[222:223]
	v_fma_f64 v[18:19], v[212:213], v[16:17], -v[18:19]
	v_mul_f64 v[212:213], v[212:213], v[222:223]
	v_fmac_f64_e32 v[212:213], v[214:215], v[16:17]
	s_waitcnt vmcnt(3)
	v_add_f64 v[8:9], v[8:9], -v[18:19]
	v_add_f64 v[10:11], v[10:11], -v[212:213]
	ds_read2_b64 v[212:215], v224 offset0:102 offset1:103
	s_waitcnt lgkmcnt(1)
	v_mul_f64 v[18:19], v[230:231], v[222:223]
	v_fma_f64 v[18:19], v[228:229], v[16:17], -v[18:19]
	v_mul_f64 v[228:229], v[228:229], v[222:223]
	v_fmac_f64_e32 v[228:229], v[230:231], v[16:17]
	s_waitcnt vmcnt(2)
	v_add_f64 v[6:7], v[6:7], -v[228:229]
	ds_read2_b64 v[228:231], v224 offset0:104 offset1:105
	v_add_f64 v[4:5], v[4:5], -v[18:19]
	s_waitcnt lgkmcnt(1)
	v_mul_f64 v[18:19], v[214:215], v[222:223]
	v_fma_f64 v[18:19], v[212:213], v[16:17], -v[18:19]
	v_mul_f64 v[212:213], v[212:213], v[222:223]
	v_fmac_f64_e32 v[212:213], v[214:215], v[16:17]
	s_waitcnt vmcnt(1)
	v_add_f64 v[0:1], v[0:1], -v[18:19]
	v_add_f64 v[2:3], v[2:3], -v[212:213]
	s_waitcnt lgkmcnt(0)
	v_mul_f64 v[18:19], v[230:231], v[222:223]
	v_mul_f64 v[212:213], v[228:229], v[222:223]
	v_fma_f64 v[18:19], v[228:229], v[16:17], -v[18:19]
	v_fmac_f64_e32 v[212:213], v[230:231], v[16:17]
	s_waitcnt vmcnt(0)
	v_add_f64 v[208:209], v[208:209], -v[18:19]
	v_add_f64 v[210:211], v[210:211], -v[212:213]
	v_mov_b64_e32 v[18:19], v[222:223]
.LBB104_1007:
	s_or_b64 exec, exec, s[0:1]
	v_lshl_add_u32 v212, v225, 4, v224
	s_barrier
	s_waitcnt vmcnt(4)
	ds_write2_b64 v212, v[12:13], v[14:15] offset1:1
	s_waitcnt lgkmcnt(0)
	s_barrier
	ds_read2_b64 v[212:215], v224 offset0:96 offset1:97
	s_cmp_lt_i32 s20, 50
	v_mov_b32_e32 v222, 48
	s_cbranch_scc1 .LBB104_1010
; %bb.1008:
	v_add_u32_e32 v223, 0x310, v224
	s_mov_b32 s16, 49
	v_mov_b32_e32 v222, 48
.LBB104_1009:                           ; =>This Inner Loop Header: Depth=1
	ds_read2_b64 v[228:231], v223 offset1:1
	s_waitcnt lgkmcnt(1)
	v_xor_b32_e32 v233, 0x80000000, v213
	v_xor_b32_e32 v235, 0x80000000, v215
	v_cmp_gt_f64_e32 vcc, 0, v[214:215]
	v_cmp_gt_f64_e64 s[0:1], 0, v[212:213]
	v_mov_b32_e32 v232, v212
	v_mov_b32_e32 v234, v214
	v_cndmask_b32_e64 v233, v213, v233, s[0:1]
	v_cndmask_b32_e32 v235, v215, v235, vcc
	v_add_f64 v[232:233], v[232:233], v[234:235]
	s_waitcnt lgkmcnt(0)
	v_xor_b32_e32 v235, 0x80000000, v229
	v_xor_b32_e32 v237, 0x80000000, v231
	v_cmp_gt_f64_e32 vcc, 0, v[230:231]
	v_cmp_gt_f64_e64 s[0:1], 0, v[228:229]
	v_mov_b32_e32 v234, v228
	v_mov_b32_e32 v236, v230
	v_cndmask_b32_e64 v235, v229, v235, s[0:1]
	v_cndmask_b32_e32 v237, v231, v237, vcc
	v_add_f64 v[234:235], v[234:235], v[236:237]
	v_mov_b32_e32 v238, s16
	s_add_i32 s16, s16, 1
	v_cmp_lt_f64_e32 vcc, v[232:233], v[234:235]
	v_add_u32_e32 v223, 16, v223
	s_cmp_lg_u32 s20, s16
	v_cndmask_b32_e32 v213, v213, v229, vcc
	v_cndmask_b32_e32 v212, v212, v228, vcc
	;; [unrolled: 1-line block ×5, first 2 shown]
	s_cbranch_scc1 .LBB104_1009
.LBB104_1010:
	s_waitcnt lgkmcnt(0)
	v_cmp_eq_f64_e32 vcc, 0, v[212:213]
	v_cmp_eq_f64_e64 s[0:1], 0, v[214:215]
	s_and_b64 s[0:1], vcc, s[0:1]
	s_and_saveexec_b64 s[16:17], s[0:1]
	s_xor_b64 s[0:1], exec, s[16:17]
; %bb.1011:
	v_cmp_ne_u32_e32 vcc, 0, v226
	s_nop 1
	v_cndmask_b32_e32 v226, 49, v226, vcc
; %bb.1012:
	s_andn2_saveexec_b64 s[0:1], s[0:1]
	s_cbranch_execz .LBB104_1018
; %bb.1013:
	v_cmp_ngt_f64_e64 s[16:17], |v[212:213]|, |v[214:215]|
	s_and_saveexec_b64 s[18:19], s[16:17]
	s_xor_b64 s[16:17], exec, s[18:19]
	s_cbranch_execz .LBB104_1015
; %bb.1014:
	v_div_scale_f64 v[228:229], s[18:19], v[214:215], v[214:215], v[212:213]
	v_rcp_f64_e32 v[230:231], v[228:229]
	v_div_scale_f64 v[232:233], vcc, v[212:213], v[214:215], v[212:213]
	v_fma_f64 v[234:235], -v[228:229], v[230:231], 1.0
	v_fmac_f64_e32 v[230:231], v[230:231], v[234:235]
	v_fma_f64 v[234:235], -v[228:229], v[230:231], 1.0
	v_fmac_f64_e32 v[230:231], v[230:231], v[234:235]
	v_mul_f64 v[234:235], v[232:233], v[230:231]
	v_fma_f64 v[228:229], -v[228:229], v[234:235], v[232:233]
	v_div_fmas_f64 v[228:229], v[228:229], v[230:231], v[234:235]
	v_div_fixup_f64 v[228:229], v[228:229], v[214:215], v[212:213]
	v_fmac_f64_e32 v[214:215], v[212:213], v[228:229]
	v_div_scale_f64 v[212:213], s[18:19], v[214:215], v[214:215], 1.0
	v_rcp_f64_e32 v[230:231], v[212:213]
	s_nop 0
	v_fma_f64 v[232:233], -v[212:213], v[230:231], 1.0
	v_fmac_f64_e32 v[230:231], v[230:231], v[232:233]
	v_fma_f64 v[232:233], -v[212:213], v[230:231], 1.0
	v_fmac_f64_e32 v[230:231], v[230:231], v[232:233]
	v_div_scale_f64 v[232:233], vcc, 1.0, v[214:215], 1.0
	v_mul_f64 v[234:235], v[232:233], v[230:231]
	v_fma_f64 v[212:213], -v[212:213], v[234:235], v[232:233]
	s_nop 1
	v_div_fmas_f64 v[212:213], v[212:213], v[230:231], v[234:235]
	v_div_fixup_f64 v[214:215], v[212:213], v[214:215], 1.0
	v_mul_f64 v[212:213], v[228:229], v[214:215]
	v_xor_b32_e32 v215, 0x80000000, v215
.LBB104_1015:
	s_andn2_saveexec_b64 s[16:17], s[16:17]
	s_cbranch_execz .LBB104_1017
; %bb.1016:
	v_div_scale_f64 v[228:229], s[18:19], v[212:213], v[212:213], v[214:215]
	v_rcp_f64_e32 v[230:231], v[228:229]
	v_div_scale_f64 v[232:233], vcc, v[214:215], v[212:213], v[214:215]
	v_fma_f64 v[234:235], -v[228:229], v[230:231], 1.0
	v_fmac_f64_e32 v[230:231], v[230:231], v[234:235]
	v_fma_f64 v[234:235], -v[228:229], v[230:231], 1.0
	v_fmac_f64_e32 v[230:231], v[230:231], v[234:235]
	v_mul_f64 v[234:235], v[232:233], v[230:231]
	v_fma_f64 v[228:229], -v[228:229], v[234:235], v[232:233]
	v_div_fmas_f64 v[228:229], v[228:229], v[230:231], v[234:235]
	v_div_fixup_f64 v[228:229], v[228:229], v[212:213], v[214:215]
	v_fmac_f64_e32 v[212:213], v[214:215], v[228:229]
	v_div_scale_f64 v[214:215], s[18:19], v[212:213], v[212:213], 1.0
	v_rcp_f64_e32 v[230:231], v[214:215]
	s_nop 0
	v_fma_f64 v[232:233], -v[214:215], v[230:231], 1.0
	v_fmac_f64_e32 v[230:231], v[230:231], v[232:233]
	v_fma_f64 v[232:233], -v[214:215], v[230:231], 1.0
	v_fmac_f64_e32 v[230:231], v[230:231], v[232:233]
	v_div_scale_f64 v[232:233], vcc, 1.0, v[212:213], 1.0
	v_mul_f64 v[234:235], v[232:233], v[230:231]
	v_fma_f64 v[214:215], -v[214:215], v[234:235], v[232:233]
	s_nop 1
	v_div_fmas_f64 v[214:215], v[214:215], v[230:231], v[234:235]
	v_div_fixup_f64 v[212:213], v[214:215], v[212:213], 1.0
	v_mul_f64 v[214:215], v[228:229], -v[212:213]
.LBB104_1017:
	s_or_b64 exec, exec, s[16:17]
.LBB104_1018:
	s_or_b64 exec, exec, s[0:1]
	v_cmp_ne_u32_e32 vcc, v225, v222
	s_and_saveexec_b64 s[0:1], vcc
	s_xor_b64 s[0:1], exec, s[0:1]
	s_cbranch_execz .LBB104_1024
; %bb.1019:
	v_cmp_eq_u32_e32 vcc, 48, v225
	s_and_saveexec_b64 s[16:17], vcc
	s_cbranch_execz .LBB104_1023
; %bb.1020:
	v_cmp_ne_u32_e32 vcc, 48, v222
	s_xor_b64 s[18:19], s[14:15], -1
	s_and_b64 s[22:23], s[18:19], vcc
	s_and_saveexec_b64 s[18:19], s[22:23]
	s_cbranch_execz .LBB104_1022
; %bb.1021:
	v_ashrrev_i32_e32 v223, 31, v222
	v_lshl_add_u64 v[228:229], v[222:223], 2, v[220:221]
	global_load_dword v223, v[228:229], off
	global_load_dword v225, v[220:221], off offset:192
	s_waitcnt vmcnt(1)
	global_store_dword v[220:221], v223, off offset:192
	s_waitcnt vmcnt(1)
	global_store_dword v[228:229], v225, off
.LBB104_1022:
	s_or_b64 exec, exec, s[18:19]
	v_mov_b32_e32 v225, v222
	v_mov_b32_e32 v227, v222
.LBB104_1023:
	s_or_b64 exec, exec, s[16:17]
.LBB104_1024:
	s_andn2_saveexec_b64 s[0:1], s[0:1]
	s_cbranch_execz .LBB104_1026
; %bb.1025:
	v_mov_b32_e32 v225, 48
	s_waitcnt vmcnt(3)
	ds_write2_b64 v224, v[8:9], v[10:11] offset0:98 offset1:99
	s_waitcnt vmcnt(2)
	ds_write2_b64 v224, v[4:5], v[6:7] offset0:100 offset1:101
	;; [unrolled: 2-line block ×4, first 2 shown]
.LBB104_1026:
	s_or_b64 exec, exec, s[0:1]
	v_cmp_lt_i32_e32 vcc, 48, v225
	s_waitcnt lgkmcnt(0)
	s_barrier
	s_and_saveexec_b64 s[0:1], vcc
	s_cbranch_execz .LBB104_1028
; %bb.1027:
	ds_read2_b64 v[228:231], v224 offset0:98 offset1:99
	v_mul_f64 v[222:223], v[212:213], v[14:15]
	v_mul_f64 v[14:15], v[214:215], v[14:15]
	v_fmac_f64_e32 v[222:223], v[214:215], v[12:13]
	v_fma_f64 v[12:13], v[212:213], v[12:13], -v[14:15]
	ds_read2_b64 v[212:215], v224 offset0:100 offset1:101
	s_waitcnt lgkmcnt(1)
	v_mul_f64 v[14:15], v[230:231], v[222:223]
	v_fma_f64 v[14:15], v[228:229], v[12:13], -v[14:15]
	v_mul_f64 v[228:229], v[228:229], v[222:223]
	v_fmac_f64_e32 v[228:229], v[230:231], v[12:13]
	s_waitcnt vmcnt(3)
	v_add_f64 v[8:9], v[8:9], -v[14:15]
	s_waitcnt lgkmcnt(0)
	v_mul_f64 v[14:15], v[214:215], v[222:223]
	v_add_f64 v[10:11], v[10:11], -v[228:229]
	v_fma_f64 v[14:15], v[212:213], v[12:13], -v[14:15]
	v_mul_f64 v[212:213], v[212:213], v[222:223]
	ds_read2_b64 v[228:231], v224 offset0:102 offset1:103
	v_fmac_f64_e32 v[212:213], v[214:215], v[12:13]
	s_waitcnt vmcnt(2)
	v_add_f64 v[6:7], v[6:7], -v[212:213]
	ds_read2_b64 v[212:215], v224 offset0:104 offset1:105
	v_add_f64 v[4:5], v[4:5], -v[14:15]
	s_waitcnt lgkmcnt(1)
	v_mul_f64 v[14:15], v[230:231], v[222:223]
	v_fma_f64 v[14:15], v[228:229], v[12:13], -v[14:15]
	s_waitcnt vmcnt(1)
	v_add_f64 v[0:1], v[0:1], -v[14:15]
	s_waitcnt lgkmcnt(0)
	v_mul_f64 v[14:15], v[214:215], v[222:223]
	v_mul_f64 v[228:229], v[228:229], v[222:223]
	v_fma_f64 v[14:15], v[212:213], v[12:13], -v[14:15]
	v_mul_f64 v[212:213], v[212:213], v[222:223]
	v_fmac_f64_e32 v[228:229], v[230:231], v[12:13]
	v_fmac_f64_e32 v[212:213], v[214:215], v[12:13]
	v_add_f64 v[2:3], v[2:3], -v[228:229]
	s_waitcnt vmcnt(0)
	v_add_f64 v[208:209], v[208:209], -v[14:15]
	v_add_f64 v[210:211], v[210:211], -v[212:213]
	v_mov_b64_e32 v[14:15], v[222:223]
.LBB104_1028:
	s_or_b64 exec, exec, s[0:1]
	v_lshl_add_u32 v212, v225, 4, v224
	s_barrier
	s_waitcnt vmcnt(3)
	ds_write2_b64 v212, v[8:9], v[10:11] offset1:1
	s_waitcnt lgkmcnt(0)
	s_barrier
	ds_read2_b64 v[212:215], v224 offset0:98 offset1:99
	s_cmp_lt_i32 s20, 51
	v_mov_b32_e32 v222, 49
	s_cbranch_scc1 .LBB104_1031
; %bb.1029:
	v_add_u32_e32 v223, 0x320, v224
	s_mov_b32 s16, 50
	v_mov_b32_e32 v222, 49
.LBB104_1030:                           ; =>This Inner Loop Header: Depth=1
	ds_read2_b64 v[228:231], v223 offset1:1
	s_waitcnt lgkmcnt(1)
	v_xor_b32_e32 v233, 0x80000000, v213
	v_xor_b32_e32 v235, 0x80000000, v215
	v_cmp_gt_f64_e32 vcc, 0, v[214:215]
	v_cmp_gt_f64_e64 s[0:1], 0, v[212:213]
	v_mov_b32_e32 v232, v212
	v_mov_b32_e32 v234, v214
	v_cndmask_b32_e64 v233, v213, v233, s[0:1]
	v_cndmask_b32_e32 v235, v215, v235, vcc
	v_add_f64 v[232:233], v[232:233], v[234:235]
	s_waitcnt lgkmcnt(0)
	v_xor_b32_e32 v235, 0x80000000, v229
	v_xor_b32_e32 v237, 0x80000000, v231
	v_cmp_gt_f64_e32 vcc, 0, v[230:231]
	v_cmp_gt_f64_e64 s[0:1], 0, v[228:229]
	v_mov_b32_e32 v234, v228
	v_mov_b32_e32 v236, v230
	v_cndmask_b32_e64 v235, v229, v235, s[0:1]
	v_cndmask_b32_e32 v237, v231, v237, vcc
	v_add_f64 v[234:235], v[234:235], v[236:237]
	v_mov_b32_e32 v238, s16
	s_add_i32 s16, s16, 1
	v_cmp_lt_f64_e32 vcc, v[232:233], v[234:235]
	v_add_u32_e32 v223, 16, v223
	s_cmp_lg_u32 s20, s16
	v_cndmask_b32_e32 v213, v213, v229, vcc
	v_cndmask_b32_e32 v212, v212, v228, vcc
	;; [unrolled: 1-line block ×5, first 2 shown]
	s_cbranch_scc1 .LBB104_1030
.LBB104_1031:
	s_waitcnt lgkmcnt(0)
	v_cmp_eq_f64_e32 vcc, 0, v[212:213]
	v_cmp_eq_f64_e64 s[0:1], 0, v[214:215]
	s_and_b64 s[0:1], vcc, s[0:1]
	s_and_saveexec_b64 s[16:17], s[0:1]
	s_xor_b64 s[0:1], exec, s[16:17]
; %bb.1032:
	v_cmp_ne_u32_e32 vcc, 0, v226
	s_nop 1
	v_cndmask_b32_e32 v226, 50, v226, vcc
; %bb.1033:
	s_andn2_saveexec_b64 s[0:1], s[0:1]
	s_cbranch_execz .LBB104_1039
; %bb.1034:
	v_cmp_ngt_f64_e64 s[16:17], |v[212:213]|, |v[214:215]|
	s_and_saveexec_b64 s[18:19], s[16:17]
	s_xor_b64 s[16:17], exec, s[18:19]
	s_cbranch_execz .LBB104_1036
; %bb.1035:
	v_div_scale_f64 v[228:229], s[18:19], v[214:215], v[214:215], v[212:213]
	v_rcp_f64_e32 v[230:231], v[228:229]
	v_div_scale_f64 v[232:233], vcc, v[212:213], v[214:215], v[212:213]
	v_fma_f64 v[234:235], -v[228:229], v[230:231], 1.0
	v_fmac_f64_e32 v[230:231], v[230:231], v[234:235]
	v_fma_f64 v[234:235], -v[228:229], v[230:231], 1.0
	v_fmac_f64_e32 v[230:231], v[230:231], v[234:235]
	v_mul_f64 v[234:235], v[232:233], v[230:231]
	v_fma_f64 v[228:229], -v[228:229], v[234:235], v[232:233]
	v_div_fmas_f64 v[228:229], v[228:229], v[230:231], v[234:235]
	v_div_fixup_f64 v[228:229], v[228:229], v[214:215], v[212:213]
	v_fmac_f64_e32 v[214:215], v[212:213], v[228:229]
	v_div_scale_f64 v[212:213], s[18:19], v[214:215], v[214:215], 1.0
	v_rcp_f64_e32 v[230:231], v[212:213]
	s_nop 0
	v_fma_f64 v[232:233], -v[212:213], v[230:231], 1.0
	v_fmac_f64_e32 v[230:231], v[230:231], v[232:233]
	v_fma_f64 v[232:233], -v[212:213], v[230:231], 1.0
	v_fmac_f64_e32 v[230:231], v[230:231], v[232:233]
	v_div_scale_f64 v[232:233], vcc, 1.0, v[214:215], 1.0
	v_mul_f64 v[234:235], v[232:233], v[230:231]
	v_fma_f64 v[212:213], -v[212:213], v[234:235], v[232:233]
	s_nop 1
	v_div_fmas_f64 v[212:213], v[212:213], v[230:231], v[234:235]
	v_div_fixup_f64 v[214:215], v[212:213], v[214:215], 1.0
	v_mul_f64 v[212:213], v[228:229], v[214:215]
	v_xor_b32_e32 v215, 0x80000000, v215
.LBB104_1036:
	s_andn2_saveexec_b64 s[16:17], s[16:17]
	s_cbranch_execz .LBB104_1038
; %bb.1037:
	v_div_scale_f64 v[228:229], s[18:19], v[212:213], v[212:213], v[214:215]
	v_rcp_f64_e32 v[230:231], v[228:229]
	v_div_scale_f64 v[232:233], vcc, v[214:215], v[212:213], v[214:215]
	v_fma_f64 v[234:235], -v[228:229], v[230:231], 1.0
	v_fmac_f64_e32 v[230:231], v[230:231], v[234:235]
	v_fma_f64 v[234:235], -v[228:229], v[230:231], 1.0
	v_fmac_f64_e32 v[230:231], v[230:231], v[234:235]
	v_mul_f64 v[234:235], v[232:233], v[230:231]
	v_fma_f64 v[228:229], -v[228:229], v[234:235], v[232:233]
	v_div_fmas_f64 v[228:229], v[228:229], v[230:231], v[234:235]
	v_div_fixup_f64 v[228:229], v[228:229], v[212:213], v[214:215]
	v_fmac_f64_e32 v[212:213], v[214:215], v[228:229]
	v_div_scale_f64 v[214:215], s[18:19], v[212:213], v[212:213], 1.0
	v_rcp_f64_e32 v[230:231], v[214:215]
	s_nop 0
	v_fma_f64 v[232:233], -v[214:215], v[230:231], 1.0
	v_fmac_f64_e32 v[230:231], v[230:231], v[232:233]
	v_fma_f64 v[232:233], -v[214:215], v[230:231], 1.0
	v_fmac_f64_e32 v[230:231], v[230:231], v[232:233]
	v_div_scale_f64 v[232:233], vcc, 1.0, v[212:213], 1.0
	v_mul_f64 v[234:235], v[232:233], v[230:231]
	v_fma_f64 v[214:215], -v[214:215], v[234:235], v[232:233]
	s_nop 1
	v_div_fmas_f64 v[214:215], v[214:215], v[230:231], v[234:235]
	v_div_fixup_f64 v[212:213], v[214:215], v[212:213], 1.0
	v_mul_f64 v[214:215], v[228:229], -v[212:213]
.LBB104_1038:
	s_or_b64 exec, exec, s[16:17]
.LBB104_1039:
	s_or_b64 exec, exec, s[0:1]
	v_cmp_ne_u32_e32 vcc, v225, v222
	s_and_saveexec_b64 s[0:1], vcc
	s_xor_b64 s[0:1], exec, s[0:1]
	s_cbranch_execz .LBB104_1045
; %bb.1040:
	v_cmp_eq_u32_e32 vcc, 49, v225
	s_and_saveexec_b64 s[16:17], vcc
	s_cbranch_execz .LBB104_1044
; %bb.1041:
	v_cmp_ne_u32_e32 vcc, 49, v222
	s_xor_b64 s[18:19], s[14:15], -1
	s_and_b64 s[22:23], s[18:19], vcc
	s_and_saveexec_b64 s[18:19], s[22:23]
	s_cbranch_execz .LBB104_1043
; %bb.1042:
	v_ashrrev_i32_e32 v223, 31, v222
	v_lshl_add_u64 v[228:229], v[222:223], 2, v[220:221]
	global_load_dword v223, v[228:229], off
	global_load_dword v225, v[220:221], off offset:196
	s_waitcnt vmcnt(1)
	global_store_dword v[220:221], v223, off offset:196
	s_waitcnt vmcnt(1)
	global_store_dword v[228:229], v225, off
.LBB104_1043:
	s_or_b64 exec, exec, s[18:19]
	v_mov_b32_e32 v225, v222
	v_mov_b32_e32 v227, v222
.LBB104_1044:
	s_or_b64 exec, exec, s[16:17]
.LBB104_1045:
	s_andn2_saveexec_b64 s[0:1], s[0:1]
	s_cbranch_execz .LBB104_1047
; %bb.1046:
	v_mov_b32_e32 v225, 49
	s_waitcnt vmcnt(2)
	ds_write2_b64 v224, v[4:5], v[6:7] offset0:100 offset1:101
	s_waitcnt vmcnt(1)
	ds_write2_b64 v224, v[0:1], v[2:3] offset0:102 offset1:103
	;; [unrolled: 2-line block ×3, first 2 shown]
.LBB104_1047:
	s_or_b64 exec, exec, s[0:1]
	v_cmp_lt_i32_e32 vcc, 49, v225
	s_waitcnt lgkmcnt(0)
	s_barrier
	s_and_saveexec_b64 s[0:1], vcc
	s_cbranch_execz .LBB104_1049
; %bb.1048:
	ds_read2_b64 v[228:231], v224 offset0:100 offset1:101
	v_mul_f64 v[222:223], v[212:213], v[10:11]
	v_fmac_f64_e32 v[222:223], v[214:215], v[8:9]
	v_mul_f64 v[10:11], v[214:215], v[10:11]
	v_fma_f64 v[8:9], v[212:213], v[8:9], -v[10:11]
	ds_read2_b64 v[212:215], v224 offset0:102 offset1:103
	s_waitcnt lgkmcnt(1)
	v_mul_f64 v[10:11], v[230:231], v[222:223]
	v_fma_f64 v[10:11], v[228:229], v[8:9], -v[10:11]
	v_mul_f64 v[228:229], v[228:229], v[222:223]
	v_fmac_f64_e32 v[228:229], v[230:231], v[8:9]
	s_waitcnt vmcnt(2)
	v_add_f64 v[6:7], v[6:7], -v[228:229]
	ds_read2_b64 v[228:231], v224 offset0:104 offset1:105
	v_add_f64 v[4:5], v[4:5], -v[10:11]
	s_waitcnt lgkmcnt(1)
	v_mul_f64 v[10:11], v[214:215], v[222:223]
	v_fma_f64 v[10:11], v[212:213], v[8:9], -v[10:11]
	v_mul_f64 v[212:213], v[212:213], v[222:223]
	v_fmac_f64_e32 v[212:213], v[214:215], v[8:9]
	s_waitcnt vmcnt(1)
	v_add_f64 v[0:1], v[0:1], -v[10:11]
	v_add_f64 v[2:3], v[2:3], -v[212:213]
	s_waitcnt lgkmcnt(0)
	v_mul_f64 v[10:11], v[230:231], v[222:223]
	v_mul_f64 v[212:213], v[228:229], v[222:223]
	v_fma_f64 v[10:11], v[228:229], v[8:9], -v[10:11]
	v_fmac_f64_e32 v[212:213], v[230:231], v[8:9]
	s_waitcnt vmcnt(0)
	v_add_f64 v[208:209], v[208:209], -v[10:11]
	v_add_f64 v[210:211], v[210:211], -v[212:213]
	v_mov_b64_e32 v[10:11], v[222:223]
.LBB104_1049:
	s_or_b64 exec, exec, s[0:1]
	v_lshl_add_u32 v212, v225, 4, v224
	s_barrier
	s_waitcnt vmcnt(2)
	ds_write2_b64 v212, v[4:5], v[6:7] offset1:1
	s_waitcnt lgkmcnt(0)
	s_barrier
	ds_read2_b64 v[212:215], v224 offset0:100 offset1:101
	s_cmp_lt_i32 s20, 52
	v_mov_b32_e32 v222, 50
	s_cbranch_scc1 .LBB104_1052
; %bb.1050:
	v_add_u32_e32 v223, 0x330, v224
	s_mov_b32 s16, 51
	v_mov_b32_e32 v222, 50
.LBB104_1051:                           ; =>This Inner Loop Header: Depth=1
	ds_read2_b64 v[228:231], v223 offset1:1
	s_waitcnt lgkmcnt(1)
	v_xor_b32_e32 v233, 0x80000000, v213
	v_xor_b32_e32 v235, 0x80000000, v215
	v_cmp_gt_f64_e32 vcc, 0, v[214:215]
	v_cmp_gt_f64_e64 s[0:1], 0, v[212:213]
	v_mov_b32_e32 v232, v212
	v_mov_b32_e32 v234, v214
	v_cndmask_b32_e64 v233, v213, v233, s[0:1]
	v_cndmask_b32_e32 v235, v215, v235, vcc
	v_add_f64 v[232:233], v[232:233], v[234:235]
	s_waitcnt lgkmcnt(0)
	v_xor_b32_e32 v235, 0x80000000, v229
	v_xor_b32_e32 v237, 0x80000000, v231
	v_cmp_gt_f64_e32 vcc, 0, v[230:231]
	v_cmp_gt_f64_e64 s[0:1], 0, v[228:229]
	v_mov_b32_e32 v234, v228
	v_mov_b32_e32 v236, v230
	v_cndmask_b32_e64 v235, v229, v235, s[0:1]
	v_cndmask_b32_e32 v237, v231, v237, vcc
	v_add_f64 v[234:235], v[234:235], v[236:237]
	v_mov_b32_e32 v238, s16
	s_add_i32 s16, s16, 1
	v_cmp_lt_f64_e32 vcc, v[232:233], v[234:235]
	v_add_u32_e32 v223, 16, v223
	s_cmp_lg_u32 s20, s16
	v_cndmask_b32_e32 v213, v213, v229, vcc
	v_cndmask_b32_e32 v212, v212, v228, vcc
	;; [unrolled: 1-line block ×5, first 2 shown]
	s_cbranch_scc1 .LBB104_1051
.LBB104_1052:
	s_waitcnt lgkmcnt(0)
	v_cmp_eq_f64_e32 vcc, 0, v[212:213]
	v_cmp_eq_f64_e64 s[0:1], 0, v[214:215]
	s_and_b64 s[0:1], vcc, s[0:1]
	s_and_saveexec_b64 s[16:17], s[0:1]
	s_xor_b64 s[0:1], exec, s[16:17]
; %bb.1053:
	v_cmp_ne_u32_e32 vcc, 0, v226
	s_nop 1
	v_cndmask_b32_e32 v226, 51, v226, vcc
; %bb.1054:
	s_andn2_saveexec_b64 s[0:1], s[0:1]
	s_cbranch_execz .LBB104_1060
; %bb.1055:
	v_cmp_ngt_f64_e64 s[16:17], |v[212:213]|, |v[214:215]|
	s_and_saveexec_b64 s[18:19], s[16:17]
	s_xor_b64 s[16:17], exec, s[18:19]
	s_cbranch_execz .LBB104_1057
; %bb.1056:
	v_div_scale_f64 v[228:229], s[18:19], v[214:215], v[214:215], v[212:213]
	v_rcp_f64_e32 v[230:231], v[228:229]
	v_div_scale_f64 v[232:233], vcc, v[212:213], v[214:215], v[212:213]
	v_fma_f64 v[234:235], -v[228:229], v[230:231], 1.0
	v_fmac_f64_e32 v[230:231], v[230:231], v[234:235]
	v_fma_f64 v[234:235], -v[228:229], v[230:231], 1.0
	v_fmac_f64_e32 v[230:231], v[230:231], v[234:235]
	v_mul_f64 v[234:235], v[232:233], v[230:231]
	v_fma_f64 v[228:229], -v[228:229], v[234:235], v[232:233]
	v_div_fmas_f64 v[228:229], v[228:229], v[230:231], v[234:235]
	v_div_fixup_f64 v[228:229], v[228:229], v[214:215], v[212:213]
	v_fmac_f64_e32 v[214:215], v[212:213], v[228:229]
	v_div_scale_f64 v[212:213], s[18:19], v[214:215], v[214:215], 1.0
	v_rcp_f64_e32 v[230:231], v[212:213]
	s_nop 0
	v_fma_f64 v[232:233], -v[212:213], v[230:231], 1.0
	v_fmac_f64_e32 v[230:231], v[230:231], v[232:233]
	v_fma_f64 v[232:233], -v[212:213], v[230:231], 1.0
	v_fmac_f64_e32 v[230:231], v[230:231], v[232:233]
	v_div_scale_f64 v[232:233], vcc, 1.0, v[214:215], 1.0
	v_mul_f64 v[234:235], v[232:233], v[230:231]
	v_fma_f64 v[212:213], -v[212:213], v[234:235], v[232:233]
	s_nop 1
	v_div_fmas_f64 v[212:213], v[212:213], v[230:231], v[234:235]
	v_div_fixup_f64 v[214:215], v[212:213], v[214:215], 1.0
	v_mul_f64 v[212:213], v[228:229], v[214:215]
	v_xor_b32_e32 v215, 0x80000000, v215
.LBB104_1057:
	s_andn2_saveexec_b64 s[16:17], s[16:17]
	s_cbranch_execz .LBB104_1059
; %bb.1058:
	v_div_scale_f64 v[228:229], s[18:19], v[212:213], v[212:213], v[214:215]
	v_rcp_f64_e32 v[230:231], v[228:229]
	v_div_scale_f64 v[232:233], vcc, v[214:215], v[212:213], v[214:215]
	v_fma_f64 v[234:235], -v[228:229], v[230:231], 1.0
	v_fmac_f64_e32 v[230:231], v[230:231], v[234:235]
	v_fma_f64 v[234:235], -v[228:229], v[230:231], 1.0
	v_fmac_f64_e32 v[230:231], v[230:231], v[234:235]
	v_mul_f64 v[234:235], v[232:233], v[230:231]
	v_fma_f64 v[228:229], -v[228:229], v[234:235], v[232:233]
	v_div_fmas_f64 v[228:229], v[228:229], v[230:231], v[234:235]
	v_div_fixup_f64 v[228:229], v[228:229], v[212:213], v[214:215]
	v_fmac_f64_e32 v[212:213], v[214:215], v[228:229]
	v_div_scale_f64 v[214:215], s[18:19], v[212:213], v[212:213], 1.0
	v_rcp_f64_e32 v[230:231], v[214:215]
	s_nop 0
	v_fma_f64 v[232:233], -v[214:215], v[230:231], 1.0
	v_fmac_f64_e32 v[230:231], v[230:231], v[232:233]
	v_fma_f64 v[232:233], -v[214:215], v[230:231], 1.0
	v_fmac_f64_e32 v[230:231], v[230:231], v[232:233]
	v_div_scale_f64 v[232:233], vcc, 1.0, v[212:213], 1.0
	v_mul_f64 v[234:235], v[232:233], v[230:231]
	v_fma_f64 v[214:215], -v[214:215], v[234:235], v[232:233]
	s_nop 1
	v_div_fmas_f64 v[214:215], v[214:215], v[230:231], v[234:235]
	v_div_fixup_f64 v[212:213], v[214:215], v[212:213], 1.0
	v_mul_f64 v[214:215], v[228:229], -v[212:213]
.LBB104_1059:
	s_or_b64 exec, exec, s[16:17]
.LBB104_1060:
	s_or_b64 exec, exec, s[0:1]
	v_cmp_ne_u32_e32 vcc, v225, v222
	s_and_saveexec_b64 s[0:1], vcc
	s_xor_b64 s[0:1], exec, s[0:1]
	s_cbranch_execz .LBB104_1066
; %bb.1061:
	v_cmp_eq_u32_e32 vcc, 50, v225
	s_and_saveexec_b64 s[16:17], vcc
	s_cbranch_execz .LBB104_1065
; %bb.1062:
	v_cmp_ne_u32_e32 vcc, 50, v222
	s_xor_b64 s[18:19], s[14:15], -1
	s_and_b64 s[22:23], s[18:19], vcc
	s_and_saveexec_b64 s[18:19], s[22:23]
	s_cbranch_execz .LBB104_1064
; %bb.1063:
	v_ashrrev_i32_e32 v223, 31, v222
	v_lshl_add_u64 v[228:229], v[222:223], 2, v[220:221]
	global_load_dword v223, v[228:229], off
	global_load_dword v225, v[220:221], off offset:200
	s_waitcnt vmcnt(1)
	global_store_dword v[220:221], v223, off offset:200
	s_waitcnt vmcnt(1)
	global_store_dword v[228:229], v225, off
.LBB104_1064:
	s_or_b64 exec, exec, s[18:19]
	v_mov_b32_e32 v225, v222
	v_mov_b32_e32 v227, v222
.LBB104_1065:
	s_or_b64 exec, exec, s[16:17]
.LBB104_1066:
	s_andn2_saveexec_b64 s[0:1], s[0:1]
	s_cbranch_execz .LBB104_1068
; %bb.1067:
	v_mov_b32_e32 v225, 50
	s_waitcnt vmcnt(1)
	ds_write2_b64 v224, v[0:1], v[2:3] offset0:102 offset1:103
	s_waitcnt vmcnt(0)
	ds_write2_b64 v224, v[208:209], v[210:211] offset0:104 offset1:105
.LBB104_1068:
	s_or_b64 exec, exec, s[0:1]
	v_cmp_lt_i32_e32 vcc, 50, v225
	s_waitcnt lgkmcnt(0)
	s_barrier
	s_and_saveexec_b64 s[0:1], vcc
	s_cbranch_execz .LBB104_1070
; %bb.1069:
	ds_read2_b64 v[228:231], v224 offset0:102 offset1:103
	v_mul_f64 v[222:223], v[212:213], v[6:7]
	v_mul_f64 v[6:7], v[214:215], v[6:7]
	v_fmac_f64_e32 v[222:223], v[214:215], v[4:5]
	v_fma_f64 v[4:5], v[212:213], v[4:5], -v[6:7]
	ds_read2_b64 v[212:215], v224 offset0:104 offset1:105
	s_waitcnt lgkmcnt(1)
	v_mul_f64 v[6:7], v[230:231], v[222:223]
	v_fma_f64 v[6:7], v[228:229], v[4:5], -v[6:7]
	s_waitcnt vmcnt(1)
	v_add_f64 v[0:1], v[0:1], -v[6:7]
	v_mul_f64 v[228:229], v[228:229], v[222:223]
	s_waitcnt lgkmcnt(0)
	v_mul_f64 v[6:7], v[214:215], v[222:223]
	v_fma_f64 v[6:7], v[212:213], v[4:5], -v[6:7]
	v_mul_f64 v[212:213], v[212:213], v[222:223]
	v_fmac_f64_e32 v[228:229], v[230:231], v[4:5]
	v_fmac_f64_e32 v[212:213], v[214:215], v[4:5]
	v_add_f64 v[2:3], v[2:3], -v[228:229]
	s_waitcnt vmcnt(0)
	v_add_f64 v[208:209], v[208:209], -v[6:7]
	v_add_f64 v[210:211], v[210:211], -v[212:213]
	v_mov_b64_e32 v[6:7], v[222:223]
.LBB104_1070:
	s_or_b64 exec, exec, s[0:1]
	v_lshl_add_u32 v212, v225, 4, v224
	s_barrier
	s_waitcnt vmcnt(1)
	ds_write2_b64 v212, v[0:1], v[2:3] offset1:1
	s_waitcnt lgkmcnt(0)
	s_barrier
	ds_read2_b64 v[212:215], v224 offset0:102 offset1:103
	s_cmp_lt_i32 s20, 53
	v_mov_b32_e32 v222, 51
	s_cbranch_scc1 .LBB104_1073
; %bb.1071:
	v_add_u32_e32 v223, 0x340, v224
	s_mov_b32 s16, 52
	v_mov_b32_e32 v222, 51
.LBB104_1072:                           ; =>This Inner Loop Header: Depth=1
	ds_read2_b64 v[228:231], v223 offset1:1
	s_waitcnt lgkmcnt(1)
	v_xor_b32_e32 v233, 0x80000000, v213
	v_xor_b32_e32 v235, 0x80000000, v215
	v_cmp_gt_f64_e32 vcc, 0, v[214:215]
	v_cmp_gt_f64_e64 s[0:1], 0, v[212:213]
	v_mov_b32_e32 v232, v212
	v_mov_b32_e32 v234, v214
	v_cndmask_b32_e64 v233, v213, v233, s[0:1]
	v_cndmask_b32_e32 v235, v215, v235, vcc
	v_add_f64 v[232:233], v[232:233], v[234:235]
	s_waitcnt lgkmcnt(0)
	v_xor_b32_e32 v235, 0x80000000, v229
	v_xor_b32_e32 v237, 0x80000000, v231
	v_cmp_gt_f64_e32 vcc, 0, v[230:231]
	v_cmp_gt_f64_e64 s[0:1], 0, v[228:229]
	v_mov_b32_e32 v234, v228
	v_mov_b32_e32 v236, v230
	v_cndmask_b32_e64 v235, v229, v235, s[0:1]
	v_cndmask_b32_e32 v237, v231, v237, vcc
	v_add_f64 v[234:235], v[234:235], v[236:237]
	v_mov_b32_e32 v238, s16
	s_add_i32 s16, s16, 1
	v_cmp_lt_f64_e32 vcc, v[232:233], v[234:235]
	v_add_u32_e32 v223, 16, v223
	s_cmp_lg_u32 s20, s16
	v_cndmask_b32_e32 v213, v213, v229, vcc
	v_cndmask_b32_e32 v212, v212, v228, vcc
	;; [unrolled: 1-line block ×5, first 2 shown]
	s_cbranch_scc1 .LBB104_1072
.LBB104_1073:
	s_waitcnt lgkmcnt(0)
	v_cmp_eq_f64_e32 vcc, 0, v[212:213]
	v_cmp_eq_f64_e64 s[0:1], 0, v[214:215]
	s_and_b64 s[0:1], vcc, s[0:1]
	s_and_saveexec_b64 s[16:17], s[0:1]
	s_xor_b64 s[0:1], exec, s[16:17]
; %bb.1074:
	v_cmp_ne_u32_e32 vcc, 0, v226
	s_nop 1
	v_cndmask_b32_e32 v226, 52, v226, vcc
; %bb.1075:
	s_andn2_saveexec_b64 s[0:1], s[0:1]
	s_cbranch_execz .LBB104_1081
; %bb.1076:
	v_cmp_ngt_f64_e64 s[16:17], |v[212:213]|, |v[214:215]|
	s_and_saveexec_b64 s[18:19], s[16:17]
	s_xor_b64 s[16:17], exec, s[18:19]
	s_cbranch_execz .LBB104_1078
; %bb.1077:
	v_div_scale_f64 v[228:229], s[18:19], v[214:215], v[214:215], v[212:213]
	v_rcp_f64_e32 v[230:231], v[228:229]
	v_div_scale_f64 v[232:233], vcc, v[212:213], v[214:215], v[212:213]
	v_fma_f64 v[234:235], -v[228:229], v[230:231], 1.0
	v_fmac_f64_e32 v[230:231], v[230:231], v[234:235]
	v_fma_f64 v[234:235], -v[228:229], v[230:231], 1.0
	v_fmac_f64_e32 v[230:231], v[230:231], v[234:235]
	v_mul_f64 v[234:235], v[232:233], v[230:231]
	v_fma_f64 v[228:229], -v[228:229], v[234:235], v[232:233]
	v_div_fmas_f64 v[228:229], v[228:229], v[230:231], v[234:235]
	v_div_fixup_f64 v[228:229], v[228:229], v[214:215], v[212:213]
	v_fmac_f64_e32 v[214:215], v[212:213], v[228:229]
	v_div_scale_f64 v[212:213], s[18:19], v[214:215], v[214:215], 1.0
	v_rcp_f64_e32 v[230:231], v[212:213]
	s_nop 0
	v_fma_f64 v[232:233], -v[212:213], v[230:231], 1.0
	v_fmac_f64_e32 v[230:231], v[230:231], v[232:233]
	v_fma_f64 v[232:233], -v[212:213], v[230:231], 1.0
	v_fmac_f64_e32 v[230:231], v[230:231], v[232:233]
	v_div_scale_f64 v[232:233], vcc, 1.0, v[214:215], 1.0
	v_mul_f64 v[234:235], v[232:233], v[230:231]
	v_fma_f64 v[212:213], -v[212:213], v[234:235], v[232:233]
	s_nop 1
	v_div_fmas_f64 v[212:213], v[212:213], v[230:231], v[234:235]
	v_div_fixup_f64 v[214:215], v[212:213], v[214:215], 1.0
	v_mul_f64 v[212:213], v[228:229], v[214:215]
	v_xor_b32_e32 v215, 0x80000000, v215
.LBB104_1078:
	s_andn2_saveexec_b64 s[16:17], s[16:17]
	s_cbranch_execz .LBB104_1080
; %bb.1079:
	v_div_scale_f64 v[228:229], s[18:19], v[212:213], v[212:213], v[214:215]
	v_rcp_f64_e32 v[230:231], v[228:229]
	v_div_scale_f64 v[232:233], vcc, v[214:215], v[212:213], v[214:215]
	v_fma_f64 v[234:235], -v[228:229], v[230:231], 1.0
	v_fmac_f64_e32 v[230:231], v[230:231], v[234:235]
	v_fma_f64 v[234:235], -v[228:229], v[230:231], 1.0
	v_fmac_f64_e32 v[230:231], v[230:231], v[234:235]
	v_mul_f64 v[234:235], v[232:233], v[230:231]
	v_fma_f64 v[228:229], -v[228:229], v[234:235], v[232:233]
	v_div_fmas_f64 v[228:229], v[228:229], v[230:231], v[234:235]
	v_div_fixup_f64 v[228:229], v[228:229], v[212:213], v[214:215]
	v_fmac_f64_e32 v[212:213], v[214:215], v[228:229]
	v_div_scale_f64 v[214:215], s[18:19], v[212:213], v[212:213], 1.0
	v_rcp_f64_e32 v[230:231], v[214:215]
	s_nop 0
	v_fma_f64 v[232:233], -v[214:215], v[230:231], 1.0
	v_fmac_f64_e32 v[230:231], v[230:231], v[232:233]
	v_fma_f64 v[232:233], -v[214:215], v[230:231], 1.0
	v_fmac_f64_e32 v[230:231], v[230:231], v[232:233]
	v_div_scale_f64 v[232:233], vcc, 1.0, v[212:213], 1.0
	v_mul_f64 v[234:235], v[232:233], v[230:231]
	v_fma_f64 v[214:215], -v[214:215], v[234:235], v[232:233]
	s_nop 1
	v_div_fmas_f64 v[214:215], v[214:215], v[230:231], v[234:235]
	v_div_fixup_f64 v[212:213], v[214:215], v[212:213], 1.0
	v_mul_f64 v[214:215], v[228:229], -v[212:213]
.LBB104_1080:
	s_or_b64 exec, exec, s[16:17]
.LBB104_1081:
	s_or_b64 exec, exec, s[0:1]
	v_cmp_ne_u32_e32 vcc, v225, v222
	s_and_saveexec_b64 s[0:1], vcc
	s_xor_b64 s[0:1], exec, s[0:1]
	s_cbranch_execz .LBB104_1087
; %bb.1082:
	v_cmp_eq_u32_e32 vcc, 51, v225
	s_and_saveexec_b64 s[16:17], vcc
	s_cbranch_execz .LBB104_1086
; %bb.1083:
	v_cmp_ne_u32_e32 vcc, 51, v222
	s_xor_b64 s[18:19], s[14:15], -1
	s_and_b64 s[22:23], s[18:19], vcc
	s_and_saveexec_b64 s[18:19], s[22:23]
	s_cbranch_execz .LBB104_1085
; %bb.1084:
	v_ashrrev_i32_e32 v223, 31, v222
	v_lshl_add_u64 v[228:229], v[222:223], 2, v[220:221]
	global_load_dword v223, v[228:229], off
	global_load_dword v225, v[220:221], off offset:204
	s_waitcnt vmcnt(1)
	global_store_dword v[220:221], v223, off offset:204
	s_waitcnt vmcnt(1)
	global_store_dword v[228:229], v225, off
.LBB104_1085:
	s_or_b64 exec, exec, s[18:19]
	v_mov_b32_e32 v225, v222
	v_mov_b32_e32 v227, v222
.LBB104_1086:
	s_or_b64 exec, exec, s[16:17]
.LBB104_1087:
	s_andn2_saveexec_b64 s[0:1], s[0:1]
	s_cbranch_execz .LBB104_1089
; %bb.1088:
	v_mov_b32_e32 v225, 51
	s_waitcnt vmcnt(0)
	ds_write2_b64 v224, v[208:209], v[210:211] offset0:104 offset1:105
.LBB104_1089:
	s_or_b64 exec, exec, s[0:1]
	v_cmp_lt_i32_e32 vcc, 51, v225
	s_waitcnt lgkmcnt(0)
	s_barrier
	s_and_saveexec_b64 s[0:1], vcc
	s_cbranch_execz .LBB104_1091
; %bb.1090:
	ds_read2_b64 v[228:231], v224 offset0:104 offset1:105
	v_mul_f64 v[222:223], v[212:213], v[2:3]
	v_mul_f64 v[2:3], v[214:215], v[2:3]
	v_fmac_f64_e32 v[222:223], v[214:215], v[0:1]
	v_fma_f64 v[0:1], v[212:213], v[0:1], -v[2:3]
	s_waitcnt lgkmcnt(0)
	v_mul_f64 v[2:3], v[230:231], v[222:223]
	v_mul_f64 v[212:213], v[228:229], v[222:223]
	v_fma_f64 v[2:3], v[228:229], v[0:1], -v[2:3]
	v_fmac_f64_e32 v[212:213], v[230:231], v[0:1]
	s_waitcnt vmcnt(0)
	v_add_f64 v[208:209], v[208:209], -v[2:3]
	v_add_f64 v[210:211], v[210:211], -v[212:213]
	v_mov_b64_e32 v[2:3], v[222:223]
.LBB104_1091:
	s_or_b64 exec, exec, s[0:1]
	v_lshl_add_u32 v212, v225, 4, v224
	s_barrier
	s_waitcnt vmcnt(0)
	ds_write2_b64 v212, v[208:209], v[210:211] offset1:1
	s_waitcnt lgkmcnt(0)
	s_barrier
	ds_read2_b64 v[212:215], v224 offset0:104 offset1:105
	s_cmp_lt_i32 s20, 54
	v_mov_b32_e32 v222, 52
	s_cbranch_scc1 .LBB104_1094
; %bb.1092:
	v_add_u32_e32 v223, 0x350, v224
	s_mov_b32 s16, 53
	v_mov_b32_e32 v222, 52
.LBB104_1093:                           ; =>This Inner Loop Header: Depth=1
	ds_read2_b64 v[228:231], v223 offset1:1
	s_waitcnt lgkmcnt(1)
	v_xor_b32_e32 v224, 0x80000000, v213
	v_xor_b32_e32 v235, 0x80000000, v215
	v_cmp_gt_f64_e32 vcc, 0, v[214:215]
	v_cmp_gt_f64_e64 s[0:1], 0, v[212:213]
	v_mov_b32_e32 v232, v212
	v_mov_b32_e32 v234, v214
	v_cndmask_b32_e64 v233, v213, v224, s[0:1]
	v_cndmask_b32_e32 v235, v215, v235, vcc
	s_waitcnt lgkmcnt(0)
	v_xor_b32_e32 v224, 0x80000000, v229
	v_xor_b32_e32 v237, 0x80000000, v231
	v_cmp_gt_f64_e32 vcc, 0, v[230:231]
	v_cmp_gt_f64_e64 s[0:1], 0, v[228:229]
	v_add_f64 v[232:233], v[232:233], v[234:235]
	v_mov_b32_e32 v234, v228
	v_mov_b32_e32 v236, v230
	v_cndmask_b32_e64 v235, v229, v224, s[0:1]
	v_cndmask_b32_e32 v237, v231, v237, vcc
	v_add_f64 v[234:235], v[234:235], v[236:237]
	v_mov_b32_e32 v238, s16
	s_add_i32 s16, s16, 1
	v_cmp_lt_f64_e32 vcc, v[232:233], v[234:235]
	v_add_u32_e32 v223, 16, v223
	s_cmp_lg_u32 s20, s16
	v_cndmask_b32_e32 v213, v213, v229, vcc
	v_cndmask_b32_e32 v212, v212, v228, vcc
	;; [unrolled: 1-line block ×5, first 2 shown]
	s_cbranch_scc1 .LBB104_1093
.LBB104_1094:
	s_waitcnt lgkmcnt(0)
	v_cmp_eq_f64_e32 vcc, 0, v[212:213]
	v_cmp_eq_f64_e64 s[0:1], 0, v[214:215]
	s_and_b64 s[0:1], vcc, s[0:1]
	s_and_saveexec_b64 s[16:17], s[0:1]
	s_xor_b64 s[0:1], exec, s[16:17]
; %bb.1095:
	v_cmp_ne_u32_e32 vcc, 0, v226
	s_nop 1
	v_cndmask_b32_e32 v226, 53, v226, vcc
; %bb.1096:
	s_andn2_saveexec_b64 s[0:1], s[0:1]
	s_cbranch_execz .LBB104_1102
; %bb.1097:
	v_cmp_ngt_f64_e64 s[16:17], |v[212:213]|, |v[214:215]|
	s_and_saveexec_b64 s[18:19], s[16:17]
	s_xor_b64 s[16:17], exec, s[18:19]
	s_cbranch_execz .LBB104_1099
; %bb.1098:
	v_div_scale_f64 v[228:229], s[18:19], v[214:215], v[214:215], v[212:213]
	v_rcp_f64_e32 v[230:231], v[228:229]
	v_div_scale_f64 v[232:233], vcc, v[212:213], v[214:215], v[212:213]
	v_fma_f64 v[234:235], -v[228:229], v[230:231], 1.0
	v_fmac_f64_e32 v[230:231], v[230:231], v[234:235]
	v_fma_f64 v[234:235], -v[228:229], v[230:231], 1.0
	v_fmac_f64_e32 v[230:231], v[230:231], v[234:235]
	v_mul_f64 v[234:235], v[232:233], v[230:231]
	v_fma_f64 v[228:229], -v[228:229], v[234:235], v[232:233]
	v_div_fmas_f64 v[228:229], v[228:229], v[230:231], v[234:235]
	v_div_fixup_f64 v[228:229], v[228:229], v[214:215], v[212:213]
	v_fmac_f64_e32 v[214:215], v[212:213], v[228:229]
	v_div_scale_f64 v[212:213], s[18:19], v[214:215], v[214:215], 1.0
	v_rcp_f64_e32 v[230:231], v[212:213]
	s_nop 0
	v_fma_f64 v[232:233], -v[212:213], v[230:231], 1.0
	v_fmac_f64_e32 v[230:231], v[230:231], v[232:233]
	v_fma_f64 v[232:233], -v[212:213], v[230:231], 1.0
	v_fmac_f64_e32 v[230:231], v[230:231], v[232:233]
	v_div_scale_f64 v[232:233], vcc, 1.0, v[214:215], 1.0
	v_mul_f64 v[234:235], v[232:233], v[230:231]
	v_fma_f64 v[212:213], -v[212:213], v[234:235], v[232:233]
	s_nop 1
	v_div_fmas_f64 v[212:213], v[212:213], v[230:231], v[234:235]
	v_div_fixup_f64 v[214:215], v[212:213], v[214:215], 1.0
	v_mul_f64 v[212:213], v[228:229], v[214:215]
	v_xor_b32_e32 v215, 0x80000000, v215
.LBB104_1099:
	s_andn2_saveexec_b64 s[16:17], s[16:17]
	s_cbranch_execz .LBB104_1101
; %bb.1100:
	v_div_scale_f64 v[228:229], s[18:19], v[212:213], v[212:213], v[214:215]
	v_rcp_f64_e32 v[230:231], v[228:229]
	v_div_scale_f64 v[232:233], vcc, v[214:215], v[212:213], v[214:215]
	v_fma_f64 v[234:235], -v[228:229], v[230:231], 1.0
	v_fmac_f64_e32 v[230:231], v[230:231], v[234:235]
	v_fma_f64 v[234:235], -v[228:229], v[230:231], 1.0
	v_fmac_f64_e32 v[230:231], v[230:231], v[234:235]
	v_mul_f64 v[234:235], v[232:233], v[230:231]
	v_fma_f64 v[228:229], -v[228:229], v[234:235], v[232:233]
	v_div_fmas_f64 v[228:229], v[228:229], v[230:231], v[234:235]
	v_div_fixup_f64 v[228:229], v[228:229], v[212:213], v[214:215]
	v_fmac_f64_e32 v[212:213], v[214:215], v[228:229]
	v_div_scale_f64 v[214:215], s[18:19], v[212:213], v[212:213], 1.0
	v_rcp_f64_e32 v[230:231], v[214:215]
	s_nop 0
	v_fma_f64 v[232:233], -v[214:215], v[230:231], 1.0
	v_fmac_f64_e32 v[230:231], v[230:231], v[232:233]
	v_fma_f64 v[232:233], -v[214:215], v[230:231], 1.0
	v_fmac_f64_e32 v[230:231], v[230:231], v[232:233]
	v_div_scale_f64 v[232:233], vcc, 1.0, v[212:213], 1.0
	v_mul_f64 v[234:235], v[232:233], v[230:231]
	v_fma_f64 v[214:215], -v[214:215], v[234:235], v[232:233]
	s_nop 1
	v_div_fmas_f64 v[214:215], v[214:215], v[230:231], v[234:235]
	v_div_fixup_f64 v[212:213], v[214:215], v[212:213], 1.0
	v_mul_f64 v[214:215], v[228:229], -v[212:213]
.LBB104_1101:
	s_or_b64 exec, exec, s[16:17]
.LBB104_1102:
	s_or_b64 exec, exec, s[0:1]
	v_cmp_ne_u32_e32 vcc, v225, v222
	v_mov_b32_e32 v224, 52
	s_and_saveexec_b64 s[0:1], vcc
	s_cbranch_execz .LBB104_1108
; %bb.1103:
	v_cmp_eq_u32_e32 vcc, 52, v225
	s_and_saveexec_b64 s[16:17], vcc
	s_cbranch_execz .LBB104_1107
; %bb.1104:
	v_cmp_ne_u32_e32 vcc, 52, v222
	s_xor_b64 s[14:15], s[14:15], -1
	s_and_b64 s[18:19], s[14:15], vcc
	s_and_saveexec_b64 s[14:15], s[18:19]
	s_cbranch_execz .LBB104_1106
; %bb.1105:
	v_ashrrev_i32_e32 v223, 31, v222
	v_lshl_add_u64 v[224:225], v[222:223], 2, v[220:221]
	global_load_dword v223, v[224:225], off
	global_load_dword v227, v[220:221], off offset:208
	s_waitcnt vmcnt(1)
	global_store_dword v[220:221], v223, off offset:208
	s_waitcnt vmcnt(1)
	global_store_dword v[224:225], v227, off
.LBB104_1106:
	s_or_b64 exec, exec, s[14:15]
	v_mov_b32_e32 v225, v222
	v_mov_b32_e32 v227, v222
.LBB104_1107:
	s_or_b64 exec, exec, s[16:17]
	v_mov_b32_e32 v224, v225
.LBB104_1108:
	s_or_b64 exec, exec, s[0:1]
	v_cmp_gt_i32_e32 vcc, 53, v224
	v_ashrrev_i32_e32 v225, 31, v224
	s_barrier
	s_barrier
	s_and_saveexec_b64 s[0:1], vcc
	s_cbranch_execz .LBB104_1110
; %bb.1109:
	v_mov_b32_e32 v220, s6
	v_mov_b32_e32 v221, s7
	v_mul_lo_u32 v228, s11, v218
	v_mul_lo_u32 v229, s10, v219
	v_mad_u64_u32 v[222:223], s[6:7], s10, v218, 0
	v_add3_u32 v223, v223, v229, v228
	v_lshl_add_u64 v[220:221], v[222:223], 2, v[220:221]
	v_lshl_add_u64 v[220:221], s[8:9], 2, v[220:221]
	;; [unrolled: 1-line block ×3, first 2 shown]
	v_add3_u32 v222, v227, s13, 1
	global_store_dword v[220:221], v222, off
.LBB104_1110:
	s_or_b64 exec, exec, s[0:1]
	v_cmp_eq_u32_e32 vcc, 0, v224
	s_and_saveexec_b64 s[6:7], vcc
	s_cbranch_execz .LBB104_1113
; %bb.1111:
	v_mov_b32_e32 v220, s4
	v_mov_b32_e32 v221, s5
	v_lshl_add_u64 v[218:219], v[218:219], 2, v[220:221]
	global_load_dword v220, v[218:219], off
	v_cmp_ne_u32_e64 s[0:1], 0, v226
	s_waitcnt vmcnt(0)
	v_cmp_eq_u32_e32 vcc, 0, v220
	s_and_b64 s[0:1], vcc, s[0:1]
	s_and_b64 exec, exec, s[0:1]
	s_cbranch_execz .LBB104_1113
; %bb.1112:
	v_add_u32_e32 v220, s13, v226
	global_store_dword v[218:219], v220, off
.LBB104_1113:
	s_or_b64 exec, exec, s[6:7]
	v_mul_f64 v[218:219], v[214:215], v[210:211]
	v_fma_f64 v[218:219], v[212:213], v[208:209], -v[218:219]
	v_mul_f64 v[212:213], v[212:213], v[210:211]
	v_fmac_f64_e32 v[212:213], v[214:215], v[208:209]
	v_cmp_lt_i32_e32 vcc, 52, v224
	s_nop 1
	v_cndmask_b32_e32 v211, v211, v213, vcc
	v_cndmask_b32_e32 v210, v210, v212, vcc
	v_lshl_add_u64 v[212:213], v[224:225], 4, v[216:217]
	global_store_dwordx4 v[212:213], v[144:147], off
	v_cndmask_b32_e32 v209, v209, v219, vcc
	v_cndmask_b32_e32 v208, v208, v218, vcc
	v_lshl_add_u64 v[144:145], s[2:3], 4, v[212:213]
	global_store_dwordx4 v[144:145], v[136:139], off
	s_nop 1
	v_add_u32_e32 v136, s12, v224
	v_ashrrev_i32_e32 v137, 31, v136
	v_lshl_add_u64 v[138:139], v[136:137], 4, v[216:217]
	v_add_u32_e32 v136, s2, v136
	v_ashrrev_i32_e32 v137, 31, v136
	global_store_dwordx4 v[138:139], v[204:207], off
	v_lshl_add_u64 v[138:139], v[136:137], 4, v[216:217]
	v_add_u32_e32 v136, s2, v136
	v_ashrrev_i32_e32 v137, 31, v136
	global_store_dwordx4 v[138:139], v[200:203], off
	;; [unrolled: 4-line block ×16, first 2 shown]
	v_lshl_add_u64 v[138:139], v[136:137], 4, v[216:217]
	global_store_dwordx4 v[138:139], v[132:135], off
	s_nop 1
	v_add_u32_e32 v132, s2, v136
	v_ashrrev_i32_e32 v133, 31, v132
	v_lshl_add_u64 v[134:135], v[132:133], 4, v[216:217]
	global_store_dwordx4 v[134:135], v[128:131], off
	s_nop 1
	v_add_u32_e32 v128, s2, v132
	v_ashrrev_i32_e32 v129, 31, v128
	;; [unrolled: 5-line block ×34, first 2 shown]
	v_lshl_add_u64 v[0:1], v[0:1], 4, v[216:217]
	global_store_dwordx4 v[0:1], v[208:211], off
.LBB104_1114:
	s_endpgm
	.section	.rodata,"a",@progbits
	.p2align	6, 0x0
	.amdhsa_kernel _ZN9rocsolver6v33100L18getf2_small_kernelILi53E19rocblas_complex_numIdEiiPS3_EEvT1_T3_lS5_lPS5_llPT2_S5_S5_S7_l
		.amdhsa_group_segment_fixed_size 0
		.amdhsa_private_segment_fixed_size 0
		.amdhsa_kernarg_size 352
		.amdhsa_user_sgpr_count 2
		.amdhsa_user_sgpr_dispatch_ptr 0
		.amdhsa_user_sgpr_queue_ptr 0
		.amdhsa_user_sgpr_kernarg_segment_ptr 1
		.amdhsa_user_sgpr_dispatch_id 0
		.amdhsa_user_sgpr_kernarg_preload_length 0
		.amdhsa_user_sgpr_kernarg_preload_offset 0
		.amdhsa_user_sgpr_private_segment_size 0
		.amdhsa_uses_dynamic_stack 0
		.amdhsa_enable_private_segment 0
		.amdhsa_system_sgpr_workgroup_id_x 1
		.amdhsa_system_sgpr_workgroup_id_y 1
		.amdhsa_system_sgpr_workgroup_id_z 0
		.amdhsa_system_sgpr_workgroup_info 0
		.amdhsa_system_vgpr_workitem_id 1
		.amdhsa_next_free_vgpr 256
		.amdhsa_next_free_sgpr 26
		.amdhsa_accum_offset 256
		.amdhsa_reserve_vcc 1
		.amdhsa_float_round_mode_32 0
		.amdhsa_float_round_mode_16_64 0
		.amdhsa_float_denorm_mode_32 3
		.amdhsa_float_denorm_mode_16_64 3
		.amdhsa_dx10_clamp 1
		.amdhsa_ieee_mode 1
		.amdhsa_fp16_overflow 0
		.amdhsa_tg_split 0
		.amdhsa_exception_fp_ieee_invalid_op 0
		.amdhsa_exception_fp_denorm_src 0
		.amdhsa_exception_fp_ieee_div_zero 0
		.amdhsa_exception_fp_ieee_overflow 0
		.amdhsa_exception_fp_ieee_underflow 0
		.amdhsa_exception_fp_ieee_inexact 0
		.amdhsa_exception_int_div_zero 0
	.end_amdhsa_kernel
	.section	.text._ZN9rocsolver6v33100L18getf2_small_kernelILi53E19rocblas_complex_numIdEiiPS3_EEvT1_T3_lS5_lPS5_llPT2_S5_S5_S7_l,"axG",@progbits,_ZN9rocsolver6v33100L18getf2_small_kernelILi53E19rocblas_complex_numIdEiiPS3_EEvT1_T3_lS5_lPS5_llPT2_S5_S5_S7_l,comdat
.Lfunc_end104:
	.size	_ZN9rocsolver6v33100L18getf2_small_kernelILi53E19rocblas_complex_numIdEiiPS3_EEvT1_T3_lS5_lPS5_llPT2_S5_S5_S7_l, .Lfunc_end104-_ZN9rocsolver6v33100L18getf2_small_kernelILi53E19rocblas_complex_numIdEiiPS3_EEvT1_T3_lS5_lPS5_llPT2_S5_S5_S7_l
                                        ; -- End function
	.set _ZN9rocsolver6v33100L18getf2_small_kernelILi53E19rocblas_complex_numIdEiiPS3_EEvT1_T3_lS5_lPS5_llPT2_S5_S5_S7_l.num_vgpr, 256
	.set _ZN9rocsolver6v33100L18getf2_small_kernelILi53E19rocblas_complex_numIdEiiPS3_EEvT1_T3_lS5_lPS5_llPT2_S5_S5_S7_l.num_agpr, 0
	.set _ZN9rocsolver6v33100L18getf2_small_kernelILi53E19rocblas_complex_numIdEiiPS3_EEvT1_T3_lS5_lPS5_llPT2_S5_S5_S7_l.numbered_sgpr, 26
	.set _ZN9rocsolver6v33100L18getf2_small_kernelILi53E19rocblas_complex_numIdEiiPS3_EEvT1_T3_lS5_lPS5_llPT2_S5_S5_S7_l.num_named_barrier, 0
	.set _ZN9rocsolver6v33100L18getf2_small_kernelILi53E19rocblas_complex_numIdEiiPS3_EEvT1_T3_lS5_lPS5_llPT2_S5_S5_S7_l.private_seg_size, 0
	.set _ZN9rocsolver6v33100L18getf2_small_kernelILi53E19rocblas_complex_numIdEiiPS3_EEvT1_T3_lS5_lPS5_llPT2_S5_S5_S7_l.uses_vcc, 1
	.set _ZN9rocsolver6v33100L18getf2_small_kernelILi53E19rocblas_complex_numIdEiiPS3_EEvT1_T3_lS5_lPS5_llPT2_S5_S5_S7_l.uses_flat_scratch, 0
	.set _ZN9rocsolver6v33100L18getf2_small_kernelILi53E19rocblas_complex_numIdEiiPS3_EEvT1_T3_lS5_lPS5_llPT2_S5_S5_S7_l.has_dyn_sized_stack, 0
	.set _ZN9rocsolver6v33100L18getf2_small_kernelILi53E19rocblas_complex_numIdEiiPS3_EEvT1_T3_lS5_lPS5_llPT2_S5_S5_S7_l.has_recursion, 0
	.set _ZN9rocsolver6v33100L18getf2_small_kernelILi53E19rocblas_complex_numIdEiiPS3_EEvT1_T3_lS5_lPS5_llPT2_S5_S5_S7_l.has_indirect_call, 0
	.section	.AMDGPU.csdata,"",@progbits
; Kernel info:
; codeLenInByte = 148120
; TotalNumSgprs: 32
; NumVgprs: 256
; NumAgprs: 0
; TotalNumVgprs: 256
; ScratchSize: 0
; MemoryBound: 0
; FloatMode: 240
; IeeeMode: 1
; LDSByteSize: 0 bytes/workgroup (compile time only)
; SGPRBlocks: 3
; VGPRBlocks: 31
; NumSGPRsForWavesPerEU: 32
; NumVGPRsForWavesPerEU: 256
; AccumOffset: 256
; Occupancy: 2
; WaveLimiterHint : 0
; COMPUTE_PGM_RSRC2:SCRATCH_EN: 0
; COMPUTE_PGM_RSRC2:USER_SGPR: 2
; COMPUTE_PGM_RSRC2:TRAP_HANDLER: 0
; COMPUTE_PGM_RSRC2:TGID_X_EN: 1
; COMPUTE_PGM_RSRC2:TGID_Y_EN: 1
; COMPUTE_PGM_RSRC2:TGID_Z_EN: 0
; COMPUTE_PGM_RSRC2:TIDIG_COMP_CNT: 1
; COMPUTE_PGM_RSRC3_GFX90A:ACCUM_OFFSET: 63
; COMPUTE_PGM_RSRC3_GFX90A:TG_SPLIT: 0
	.section	.text._ZN9rocsolver6v33100L23getf2_npvt_small_kernelILi53E19rocblas_complex_numIdEiiPS3_EEvT1_T3_lS5_lPT2_S5_S5_,"axG",@progbits,_ZN9rocsolver6v33100L23getf2_npvt_small_kernelILi53E19rocblas_complex_numIdEiiPS3_EEvT1_T3_lS5_lPT2_S5_S5_,comdat
	.globl	_ZN9rocsolver6v33100L23getf2_npvt_small_kernelILi53E19rocblas_complex_numIdEiiPS3_EEvT1_T3_lS5_lPT2_S5_S5_ ; -- Begin function _ZN9rocsolver6v33100L23getf2_npvt_small_kernelILi53E19rocblas_complex_numIdEiiPS3_EEvT1_T3_lS5_lPT2_S5_S5_
	.p2align	8
	.type	_ZN9rocsolver6v33100L23getf2_npvt_small_kernelILi53E19rocblas_complex_numIdEiiPS3_EEvT1_T3_lS5_lPT2_S5_S5_,@function
_ZN9rocsolver6v33100L23getf2_npvt_small_kernelILi53E19rocblas_complex_numIdEiiPS3_EEvT1_T3_lS5_lPT2_S5_S5_: ; @_ZN9rocsolver6v33100L23getf2_npvt_small_kernelILi53E19rocblas_complex_numIdEiiPS3_EEvT1_T3_lS5_lPT2_S5_S5_
; %bb.0:
	s_load_dword s2, s[0:1], 0x44
	s_load_dwordx2 s[8:9], s[0:1], 0x30
	v_bfe_u32 v2, v0, 10, 10
	s_waitcnt lgkmcnt(0)
	s_lshr_b32 s2, s2, 16
	s_mul_i32 s3, s3, s2
	v_add_u32_e32 v4, s3, v2
	v_cmp_gt_i32_e32 vcc, s8, v4
	s_and_saveexec_b64 s[4:5], vcc
	s_cbranch_execz .LBB105_480
; %bb.1:
	s_load_dwordx4 s[12:15], s[0:1], 0x8
	s_load_dword s10, s[0:1], 0x18
	s_load_dwordx4 s[4:7], s[0:1], 0x20
	v_ashrrev_i32_e32 v5, 31, v4
	scratch_store_dwordx2 off, v[4:5], off offset:1144 ; 8-byte Folded Spill
	v_and_b32_e32 v200, 0x3ff, v0
	s_waitcnt lgkmcnt(0)
	v_mov_b32_e32 v0, s12
	v_mul_lo_u32 v3, s5, v4
	v_mul_lo_u32 v6, s4, v5
	v_mad_u64_u32 v[4:5], s[0:1], s4, v4, 0
	v_mov_b32_e32 v1, s13
	v_add3_u32 v5, v5, v6, v3
	v_lshl_add_u64 v[0:1], v[4:5], 4, v[0:1]
	v_lshl_add_u64 v[0:1], s[14:15], 4, v[0:1]
	v_lshlrev_b32_e32 v4, 4, v200
	v_mov_b32_e32 v5, 0
	s_add_i32 s0, s10, s10
	v_lshl_add_u64 v[6:7], v[0:1], 0, v[4:5]
	v_add_u32_e32 v4, s0, v200
	v_ashrrev_i32_e32 v5, 31, v4
	v_lshl_add_u64 v[8:9], v[4:5], 4, v[0:1]
	v_add_u32_e32 v4, s10, v4
	v_ashrrev_i32_e32 v5, 31, v4
	;; [unrolled: 3-line block ×50, first 2 shown]
	v_lshl_add_u64 v[234:235], v[4:5], 4, v[0:1]
	v_add_u32_e32 v4, s10, v4
	s_mulk_i32 s2, 0x350
	v_ashrrev_i32_e32 v5, 31, v4
	s_movk_i32 s0, 0x350
	s_add_i32 s1, s2, 0
	v_lshl_add_u64 v[236:237], v[4:5], 4, v[0:1]
	v_mad_u32_u24 v202, v2, s0, 0
	v_lshl_add_u32 v201, v2, 4, s1
	global_load_dwordx4 v[2:5], v[6:7], off
	s_ashr_i32 s11, s10, 31
	v_lshl_add_u64 v[0:1], s[10:11], 4, v[6:7]
	scratch_store_dwordx2 off, v[6:7], off offset:48 ; 8-byte Folded Spill
	v_cmp_ne_u32_e64 s[2:3], 0, v200
	v_cmp_eq_u32_e64 s[0:1], 0, v200
	s_waitcnt vmcnt(1)
	scratch_store_dwordx4 off, v[2:5], off offset:32 ; 16-byte Folded Spill
	scratch_store_dwordx2 off, v[0:1], off offset:464 ; 8-byte Folded Spill
	global_load_dwordx4 v[0:3], v[0:1], off
	s_waitcnt vmcnt(0)
	scratch_store_dwordx4 off, v[0:3], off offset:16 ; 16-byte Folded Spill
	scratch_store_dwordx2 off, v[8:9], off offset:56 ; 8-byte Folded Spill
	global_load_dwordx4 v[0:3], v[8:9], off
	s_nop 0
	global_load_dwordx4 v[4:7], v[10:11], off
	s_nop 0
	scratch_store_dwordx2 off, v[10:11], off offset:64 ; 8-byte Folded Spill
	s_waitcnt vmcnt(1)
	scratch_store_dwordx4 off, v[4:7], off  ; 16-byte Folded Spill
	scratch_store_dwordx2 off, v[12:13], off offset:72 ; 8-byte Folded Spill
	scratch_store_dwordx2 off, v[64:65], off offset:280 ; 8-byte Folded Spill
	global_load_dwordx4 v[84:87], v[64:65], off
	global_load_dwordx4 v[80:83], v[66:67], off
	;; [unrolled: 1-line block ×32, first 2 shown]
	s_nop 0
	scratch_store_dwordx2 off, v[66:67], off offset:288 ; 8-byte Folded Spill
	scratch_store_dwordx2 off, v[68:69], off offset:296 ; 8-byte Folded Spill
	;; [unrolled: 1-line block ×4, first 2 shown]
	global_load_dwordx4 v[68:71], v[196:197], off
	s_nop 0
	global_load_dwordx4 v[64:67], v[198:199], off
	s_nop 0
	scratch_store_dwordx2 off, v[198:199], off offset:320 ; 8-byte Folded Spill
	v_mov_b64_e32 v[198:199], v[2:3]
	scratch_store_dwordx2 off, v[14:15], off offset:80 ; 8-byte Folded Spill
	scratch_store_dwordx2 off, v[16:17], off offset:88 ; 8-byte Folded Spill
	;; [unrolled: 1-line block ×25, first 2 shown]
	v_mov_b64_e32 v[196:197], v[0:1]
	global_load_dwordx4 v[60:63], v[204:205], off
	global_load_dwordx4 v[56:59], v[206:207], off
	global_load_dwordx4 v[52:55], v[208:209], off
	global_load_dwordx4 v[48:51], v[210:211], off
	global_load_dwordx4 v[44:47], v[212:213], off
	global_load_dwordx4 v[40:43], v[214:215], off
	global_load_dwordx4 v[36:39], v[216:217], off
	global_load_dwordx4 v[32:35], v[218:219], off
	global_load_dwordx4 v[28:31], v[220:221], off
	global_load_dwordx4 v[24:27], v[222:223], off
	global_load_dwordx4 v[20:23], v[224:225], off
	global_load_dwordx4 v[16:19], v[226:227], off
	global_load_dwordx4 v[12:15], v[228:229], off
	global_load_dwordx4 v[0:3], v[234:235], off
	s_nop 0
	scratch_store_dwordx2 off, v[208:209], off offset:344 ; 8-byte Folded Spill
	scratch_store_dwordx2 off, v[210:211], off offset:352 ; 8-byte Folded Spill
	global_load_dwordx4 v[208:211], v[236:237], off
	s_nop 0
	scratch_store_dwordx2 off, v[204:205], off offset:328 ; 8-byte Folded Spill
	scratch_store_dwordx2 off, v[206:207], off offset:336 ; 8-byte Folded Spill
	;; [unrolled: 1-line block ×15, first 2 shown]
	s_and_saveexec_b64 s[10:11], s[0:1]
	s_cbranch_execz .LBB105_8
; %bb.2:
	scratch_load_dwordx4 v[192:195], off, off offset:32 ; 16-byte Folded Reload
	s_waitcnt vmcnt(0)
	ds_write2_b64 v201, v[192:193], v[194:195] offset1:1
	scratch_load_dwordx4 v[192:195], off, off offset:16 ; 16-byte Folded Reload
	s_waitcnt vmcnt(0)
	ds_write2_b64 v202, v[192:193], v[194:195] offset0:2 offset1:3
	ds_write2_b64 v202, v[196:197], v[198:199] offset0:4 offset1:5
	scratch_load_dwordx4 v[192:195], off, off ; 16-byte Folded Reload
	s_waitcnt vmcnt(0)
	ds_write2_b64 v202, v[192:193], v[194:195] offset0:6 offset1:7
	ds_write2_b64 v202, v[188:189], v[190:191] offset0:8 offset1:9
	ds_write2_b64 v202, v[184:185], v[186:187] offset0:10 offset1:11
	ds_write2_b64 v202, v[180:181], v[182:183] offset0:12 offset1:13
	ds_write2_b64 v202, v[176:177], v[178:179] offset0:14 offset1:15
	ds_write2_b64 v202, v[172:173], v[174:175] offset0:16 offset1:17
	ds_write2_b64 v202, v[168:169], v[170:171] offset0:18 offset1:19
	ds_write2_b64 v202, v[164:165], v[166:167] offset0:20 offset1:21
	ds_write2_b64 v202, v[160:161], v[162:163] offset0:22 offset1:23
	ds_write2_b64 v202, v[156:157], v[158:159] offset0:24 offset1:25
	ds_write2_b64 v202, v[152:153], v[154:155] offset0:26 offset1:27
	ds_write2_b64 v202, v[148:149], v[150:151] offset0:28 offset1:29
	ds_write2_b64 v202, v[144:145], v[146:147] offset0:30 offset1:31
	ds_write2_b64 v202, v[140:141], v[142:143] offset0:32 offset1:33
	ds_write2_b64 v202, v[136:137], v[138:139] offset0:34 offset1:35
	ds_write2_b64 v202, v[132:133], v[134:135] offset0:36 offset1:37
	ds_write2_b64 v202, v[128:129], v[130:131] offset0:38 offset1:39
	ds_write2_b64 v202, v[124:125], v[126:127] offset0:40 offset1:41
	ds_write2_b64 v202, v[120:121], v[122:123] offset0:42 offset1:43
	ds_write2_b64 v202, v[116:117], v[118:119] offset0:44 offset1:45
	ds_write2_b64 v202, v[112:113], v[114:115] offset0:46 offset1:47
	ds_write2_b64 v202, v[108:109], v[110:111] offset0:48 offset1:49
	ds_write2_b64 v202, v[104:105], v[106:107] offset0:50 offset1:51
	ds_write2_b64 v202, v[100:101], v[102:103] offset0:52 offset1:53
	ds_write2_b64 v202, v[96:97], v[98:99] offset0:54 offset1:55
	ds_write2_b64 v202, v[92:93], v[94:95] offset0:56 offset1:57
	ds_write2_b64 v202, v[88:89], v[90:91] offset0:58 offset1:59
	ds_write2_b64 v202, v[84:85], v[86:87] offset0:60 offset1:61
	ds_write2_b64 v202, v[80:81], v[82:83] offset0:62 offset1:63
	ds_write2_b64 v202, v[76:77], v[78:79] offset0:64 offset1:65
	ds_write2_b64 v202, v[72:73], v[74:75] offset0:66 offset1:67
	ds_write2_b64 v202, v[68:69], v[70:71] offset0:68 offset1:69
	ds_write2_b64 v202, v[64:65], v[66:67] offset0:70 offset1:71
	ds_write2_b64 v202, v[60:61], v[62:63] offset0:72 offset1:73
	ds_write2_b64 v202, v[56:57], v[58:59] offset0:74 offset1:75
	ds_write2_b64 v202, v[52:53], v[54:55] offset0:76 offset1:77
	ds_write2_b64 v202, v[48:49], v[50:51] offset0:78 offset1:79
	ds_write2_b64 v202, v[44:45], v[46:47] offset0:80 offset1:81
	ds_write2_b64 v202, v[40:41], v[42:43] offset0:82 offset1:83
	ds_write2_b64 v202, v[36:37], v[38:39] offset0:84 offset1:85
	ds_write2_b64 v202, v[32:33], v[34:35] offset0:86 offset1:87
	ds_write2_b64 v202, v[28:29], v[30:31] offset0:88 offset1:89
	ds_write2_b64 v202, v[24:25], v[26:27] offset0:90 offset1:91
	ds_write2_b64 v202, v[20:21], v[22:23] offset0:92 offset1:93
	ds_write2_b64 v202, v[16:17], v[18:19] offset0:94 offset1:95
	ds_write2_b64 v202, v[12:13], v[14:15] offset0:96 offset1:97
	ds_write2_b64 v202, v[8:9], v[10:11] offset0:98 offset1:99
	ds_write2_b64 v202, v[4:5], v[6:7] offset0:100 offset1:101
	ds_write2_b64 v202, v[0:1], v[2:3] offset0:102 offset1:103
	ds_write2_b64 v202, v[208:209], v[210:211] offset0:104 offset1:105
	ds_read2_b64 v[212:215], v201 offset1:1
	s_waitcnt lgkmcnt(0)
	v_cmp_neq_f64_e32 vcc, 0, v[212:213]
	v_cmp_neq_f64_e64 s[4:5], 0, v[214:215]
	s_or_b64 s[4:5], vcc, s[4:5]
	s_and_b64 exec, exec, s[4:5]
	s_cbranch_execz .LBB105_8
; %bb.3:
	v_cmp_ngt_f64_e64 s[4:5], |v[212:213]|, |v[214:215]|
                                        ; implicit-def: $vgpr204_vgpr205
	s_and_saveexec_b64 s[12:13], s[4:5]
	s_xor_b64 s[4:5], exec, s[12:13]
                                        ; implicit-def: $vgpr206_vgpr207
	s_cbranch_execz .LBB105_5
; %bb.4:
	v_div_scale_f64 v[204:205], s[12:13], v[214:215], v[214:215], v[212:213]
	v_rcp_f64_e32 v[206:207], v[204:205]
	v_div_scale_f64 v[216:217], vcc, v[212:213], v[214:215], v[212:213]
	v_fma_f64 v[218:219], -v[204:205], v[206:207], 1.0
	v_fmac_f64_e32 v[206:207], v[206:207], v[218:219]
	v_fma_f64 v[218:219], -v[204:205], v[206:207], 1.0
	v_fmac_f64_e32 v[206:207], v[206:207], v[218:219]
	v_mul_f64 v[218:219], v[216:217], v[206:207]
	v_fma_f64 v[204:205], -v[204:205], v[218:219], v[216:217]
	v_div_fmas_f64 v[204:205], v[204:205], v[206:207], v[218:219]
	v_div_fixup_f64 v[204:205], v[204:205], v[214:215], v[212:213]
	v_fmac_f64_e32 v[214:215], v[212:213], v[204:205]
	v_div_scale_f64 v[206:207], s[12:13], v[214:215], v[214:215], 1.0
	v_rcp_f64_e32 v[212:213], v[206:207]
	s_nop 0
	v_fma_f64 v[216:217], -v[206:207], v[212:213], 1.0
	v_fmac_f64_e32 v[212:213], v[212:213], v[216:217]
	v_fma_f64 v[216:217], -v[206:207], v[212:213], 1.0
	v_fmac_f64_e32 v[212:213], v[212:213], v[216:217]
	v_div_scale_f64 v[216:217], vcc, 1.0, v[214:215], 1.0
	v_mul_f64 v[218:219], v[216:217], v[212:213]
	v_fma_f64 v[206:207], -v[206:207], v[218:219], v[216:217]
	s_nop 1
	v_div_fmas_f64 v[206:207], v[206:207], v[212:213], v[218:219]
	v_div_fixup_f64 v[206:207], v[206:207], v[214:215], 1.0
	v_mul_f64 v[204:205], v[204:205], v[206:207]
	v_xor_b32_e32 v207, 0x80000000, v207
                                        ; implicit-def: $vgpr212_vgpr213
.LBB105_5:
	s_andn2_saveexec_b64 s[4:5], s[4:5]
	s_cbranch_execz .LBB105_7
; %bb.6:
	v_div_scale_f64 v[204:205], s[12:13], v[212:213], v[212:213], v[214:215]
	v_rcp_f64_e32 v[206:207], v[204:205]
	v_div_scale_f64 v[216:217], vcc, v[214:215], v[212:213], v[214:215]
	v_fma_f64 v[218:219], -v[204:205], v[206:207], 1.0
	v_fmac_f64_e32 v[206:207], v[206:207], v[218:219]
	v_fma_f64 v[218:219], -v[204:205], v[206:207], 1.0
	v_fmac_f64_e32 v[206:207], v[206:207], v[218:219]
	v_mul_f64 v[218:219], v[216:217], v[206:207]
	v_fma_f64 v[204:205], -v[204:205], v[218:219], v[216:217]
	v_div_fmas_f64 v[204:205], v[204:205], v[206:207], v[218:219]
	v_div_fixup_f64 v[206:207], v[204:205], v[212:213], v[214:215]
	v_fmac_f64_e32 v[212:213], v[214:215], v[206:207]
	v_div_scale_f64 v[204:205], s[12:13], v[212:213], v[212:213], 1.0
	v_rcp_f64_e32 v[214:215], v[204:205]
	s_nop 0
	v_fma_f64 v[216:217], -v[204:205], v[214:215], 1.0
	v_fmac_f64_e32 v[214:215], v[214:215], v[216:217]
	v_fma_f64 v[216:217], -v[204:205], v[214:215], 1.0
	v_fmac_f64_e32 v[214:215], v[214:215], v[216:217]
	v_div_scale_f64 v[216:217], vcc, 1.0, v[212:213], 1.0
	v_mul_f64 v[218:219], v[216:217], v[214:215]
	v_fma_f64 v[204:205], -v[204:205], v[218:219], v[216:217]
	s_nop 1
	v_div_fmas_f64 v[204:205], v[204:205], v[214:215], v[218:219]
	v_div_fixup_f64 v[204:205], v[204:205], v[212:213], 1.0
	v_mul_f64 v[206:207], v[206:207], -v[204:205]
.LBB105_7:
	s_or_b64 exec, exec, s[4:5]
	ds_write2_b64 v201, v[204:205], v[206:207] offset1:1
.LBB105_8:
	s_or_b64 exec, exec, s[10:11]
	s_waitcnt lgkmcnt(0)
	s_barrier
	ds_read2_b64 v[192:195], v201 offset1:1
	s_waitcnt lgkmcnt(0)
	scratch_store_dwordx4 off, v[192:195], off offset:472 ; 16-byte Folded Spill
	s_and_saveexec_b64 s[4:5], s[2:3]
	s_cbranch_execz .LBB105_10
; %bb.9:
	scratch_load_dwordx4 v[214:217], off, off offset:32 ; 16-byte Folded Reload
	scratch_load_dwordx4 v[192:195], off, off offset:472 ; 16-byte Folded Reload
	s_waitcnt vmcnt(0)
	v_mul_f64 v[204:205], v[194:195], v[216:217]
	v_mul_f64 v[216:217], v[192:193], v[216:217]
	v_fma_f64 v[212:213], v[192:193], v[214:215], -v[204:205]
	v_fmac_f64_e32 v[216:217], v[194:195], v[214:215]
	scratch_load_dwordx4 v[192:195], off, off offset:16 ; 16-byte Folded Reload
	ds_read2_b64 v[204:207], v202 offset0:2 offset1:3
	s_waitcnt lgkmcnt(0)
	v_mul_f64 v[214:215], v[206:207], v[216:217]
	v_fma_f64 v[214:215], v[204:205], v[212:213], -v[214:215]
	v_mul_f64 v[204:205], v[204:205], v[216:217]
	v_fmac_f64_e32 v[204:205], v[206:207], v[212:213]
	s_waitcnt vmcnt(0)
	v_add_f64 v[192:193], v[192:193], -v[214:215]
	v_add_f64 v[194:195], v[194:195], -v[204:205]
	scratch_store_dwordx4 off, v[192:195], off offset:16 ; 16-byte Folded Spill
	scratch_load_dwordx4 v[192:195], off, off ; 16-byte Folded Reload
	ds_read2_b64 v[204:207], v202 offset0:4 offset1:5
	s_waitcnt lgkmcnt(0)
	v_mul_f64 v[214:215], v[206:207], v[216:217]
	v_fma_f64 v[214:215], v[204:205], v[212:213], -v[214:215]
	v_mul_f64 v[204:205], v[204:205], v[216:217]
	v_fmac_f64_e32 v[204:205], v[206:207], v[212:213]
	v_add_f64 v[198:199], v[198:199], -v[204:205]
	ds_read2_b64 v[204:207], v202 offset0:6 offset1:7
	v_add_f64 v[196:197], v[196:197], -v[214:215]
	s_waitcnt lgkmcnt(0)
	v_mul_f64 v[214:215], v[206:207], v[216:217]
	v_fma_f64 v[214:215], v[204:205], v[212:213], -v[214:215]
	v_mul_f64 v[204:205], v[204:205], v[216:217]
	v_fmac_f64_e32 v[204:205], v[206:207], v[212:213]
	s_waitcnt vmcnt(0)
	v_add_f64 v[194:195], v[194:195], -v[204:205]
	ds_read2_b64 v[204:207], v202 offset0:8 offset1:9
	v_add_f64 v[192:193], v[192:193], -v[214:215]
	scratch_store_dwordx4 off, v[192:195], off ; 16-byte Folded Spill
	s_waitcnt lgkmcnt(0)
	v_mul_f64 v[214:215], v[206:207], v[216:217]
	v_fma_f64 v[214:215], v[204:205], v[212:213], -v[214:215]
	v_mul_f64 v[204:205], v[204:205], v[216:217]
	v_fmac_f64_e32 v[204:205], v[206:207], v[212:213]
	v_add_f64 v[190:191], v[190:191], -v[204:205]
	ds_read2_b64 v[204:207], v202 offset0:10 offset1:11
	v_add_f64 v[188:189], v[188:189], -v[214:215]
	s_waitcnt lgkmcnt(0)
	v_mul_f64 v[214:215], v[206:207], v[216:217]
	v_fma_f64 v[214:215], v[204:205], v[212:213], -v[214:215]
	v_mul_f64 v[204:205], v[204:205], v[216:217]
	v_fmac_f64_e32 v[204:205], v[206:207], v[212:213]
	v_add_f64 v[186:187], v[186:187], -v[204:205]
	ds_read2_b64 v[204:207], v202 offset0:12 offset1:13
	v_add_f64 v[184:185], v[184:185], -v[214:215]
	;; [unrolled: 8-line block ×48, first 2 shown]
	s_waitcnt lgkmcnt(0)
	v_mul_f64 v[214:215], v[206:207], v[216:217]
	v_fma_f64 v[214:215], v[204:205], v[212:213], -v[214:215]
	v_mul_f64 v[204:205], v[204:205], v[216:217]
	v_fmac_f64_e32 v[204:205], v[206:207], v[212:213]
	v_add_f64 v[208:209], v[208:209], -v[214:215]
	v_add_f64 v[210:211], v[210:211], -v[204:205]
	v_mov_b64_e32 v[214:215], v[212:213]
	scratch_store_dwordx4 off, v[214:217], off offset:32 ; 16-byte Folded Spill
.LBB105_10:
	s_or_b64 exec, exec, s[4:5]
	v_cmp_eq_u32_e32 vcc, 1, v200
	s_waitcnt vmcnt(63) expcnt(7) lgkmcnt(15)
	s_barrier
	s_and_saveexec_b64 s[4:5], vcc
	s_cbranch_execz .LBB105_17
; %bb.11:
	scratch_load_dwordx4 v[192:195], off, off offset:16 ; 16-byte Folded Reload
	s_waitcnt vmcnt(0)
	ds_write2_b64 v201, v[192:193], v[194:195] offset1:1
	ds_write2_b64 v202, v[196:197], v[198:199] offset0:4 offset1:5
	scratch_load_dwordx4 v[192:195], off, off ; 16-byte Folded Reload
	s_waitcnt vmcnt(0)
	ds_write2_b64 v202, v[192:193], v[194:195] offset0:6 offset1:7
	ds_write2_b64 v202, v[188:189], v[190:191] offset0:8 offset1:9
	;; [unrolled: 1-line block ×50, first 2 shown]
	ds_read2_b64 v[212:215], v201 offset1:1
	s_waitcnt lgkmcnt(0)
	v_cmp_neq_f64_e32 vcc, 0, v[212:213]
	v_cmp_neq_f64_e64 s[2:3], 0, v[214:215]
	s_or_b64 s[2:3], vcc, s[2:3]
	s_and_b64 exec, exec, s[2:3]
	s_cbranch_execz .LBB105_17
; %bb.12:
	v_cmp_ngt_f64_e64 s[2:3], |v[212:213]|, |v[214:215]|
                                        ; implicit-def: $vgpr204_vgpr205
	s_and_saveexec_b64 s[10:11], s[2:3]
	s_xor_b64 s[2:3], exec, s[10:11]
                                        ; implicit-def: $vgpr206_vgpr207
	s_cbranch_execz .LBB105_14
; %bb.13:
	v_div_scale_f64 v[204:205], s[10:11], v[214:215], v[214:215], v[212:213]
	v_rcp_f64_e32 v[206:207], v[204:205]
	v_div_scale_f64 v[216:217], vcc, v[212:213], v[214:215], v[212:213]
	v_fma_f64 v[218:219], -v[204:205], v[206:207], 1.0
	v_fmac_f64_e32 v[206:207], v[206:207], v[218:219]
	v_fma_f64 v[218:219], -v[204:205], v[206:207], 1.0
	v_fmac_f64_e32 v[206:207], v[206:207], v[218:219]
	v_mul_f64 v[218:219], v[216:217], v[206:207]
	v_fma_f64 v[204:205], -v[204:205], v[218:219], v[216:217]
	v_div_fmas_f64 v[204:205], v[204:205], v[206:207], v[218:219]
	v_div_fixup_f64 v[204:205], v[204:205], v[214:215], v[212:213]
	v_fmac_f64_e32 v[214:215], v[212:213], v[204:205]
	v_div_scale_f64 v[206:207], s[10:11], v[214:215], v[214:215], 1.0
	v_rcp_f64_e32 v[212:213], v[206:207]
	s_nop 0
	v_fma_f64 v[216:217], -v[206:207], v[212:213], 1.0
	v_fmac_f64_e32 v[212:213], v[212:213], v[216:217]
	v_fma_f64 v[216:217], -v[206:207], v[212:213], 1.0
	v_fmac_f64_e32 v[212:213], v[212:213], v[216:217]
	v_div_scale_f64 v[216:217], vcc, 1.0, v[214:215], 1.0
	v_mul_f64 v[218:219], v[216:217], v[212:213]
	v_fma_f64 v[206:207], -v[206:207], v[218:219], v[216:217]
	s_nop 1
	v_div_fmas_f64 v[206:207], v[206:207], v[212:213], v[218:219]
	v_div_fixup_f64 v[206:207], v[206:207], v[214:215], 1.0
	v_mul_f64 v[204:205], v[204:205], v[206:207]
	v_xor_b32_e32 v207, 0x80000000, v207
                                        ; implicit-def: $vgpr212_vgpr213
.LBB105_14:
	s_andn2_saveexec_b64 s[2:3], s[2:3]
	s_cbranch_execz .LBB105_16
; %bb.15:
	v_div_scale_f64 v[204:205], s[10:11], v[212:213], v[212:213], v[214:215]
	v_rcp_f64_e32 v[206:207], v[204:205]
	v_div_scale_f64 v[216:217], vcc, v[214:215], v[212:213], v[214:215]
	v_fma_f64 v[218:219], -v[204:205], v[206:207], 1.0
	v_fmac_f64_e32 v[206:207], v[206:207], v[218:219]
	v_fma_f64 v[218:219], -v[204:205], v[206:207], 1.0
	v_fmac_f64_e32 v[206:207], v[206:207], v[218:219]
	v_mul_f64 v[218:219], v[216:217], v[206:207]
	v_fma_f64 v[204:205], -v[204:205], v[218:219], v[216:217]
	v_div_fmas_f64 v[204:205], v[204:205], v[206:207], v[218:219]
	v_div_fixup_f64 v[206:207], v[204:205], v[212:213], v[214:215]
	v_fmac_f64_e32 v[212:213], v[214:215], v[206:207]
	v_div_scale_f64 v[204:205], s[10:11], v[212:213], v[212:213], 1.0
	v_rcp_f64_e32 v[214:215], v[204:205]
	s_nop 0
	v_fma_f64 v[216:217], -v[204:205], v[214:215], 1.0
	v_fmac_f64_e32 v[214:215], v[214:215], v[216:217]
	v_fma_f64 v[216:217], -v[204:205], v[214:215], 1.0
	v_fmac_f64_e32 v[214:215], v[214:215], v[216:217]
	v_div_scale_f64 v[216:217], vcc, 1.0, v[212:213], 1.0
	v_mul_f64 v[218:219], v[216:217], v[214:215]
	v_fma_f64 v[204:205], -v[204:205], v[218:219], v[216:217]
	s_nop 1
	v_div_fmas_f64 v[204:205], v[204:205], v[214:215], v[218:219]
	v_div_fixup_f64 v[204:205], v[204:205], v[212:213], 1.0
	v_mul_f64 v[206:207], v[206:207], -v[204:205]
.LBB105_16:
	s_or_b64 exec, exec, s[2:3]
	ds_write2_b64 v201, v[204:205], v[206:207] offset1:1
.LBB105_17:
	s_or_b64 exec, exec, s[4:5]
	s_waitcnt lgkmcnt(0)
	s_barrier
	ds_read2_b64 v[192:195], v201 offset1:1
	v_cmp_lt_u32_e32 vcc, 1, v200
	s_waitcnt lgkmcnt(0)
	scratch_store_dwordx4 off, v[192:195], off offset:488 ; 16-byte Folded Spill
	s_and_saveexec_b64 s[2:3], vcc
	s_cbranch_execz .LBB105_19
; %bb.18:
	scratch_load_dwordx4 v[214:217], off, off offset:16 ; 16-byte Folded Reload
	scratch_load_dwordx4 v[192:195], off, off offset:488 ; 16-byte Folded Reload
	s_waitcnt vmcnt(0)
	v_mul_f64 v[204:205], v[194:195], v[216:217]
	v_mul_f64 v[216:217], v[192:193], v[216:217]
	v_fma_f64 v[212:213], v[192:193], v[214:215], -v[204:205]
	v_fmac_f64_e32 v[216:217], v[194:195], v[214:215]
	scratch_load_dwordx4 v[192:195], off, off ; 16-byte Folded Reload
	ds_read2_b64 v[204:207], v202 offset0:4 offset1:5
	s_waitcnt lgkmcnt(0)
	v_mul_f64 v[214:215], v[206:207], v[216:217]
	v_fma_f64 v[214:215], v[204:205], v[212:213], -v[214:215]
	v_mul_f64 v[204:205], v[204:205], v[216:217]
	v_fmac_f64_e32 v[204:205], v[206:207], v[212:213]
	v_add_f64 v[198:199], v[198:199], -v[204:205]
	ds_read2_b64 v[204:207], v202 offset0:6 offset1:7
	v_add_f64 v[196:197], v[196:197], -v[214:215]
	s_waitcnt lgkmcnt(0)
	v_mul_f64 v[214:215], v[206:207], v[216:217]
	v_fma_f64 v[214:215], v[204:205], v[212:213], -v[214:215]
	v_mul_f64 v[204:205], v[204:205], v[216:217]
	v_fmac_f64_e32 v[204:205], v[206:207], v[212:213]
	s_waitcnt vmcnt(0)
	v_add_f64 v[194:195], v[194:195], -v[204:205]
	ds_read2_b64 v[204:207], v202 offset0:8 offset1:9
	v_add_f64 v[192:193], v[192:193], -v[214:215]
	scratch_store_dwordx4 off, v[192:195], off ; 16-byte Folded Spill
	s_waitcnt lgkmcnt(0)
	v_mul_f64 v[214:215], v[206:207], v[216:217]
	v_fma_f64 v[214:215], v[204:205], v[212:213], -v[214:215]
	v_mul_f64 v[204:205], v[204:205], v[216:217]
	v_fmac_f64_e32 v[204:205], v[206:207], v[212:213]
	v_add_f64 v[190:191], v[190:191], -v[204:205]
	ds_read2_b64 v[204:207], v202 offset0:10 offset1:11
	v_add_f64 v[188:189], v[188:189], -v[214:215]
	s_waitcnt lgkmcnt(0)
	v_mul_f64 v[214:215], v[206:207], v[216:217]
	v_fma_f64 v[214:215], v[204:205], v[212:213], -v[214:215]
	v_mul_f64 v[204:205], v[204:205], v[216:217]
	v_fmac_f64_e32 v[204:205], v[206:207], v[212:213]
	v_add_f64 v[186:187], v[186:187], -v[204:205]
	ds_read2_b64 v[204:207], v202 offset0:12 offset1:13
	v_add_f64 v[184:185], v[184:185], -v[214:215]
	;; [unrolled: 8-line block ×48, first 2 shown]
	s_waitcnt lgkmcnt(0)
	v_mul_f64 v[214:215], v[206:207], v[216:217]
	v_fma_f64 v[214:215], v[204:205], v[212:213], -v[214:215]
	v_mul_f64 v[204:205], v[204:205], v[216:217]
	v_fmac_f64_e32 v[204:205], v[206:207], v[212:213]
	v_add_f64 v[208:209], v[208:209], -v[214:215]
	v_add_f64 v[210:211], v[210:211], -v[204:205]
	v_mov_b64_e32 v[214:215], v[212:213]
	scratch_store_dwordx4 off, v[214:217], off offset:16 ; 16-byte Folded Spill
.LBB105_19:
	s_or_b64 exec, exec, s[2:3]
	v_cmp_eq_u32_e32 vcc, 2, v200
	s_waitcnt vmcnt(63) expcnt(7) lgkmcnt(15)
	s_barrier
	s_and_saveexec_b64 s[4:5], vcc
	s_cbranch_execz .LBB105_26
; %bb.20:
	scratch_load_dwordx4 v[192:195], off, off ; 16-byte Folded Reload
	ds_write2_b64 v201, v[196:197], v[198:199] offset1:1
	s_waitcnt vmcnt(0)
	ds_write2_b64 v202, v[192:193], v[194:195] offset0:6 offset1:7
	ds_write2_b64 v202, v[188:189], v[190:191] offset0:8 offset1:9
	;; [unrolled: 1-line block ×50, first 2 shown]
	ds_read2_b64 v[212:215], v201 offset1:1
	s_waitcnt lgkmcnt(0)
	v_cmp_neq_f64_e32 vcc, 0, v[212:213]
	v_cmp_neq_f64_e64 s[2:3], 0, v[214:215]
	s_or_b64 s[2:3], vcc, s[2:3]
	s_and_b64 exec, exec, s[2:3]
	s_cbranch_execz .LBB105_26
; %bb.21:
	v_cmp_ngt_f64_e64 s[2:3], |v[212:213]|, |v[214:215]|
                                        ; implicit-def: $vgpr204_vgpr205
	s_and_saveexec_b64 s[10:11], s[2:3]
	s_xor_b64 s[2:3], exec, s[10:11]
                                        ; implicit-def: $vgpr206_vgpr207
	s_cbranch_execz .LBB105_23
; %bb.22:
	v_div_scale_f64 v[204:205], s[10:11], v[214:215], v[214:215], v[212:213]
	v_rcp_f64_e32 v[206:207], v[204:205]
	v_div_scale_f64 v[216:217], vcc, v[212:213], v[214:215], v[212:213]
	v_fma_f64 v[218:219], -v[204:205], v[206:207], 1.0
	v_fmac_f64_e32 v[206:207], v[206:207], v[218:219]
	v_fma_f64 v[218:219], -v[204:205], v[206:207], 1.0
	v_fmac_f64_e32 v[206:207], v[206:207], v[218:219]
	v_mul_f64 v[218:219], v[216:217], v[206:207]
	v_fma_f64 v[204:205], -v[204:205], v[218:219], v[216:217]
	v_div_fmas_f64 v[204:205], v[204:205], v[206:207], v[218:219]
	v_div_fixup_f64 v[204:205], v[204:205], v[214:215], v[212:213]
	v_fmac_f64_e32 v[214:215], v[212:213], v[204:205]
	v_div_scale_f64 v[206:207], s[10:11], v[214:215], v[214:215], 1.0
	v_rcp_f64_e32 v[212:213], v[206:207]
	s_nop 0
	v_fma_f64 v[216:217], -v[206:207], v[212:213], 1.0
	v_fmac_f64_e32 v[212:213], v[212:213], v[216:217]
	v_fma_f64 v[216:217], -v[206:207], v[212:213], 1.0
	v_fmac_f64_e32 v[212:213], v[212:213], v[216:217]
	v_div_scale_f64 v[216:217], vcc, 1.0, v[214:215], 1.0
	v_mul_f64 v[218:219], v[216:217], v[212:213]
	v_fma_f64 v[206:207], -v[206:207], v[218:219], v[216:217]
	s_nop 1
	v_div_fmas_f64 v[206:207], v[206:207], v[212:213], v[218:219]
	v_div_fixup_f64 v[206:207], v[206:207], v[214:215], 1.0
	v_mul_f64 v[204:205], v[204:205], v[206:207]
	v_xor_b32_e32 v207, 0x80000000, v207
                                        ; implicit-def: $vgpr212_vgpr213
.LBB105_23:
	s_andn2_saveexec_b64 s[2:3], s[2:3]
	s_cbranch_execz .LBB105_25
; %bb.24:
	v_div_scale_f64 v[204:205], s[10:11], v[212:213], v[212:213], v[214:215]
	v_rcp_f64_e32 v[206:207], v[204:205]
	v_div_scale_f64 v[216:217], vcc, v[214:215], v[212:213], v[214:215]
	v_fma_f64 v[218:219], -v[204:205], v[206:207], 1.0
	v_fmac_f64_e32 v[206:207], v[206:207], v[218:219]
	v_fma_f64 v[218:219], -v[204:205], v[206:207], 1.0
	v_fmac_f64_e32 v[206:207], v[206:207], v[218:219]
	v_mul_f64 v[218:219], v[216:217], v[206:207]
	v_fma_f64 v[204:205], -v[204:205], v[218:219], v[216:217]
	v_div_fmas_f64 v[204:205], v[204:205], v[206:207], v[218:219]
	v_div_fixup_f64 v[206:207], v[204:205], v[212:213], v[214:215]
	v_fmac_f64_e32 v[212:213], v[214:215], v[206:207]
	v_div_scale_f64 v[204:205], s[10:11], v[212:213], v[212:213], 1.0
	v_rcp_f64_e32 v[214:215], v[204:205]
	s_nop 0
	v_fma_f64 v[216:217], -v[204:205], v[214:215], 1.0
	v_fmac_f64_e32 v[214:215], v[214:215], v[216:217]
	v_fma_f64 v[216:217], -v[204:205], v[214:215], 1.0
	v_fmac_f64_e32 v[214:215], v[214:215], v[216:217]
	v_div_scale_f64 v[216:217], vcc, 1.0, v[212:213], 1.0
	v_mul_f64 v[218:219], v[216:217], v[214:215]
	v_fma_f64 v[204:205], -v[204:205], v[218:219], v[216:217]
	s_nop 1
	v_div_fmas_f64 v[204:205], v[204:205], v[214:215], v[218:219]
	v_div_fixup_f64 v[204:205], v[204:205], v[212:213], 1.0
	v_mul_f64 v[206:207], v[206:207], -v[204:205]
.LBB105_25:
	s_or_b64 exec, exec, s[2:3]
	ds_write2_b64 v201, v[204:205], v[206:207] offset1:1
.LBB105_26:
	s_or_b64 exec, exec, s[4:5]
	s_waitcnt lgkmcnt(0)
	s_barrier
	ds_read2_b64 v[192:195], v201 offset1:1
	v_cmp_lt_u32_e32 vcc, 2, v200
	s_waitcnt lgkmcnt(0)
	scratch_store_dwordx4 off, v[192:195], off offset:504 ; 16-byte Folded Spill
	s_and_saveexec_b64 s[2:3], vcc
	s_cbranch_execz .LBB105_28
; %bb.27:
	scratch_load_dwordx4 v[192:195], off, off offset:504 ; 16-byte Folded Reload
	s_waitcnt vmcnt(0)
	v_mul_f64 v[204:205], v[194:195], v[198:199]
	v_mul_f64 v[198:199], v[192:193], v[198:199]
	v_fma_f64 v[212:213], v[192:193], v[196:197], -v[204:205]
	v_fmac_f64_e32 v[198:199], v[194:195], v[196:197]
	scratch_load_dwordx4 v[192:195], off, off ; 16-byte Folded Reload
	ds_read2_b64 v[204:207], v202 offset0:6 offset1:7
	s_waitcnt lgkmcnt(0)
	v_mul_f64 v[196:197], v[206:207], v[198:199]
	v_fma_f64 v[196:197], v[204:205], v[212:213], -v[196:197]
	v_mul_f64 v[204:205], v[204:205], v[198:199]
	v_fmac_f64_e32 v[204:205], v[206:207], v[212:213]
	s_waitcnt vmcnt(0)
	v_add_f64 v[194:195], v[194:195], -v[204:205]
	ds_read2_b64 v[204:207], v202 offset0:8 offset1:9
	v_add_f64 v[192:193], v[192:193], -v[196:197]
	scratch_store_dwordx4 off, v[192:195], off ; 16-byte Folded Spill
	s_waitcnt lgkmcnt(0)
	v_mul_f64 v[196:197], v[206:207], v[198:199]
	v_fma_f64 v[196:197], v[204:205], v[212:213], -v[196:197]
	v_mul_f64 v[204:205], v[204:205], v[198:199]
	v_fmac_f64_e32 v[204:205], v[206:207], v[212:213]
	v_add_f64 v[190:191], v[190:191], -v[204:205]
	ds_read2_b64 v[204:207], v202 offset0:10 offset1:11
	v_add_f64 v[188:189], v[188:189], -v[196:197]
	s_waitcnt lgkmcnt(0)
	v_mul_f64 v[196:197], v[206:207], v[198:199]
	v_fma_f64 v[196:197], v[204:205], v[212:213], -v[196:197]
	v_mul_f64 v[204:205], v[204:205], v[198:199]
	v_fmac_f64_e32 v[204:205], v[206:207], v[212:213]
	v_add_f64 v[186:187], v[186:187], -v[204:205]
	ds_read2_b64 v[204:207], v202 offset0:12 offset1:13
	v_add_f64 v[184:185], v[184:185], -v[196:197]
	;; [unrolled: 8-line block ×48, first 2 shown]
	s_waitcnt lgkmcnt(0)
	v_mul_f64 v[196:197], v[206:207], v[198:199]
	v_fma_f64 v[196:197], v[204:205], v[212:213], -v[196:197]
	v_mul_f64 v[204:205], v[204:205], v[198:199]
	v_fmac_f64_e32 v[204:205], v[206:207], v[212:213]
	v_add_f64 v[208:209], v[208:209], -v[196:197]
	v_add_f64 v[210:211], v[210:211], -v[204:205]
	v_mov_b64_e32 v[196:197], v[212:213]
.LBB105_28:
	s_or_b64 exec, exec, s[2:3]
	v_cmp_eq_u32_e32 vcc, 3, v200
	s_waitcnt vmcnt(63) expcnt(7) lgkmcnt(15)
	s_barrier
	s_and_saveexec_b64 s[4:5], vcc
	s_cbranch_execz .LBB105_35
; %bb.29:
	scratch_load_dwordx4 v[192:195], off, off ; 16-byte Folded Reload
	s_waitcnt vmcnt(0)
	ds_write2_b64 v201, v[192:193], v[194:195] offset1:1
	ds_write2_b64 v202, v[188:189], v[190:191] offset0:8 offset1:9
	ds_write2_b64 v202, v[184:185], v[186:187] offset0:10 offset1:11
	ds_write2_b64 v202, v[180:181], v[182:183] offset0:12 offset1:13
	ds_write2_b64 v202, v[176:177], v[178:179] offset0:14 offset1:15
	ds_write2_b64 v202, v[172:173], v[174:175] offset0:16 offset1:17
	ds_write2_b64 v202, v[168:169], v[170:171] offset0:18 offset1:19
	ds_write2_b64 v202, v[164:165], v[166:167] offset0:20 offset1:21
	ds_write2_b64 v202, v[160:161], v[162:163] offset0:22 offset1:23
	ds_write2_b64 v202, v[156:157], v[158:159] offset0:24 offset1:25
	ds_write2_b64 v202, v[152:153], v[154:155] offset0:26 offset1:27
	ds_write2_b64 v202, v[148:149], v[150:151] offset0:28 offset1:29
	ds_write2_b64 v202, v[144:145], v[146:147] offset0:30 offset1:31
	ds_write2_b64 v202, v[140:141], v[142:143] offset0:32 offset1:33
	ds_write2_b64 v202, v[136:137], v[138:139] offset0:34 offset1:35
	ds_write2_b64 v202, v[132:133], v[134:135] offset0:36 offset1:37
	ds_write2_b64 v202, v[128:129], v[130:131] offset0:38 offset1:39
	ds_write2_b64 v202, v[124:125], v[126:127] offset0:40 offset1:41
	ds_write2_b64 v202, v[120:121], v[122:123] offset0:42 offset1:43
	ds_write2_b64 v202, v[116:117], v[118:119] offset0:44 offset1:45
	ds_write2_b64 v202, v[112:113], v[114:115] offset0:46 offset1:47
	ds_write2_b64 v202, v[108:109], v[110:111] offset0:48 offset1:49
	ds_write2_b64 v202, v[104:105], v[106:107] offset0:50 offset1:51
	ds_write2_b64 v202, v[100:101], v[102:103] offset0:52 offset1:53
	ds_write2_b64 v202, v[96:97], v[98:99] offset0:54 offset1:55
	ds_write2_b64 v202, v[92:93], v[94:95] offset0:56 offset1:57
	ds_write2_b64 v202, v[88:89], v[90:91] offset0:58 offset1:59
	ds_write2_b64 v202, v[84:85], v[86:87] offset0:60 offset1:61
	ds_write2_b64 v202, v[80:81], v[82:83] offset0:62 offset1:63
	ds_write2_b64 v202, v[76:77], v[78:79] offset0:64 offset1:65
	ds_write2_b64 v202, v[72:73], v[74:75] offset0:66 offset1:67
	ds_write2_b64 v202, v[68:69], v[70:71] offset0:68 offset1:69
	ds_write2_b64 v202, v[64:65], v[66:67] offset0:70 offset1:71
	ds_write2_b64 v202, v[60:61], v[62:63] offset0:72 offset1:73
	ds_write2_b64 v202, v[56:57], v[58:59] offset0:74 offset1:75
	ds_write2_b64 v202, v[52:53], v[54:55] offset0:76 offset1:77
	ds_write2_b64 v202, v[48:49], v[50:51] offset0:78 offset1:79
	ds_write2_b64 v202, v[44:45], v[46:47] offset0:80 offset1:81
	ds_write2_b64 v202, v[40:41], v[42:43] offset0:82 offset1:83
	ds_write2_b64 v202, v[36:37], v[38:39] offset0:84 offset1:85
	ds_write2_b64 v202, v[32:33], v[34:35] offset0:86 offset1:87
	ds_write2_b64 v202, v[28:29], v[30:31] offset0:88 offset1:89
	ds_write2_b64 v202, v[24:25], v[26:27] offset0:90 offset1:91
	ds_write2_b64 v202, v[20:21], v[22:23] offset0:92 offset1:93
	ds_write2_b64 v202, v[16:17], v[18:19] offset0:94 offset1:95
	ds_write2_b64 v202, v[12:13], v[14:15] offset0:96 offset1:97
	ds_write2_b64 v202, v[8:9], v[10:11] offset0:98 offset1:99
	ds_write2_b64 v202, v[4:5], v[6:7] offset0:100 offset1:101
	ds_write2_b64 v202, v[0:1], v[2:3] offset0:102 offset1:103
	ds_write2_b64 v202, v[208:209], v[210:211] offset0:104 offset1:105
	ds_read2_b64 v[212:215], v201 offset1:1
	s_waitcnt lgkmcnt(0)
	v_cmp_neq_f64_e32 vcc, 0, v[212:213]
	v_cmp_neq_f64_e64 s[2:3], 0, v[214:215]
	s_or_b64 s[2:3], vcc, s[2:3]
	s_and_b64 exec, exec, s[2:3]
	s_cbranch_execz .LBB105_35
; %bb.30:
	v_cmp_ngt_f64_e64 s[2:3], |v[212:213]|, |v[214:215]|
                                        ; implicit-def: $vgpr204_vgpr205
	s_and_saveexec_b64 s[10:11], s[2:3]
	s_xor_b64 s[2:3], exec, s[10:11]
                                        ; implicit-def: $vgpr206_vgpr207
	s_cbranch_execz .LBB105_32
; %bb.31:
	v_div_scale_f64 v[204:205], s[10:11], v[214:215], v[214:215], v[212:213]
	v_rcp_f64_e32 v[206:207], v[204:205]
	v_div_scale_f64 v[216:217], vcc, v[212:213], v[214:215], v[212:213]
	v_fma_f64 v[218:219], -v[204:205], v[206:207], 1.0
	v_fmac_f64_e32 v[206:207], v[206:207], v[218:219]
	v_fma_f64 v[218:219], -v[204:205], v[206:207], 1.0
	v_fmac_f64_e32 v[206:207], v[206:207], v[218:219]
	v_mul_f64 v[218:219], v[216:217], v[206:207]
	v_fma_f64 v[204:205], -v[204:205], v[218:219], v[216:217]
	v_div_fmas_f64 v[204:205], v[204:205], v[206:207], v[218:219]
	v_div_fixup_f64 v[204:205], v[204:205], v[214:215], v[212:213]
	v_fmac_f64_e32 v[214:215], v[212:213], v[204:205]
	v_div_scale_f64 v[206:207], s[10:11], v[214:215], v[214:215], 1.0
	v_rcp_f64_e32 v[212:213], v[206:207]
	s_nop 0
	v_fma_f64 v[216:217], -v[206:207], v[212:213], 1.0
	v_fmac_f64_e32 v[212:213], v[212:213], v[216:217]
	v_fma_f64 v[216:217], -v[206:207], v[212:213], 1.0
	v_fmac_f64_e32 v[212:213], v[212:213], v[216:217]
	v_div_scale_f64 v[216:217], vcc, 1.0, v[214:215], 1.0
	v_mul_f64 v[218:219], v[216:217], v[212:213]
	v_fma_f64 v[206:207], -v[206:207], v[218:219], v[216:217]
	s_nop 1
	v_div_fmas_f64 v[206:207], v[206:207], v[212:213], v[218:219]
	v_div_fixup_f64 v[206:207], v[206:207], v[214:215], 1.0
	v_mul_f64 v[204:205], v[204:205], v[206:207]
	v_xor_b32_e32 v207, 0x80000000, v207
                                        ; implicit-def: $vgpr212_vgpr213
.LBB105_32:
	s_andn2_saveexec_b64 s[2:3], s[2:3]
	s_cbranch_execz .LBB105_34
; %bb.33:
	v_div_scale_f64 v[204:205], s[10:11], v[212:213], v[212:213], v[214:215]
	v_rcp_f64_e32 v[206:207], v[204:205]
	v_div_scale_f64 v[216:217], vcc, v[214:215], v[212:213], v[214:215]
	v_fma_f64 v[218:219], -v[204:205], v[206:207], 1.0
	v_fmac_f64_e32 v[206:207], v[206:207], v[218:219]
	v_fma_f64 v[218:219], -v[204:205], v[206:207], 1.0
	v_fmac_f64_e32 v[206:207], v[206:207], v[218:219]
	v_mul_f64 v[218:219], v[216:217], v[206:207]
	v_fma_f64 v[204:205], -v[204:205], v[218:219], v[216:217]
	v_div_fmas_f64 v[204:205], v[204:205], v[206:207], v[218:219]
	v_div_fixup_f64 v[206:207], v[204:205], v[212:213], v[214:215]
	v_fmac_f64_e32 v[212:213], v[214:215], v[206:207]
	v_div_scale_f64 v[204:205], s[10:11], v[212:213], v[212:213], 1.0
	v_rcp_f64_e32 v[214:215], v[204:205]
	s_nop 0
	v_fma_f64 v[216:217], -v[204:205], v[214:215], 1.0
	v_fmac_f64_e32 v[214:215], v[214:215], v[216:217]
	v_fma_f64 v[216:217], -v[204:205], v[214:215], 1.0
	v_fmac_f64_e32 v[214:215], v[214:215], v[216:217]
	v_div_scale_f64 v[216:217], vcc, 1.0, v[212:213], 1.0
	v_mul_f64 v[218:219], v[216:217], v[214:215]
	v_fma_f64 v[204:205], -v[204:205], v[218:219], v[216:217]
	s_nop 1
	v_div_fmas_f64 v[204:205], v[204:205], v[214:215], v[218:219]
	v_div_fixup_f64 v[204:205], v[204:205], v[212:213], 1.0
	v_mul_f64 v[206:207], v[206:207], -v[204:205]
.LBB105_34:
	s_or_b64 exec, exec, s[2:3]
	ds_write2_b64 v201, v[204:205], v[206:207] offset1:1
.LBB105_35:
	s_or_b64 exec, exec, s[4:5]
	s_waitcnt lgkmcnt(0)
	s_barrier
	ds_read2_b64 v[192:195], v201 offset1:1
	v_cmp_lt_u32_e32 vcc, 3, v200
	s_waitcnt lgkmcnt(0)
	scratch_store_dwordx4 off, v[192:195], off offset:520 ; 16-byte Folded Spill
	s_and_saveexec_b64 s[2:3], vcc
	s_cbranch_execz .LBB105_37
; %bb.36:
	scratch_load_dwordx4 v[192:195], off, off ; 16-byte Folded Reload
	scratch_load_dwordx4 v[214:217], off, off offset:520 ; 16-byte Folded Reload
	s_waitcnt vmcnt(0)
	v_mul_f64 v[204:205], v[216:217], v[194:195]
	v_fma_f64 v[212:213], v[214:215], v[192:193], -v[204:205]
	ds_read2_b64 v[204:207], v202 offset0:8 offset1:9
	v_mul_f64 v[194:195], v[214:215], v[194:195]
	v_fmac_f64_e32 v[194:195], v[216:217], v[192:193]
	s_waitcnt lgkmcnt(0)
	v_mul_f64 v[192:193], v[206:207], v[194:195]
	v_fma_f64 v[192:193], v[204:205], v[212:213], -v[192:193]
	v_mul_f64 v[204:205], v[204:205], v[194:195]
	v_fmac_f64_e32 v[204:205], v[206:207], v[212:213]
	v_add_f64 v[190:191], v[190:191], -v[204:205]
	ds_read2_b64 v[204:207], v202 offset0:10 offset1:11
	v_add_f64 v[188:189], v[188:189], -v[192:193]
	s_waitcnt lgkmcnt(0)
	v_mul_f64 v[192:193], v[206:207], v[194:195]
	v_fma_f64 v[192:193], v[204:205], v[212:213], -v[192:193]
	v_mul_f64 v[204:205], v[204:205], v[194:195]
	v_fmac_f64_e32 v[204:205], v[206:207], v[212:213]
	v_add_f64 v[186:187], v[186:187], -v[204:205]
	ds_read2_b64 v[204:207], v202 offset0:12 offset1:13
	v_add_f64 v[184:185], v[184:185], -v[192:193]
	;; [unrolled: 8-line block ×48, first 2 shown]
	s_waitcnt lgkmcnt(0)
	v_mul_f64 v[192:193], v[206:207], v[194:195]
	v_fma_f64 v[192:193], v[204:205], v[212:213], -v[192:193]
	v_mul_f64 v[204:205], v[204:205], v[194:195]
	v_fmac_f64_e32 v[204:205], v[206:207], v[212:213]
	v_add_f64 v[208:209], v[208:209], -v[192:193]
	v_add_f64 v[210:211], v[210:211], -v[204:205]
	v_mov_b64_e32 v[192:193], v[212:213]
	scratch_store_dwordx4 off, v[192:195], off ; 16-byte Folded Spill
.LBB105_37:
	s_or_b64 exec, exec, s[2:3]
	v_cmp_eq_u32_e32 vcc, 4, v200
	s_waitcnt vmcnt(63) expcnt(7) lgkmcnt(15)
	s_barrier
	s_and_saveexec_b64 s[4:5], vcc
	s_cbranch_execz .LBB105_44
; %bb.38:
	ds_write2_b64 v201, v[188:189], v[190:191] offset1:1
	ds_write2_b64 v202, v[184:185], v[186:187] offset0:10 offset1:11
	ds_write2_b64 v202, v[180:181], v[182:183] offset0:12 offset1:13
	ds_write2_b64 v202, v[176:177], v[178:179] offset0:14 offset1:15
	ds_write2_b64 v202, v[172:173], v[174:175] offset0:16 offset1:17
	ds_write2_b64 v202, v[168:169], v[170:171] offset0:18 offset1:19
	ds_write2_b64 v202, v[164:165], v[166:167] offset0:20 offset1:21
	ds_write2_b64 v202, v[160:161], v[162:163] offset0:22 offset1:23
	ds_write2_b64 v202, v[156:157], v[158:159] offset0:24 offset1:25
	ds_write2_b64 v202, v[152:153], v[154:155] offset0:26 offset1:27
	ds_write2_b64 v202, v[148:149], v[150:151] offset0:28 offset1:29
	ds_write2_b64 v202, v[144:145], v[146:147] offset0:30 offset1:31
	ds_write2_b64 v202, v[140:141], v[142:143] offset0:32 offset1:33
	ds_write2_b64 v202, v[136:137], v[138:139] offset0:34 offset1:35
	ds_write2_b64 v202, v[132:133], v[134:135] offset0:36 offset1:37
	ds_write2_b64 v202, v[128:129], v[130:131] offset0:38 offset1:39
	ds_write2_b64 v202, v[124:125], v[126:127] offset0:40 offset1:41
	ds_write2_b64 v202, v[120:121], v[122:123] offset0:42 offset1:43
	ds_write2_b64 v202, v[116:117], v[118:119] offset0:44 offset1:45
	ds_write2_b64 v202, v[112:113], v[114:115] offset0:46 offset1:47
	ds_write2_b64 v202, v[108:109], v[110:111] offset0:48 offset1:49
	ds_write2_b64 v202, v[104:105], v[106:107] offset0:50 offset1:51
	ds_write2_b64 v202, v[100:101], v[102:103] offset0:52 offset1:53
	ds_write2_b64 v202, v[96:97], v[98:99] offset0:54 offset1:55
	ds_write2_b64 v202, v[92:93], v[94:95] offset0:56 offset1:57
	ds_write2_b64 v202, v[88:89], v[90:91] offset0:58 offset1:59
	ds_write2_b64 v202, v[84:85], v[86:87] offset0:60 offset1:61
	ds_write2_b64 v202, v[80:81], v[82:83] offset0:62 offset1:63
	ds_write2_b64 v202, v[76:77], v[78:79] offset0:64 offset1:65
	ds_write2_b64 v202, v[72:73], v[74:75] offset0:66 offset1:67
	ds_write2_b64 v202, v[68:69], v[70:71] offset0:68 offset1:69
	s_waitcnt vmcnt(62)
	ds_write2_b64 v202, v[64:65], v[66:67] offset0:70 offset1:71
	s_waitcnt vmcnt(35)
	ds_write2_b64 v202, v[60:61], v[62:63] offset0:72 offset1:73
	;; [unrolled: 2-line block ×14, first 2 shown]
	ds_write2_b64 v202, v[8:9], v[10:11] offset0:98 offset1:99
	ds_write2_b64 v202, v[4:5], v[6:7] offset0:100 offset1:101
	s_waitcnt vmcnt(22)
	ds_write2_b64 v202, v[0:1], v[2:3] offset0:102 offset1:103
	s_waitcnt vmcnt(19)
	ds_write2_b64 v202, v[208:209], v[210:211] offset0:104 offset1:105
	ds_read2_b64 v[212:215], v201 offset1:1
	s_waitcnt lgkmcnt(0)
	v_cmp_neq_f64_e32 vcc, 0, v[212:213]
	v_cmp_neq_f64_e64 s[2:3], 0, v[214:215]
	s_or_b64 s[2:3], vcc, s[2:3]
	s_and_b64 exec, exec, s[2:3]
	s_cbranch_execz .LBB105_44
; %bb.39:
	v_cmp_ngt_f64_e64 s[2:3], |v[212:213]|, |v[214:215]|
                                        ; implicit-def: $vgpr204_vgpr205
	s_and_saveexec_b64 s[10:11], s[2:3]
	s_xor_b64 s[2:3], exec, s[10:11]
                                        ; implicit-def: $vgpr206_vgpr207
	s_cbranch_execz .LBB105_41
; %bb.40:
	v_div_scale_f64 v[204:205], s[10:11], v[214:215], v[214:215], v[212:213]
	v_rcp_f64_e32 v[206:207], v[204:205]
	v_div_scale_f64 v[216:217], vcc, v[212:213], v[214:215], v[212:213]
	v_fma_f64 v[218:219], -v[204:205], v[206:207], 1.0
	v_fmac_f64_e32 v[206:207], v[206:207], v[218:219]
	v_fma_f64 v[218:219], -v[204:205], v[206:207], 1.0
	v_fmac_f64_e32 v[206:207], v[206:207], v[218:219]
	v_mul_f64 v[218:219], v[216:217], v[206:207]
	v_fma_f64 v[204:205], -v[204:205], v[218:219], v[216:217]
	v_div_fmas_f64 v[204:205], v[204:205], v[206:207], v[218:219]
	v_div_fixup_f64 v[204:205], v[204:205], v[214:215], v[212:213]
	v_fmac_f64_e32 v[214:215], v[212:213], v[204:205]
	v_div_scale_f64 v[206:207], s[10:11], v[214:215], v[214:215], 1.0
	v_rcp_f64_e32 v[212:213], v[206:207]
	s_nop 0
	v_fma_f64 v[216:217], -v[206:207], v[212:213], 1.0
	v_fmac_f64_e32 v[212:213], v[212:213], v[216:217]
	v_fma_f64 v[216:217], -v[206:207], v[212:213], 1.0
	v_fmac_f64_e32 v[212:213], v[212:213], v[216:217]
	v_div_scale_f64 v[216:217], vcc, 1.0, v[214:215], 1.0
	v_mul_f64 v[218:219], v[216:217], v[212:213]
	v_fma_f64 v[206:207], -v[206:207], v[218:219], v[216:217]
	s_nop 1
	v_div_fmas_f64 v[206:207], v[206:207], v[212:213], v[218:219]
	v_div_fixup_f64 v[206:207], v[206:207], v[214:215], 1.0
	v_mul_f64 v[204:205], v[204:205], v[206:207]
	v_xor_b32_e32 v207, 0x80000000, v207
                                        ; implicit-def: $vgpr212_vgpr213
.LBB105_41:
	s_andn2_saveexec_b64 s[2:3], s[2:3]
	s_cbranch_execz .LBB105_43
; %bb.42:
	v_div_scale_f64 v[204:205], s[10:11], v[212:213], v[212:213], v[214:215]
	v_rcp_f64_e32 v[206:207], v[204:205]
	v_div_scale_f64 v[216:217], vcc, v[214:215], v[212:213], v[214:215]
	v_fma_f64 v[218:219], -v[204:205], v[206:207], 1.0
	v_fmac_f64_e32 v[206:207], v[206:207], v[218:219]
	v_fma_f64 v[218:219], -v[204:205], v[206:207], 1.0
	v_fmac_f64_e32 v[206:207], v[206:207], v[218:219]
	v_mul_f64 v[218:219], v[216:217], v[206:207]
	v_fma_f64 v[204:205], -v[204:205], v[218:219], v[216:217]
	v_div_fmas_f64 v[204:205], v[204:205], v[206:207], v[218:219]
	v_div_fixup_f64 v[206:207], v[204:205], v[212:213], v[214:215]
	v_fmac_f64_e32 v[212:213], v[214:215], v[206:207]
	v_div_scale_f64 v[204:205], s[10:11], v[212:213], v[212:213], 1.0
	v_rcp_f64_e32 v[214:215], v[204:205]
	s_nop 0
	v_fma_f64 v[216:217], -v[204:205], v[214:215], 1.0
	v_fmac_f64_e32 v[214:215], v[214:215], v[216:217]
	v_fma_f64 v[216:217], -v[204:205], v[214:215], 1.0
	v_fmac_f64_e32 v[214:215], v[214:215], v[216:217]
	v_div_scale_f64 v[216:217], vcc, 1.0, v[212:213], 1.0
	v_mul_f64 v[218:219], v[216:217], v[214:215]
	v_fma_f64 v[204:205], -v[204:205], v[218:219], v[216:217]
	s_nop 1
	v_div_fmas_f64 v[204:205], v[204:205], v[214:215], v[218:219]
	v_div_fixup_f64 v[204:205], v[204:205], v[212:213], 1.0
	v_mul_f64 v[206:207], v[206:207], -v[204:205]
.LBB105_43:
	s_or_b64 exec, exec, s[2:3]
	ds_write2_b64 v201, v[204:205], v[206:207] offset1:1
.LBB105_44:
	s_or_b64 exec, exec, s[4:5]
	s_waitcnt lgkmcnt(0)
	s_barrier
	ds_read2_b64 v[192:195], v201 offset1:1
	v_cmp_lt_u32_e32 vcc, 4, v200
	s_waitcnt lgkmcnt(0)
	scratch_store_dwordx4 off, v[192:195], off offset:536 ; 16-byte Folded Spill
	s_and_saveexec_b64 s[2:3], vcc
	s_cbranch_execz .LBB105_46
; %bb.45:
	scratch_load_dwordx4 v[192:195], off, off offset:536 ; 16-byte Folded Reload
	s_waitcnt vmcnt(0)
	v_mul_f64 v[204:205], v[194:195], v[190:191]
	v_fma_f64 v[212:213], v[192:193], v[188:189], -v[204:205]
	ds_read2_b64 v[204:207], v202 offset0:10 offset1:11
	v_mul_f64 v[190:191], v[192:193], v[190:191]
	v_fmac_f64_e32 v[190:191], v[194:195], v[188:189]
	s_waitcnt lgkmcnt(0)
	v_mul_f64 v[188:189], v[206:207], v[190:191]
	v_fma_f64 v[188:189], v[204:205], v[212:213], -v[188:189]
	v_mul_f64 v[204:205], v[204:205], v[190:191]
	v_fmac_f64_e32 v[204:205], v[206:207], v[212:213]
	v_add_f64 v[186:187], v[186:187], -v[204:205]
	ds_read2_b64 v[204:207], v202 offset0:12 offset1:13
	v_add_f64 v[184:185], v[184:185], -v[188:189]
	s_waitcnt lgkmcnt(0)
	v_mul_f64 v[188:189], v[206:207], v[190:191]
	v_fma_f64 v[188:189], v[204:205], v[212:213], -v[188:189]
	v_mul_f64 v[204:205], v[204:205], v[190:191]
	v_fmac_f64_e32 v[204:205], v[206:207], v[212:213]
	v_add_f64 v[182:183], v[182:183], -v[204:205]
	ds_read2_b64 v[204:207], v202 offset0:14 offset1:15
	v_add_f64 v[180:181], v[180:181], -v[188:189]
	;; [unrolled: 8-line block ×47, first 2 shown]
	s_waitcnt lgkmcnt(0)
	v_mul_f64 v[188:189], v[206:207], v[190:191]
	v_fma_f64 v[188:189], v[204:205], v[212:213], -v[188:189]
	v_mul_f64 v[204:205], v[204:205], v[190:191]
	v_fmac_f64_e32 v[204:205], v[206:207], v[212:213]
	v_add_f64 v[208:209], v[208:209], -v[188:189]
	v_add_f64 v[210:211], v[210:211], -v[204:205]
	v_mov_b64_e32 v[188:189], v[212:213]
.LBB105_46:
	s_or_b64 exec, exec, s[2:3]
	v_cmp_eq_u32_e32 vcc, 5, v200
	s_waitcnt vmcnt(63) expcnt(7) lgkmcnt(15)
	s_barrier
	s_and_saveexec_b64 s[4:5], vcc
	s_cbranch_execz .LBB105_53
; %bb.47:
	ds_write2_b64 v201, v[184:185], v[186:187] offset1:1
	ds_write2_b64 v202, v[180:181], v[182:183] offset0:12 offset1:13
	ds_write2_b64 v202, v[176:177], v[178:179] offset0:14 offset1:15
	;; [unrolled: 1-line block ×30, first 2 shown]
	s_waitcnt vmcnt(36)
	ds_write2_b64 v202, v[60:61], v[62:63] offset0:72 offset1:73
	s_waitcnt vmcnt(35)
	ds_write2_b64 v202, v[56:57], v[58:59] offset0:74 offset1:75
	;; [unrolled: 2-line block ×13, first 2 shown]
	ds_write2_b64 v202, v[8:9], v[10:11] offset0:98 offset1:99
	ds_write2_b64 v202, v[4:5], v[6:7] offset0:100 offset1:101
	s_waitcnt vmcnt(23)
	ds_write2_b64 v202, v[0:1], v[2:3] offset0:102 offset1:103
	s_waitcnt vmcnt(20)
	ds_write2_b64 v202, v[208:209], v[210:211] offset0:104 offset1:105
	ds_read2_b64 v[212:215], v201 offset1:1
	s_waitcnt lgkmcnt(0)
	v_cmp_neq_f64_e32 vcc, 0, v[212:213]
	v_cmp_neq_f64_e64 s[2:3], 0, v[214:215]
	s_or_b64 s[2:3], vcc, s[2:3]
	s_and_b64 exec, exec, s[2:3]
	s_cbranch_execz .LBB105_53
; %bb.48:
	v_cmp_ngt_f64_e64 s[2:3], |v[212:213]|, |v[214:215]|
                                        ; implicit-def: $vgpr204_vgpr205
	s_and_saveexec_b64 s[10:11], s[2:3]
	s_xor_b64 s[2:3], exec, s[10:11]
                                        ; implicit-def: $vgpr206_vgpr207
	s_cbranch_execz .LBB105_50
; %bb.49:
	v_div_scale_f64 v[204:205], s[10:11], v[214:215], v[214:215], v[212:213]
	v_rcp_f64_e32 v[206:207], v[204:205]
	v_div_scale_f64 v[216:217], vcc, v[212:213], v[214:215], v[212:213]
	v_fma_f64 v[218:219], -v[204:205], v[206:207], 1.0
	v_fmac_f64_e32 v[206:207], v[206:207], v[218:219]
	v_fma_f64 v[218:219], -v[204:205], v[206:207], 1.0
	v_fmac_f64_e32 v[206:207], v[206:207], v[218:219]
	v_mul_f64 v[218:219], v[216:217], v[206:207]
	v_fma_f64 v[204:205], -v[204:205], v[218:219], v[216:217]
	v_div_fmas_f64 v[204:205], v[204:205], v[206:207], v[218:219]
	v_div_fixup_f64 v[204:205], v[204:205], v[214:215], v[212:213]
	v_fmac_f64_e32 v[214:215], v[212:213], v[204:205]
	v_div_scale_f64 v[206:207], s[10:11], v[214:215], v[214:215], 1.0
	v_rcp_f64_e32 v[212:213], v[206:207]
	s_nop 0
	v_fma_f64 v[216:217], -v[206:207], v[212:213], 1.0
	v_fmac_f64_e32 v[212:213], v[212:213], v[216:217]
	v_fma_f64 v[216:217], -v[206:207], v[212:213], 1.0
	v_fmac_f64_e32 v[212:213], v[212:213], v[216:217]
	v_div_scale_f64 v[216:217], vcc, 1.0, v[214:215], 1.0
	v_mul_f64 v[218:219], v[216:217], v[212:213]
	v_fma_f64 v[206:207], -v[206:207], v[218:219], v[216:217]
	s_nop 1
	v_div_fmas_f64 v[206:207], v[206:207], v[212:213], v[218:219]
	v_div_fixup_f64 v[206:207], v[206:207], v[214:215], 1.0
	v_mul_f64 v[204:205], v[204:205], v[206:207]
	v_xor_b32_e32 v207, 0x80000000, v207
                                        ; implicit-def: $vgpr212_vgpr213
.LBB105_50:
	s_andn2_saveexec_b64 s[2:3], s[2:3]
	s_cbranch_execz .LBB105_52
; %bb.51:
	v_div_scale_f64 v[204:205], s[10:11], v[212:213], v[212:213], v[214:215]
	v_rcp_f64_e32 v[206:207], v[204:205]
	v_div_scale_f64 v[216:217], vcc, v[214:215], v[212:213], v[214:215]
	v_fma_f64 v[218:219], -v[204:205], v[206:207], 1.0
	v_fmac_f64_e32 v[206:207], v[206:207], v[218:219]
	v_fma_f64 v[218:219], -v[204:205], v[206:207], 1.0
	v_fmac_f64_e32 v[206:207], v[206:207], v[218:219]
	v_mul_f64 v[218:219], v[216:217], v[206:207]
	v_fma_f64 v[204:205], -v[204:205], v[218:219], v[216:217]
	v_div_fmas_f64 v[204:205], v[204:205], v[206:207], v[218:219]
	v_div_fixup_f64 v[206:207], v[204:205], v[212:213], v[214:215]
	v_fmac_f64_e32 v[212:213], v[214:215], v[206:207]
	v_div_scale_f64 v[204:205], s[10:11], v[212:213], v[212:213], 1.0
	v_rcp_f64_e32 v[214:215], v[204:205]
	s_nop 0
	v_fma_f64 v[216:217], -v[204:205], v[214:215], 1.0
	v_fmac_f64_e32 v[214:215], v[214:215], v[216:217]
	v_fma_f64 v[216:217], -v[204:205], v[214:215], 1.0
	v_fmac_f64_e32 v[214:215], v[214:215], v[216:217]
	v_div_scale_f64 v[216:217], vcc, 1.0, v[212:213], 1.0
	v_mul_f64 v[218:219], v[216:217], v[214:215]
	v_fma_f64 v[204:205], -v[204:205], v[218:219], v[216:217]
	s_nop 1
	v_div_fmas_f64 v[204:205], v[204:205], v[214:215], v[218:219]
	v_div_fixup_f64 v[204:205], v[204:205], v[212:213], 1.0
	v_mul_f64 v[206:207], v[206:207], -v[204:205]
.LBB105_52:
	s_or_b64 exec, exec, s[2:3]
	ds_write2_b64 v201, v[204:205], v[206:207] offset1:1
.LBB105_53:
	s_or_b64 exec, exec, s[4:5]
	s_waitcnt lgkmcnt(0)
	s_barrier
	ds_read2_b64 v[192:195], v201 offset1:1
	v_cmp_lt_u32_e32 vcc, 5, v200
	s_waitcnt lgkmcnt(0)
	scratch_store_dwordx4 off, v[192:195], off offset:552 ; 16-byte Folded Spill
	s_and_saveexec_b64 s[2:3], vcc
	s_cbranch_execz .LBB105_55
; %bb.54:
	scratch_load_dwordx4 v[192:195], off, off offset:552 ; 16-byte Folded Reload
	s_waitcnt vmcnt(0)
	v_mul_f64 v[204:205], v[194:195], v[186:187]
	v_fma_f64 v[212:213], v[192:193], v[184:185], -v[204:205]
	ds_read2_b64 v[204:207], v202 offset0:12 offset1:13
	v_mul_f64 v[186:187], v[192:193], v[186:187]
	v_fmac_f64_e32 v[186:187], v[194:195], v[184:185]
	s_waitcnt lgkmcnt(0)
	v_mul_f64 v[184:185], v[206:207], v[186:187]
	v_fma_f64 v[184:185], v[204:205], v[212:213], -v[184:185]
	v_mul_f64 v[204:205], v[204:205], v[186:187]
	v_fmac_f64_e32 v[204:205], v[206:207], v[212:213]
	v_add_f64 v[182:183], v[182:183], -v[204:205]
	ds_read2_b64 v[204:207], v202 offset0:14 offset1:15
	v_add_f64 v[180:181], v[180:181], -v[184:185]
	s_waitcnt lgkmcnt(0)
	v_mul_f64 v[184:185], v[206:207], v[186:187]
	v_fma_f64 v[184:185], v[204:205], v[212:213], -v[184:185]
	v_mul_f64 v[204:205], v[204:205], v[186:187]
	v_fmac_f64_e32 v[204:205], v[206:207], v[212:213]
	v_add_f64 v[178:179], v[178:179], -v[204:205]
	ds_read2_b64 v[204:207], v202 offset0:16 offset1:17
	v_add_f64 v[176:177], v[176:177], -v[184:185]
	;; [unrolled: 8-line block ×46, first 2 shown]
	s_waitcnt lgkmcnt(0)
	v_mul_f64 v[184:185], v[206:207], v[186:187]
	v_fma_f64 v[184:185], v[204:205], v[212:213], -v[184:185]
	v_mul_f64 v[204:205], v[204:205], v[186:187]
	v_fmac_f64_e32 v[204:205], v[206:207], v[212:213]
	v_add_f64 v[208:209], v[208:209], -v[184:185]
	v_add_f64 v[210:211], v[210:211], -v[204:205]
	v_mov_b64_e32 v[184:185], v[212:213]
.LBB105_55:
	s_or_b64 exec, exec, s[2:3]
	v_cmp_eq_u32_e32 vcc, 6, v200
	s_waitcnt vmcnt(63) expcnt(7) lgkmcnt(15)
	s_barrier
	s_and_saveexec_b64 s[4:5], vcc
	s_cbranch_execz .LBB105_62
; %bb.56:
	ds_write2_b64 v201, v[180:181], v[182:183] offset1:1
	ds_write2_b64 v202, v[176:177], v[178:179] offset0:14 offset1:15
	ds_write2_b64 v202, v[172:173], v[174:175] offset0:16 offset1:17
	;; [unrolled: 1-line block ×29, first 2 shown]
	s_waitcnt vmcnt(37)
	ds_write2_b64 v202, v[60:61], v[62:63] offset0:72 offset1:73
	s_waitcnt vmcnt(36)
	ds_write2_b64 v202, v[56:57], v[58:59] offset0:74 offset1:75
	;; [unrolled: 2-line block ×13, first 2 shown]
	ds_write2_b64 v202, v[8:9], v[10:11] offset0:98 offset1:99
	ds_write2_b64 v202, v[4:5], v[6:7] offset0:100 offset1:101
	s_waitcnt vmcnt(24)
	ds_write2_b64 v202, v[0:1], v[2:3] offset0:102 offset1:103
	s_waitcnt vmcnt(21)
	ds_write2_b64 v202, v[208:209], v[210:211] offset0:104 offset1:105
	ds_read2_b64 v[212:215], v201 offset1:1
	s_waitcnt lgkmcnt(0)
	v_cmp_neq_f64_e32 vcc, 0, v[212:213]
	v_cmp_neq_f64_e64 s[2:3], 0, v[214:215]
	s_or_b64 s[2:3], vcc, s[2:3]
	s_and_b64 exec, exec, s[2:3]
	s_cbranch_execz .LBB105_62
; %bb.57:
	v_cmp_ngt_f64_e64 s[2:3], |v[212:213]|, |v[214:215]|
                                        ; implicit-def: $vgpr204_vgpr205
	s_and_saveexec_b64 s[10:11], s[2:3]
	s_xor_b64 s[2:3], exec, s[10:11]
                                        ; implicit-def: $vgpr206_vgpr207
	s_cbranch_execz .LBB105_59
; %bb.58:
	v_div_scale_f64 v[204:205], s[10:11], v[214:215], v[214:215], v[212:213]
	v_rcp_f64_e32 v[206:207], v[204:205]
	v_div_scale_f64 v[216:217], vcc, v[212:213], v[214:215], v[212:213]
	v_fma_f64 v[218:219], -v[204:205], v[206:207], 1.0
	v_fmac_f64_e32 v[206:207], v[206:207], v[218:219]
	v_fma_f64 v[218:219], -v[204:205], v[206:207], 1.0
	v_fmac_f64_e32 v[206:207], v[206:207], v[218:219]
	v_mul_f64 v[218:219], v[216:217], v[206:207]
	v_fma_f64 v[204:205], -v[204:205], v[218:219], v[216:217]
	v_div_fmas_f64 v[204:205], v[204:205], v[206:207], v[218:219]
	v_div_fixup_f64 v[204:205], v[204:205], v[214:215], v[212:213]
	v_fmac_f64_e32 v[214:215], v[212:213], v[204:205]
	v_div_scale_f64 v[206:207], s[10:11], v[214:215], v[214:215], 1.0
	v_rcp_f64_e32 v[212:213], v[206:207]
	s_nop 0
	v_fma_f64 v[216:217], -v[206:207], v[212:213], 1.0
	v_fmac_f64_e32 v[212:213], v[212:213], v[216:217]
	v_fma_f64 v[216:217], -v[206:207], v[212:213], 1.0
	v_fmac_f64_e32 v[212:213], v[212:213], v[216:217]
	v_div_scale_f64 v[216:217], vcc, 1.0, v[214:215], 1.0
	v_mul_f64 v[218:219], v[216:217], v[212:213]
	v_fma_f64 v[206:207], -v[206:207], v[218:219], v[216:217]
	s_nop 1
	v_div_fmas_f64 v[206:207], v[206:207], v[212:213], v[218:219]
	v_div_fixup_f64 v[206:207], v[206:207], v[214:215], 1.0
	v_mul_f64 v[204:205], v[204:205], v[206:207]
	v_xor_b32_e32 v207, 0x80000000, v207
                                        ; implicit-def: $vgpr212_vgpr213
.LBB105_59:
	s_andn2_saveexec_b64 s[2:3], s[2:3]
	s_cbranch_execz .LBB105_61
; %bb.60:
	v_div_scale_f64 v[204:205], s[10:11], v[212:213], v[212:213], v[214:215]
	v_rcp_f64_e32 v[206:207], v[204:205]
	v_div_scale_f64 v[216:217], vcc, v[214:215], v[212:213], v[214:215]
	v_fma_f64 v[218:219], -v[204:205], v[206:207], 1.0
	v_fmac_f64_e32 v[206:207], v[206:207], v[218:219]
	v_fma_f64 v[218:219], -v[204:205], v[206:207], 1.0
	v_fmac_f64_e32 v[206:207], v[206:207], v[218:219]
	v_mul_f64 v[218:219], v[216:217], v[206:207]
	v_fma_f64 v[204:205], -v[204:205], v[218:219], v[216:217]
	v_div_fmas_f64 v[204:205], v[204:205], v[206:207], v[218:219]
	v_div_fixup_f64 v[206:207], v[204:205], v[212:213], v[214:215]
	v_fmac_f64_e32 v[212:213], v[214:215], v[206:207]
	v_div_scale_f64 v[204:205], s[10:11], v[212:213], v[212:213], 1.0
	v_rcp_f64_e32 v[214:215], v[204:205]
	s_nop 0
	v_fma_f64 v[216:217], -v[204:205], v[214:215], 1.0
	v_fmac_f64_e32 v[214:215], v[214:215], v[216:217]
	v_fma_f64 v[216:217], -v[204:205], v[214:215], 1.0
	v_fmac_f64_e32 v[214:215], v[214:215], v[216:217]
	v_div_scale_f64 v[216:217], vcc, 1.0, v[212:213], 1.0
	v_mul_f64 v[218:219], v[216:217], v[214:215]
	v_fma_f64 v[204:205], -v[204:205], v[218:219], v[216:217]
	s_nop 1
	v_div_fmas_f64 v[204:205], v[204:205], v[214:215], v[218:219]
	v_div_fixup_f64 v[204:205], v[204:205], v[212:213], 1.0
	v_mul_f64 v[206:207], v[206:207], -v[204:205]
.LBB105_61:
	s_or_b64 exec, exec, s[2:3]
	ds_write2_b64 v201, v[204:205], v[206:207] offset1:1
.LBB105_62:
	s_or_b64 exec, exec, s[4:5]
	s_waitcnt lgkmcnt(0)
	s_barrier
	ds_read2_b64 v[192:195], v201 offset1:1
	v_cmp_lt_u32_e32 vcc, 6, v200
	s_waitcnt lgkmcnt(0)
	scratch_store_dwordx4 off, v[192:195], off offset:568 ; 16-byte Folded Spill
	s_and_saveexec_b64 s[2:3], vcc
	s_cbranch_execz .LBB105_64
; %bb.63:
	scratch_load_dwordx4 v[192:195], off, off offset:568 ; 16-byte Folded Reload
	s_waitcnt vmcnt(0)
	v_mul_f64 v[204:205], v[194:195], v[182:183]
	v_fma_f64 v[212:213], v[192:193], v[180:181], -v[204:205]
	ds_read2_b64 v[204:207], v202 offset0:14 offset1:15
	v_mul_f64 v[182:183], v[192:193], v[182:183]
	v_fmac_f64_e32 v[182:183], v[194:195], v[180:181]
	s_waitcnt lgkmcnt(0)
	v_mul_f64 v[180:181], v[206:207], v[182:183]
	v_fma_f64 v[180:181], v[204:205], v[212:213], -v[180:181]
	v_mul_f64 v[204:205], v[204:205], v[182:183]
	v_fmac_f64_e32 v[204:205], v[206:207], v[212:213]
	v_add_f64 v[178:179], v[178:179], -v[204:205]
	ds_read2_b64 v[204:207], v202 offset0:16 offset1:17
	v_add_f64 v[176:177], v[176:177], -v[180:181]
	s_waitcnt lgkmcnt(0)
	v_mul_f64 v[180:181], v[206:207], v[182:183]
	v_fma_f64 v[180:181], v[204:205], v[212:213], -v[180:181]
	v_mul_f64 v[204:205], v[204:205], v[182:183]
	v_fmac_f64_e32 v[204:205], v[206:207], v[212:213]
	v_add_f64 v[174:175], v[174:175], -v[204:205]
	ds_read2_b64 v[204:207], v202 offset0:18 offset1:19
	v_add_f64 v[172:173], v[172:173], -v[180:181]
	;; [unrolled: 8-line block ×45, first 2 shown]
	s_waitcnt lgkmcnt(0)
	v_mul_f64 v[180:181], v[206:207], v[182:183]
	v_fma_f64 v[180:181], v[204:205], v[212:213], -v[180:181]
	v_mul_f64 v[204:205], v[204:205], v[182:183]
	v_fmac_f64_e32 v[204:205], v[206:207], v[212:213]
	v_add_f64 v[208:209], v[208:209], -v[180:181]
	v_add_f64 v[210:211], v[210:211], -v[204:205]
	v_mov_b64_e32 v[180:181], v[212:213]
.LBB105_64:
	s_or_b64 exec, exec, s[2:3]
	v_cmp_eq_u32_e32 vcc, 7, v200
	s_waitcnt vmcnt(63) expcnt(7) lgkmcnt(15)
	s_barrier
	s_and_saveexec_b64 s[4:5], vcc
	s_cbranch_execz .LBB105_71
; %bb.65:
	ds_write2_b64 v201, v[176:177], v[178:179] offset1:1
	ds_write2_b64 v202, v[172:173], v[174:175] offset0:16 offset1:17
	ds_write2_b64 v202, v[168:169], v[170:171] offset0:18 offset1:19
	;; [unrolled: 1-line block ×28, first 2 shown]
	s_waitcnt vmcnt(38)
	ds_write2_b64 v202, v[60:61], v[62:63] offset0:72 offset1:73
	s_waitcnt vmcnt(37)
	ds_write2_b64 v202, v[56:57], v[58:59] offset0:74 offset1:75
	;; [unrolled: 2-line block ×13, first 2 shown]
	ds_write2_b64 v202, v[8:9], v[10:11] offset0:98 offset1:99
	ds_write2_b64 v202, v[4:5], v[6:7] offset0:100 offset1:101
	s_waitcnt vmcnt(25)
	ds_write2_b64 v202, v[0:1], v[2:3] offset0:102 offset1:103
	s_waitcnt vmcnt(22)
	ds_write2_b64 v202, v[208:209], v[210:211] offset0:104 offset1:105
	ds_read2_b64 v[212:215], v201 offset1:1
	s_waitcnt lgkmcnt(0)
	v_cmp_neq_f64_e32 vcc, 0, v[212:213]
	v_cmp_neq_f64_e64 s[2:3], 0, v[214:215]
	s_or_b64 s[2:3], vcc, s[2:3]
	s_and_b64 exec, exec, s[2:3]
	s_cbranch_execz .LBB105_71
; %bb.66:
	v_cmp_ngt_f64_e64 s[2:3], |v[212:213]|, |v[214:215]|
                                        ; implicit-def: $vgpr204_vgpr205
	s_and_saveexec_b64 s[10:11], s[2:3]
	s_xor_b64 s[2:3], exec, s[10:11]
                                        ; implicit-def: $vgpr206_vgpr207
	s_cbranch_execz .LBB105_68
; %bb.67:
	v_div_scale_f64 v[204:205], s[10:11], v[214:215], v[214:215], v[212:213]
	v_rcp_f64_e32 v[206:207], v[204:205]
	v_div_scale_f64 v[216:217], vcc, v[212:213], v[214:215], v[212:213]
	v_fma_f64 v[218:219], -v[204:205], v[206:207], 1.0
	v_fmac_f64_e32 v[206:207], v[206:207], v[218:219]
	v_fma_f64 v[218:219], -v[204:205], v[206:207], 1.0
	v_fmac_f64_e32 v[206:207], v[206:207], v[218:219]
	v_mul_f64 v[218:219], v[216:217], v[206:207]
	v_fma_f64 v[204:205], -v[204:205], v[218:219], v[216:217]
	v_div_fmas_f64 v[204:205], v[204:205], v[206:207], v[218:219]
	v_div_fixup_f64 v[204:205], v[204:205], v[214:215], v[212:213]
	v_fmac_f64_e32 v[214:215], v[212:213], v[204:205]
	v_div_scale_f64 v[206:207], s[10:11], v[214:215], v[214:215], 1.0
	v_rcp_f64_e32 v[212:213], v[206:207]
	s_nop 0
	v_fma_f64 v[216:217], -v[206:207], v[212:213], 1.0
	v_fmac_f64_e32 v[212:213], v[212:213], v[216:217]
	v_fma_f64 v[216:217], -v[206:207], v[212:213], 1.0
	v_fmac_f64_e32 v[212:213], v[212:213], v[216:217]
	v_div_scale_f64 v[216:217], vcc, 1.0, v[214:215], 1.0
	v_mul_f64 v[218:219], v[216:217], v[212:213]
	v_fma_f64 v[206:207], -v[206:207], v[218:219], v[216:217]
	s_nop 1
	v_div_fmas_f64 v[206:207], v[206:207], v[212:213], v[218:219]
	v_div_fixup_f64 v[206:207], v[206:207], v[214:215], 1.0
	v_mul_f64 v[204:205], v[204:205], v[206:207]
	v_xor_b32_e32 v207, 0x80000000, v207
                                        ; implicit-def: $vgpr212_vgpr213
.LBB105_68:
	s_andn2_saveexec_b64 s[2:3], s[2:3]
	s_cbranch_execz .LBB105_70
; %bb.69:
	v_div_scale_f64 v[204:205], s[10:11], v[212:213], v[212:213], v[214:215]
	v_rcp_f64_e32 v[206:207], v[204:205]
	v_div_scale_f64 v[216:217], vcc, v[214:215], v[212:213], v[214:215]
	v_fma_f64 v[218:219], -v[204:205], v[206:207], 1.0
	v_fmac_f64_e32 v[206:207], v[206:207], v[218:219]
	v_fma_f64 v[218:219], -v[204:205], v[206:207], 1.0
	v_fmac_f64_e32 v[206:207], v[206:207], v[218:219]
	v_mul_f64 v[218:219], v[216:217], v[206:207]
	v_fma_f64 v[204:205], -v[204:205], v[218:219], v[216:217]
	v_div_fmas_f64 v[204:205], v[204:205], v[206:207], v[218:219]
	v_div_fixup_f64 v[206:207], v[204:205], v[212:213], v[214:215]
	v_fmac_f64_e32 v[212:213], v[214:215], v[206:207]
	v_div_scale_f64 v[204:205], s[10:11], v[212:213], v[212:213], 1.0
	v_rcp_f64_e32 v[214:215], v[204:205]
	s_nop 0
	v_fma_f64 v[216:217], -v[204:205], v[214:215], 1.0
	v_fmac_f64_e32 v[214:215], v[214:215], v[216:217]
	v_fma_f64 v[216:217], -v[204:205], v[214:215], 1.0
	v_fmac_f64_e32 v[214:215], v[214:215], v[216:217]
	v_div_scale_f64 v[216:217], vcc, 1.0, v[212:213], 1.0
	v_mul_f64 v[218:219], v[216:217], v[214:215]
	v_fma_f64 v[204:205], -v[204:205], v[218:219], v[216:217]
	s_nop 1
	v_div_fmas_f64 v[204:205], v[204:205], v[214:215], v[218:219]
	v_div_fixup_f64 v[204:205], v[204:205], v[212:213], 1.0
	v_mul_f64 v[206:207], v[206:207], -v[204:205]
.LBB105_70:
	s_or_b64 exec, exec, s[2:3]
	ds_write2_b64 v201, v[204:205], v[206:207] offset1:1
.LBB105_71:
	s_or_b64 exec, exec, s[4:5]
	s_waitcnt lgkmcnt(0)
	s_barrier
	ds_read2_b64 v[192:195], v201 offset1:1
	v_cmp_lt_u32_e32 vcc, 7, v200
	s_waitcnt lgkmcnt(0)
	scratch_store_dwordx4 off, v[192:195], off offset:584 ; 16-byte Folded Spill
	s_and_saveexec_b64 s[2:3], vcc
	s_cbranch_execz .LBB105_73
; %bb.72:
	scratch_load_dwordx4 v[192:195], off, off offset:584 ; 16-byte Folded Reload
	s_waitcnt vmcnt(0)
	v_mul_f64 v[204:205], v[194:195], v[178:179]
	v_fma_f64 v[212:213], v[192:193], v[176:177], -v[204:205]
	ds_read2_b64 v[204:207], v202 offset0:16 offset1:17
	v_mul_f64 v[178:179], v[192:193], v[178:179]
	v_fmac_f64_e32 v[178:179], v[194:195], v[176:177]
	s_waitcnt lgkmcnt(0)
	v_mul_f64 v[176:177], v[206:207], v[178:179]
	v_fma_f64 v[176:177], v[204:205], v[212:213], -v[176:177]
	v_mul_f64 v[204:205], v[204:205], v[178:179]
	v_fmac_f64_e32 v[204:205], v[206:207], v[212:213]
	v_add_f64 v[174:175], v[174:175], -v[204:205]
	ds_read2_b64 v[204:207], v202 offset0:18 offset1:19
	v_add_f64 v[172:173], v[172:173], -v[176:177]
	s_waitcnt lgkmcnt(0)
	v_mul_f64 v[176:177], v[206:207], v[178:179]
	v_fma_f64 v[176:177], v[204:205], v[212:213], -v[176:177]
	v_mul_f64 v[204:205], v[204:205], v[178:179]
	v_fmac_f64_e32 v[204:205], v[206:207], v[212:213]
	v_add_f64 v[170:171], v[170:171], -v[204:205]
	ds_read2_b64 v[204:207], v202 offset0:20 offset1:21
	v_add_f64 v[168:169], v[168:169], -v[176:177]
	;; [unrolled: 8-line block ×44, first 2 shown]
	s_waitcnt lgkmcnt(0)
	v_mul_f64 v[176:177], v[206:207], v[178:179]
	v_fma_f64 v[176:177], v[204:205], v[212:213], -v[176:177]
	v_mul_f64 v[204:205], v[204:205], v[178:179]
	v_fmac_f64_e32 v[204:205], v[206:207], v[212:213]
	v_add_f64 v[208:209], v[208:209], -v[176:177]
	v_add_f64 v[210:211], v[210:211], -v[204:205]
	v_mov_b64_e32 v[176:177], v[212:213]
.LBB105_73:
	s_or_b64 exec, exec, s[2:3]
	v_cmp_eq_u32_e32 vcc, 8, v200
	s_waitcnt vmcnt(63) expcnt(7) lgkmcnt(15)
	s_barrier
	s_and_saveexec_b64 s[4:5], vcc
	s_cbranch_execz .LBB105_80
; %bb.74:
	ds_write2_b64 v201, v[172:173], v[174:175] offset1:1
	ds_write2_b64 v202, v[168:169], v[170:171] offset0:18 offset1:19
	ds_write2_b64 v202, v[164:165], v[166:167] offset0:20 offset1:21
	;; [unrolled: 1-line block ×27, first 2 shown]
	s_waitcnt vmcnt(39)
	ds_write2_b64 v202, v[60:61], v[62:63] offset0:72 offset1:73
	s_waitcnt vmcnt(38)
	ds_write2_b64 v202, v[56:57], v[58:59] offset0:74 offset1:75
	;; [unrolled: 2-line block ×13, first 2 shown]
	ds_write2_b64 v202, v[8:9], v[10:11] offset0:98 offset1:99
	ds_write2_b64 v202, v[4:5], v[6:7] offset0:100 offset1:101
	s_waitcnt vmcnt(26)
	ds_write2_b64 v202, v[0:1], v[2:3] offset0:102 offset1:103
	s_waitcnt vmcnt(23)
	ds_write2_b64 v202, v[208:209], v[210:211] offset0:104 offset1:105
	ds_read2_b64 v[212:215], v201 offset1:1
	s_waitcnt lgkmcnt(0)
	v_cmp_neq_f64_e32 vcc, 0, v[212:213]
	v_cmp_neq_f64_e64 s[2:3], 0, v[214:215]
	s_or_b64 s[2:3], vcc, s[2:3]
	s_and_b64 exec, exec, s[2:3]
	s_cbranch_execz .LBB105_80
; %bb.75:
	v_cmp_ngt_f64_e64 s[2:3], |v[212:213]|, |v[214:215]|
                                        ; implicit-def: $vgpr204_vgpr205
	s_and_saveexec_b64 s[10:11], s[2:3]
	s_xor_b64 s[2:3], exec, s[10:11]
                                        ; implicit-def: $vgpr206_vgpr207
	s_cbranch_execz .LBB105_77
; %bb.76:
	v_div_scale_f64 v[204:205], s[10:11], v[214:215], v[214:215], v[212:213]
	v_rcp_f64_e32 v[206:207], v[204:205]
	v_div_scale_f64 v[216:217], vcc, v[212:213], v[214:215], v[212:213]
	v_fma_f64 v[218:219], -v[204:205], v[206:207], 1.0
	v_fmac_f64_e32 v[206:207], v[206:207], v[218:219]
	v_fma_f64 v[218:219], -v[204:205], v[206:207], 1.0
	v_fmac_f64_e32 v[206:207], v[206:207], v[218:219]
	v_mul_f64 v[218:219], v[216:217], v[206:207]
	v_fma_f64 v[204:205], -v[204:205], v[218:219], v[216:217]
	v_div_fmas_f64 v[204:205], v[204:205], v[206:207], v[218:219]
	v_div_fixup_f64 v[204:205], v[204:205], v[214:215], v[212:213]
	v_fmac_f64_e32 v[214:215], v[212:213], v[204:205]
	v_div_scale_f64 v[206:207], s[10:11], v[214:215], v[214:215], 1.0
	v_rcp_f64_e32 v[212:213], v[206:207]
	s_nop 0
	v_fma_f64 v[216:217], -v[206:207], v[212:213], 1.0
	v_fmac_f64_e32 v[212:213], v[212:213], v[216:217]
	v_fma_f64 v[216:217], -v[206:207], v[212:213], 1.0
	v_fmac_f64_e32 v[212:213], v[212:213], v[216:217]
	v_div_scale_f64 v[216:217], vcc, 1.0, v[214:215], 1.0
	v_mul_f64 v[218:219], v[216:217], v[212:213]
	v_fma_f64 v[206:207], -v[206:207], v[218:219], v[216:217]
	s_nop 1
	v_div_fmas_f64 v[206:207], v[206:207], v[212:213], v[218:219]
	v_div_fixup_f64 v[206:207], v[206:207], v[214:215], 1.0
	v_mul_f64 v[204:205], v[204:205], v[206:207]
	v_xor_b32_e32 v207, 0x80000000, v207
                                        ; implicit-def: $vgpr212_vgpr213
.LBB105_77:
	s_andn2_saveexec_b64 s[2:3], s[2:3]
	s_cbranch_execz .LBB105_79
; %bb.78:
	v_div_scale_f64 v[204:205], s[10:11], v[212:213], v[212:213], v[214:215]
	v_rcp_f64_e32 v[206:207], v[204:205]
	v_div_scale_f64 v[216:217], vcc, v[214:215], v[212:213], v[214:215]
	v_fma_f64 v[218:219], -v[204:205], v[206:207], 1.0
	v_fmac_f64_e32 v[206:207], v[206:207], v[218:219]
	v_fma_f64 v[218:219], -v[204:205], v[206:207], 1.0
	v_fmac_f64_e32 v[206:207], v[206:207], v[218:219]
	v_mul_f64 v[218:219], v[216:217], v[206:207]
	v_fma_f64 v[204:205], -v[204:205], v[218:219], v[216:217]
	v_div_fmas_f64 v[204:205], v[204:205], v[206:207], v[218:219]
	v_div_fixup_f64 v[206:207], v[204:205], v[212:213], v[214:215]
	v_fmac_f64_e32 v[212:213], v[214:215], v[206:207]
	v_div_scale_f64 v[204:205], s[10:11], v[212:213], v[212:213], 1.0
	v_rcp_f64_e32 v[214:215], v[204:205]
	s_nop 0
	v_fma_f64 v[216:217], -v[204:205], v[214:215], 1.0
	v_fmac_f64_e32 v[214:215], v[214:215], v[216:217]
	v_fma_f64 v[216:217], -v[204:205], v[214:215], 1.0
	v_fmac_f64_e32 v[214:215], v[214:215], v[216:217]
	v_div_scale_f64 v[216:217], vcc, 1.0, v[212:213], 1.0
	v_mul_f64 v[218:219], v[216:217], v[214:215]
	v_fma_f64 v[204:205], -v[204:205], v[218:219], v[216:217]
	s_nop 1
	v_div_fmas_f64 v[204:205], v[204:205], v[214:215], v[218:219]
	v_div_fixup_f64 v[204:205], v[204:205], v[212:213], 1.0
	v_mul_f64 v[206:207], v[206:207], -v[204:205]
.LBB105_79:
	s_or_b64 exec, exec, s[2:3]
	ds_write2_b64 v201, v[204:205], v[206:207] offset1:1
.LBB105_80:
	s_or_b64 exec, exec, s[4:5]
	s_waitcnt lgkmcnt(0)
	s_barrier
	ds_read2_b64 v[192:195], v201 offset1:1
	v_cmp_lt_u32_e32 vcc, 8, v200
	s_waitcnt lgkmcnt(0)
	scratch_store_dwordx4 off, v[192:195], off offset:600 ; 16-byte Folded Spill
	s_and_saveexec_b64 s[2:3], vcc
	s_cbranch_execz .LBB105_82
; %bb.81:
	scratch_load_dwordx4 v[192:195], off, off offset:600 ; 16-byte Folded Reload
	s_waitcnt vmcnt(0)
	v_mul_f64 v[204:205], v[194:195], v[174:175]
	v_fma_f64 v[212:213], v[192:193], v[172:173], -v[204:205]
	ds_read2_b64 v[204:207], v202 offset0:18 offset1:19
	v_mul_f64 v[174:175], v[192:193], v[174:175]
	v_fmac_f64_e32 v[174:175], v[194:195], v[172:173]
	s_waitcnt lgkmcnt(0)
	v_mul_f64 v[172:173], v[206:207], v[174:175]
	v_fma_f64 v[172:173], v[204:205], v[212:213], -v[172:173]
	v_mul_f64 v[204:205], v[204:205], v[174:175]
	v_fmac_f64_e32 v[204:205], v[206:207], v[212:213]
	v_add_f64 v[170:171], v[170:171], -v[204:205]
	ds_read2_b64 v[204:207], v202 offset0:20 offset1:21
	v_add_f64 v[168:169], v[168:169], -v[172:173]
	s_waitcnt lgkmcnt(0)
	v_mul_f64 v[172:173], v[206:207], v[174:175]
	v_fma_f64 v[172:173], v[204:205], v[212:213], -v[172:173]
	v_mul_f64 v[204:205], v[204:205], v[174:175]
	v_fmac_f64_e32 v[204:205], v[206:207], v[212:213]
	v_add_f64 v[166:167], v[166:167], -v[204:205]
	ds_read2_b64 v[204:207], v202 offset0:22 offset1:23
	v_add_f64 v[164:165], v[164:165], -v[172:173]
	;; [unrolled: 8-line block ×43, first 2 shown]
	s_waitcnt lgkmcnt(0)
	v_mul_f64 v[172:173], v[206:207], v[174:175]
	v_fma_f64 v[172:173], v[204:205], v[212:213], -v[172:173]
	v_mul_f64 v[204:205], v[204:205], v[174:175]
	v_fmac_f64_e32 v[204:205], v[206:207], v[212:213]
	v_add_f64 v[208:209], v[208:209], -v[172:173]
	v_add_f64 v[210:211], v[210:211], -v[204:205]
	v_mov_b64_e32 v[172:173], v[212:213]
.LBB105_82:
	s_or_b64 exec, exec, s[2:3]
	v_cmp_eq_u32_e32 vcc, 9, v200
	s_waitcnt vmcnt(63) expcnt(7) lgkmcnt(15)
	s_barrier
	s_and_saveexec_b64 s[4:5], vcc
	s_cbranch_execz .LBB105_89
; %bb.83:
	ds_write2_b64 v201, v[168:169], v[170:171] offset1:1
	ds_write2_b64 v202, v[164:165], v[166:167] offset0:20 offset1:21
	ds_write2_b64 v202, v[160:161], v[162:163] offset0:22 offset1:23
	;; [unrolled: 1-line block ×26, first 2 shown]
	s_waitcnt vmcnt(40)
	ds_write2_b64 v202, v[60:61], v[62:63] offset0:72 offset1:73
	s_waitcnt vmcnt(39)
	ds_write2_b64 v202, v[56:57], v[58:59] offset0:74 offset1:75
	;; [unrolled: 2-line block ×13, first 2 shown]
	ds_write2_b64 v202, v[8:9], v[10:11] offset0:98 offset1:99
	ds_write2_b64 v202, v[4:5], v[6:7] offset0:100 offset1:101
	s_waitcnt vmcnt(27)
	ds_write2_b64 v202, v[0:1], v[2:3] offset0:102 offset1:103
	s_waitcnt vmcnt(24)
	ds_write2_b64 v202, v[208:209], v[210:211] offset0:104 offset1:105
	ds_read2_b64 v[212:215], v201 offset1:1
	s_waitcnt lgkmcnt(0)
	v_cmp_neq_f64_e32 vcc, 0, v[212:213]
	v_cmp_neq_f64_e64 s[2:3], 0, v[214:215]
	s_or_b64 s[2:3], vcc, s[2:3]
	s_and_b64 exec, exec, s[2:3]
	s_cbranch_execz .LBB105_89
; %bb.84:
	v_cmp_ngt_f64_e64 s[2:3], |v[212:213]|, |v[214:215]|
                                        ; implicit-def: $vgpr204_vgpr205
	s_and_saveexec_b64 s[10:11], s[2:3]
	s_xor_b64 s[2:3], exec, s[10:11]
                                        ; implicit-def: $vgpr206_vgpr207
	s_cbranch_execz .LBB105_86
; %bb.85:
	v_div_scale_f64 v[204:205], s[10:11], v[214:215], v[214:215], v[212:213]
	v_rcp_f64_e32 v[206:207], v[204:205]
	v_div_scale_f64 v[216:217], vcc, v[212:213], v[214:215], v[212:213]
	v_fma_f64 v[218:219], -v[204:205], v[206:207], 1.0
	v_fmac_f64_e32 v[206:207], v[206:207], v[218:219]
	v_fma_f64 v[218:219], -v[204:205], v[206:207], 1.0
	v_fmac_f64_e32 v[206:207], v[206:207], v[218:219]
	v_mul_f64 v[218:219], v[216:217], v[206:207]
	v_fma_f64 v[204:205], -v[204:205], v[218:219], v[216:217]
	v_div_fmas_f64 v[204:205], v[204:205], v[206:207], v[218:219]
	v_div_fixup_f64 v[204:205], v[204:205], v[214:215], v[212:213]
	v_fmac_f64_e32 v[214:215], v[212:213], v[204:205]
	v_div_scale_f64 v[206:207], s[10:11], v[214:215], v[214:215], 1.0
	v_rcp_f64_e32 v[212:213], v[206:207]
	s_nop 0
	v_fma_f64 v[216:217], -v[206:207], v[212:213], 1.0
	v_fmac_f64_e32 v[212:213], v[212:213], v[216:217]
	v_fma_f64 v[216:217], -v[206:207], v[212:213], 1.0
	v_fmac_f64_e32 v[212:213], v[212:213], v[216:217]
	v_div_scale_f64 v[216:217], vcc, 1.0, v[214:215], 1.0
	v_mul_f64 v[218:219], v[216:217], v[212:213]
	v_fma_f64 v[206:207], -v[206:207], v[218:219], v[216:217]
	s_nop 1
	v_div_fmas_f64 v[206:207], v[206:207], v[212:213], v[218:219]
	v_div_fixup_f64 v[206:207], v[206:207], v[214:215], 1.0
	v_mul_f64 v[204:205], v[204:205], v[206:207]
	v_xor_b32_e32 v207, 0x80000000, v207
                                        ; implicit-def: $vgpr212_vgpr213
.LBB105_86:
	s_andn2_saveexec_b64 s[2:3], s[2:3]
	s_cbranch_execz .LBB105_88
; %bb.87:
	v_div_scale_f64 v[204:205], s[10:11], v[212:213], v[212:213], v[214:215]
	v_rcp_f64_e32 v[206:207], v[204:205]
	v_div_scale_f64 v[216:217], vcc, v[214:215], v[212:213], v[214:215]
	v_fma_f64 v[218:219], -v[204:205], v[206:207], 1.0
	v_fmac_f64_e32 v[206:207], v[206:207], v[218:219]
	v_fma_f64 v[218:219], -v[204:205], v[206:207], 1.0
	v_fmac_f64_e32 v[206:207], v[206:207], v[218:219]
	v_mul_f64 v[218:219], v[216:217], v[206:207]
	v_fma_f64 v[204:205], -v[204:205], v[218:219], v[216:217]
	v_div_fmas_f64 v[204:205], v[204:205], v[206:207], v[218:219]
	v_div_fixup_f64 v[206:207], v[204:205], v[212:213], v[214:215]
	v_fmac_f64_e32 v[212:213], v[214:215], v[206:207]
	v_div_scale_f64 v[204:205], s[10:11], v[212:213], v[212:213], 1.0
	v_rcp_f64_e32 v[214:215], v[204:205]
	s_nop 0
	v_fma_f64 v[216:217], -v[204:205], v[214:215], 1.0
	v_fmac_f64_e32 v[214:215], v[214:215], v[216:217]
	v_fma_f64 v[216:217], -v[204:205], v[214:215], 1.0
	v_fmac_f64_e32 v[214:215], v[214:215], v[216:217]
	v_div_scale_f64 v[216:217], vcc, 1.0, v[212:213], 1.0
	v_mul_f64 v[218:219], v[216:217], v[214:215]
	v_fma_f64 v[204:205], -v[204:205], v[218:219], v[216:217]
	s_nop 1
	v_div_fmas_f64 v[204:205], v[204:205], v[214:215], v[218:219]
	v_div_fixup_f64 v[204:205], v[204:205], v[212:213], 1.0
	v_mul_f64 v[206:207], v[206:207], -v[204:205]
.LBB105_88:
	s_or_b64 exec, exec, s[2:3]
	ds_write2_b64 v201, v[204:205], v[206:207] offset1:1
.LBB105_89:
	s_or_b64 exec, exec, s[4:5]
	s_waitcnt lgkmcnt(0)
	s_barrier
	ds_read2_b64 v[192:195], v201 offset1:1
	v_cmp_lt_u32_e32 vcc, 9, v200
	s_waitcnt lgkmcnt(0)
	scratch_store_dwordx4 off, v[192:195], off offset:616 ; 16-byte Folded Spill
	s_and_saveexec_b64 s[2:3], vcc
	s_cbranch_execz .LBB105_91
; %bb.90:
	scratch_load_dwordx4 v[192:195], off, off offset:616 ; 16-byte Folded Reload
	s_waitcnt vmcnt(0)
	v_mul_f64 v[204:205], v[194:195], v[170:171]
	v_fma_f64 v[212:213], v[192:193], v[168:169], -v[204:205]
	ds_read2_b64 v[204:207], v202 offset0:20 offset1:21
	v_mul_f64 v[170:171], v[192:193], v[170:171]
	v_fmac_f64_e32 v[170:171], v[194:195], v[168:169]
	s_waitcnt lgkmcnt(0)
	v_mul_f64 v[168:169], v[206:207], v[170:171]
	v_fma_f64 v[168:169], v[204:205], v[212:213], -v[168:169]
	v_mul_f64 v[204:205], v[204:205], v[170:171]
	v_fmac_f64_e32 v[204:205], v[206:207], v[212:213]
	v_add_f64 v[166:167], v[166:167], -v[204:205]
	ds_read2_b64 v[204:207], v202 offset0:22 offset1:23
	v_add_f64 v[164:165], v[164:165], -v[168:169]
	s_waitcnt lgkmcnt(0)
	v_mul_f64 v[168:169], v[206:207], v[170:171]
	v_fma_f64 v[168:169], v[204:205], v[212:213], -v[168:169]
	v_mul_f64 v[204:205], v[204:205], v[170:171]
	v_fmac_f64_e32 v[204:205], v[206:207], v[212:213]
	v_add_f64 v[162:163], v[162:163], -v[204:205]
	ds_read2_b64 v[204:207], v202 offset0:24 offset1:25
	v_add_f64 v[160:161], v[160:161], -v[168:169]
	;; [unrolled: 8-line block ×42, first 2 shown]
	s_waitcnt lgkmcnt(0)
	v_mul_f64 v[168:169], v[206:207], v[170:171]
	v_fma_f64 v[168:169], v[204:205], v[212:213], -v[168:169]
	v_mul_f64 v[204:205], v[204:205], v[170:171]
	v_fmac_f64_e32 v[204:205], v[206:207], v[212:213]
	v_add_f64 v[208:209], v[208:209], -v[168:169]
	v_add_f64 v[210:211], v[210:211], -v[204:205]
	v_mov_b64_e32 v[168:169], v[212:213]
.LBB105_91:
	s_or_b64 exec, exec, s[2:3]
	v_cmp_eq_u32_e32 vcc, 10, v200
	s_waitcnt vmcnt(63) expcnt(7) lgkmcnt(15)
	s_barrier
	s_and_saveexec_b64 s[4:5], vcc
	s_cbranch_execz .LBB105_98
; %bb.92:
	ds_write2_b64 v201, v[164:165], v[166:167] offset1:1
	ds_write2_b64 v202, v[160:161], v[162:163] offset0:22 offset1:23
	ds_write2_b64 v202, v[156:157], v[158:159] offset0:24 offset1:25
	;; [unrolled: 1-line block ×25, first 2 shown]
	s_waitcnt vmcnt(41)
	ds_write2_b64 v202, v[60:61], v[62:63] offset0:72 offset1:73
	s_waitcnt vmcnt(40)
	ds_write2_b64 v202, v[56:57], v[58:59] offset0:74 offset1:75
	;; [unrolled: 2-line block ×13, first 2 shown]
	ds_write2_b64 v202, v[8:9], v[10:11] offset0:98 offset1:99
	ds_write2_b64 v202, v[4:5], v[6:7] offset0:100 offset1:101
	s_waitcnt vmcnt(28)
	ds_write2_b64 v202, v[0:1], v[2:3] offset0:102 offset1:103
	s_waitcnt vmcnt(25)
	ds_write2_b64 v202, v[208:209], v[210:211] offset0:104 offset1:105
	ds_read2_b64 v[212:215], v201 offset1:1
	s_waitcnt lgkmcnt(0)
	v_cmp_neq_f64_e32 vcc, 0, v[212:213]
	v_cmp_neq_f64_e64 s[2:3], 0, v[214:215]
	s_or_b64 s[2:3], vcc, s[2:3]
	s_and_b64 exec, exec, s[2:3]
	s_cbranch_execz .LBB105_98
; %bb.93:
	v_cmp_ngt_f64_e64 s[2:3], |v[212:213]|, |v[214:215]|
                                        ; implicit-def: $vgpr204_vgpr205
	s_and_saveexec_b64 s[10:11], s[2:3]
	s_xor_b64 s[2:3], exec, s[10:11]
                                        ; implicit-def: $vgpr206_vgpr207
	s_cbranch_execz .LBB105_95
; %bb.94:
	v_div_scale_f64 v[204:205], s[10:11], v[214:215], v[214:215], v[212:213]
	v_rcp_f64_e32 v[206:207], v[204:205]
	v_div_scale_f64 v[216:217], vcc, v[212:213], v[214:215], v[212:213]
	v_fma_f64 v[218:219], -v[204:205], v[206:207], 1.0
	v_fmac_f64_e32 v[206:207], v[206:207], v[218:219]
	v_fma_f64 v[218:219], -v[204:205], v[206:207], 1.0
	v_fmac_f64_e32 v[206:207], v[206:207], v[218:219]
	v_mul_f64 v[218:219], v[216:217], v[206:207]
	v_fma_f64 v[204:205], -v[204:205], v[218:219], v[216:217]
	v_div_fmas_f64 v[204:205], v[204:205], v[206:207], v[218:219]
	v_div_fixup_f64 v[204:205], v[204:205], v[214:215], v[212:213]
	v_fmac_f64_e32 v[214:215], v[212:213], v[204:205]
	v_div_scale_f64 v[206:207], s[10:11], v[214:215], v[214:215], 1.0
	v_rcp_f64_e32 v[212:213], v[206:207]
	s_nop 0
	v_fma_f64 v[216:217], -v[206:207], v[212:213], 1.0
	v_fmac_f64_e32 v[212:213], v[212:213], v[216:217]
	v_fma_f64 v[216:217], -v[206:207], v[212:213], 1.0
	v_fmac_f64_e32 v[212:213], v[212:213], v[216:217]
	v_div_scale_f64 v[216:217], vcc, 1.0, v[214:215], 1.0
	v_mul_f64 v[218:219], v[216:217], v[212:213]
	v_fma_f64 v[206:207], -v[206:207], v[218:219], v[216:217]
	s_nop 1
	v_div_fmas_f64 v[206:207], v[206:207], v[212:213], v[218:219]
	v_div_fixup_f64 v[206:207], v[206:207], v[214:215], 1.0
	v_mul_f64 v[204:205], v[204:205], v[206:207]
	v_xor_b32_e32 v207, 0x80000000, v207
                                        ; implicit-def: $vgpr212_vgpr213
.LBB105_95:
	s_andn2_saveexec_b64 s[2:3], s[2:3]
	s_cbranch_execz .LBB105_97
; %bb.96:
	v_div_scale_f64 v[204:205], s[10:11], v[212:213], v[212:213], v[214:215]
	v_rcp_f64_e32 v[206:207], v[204:205]
	v_div_scale_f64 v[216:217], vcc, v[214:215], v[212:213], v[214:215]
	v_fma_f64 v[218:219], -v[204:205], v[206:207], 1.0
	v_fmac_f64_e32 v[206:207], v[206:207], v[218:219]
	v_fma_f64 v[218:219], -v[204:205], v[206:207], 1.0
	v_fmac_f64_e32 v[206:207], v[206:207], v[218:219]
	v_mul_f64 v[218:219], v[216:217], v[206:207]
	v_fma_f64 v[204:205], -v[204:205], v[218:219], v[216:217]
	v_div_fmas_f64 v[204:205], v[204:205], v[206:207], v[218:219]
	v_div_fixup_f64 v[206:207], v[204:205], v[212:213], v[214:215]
	v_fmac_f64_e32 v[212:213], v[214:215], v[206:207]
	v_div_scale_f64 v[204:205], s[10:11], v[212:213], v[212:213], 1.0
	v_rcp_f64_e32 v[214:215], v[204:205]
	s_nop 0
	v_fma_f64 v[216:217], -v[204:205], v[214:215], 1.0
	v_fmac_f64_e32 v[214:215], v[214:215], v[216:217]
	v_fma_f64 v[216:217], -v[204:205], v[214:215], 1.0
	v_fmac_f64_e32 v[214:215], v[214:215], v[216:217]
	v_div_scale_f64 v[216:217], vcc, 1.0, v[212:213], 1.0
	v_mul_f64 v[218:219], v[216:217], v[214:215]
	v_fma_f64 v[204:205], -v[204:205], v[218:219], v[216:217]
	s_nop 1
	v_div_fmas_f64 v[204:205], v[204:205], v[214:215], v[218:219]
	v_div_fixup_f64 v[204:205], v[204:205], v[212:213], 1.0
	v_mul_f64 v[206:207], v[206:207], -v[204:205]
.LBB105_97:
	s_or_b64 exec, exec, s[2:3]
	ds_write2_b64 v201, v[204:205], v[206:207] offset1:1
.LBB105_98:
	s_or_b64 exec, exec, s[4:5]
	s_waitcnt lgkmcnt(0)
	s_barrier
	ds_read2_b64 v[192:195], v201 offset1:1
	v_cmp_lt_u32_e32 vcc, 10, v200
	s_waitcnt lgkmcnt(0)
	scratch_store_dwordx4 off, v[192:195], off offset:632 ; 16-byte Folded Spill
	s_and_saveexec_b64 s[2:3], vcc
	s_cbranch_execz .LBB105_100
; %bb.99:
	scratch_load_dwordx4 v[192:195], off, off offset:632 ; 16-byte Folded Reload
	s_waitcnt vmcnt(0)
	v_mul_f64 v[204:205], v[194:195], v[166:167]
	v_fma_f64 v[212:213], v[192:193], v[164:165], -v[204:205]
	ds_read2_b64 v[204:207], v202 offset0:22 offset1:23
	v_mul_f64 v[166:167], v[192:193], v[166:167]
	v_fmac_f64_e32 v[166:167], v[194:195], v[164:165]
	s_waitcnt lgkmcnt(0)
	v_mul_f64 v[164:165], v[206:207], v[166:167]
	v_fma_f64 v[164:165], v[204:205], v[212:213], -v[164:165]
	v_mul_f64 v[204:205], v[204:205], v[166:167]
	v_fmac_f64_e32 v[204:205], v[206:207], v[212:213]
	v_add_f64 v[162:163], v[162:163], -v[204:205]
	ds_read2_b64 v[204:207], v202 offset0:24 offset1:25
	v_add_f64 v[160:161], v[160:161], -v[164:165]
	s_waitcnt lgkmcnt(0)
	v_mul_f64 v[164:165], v[206:207], v[166:167]
	v_fma_f64 v[164:165], v[204:205], v[212:213], -v[164:165]
	v_mul_f64 v[204:205], v[204:205], v[166:167]
	v_fmac_f64_e32 v[204:205], v[206:207], v[212:213]
	v_add_f64 v[158:159], v[158:159], -v[204:205]
	ds_read2_b64 v[204:207], v202 offset0:26 offset1:27
	v_add_f64 v[156:157], v[156:157], -v[164:165]
	;; [unrolled: 8-line block ×41, first 2 shown]
	s_waitcnt lgkmcnt(0)
	v_mul_f64 v[164:165], v[206:207], v[166:167]
	v_fma_f64 v[164:165], v[204:205], v[212:213], -v[164:165]
	v_mul_f64 v[204:205], v[204:205], v[166:167]
	v_fmac_f64_e32 v[204:205], v[206:207], v[212:213]
	v_add_f64 v[208:209], v[208:209], -v[164:165]
	v_add_f64 v[210:211], v[210:211], -v[204:205]
	v_mov_b64_e32 v[164:165], v[212:213]
.LBB105_100:
	s_or_b64 exec, exec, s[2:3]
	v_cmp_eq_u32_e32 vcc, 11, v200
	s_waitcnt vmcnt(63) expcnt(7) lgkmcnt(15)
	s_barrier
	s_and_saveexec_b64 s[4:5], vcc
	s_cbranch_execz .LBB105_107
; %bb.101:
	ds_write2_b64 v201, v[160:161], v[162:163] offset1:1
	ds_write2_b64 v202, v[156:157], v[158:159] offset0:24 offset1:25
	ds_write2_b64 v202, v[152:153], v[154:155] offset0:26 offset1:27
	;; [unrolled: 1-line block ×24, first 2 shown]
	s_waitcnt vmcnt(42)
	ds_write2_b64 v202, v[60:61], v[62:63] offset0:72 offset1:73
	s_waitcnt vmcnt(41)
	ds_write2_b64 v202, v[56:57], v[58:59] offset0:74 offset1:75
	;; [unrolled: 2-line block ×13, first 2 shown]
	ds_write2_b64 v202, v[8:9], v[10:11] offset0:98 offset1:99
	ds_write2_b64 v202, v[4:5], v[6:7] offset0:100 offset1:101
	s_waitcnt vmcnt(29)
	ds_write2_b64 v202, v[0:1], v[2:3] offset0:102 offset1:103
	s_waitcnt vmcnt(26)
	ds_write2_b64 v202, v[208:209], v[210:211] offset0:104 offset1:105
	ds_read2_b64 v[212:215], v201 offset1:1
	s_waitcnt lgkmcnt(0)
	v_cmp_neq_f64_e32 vcc, 0, v[212:213]
	v_cmp_neq_f64_e64 s[2:3], 0, v[214:215]
	s_or_b64 s[2:3], vcc, s[2:3]
	s_and_b64 exec, exec, s[2:3]
	s_cbranch_execz .LBB105_107
; %bb.102:
	v_cmp_ngt_f64_e64 s[2:3], |v[212:213]|, |v[214:215]|
                                        ; implicit-def: $vgpr204_vgpr205
	s_and_saveexec_b64 s[10:11], s[2:3]
	s_xor_b64 s[2:3], exec, s[10:11]
                                        ; implicit-def: $vgpr206_vgpr207
	s_cbranch_execz .LBB105_104
; %bb.103:
	v_div_scale_f64 v[204:205], s[10:11], v[214:215], v[214:215], v[212:213]
	v_rcp_f64_e32 v[206:207], v[204:205]
	v_div_scale_f64 v[216:217], vcc, v[212:213], v[214:215], v[212:213]
	v_fma_f64 v[218:219], -v[204:205], v[206:207], 1.0
	v_fmac_f64_e32 v[206:207], v[206:207], v[218:219]
	v_fma_f64 v[218:219], -v[204:205], v[206:207], 1.0
	v_fmac_f64_e32 v[206:207], v[206:207], v[218:219]
	v_mul_f64 v[218:219], v[216:217], v[206:207]
	v_fma_f64 v[204:205], -v[204:205], v[218:219], v[216:217]
	v_div_fmas_f64 v[204:205], v[204:205], v[206:207], v[218:219]
	v_div_fixup_f64 v[204:205], v[204:205], v[214:215], v[212:213]
	v_fmac_f64_e32 v[214:215], v[212:213], v[204:205]
	v_div_scale_f64 v[206:207], s[10:11], v[214:215], v[214:215], 1.0
	v_rcp_f64_e32 v[212:213], v[206:207]
	s_nop 0
	v_fma_f64 v[216:217], -v[206:207], v[212:213], 1.0
	v_fmac_f64_e32 v[212:213], v[212:213], v[216:217]
	v_fma_f64 v[216:217], -v[206:207], v[212:213], 1.0
	v_fmac_f64_e32 v[212:213], v[212:213], v[216:217]
	v_div_scale_f64 v[216:217], vcc, 1.0, v[214:215], 1.0
	v_mul_f64 v[218:219], v[216:217], v[212:213]
	v_fma_f64 v[206:207], -v[206:207], v[218:219], v[216:217]
	s_nop 1
	v_div_fmas_f64 v[206:207], v[206:207], v[212:213], v[218:219]
	v_div_fixup_f64 v[206:207], v[206:207], v[214:215], 1.0
	v_mul_f64 v[204:205], v[204:205], v[206:207]
	v_xor_b32_e32 v207, 0x80000000, v207
                                        ; implicit-def: $vgpr212_vgpr213
.LBB105_104:
	s_andn2_saveexec_b64 s[2:3], s[2:3]
	s_cbranch_execz .LBB105_106
; %bb.105:
	v_div_scale_f64 v[204:205], s[10:11], v[212:213], v[212:213], v[214:215]
	v_rcp_f64_e32 v[206:207], v[204:205]
	v_div_scale_f64 v[216:217], vcc, v[214:215], v[212:213], v[214:215]
	v_fma_f64 v[218:219], -v[204:205], v[206:207], 1.0
	v_fmac_f64_e32 v[206:207], v[206:207], v[218:219]
	v_fma_f64 v[218:219], -v[204:205], v[206:207], 1.0
	v_fmac_f64_e32 v[206:207], v[206:207], v[218:219]
	v_mul_f64 v[218:219], v[216:217], v[206:207]
	v_fma_f64 v[204:205], -v[204:205], v[218:219], v[216:217]
	v_div_fmas_f64 v[204:205], v[204:205], v[206:207], v[218:219]
	v_div_fixup_f64 v[206:207], v[204:205], v[212:213], v[214:215]
	v_fmac_f64_e32 v[212:213], v[214:215], v[206:207]
	v_div_scale_f64 v[204:205], s[10:11], v[212:213], v[212:213], 1.0
	v_rcp_f64_e32 v[214:215], v[204:205]
	s_nop 0
	v_fma_f64 v[216:217], -v[204:205], v[214:215], 1.0
	v_fmac_f64_e32 v[214:215], v[214:215], v[216:217]
	v_fma_f64 v[216:217], -v[204:205], v[214:215], 1.0
	v_fmac_f64_e32 v[214:215], v[214:215], v[216:217]
	v_div_scale_f64 v[216:217], vcc, 1.0, v[212:213], 1.0
	v_mul_f64 v[218:219], v[216:217], v[214:215]
	v_fma_f64 v[204:205], -v[204:205], v[218:219], v[216:217]
	s_nop 1
	v_div_fmas_f64 v[204:205], v[204:205], v[214:215], v[218:219]
	v_div_fixup_f64 v[204:205], v[204:205], v[212:213], 1.0
	v_mul_f64 v[206:207], v[206:207], -v[204:205]
.LBB105_106:
	s_or_b64 exec, exec, s[2:3]
	ds_write2_b64 v201, v[204:205], v[206:207] offset1:1
.LBB105_107:
	s_or_b64 exec, exec, s[4:5]
	s_waitcnt lgkmcnt(0)
	s_barrier
	ds_read2_b64 v[192:195], v201 offset1:1
	v_cmp_lt_u32_e32 vcc, 11, v200
	s_waitcnt lgkmcnt(0)
	scratch_store_dwordx4 off, v[192:195], off offset:648 ; 16-byte Folded Spill
	s_and_saveexec_b64 s[2:3], vcc
	s_cbranch_execz .LBB105_109
; %bb.108:
	scratch_load_dwordx4 v[192:195], off, off offset:648 ; 16-byte Folded Reload
	s_waitcnt vmcnt(0)
	v_mul_f64 v[204:205], v[194:195], v[162:163]
	v_fma_f64 v[212:213], v[192:193], v[160:161], -v[204:205]
	ds_read2_b64 v[204:207], v202 offset0:24 offset1:25
	v_mul_f64 v[162:163], v[192:193], v[162:163]
	v_fmac_f64_e32 v[162:163], v[194:195], v[160:161]
	s_waitcnt lgkmcnt(0)
	v_mul_f64 v[160:161], v[206:207], v[162:163]
	v_fma_f64 v[160:161], v[204:205], v[212:213], -v[160:161]
	v_mul_f64 v[204:205], v[204:205], v[162:163]
	v_fmac_f64_e32 v[204:205], v[206:207], v[212:213]
	v_add_f64 v[158:159], v[158:159], -v[204:205]
	ds_read2_b64 v[204:207], v202 offset0:26 offset1:27
	v_add_f64 v[156:157], v[156:157], -v[160:161]
	s_waitcnt lgkmcnt(0)
	v_mul_f64 v[160:161], v[206:207], v[162:163]
	v_fma_f64 v[160:161], v[204:205], v[212:213], -v[160:161]
	v_mul_f64 v[204:205], v[204:205], v[162:163]
	v_fmac_f64_e32 v[204:205], v[206:207], v[212:213]
	v_add_f64 v[154:155], v[154:155], -v[204:205]
	ds_read2_b64 v[204:207], v202 offset0:28 offset1:29
	v_add_f64 v[152:153], v[152:153], -v[160:161]
	;; [unrolled: 8-line block ×40, first 2 shown]
	s_waitcnt lgkmcnt(0)
	v_mul_f64 v[160:161], v[206:207], v[162:163]
	v_fma_f64 v[160:161], v[204:205], v[212:213], -v[160:161]
	v_mul_f64 v[204:205], v[204:205], v[162:163]
	v_fmac_f64_e32 v[204:205], v[206:207], v[212:213]
	v_add_f64 v[208:209], v[208:209], -v[160:161]
	v_add_f64 v[210:211], v[210:211], -v[204:205]
	v_mov_b64_e32 v[160:161], v[212:213]
.LBB105_109:
	s_or_b64 exec, exec, s[2:3]
	v_cmp_eq_u32_e32 vcc, 12, v200
	s_waitcnt vmcnt(63) expcnt(7) lgkmcnt(15)
	s_barrier
	s_and_saveexec_b64 s[4:5], vcc
	s_cbranch_execz .LBB105_116
; %bb.110:
	ds_write2_b64 v201, v[156:157], v[158:159] offset1:1
	ds_write2_b64 v202, v[152:153], v[154:155] offset0:26 offset1:27
	ds_write2_b64 v202, v[148:149], v[150:151] offset0:28 offset1:29
	ds_write2_b64 v202, v[144:145], v[146:147] offset0:30 offset1:31
	ds_write2_b64 v202, v[140:141], v[142:143] offset0:32 offset1:33
	ds_write2_b64 v202, v[136:137], v[138:139] offset0:34 offset1:35
	ds_write2_b64 v202, v[132:133], v[134:135] offset0:36 offset1:37
	ds_write2_b64 v202, v[128:129], v[130:131] offset0:38 offset1:39
	ds_write2_b64 v202, v[124:125], v[126:127] offset0:40 offset1:41
	ds_write2_b64 v202, v[120:121], v[122:123] offset0:42 offset1:43
	ds_write2_b64 v202, v[116:117], v[118:119] offset0:44 offset1:45
	ds_write2_b64 v202, v[112:113], v[114:115] offset0:46 offset1:47
	ds_write2_b64 v202, v[108:109], v[110:111] offset0:48 offset1:49
	ds_write2_b64 v202, v[104:105], v[106:107] offset0:50 offset1:51
	ds_write2_b64 v202, v[100:101], v[102:103] offset0:52 offset1:53
	ds_write2_b64 v202, v[96:97], v[98:99] offset0:54 offset1:55
	ds_write2_b64 v202, v[92:93], v[94:95] offset0:56 offset1:57
	ds_write2_b64 v202, v[88:89], v[90:91] offset0:58 offset1:59
	ds_write2_b64 v202, v[84:85], v[86:87] offset0:60 offset1:61
	ds_write2_b64 v202, v[80:81], v[82:83] offset0:62 offset1:63
	ds_write2_b64 v202, v[76:77], v[78:79] offset0:64 offset1:65
	ds_write2_b64 v202, v[72:73], v[74:75] offset0:66 offset1:67
	ds_write2_b64 v202, v[68:69], v[70:71] offset0:68 offset1:69
	ds_write2_b64 v202, v[64:65], v[66:67] offset0:70 offset1:71
	s_waitcnt vmcnt(43)
	ds_write2_b64 v202, v[60:61], v[62:63] offset0:72 offset1:73
	s_waitcnt vmcnt(42)
	ds_write2_b64 v202, v[56:57], v[58:59] offset0:74 offset1:75
	;; [unrolled: 2-line block ×13, first 2 shown]
	ds_write2_b64 v202, v[8:9], v[10:11] offset0:98 offset1:99
	ds_write2_b64 v202, v[4:5], v[6:7] offset0:100 offset1:101
	s_waitcnt vmcnt(30)
	ds_write2_b64 v202, v[0:1], v[2:3] offset0:102 offset1:103
	s_waitcnt vmcnt(27)
	ds_write2_b64 v202, v[208:209], v[210:211] offset0:104 offset1:105
	ds_read2_b64 v[212:215], v201 offset1:1
	s_waitcnt lgkmcnt(0)
	v_cmp_neq_f64_e32 vcc, 0, v[212:213]
	v_cmp_neq_f64_e64 s[2:3], 0, v[214:215]
	s_or_b64 s[2:3], vcc, s[2:3]
	s_and_b64 exec, exec, s[2:3]
	s_cbranch_execz .LBB105_116
; %bb.111:
	v_cmp_ngt_f64_e64 s[2:3], |v[212:213]|, |v[214:215]|
                                        ; implicit-def: $vgpr204_vgpr205
	s_and_saveexec_b64 s[10:11], s[2:3]
	s_xor_b64 s[2:3], exec, s[10:11]
                                        ; implicit-def: $vgpr206_vgpr207
	s_cbranch_execz .LBB105_113
; %bb.112:
	v_div_scale_f64 v[204:205], s[10:11], v[214:215], v[214:215], v[212:213]
	v_rcp_f64_e32 v[206:207], v[204:205]
	v_div_scale_f64 v[216:217], vcc, v[212:213], v[214:215], v[212:213]
	v_fma_f64 v[218:219], -v[204:205], v[206:207], 1.0
	v_fmac_f64_e32 v[206:207], v[206:207], v[218:219]
	v_fma_f64 v[218:219], -v[204:205], v[206:207], 1.0
	v_fmac_f64_e32 v[206:207], v[206:207], v[218:219]
	v_mul_f64 v[218:219], v[216:217], v[206:207]
	v_fma_f64 v[204:205], -v[204:205], v[218:219], v[216:217]
	v_div_fmas_f64 v[204:205], v[204:205], v[206:207], v[218:219]
	v_div_fixup_f64 v[204:205], v[204:205], v[214:215], v[212:213]
	v_fmac_f64_e32 v[214:215], v[212:213], v[204:205]
	v_div_scale_f64 v[206:207], s[10:11], v[214:215], v[214:215], 1.0
	v_rcp_f64_e32 v[212:213], v[206:207]
	s_nop 0
	v_fma_f64 v[216:217], -v[206:207], v[212:213], 1.0
	v_fmac_f64_e32 v[212:213], v[212:213], v[216:217]
	v_fma_f64 v[216:217], -v[206:207], v[212:213], 1.0
	v_fmac_f64_e32 v[212:213], v[212:213], v[216:217]
	v_div_scale_f64 v[216:217], vcc, 1.0, v[214:215], 1.0
	v_mul_f64 v[218:219], v[216:217], v[212:213]
	v_fma_f64 v[206:207], -v[206:207], v[218:219], v[216:217]
	s_nop 1
	v_div_fmas_f64 v[206:207], v[206:207], v[212:213], v[218:219]
	v_div_fixup_f64 v[206:207], v[206:207], v[214:215], 1.0
	v_mul_f64 v[204:205], v[204:205], v[206:207]
	v_xor_b32_e32 v207, 0x80000000, v207
                                        ; implicit-def: $vgpr212_vgpr213
.LBB105_113:
	s_andn2_saveexec_b64 s[2:3], s[2:3]
	s_cbranch_execz .LBB105_115
; %bb.114:
	v_div_scale_f64 v[204:205], s[10:11], v[212:213], v[212:213], v[214:215]
	v_rcp_f64_e32 v[206:207], v[204:205]
	v_div_scale_f64 v[216:217], vcc, v[214:215], v[212:213], v[214:215]
	v_fma_f64 v[218:219], -v[204:205], v[206:207], 1.0
	v_fmac_f64_e32 v[206:207], v[206:207], v[218:219]
	v_fma_f64 v[218:219], -v[204:205], v[206:207], 1.0
	v_fmac_f64_e32 v[206:207], v[206:207], v[218:219]
	v_mul_f64 v[218:219], v[216:217], v[206:207]
	v_fma_f64 v[204:205], -v[204:205], v[218:219], v[216:217]
	v_div_fmas_f64 v[204:205], v[204:205], v[206:207], v[218:219]
	v_div_fixup_f64 v[206:207], v[204:205], v[212:213], v[214:215]
	v_fmac_f64_e32 v[212:213], v[214:215], v[206:207]
	v_div_scale_f64 v[204:205], s[10:11], v[212:213], v[212:213], 1.0
	v_rcp_f64_e32 v[214:215], v[204:205]
	s_nop 0
	v_fma_f64 v[216:217], -v[204:205], v[214:215], 1.0
	v_fmac_f64_e32 v[214:215], v[214:215], v[216:217]
	v_fma_f64 v[216:217], -v[204:205], v[214:215], 1.0
	v_fmac_f64_e32 v[214:215], v[214:215], v[216:217]
	v_div_scale_f64 v[216:217], vcc, 1.0, v[212:213], 1.0
	v_mul_f64 v[218:219], v[216:217], v[214:215]
	v_fma_f64 v[204:205], -v[204:205], v[218:219], v[216:217]
	s_nop 1
	v_div_fmas_f64 v[204:205], v[204:205], v[214:215], v[218:219]
	v_div_fixup_f64 v[204:205], v[204:205], v[212:213], 1.0
	v_mul_f64 v[206:207], v[206:207], -v[204:205]
.LBB105_115:
	s_or_b64 exec, exec, s[2:3]
	ds_write2_b64 v201, v[204:205], v[206:207] offset1:1
.LBB105_116:
	s_or_b64 exec, exec, s[4:5]
	s_waitcnt lgkmcnt(0)
	s_barrier
	ds_read2_b64 v[192:195], v201 offset1:1
	v_cmp_lt_u32_e32 vcc, 12, v200
	s_waitcnt lgkmcnt(0)
	scratch_store_dwordx4 off, v[192:195], off offset:664 ; 16-byte Folded Spill
	s_and_saveexec_b64 s[2:3], vcc
	s_cbranch_execz .LBB105_118
; %bb.117:
	scratch_load_dwordx4 v[192:195], off, off offset:664 ; 16-byte Folded Reload
	s_waitcnt vmcnt(0)
	v_mul_f64 v[204:205], v[194:195], v[158:159]
	v_fma_f64 v[212:213], v[192:193], v[156:157], -v[204:205]
	ds_read2_b64 v[204:207], v202 offset0:26 offset1:27
	v_mul_f64 v[158:159], v[192:193], v[158:159]
	v_fmac_f64_e32 v[158:159], v[194:195], v[156:157]
	s_waitcnt lgkmcnt(0)
	v_mul_f64 v[156:157], v[206:207], v[158:159]
	v_fma_f64 v[156:157], v[204:205], v[212:213], -v[156:157]
	v_mul_f64 v[204:205], v[204:205], v[158:159]
	v_fmac_f64_e32 v[204:205], v[206:207], v[212:213]
	v_add_f64 v[154:155], v[154:155], -v[204:205]
	ds_read2_b64 v[204:207], v202 offset0:28 offset1:29
	v_add_f64 v[152:153], v[152:153], -v[156:157]
	s_waitcnt lgkmcnt(0)
	v_mul_f64 v[156:157], v[206:207], v[158:159]
	v_fma_f64 v[156:157], v[204:205], v[212:213], -v[156:157]
	v_mul_f64 v[204:205], v[204:205], v[158:159]
	v_fmac_f64_e32 v[204:205], v[206:207], v[212:213]
	v_add_f64 v[150:151], v[150:151], -v[204:205]
	ds_read2_b64 v[204:207], v202 offset0:30 offset1:31
	v_add_f64 v[148:149], v[148:149], -v[156:157]
	;; [unrolled: 8-line block ×39, first 2 shown]
	s_waitcnt lgkmcnt(0)
	v_mul_f64 v[156:157], v[206:207], v[158:159]
	v_fma_f64 v[156:157], v[204:205], v[212:213], -v[156:157]
	v_mul_f64 v[204:205], v[204:205], v[158:159]
	v_fmac_f64_e32 v[204:205], v[206:207], v[212:213]
	v_add_f64 v[208:209], v[208:209], -v[156:157]
	v_add_f64 v[210:211], v[210:211], -v[204:205]
	v_mov_b64_e32 v[156:157], v[212:213]
.LBB105_118:
	s_or_b64 exec, exec, s[2:3]
	v_cmp_eq_u32_e32 vcc, 13, v200
	s_waitcnt vmcnt(63) expcnt(7) lgkmcnt(15)
	s_barrier
	s_and_saveexec_b64 s[4:5], vcc
	s_cbranch_execz .LBB105_125
; %bb.119:
	ds_write2_b64 v201, v[152:153], v[154:155] offset1:1
	ds_write2_b64 v202, v[148:149], v[150:151] offset0:28 offset1:29
	ds_write2_b64 v202, v[144:145], v[146:147] offset0:30 offset1:31
	;; [unrolled: 1-line block ×22, first 2 shown]
	s_waitcnt vmcnt(44)
	ds_write2_b64 v202, v[60:61], v[62:63] offset0:72 offset1:73
	s_waitcnt vmcnt(43)
	ds_write2_b64 v202, v[56:57], v[58:59] offset0:74 offset1:75
	;; [unrolled: 2-line block ×13, first 2 shown]
	ds_write2_b64 v202, v[8:9], v[10:11] offset0:98 offset1:99
	ds_write2_b64 v202, v[4:5], v[6:7] offset0:100 offset1:101
	s_waitcnt vmcnt(31)
	ds_write2_b64 v202, v[0:1], v[2:3] offset0:102 offset1:103
	s_waitcnt vmcnt(28)
	ds_write2_b64 v202, v[208:209], v[210:211] offset0:104 offset1:105
	ds_read2_b64 v[212:215], v201 offset1:1
	s_waitcnt lgkmcnt(0)
	v_cmp_neq_f64_e32 vcc, 0, v[212:213]
	v_cmp_neq_f64_e64 s[2:3], 0, v[214:215]
	s_or_b64 s[2:3], vcc, s[2:3]
	s_and_b64 exec, exec, s[2:3]
	s_cbranch_execz .LBB105_125
; %bb.120:
	v_cmp_ngt_f64_e64 s[2:3], |v[212:213]|, |v[214:215]|
                                        ; implicit-def: $vgpr204_vgpr205
	s_and_saveexec_b64 s[10:11], s[2:3]
	s_xor_b64 s[2:3], exec, s[10:11]
                                        ; implicit-def: $vgpr206_vgpr207
	s_cbranch_execz .LBB105_122
; %bb.121:
	v_div_scale_f64 v[204:205], s[10:11], v[214:215], v[214:215], v[212:213]
	v_rcp_f64_e32 v[206:207], v[204:205]
	v_div_scale_f64 v[216:217], vcc, v[212:213], v[214:215], v[212:213]
	v_fma_f64 v[218:219], -v[204:205], v[206:207], 1.0
	v_fmac_f64_e32 v[206:207], v[206:207], v[218:219]
	v_fma_f64 v[218:219], -v[204:205], v[206:207], 1.0
	v_fmac_f64_e32 v[206:207], v[206:207], v[218:219]
	v_mul_f64 v[218:219], v[216:217], v[206:207]
	v_fma_f64 v[204:205], -v[204:205], v[218:219], v[216:217]
	v_div_fmas_f64 v[204:205], v[204:205], v[206:207], v[218:219]
	v_div_fixup_f64 v[204:205], v[204:205], v[214:215], v[212:213]
	v_fmac_f64_e32 v[214:215], v[212:213], v[204:205]
	v_div_scale_f64 v[206:207], s[10:11], v[214:215], v[214:215], 1.0
	v_rcp_f64_e32 v[212:213], v[206:207]
	s_nop 0
	v_fma_f64 v[216:217], -v[206:207], v[212:213], 1.0
	v_fmac_f64_e32 v[212:213], v[212:213], v[216:217]
	v_fma_f64 v[216:217], -v[206:207], v[212:213], 1.0
	v_fmac_f64_e32 v[212:213], v[212:213], v[216:217]
	v_div_scale_f64 v[216:217], vcc, 1.0, v[214:215], 1.0
	v_mul_f64 v[218:219], v[216:217], v[212:213]
	v_fma_f64 v[206:207], -v[206:207], v[218:219], v[216:217]
	s_nop 1
	v_div_fmas_f64 v[206:207], v[206:207], v[212:213], v[218:219]
	v_div_fixup_f64 v[206:207], v[206:207], v[214:215], 1.0
	v_mul_f64 v[204:205], v[204:205], v[206:207]
	v_xor_b32_e32 v207, 0x80000000, v207
                                        ; implicit-def: $vgpr212_vgpr213
.LBB105_122:
	s_andn2_saveexec_b64 s[2:3], s[2:3]
	s_cbranch_execz .LBB105_124
; %bb.123:
	v_div_scale_f64 v[204:205], s[10:11], v[212:213], v[212:213], v[214:215]
	v_rcp_f64_e32 v[206:207], v[204:205]
	v_div_scale_f64 v[216:217], vcc, v[214:215], v[212:213], v[214:215]
	v_fma_f64 v[218:219], -v[204:205], v[206:207], 1.0
	v_fmac_f64_e32 v[206:207], v[206:207], v[218:219]
	v_fma_f64 v[218:219], -v[204:205], v[206:207], 1.0
	v_fmac_f64_e32 v[206:207], v[206:207], v[218:219]
	v_mul_f64 v[218:219], v[216:217], v[206:207]
	v_fma_f64 v[204:205], -v[204:205], v[218:219], v[216:217]
	v_div_fmas_f64 v[204:205], v[204:205], v[206:207], v[218:219]
	v_div_fixup_f64 v[206:207], v[204:205], v[212:213], v[214:215]
	v_fmac_f64_e32 v[212:213], v[214:215], v[206:207]
	v_div_scale_f64 v[204:205], s[10:11], v[212:213], v[212:213], 1.0
	v_rcp_f64_e32 v[214:215], v[204:205]
	s_nop 0
	v_fma_f64 v[216:217], -v[204:205], v[214:215], 1.0
	v_fmac_f64_e32 v[214:215], v[214:215], v[216:217]
	v_fma_f64 v[216:217], -v[204:205], v[214:215], 1.0
	v_fmac_f64_e32 v[214:215], v[214:215], v[216:217]
	v_div_scale_f64 v[216:217], vcc, 1.0, v[212:213], 1.0
	v_mul_f64 v[218:219], v[216:217], v[214:215]
	v_fma_f64 v[204:205], -v[204:205], v[218:219], v[216:217]
	s_nop 1
	v_div_fmas_f64 v[204:205], v[204:205], v[214:215], v[218:219]
	v_div_fixup_f64 v[204:205], v[204:205], v[212:213], 1.0
	v_mul_f64 v[206:207], v[206:207], -v[204:205]
.LBB105_124:
	s_or_b64 exec, exec, s[2:3]
	ds_write2_b64 v201, v[204:205], v[206:207] offset1:1
.LBB105_125:
	s_or_b64 exec, exec, s[4:5]
	s_waitcnt lgkmcnt(0)
	s_barrier
	ds_read2_b64 v[192:195], v201 offset1:1
	v_cmp_lt_u32_e32 vcc, 13, v200
	s_waitcnt lgkmcnt(0)
	scratch_store_dwordx4 off, v[192:195], off offset:680 ; 16-byte Folded Spill
	s_and_saveexec_b64 s[2:3], vcc
	s_cbranch_execz .LBB105_127
; %bb.126:
	scratch_load_dwordx4 v[192:195], off, off offset:680 ; 16-byte Folded Reload
	s_waitcnt vmcnt(0)
	v_mul_f64 v[204:205], v[194:195], v[154:155]
	v_fma_f64 v[212:213], v[192:193], v[152:153], -v[204:205]
	ds_read2_b64 v[204:207], v202 offset0:28 offset1:29
	v_mul_f64 v[154:155], v[192:193], v[154:155]
	v_fmac_f64_e32 v[154:155], v[194:195], v[152:153]
	s_waitcnt lgkmcnt(0)
	v_mul_f64 v[152:153], v[206:207], v[154:155]
	v_fma_f64 v[152:153], v[204:205], v[212:213], -v[152:153]
	v_mul_f64 v[204:205], v[204:205], v[154:155]
	v_fmac_f64_e32 v[204:205], v[206:207], v[212:213]
	v_add_f64 v[150:151], v[150:151], -v[204:205]
	ds_read2_b64 v[204:207], v202 offset0:30 offset1:31
	v_add_f64 v[148:149], v[148:149], -v[152:153]
	s_waitcnt lgkmcnt(0)
	v_mul_f64 v[152:153], v[206:207], v[154:155]
	v_fma_f64 v[152:153], v[204:205], v[212:213], -v[152:153]
	v_mul_f64 v[204:205], v[204:205], v[154:155]
	v_fmac_f64_e32 v[204:205], v[206:207], v[212:213]
	v_add_f64 v[146:147], v[146:147], -v[204:205]
	ds_read2_b64 v[204:207], v202 offset0:32 offset1:33
	v_add_f64 v[144:145], v[144:145], -v[152:153]
	;; [unrolled: 8-line block ×38, first 2 shown]
	s_waitcnt lgkmcnt(0)
	v_mul_f64 v[152:153], v[206:207], v[154:155]
	v_fma_f64 v[152:153], v[204:205], v[212:213], -v[152:153]
	v_mul_f64 v[204:205], v[204:205], v[154:155]
	v_fmac_f64_e32 v[204:205], v[206:207], v[212:213]
	v_add_f64 v[208:209], v[208:209], -v[152:153]
	v_add_f64 v[210:211], v[210:211], -v[204:205]
	v_mov_b64_e32 v[152:153], v[212:213]
.LBB105_127:
	s_or_b64 exec, exec, s[2:3]
	v_cmp_eq_u32_e32 vcc, 14, v200
	s_waitcnt vmcnt(63) expcnt(7) lgkmcnt(15)
	s_barrier
	s_and_saveexec_b64 s[4:5], vcc
	s_cbranch_execz .LBB105_134
; %bb.128:
	ds_write2_b64 v201, v[148:149], v[150:151] offset1:1
	ds_write2_b64 v202, v[144:145], v[146:147] offset0:30 offset1:31
	ds_write2_b64 v202, v[140:141], v[142:143] offset0:32 offset1:33
	;; [unrolled: 1-line block ×21, first 2 shown]
	s_waitcnt vmcnt(45)
	ds_write2_b64 v202, v[60:61], v[62:63] offset0:72 offset1:73
	s_waitcnt vmcnt(44)
	ds_write2_b64 v202, v[56:57], v[58:59] offset0:74 offset1:75
	;; [unrolled: 2-line block ×13, first 2 shown]
	ds_write2_b64 v202, v[8:9], v[10:11] offset0:98 offset1:99
	ds_write2_b64 v202, v[4:5], v[6:7] offset0:100 offset1:101
	s_waitcnt vmcnt(32)
	ds_write2_b64 v202, v[0:1], v[2:3] offset0:102 offset1:103
	s_waitcnt vmcnt(29)
	ds_write2_b64 v202, v[208:209], v[210:211] offset0:104 offset1:105
	ds_read2_b64 v[212:215], v201 offset1:1
	s_waitcnt lgkmcnt(0)
	v_cmp_neq_f64_e32 vcc, 0, v[212:213]
	v_cmp_neq_f64_e64 s[2:3], 0, v[214:215]
	s_or_b64 s[2:3], vcc, s[2:3]
	s_and_b64 exec, exec, s[2:3]
	s_cbranch_execz .LBB105_134
; %bb.129:
	v_cmp_ngt_f64_e64 s[2:3], |v[212:213]|, |v[214:215]|
                                        ; implicit-def: $vgpr204_vgpr205
	s_and_saveexec_b64 s[10:11], s[2:3]
	s_xor_b64 s[2:3], exec, s[10:11]
                                        ; implicit-def: $vgpr206_vgpr207
	s_cbranch_execz .LBB105_131
; %bb.130:
	v_div_scale_f64 v[204:205], s[10:11], v[214:215], v[214:215], v[212:213]
	v_rcp_f64_e32 v[206:207], v[204:205]
	v_div_scale_f64 v[216:217], vcc, v[212:213], v[214:215], v[212:213]
	v_fma_f64 v[218:219], -v[204:205], v[206:207], 1.0
	v_fmac_f64_e32 v[206:207], v[206:207], v[218:219]
	v_fma_f64 v[218:219], -v[204:205], v[206:207], 1.0
	v_fmac_f64_e32 v[206:207], v[206:207], v[218:219]
	v_mul_f64 v[218:219], v[216:217], v[206:207]
	v_fma_f64 v[204:205], -v[204:205], v[218:219], v[216:217]
	v_div_fmas_f64 v[204:205], v[204:205], v[206:207], v[218:219]
	v_div_fixup_f64 v[204:205], v[204:205], v[214:215], v[212:213]
	v_fmac_f64_e32 v[214:215], v[212:213], v[204:205]
	v_div_scale_f64 v[206:207], s[10:11], v[214:215], v[214:215], 1.0
	v_rcp_f64_e32 v[212:213], v[206:207]
	s_nop 0
	v_fma_f64 v[216:217], -v[206:207], v[212:213], 1.0
	v_fmac_f64_e32 v[212:213], v[212:213], v[216:217]
	v_fma_f64 v[216:217], -v[206:207], v[212:213], 1.0
	v_fmac_f64_e32 v[212:213], v[212:213], v[216:217]
	v_div_scale_f64 v[216:217], vcc, 1.0, v[214:215], 1.0
	v_mul_f64 v[218:219], v[216:217], v[212:213]
	v_fma_f64 v[206:207], -v[206:207], v[218:219], v[216:217]
	s_nop 1
	v_div_fmas_f64 v[206:207], v[206:207], v[212:213], v[218:219]
	v_div_fixup_f64 v[206:207], v[206:207], v[214:215], 1.0
	v_mul_f64 v[204:205], v[204:205], v[206:207]
	v_xor_b32_e32 v207, 0x80000000, v207
                                        ; implicit-def: $vgpr212_vgpr213
.LBB105_131:
	s_andn2_saveexec_b64 s[2:3], s[2:3]
	s_cbranch_execz .LBB105_133
; %bb.132:
	v_div_scale_f64 v[204:205], s[10:11], v[212:213], v[212:213], v[214:215]
	v_rcp_f64_e32 v[206:207], v[204:205]
	v_div_scale_f64 v[216:217], vcc, v[214:215], v[212:213], v[214:215]
	v_fma_f64 v[218:219], -v[204:205], v[206:207], 1.0
	v_fmac_f64_e32 v[206:207], v[206:207], v[218:219]
	v_fma_f64 v[218:219], -v[204:205], v[206:207], 1.0
	v_fmac_f64_e32 v[206:207], v[206:207], v[218:219]
	v_mul_f64 v[218:219], v[216:217], v[206:207]
	v_fma_f64 v[204:205], -v[204:205], v[218:219], v[216:217]
	v_div_fmas_f64 v[204:205], v[204:205], v[206:207], v[218:219]
	v_div_fixup_f64 v[206:207], v[204:205], v[212:213], v[214:215]
	v_fmac_f64_e32 v[212:213], v[214:215], v[206:207]
	v_div_scale_f64 v[204:205], s[10:11], v[212:213], v[212:213], 1.0
	v_rcp_f64_e32 v[214:215], v[204:205]
	s_nop 0
	v_fma_f64 v[216:217], -v[204:205], v[214:215], 1.0
	v_fmac_f64_e32 v[214:215], v[214:215], v[216:217]
	v_fma_f64 v[216:217], -v[204:205], v[214:215], 1.0
	v_fmac_f64_e32 v[214:215], v[214:215], v[216:217]
	v_div_scale_f64 v[216:217], vcc, 1.0, v[212:213], 1.0
	v_mul_f64 v[218:219], v[216:217], v[214:215]
	v_fma_f64 v[204:205], -v[204:205], v[218:219], v[216:217]
	s_nop 1
	v_div_fmas_f64 v[204:205], v[204:205], v[214:215], v[218:219]
	v_div_fixup_f64 v[204:205], v[204:205], v[212:213], 1.0
	v_mul_f64 v[206:207], v[206:207], -v[204:205]
.LBB105_133:
	s_or_b64 exec, exec, s[2:3]
	ds_write2_b64 v201, v[204:205], v[206:207] offset1:1
.LBB105_134:
	s_or_b64 exec, exec, s[4:5]
	s_waitcnt lgkmcnt(0)
	s_barrier
	ds_read2_b64 v[192:195], v201 offset1:1
	v_cmp_lt_u32_e32 vcc, 14, v200
	s_waitcnt lgkmcnt(0)
	scratch_store_dwordx4 off, v[192:195], off offset:696 ; 16-byte Folded Spill
	s_and_saveexec_b64 s[2:3], vcc
	s_cbranch_execz .LBB105_136
; %bb.135:
	scratch_load_dwordx4 v[192:195], off, off offset:696 ; 16-byte Folded Reload
	s_waitcnt vmcnt(0)
	v_mul_f64 v[204:205], v[194:195], v[150:151]
	v_fma_f64 v[212:213], v[192:193], v[148:149], -v[204:205]
	ds_read2_b64 v[204:207], v202 offset0:30 offset1:31
	v_mul_f64 v[150:151], v[192:193], v[150:151]
	v_fmac_f64_e32 v[150:151], v[194:195], v[148:149]
	s_waitcnt lgkmcnt(0)
	v_mul_f64 v[148:149], v[206:207], v[150:151]
	v_fma_f64 v[148:149], v[204:205], v[212:213], -v[148:149]
	v_mul_f64 v[204:205], v[204:205], v[150:151]
	v_fmac_f64_e32 v[204:205], v[206:207], v[212:213]
	v_add_f64 v[146:147], v[146:147], -v[204:205]
	ds_read2_b64 v[204:207], v202 offset0:32 offset1:33
	v_add_f64 v[144:145], v[144:145], -v[148:149]
	s_waitcnt lgkmcnt(0)
	v_mul_f64 v[148:149], v[206:207], v[150:151]
	v_fma_f64 v[148:149], v[204:205], v[212:213], -v[148:149]
	v_mul_f64 v[204:205], v[204:205], v[150:151]
	v_fmac_f64_e32 v[204:205], v[206:207], v[212:213]
	v_add_f64 v[142:143], v[142:143], -v[204:205]
	ds_read2_b64 v[204:207], v202 offset0:34 offset1:35
	v_add_f64 v[140:141], v[140:141], -v[148:149]
	;; [unrolled: 8-line block ×37, first 2 shown]
	s_waitcnt lgkmcnt(0)
	v_mul_f64 v[148:149], v[206:207], v[150:151]
	v_fma_f64 v[148:149], v[204:205], v[212:213], -v[148:149]
	v_mul_f64 v[204:205], v[204:205], v[150:151]
	v_fmac_f64_e32 v[204:205], v[206:207], v[212:213]
	v_add_f64 v[208:209], v[208:209], -v[148:149]
	v_add_f64 v[210:211], v[210:211], -v[204:205]
	v_mov_b64_e32 v[148:149], v[212:213]
.LBB105_136:
	s_or_b64 exec, exec, s[2:3]
	v_cmp_eq_u32_e32 vcc, 15, v200
	s_waitcnt vmcnt(63) expcnt(7) lgkmcnt(15)
	s_barrier
	s_and_saveexec_b64 s[4:5], vcc
	s_cbranch_execz .LBB105_143
; %bb.137:
	ds_write2_b64 v201, v[144:145], v[146:147] offset1:1
	ds_write2_b64 v202, v[140:141], v[142:143] offset0:32 offset1:33
	ds_write2_b64 v202, v[136:137], v[138:139] offset0:34 offset1:35
	;; [unrolled: 1-line block ×20, first 2 shown]
	s_waitcnt vmcnt(46)
	ds_write2_b64 v202, v[60:61], v[62:63] offset0:72 offset1:73
	s_waitcnt vmcnt(45)
	ds_write2_b64 v202, v[56:57], v[58:59] offset0:74 offset1:75
	s_waitcnt vmcnt(44)
	ds_write2_b64 v202, v[52:53], v[54:55] offset0:76 offset1:77
	s_waitcnt vmcnt(43)
	ds_write2_b64 v202, v[48:49], v[50:51] offset0:78 offset1:79
	s_waitcnt vmcnt(42)
	ds_write2_b64 v202, v[44:45], v[46:47] offset0:80 offset1:81
	s_waitcnt vmcnt(41)
	ds_write2_b64 v202, v[40:41], v[42:43] offset0:82 offset1:83
	s_waitcnt vmcnt(40)
	ds_write2_b64 v202, v[36:37], v[38:39] offset0:84 offset1:85
	s_waitcnt vmcnt(39)
	ds_write2_b64 v202, v[32:33], v[34:35] offset0:86 offset1:87
	s_waitcnt vmcnt(38)
	ds_write2_b64 v202, v[28:29], v[30:31] offset0:88 offset1:89
	s_waitcnt vmcnt(37)
	ds_write2_b64 v202, v[24:25], v[26:27] offset0:90 offset1:91
	s_waitcnt vmcnt(36)
	ds_write2_b64 v202, v[20:21], v[22:23] offset0:92 offset1:93
	s_waitcnt vmcnt(35)
	ds_write2_b64 v202, v[16:17], v[18:19] offset0:94 offset1:95
	s_waitcnt vmcnt(34)
	ds_write2_b64 v202, v[12:13], v[14:15] offset0:96 offset1:97
	ds_write2_b64 v202, v[8:9], v[10:11] offset0:98 offset1:99
	ds_write2_b64 v202, v[4:5], v[6:7] offset0:100 offset1:101
	s_waitcnt vmcnt(33)
	ds_write2_b64 v202, v[0:1], v[2:3] offset0:102 offset1:103
	s_waitcnt vmcnt(30)
	ds_write2_b64 v202, v[208:209], v[210:211] offset0:104 offset1:105
	ds_read2_b64 v[212:215], v201 offset1:1
	s_waitcnt lgkmcnt(0)
	v_cmp_neq_f64_e32 vcc, 0, v[212:213]
	v_cmp_neq_f64_e64 s[2:3], 0, v[214:215]
	s_or_b64 s[2:3], vcc, s[2:3]
	s_and_b64 exec, exec, s[2:3]
	s_cbranch_execz .LBB105_143
; %bb.138:
	v_cmp_ngt_f64_e64 s[2:3], |v[212:213]|, |v[214:215]|
                                        ; implicit-def: $vgpr204_vgpr205
	s_and_saveexec_b64 s[10:11], s[2:3]
	s_xor_b64 s[2:3], exec, s[10:11]
                                        ; implicit-def: $vgpr206_vgpr207
	s_cbranch_execz .LBB105_140
; %bb.139:
	v_div_scale_f64 v[204:205], s[10:11], v[214:215], v[214:215], v[212:213]
	v_rcp_f64_e32 v[206:207], v[204:205]
	v_div_scale_f64 v[216:217], vcc, v[212:213], v[214:215], v[212:213]
	v_fma_f64 v[218:219], -v[204:205], v[206:207], 1.0
	v_fmac_f64_e32 v[206:207], v[206:207], v[218:219]
	v_fma_f64 v[218:219], -v[204:205], v[206:207], 1.0
	v_fmac_f64_e32 v[206:207], v[206:207], v[218:219]
	v_mul_f64 v[218:219], v[216:217], v[206:207]
	v_fma_f64 v[204:205], -v[204:205], v[218:219], v[216:217]
	v_div_fmas_f64 v[204:205], v[204:205], v[206:207], v[218:219]
	v_div_fixup_f64 v[204:205], v[204:205], v[214:215], v[212:213]
	v_fmac_f64_e32 v[214:215], v[212:213], v[204:205]
	v_div_scale_f64 v[206:207], s[10:11], v[214:215], v[214:215], 1.0
	v_rcp_f64_e32 v[212:213], v[206:207]
	s_nop 0
	v_fma_f64 v[216:217], -v[206:207], v[212:213], 1.0
	v_fmac_f64_e32 v[212:213], v[212:213], v[216:217]
	v_fma_f64 v[216:217], -v[206:207], v[212:213], 1.0
	v_fmac_f64_e32 v[212:213], v[212:213], v[216:217]
	v_div_scale_f64 v[216:217], vcc, 1.0, v[214:215], 1.0
	v_mul_f64 v[218:219], v[216:217], v[212:213]
	v_fma_f64 v[206:207], -v[206:207], v[218:219], v[216:217]
	s_nop 1
	v_div_fmas_f64 v[206:207], v[206:207], v[212:213], v[218:219]
	v_div_fixup_f64 v[206:207], v[206:207], v[214:215], 1.0
	v_mul_f64 v[204:205], v[204:205], v[206:207]
	v_xor_b32_e32 v207, 0x80000000, v207
                                        ; implicit-def: $vgpr212_vgpr213
.LBB105_140:
	s_andn2_saveexec_b64 s[2:3], s[2:3]
	s_cbranch_execz .LBB105_142
; %bb.141:
	v_div_scale_f64 v[204:205], s[10:11], v[212:213], v[212:213], v[214:215]
	v_rcp_f64_e32 v[206:207], v[204:205]
	v_div_scale_f64 v[216:217], vcc, v[214:215], v[212:213], v[214:215]
	v_fma_f64 v[218:219], -v[204:205], v[206:207], 1.0
	v_fmac_f64_e32 v[206:207], v[206:207], v[218:219]
	v_fma_f64 v[218:219], -v[204:205], v[206:207], 1.0
	v_fmac_f64_e32 v[206:207], v[206:207], v[218:219]
	v_mul_f64 v[218:219], v[216:217], v[206:207]
	v_fma_f64 v[204:205], -v[204:205], v[218:219], v[216:217]
	v_div_fmas_f64 v[204:205], v[204:205], v[206:207], v[218:219]
	v_div_fixup_f64 v[206:207], v[204:205], v[212:213], v[214:215]
	v_fmac_f64_e32 v[212:213], v[214:215], v[206:207]
	v_div_scale_f64 v[204:205], s[10:11], v[212:213], v[212:213], 1.0
	v_rcp_f64_e32 v[214:215], v[204:205]
	s_nop 0
	v_fma_f64 v[216:217], -v[204:205], v[214:215], 1.0
	v_fmac_f64_e32 v[214:215], v[214:215], v[216:217]
	v_fma_f64 v[216:217], -v[204:205], v[214:215], 1.0
	v_fmac_f64_e32 v[214:215], v[214:215], v[216:217]
	v_div_scale_f64 v[216:217], vcc, 1.0, v[212:213], 1.0
	v_mul_f64 v[218:219], v[216:217], v[214:215]
	v_fma_f64 v[204:205], -v[204:205], v[218:219], v[216:217]
	s_nop 1
	v_div_fmas_f64 v[204:205], v[204:205], v[214:215], v[218:219]
	v_div_fixup_f64 v[204:205], v[204:205], v[212:213], 1.0
	v_mul_f64 v[206:207], v[206:207], -v[204:205]
.LBB105_142:
	s_or_b64 exec, exec, s[2:3]
	ds_write2_b64 v201, v[204:205], v[206:207] offset1:1
.LBB105_143:
	s_or_b64 exec, exec, s[4:5]
	s_waitcnt lgkmcnt(0)
	s_barrier
	ds_read2_b64 v[192:195], v201 offset1:1
	v_cmp_lt_u32_e32 vcc, 15, v200
	s_waitcnt lgkmcnt(0)
	scratch_store_dwordx4 off, v[192:195], off offset:712 ; 16-byte Folded Spill
	s_and_saveexec_b64 s[2:3], vcc
	s_cbranch_execz .LBB105_145
; %bb.144:
	scratch_load_dwordx4 v[192:195], off, off offset:712 ; 16-byte Folded Reload
	s_waitcnt vmcnt(0)
	v_mul_f64 v[204:205], v[194:195], v[146:147]
	v_fma_f64 v[212:213], v[192:193], v[144:145], -v[204:205]
	ds_read2_b64 v[204:207], v202 offset0:32 offset1:33
	v_mul_f64 v[146:147], v[192:193], v[146:147]
	v_fmac_f64_e32 v[146:147], v[194:195], v[144:145]
	s_waitcnt lgkmcnt(0)
	v_mul_f64 v[144:145], v[206:207], v[146:147]
	v_fma_f64 v[144:145], v[204:205], v[212:213], -v[144:145]
	v_mul_f64 v[204:205], v[204:205], v[146:147]
	v_fmac_f64_e32 v[204:205], v[206:207], v[212:213]
	v_add_f64 v[142:143], v[142:143], -v[204:205]
	ds_read2_b64 v[204:207], v202 offset0:34 offset1:35
	v_add_f64 v[140:141], v[140:141], -v[144:145]
	s_waitcnt lgkmcnt(0)
	v_mul_f64 v[144:145], v[206:207], v[146:147]
	v_fma_f64 v[144:145], v[204:205], v[212:213], -v[144:145]
	v_mul_f64 v[204:205], v[204:205], v[146:147]
	v_fmac_f64_e32 v[204:205], v[206:207], v[212:213]
	v_add_f64 v[138:139], v[138:139], -v[204:205]
	ds_read2_b64 v[204:207], v202 offset0:36 offset1:37
	v_add_f64 v[136:137], v[136:137], -v[144:145]
	;; [unrolled: 8-line block ×36, first 2 shown]
	s_waitcnt lgkmcnt(0)
	v_mul_f64 v[144:145], v[206:207], v[146:147]
	v_fma_f64 v[144:145], v[204:205], v[212:213], -v[144:145]
	v_mul_f64 v[204:205], v[204:205], v[146:147]
	v_fmac_f64_e32 v[204:205], v[206:207], v[212:213]
	v_add_f64 v[208:209], v[208:209], -v[144:145]
	v_add_f64 v[210:211], v[210:211], -v[204:205]
	v_mov_b64_e32 v[144:145], v[212:213]
.LBB105_145:
	s_or_b64 exec, exec, s[2:3]
	v_cmp_eq_u32_e32 vcc, 16, v200
	s_waitcnt vmcnt(63) expcnt(7) lgkmcnt(15)
	s_barrier
	s_and_saveexec_b64 s[4:5], vcc
	s_cbranch_execz .LBB105_152
; %bb.146:
	ds_write2_b64 v201, v[140:141], v[142:143] offset1:1
	ds_write2_b64 v202, v[136:137], v[138:139] offset0:34 offset1:35
	ds_write2_b64 v202, v[132:133], v[134:135] offset0:36 offset1:37
	;; [unrolled: 1-line block ×19, first 2 shown]
	s_waitcnt vmcnt(47)
	ds_write2_b64 v202, v[60:61], v[62:63] offset0:72 offset1:73
	s_waitcnt vmcnt(46)
	ds_write2_b64 v202, v[56:57], v[58:59] offset0:74 offset1:75
	;; [unrolled: 2-line block ×13, first 2 shown]
	ds_write2_b64 v202, v[8:9], v[10:11] offset0:98 offset1:99
	ds_write2_b64 v202, v[4:5], v[6:7] offset0:100 offset1:101
	s_waitcnt vmcnt(34)
	ds_write2_b64 v202, v[0:1], v[2:3] offset0:102 offset1:103
	s_waitcnt vmcnt(31)
	ds_write2_b64 v202, v[208:209], v[210:211] offset0:104 offset1:105
	ds_read2_b64 v[212:215], v201 offset1:1
	s_waitcnt lgkmcnt(0)
	v_cmp_neq_f64_e32 vcc, 0, v[212:213]
	v_cmp_neq_f64_e64 s[2:3], 0, v[214:215]
	s_or_b64 s[2:3], vcc, s[2:3]
	s_and_b64 exec, exec, s[2:3]
	s_cbranch_execz .LBB105_152
; %bb.147:
	v_cmp_ngt_f64_e64 s[2:3], |v[212:213]|, |v[214:215]|
                                        ; implicit-def: $vgpr204_vgpr205
	s_and_saveexec_b64 s[10:11], s[2:3]
	s_xor_b64 s[2:3], exec, s[10:11]
                                        ; implicit-def: $vgpr206_vgpr207
	s_cbranch_execz .LBB105_149
; %bb.148:
	v_div_scale_f64 v[204:205], s[10:11], v[214:215], v[214:215], v[212:213]
	v_rcp_f64_e32 v[206:207], v[204:205]
	v_div_scale_f64 v[216:217], vcc, v[212:213], v[214:215], v[212:213]
	v_fma_f64 v[218:219], -v[204:205], v[206:207], 1.0
	v_fmac_f64_e32 v[206:207], v[206:207], v[218:219]
	v_fma_f64 v[218:219], -v[204:205], v[206:207], 1.0
	v_fmac_f64_e32 v[206:207], v[206:207], v[218:219]
	v_mul_f64 v[218:219], v[216:217], v[206:207]
	v_fma_f64 v[204:205], -v[204:205], v[218:219], v[216:217]
	v_div_fmas_f64 v[204:205], v[204:205], v[206:207], v[218:219]
	v_div_fixup_f64 v[204:205], v[204:205], v[214:215], v[212:213]
	v_fmac_f64_e32 v[214:215], v[212:213], v[204:205]
	v_div_scale_f64 v[206:207], s[10:11], v[214:215], v[214:215], 1.0
	v_rcp_f64_e32 v[212:213], v[206:207]
	s_nop 0
	v_fma_f64 v[216:217], -v[206:207], v[212:213], 1.0
	v_fmac_f64_e32 v[212:213], v[212:213], v[216:217]
	v_fma_f64 v[216:217], -v[206:207], v[212:213], 1.0
	v_fmac_f64_e32 v[212:213], v[212:213], v[216:217]
	v_div_scale_f64 v[216:217], vcc, 1.0, v[214:215], 1.0
	v_mul_f64 v[218:219], v[216:217], v[212:213]
	v_fma_f64 v[206:207], -v[206:207], v[218:219], v[216:217]
	s_nop 1
	v_div_fmas_f64 v[206:207], v[206:207], v[212:213], v[218:219]
	v_div_fixup_f64 v[206:207], v[206:207], v[214:215], 1.0
	v_mul_f64 v[204:205], v[204:205], v[206:207]
	v_xor_b32_e32 v207, 0x80000000, v207
                                        ; implicit-def: $vgpr212_vgpr213
.LBB105_149:
	s_andn2_saveexec_b64 s[2:3], s[2:3]
	s_cbranch_execz .LBB105_151
; %bb.150:
	v_div_scale_f64 v[204:205], s[10:11], v[212:213], v[212:213], v[214:215]
	v_rcp_f64_e32 v[206:207], v[204:205]
	v_div_scale_f64 v[216:217], vcc, v[214:215], v[212:213], v[214:215]
	v_fma_f64 v[218:219], -v[204:205], v[206:207], 1.0
	v_fmac_f64_e32 v[206:207], v[206:207], v[218:219]
	v_fma_f64 v[218:219], -v[204:205], v[206:207], 1.0
	v_fmac_f64_e32 v[206:207], v[206:207], v[218:219]
	v_mul_f64 v[218:219], v[216:217], v[206:207]
	v_fma_f64 v[204:205], -v[204:205], v[218:219], v[216:217]
	v_div_fmas_f64 v[204:205], v[204:205], v[206:207], v[218:219]
	v_div_fixup_f64 v[206:207], v[204:205], v[212:213], v[214:215]
	v_fmac_f64_e32 v[212:213], v[214:215], v[206:207]
	v_div_scale_f64 v[204:205], s[10:11], v[212:213], v[212:213], 1.0
	v_rcp_f64_e32 v[214:215], v[204:205]
	s_nop 0
	v_fma_f64 v[216:217], -v[204:205], v[214:215], 1.0
	v_fmac_f64_e32 v[214:215], v[214:215], v[216:217]
	v_fma_f64 v[216:217], -v[204:205], v[214:215], 1.0
	v_fmac_f64_e32 v[214:215], v[214:215], v[216:217]
	v_div_scale_f64 v[216:217], vcc, 1.0, v[212:213], 1.0
	v_mul_f64 v[218:219], v[216:217], v[214:215]
	v_fma_f64 v[204:205], -v[204:205], v[218:219], v[216:217]
	s_nop 1
	v_div_fmas_f64 v[204:205], v[204:205], v[214:215], v[218:219]
	v_div_fixup_f64 v[204:205], v[204:205], v[212:213], 1.0
	v_mul_f64 v[206:207], v[206:207], -v[204:205]
.LBB105_151:
	s_or_b64 exec, exec, s[2:3]
	ds_write2_b64 v201, v[204:205], v[206:207] offset1:1
.LBB105_152:
	s_or_b64 exec, exec, s[4:5]
	s_waitcnt lgkmcnt(0)
	s_barrier
	ds_read2_b64 v[192:195], v201 offset1:1
	v_cmp_lt_u32_e32 vcc, 16, v200
	s_waitcnt lgkmcnt(0)
	scratch_store_dwordx4 off, v[192:195], off offset:728 ; 16-byte Folded Spill
	s_and_saveexec_b64 s[2:3], vcc
	s_cbranch_execz .LBB105_154
; %bb.153:
	scratch_load_dwordx4 v[192:195], off, off offset:728 ; 16-byte Folded Reload
	s_waitcnt vmcnt(0)
	v_mul_f64 v[204:205], v[194:195], v[142:143]
	v_fma_f64 v[212:213], v[192:193], v[140:141], -v[204:205]
	ds_read2_b64 v[204:207], v202 offset0:34 offset1:35
	v_mul_f64 v[142:143], v[192:193], v[142:143]
	v_fmac_f64_e32 v[142:143], v[194:195], v[140:141]
	s_waitcnt lgkmcnt(0)
	v_mul_f64 v[140:141], v[206:207], v[142:143]
	v_fma_f64 v[140:141], v[204:205], v[212:213], -v[140:141]
	v_mul_f64 v[204:205], v[204:205], v[142:143]
	v_fmac_f64_e32 v[204:205], v[206:207], v[212:213]
	v_add_f64 v[138:139], v[138:139], -v[204:205]
	ds_read2_b64 v[204:207], v202 offset0:36 offset1:37
	v_add_f64 v[136:137], v[136:137], -v[140:141]
	s_waitcnt lgkmcnt(0)
	v_mul_f64 v[140:141], v[206:207], v[142:143]
	v_fma_f64 v[140:141], v[204:205], v[212:213], -v[140:141]
	v_mul_f64 v[204:205], v[204:205], v[142:143]
	v_fmac_f64_e32 v[204:205], v[206:207], v[212:213]
	v_add_f64 v[134:135], v[134:135], -v[204:205]
	ds_read2_b64 v[204:207], v202 offset0:38 offset1:39
	v_add_f64 v[132:133], v[132:133], -v[140:141]
	;; [unrolled: 8-line block ×35, first 2 shown]
	s_waitcnt lgkmcnt(0)
	v_mul_f64 v[140:141], v[206:207], v[142:143]
	v_fma_f64 v[140:141], v[204:205], v[212:213], -v[140:141]
	v_mul_f64 v[204:205], v[204:205], v[142:143]
	v_fmac_f64_e32 v[204:205], v[206:207], v[212:213]
	v_add_f64 v[208:209], v[208:209], -v[140:141]
	v_add_f64 v[210:211], v[210:211], -v[204:205]
	v_mov_b64_e32 v[140:141], v[212:213]
.LBB105_154:
	s_or_b64 exec, exec, s[2:3]
	v_cmp_eq_u32_e32 vcc, 17, v200
	s_waitcnt vmcnt(63) expcnt(7) lgkmcnt(15)
	s_barrier
	s_and_saveexec_b64 s[4:5], vcc
	s_cbranch_execz .LBB105_161
; %bb.155:
	ds_write2_b64 v201, v[136:137], v[138:139] offset1:1
	ds_write2_b64 v202, v[132:133], v[134:135] offset0:36 offset1:37
	ds_write2_b64 v202, v[128:129], v[130:131] offset0:38 offset1:39
	;; [unrolled: 1-line block ×18, first 2 shown]
	s_waitcnt vmcnt(48)
	ds_write2_b64 v202, v[60:61], v[62:63] offset0:72 offset1:73
	s_waitcnt vmcnt(47)
	ds_write2_b64 v202, v[56:57], v[58:59] offset0:74 offset1:75
	;; [unrolled: 2-line block ×13, first 2 shown]
	ds_write2_b64 v202, v[8:9], v[10:11] offset0:98 offset1:99
	ds_write2_b64 v202, v[4:5], v[6:7] offset0:100 offset1:101
	s_waitcnt vmcnt(35)
	ds_write2_b64 v202, v[0:1], v[2:3] offset0:102 offset1:103
	s_waitcnt vmcnt(32)
	ds_write2_b64 v202, v[208:209], v[210:211] offset0:104 offset1:105
	ds_read2_b64 v[212:215], v201 offset1:1
	s_waitcnt lgkmcnt(0)
	v_cmp_neq_f64_e32 vcc, 0, v[212:213]
	v_cmp_neq_f64_e64 s[2:3], 0, v[214:215]
	s_or_b64 s[2:3], vcc, s[2:3]
	s_and_b64 exec, exec, s[2:3]
	s_cbranch_execz .LBB105_161
; %bb.156:
	v_cmp_ngt_f64_e64 s[2:3], |v[212:213]|, |v[214:215]|
                                        ; implicit-def: $vgpr204_vgpr205
	s_and_saveexec_b64 s[10:11], s[2:3]
	s_xor_b64 s[2:3], exec, s[10:11]
                                        ; implicit-def: $vgpr206_vgpr207
	s_cbranch_execz .LBB105_158
; %bb.157:
	v_div_scale_f64 v[204:205], s[10:11], v[214:215], v[214:215], v[212:213]
	v_rcp_f64_e32 v[206:207], v[204:205]
	v_div_scale_f64 v[216:217], vcc, v[212:213], v[214:215], v[212:213]
	v_fma_f64 v[218:219], -v[204:205], v[206:207], 1.0
	v_fmac_f64_e32 v[206:207], v[206:207], v[218:219]
	v_fma_f64 v[218:219], -v[204:205], v[206:207], 1.0
	v_fmac_f64_e32 v[206:207], v[206:207], v[218:219]
	v_mul_f64 v[218:219], v[216:217], v[206:207]
	v_fma_f64 v[204:205], -v[204:205], v[218:219], v[216:217]
	v_div_fmas_f64 v[204:205], v[204:205], v[206:207], v[218:219]
	v_div_fixup_f64 v[204:205], v[204:205], v[214:215], v[212:213]
	v_fmac_f64_e32 v[214:215], v[212:213], v[204:205]
	v_div_scale_f64 v[206:207], s[10:11], v[214:215], v[214:215], 1.0
	v_rcp_f64_e32 v[212:213], v[206:207]
	s_nop 0
	v_fma_f64 v[216:217], -v[206:207], v[212:213], 1.0
	v_fmac_f64_e32 v[212:213], v[212:213], v[216:217]
	v_fma_f64 v[216:217], -v[206:207], v[212:213], 1.0
	v_fmac_f64_e32 v[212:213], v[212:213], v[216:217]
	v_div_scale_f64 v[216:217], vcc, 1.0, v[214:215], 1.0
	v_mul_f64 v[218:219], v[216:217], v[212:213]
	v_fma_f64 v[206:207], -v[206:207], v[218:219], v[216:217]
	s_nop 1
	v_div_fmas_f64 v[206:207], v[206:207], v[212:213], v[218:219]
	v_div_fixup_f64 v[206:207], v[206:207], v[214:215], 1.0
	v_mul_f64 v[204:205], v[204:205], v[206:207]
	v_xor_b32_e32 v207, 0x80000000, v207
                                        ; implicit-def: $vgpr212_vgpr213
.LBB105_158:
	s_andn2_saveexec_b64 s[2:3], s[2:3]
	s_cbranch_execz .LBB105_160
; %bb.159:
	v_div_scale_f64 v[204:205], s[10:11], v[212:213], v[212:213], v[214:215]
	v_rcp_f64_e32 v[206:207], v[204:205]
	v_div_scale_f64 v[216:217], vcc, v[214:215], v[212:213], v[214:215]
	v_fma_f64 v[218:219], -v[204:205], v[206:207], 1.0
	v_fmac_f64_e32 v[206:207], v[206:207], v[218:219]
	v_fma_f64 v[218:219], -v[204:205], v[206:207], 1.0
	v_fmac_f64_e32 v[206:207], v[206:207], v[218:219]
	v_mul_f64 v[218:219], v[216:217], v[206:207]
	v_fma_f64 v[204:205], -v[204:205], v[218:219], v[216:217]
	v_div_fmas_f64 v[204:205], v[204:205], v[206:207], v[218:219]
	v_div_fixup_f64 v[206:207], v[204:205], v[212:213], v[214:215]
	v_fmac_f64_e32 v[212:213], v[214:215], v[206:207]
	v_div_scale_f64 v[204:205], s[10:11], v[212:213], v[212:213], 1.0
	v_rcp_f64_e32 v[214:215], v[204:205]
	s_nop 0
	v_fma_f64 v[216:217], -v[204:205], v[214:215], 1.0
	v_fmac_f64_e32 v[214:215], v[214:215], v[216:217]
	v_fma_f64 v[216:217], -v[204:205], v[214:215], 1.0
	v_fmac_f64_e32 v[214:215], v[214:215], v[216:217]
	v_div_scale_f64 v[216:217], vcc, 1.0, v[212:213], 1.0
	v_mul_f64 v[218:219], v[216:217], v[214:215]
	v_fma_f64 v[204:205], -v[204:205], v[218:219], v[216:217]
	s_nop 1
	v_div_fmas_f64 v[204:205], v[204:205], v[214:215], v[218:219]
	v_div_fixup_f64 v[204:205], v[204:205], v[212:213], 1.0
	v_mul_f64 v[206:207], v[206:207], -v[204:205]
.LBB105_160:
	s_or_b64 exec, exec, s[2:3]
	ds_write2_b64 v201, v[204:205], v[206:207] offset1:1
.LBB105_161:
	s_or_b64 exec, exec, s[4:5]
	s_waitcnt lgkmcnt(0)
	s_barrier
	ds_read2_b64 v[192:195], v201 offset1:1
	v_cmp_lt_u32_e32 vcc, 17, v200
	s_waitcnt lgkmcnt(0)
	scratch_store_dwordx4 off, v[192:195], off offset:744 ; 16-byte Folded Spill
	s_and_saveexec_b64 s[2:3], vcc
	s_cbranch_execz .LBB105_163
; %bb.162:
	scratch_load_dwordx4 v[192:195], off, off offset:744 ; 16-byte Folded Reload
	s_waitcnt vmcnt(0)
	v_mul_f64 v[204:205], v[194:195], v[138:139]
	v_fma_f64 v[212:213], v[192:193], v[136:137], -v[204:205]
	ds_read2_b64 v[204:207], v202 offset0:36 offset1:37
	v_mul_f64 v[138:139], v[192:193], v[138:139]
	v_fmac_f64_e32 v[138:139], v[194:195], v[136:137]
	s_waitcnt lgkmcnt(0)
	v_mul_f64 v[136:137], v[206:207], v[138:139]
	v_fma_f64 v[136:137], v[204:205], v[212:213], -v[136:137]
	v_mul_f64 v[204:205], v[204:205], v[138:139]
	v_fmac_f64_e32 v[204:205], v[206:207], v[212:213]
	v_add_f64 v[134:135], v[134:135], -v[204:205]
	ds_read2_b64 v[204:207], v202 offset0:38 offset1:39
	v_add_f64 v[132:133], v[132:133], -v[136:137]
	s_waitcnt lgkmcnt(0)
	v_mul_f64 v[136:137], v[206:207], v[138:139]
	v_fma_f64 v[136:137], v[204:205], v[212:213], -v[136:137]
	v_mul_f64 v[204:205], v[204:205], v[138:139]
	v_fmac_f64_e32 v[204:205], v[206:207], v[212:213]
	v_add_f64 v[130:131], v[130:131], -v[204:205]
	ds_read2_b64 v[204:207], v202 offset0:40 offset1:41
	v_add_f64 v[128:129], v[128:129], -v[136:137]
	s_waitcnt lgkmcnt(0)
	v_mul_f64 v[136:137], v[206:207], v[138:139]
	v_fma_f64 v[136:137], v[204:205], v[212:213], -v[136:137]
	v_mul_f64 v[204:205], v[204:205], v[138:139]
	v_fmac_f64_e32 v[204:205], v[206:207], v[212:213]
	v_add_f64 v[126:127], v[126:127], -v[204:205]
	ds_read2_b64 v[204:207], v202 offset0:42 offset1:43
	v_add_f64 v[124:125], v[124:125], -v[136:137]
	s_waitcnt lgkmcnt(0)
	v_mul_f64 v[136:137], v[206:207], v[138:139]
	v_fma_f64 v[136:137], v[204:205], v[212:213], -v[136:137]
	v_mul_f64 v[204:205], v[204:205], v[138:139]
	v_fmac_f64_e32 v[204:205], v[206:207], v[212:213]
	v_add_f64 v[122:123], v[122:123], -v[204:205]
	ds_read2_b64 v[204:207], v202 offset0:44 offset1:45
	v_add_f64 v[120:121], v[120:121], -v[136:137]
	s_waitcnt lgkmcnt(0)
	v_mul_f64 v[136:137], v[206:207], v[138:139]
	v_fma_f64 v[136:137], v[204:205], v[212:213], -v[136:137]
	v_mul_f64 v[204:205], v[204:205], v[138:139]
	v_fmac_f64_e32 v[204:205], v[206:207], v[212:213]
	v_add_f64 v[118:119], v[118:119], -v[204:205]
	ds_read2_b64 v[204:207], v202 offset0:46 offset1:47
	v_add_f64 v[116:117], v[116:117], -v[136:137]
	s_waitcnt lgkmcnt(0)
	v_mul_f64 v[136:137], v[206:207], v[138:139]
	v_fma_f64 v[136:137], v[204:205], v[212:213], -v[136:137]
	v_mul_f64 v[204:205], v[204:205], v[138:139]
	v_fmac_f64_e32 v[204:205], v[206:207], v[212:213]
	v_add_f64 v[114:115], v[114:115], -v[204:205]
	ds_read2_b64 v[204:207], v202 offset0:48 offset1:49
	v_add_f64 v[112:113], v[112:113], -v[136:137]
	s_waitcnt lgkmcnt(0)
	v_mul_f64 v[136:137], v[206:207], v[138:139]
	v_fma_f64 v[136:137], v[204:205], v[212:213], -v[136:137]
	v_mul_f64 v[204:205], v[204:205], v[138:139]
	v_fmac_f64_e32 v[204:205], v[206:207], v[212:213]
	v_add_f64 v[110:111], v[110:111], -v[204:205]
	ds_read2_b64 v[204:207], v202 offset0:50 offset1:51
	v_add_f64 v[108:109], v[108:109], -v[136:137]
	s_waitcnt lgkmcnt(0)
	v_mul_f64 v[136:137], v[206:207], v[138:139]
	v_fma_f64 v[136:137], v[204:205], v[212:213], -v[136:137]
	v_mul_f64 v[204:205], v[204:205], v[138:139]
	v_fmac_f64_e32 v[204:205], v[206:207], v[212:213]
	v_add_f64 v[106:107], v[106:107], -v[204:205]
	ds_read2_b64 v[204:207], v202 offset0:52 offset1:53
	v_add_f64 v[104:105], v[104:105], -v[136:137]
	s_waitcnt lgkmcnt(0)
	v_mul_f64 v[136:137], v[206:207], v[138:139]
	v_fma_f64 v[136:137], v[204:205], v[212:213], -v[136:137]
	v_mul_f64 v[204:205], v[204:205], v[138:139]
	v_fmac_f64_e32 v[204:205], v[206:207], v[212:213]
	v_add_f64 v[102:103], v[102:103], -v[204:205]
	ds_read2_b64 v[204:207], v202 offset0:54 offset1:55
	v_add_f64 v[100:101], v[100:101], -v[136:137]
	s_waitcnt lgkmcnt(0)
	v_mul_f64 v[136:137], v[206:207], v[138:139]
	v_fma_f64 v[136:137], v[204:205], v[212:213], -v[136:137]
	v_mul_f64 v[204:205], v[204:205], v[138:139]
	v_fmac_f64_e32 v[204:205], v[206:207], v[212:213]
	v_add_f64 v[98:99], v[98:99], -v[204:205]
	ds_read2_b64 v[204:207], v202 offset0:56 offset1:57
	v_add_f64 v[96:97], v[96:97], -v[136:137]
	s_waitcnt lgkmcnt(0)
	v_mul_f64 v[136:137], v[206:207], v[138:139]
	v_fma_f64 v[136:137], v[204:205], v[212:213], -v[136:137]
	v_mul_f64 v[204:205], v[204:205], v[138:139]
	v_fmac_f64_e32 v[204:205], v[206:207], v[212:213]
	v_add_f64 v[94:95], v[94:95], -v[204:205]
	ds_read2_b64 v[204:207], v202 offset0:58 offset1:59
	v_add_f64 v[92:93], v[92:93], -v[136:137]
	s_waitcnt lgkmcnt(0)
	v_mul_f64 v[136:137], v[206:207], v[138:139]
	v_fma_f64 v[136:137], v[204:205], v[212:213], -v[136:137]
	v_mul_f64 v[204:205], v[204:205], v[138:139]
	v_fmac_f64_e32 v[204:205], v[206:207], v[212:213]
	v_add_f64 v[90:91], v[90:91], -v[204:205]
	ds_read2_b64 v[204:207], v202 offset0:60 offset1:61
	v_add_f64 v[88:89], v[88:89], -v[136:137]
	s_waitcnt lgkmcnt(0)
	v_mul_f64 v[136:137], v[206:207], v[138:139]
	v_fma_f64 v[136:137], v[204:205], v[212:213], -v[136:137]
	v_mul_f64 v[204:205], v[204:205], v[138:139]
	v_fmac_f64_e32 v[204:205], v[206:207], v[212:213]
	v_add_f64 v[86:87], v[86:87], -v[204:205]
	ds_read2_b64 v[204:207], v202 offset0:62 offset1:63
	v_add_f64 v[84:85], v[84:85], -v[136:137]
	s_waitcnt lgkmcnt(0)
	v_mul_f64 v[136:137], v[206:207], v[138:139]
	v_fma_f64 v[136:137], v[204:205], v[212:213], -v[136:137]
	v_mul_f64 v[204:205], v[204:205], v[138:139]
	v_fmac_f64_e32 v[204:205], v[206:207], v[212:213]
	v_add_f64 v[82:83], v[82:83], -v[204:205]
	ds_read2_b64 v[204:207], v202 offset0:64 offset1:65
	v_add_f64 v[80:81], v[80:81], -v[136:137]
	s_waitcnt lgkmcnt(0)
	v_mul_f64 v[136:137], v[206:207], v[138:139]
	v_fma_f64 v[136:137], v[204:205], v[212:213], -v[136:137]
	v_mul_f64 v[204:205], v[204:205], v[138:139]
	v_fmac_f64_e32 v[204:205], v[206:207], v[212:213]
	v_add_f64 v[78:79], v[78:79], -v[204:205]
	ds_read2_b64 v[204:207], v202 offset0:66 offset1:67
	v_add_f64 v[76:77], v[76:77], -v[136:137]
	s_waitcnt lgkmcnt(0)
	v_mul_f64 v[136:137], v[206:207], v[138:139]
	v_fma_f64 v[136:137], v[204:205], v[212:213], -v[136:137]
	v_mul_f64 v[204:205], v[204:205], v[138:139]
	v_fmac_f64_e32 v[204:205], v[206:207], v[212:213]
	v_add_f64 v[74:75], v[74:75], -v[204:205]
	ds_read2_b64 v[204:207], v202 offset0:68 offset1:69
	v_add_f64 v[72:73], v[72:73], -v[136:137]
	s_waitcnt lgkmcnt(0)
	v_mul_f64 v[136:137], v[206:207], v[138:139]
	v_fma_f64 v[136:137], v[204:205], v[212:213], -v[136:137]
	v_mul_f64 v[204:205], v[204:205], v[138:139]
	v_fmac_f64_e32 v[204:205], v[206:207], v[212:213]
	v_add_f64 v[70:71], v[70:71], -v[204:205]
	ds_read2_b64 v[204:207], v202 offset0:70 offset1:71
	v_add_f64 v[68:69], v[68:69], -v[136:137]
	s_waitcnt lgkmcnt(0)
	v_mul_f64 v[136:137], v[206:207], v[138:139]
	v_fma_f64 v[136:137], v[204:205], v[212:213], -v[136:137]
	v_mul_f64 v[204:205], v[204:205], v[138:139]
	v_fmac_f64_e32 v[204:205], v[206:207], v[212:213]
	v_add_f64 v[66:67], v[66:67], -v[204:205]
	ds_read2_b64 v[204:207], v202 offset0:72 offset1:73
	v_add_f64 v[64:65], v[64:65], -v[136:137]
	s_waitcnt lgkmcnt(0)
	v_mul_f64 v[136:137], v[206:207], v[138:139]
	v_fma_f64 v[136:137], v[204:205], v[212:213], -v[136:137]
	v_mul_f64 v[204:205], v[204:205], v[138:139]
	v_fmac_f64_e32 v[204:205], v[206:207], v[212:213]
	v_add_f64 v[62:63], v[62:63], -v[204:205]
	ds_read2_b64 v[204:207], v202 offset0:74 offset1:75
	v_add_f64 v[60:61], v[60:61], -v[136:137]
	s_waitcnt lgkmcnt(0)
	v_mul_f64 v[136:137], v[206:207], v[138:139]
	v_fma_f64 v[136:137], v[204:205], v[212:213], -v[136:137]
	v_mul_f64 v[204:205], v[204:205], v[138:139]
	v_fmac_f64_e32 v[204:205], v[206:207], v[212:213]
	v_add_f64 v[58:59], v[58:59], -v[204:205]
	ds_read2_b64 v[204:207], v202 offset0:76 offset1:77
	v_add_f64 v[56:57], v[56:57], -v[136:137]
	s_waitcnt lgkmcnt(0)
	v_mul_f64 v[136:137], v[206:207], v[138:139]
	v_fma_f64 v[136:137], v[204:205], v[212:213], -v[136:137]
	v_mul_f64 v[204:205], v[204:205], v[138:139]
	v_fmac_f64_e32 v[204:205], v[206:207], v[212:213]
	v_add_f64 v[54:55], v[54:55], -v[204:205]
	ds_read2_b64 v[204:207], v202 offset0:78 offset1:79
	v_add_f64 v[52:53], v[52:53], -v[136:137]
	s_waitcnt lgkmcnt(0)
	v_mul_f64 v[136:137], v[206:207], v[138:139]
	v_fma_f64 v[136:137], v[204:205], v[212:213], -v[136:137]
	v_mul_f64 v[204:205], v[204:205], v[138:139]
	v_fmac_f64_e32 v[204:205], v[206:207], v[212:213]
	v_add_f64 v[50:51], v[50:51], -v[204:205]
	ds_read2_b64 v[204:207], v202 offset0:80 offset1:81
	v_add_f64 v[48:49], v[48:49], -v[136:137]
	s_waitcnt lgkmcnt(0)
	v_mul_f64 v[136:137], v[206:207], v[138:139]
	v_fma_f64 v[136:137], v[204:205], v[212:213], -v[136:137]
	v_mul_f64 v[204:205], v[204:205], v[138:139]
	v_fmac_f64_e32 v[204:205], v[206:207], v[212:213]
	v_add_f64 v[46:47], v[46:47], -v[204:205]
	ds_read2_b64 v[204:207], v202 offset0:82 offset1:83
	v_add_f64 v[44:45], v[44:45], -v[136:137]
	s_waitcnt lgkmcnt(0)
	v_mul_f64 v[136:137], v[206:207], v[138:139]
	v_fma_f64 v[136:137], v[204:205], v[212:213], -v[136:137]
	v_mul_f64 v[204:205], v[204:205], v[138:139]
	v_fmac_f64_e32 v[204:205], v[206:207], v[212:213]
	v_add_f64 v[42:43], v[42:43], -v[204:205]
	ds_read2_b64 v[204:207], v202 offset0:84 offset1:85
	v_add_f64 v[40:41], v[40:41], -v[136:137]
	s_waitcnt lgkmcnt(0)
	v_mul_f64 v[136:137], v[206:207], v[138:139]
	v_fma_f64 v[136:137], v[204:205], v[212:213], -v[136:137]
	v_mul_f64 v[204:205], v[204:205], v[138:139]
	v_fmac_f64_e32 v[204:205], v[206:207], v[212:213]
	v_add_f64 v[38:39], v[38:39], -v[204:205]
	ds_read2_b64 v[204:207], v202 offset0:86 offset1:87
	v_add_f64 v[36:37], v[36:37], -v[136:137]
	s_waitcnt lgkmcnt(0)
	v_mul_f64 v[136:137], v[206:207], v[138:139]
	v_fma_f64 v[136:137], v[204:205], v[212:213], -v[136:137]
	v_mul_f64 v[204:205], v[204:205], v[138:139]
	v_fmac_f64_e32 v[204:205], v[206:207], v[212:213]
	v_add_f64 v[34:35], v[34:35], -v[204:205]
	ds_read2_b64 v[204:207], v202 offset0:88 offset1:89
	v_add_f64 v[32:33], v[32:33], -v[136:137]
	s_waitcnt lgkmcnt(0)
	v_mul_f64 v[136:137], v[206:207], v[138:139]
	v_fma_f64 v[136:137], v[204:205], v[212:213], -v[136:137]
	v_mul_f64 v[204:205], v[204:205], v[138:139]
	v_fmac_f64_e32 v[204:205], v[206:207], v[212:213]
	v_add_f64 v[30:31], v[30:31], -v[204:205]
	ds_read2_b64 v[204:207], v202 offset0:90 offset1:91
	v_add_f64 v[28:29], v[28:29], -v[136:137]
	s_waitcnt lgkmcnt(0)
	v_mul_f64 v[136:137], v[206:207], v[138:139]
	v_fma_f64 v[136:137], v[204:205], v[212:213], -v[136:137]
	v_mul_f64 v[204:205], v[204:205], v[138:139]
	v_fmac_f64_e32 v[204:205], v[206:207], v[212:213]
	v_add_f64 v[26:27], v[26:27], -v[204:205]
	ds_read2_b64 v[204:207], v202 offset0:92 offset1:93
	v_add_f64 v[24:25], v[24:25], -v[136:137]
	s_waitcnt lgkmcnt(0)
	v_mul_f64 v[136:137], v[206:207], v[138:139]
	v_fma_f64 v[136:137], v[204:205], v[212:213], -v[136:137]
	v_mul_f64 v[204:205], v[204:205], v[138:139]
	v_fmac_f64_e32 v[204:205], v[206:207], v[212:213]
	v_add_f64 v[22:23], v[22:23], -v[204:205]
	ds_read2_b64 v[204:207], v202 offset0:94 offset1:95
	v_add_f64 v[20:21], v[20:21], -v[136:137]
	s_waitcnt lgkmcnt(0)
	v_mul_f64 v[136:137], v[206:207], v[138:139]
	v_fma_f64 v[136:137], v[204:205], v[212:213], -v[136:137]
	v_mul_f64 v[204:205], v[204:205], v[138:139]
	v_fmac_f64_e32 v[204:205], v[206:207], v[212:213]
	v_add_f64 v[18:19], v[18:19], -v[204:205]
	ds_read2_b64 v[204:207], v202 offset0:96 offset1:97
	v_add_f64 v[16:17], v[16:17], -v[136:137]
	s_waitcnt lgkmcnt(0)
	v_mul_f64 v[136:137], v[206:207], v[138:139]
	v_fma_f64 v[136:137], v[204:205], v[212:213], -v[136:137]
	v_mul_f64 v[204:205], v[204:205], v[138:139]
	v_fmac_f64_e32 v[204:205], v[206:207], v[212:213]
	v_add_f64 v[14:15], v[14:15], -v[204:205]
	ds_read2_b64 v[204:207], v202 offset0:98 offset1:99
	v_add_f64 v[12:13], v[12:13], -v[136:137]
	s_waitcnt lgkmcnt(0)
	v_mul_f64 v[136:137], v[206:207], v[138:139]
	v_fma_f64 v[136:137], v[204:205], v[212:213], -v[136:137]
	v_mul_f64 v[204:205], v[204:205], v[138:139]
	v_fmac_f64_e32 v[204:205], v[206:207], v[212:213]
	v_add_f64 v[10:11], v[10:11], -v[204:205]
	ds_read2_b64 v[204:207], v202 offset0:100 offset1:101
	v_add_f64 v[8:9], v[8:9], -v[136:137]
	s_waitcnt lgkmcnt(0)
	v_mul_f64 v[136:137], v[206:207], v[138:139]
	v_fma_f64 v[136:137], v[204:205], v[212:213], -v[136:137]
	v_mul_f64 v[204:205], v[204:205], v[138:139]
	v_fmac_f64_e32 v[204:205], v[206:207], v[212:213]
	v_add_f64 v[6:7], v[6:7], -v[204:205]
	ds_read2_b64 v[204:207], v202 offset0:102 offset1:103
	v_add_f64 v[4:5], v[4:5], -v[136:137]
	s_waitcnt lgkmcnt(0)
	v_mul_f64 v[136:137], v[206:207], v[138:139]
	v_fma_f64 v[136:137], v[204:205], v[212:213], -v[136:137]
	v_mul_f64 v[204:205], v[204:205], v[138:139]
	v_fmac_f64_e32 v[204:205], v[206:207], v[212:213]
	v_add_f64 v[2:3], v[2:3], -v[204:205]
	ds_read2_b64 v[204:207], v202 offset0:104 offset1:105
	v_add_f64 v[0:1], v[0:1], -v[136:137]
	s_waitcnt lgkmcnt(0)
	v_mul_f64 v[136:137], v[206:207], v[138:139]
	v_fma_f64 v[136:137], v[204:205], v[212:213], -v[136:137]
	v_mul_f64 v[204:205], v[204:205], v[138:139]
	v_fmac_f64_e32 v[204:205], v[206:207], v[212:213]
	v_add_f64 v[208:209], v[208:209], -v[136:137]
	v_add_f64 v[210:211], v[210:211], -v[204:205]
	v_mov_b64_e32 v[136:137], v[212:213]
.LBB105_163:
	s_or_b64 exec, exec, s[2:3]
	v_cmp_eq_u32_e32 vcc, 18, v200
	s_waitcnt vmcnt(63) expcnt(7) lgkmcnt(15)
	s_barrier
	s_and_saveexec_b64 s[4:5], vcc
	s_cbranch_execz .LBB105_170
; %bb.164:
	ds_write2_b64 v201, v[132:133], v[134:135] offset1:1
	ds_write2_b64 v202, v[128:129], v[130:131] offset0:38 offset1:39
	ds_write2_b64 v202, v[124:125], v[126:127] offset0:40 offset1:41
	;; [unrolled: 1-line block ×17, first 2 shown]
	s_waitcnt vmcnt(49)
	ds_write2_b64 v202, v[60:61], v[62:63] offset0:72 offset1:73
	s_waitcnt vmcnt(48)
	ds_write2_b64 v202, v[56:57], v[58:59] offset0:74 offset1:75
	;; [unrolled: 2-line block ×13, first 2 shown]
	ds_write2_b64 v202, v[8:9], v[10:11] offset0:98 offset1:99
	ds_write2_b64 v202, v[4:5], v[6:7] offset0:100 offset1:101
	s_waitcnt vmcnt(36)
	ds_write2_b64 v202, v[0:1], v[2:3] offset0:102 offset1:103
	s_waitcnt vmcnt(33)
	ds_write2_b64 v202, v[208:209], v[210:211] offset0:104 offset1:105
	ds_read2_b64 v[212:215], v201 offset1:1
	s_waitcnt lgkmcnt(0)
	v_cmp_neq_f64_e32 vcc, 0, v[212:213]
	v_cmp_neq_f64_e64 s[2:3], 0, v[214:215]
	s_or_b64 s[2:3], vcc, s[2:3]
	s_and_b64 exec, exec, s[2:3]
	s_cbranch_execz .LBB105_170
; %bb.165:
	v_cmp_ngt_f64_e64 s[2:3], |v[212:213]|, |v[214:215]|
                                        ; implicit-def: $vgpr204_vgpr205
	s_and_saveexec_b64 s[10:11], s[2:3]
	s_xor_b64 s[2:3], exec, s[10:11]
                                        ; implicit-def: $vgpr206_vgpr207
	s_cbranch_execz .LBB105_167
; %bb.166:
	v_div_scale_f64 v[204:205], s[10:11], v[214:215], v[214:215], v[212:213]
	v_rcp_f64_e32 v[206:207], v[204:205]
	v_div_scale_f64 v[216:217], vcc, v[212:213], v[214:215], v[212:213]
	v_fma_f64 v[218:219], -v[204:205], v[206:207], 1.0
	v_fmac_f64_e32 v[206:207], v[206:207], v[218:219]
	v_fma_f64 v[218:219], -v[204:205], v[206:207], 1.0
	v_fmac_f64_e32 v[206:207], v[206:207], v[218:219]
	v_mul_f64 v[218:219], v[216:217], v[206:207]
	v_fma_f64 v[204:205], -v[204:205], v[218:219], v[216:217]
	v_div_fmas_f64 v[204:205], v[204:205], v[206:207], v[218:219]
	v_div_fixup_f64 v[204:205], v[204:205], v[214:215], v[212:213]
	v_fmac_f64_e32 v[214:215], v[212:213], v[204:205]
	v_div_scale_f64 v[206:207], s[10:11], v[214:215], v[214:215], 1.0
	v_rcp_f64_e32 v[212:213], v[206:207]
	s_nop 0
	v_fma_f64 v[216:217], -v[206:207], v[212:213], 1.0
	v_fmac_f64_e32 v[212:213], v[212:213], v[216:217]
	v_fma_f64 v[216:217], -v[206:207], v[212:213], 1.0
	v_fmac_f64_e32 v[212:213], v[212:213], v[216:217]
	v_div_scale_f64 v[216:217], vcc, 1.0, v[214:215], 1.0
	v_mul_f64 v[218:219], v[216:217], v[212:213]
	v_fma_f64 v[206:207], -v[206:207], v[218:219], v[216:217]
	s_nop 1
	v_div_fmas_f64 v[206:207], v[206:207], v[212:213], v[218:219]
	v_div_fixup_f64 v[206:207], v[206:207], v[214:215], 1.0
	v_mul_f64 v[204:205], v[204:205], v[206:207]
	v_xor_b32_e32 v207, 0x80000000, v207
                                        ; implicit-def: $vgpr212_vgpr213
.LBB105_167:
	s_andn2_saveexec_b64 s[2:3], s[2:3]
	s_cbranch_execz .LBB105_169
; %bb.168:
	v_div_scale_f64 v[204:205], s[10:11], v[212:213], v[212:213], v[214:215]
	v_rcp_f64_e32 v[206:207], v[204:205]
	v_div_scale_f64 v[216:217], vcc, v[214:215], v[212:213], v[214:215]
	v_fma_f64 v[218:219], -v[204:205], v[206:207], 1.0
	v_fmac_f64_e32 v[206:207], v[206:207], v[218:219]
	v_fma_f64 v[218:219], -v[204:205], v[206:207], 1.0
	v_fmac_f64_e32 v[206:207], v[206:207], v[218:219]
	v_mul_f64 v[218:219], v[216:217], v[206:207]
	v_fma_f64 v[204:205], -v[204:205], v[218:219], v[216:217]
	v_div_fmas_f64 v[204:205], v[204:205], v[206:207], v[218:219]
	v_div_fixup_f64 v[206:207], v[204:205], v[212:213], v[214:215]
	v_fmac_f64_e32 v[212:213], v[214:215], v[206:207]
	v_div_scale_f64 v[204:205], s[10:11], v[212:213], v[212:213], 1.0
	v_rcp_f64_e32 v[214:215], v[204:205]
	s_nop 0
	v_fma_f64 v[216:217], -v[204:205], v[214:215], 1.0
	v_fmac_f64_e32 v[214:215], v[214:215], v[216:217]
	v_fma_f64 v[216:217], -v[204:205], v[214:215], 1.0
	v_fmac_f64_e32 v[214:215], v[214:215], v[216:217]
	v_div_scale_f64 v[216:217], vcc, 1.0, v[212:213], 1.0
	v_mul_f64 v[218:219], v[216:217], v[214:215]
	v_fma_f64 v[204:205], -v[204:205], v[218:219], v[216:217]
	s_nop 1
	v_div_fmas_f64 v[204:205], v[204:205], v[214:215], v[218:219]
	v_div_fixup_f64 v[204:205], v[204:205], v[212:213], 1.0
	v_mul_f64 v[206:207], v[206:207], -v[204:205]
.LBB105_169:
	s_or_b64 exec, exec, s[2:3]
	ds_write2_b64 v201, v[204:205], v[206:207] offset1:1
.LBB105_170:
	s_or_b64 exec, exec, s[4:5]
	s_waitcnt lgkmcnt(0)
	s_barrier
	ds_read2_b64 v[192:195], v201 offset1:1
	v_cmp_lt_u32_e32 vcc, 18, v200
	s_waitcnt lgkmcnt(0)
	scratch_store_dwordx4 off, v[192:195], off offset:760 ; 16-byte Folded Spill
	s_and_saveexec_b64 s[2:3], vcc
	s_cbranch_execz .LBB105_172
; %bb.171:
	scratch_load_dwordx4 v[192:195], off, off offset:760 ; 16-byte Folded Reload
	s_waitcnt vmcnt(0)
	v_mul_f64 v[204:205], v[194:195], v[134:135]
	v_fma_f64 v[212:213], v[192:193], v[132:133], -v[204:205]
	ds_read2_b64 v[204:207], v202 offset0:38 offset1:39
	v_mul_f64 v[134:135], v[192:193], v[134:135]
	v_fmac_f64_e32 v[134:135], v[194:195], v[132:133]
	s_waitcnt lgkmcnt(0)
	v_mul_f64 v[132:133], v[206:207], v[134:135]
	v_fma_f64 v[132:133], v[204:205], v[212:213], -v[132:133]
	v_mul_f64 v[204:205], v[204:205], v[134:135]
	v_fmac_f64_e32 v[204:205], v[206:207], v[212:213]
	v_add_f64 v[130:131], v[130:131], -v[204:205]
	ds_read2_b64 v[204:207], v202 offset0:40 offset1:41
	v_add_f64 v[128:129], v[128:129], -v[132:133]
	s_waitcnt lgkmcnt(0)
	v_mul_f64 v[132:133], v[206:207], v[134:135]
	v_fma_f64 v[132:133], v[204:205], v[212:213], -v[132:133]
	v_mul_f64 v[204:205], v[204:205], v[134:135]
	v_fmac_f64_e32 v[204:205], v[206:207], v[212:213]
	v_add_f64 v[126:127], v[126:127], -v[204:205]
	ds_read2_b64 v[204:207], v202 offset0:42 offset1:43
	v_add_f64 v[124:125], v[124:125], -v[132:133]
	;; [unrolled: 8-line block ×33, first 2 shown]
	s_waitcnt lgkmcnt(0)
	v_mul_f64 v[132:133], v[206:207], v[134:135]
	v_fma_f64 v[132:133], v[204:205], v[212:213], -v[132:133]
	v_mul_f64 v[204:205], v[204:205], v[134:135]
	v_fmac_f64_e32 v[204:205], v[206:207], v[212:213]
	v_add_f64 v[208:209], v[208:209], -v[132:133]
	v_add_f64 v[210:211], v[210:211], -v[204:205]
	v_mov_b64_e32 v[132:133], v[212:213]
.LBB105_172:
	s_or_b64 exec, exec, s[2:3]
	v_cmp_eq_u32_e32 vcc, 19, v200
	s_waitcnt vmcnt(63) expcnt(7) lgkmcnt(15)
	s_barrier
	s_and_saveexec_b64 s[4:5], vcc
	s_cbranch_execz .LBB105_179
; %bb.173:
	ds_write2_b64 v201, v[128:129], v[130:131] offset1:1
	ds_write2_b64 v202, v[124:125], v[126:127] offset0:40 offset1:41
	ds_write2_b64 v202, v[120:121], v[122:123] offset0:42 offset1:43
	;; [unrolled: 1-line block ×16, first 2 shown]
	s_waitcnt vmcnt(50)
	ds_write2_b64 v202, v[60:61], v[62:63] offset0:72 offset1:73
	s_waitcnt vmcnt(49)
	ds_write2_b64 v202, v[56:57], v[58:59] offset0:74 offset1:75
	;; [unrolled: 2-line block ×13, first 2 shown]
	ds_write2_b64 v202, v[8:9], v[10:11] offset0:98 offset1:99
	ds_write2_b64 v202, v[4:5], v[6:7] offset0:100 offset1:101
	s_waitcnt vmcnt(37)
	ds_write2_b64 v202, v[0:1], v[2:3] offset0:102 offset1:103
	s_waitcnt vmcnt(34)
	ds_write2_b64 v202, v[208:209], v[210:211] offset0:104 offset1:105
	ds_read2_b64 v[212:215], v201 offset1:1
	s_waitcnt lgkmcnt(0)
	v_cmp_neq_f64_e32 vcc, 0, v[212:213]
	v_cmp_neq_f64_e64 s[2:3], 0, v[214:215]
	s_or_b64 s[2:3], vcc, s[2:3]
	s_and_b64 exec, exec, s[2:3]
	s_cbranch_execz .LBB105_179
; %bb.174:
	v_cmp_ngt_f64_e64 s[2:3], |v[212:213]|, |v[214:215]|
                                        ; implicit-def: $vgpr204_vgpr205
	s_and_saveexec_b64 s[10:11], s[2:3]
	s_xor_b64 s[2:3], exec, s[10:11]
                                        ; implicit-def: $vgpr206_vgpr207
	s_cbranch_execz .LBB105_176
; %bb.175:
	v_div_scale_f64 v[204:205], s[10:11], v[214:215], v[214:215], v[212:213]
	v_rcp_f64_e32 v[206:207], v[204:205]
	v_div_scale_f64 v[216:217], vcc, v[212:213], v[214:215], v[212:213]
	v_fma_f64 v[218:219], -v[204:205], v[206:207], 1.0
	v_fmac_f64_e32 v[206:207], v[206:207], v[218:219]
	v_fma_f64 v[218:219], -v[204:205], v[206:207], 1.0
	v_fmac_f64_e32 v[206:207], v[206:207], v[218:219]
	v_mul_f64 v[218:219], v[216:217], v[206:207]
	v_fma_f64 v[204:205], -v[204:205], v[218:219], v[216:217]
	v_div_fmas_f64 v[204:205], v[204:205], v[206:207], v[218:219]
	v_div_fixup_f64 v[204:205], v[204:205], v[214:215], v[212:213]
	v_fmac_f64_e32 v[214:215], v[212:213], v[204:205]
	v_div_scale_f64 v[206:207], s[10:11], v[214:215], v[214:215], 1.0
	v_rcp_f64_e32 v[212:213], v[206:207]
	s_nop 0
	v_fma_f64 v[216:217], -v[206:207], v[212:213], 1.0
	v_fmac_f64_e32 v[212:213], v[212:213], v[216:217]
	v_fma_f64 v[216:217], -v[206:207], v[212:213], 1.0
	v_fmac_f64_e32 v[212:213], v[212:213], v[216:217]
	v_div_scale_f64 v[216:217], vcc, 1.0, v[214:215], 1.0
	v_mul_f64 v[218:219], v[216:217], v[212:213]
	v_fma_f64 v[206:207], -v[206:207], v[218:219], v[216:217]
	s_nop 1
	v_div_fmas_f64 v[206:207], v[206:207], v[212:213], v[218:219]
	v_div_fixup_f64 v[206:207], v[206:207], v[214:215], 1.0
	v_mul_f64 v[204:205], v[204:205], v[206:207]
	v_xor_b32_e32 v207, 0x80000000, v207
                                        ; implicit-def: $vgpr212_vgpr213
.LBB105_176:
	s_andn2_saveexec_b64 s[2:3], s[2:3]
	s_cbranch_execz .LBB105_178
; %bb.177:
	v_div_scale_f64 v[204:205], s[10:11], v[212:213], v[212:213], v[214:215]
	v_rcp_f64_e32 v[206:207], v[204:205]
	v_div_scale_f64 v[216:217], vcc, v[214:215], v[212:213], v[214:215]
	v_fma_f64 v[218:219], -v[204:205], v[206:207], 1.0
	v_fmac_f64_e32 v[206:207], v[206:207], v[218:219]
	v_fma_f64 v[218:219], -v[204:205], v[206:207], 1.0
	v_fmac_f64_e32 v[206:207], v[206:207], v[218:219]
	v_mul_f64 v[218:219], v[216:217], v[206:207]
	v_fma_f64 v[204:205], -v[204:205], v[218:219], v[216:217]
	v_div_fmas_f64 v[204:205], v[204:205], v[206:207], v[218:219]
	v_div_fixup_f64 v[206:207], v[204:205], v[212:213], v[214:215]
	v_fmac_f64_e32 v[212:213], v[214:215], v[206:207]
	v_div_scale_f64 v[204:205], s[10:11], v[212:213], v[212:213], 1.0
	v_rcp_f64_e32 v[214:215], v[204:205]
	s_nop 0
	v_fma_f64 v[216:217], -v[204:205], v[214:215], 1.0
	v_fmac_f64_e32 v[214:215], v[214:215], v[216:217]
	v_fma_f64 v[216:217], -v[204:205], v[214:215], 1.0
	v_fmac_f64_e32 v[214:215], v[214:215], v[216:217]
	v_div_scale_f64 v[216:217], vcc, 1.0, v[212:213], 1.0
	v_mul_f64 v[218:219], v[216:217], v[214:215]
	v_fma_f64 v[204:205], -v[204:205], v[218:219], v[216:217]
	s_nop 1
	v_div_fmas_f64 v[204:205], v[204:205], v[214:215], v[218:219]
	v_div_fixup_f64 v[204:205], v[204:205], v[212:213], 1.0
	v_mul_f64 v[206:207], v[206:207], -v[204:205]
.LBB105_178:
	s_or_b64 exec, exec, s[2:3]
	ds_write2_b64 v201, v[204:205], v[206:207] offset1:1
.LBB105_179:
	s_or_b64 exec, exec, s[4:5]
	s_waitcnt lgkmcnt(0)
	s_barrier
	ds_read2_b64 v[192:195], v201 offset1:1
	v_cmp_lt_u32_e32 vcc, 19, v200
	s_waitcnt lgkmcnt(0)
	scratch_store_dwordx4 off, v[192:195], off offset:776 ; 16-byte Folded Spill
	s_and_saveexec_b64 s[2:3], vcc
	s_cbranch_execz .LBB105_181
; %bb.180:
	scratch_load_dwordx4 v[192:195], off, off offset:776 ; 16-byte Folded Reload
	s_waitcnt vmcnt(0)
	v_mul_f64 v[204:205], v[194:195], v[130:131]
	v_fma_f64 v[212:213], v[192:193], v[128:129], -v[204:205]
	ds_read2_b64 v[204:207], v202 offset0:40 offset1:41
	v_mul_f64 v[130:131], v[192:193], v[130:131]
	v_fmac_f64_e32 v[130:131], v[194:195], v[128:129]
	s_waitcnt lgkmcnt(0)
	v_mul_f64 v[128:129], v[206:207], v[130:131]
	v_fma_f64 v[128:129], v[204:205], v[212:213], -v[128:129]
	v_mul_f64 v[204:205], v[204:205], v[130:131]
	v_fmac_f64_e32 v[204:205], v[206:207], v[212:213]
	v_add_f64 v[126:127], v[126:127], -v[204:205]
	ds_read2_b64 v[204:207], v202 offset0:42 offset1:43
	v_add_f64 v[124:125], v[124:125], -v[128:129]
	s_waitcnt lgkmcnt(0)
	v_mul_f64 v[128:129], v[206:207], v[130:131]
	v_fma_f64 v[128:129], v[204:205], v[212:213], -v[128:129]
	v_mul_f64 v[204:205], v[204:205], v[130:131]
	v_fmac_f64_e32 v[204:205], v[206:207], v[212:213]
	v_add_f64 v[122:123], v[122:123], -v[204:205]
	ds_read2_b64 v[204:207], v202 offset0:44 offset1:45
	v_add_f64 v[120:121], v[120:121], -v[128:129]
	;; [unrolled: 8-line block ×32, first 2 shown]
	s_waitcnt lgkmcnt(0)
	v_mul_f64 v[128:129], v[206:207], v[130:131]
	v_fma_f64 v[128:129], v[204:205], v[212:213], -v[128:129]
	v_mul_f64 v[204:205], v[204:205], v[130:131]
	v_fmac_f64_e32 v[204:205], v[206:207], v[212:213]
	v_add_f64 v[208:209], v[208:209], -v[128:129]
	v_add_f64 v[210:211], v[210:211], -v[204:205]
	v_mov_b64_e32 v[128:129], v[212:213]
.LBB105_181:
	s_or_b64 exec, exec, s[2:3]
	v_cmp_eq_u32_e32 vcc, 20, v200
	s_waitcnt vmcnt(63) expcnt(7) lgkmcnt(15)
	s_barrier
	s_and_saveexec_b64 s[4:5], vcc
	s_cbranch_execz .LBB105_188
; %bb.182:
	ds_write2_b64 v201, v[124:125], v[126:127] offset1:1
	ds_write2_b64 v202, v[120:121], v[122:123] offset0:42 offset1:43
	ds_write2_b64 v202, v[116:117], v[118:119] offset0:44 offset1:45
	;; [unrolled: 1-line block ×15, first 2 shown]
	s_waitcnt vmcnt(51)
	ds_write2_b64 v202, v[60:61], v[62:63] offset0:72 offset1:73
	s_waitcnt vmcnt(50)
	ds_write2_b64 v202, v[56:57], v[58:59] offset0:74 offset1:75
	;; [unrolled: 2-line block ×13, first 2 shown]
	ds_write2_b64 v202, v[8:9], v[10:11] offset0:98 offset1:99
	ds_write2_b64 v202, v[4:5], v[6:7] offset0:100 offset1:101
	s_waitcnt vmcnt(38)
	ds_write2_b64 v202, v[0:1], v[2:3] offset0:102 offset1:103
	s_waitcnt vmcnt(35)
	ds_write2_b64 v202, v[208:209], v[210:211] offset0:104 offset1:105
	ds_read2_b64 v[212:215], v201 offset1:1
	s_waitcnt lgkmcnt(0)
	v_cmp_neq_f64_e32 vcc, 0, v[212:213]
	v_cmp_neq_f64_e64 s[2:3], 0, v[214:215]
	s_or_b64 s[2:3], vcc, s[2:3]
	s_and_b64 exec, exec, s[2:3]
	s_cbranch_execz .LBB105_188
; %bb.183:
	v_cmp_ngt_f64_e64 s[2:3], |v[212:213]|, |v[214:215]|
                                        ; implicit-def: $vgpr204_vgpr205
	s_and_saveexec_b64 s[10:11], s[2:3]
	s_xor_b64 s[2:3], exec, s[10:11]
                                        ; implicit-def: $vgpr206_vgpr207
	s_cbranch_execz .LBB105_185
; %bb.184:
	v_div_scale_f64 v[204:205], s[10:11], v[214:215], v[214:215], v[212:213]
	v_rcp_f64_e32 v[206:207], v[204:205]
	v_div_scale_f64 v[216:217], vcc, v[212:213], v[214:215], v[212:213]
	v_fma_f64 v[218:219], -v[204:205], v[206:207], 1.0
	v_fmac_f64_e32 v[206:207], v[206:207], v[218:219]
	v_fma_f64 v[218:219], -v[204:205], v[206:207], 1.0
	v_fmac_f64_e32 v[206:207], v[206:207], v[218:219]
	v_mul_f64 v[218:219], v[216:217], v[206:207]
	v_fma_f64 v[204:205], -v[204:205], v[218:219], v[216:217]
	v_div_fmas_f64 v[204:205], v[204:205], v[206:207], v[218:219]
	v_div_fixup_f64 v[204:205], v[204:205], v[214:215], v[212:213]
	v_fmac_f64_e32 v[214:215], v[212:213], v[204:205]
	v_div_scale_f64 v[206:207], s[10:11], v[214:215], v[214:215], 1.0
	v_rcp_f64_e32 v[212:213], v[206:207]
	s_nop 0
	v_fma_f64 v[216:217], -v[206:207], v[212:213], 1.0
	v_fmac_f64_e32 v[212:213], v[212:213], v[216:217]
	v_fma_f64 v[216:217], -v[206:207], v[212:213], 1.0
	v_fmac_f64_e32 v[212:213], v[212:213], v[216:217]
	v_div_scale_f64 v[216:217], vcc, 1.0, v[214:215], 1.0
	v_mul_f64 v[218:219], v[216:217], v[212:213]
	v_fma_f64 v[206:207], -v[206:207], v[218:219], v[216:217]
	s_nop 1
	v_div_fmas_f64 v[206:207], v[206:207], v[212:213], v[218:219]
	v_div_fixup_f64 v[206:207], v[206:207], v[214:215], 1.0
	v_mul_f64 v[204:205], v[204:205], v[206:207]
	v_xor_b32_e32 v207, 0x80000000, v207
                                        ; implicit-def: $vgpr212_vgpr213
.LBB105_185:
	s_andn2_saveexec_b64 s[2:3], s[2:3]
	s_cbranch_execz .LBB105_187
; %bb.186:
	v_div_scale_f64 v[204:205], s[10:11], v[212:213], v[212:213], v[214:215]
	v_rcp_f64_e32 v[206:207], v[204:205]
	v_div_scale_f64 v[216:217], vcc, v[214:215], v[212:213], v[214:215]
	v_fma_f64 v[218:219], -v[204:205], v[206:207], 1.0
	v_fmac_f64_e32 v[206:207], v[206:207], v[218:219]
	v_fma_f64 v[218:219], -v[204:205], v[206:207], 1.0
	v_fmac_f64_e32 v[206:207], v[206:207], v[218:219]
	v_mul_f64 v[218:219], v[216:217], v[206:207]
	v_fma_f64 v[204:205], -v[204:205], v[218:219], v[216:217]
	v_div_fmas_f64 v[204:205], v[204:205], v[206:207], v[218:219]
	v_div_fixup_f64 v[206:207], v[204:205], v[212:213], v[214:215]
	v_fmac_f64_e32 v[212:213], v[214:215], v[206:207]
	v_div_scale_f64 v[204:205], s[10:11], v[212:213], v[212:213], 1.0
	v_rcp_f64_e32 v[214:215], v[204:205]
	s_nop 0
	v_fma_f64 v[216:217], -v[204:205], v[214:215], 1.0
	v_fmac_f64_e32 v[214:215], v[214:215], v[216:217]
	v_fma_f64 v[216:217], -v[204:205], v[214:215], 1.0
	v_fmac_f64_e32 v[214:215], v[214:215], v[216:217]
	v_div_scale_f64 v[216:217], vcc, 1.0, v[212:213], 1.0
	v_mul_f64 v[218:219], v[216:217], v[214:215]
	v_fma_f64 v[204:205], -v[204:205], v[218:219], v[216:217]
	s_nop 1
	v_div_fmas_f64 v[204:205], v[204:205], v[214:215], v[218:219]
	v_div_fixup_f64 v[204:205], v[204:205], v[212:213], 1.0
	v_mul_f64 v[206:207], v[206:207], -v[204:205]
.LBB105_187:
	s_or_b64 exec, exec, s[2:3]
	ds_write2_b64 v201, v[204:205], v[206:207] offset1:1
.LBB105_188:
	s_or_b64 exec, exec, s[4:5]
	s_waitcnt lgkmcnt(0)
	s_barrier
	ds_read2_b64 v[192:195], v201 offset1:1
	v_cmp_lt_u32_e32 vcc, 20, v200
	s_waitcnt lgkmcnt(0)
	scratch_store_dwordx4 off, v[192:195], off offset:792 ; 16-byte Folded Spill
	s_and_saveexec_b64 s[2:3], vcc
	s_cbranch_execz .LBB105_190
; %bb.189:
	scratch_load_dwordx4 v[192:195], off, off offset:792 ; 16-byte Folded Reload
	s_waitcnt vmcnt(0)
	v_mul_f64 v[204:205], v[194:195], v[126:127]
	v_fma_f64 v[212:213], v[192:193], v[124:125], -v[204:205]
	ds_read2_b64 v[204:207], v202 offset0:42 offset1:43
	v_mul_f64 v[126:127], v[192:193], v[126:127]
	v_fmac_f64_e32 v[126:127], v[194:195], v[124:125]
	s_waitcnt lgkmcnt(0)
	v_mul_f64 v[124:125], v[206:207], v[126:127]
	v_fma_f64 v[124:125], v[204:205], v[212:213], -v[124:125]
	v_mul_f64 v[204:205], v[204:205], v[126:127]
	v_fmac_f64_e32 v[204:205], v[206:207], v[212:213]
	v_add_f64 v[122:123], v[122:123], -v[204:205]
	ds_read2_b64 v[204:207], v202 offset0:44 offset1:45
	v_add_f64 v[120:121], v[120:121], -v[124:125]
	s_waitcnt lgkmcnt(0)
	v_mul_f64 v[124:125], v[206:207], v[126:127]
	v_fma_f64 v[124:125], v[204:205], v[212:213], -v[124:125]
	v_mul_f64 v[204:205], v[204:205], v[126:127]
	v_fmac_f64_e32 v[204:205], v[206:207], v[212:213]
	v_add_f64 v[118:119], v[118:119], -v[204:205]
	ds_read2_b64 v[204:207], v202 offset0:46 offset1:47
	v_add_f64 v[116:117], v[116:117], -v[124:125]
	;; [unrolled: 8-line block ×31, first 2 shown]
	s_waitcnt lgkmcnt(0)
	v_mul_f64 v[124:125], v[206:207], v[126:127]
	v_fma_f64 v[124:125], v[204:205], v[212:213], -v[124:125]
	v_mul_f64 v[204:205], v[204:205], v[126:127]
	v_fmac_f64_e32 v[204:205], v[206:207], v[212:213]
	v_add_f64 v[208:209], v[208:209], -v[124:125]
	v_add_f64 v[210:211], v[210:211], -v[204:205]
	v_mov_b64_e32 v[124:125], v[212:213]
.LBB105_190:
	s_or_b64 exec, exec, s[2:3]
	v_cmp_eq_u32_e32 vcc, 21, v200
	s_waitcnt vmcnt(63) expcnt(7) lgkmcnt(15)
	s_barrier
	s_and_saveexec_b64 s[4:5], vcc
	s_cbranch_execz .LBB105_197
; %bb.191:
	ds_write2_b64 v201, v[120:121], v[122:123] offset1:1
	ds_write2_b64 v202, v[116:117], v[118:119] offset0:44 offset1:45
	ds_write2_b64 v202, v[112:113], v[114:115] offset0:46 offset1:47
	;; [unrolled: 1-line block ×14, first 2 shown]
	s_waitcnt vmcnt(52)
	ds_write2_b64 v202, v[60:61], v[62:63] offset0:72 offset1:73
	s_waitcnt vmcnt(51)
	ds_write2_b64 v202, v[56:57], v[58:59] offset0:74 offset1:75
	;; [unrolled: 2-line block ×13, first 2 shown]
	ds_write2_b64 v202, v[8:9], v[10:11] offset0:98 offset1:99
	ds_write2_b64 v202, v[4:5], v[6:7] offset0:100 offset1:101
	s_waitcnt vmcnt(39)
	ds_write2_b64 v202, v[0:1], v[2:3] offset0:102 offset1:103
	s_waitcnt vmcnt(36)
	ds_write2_b64 v202, v[208:209], v[210:211] offset0:104 offset1:105
	ds_read2_b64 v[212:215], v201 offset1:1
	s_waitcnt lgkmcnt(0)
	v_cmp_neq_f64_e32 vcc, 0, v[212:213]
	v_cmp_neq_f64_e64 s[2:3], 0, v[214:215]
	s_or_b64 s[2:3], vcc, s[2:3]
	s_and_b64 exec, exec, s[2:3]
	s_cbranch_execz .LBB105_197
; %bb.192:
	v_cmp_ngt_f64_e64 s[2:3], |v[212:213]|, |v[214:215]|
                                        ; implicit-def: $vgpr204_vgpr205
	s_and_saveexec_b64 s[10:11], s[2:3]
	s_xor_b64 s[2:3], exec, s[10:11]
                                        ; implicit-def: $vgpr206_vgpr207
	s_cbranch_execz .LBB105_194
; %bb.193:
	v_div_scale_f64 v[204:205], s[10:11], v[214:215], v[214:215], v[212:213]
	v_rcp_f64_e32 v[206:207], v[204:205]
	v_div_scale_f64 v[216:217], vcc, v[212:213], v[214:215], v[212:213]
	v_fma_f64 v[218:219], -v[204:205], v[206:207], 1.0
	v_fmac_f64_e32 v[206:207], v[206:207], v[218:219]
	v_fma_f64 v[218:219], -v[204:205], v[206:207], 1.0
	v_fmac_f64_e32 v[206:207], v[206:207], v[218:219]
	v_mul_f64 v[218:219], v[216:217], v[206:207]
	v_fma_f64 v[204:205], -v[204:205], v[218:219], v[216:217]
	v_div_fmas_f64 v[204:205], v[204:205], v[206:207], v[218:219]
	v_div_fixup_f64 v[204:205], v[204:205], v[214:215], v[212:213]
	v_fmac_f64_e32 v[214:215], v[212:213], v[204:205]
	v_div_scale_f64 v[206:207], s[10:11], v[214:215], v[214:215], 1.0
	v_rcp_f64_e32 v[212:213], v[206:207]
	s_nop 0
	v_fma_f64 v[216:217], -v[206:207], v[212:213], 1.0
	v_fmac_f64_e32 v[212:213], v[212:213], v[216:217]
	v_fma_f64 v[216:217], -v[206:207], v[212:213], 1.0
	v_fmac_f64_e32 v[212:213], v[212:213], v[216:217]
	v_div_scale_f64 v[216:217], vcc, 1.0, v[214:215], 1.0
	v_mul_f64 v[218:219], v[216:217], v[212:213]
	v_fma_f64 v[206:207], -v[206:207], v[218:219], v[216:217]
	s_nop 1
	v_div_fmas_f64 v[206:207], v[206:207], v[212:213], v[218:219]
	v_div_fixup_f64 v[206:207], v[206:207], v[214:215], 1.0
	v_mul_f64 v[204:205], v[204:205], v[206:207]
	v_xor_b32_e32 v207, 0x80000000, v207
                                        ; implicit-def: $vgpr212_vgpr213
.LBB105_194:
	s_andn2_saveexec_b64 s[2:3], s[2:3]
	s_cbranch_execz .LBB105_196
; %bb.195:
	v_div_scale_f64 v[204:205], s[10:11], v[212:213], v[212:213], v[214:215]
	v_rcp_f64_e32 v[206:207], v[204:205]
	v_div_scale_f64 v[216:217], vcc, v[214:215], v[212:213], v[214:215]
	v_fma_f64 v[218:219], -v[204:205], v[206:207], 1.0
	v_fmac_f64_e32 v[206:207], v[206:207], v[218:219]
	v_fma_f64 v[218:219], -v[204:205], v[206:207], 1.0
	v_fmac_f64_e32 v[206:207], v[206:207], v[218:219]
	v_mul_f64 v[218:219], v[216:217], v[206:207]
	v_fma_f64 v[204:205], -v[204:205], v[218:219], v[216:217]
	v_div_fmas_f64 v[204:205], v[204:205], v[206:207], v[218:219]
	v_div_fixup_f64 v[206:207], v[204:205], v[212:213], v[214:215]
	v_fmac_f64_e32 v[212:213], v[214:215], v[206:207]
	v_div_scale_f64 v[204:205], s[10:11], v[212:213], v[212:213], 1.0
	v_rcp_f64_e32 v[214:215], v[204:205]
	s_nop 0
	v_fma_f64 v[216:217], -v[204:205], v[214:215], 1.0
	v_fmac_f64_e32 v[214:215], v[214:215], v[216:217]
	v_fma_f64 v[216:217], -v[204:205], v[214:215], 1.0
	v_fmac_f64_e32 v[214:215], v[214:215], v[216:217]
	v_div_scale_f64 v[216:217], vcc, 1.0, v[212:213], 1.0
	v_mul_f64 v[218:219], v[216:217], v[214:215]
	v_fma_f64 v[204:205], -v[204:205], v[218:219], v[216:217]
	s_nop 1
	v_div_fmas_f64 v[204:205], v[204:205], v[214:215], v[218:219]
	v_div_fixup_f64 v[204:205], v[204:205], v[212:213], 1.0
	v_mul_f64 v[206:207], v[206:207], -v[204:205]
.LBB105_196:
	s_or_b64 exec, exec, s[2:3]
	ds_write2_b64 v201, v[204:205], v[206:207] offset1:1
.LBB105_197:
	s_or_b64 exec, exec, s[4:5]
	s_waitcnt lgkmcnt(0)
	s_barrier
	ds_read2_b64 v[192:195], v201 offset1:1
	v_cmp_lt_u32_e32 vcc, 21, v200
	s_waitcnt lgkmcnt(0)
	scratch_store_dwordx4 off, v[192:195], off offset:808 ; 16-byte Folded Spill
	s_and_saveexec_b64 s[2:3], vcc
	s_cbranch_execz .LBB105_199
; %bb.198:
	scratch_load_dwordx4 v[192:195], off, off offset:808 ; 16-byte Folded Reload
	s_waitcnt vmcnt(0)
	v_mul_f64 v[204:205], v[194:195], v[122:123]
	v_fma_f64 v[212:213], v[192:193], v[120:121], -v[204:205]
	ds_read2_b64 v[204:207], v202 offset0:44 offset1:45
	v_mul_f64 v[122:123], v[192:193], v[122:123]
	v_fmac_f64_e32 v[122:123], v[194:195], v[120:121]
	s_waitcnt lgkmcnt(0)
	v_mul_f64 v[120:121], v[206:207], v[122:123]
	v_fma_f64 v[120:121], v[204:205], v[212:213], -v[120:121]
	v_mul_f64 v[204:205], v[204:205], v[122:123]
	v_fmac_f64_e32 v[204:205], v[206:207], v[212:213]
	v_add_f64 v[118:119], v[118:119], -v[204:205]
	ds_read2_b64 v[204:207], v202 offset0:46 offset1:47
	v_add_f64 v[116:117], v[116:117], -v[120:121]
	s_waitcnt lgkmcnt(0)
	v_mul_f64 v[120:121], v[206:207], v[122:123]
	v_fma_f64 v[120:121], v[204:205], v[212:213], -v[120:121]
	v_mul_f64 v[204:205], v[204:205], v[122:123]
	v_fmac_f64_e32 v[204:205], v[206:207], v[212:213]
	v_add_f64 v[114:115], v[114:115], -v[204:205]
	ds_read2_b64 v[204:207], v202 offset0:48 offset1:49
	v_add_f64 v[112:113], v[112:113], -v[120:121]
	;; [unrolled: 8-line block ×30, first 2 shown]
	s_waitcnt lgkmcnt(0)
	v_mul_f64 v[120:121], v[206:207], v[122:123]
	v_fma_f64 v[120:121], v[204:205], v[212:213], -v[120:121]
	v_mul_f64 v[204:205], v[204:205], v[122:123]
	v_fmac_f64_e32 v[204:205], v[206:207], v[212:213]
	v_add_f64 v[208:209], v[208:209], -v[120:121]
	v_add_f64 v[210:211], v[210:211], -v[204:205]
	v_mov_b64_e32 v[120:121], v[212:213]
.LBB105_199:
	s_or_b64 exec, exec, s[2:3]
	v_cmp_eq_u32_e32 vcc, 22, v200
	s_waitcnt vmcnt(63) expcnt(7) lgkmcnt(15)
	s_barrier
	s_and_saveexec_b64 s[4:5], vcc
	s_cbranch_execz .LBB105_206
; %bb.200:
	ds_write2_b64 v201, v[116:117], v[118:119] offset1:1
	ds_write2_b64 v202, v[112:113], v[114:115] offset0:46 offset1:47
	ds_write2_b64 v202, v[108:109], v[110:111] offset0:48 offset1:49
	;; [unrolled: 1-line block ×13, first 2 shown]
	s_waitcnt vmcnt(53)
	ds_write2_b64 v202, v[60:61], v[62:63] offset0:72 offset1:73
	s_waitcnt vmcnt(52)
	ds_write2_b64 v202, v[56:57], v[58:59] offset0:74 offset1:75
	;; [unrolled: 2-line block ×13, first 2 shown]
	ds_write2_b64 v202, v[8:9], v[10:11] offset0:98 offset1:99
	ds_write2_b64 v202, v[4:5], v[6:7] offset0:100 offset1:101
	s_waitcnt vmcnt(40)
	ds_write2_b64 v202, v[0:1], v[2:3] offset0:102 offset1:103
	s_waitcnt vmcnt(37)
	ds_write2_b64 v202, v[208:209], v[210:211] offset0:104 offset1:105
	ds_read2_b64 v[212:215], v201 offset1:1
	s_waitcnt lgkmcnt(0)
	v_cmp_neq_f64_e32 vcc, 0, v[212:213]
	v_cmp_neq_f64_e64 s[2:3], 0, v[214:215]
	s_or_b64 s[2:3], vcc, s[2:3]
	s_and_b64 exec, exec, s[2:3]
	s_cbranch_execz .LBB105_206
; %bb.201:
	v_cmp_ngt_f64_e64 s[2:3], |v[212:213]|, |v[214:215]|
                                        ; implicit-def: $vgpr204_vgpr205
	s_and_saveexec_b64 s[10:11], s[2:3]
	s_xor_b64 s[2:3], exec, s[10:11]
                                        ; implicit-def: $vgpr206_vgpr207
	s_cbranch_execz .LBB105_203
; %bb.202:
	v_div_scale_f64 v[204:205], s[10:11], v[214:215], v[214:215], v[212:213]
	v_rcp_f64_e32 v[206:207], v[204:205]
	v_div_scale_f64 v[216:217], vcc, v[212:213], v[214:215], v[212:213]
	v_fma_f64 v[218:219], -v[204:205], v[206:207], 1.0
	v_fmac_f64_e32 v[206:207], v[206:207], v[218:219]
	v_fma_f64 v[218:219], -v[204:205], v[206:207], 1.0
	v_fmac_f64_e32 v[206:207], v[206:207], v[218:219]
	v_mul_f64 v[218:219], v[216:217], v[206:207]
	v_fma_f64 v[204:205], -v[204:205], v[218:219], v[216:217]
	v_div_fmas_f64 v[204:205], v[204:205], v[206:207], v[218:219]
	v_div_fixup_f64 v[204:205], v[204:205], v[214:215], v[212:213]
	v_fmac_f64_e32 v[214:215], v[212:213], v[204:205]
	v_div_scale_f64 v[206:207], s[10:11], v[214:215], v[214:215], 1.0
	v_rcp_f64_e32 v[212:213], v[206:207]
	s_nop 0
	v_fma_f64 v[216:217], -v[206:207], v[212:213], 1.0
	v_fmac_f64_e32 v[212:213], v[212:213], v[216:217]
	v_fma_f64 v[216:217], -v[206:207], v[212:213], 1.0
	v_fmac_f64_e32 v[212:213], v[212:213], v[216:217]
	v_div_scale_f64 v[216:217], vcc, 1.0, v[214:215], 1.0
	v_mul_f64 v[218:219], v[216:217], v[212:213]
	v_fma_f64 v[206:207], -v[206:207], v[218:219], v[216:217]
	s_nop 1
	v_div_fmas_f64 v[206:207], v[206:207], v[212:213], v[218:219]
	v_div_fixup_f64 v[206:207], v[206:207], v[214:215], 1.0
	v_mul_f64 v[204:205], v[204:205], v[206:207]
	v_xor_b32_e32 v207, 0x80000000, v207
                                        ; implicit-def: $vgpr212_vgpr213
.LBB105_203:
	s_andn2_saveexec_b64 s[2:3], s[2:3]
	s_cbranch_execz .LBB105_205
; %bb.204:
	v_div_scale_f64 v[204:205], s[10:11], v[212:213], v[212:213], v[214:215]
	v_rcp_f64_e32 v[206:207], v[204:205]
	v_div_scale_f64 v[216:217], vcc, v[214:215], v[212:213], v[214:215]
	v_fma_f64 v[218:219], -v[204:205], v[206:207], 1.0
	v_fmac_f64_e32 v[206:207], v[206:207], v[218:219]
	v_fma_f64 v[218:219], -v[204:205], v[206:207], 1.0
	v_fmac_f64_e32 v[206:207], v[206:207], v[218:219]
	v_mul_f64 v[218:219], v[216:217], v[206:207]
	v_fma_f64 v[204:205], -v[204:205], v[218:219], v[216:217]
	v_div_fmas_f64 v[204:205], v[204:205], v[206:207], v[218:219]
	v_div_fixup_f64 v[206:207], v[204:205], v[212:213], v[214:215]
	v_fmac_f64_e32 v[212:213], v[214:215], v[206:207]
	v_div_scale_f64 v[204:205], s[10:11], v[212:213], v[212:213], 1.0
	v_rcp_f64_e32 v[214:215], v[204:205]
	s_nop 0
	v_fma_f64 v[216:217], -v[204:205], v[214:215], 1.0
	v_fmac_f64_e32 v[214:215], v[214:215], v[216:217]
	v_fma_f64 v[216:217], -v[204:205], v[214:215], 1.0
	v_fmac_f64_e32 v[214:215], v[214:215], v[216:217]
	v_div_scale_f64 v[216:217], vcc, 1.0, v[212:213], 1.0
	v_mul_f64 v[218:219], v[216:217], v[214:215]
	v_fma_f64 v[204:205], -v[204:205], v[218:219], v[216:217]
	s_nop 1
	v_div_fmas_f64 v[204:205], v[204:205], v[214:215], v[218:219]
	v_div_fixup_f64 v[204:205], v[204:205], v[212:213], 1.0
	v_mul_f64 v[206:207], v[206:207], -v[204:205]
.LBB105_205:
	s_or_b64 exec, exec, s[2:3]
	ds_write2_b64 v201, v[204:205], v[206:207] offset1:1
.LBB105_206:
	s_or_b64 exec, exec, s[4:5]
	s_waitcnt lgkmcnt(0)
	s_barrier
	ds_read2_b64 v[192:195], v201 offset1:1
	v_cmp_lt_u32_e32 vcc, 22, v200
	s_waitcnt lgkmcnt(0)
	scratch_store_dwordx4 off, v[192:195], off offset:824 ; 16-byte Folded Spill
	s_and_saveexec_b64 s[2:3], vcc
	s_cbranch_execz .LBB105_208
; %bb.207:
	scratch_load_dwordx4 v[192:195], off, off offset:824 ; 16-byte Folded Reload
	s_waitcnt vmcnt(0)
	v_mul_f64 v[204:205], v[194:195], v[118:119]
	v_fma_f64 v[212:213], v[192:193], v[116:117], -v[204:205]
	ds_read2_b64 v[204:207], v202 offset0:46 offset1:47
	v_mul_f64 v[118:119], v[192:193], v[118:119]
	v_fmac_f64_e32 v[118:119], v[194:195], v[116:117]
	s_waitcnt lgkmcnt(0)
	v_mul_f64 v[116:117], v[206:207], v[118:119]
	v_fma_f64 v[116:117], v[204:205], v[212:213], -v[116:117]
	v_mul_f64 v[204:205], v[204:205], v[118:119]
	v_fmac_f64_e32 v[204:205], v[206:207], v[212:213]
	v_add_f64 v[114:115], v[114:115], -v[204:205]
	ds_read2_b64 v[204:207], v202 offset0:48 offset1:49
	v_add_f64 v[112:113], v[112:113], -v[116:117]
	s_waitcnt lgkmcnt(0)
	v_mul_f64 v[116:117], v[206:207], v[118:119]
	v_fma_f64 v[116:117], v[204:205], v[212:213], -v[116:117]
	v_mul_f64 v[204:205], v[204:205], v[118:119]
	v_fmac_f64_e32 v[204:205], v[206:207], v[212:213]
	v_add_f64 v[110:111], v[110:111], -v[204:205]
	ds_read2_b64 v[204:207], v202 offset0:50 offset1:51
	v_add_f64 v[108:109], v[108:109], -v[116:117]
	;; [unrolled: 8-line block ×29, first 2 shown]
	s_waitcnt lgkmcnt(0)
	v_mul_f64 v[116:117], v[206:207], v[118:119]
	v_fma_f64 v[116:117], v[204:205], v[212:213], -v[116:117]
	v_mul_f64 v[204:205], v[204:205], v[118:119]
	v_fmac_f64_e32 v[204:205], v[206:207], v[212:213]
	v_add_f64 v[208:209], v[208:209], -v[116:117]
	v_add_f64 v[210:211], v[210:211], -v[204:205]
	v_mov_b64_e32 v[116:117], v[212:213]
.LBB105_208:
	s_or_b64 exec, exec, s[2:3]
	v_cmp_eq_u32_e32 vcc, 23, v200
	s_waitcnt vmcnt(63) expcnt(7) lgkmcnt(15)
	s_barrier
	s_and_saveexec_b64 s[4:5], vcc
	s_cbranch_execz .LBB105_215
; %bb.209:
	ds_write2_b64 v201, v[112:113], v[114:115] offset1:1
	ds_write2_b64 v202, v[108:109], v[110:111] offset0:48 offset1:49
	ds_write2_b64 v202, v[104:105], v[106:107] offset0:50 offset1:51
	;; [unrolled: 1-line block ×12, first 2 shown]
	s_waitcnt vmcnt(54)
	ds_write2_b64 v202, v[60:61], v[62:63] offset0:72 offset1:73
	s_waitcnt vmcnt(53)
	ds_write2_b64 v202, v[56:57], v[58:59] offset0:74 offset1:75
	;; [unrolled: 2-line block ×13, first 2 shown]
	ds_write2_b64 v202, v[8:9], v[10:11] offset0:98 offset1:99
	ds_write2_b64 v202, v[4:5], v[6:7] offset0:100 offset1:101
	s_waitcnt vmcnt(41)
	ds_write2_b64 v202, v[0:1], v[2:3] offset0:102 offset1:103
	s_waitcnt vmcnt(38)
	ds_write2_b64 v202, v[208:209], v[210:211] offset0:104 offset1:105
	ds_read2_b64 v[212:215], v201 offset1:1
	s_waitcnt lgkmcnt(0)
	v_cmp_neq_f64_e32 vcc, 0, v[212:213]
	v_cmp_neq_f64_e64 s[2:3], 0, v[214:215]
	s_or_b64 s[2:3], vcc, s[2:3]
	s_and_b64 exec, exec, s[2:3]
	s_cbranch_execz .LBB105_215
; %bb.210:
	v_cmp_ngt_f64_e64 s[2:3], |v[212:213]|, |v[214:215]|
                                        ; implicit-def: $vgpr204_vgpr205
	s_and_saveexec_b64 s[10:11], s[2:3]
	s_xor_b64 s[2:3], exec, s[10:11]
                                        ; implicit-def: $vgpr206_vgpr207
	s_cbranch_execz .LBB105_212
; %bb.211:
	v_div_scale_f64 v[204:205], s[10:11], v[214:215], v[214:215], v[212:213]
	v_rcp_f64_e32 v[206:207], v[204:205]
	v_div_scale_f64 v[216:217], vcc, v[212:213], v[214:215], v[212:213]
	v_fma_f64 v[218:219], -v[204:205], v[206:207], 1.0
	v_fmac_f64_e32 v[206:207], v[206:207], v[218:219]
	v_fma_f64 v[218:219], -v[204:205], v[206:207], 1.0
	v_fmac_f64_e32 v[206:207], v[206:207], v[218:219]
	v_mul_f64 v[218:219], v[216:217], v[206:207]
	v_fma_f64 v[204:205], -v[204:205], v[218:219], v[216:217]
	v_div_fmas_f64 v[204:205], v[204:205], v[206:207], v[218:219]
	v_div_fixup_f64 v[204:205], v[204:205], v[214:215], v[212:213]
	v_fmac_f64_e32 v[214:215], v[212:213], v[204:205]
	v_div_scale_f64 v[206:207], s[10:11], v[214:215], v[214:215], 1.0
	v_rcp_f64_e32 v[212:213], v[206:207]
	s_nop 0
	v_fma_f64 v[216:217], -v[206:207], v[212:213], 1.0
	v_fmac_f64_e32 v[212:213], v[212:213], v[216:217]
	v_fma_f64 v[216:217], -v[206:207], v[212:213], 1.0
	v_fmac_f64_e32 v[212:213], v[212:213], v[216:217]
	v_div_scale_f64 v[216:217], vcc, 1.0, v[214:215], 1.0
	v_mul_f64 v[218:219], v[216:217], v[212:213]
	v_fma_f64 v[206:207], -v[206:207], v[218:219], v[216:217]
	s_nop 1
	v_div_fmas_f64 v[206:207], v[206:207], v[212:213], v[218:219]
	v_div_fixup_f64 v[206:207], v[206:207], v[214:215], 1.0
	v_mul_f64 v[204:205], v[204:205], v[206:207]
	v_xor_b32_e32 v207, 0x80000000, v207
                                        ; implicit-def: $vgpr212_vgpr213
.LBB105_212:
	s_andn2_saveexec_b64 s[2:3], s[2:3]
	s_cbranch_execz .LBB105_214
; %bb.213:
	v_div_scale_f64 v[204:205], s[10:11], v[212:213], v[212:213], v[214:215]
	v_rcp_f64_e32 v[206:207], v[204:205]
	v_div_scale_f64 v[216:217], vcc, v[214:215], v[212:213], v[214:215]
	v_fma_f64 v[218:219], -v[204:205], v[206:207], 1.0
	v_fmac_f64_e32 v[206:207], v[206:207], v[218:219]
	v_fma_f64 v[218:219], -v[204:205], v[206:207], 1.0
	v_fmac_f64_e32 v[206:207], v[206:207], v[218:219]
	v_mul_f64 v[218:219], v[216:217], v[206:207]
	v_fma_f64 v[204:205], -v[204:205], v[218:219], v[216:217]
	v_div_fmas_f64 v[204:205], v[204:205], v[206:207], v[218:219]
	v_div_fixup_f64 v[206:207], v[204:205], v[212:213], v[214:215]
	v_fmac_f64_e32 v[212:213], v[214:215], v[206:207]
	v_div_scale_f64 v[204:205], s[10:11], v[212:213], v[212:213], 1.0
	v_rcp_f64_e32 v[214:215], v[204:205]
	s_nop 0
	v_fma_f64 v[216:217], -v[204:205], v[214:215], 1.0
	v_fmac_f64_e32 v[214:215], v[214:215], v[216:217]
	v_fma_f64 v[216:217], -v[204:205], v[214:215], 1.0
	v_fmac_f64_e32 v[214:215], v[214:215], v[216:217]
	v_div_scale_f64 v[216:217], vcc, 1.0, v[212:213], 1.0
	v_mul_f64 v[218:219], v[216:217], v[214:215]
	v_fma_f64 v[204:205], -v[204:205], v[218:219], v[216:217]
	s_nop 1
	v_div_fmas_f64 v[204:205], v[204:205], v[214:215], v[218:219]
	v_div_fixup_f64 v[204:205], v[204:205], v[212:213], 1.0
	v_mul_f64 v[206:207], v[206:207], -v[204:205]
.LBB105_214:
	s_or_b64 exec, exec, s[2:3]
	ds_write2_b64 v201, v[204:205], v[206:207] offset1:1
.LBB105_215:
	s_or_b64 exec, exec, s[4:5]
	s_waitcnt lgkmcnt(0)
	s_barrier
	ds_read2_b64 v[192:195], v201 offset1:1
	v_cmp_lt_u32_e32 vcc, 23, v200
	s_waitcnt lgkmcnt(0)
	scratch_store_dwordx4 off, v[192:195], off offset:840 ; 16-byte Folded Spill
	s_and_saveexec_b64 s[2:3], vcc
	s_cbranch_execz .LBB105_217
; %bb.216:
	scratch_load_dwordx4 v[192:195], off, off offset:840 ; 16-byte Folded Reload
	s_waitcnt vmcnt(0)
	v_mul_f64 v[204:205], v[194:195], v[114:115]
	v_fma_f64 v[212:213], v[192:193], v[112:113], -v[204:205]
	ds_read2_b64 v[204:207], v202 offset0:48 offset1:49
	v_mul_f64 v[114:115], v[192:193], v[114:115]
	v_fmac_f64_e32 v[114:115], v[194:195], v[112:113]
	s_waitcnt lgkmcnt(0)
	v_mul_f64 v[112:113], v[206:207], v[114:115]
	v_fma_f64 v[112:113], v[204:205], v[212:213], -v[112:113]
	v_mul_f64 v[204:205], v[204:205], v[114:115]
	v_fmac_f64_e32 v[204:205], v[206:207], v[212:213]
	v_add_f64 v[110:111], v[110:111], -v[204:205]
	ds_read2_b64 v[204:207], v202 offset0:50 offset1:51
	v_add_f64 v[108:109], v[108:109], -v[112:113]
	s_waitcnt lgkmcnt(0)
	v_mul_f64 v[112:113], v[206:207], v[114:115]
	v_fma_f64 v[112:113], v[204:205], v[212:213], -v[112:113]
	v_mul_f64 v[204:205], v[204:205], v[114:115]
	v_fmac_f64_e32 v[204:205], v[206:207], v[212:213]
	v_add_f64 v[106:107], v[106:107], -v[204:205]
	ds_read2_b64 v[204:207], v202 offset0:52 offset1:53
	v_add_f64 v[104:105], v[104:105], -v[112:113]
	;; [unrolled: 8-line block ×28, first 2 shown]
	s_waitcnt lgkmcnt(0)
	v_mul_f64 v[112:113], v[206:207], v[114:115]
	v_fma_f64 v[112:113], v[204:205], v[212:213], -v[112:113]
	v_mul_f64 v[204:205], v[204:205], v[114:115]
	v_fmac_f64_e32 v[204:205], v[206:207], v[212:213]
	v_add_f64 v[208:209], v[208:209], -v[112:113]
	v_add_f64 v[210:211], v[210:211], -v[204:205]
	v_mov_b64_e32 v[112:113], v[212:213]
.LBB105_217:
	s_or_b64 exec, exec, s[2:3]
	v_cmp_eq_u32_e32 vcc, 24, v200
	s_waitcnt vmcnt(63) expcnt(7) lgkmcnt(15)
	s_barrier
	s_and_saveexec_b64 s[4:5], vcc
	s_cbranch_execz .LBB105_224
; %bb.218:
	ds_write2_b64 v201, v[108:109], v[110:111] offset1:1
	ds_write2_b64 v202, v[104:105], v[106:107] offset0:50 offset1:51
	ds_write2_b64 v202, v[100:101], v[102:103] offset0:52 offset1:53
	;; [unrolled: 1-line block ×11, first 2 shown]
	s_waitcnt vmcnt(55)
	ds_write2_b64 v202, v[60:61], v[62:63] offset0:72 offset1:73
	s_waitcnt vmcnt(54)
	ds_write2_b64 v202, v[56:57], v[58:59] offset0:74 offset1:75
	;; [unrolled: 2-line block ×13, first 2 shown]
	ds_write2_b64 v202, v[8:9], v[10:11] offset0:98 offset1:99
	ds_write2_b64 v202, v[4:5], v[6:7] offset0:100 offset1:101
	s_waitcnt vmcnt(42)
	ds_write2_b64 v202, v[0:1], v[2:3] offset0:102 offset1:103
	s_waitcnt vmcnt(39)
	ds_write2_b64 v202, v[208:209], v[210:211] offset0:104 offset1:105
	ds_read2_b64 v[212:215], v201 offset1:1
	s_waitcnt lgkmcnt(0)
	v_cmp_neq_f64_e32 vcc, 0, v[212:213]
	v_cmp_neq_f64_e64 s[2:3], 0, v[214:215]
	s_or_b64 s[2:3], vcc, s[2:3]
	s_and_b64 exec, exec, s[2:3]
	s_cbranch_execz .LBB105_224
; %bb.219:
	v_cmp_ngt_f64_e64 s[2:3], |v[212:213]|, |v[214:215]|
                                        ; implicit-def: $vgpr204_vgpr205
	s_and_saveexec_b64 s[10:11], s[2:3]
	s_xor_b64 s[2:3], exec, s[10:11]
                                        ; implicit-def: $vgpr206_vgpr207
	s_cbranch_execz .LBB105_221
; %bb.220:
	v_div_scale_f64 v[204:205], s[10:11], v[214:215], v[214:215], v[212:213]
	v_rcp_f64_e32 v[206:207], v[204:205]
	v_div_scale_f64 v[216:217], vcc, v[212:213], v[214:215], v[212:213]
	v_fma_f64 v[218:219], -v[204:205], v[206:207], 1.0
	v_fmac_f64_e32 v[206:207], v[206:207], v[218:219]
	v_fma_f64 v[218:219], -v[204:205], v[206:207], 1.0
	v_fmac_f64_e32 v[206:207], v[206:207], v[218:219]
	v_mul_f64 v[218:219], v[216:217], v[206:207]
	v_fma_f64 v[204:205], -v[204:205], v[218:219], v[216:217]
	v_div_fmas_f64 v[204:205], v[204:205], v[206:207], v[218:219]
	v_div_fixup_f64 v[204:205], v[204:205], v[214:215], v[212:213]
	v_fmac_f64_e32 v[214:215], v[212:213], v[204:205]
	v_div_scale_f64 v[206:207], s[10:11], v[214:215], v[214:215], 1.0
	v_rcp_f64_e32 v[212:213], v[206:207]
	s_nop 0
	v_fma_f64 v[216:217], -v[206:207], v[212:213], 1.0
	v_fmac_f64_e32 v[212:213], v[212:213], v[216:217]
	v_fma_f64 v[216:217], -v[206:207], v[212:213], 1.0
	v_fmac_f64_e32 v[212:213], v[212:213], v[216:217]
	v_div_scale_f64 v[216:217], vcc, 1.0, v[214:215], 1.0
	v_mul_f64 v[218:219], v[216:217], v[212:213]
	v_fma_f64 v[206:207], -v[206:207], v[218:219], v[216:217]
	s_nop 1
	v_div_fmas_f64 v[206:207], v[206:207], v[212:213], v[218:219]
	v_div_fixup_f64 v[206:207], v[206:207], v[214:215], 1.0
	v_mul_f64 v[204:205], v[204:205], v[206:207]
	v_xor_b32_e32 v207, 0x80000000, v207
                                        ; implicit-def: $vgpr212_vgpr213
.LBB105_221:
	s_andn2_saveexec_b64 s[2:3], s[2:3]
	s_cbranch_execz .LBB105_223
; %bb.222:
	v_div_scale_f64 v[204:205], s[10:11], v[212:213], v[212:213], v[214:215]
	v_rcp_f64_e32 v[206:207], v[204:205]
	v_div_scale_f64 v[216:217], vcc, v[214:215], v[212:213], v[214:215]
	v_fma_f64 v[218:219], -v[204:205], v[206:207], 1.0
	v_fmac_f64_e32 v[206:207], v[206:207], v[218:219]
	v_fma_f64 v[218:219], -v[204:205], v[206:207], 1.0
	v_fmac_f64_e32 v[206:207], v[206:207], v[218:219]
	v_mul_f64 v[218:219], v[216:217], v[206:207]
	v_fma_f64 v[204:205], -v[204:205], v[218:219], v[216:217]
	v_div_fmas_f64 v[204:205], v[204:205], v[206:207], v[218:219]
	v_div_fixup_f64 v[206:207], v[204:205], v[212:213], v[214:215]
	v_fmac_f64_e32 v[212:213], v[214:215], v[206:207]
	v_div_scale_f64 v[204:205], s[10:11], v[212:213], v[212:213], 1.0
	v_rcp_f64_e32 v[214:215], v[204:205]
	s_nop 0
	v_fma_f64 v[216:217], -v[204:205], v[214:215], 1.0
	v_fmac_f64_e32 v[214:215], v[214:215], v[216:217]
	v_fma_f64 v[216:217], -v[204:205], v[214:215], 1.0
	v_fmac_f64_e32 v[214:215], v[214:215], v[216:217]
	v_div_scale_f64 v[216:217], vcc, 1.0, v[212:213], 1.0
	v_mul_f64 v[218:219], v[216:217], v[214:215]
	v_fma_f64 v[204:205], -v[204:205], v[218:219], v[216:217]
	s_nop 1
	v_div_fmas_f64 v[204:205], v[204:205], v[214:215], v[218:219]
	v_div_fixup_f64 v[204:205], v[204:205], v[212:213], 1.0
	v_mul_f64 v[206:207], v[206:207], -v[204:205]
.LBB105_223:
	s_or_b64 exec, exec, s[2:3]
	ds_write2_b64 v201, v[204:205], v[206:207] offset1:1
.LBB105_224:
	s_or_b64 exec, exec, s[4:5]
	s_waitcnt lgkmcnt(0)
	s_barrier
	ds_read2_b64 v[192:195], v201 offset1:1
	v_cmp_lt_u32_e32 vcc, 24, v200
	s_waitcnt lgkmcnt(0)
	scratch_store_dwordx4 off, v[192:195], off offset:856 ; 16-byte Folded Spill
	s_and_saveexec_b64 s[2:3], vcc
	s_cbranch_execz .LBB105_226
; %bb.225:
	scratch_load_dwordx4 v[192:195], off, off offset:856 ; 16-byte Folded Reload
	s_waitcnt vmcnt(0)
	v_mul_f64 v[204:205], v[194:195], v[110:111]
	v_fma_f64 v[212:213], v[192:193], v[108:109], -v[204:205]
	ds_read2_b64 v[204:207], v202 offset0:50 offset1:51
	v_mul_f64 v[110:111], v[192:193], v[110:111]
	v_fmac_f64_e32 v[110:111], v[194:195], v[108:109]
	s_waitcnt lgkmcnt(0)
	v_mul_f64 v[108:109], v[206:207], v[110:111]
	v_fma_f64 v[108:109], v[204:205], v[212:213], -v[108:109]
	v_mul_f64 v[204:205], v[204:205], v[110:111]
	v_fmac_f64_e32 v[204:205], v[206:207], v[212:213]
	v_add_f64 v[106:107], v[106:107], -v[204:205]
	ds_read2_b64 v[204:207], v202 offset0:52 offset1:53
	v_add_f64 v[104:105], v[104:105], -v[108:109]
	s_waitcnt lgkmcnt(0)
	v_mul_f64 v[108:109], v[206:207], v[110:111]
	v_fma_f64 v[108:109], v[204:205], v[212:213], -v[108:109]
	v_mul_f64 v[204:205], v[204:205], v[110:111]
	v_fmac_f64_e32 v[204:205], v[206:207], v[212:213]
	v_add_f64 v[102:103], v[102:103], -v[204:205]
	ds_read2_b64 v[204:207], v202 offset0:54 offset1:55
	v_add_f64 v[100:101], v[100:101], -v[108:109]
	;; [unrolled: 8-line block ×27, first 2 shown]
	s_waitcnt lgkmcnt(0)
	v_mul_f64 v[108:109], v[206:207], v[110:111]
	v_fma_f64 v[108:109], v[204:205], v[212:213], -v[108:109]
	v_mul_f64 v[204:205], v[204:205], v[110:111]
	v_fmac_f64_e32 v[204:205], v[206:207], v[212:213]
	v_add_f64 v[208:209], v[208:209], -v[108:109]
	v_add_f64 v[210:211], v[210:211], -v[204:205]
	v_mov_b64_e32 v[108:109], v[212:213]
.LBB105_226:
	s_or_b64 exec, exec, s[2:3]
	v_cmp_eq_u32_e32 vcc, 25, v200
	s_waitcnt vmcnt(63) expcnt(7) lgkmcnt(15)
	s_barrier
	s_and_saveexec_b64 s[4:5], vcc
	s_cbranch_execz .LBB105_233
; %bb.227:
	ds_write2_b64 v201, v[104:105], v[106:107] offset1:1
	ds_write2_b64 v202, v[100:101], v[102:103] offset0:52 offset1:53
	ds_write2_b64 v202, v[96:97], v[98:99] offset0:54 offset1:55
	;; [unrolled: 1-line block ×10, first 2 shown]
	s_waitcnt vmcnt(56)
	ds_write2_b64 v202, v[60:61], v[62:63] offset0:72 offset1:73
	s_waitcnt vmcnt(55)
	ds_write2_b64 v202, v[56:57], v[58:59] offset0:74 offset1:75
	;; [unrolled: 2-line block ×13, first 2 shown]
	ds_write2_b64 v202, v[8:9], v[10:11] offset0:98 offset1:99
	ds_write2_b64 v202, v[4:5], v[6:7] offset0:100 offset1:101
	s_waitcnt vmcnt(43)
	ds_write2_b64 v202, v[0:1], v[2:3] offset0:102 offset1:103
	s_waitcnt vmcnt(40)
	ds_write2_b64 v202, v[208:209], v[210:211] offset0:104 offset1:105
	ds_read2_b64 v[212:215], v201 offset1:1
	s_waitcnt lgkmcnt(0)
	v_cmp_neq_f64_e32 vcc, 0, v[212:213]
	v_cmp_neq_f64_e64 s[2:3], 0, v[214:215]
	s_or_b64 s[2:3], vcc, s[2:3]
	s_and_b64 exec, exec, s[2:3]
	s_cbranch_execz .LBB105_233
; %bb.228:
	v_cmp_ngt_f64_e64 s[2:3], |v[212:213]|, |v[214:215]|
                                        ; implicit-def: $vgpr204_vgpr205
	s_and_saveexec_b64 s[10:11], s[2:3]
	s_xor_b64 s[2:3], exec, s[10:11]
                                        ; implicit-def: $vgpr206_vgpr207
	s_cbranch_execz .LBB105_230
; %bb.229:
	v_div_scale_f64 v[204:205], s[10:11], v[214:215], v[214:215], v[212:213]
	v_rcp_f64_e32 v[206:207], v[204:205]
	v_div_scale_f64 v[216:217], vcc, v[212:213], v[214:215], v[212:213]
	v_fma_f64 v[218:219], -v[204:205], v[206:207], 1.0
	v_fmac_f64_e32 v[206:207], v[206:207], v[218:219]
	v_fma_f64 v[218:219], -v[204:205], v[206:207], 1.0
	v_fmac_f64_e32 v[206:207], v[206:207], v[218:219]
	v_mul_f64 v[218:219], v[216:217], v[206:207]
	v_fma_f64 v[204:205], -v[204:205], v[218:219], v[216:217]
	v_div_fmas_f64 v[204:205], v[204:205], v[206:207], v[218:219]
	v_div_fixup_f64 v[204:205], v[204:205], v[214:215], v[212:213]
	v_fmac_f64_e32 v[214:215], v[212:213], v[204:205]
	v_div_scale_f64 v[206:207], s[10:11], v[214:215], v[214:215], 1.0
	v_rcp_f64_e32 v[212:213], v[206:207]
	s_nop 0
	v_fma_f64 v[216:217], -v[206:207], v[212:213], 1.0
	v_fmac_f64_e32 v[212:213], v[212:213], v[216:217]
	v_fma_f64 v[216:217], -v[206:207], v[212:213], 1.0
	v_fmac_f64_e32 v[212:213], v[212:213], v[216:217]
	v_div_scale_f64 v[216:217], vcc, 1.0, v[214:215], 1.0
	v_mul_f64 v[218:219], v[216:217], v[212:213]
	v_fma_f64 v[206:207], -v[206:207], v[218:219], v[216:217]
	s_nop 1
	v_div_fmas_f64 v[206:207], v[206:207], v[212:213], v[218:219]
	v_div_fixup_f64 v[206:207], v[206:207], v[214:215], 1.0
	v_mul_f64 v[204:205], v[204:205], v[206:207]
	v_xor_b32_e32 v207, 0x80000000, v207
                                        ; implicit-def: $vgpr212_vgpr213
.LBB105_230:
	s_andn2_saveexec_b64 s[2:3], s[2:3]
	s_cbranch_execz .LBB105_232
; %bb.231:
	v_div_scale_f64 v[204:205], s[10:11], v[212:213], v[212:213], v[214:215]
	v_rcp_f64_e32 v[206:207], v[204:205]
	v_div_scale_f64 v[216:217], vcc, v[214:215], v[212:213], v[214:215]
	v_fma_f64 v[218:219], -v[204:205], v[206:207], 1.0
	v_fmac_f64_e32 v[206:207], v[206:207], v[218:219]
	v_fma_f64 v[218:219], -v[204:205], v[206:207], 1.0
	v_fmac_f64_e32 v[206:207], v[206:207], v[218:219]
	v_mul_f64 v[218:219], v[216:217], v[206:207]
	v_fma_f64 v[204:205], -v[204:205], v[218:219], v[216:217]
	v_div_fmas_f64 v[204:205], v[204:205], v[206:207], v[218:219]
	v_div_fixup_f64 v[206:207], v[204:205], v[212:213], v[214:215]
	v_fmac_f64_e32 v[212:213], v[214:215], v[206:207]
	v_div_scale_f64 v[204:205], s[10:11], v[212:213], v[212:213], 1.0
	v_rcp_f64_e32 v[214:215], v[204:205]
	s_nop 0
	v_fma_f64 v[216:217], -v[204:205], v[214:215], 1.0
	v_fmac_f64_e32 v[214:215], v[214:215], v[216:217]
	v_fma_f64 v[216:217], -v[204:205], v[214:215], 1.0
	v_fmac_f64_e32 v[214:215], v[214:215], v[216:217]
	v_div_scale_f64 v[216:217], vcc, 1.0, v[212:213], 1.0
	v_mul_f64 v[218:219], v[216:217], v[214:215]
	v_fma_f64 v[204:205], -v[204:205], v[218:219], v[216:217]
	s_nop 1
	v_div_fmas_f64 v[204:205], v[204:205], v[214:215], v[218:219]
	v_div_fixup_f64 v[204:205], v[204:205], v[212:213], 1.0
	v_mul_f64 v[206:207], v[206:207], -v[204:205]
.LBB105_232:
	s_or_b64 exec, exec, s[2:3]
	ds_write2_b64 v201, v[204:205], v[206:207] offset1:1
.LBB105_233:
	s_or_b64 exec, exec, s[4:5]
	s_waitcnt lgkmcnt(0)
	s_barrier
	ds_read2_b64 v[192:195], v201 offset1:1
	v_cmp_lt_u32_e32 vcc, 25, v200
	s_waitcnt lgkmcnt(0)
	scratch_store_dwordx4 off, v[192:195], off offset:872 ; 16-byte Folded Spill
	s_and_saveexec_b64 s[2:3], vcc
	s_cbranch_execz .LBB105_235
; %bb.234:
	scratch_load_dwordx4 v[192:195], off, off offset:872 ; 16-byte Folded Reload
	s_waitcnt vmcnt(0)
	v_mul_f64 v[204:205], v[194:195], v[106:107]
	v_fma_f64 v[212:213], v[192:193], v[104:105], -v[204:205]
	ds_read2_b64 v[204:207], v202 offset0:52 offset1:53
	v_mul_f64 v[106:107], v[192:193], v[106:107]
	v_fmac_f64_e32 v[106:107], v[194:195], v[104:105]
	s_waitcnt lgkmcnt(0)
	v_mul_f64 v[104:105], v[206:207], v[106:107]
	v_fma_f64 v[104:105], v[204:205], v[212:213], -v[104:105]
	v_mul_f64 v[204:205], v[204:205], v[106:107]
	v_fmac_f64_e32 v[204:205], v[206:207], v[212:213]
	v_add_f64 v[102:103], v[102:103], -v[204:205]
	ds_read2_b64 v[204:207], v202 offset0:54 offset1:55
	v_add_f64 v[100:101], v[100:101], -v[104:105]
	s_waitcnt lgkmcnt(0)
	v_mul_f64 v[104:105], v[206:207], v[106:107]
	v_fma_f64 v[104:105], v[204:205], v[212:213], -v[104:105]
	v_mul_f64 v[204:205], v[204:205], v[106:107]
	v_fmac_f64_e32 v[204:205], v[206:207], v[212:213]
	v_add_f64 v[98:99], v[98:99], -v[204:205]
	ds_read2_b64 v[204:207], v202 offset0:56 offset1:57
	v_add_f64 v[96:97], v[96:97], -v[104:105]
	;; [unrolled: 8-line block ×26, first 2 shown]
	s_waitcnt lgkmcnt(0)
	v_mul_f64 v[104:105], v[206:207], v[106:107]
	v_fma_f64 v[104:105], v[204:205], v[212:213], -v[104:105]
	v_mul_f64 v[204:205], v[204:205], v[106:107]
	v_fmac_f64_e32 v[204:205], v[206:207], v[212:213]
	v_add_f64 v[208:209], v[208:209], -v[104:105]
	v_add_f64 v[210:211], v[210:211], -v[204:205]
	v_mov_b64_e32 v[104:105], v[212:213]
.LBB105_235:
	s_or_b64 exec, exec, s[2:3]
	v_cmp_eq_u32_e32 vcc, 26, v200
	s_waitcnt vmcnt(63) expcnt(7) lgkmcnt(15)
	s_barrier
	s_and_saveexec_b64 s[4:5], vcc
	s_cbranch_execz .LBB105_242
; %bb.236:
	ds_write2_b64 v201, v[100:101], v[102:103] offset1:1
	ds_write2_b64 v202, v[96:97], v[98:99] offset0:54 offset1:55
	ds_write2_b64 v202, v[92:93], v[94:95] offset0:56 offset1:57
	;; [unrolled: 1-line block ×9, first 2 shown]
	s_waitcnt vmcnt(57)
	ds_write2_b64 v202, v[60:61], v[62:63] offset0:72 offset1:73
	s_waitcnt vmcnt(56)
	ds_write2_b64 v202, v[56:57], v[58:59] offset0:74 offset1:75
	;; [unrolled: 2-line block ×13, first 2 shown]
	ds_write2_b64 v202, v[8:9], v[10:11] offset0:98 offset1:99
	ds_write2_b64 v202, v[4:5], v[6:7] offset0:100 offset1:101
	s_waitcnt vmcnt(44)
	ds_write2_b64 v202, v[0:1], v[2:3] offset0:102 offset1:103
	s_waitcnt vmcnt(41)
	ds_write2_b64 v202, v[208:209], v[210:211] offset0:104 offset1:105
	ds_read2_b64 v[212:215], v201 offset1:1
	s_waitcnt lgkmcnt(0)
	v_cmp_neq_f64_e32 vcc, 0, v[212:213]
	v_cmp_neq_f64_e64 s[2:3], 0, v[214:215]
	s_or_b64 s[2:3], vcc, s[2:3]
	s_and_b64 exec, exec, s[2:3]
	s_cbranch_execz .LBB105_242
; %bb.237:
	v_cmp_ngt_f64_e64 s[2:3], |v[212:213]|, |v[214:215]|
                                        ; implicit-def: $vgpr204_vgpr205
	s_and_saveexec_b64 s[10:11], s[2:3]
	s_xor_b64 s[2:3], exec, s[10:11]
                                        ; implicit-def: $vgpr206_vgpr207
	s_cbranch_execz .LBB105_239
; %bb.238:
	v_div_scale_f64 v[204:205], s[10:11], v[214:215], v[214:215], v[212:213]
	v_rcp_f64_e32 v[206:207], v[204:205]
	v_div_scale_f64 v[216:217], vcc, v[212:213], v[214:215], v[212:213]
	v_fma_f64 v[218:219], -v[204:205], v[206:207], 1.0
	v_fmac_f64_e32 v[206:207], v[206:207], v[218:219]
	v_fma_f64 v[218:219], -v[204:205], v[206:207], 1.0
	v_fmac_f64_e32 v[206:207], v[206:207], v[218:219]
	v_mul_f64 v[218:219], v[216:217], v[206:207]
	v_fma_f64 v[204:205], -v[204:205], v[218:219], v[216:217]
	v_div_fmas_f64 v[204:205], v[204:205], v[206:207], v[218:219]
	v_div_fixup_f64 v[204:205], v[204:205], v[214:215], v[212:213]
	v_fmac_f64_e32 v[214:215], v[212:213], v[204:205]
	v_div_scale_f64 v[206:207], s[10:11], v[214:215], v[214:215], 1.0
	v_rcp_f64_e32 v[212:213], v[206:207]
	s_nop 0
	v_fma_f64 v[216:217], -v[206:207], v[212:213], 1.0
	v_fmac_f64_e32 v[212:213], v[212:213], v[216:217]
	v_fma_f64 v[216:217], -v[206:207], v[212:213], 1.0
	v_fmac_f64_e32 v[212:213], v[212:213], v[216:217]
	v_div_scale_f64 v[216:217], vcc, 1.0, v[214:215], 1.0
	v_mul_f64 v[218:219], v[216:217], v[212:213]
	v_fma_f64 v[206:207], -v[206:207], v[218:219], v[216:217]
	s_nop 1
	v_div_fmas_f64 v[206:207], v[206:207], v[212:213], v[218:219]
	v_div_fixup_f64 v[206:207], v[206:207], v[214:215], 1.0
	v_mul_f64 v[204:205], v[204:205], v[206:207]
	v_xor_b32_e32 v207, 0x80000000, v207
                                        ; implicit-def: $vgpr212_vgpr213
.LBB105_239:
	s_andn2_saveexec_b64 s[2:3], s[2:3]
	s_cbranch_execz .LBB105_241
; %bb.240:
	v_div_scale_f64 v[204:205], s[10:11], v[212:213], v[212:213], v[214:215]
	v_rcp_f64_e32 v[206:207], v[204:205]
	v_div_scale_f64 v[216:217], vcc, v[214:215], v[212:213], v[214:215]
	v_fma_f64 v[218:219], -v[204:205], v[206:207], 1.0
	v_fmac_f64_e32 v[206:207], v[206:207], v[218:219]
	v_fma_f64 v[218:219], -v[204:205], v[206:207], 1.0
	v_fmac_f64_e32 v[206:207], v[206:207], v[218:219]
	v_mul_f64 v[218:219], v[216:217], v[206:207]
	v_fma_f64 v[204:205], -v[204:205], v[218:219], v[216:217]
	v_div_fmas_f64 v[204:205], v[204:205], v[206:207], v[218:219]
	v_div_fixup_f64 v[206:207], v[204:205], v[212:213], v[214:215]
	v_fmac_f64_e32 v[212:213], v[214:215], v[206:207]
	v_div_scale_f64 v[204:205], s[10:11], v[212:213], v[212:213], 1.0
	v_rcp_f64_e32 v[214:215], v[204:205]
	s_nop 0
	v_fma_f64 v[216:217], -v[204:205], v[214:215], 1.0
	v_fmac_f64_e32 v[214:215], v[214:215], v[216:217]
	v_fma_f64 v[216:217], -v[204:205], v[214:215], 1.0
	v_fmac_f64_e32 v[214:215], v[214:215], v[216:217]
	v_div_scale_f64 v[216:217], vcc, 1.0, v[212:213], 1.0
	v_mul_f64 v[218:219], v[216:217], v[214:215]
	v_fma_f64 v[204:205], -v[204:205], v[218:219], v[216:217]
	s_nop 1
	v_div_fmas_f64 v[204:205], v[204:205], v[214:215], v[218:219]
	v_div_fixup_f64 v[204:205], v[204:205], v[212:213], 1.0
	v_mul_f64 v[206:207], v[206:207], -v[204:205]
.LBB105_241:
	s_or_b64 exec, exec, s[2:3]
	ds_write2_b64 v201, v[204:205], v[206:207] offset1:1
.LBB105_242:
	s_or_b64 exec, exec, s[4:5]
	s_waitcnt lgkmcnt(0)
	s_barrier
	ds_read2_b64 v[192:195], v201 offset1:1
	v_cmp_lt_u32_e32 vcc, 26, v200
	s_waitcnt lgkmcnt(0)
	scratch_store_dwordx4 off, v[192:195], off offset:888 ; 16-byte Folded Spill
	s_and_saveexec_b64 s[2:3], vcc
	s_cbranch_execz .LBB105_244
; %bb.243:
	scratch_load_dwordx4 v[192:195], off, off offset:888 ; 16-byte Folded Reload
	s_waitcnt vmcnt(0)
	v_mul_f64 v[204:205], v[194:195], v[102:103]
	v_fma_f64 v[212:213], v[192:193], v[100:101], -v[204:205]
	ds_read2_b64 v[204:207], v202 offset0:54 offset1:55
	v_mul_f64 v[102:103], v[192:193], v[102:103]
	v_fmac_f64_e32 v[102:103], v[194:195], v[100:101]
	s_waitcnt lgkmcnt(0)
	v_mul_f64 v[100:101], v[206:207], v[102:103]
	v_fma_f64 v[100:101], v[204:205], v[212:213], -v[100:101]
	v_mul_f64 v[204:205], v[204:205], v[102:103]
	v_fmac_f64_e32 v[204:205], v[206:207], v[212:213]
	v_add_f64 v[98:99], v[98:99], -v[204:205]
	ds_read2_b64 v[204:207], v202 offset0:56 offset1:57
	v_add_f64 v[96:97], v[96:97], -v[100:101]
	s_waitcnt lgkmcnt(0)
	v_mul_f64 v[100:101], v[206:207], v[102:103]
	v_fma_f64 v[100:101], v[204:205], v[212:213], -v[100:101]
	v_mul_f64 v[204:205], v[204:205], v[102:103]
	v_fmac_f64_e32 v[204:205], v[206:207], v[212:213]
	v_add_f64 v[94:95], v[94:95], -v[204:205]
	ds_read2_b64 v[204:207], v202 offset0:58 offset1:59
	v_add_f64 v[92:93], v[92:93], -v[100:101]
	;; [unrolled: 8-line block ×25, first 2 shown]
	s_waitcnt lgkmcnt(0)
	v_mul_f64 v[100:101], v[206:207], v[102:103]
	v_fma_f64 v[100:101], v[204:205], v[212:213], -v[100:101]
	v_mul_f64 v[204:205], v[204:205], v[102:103]
	v_fmac_f64_e32 v[204:205], v[206:207], v[212:213]
	v_add_f64 v[208:209], v[208:209], -v[100:101]
	v_add_f64 v[210:211], v[210:211], -v[204:205]
	v_mov_b64_e32 v[100:101], v[212:213]
.LBB105_244:
	s_or_b64 exec, exec, s[2:3]
	v_cmp_eq_u32_e32 vcc, 27, v200
	s_waitcnt vmcnt(63) expcnt(7) lgkmcnt(15)
	s_barrier
	s_and_saveexec_b64 s[4:5], vcc
	s_cbranch_execz .LBB105_251
; %bb.245:
	ds_write2_b64 v201, v[96:97], v[98:99] offset1:1
	ds_write2_b64 v202, v[92:93], v[94:95] offset0:56 offset1:57
	ds_write2_b64 v202, v[88:89], v[90:91] offset0:58 offset1:59
	ds_write2_b64 v202, v[84:85], v[86:87] offset0:60 offset1:61
	ds_write2_b64 v202, v[80:81], v[82:83] offset0:62 offset1:63
	ds_write2_b64 v202, v[76:77], v[78:79] offset0:64 offset1:65
	ds_write2_b64 v202, v[72:73], v[74:75] offset0:66 offset1:67
	ds_write2_b64 v202, v[68:69], v[70:71] offset0:68 offset1:69
	ds_write2_b64 v202, v[64:65], v[66:67] offset0:70 offset1:71
	s_waitcnt vmcnt(58)
	ds_write2_b64 v202, v[60:61], v[62:63] offset0:72 offset1:73
	s_waitcnt vmcnt(57)
	ds_write2_b64 v202, v[56:57], v[58:59] offset0:74 offset1:75
	;; [unrolled: 2-line block ×13, first 2 shown]
	ds_write2_b64 v202, v[8:9], v[10:11] offset0:98 offset1:99
	ds_write2_b64 v202, v[4:5], v[6:7] offset0:100 offset1:101
	s_waitcnt vmcnt(45)
	ds_write2_b64 v202, v[0:1], v[2:3] offset0:102 offset1:103
	s_waitcnt vmcnt(42)
	ds_write2_b64 v202, v[208:209], v[210:211] offset0:104 offset1:105
	ds_read2_b64 v[212:215], v201 offset1:1
	s_waitcnt lgkmcnt(0)
	v_cmp_neq_f64_e32 vcc, 0, v[212:213]
	v_cmp_neq_f64_e64 s[2:3], 0, v[214:215]
	s_or_b64 s[2:3], vcc, s[2:3]
	s_and_b64 exec, exec, s[2:3]
	s_cbranch_execz .LBB105_251
; %bb.246:
	v_cmp_ngt_f64_e64 s[2:3], |v[212:213]|, |v[214:215]|
                                        ; implicit-def: $vgpr204_vgpr205
	s_and_saveexec_b64 s[10:11], s[2:3]
	s_xor_b64 s[2:3], exec, s[10:11]
                                        ; implicit-def: $vgpr206_vgpr207
	s_cbranch_execz .LBB105_248
; %bb.247:
	v_div_scale_f64 v[204:205], s[10:11], v[214:215], v[214:215], v[212:213]
	v_rcp_f64_e32 v[206:207], v[204:205]
	v_div_scale_f64 v[216:217], vcc, v[212:213], v[214:215], v[212:213]
	v_fma_f64 v[218:219], -v[204:205], v[206:207], 1.0
	v_fmac_f64_e32 v[206:207], v[206:207], v[218:219]
	v_fma_f64 v[218:219], -v[204:205], v[206:207], 1.0
	v_fmac_f64_e32 v[206:207], v[206:207], v[218:219]
	v_mul_f64 v[218:219], v[216:217], v[206:207]
	v_fma_f64 v[204:205], -v[204:205], v[218:219], v[216:217]
	v_div_fmas_f64 v[204:205], v[204:205], v[206:207], v[218:219]
	v_div_fixup_f64 v[204:205], v[204:205], v[214:215], v[212:213]
	v_fmac_f64_e32 v[214:215], v[212:213], v[204:205]
	v_div_scale_f64 v[206:207], s[10:11], v[214:215], v[214:215], 1.0
	v_rcp_f64_e32 v[212:213], v[206:207]
	s_nop 0
	v_fma_f64 v[216:217], -v[206:207], v[212:213], 1.0
	v_fmac_f64_e32 v[212:213], v[212:213], v[216:217]
	v_fma_f64 v[216:217], -v[206:207], v[212:213], 1.0
	v_fmac_f64_e32 v[212:213], v[212:213], v[216:217]
	v_div_scale_f64 v[216:217], vcc, 1.0, v[214:215], 1.0
	v_mul_f64 v[218:219], v[216:217], v[212:213]
	v_fma_f64 v[206:207], -v[206:207], v[218:219], v[216:217]
	s_nop 1
	v_div_fmas_f64 v[206:207], v[206:207], v[212:213], v[218:219]
	v_div_fixup_f64 v[206:207], v[206:207], v[214:215], 1.0
	v_mul_f64 v[204:205], v[204:205], v[206:207]
	v_xor_b32_e32 v207, 0x80000000, v207
                                        ; implicit-def: $vgpr212_vgpr213
.LBB105_248:
	s_andn2_saveexec_b64 s[2:3], s[2:3]
	s_cbranch_execz .LBB105_250
; %bb.249:
	v_div_scale_f64 v[204:205], s[10:11], v[212:213], v[212:213], v[214:215]
	v_rcp_f64_e32 v[206:207], v[204:205]
	v_div_scale_f64 v[216:217], vcc, v[214:215], v[212:213], v[214:215]
	v_fma_f64 v[218:219], -v[204:205], v[206:207], 1.0
	v_fmac_f64_e32 v[206:207], v[206:207], v[218:219]
	v_fma_f64 v[218:219], -v[204:205], v[206:207], 1.0
	v_fmac_f64_e32 v[206:207], v[206:207], v[218:219]
	v_mul_f64 v[218:219], v[216:217], v[206:207]
	v_fma_f64 v[204:205], -v[204:205], v[218:219], v[216:217]
	v_div_fmas_f64 v[204:205], v[204:205], v[206:207], v[218:219]
	v_div_fixup_f64 v[206:207], v[204:205], v[212:213], v[214:215]
	v_fmac_f64_e32 v[212:213], v[214:215], v[206:207]
	v_div_scale_f64 v[204:205], s[10:11], v[212:213], v[212:213], 1.0
	v_rcp_f64_e32 v[214:215], v[204:205]
	s_nop 0
	v_fma_f64 v[216:217], -v[204:205], v[214:215], 1.0
	v_fmac_f64_e32 v[214:215], v[214:215], v[216:217]
	v_fma_f64 v[216:217], -v[204:205], v[214:215], 1.0
	v_fmac_f64_e32 v[214:215], v[214:215], v[216:217]
	v_div_scale_f64 v[216:217], vcc, 1.0, v[212:213], 1.0
	v_mul_f64 v[218:219], v[216:217], v[214:215]
	v_fma_f64 v[204:205], -v[204:205], v[218:219], v[216:217]
	s_nop 1
	v_div_fmas_f64 v[204:205], v[204:205], v[214:215], v[218:219]
	v_div_fixup_f64 v[204:205], v[204:205], v[212:213], 1.0
	v_mul_f64 v[206:207], v[206:207], -v[204:205]
.LBB105_250:
	s_or_b64 exec, exec, s[2:3]
	ds_write2_b64 v201, v[204:205], v[206:207] offset1:1
.LBB105_251:
	s_or_b64 exec, exec, s[4:5]
	s_waitcnt lgkmcnt(0)
	s_barrier
	ds_read2_b64 v[192:195], v201 offset1:1
	v_cmp_lt_u32_e32 vcc, 27, v200
	s_waitcnt lgkmcnt(0)
	scratch_store_dwordx4 off, v[192:195], off offset:904 ; 16-byte Folded Spill
	s_and_saveexec_b64 s[2:3], vcc
	s_cbranch_execz .LBB105_253
; %bb.252:
	scratch_load_dwordx4 v[192:195], off, off offset:904 ; 16-byte Folded Reload
	s_waitcnt vmcnt(0)
	v_mul_f64 v[204:205], v[194:195], v[98:99]
	v_fma_f64 v[212:213], v[192:193], v[96:97], -v[204:205]
	ds_read2_b64 v[204:207], v202 offset0:56 offset1:57
	v_mul_f64 v[98:99], v[192:193], v[98:99]
	v_fmac_f64_e32 v[98:99], v[194:195], v[96:97]
	s_waitcnt lgkmcnt(0)
	v_mul_f64 v[96:97], v[206:207], v[98:99]
	v_fma_f64 v[96:97], v[204:205], v[212:213], -v[96:97]
	v_mul_f64 v[204:205], v[204:205], v[98:99]
	v_fmac_f64_e32 v[204:205], v[206:207], v[212:213]
	v_add_f64 v[94:95], v[94:95], -v[204:205]
	ds_read2_b64 v[204:207], v202 offset0:58 offset1:59
	v_add_f64 v[92:93], v[92:93], -v[96:97]
	s_waitcnt lgkmcnt(0)
	v_mul_f64 v[96:97], v[206:207], v[98:99]
	v_fma_f64 v[96:97], v[204:205], v[212:213], -v[96:97]
	v_mul_f64 v[204:205], v[204:205], v[98:99]
	v_fmac_f64_e32 v[204:205], v[206:207], v[212:213]
	v_add_f64 v[90:91], v[90:91], -v[204:205]
	ds_read2_b64 v[204:207], v202 offset0:60 offset1:61
	v_add_f64 v[88:89], v[88:89], -v[96:97]
	s_waitcnt lgkmcnt(0)
	v_mul_f64 v[96:97], v[206:207], v[98:99]
	v_fma_f64 v[96:97], v[204:205], v[212:213], -v[96:97]
	v_mul_f64 v[204:205], v[204:205], v[98:99]
	v_fmac_f64_e32 v[204:205], v[206:207], v[212:213]
	v_add_f64 v[86:87], v[86:87], -v[204:205]
	ds_read2_b64 v[204:207], v202 offset0:62 offset1:63
	v_add_f64 v[84:85], v[84:85], -v[96:97]
	s_waitcnt lgkmcnt(0)
	v_mul_f64 v[96:97], v[206:207], v[98:99]
	v_fma_f64 v[96:97], v[204:205], v[212:213], -v[96:97]
	v_mul_f64 v[204:205], v[204:205], v[98:99]
	v_fmac_f64_e32 v[204:205], v[206:207], v[212:213]
	v_add_f64 v[82:83], v[82:83], -v[204:205]
	ds_read2_b64 v[204:207], v202 offset0:64 offset1:65
	v_add_f64 v[80:81], v[80:81], -v[96:97]
	s_waitcnt lgkmcnt(0)
	v_mul_f64 v[96:97], v[206:207], v[98:99]
	v_fma_f64 v[96:97], v[204:205], v[212:213], -v[96:97]
	v_mul_f64 v[204:205], v[204:205], v[98:99]
	v_fmac_f64_e32 v[204:205], v[206:207], v[212:213]
	v_add_f64 v[78:79], v[78:79], -v[204:205]
	ds_read2_b64 v[204:207], v202 offset0:66 offset1:67
	v_add_f64 v[76:77], v[76:77], -v[96:97]
	s_waitcnt lgkmcnt(0)
	v_mul_f64 v[96:97], v[206:207], v[98:99]
	v_fma_f64 v[96:97], v[204:205], v[212:213], -v[96:97]
	v_mul_f64 v[204:205], v[204:205], v[98:99]
	v_fmac_f64_e32 v[204:205], v[206:207], v[212:213]
	v_add_f64 v[74:75], v[74:75], -v[204:205]
	ds_read2_b64 v[204:207], v202 offset0:68 offset1:69
	v_add_f64 v[72:73], v[72:73], -v[96:97]
	s_waitcnt lgkmcnt(0)
	v_mul_f64 v[96:97], v[206:207], v[98:99]
	v_fma_f64 v[96:97], v[204:205], v[212:213], -v[96:97]
	v_mul_f64 v[204:205], v[204:205], v[98:99]
	v_fmac_f64_e32 v[204:205], v[206:207], v[212:213]
	v_add_f64 v[70:71], v[70:71], -v[204:205]
	ds_read2_b64 v[204:207], v202 offset0:70 offset1:71
	v_add_f64 v[68:69], v[68:69], -v[96:97]
	s_waitcnt lgkmcnt(0)
	v_mul_f64 v[96:97], v[206:207], v[98:99]
	v_fma_f64 v[96:97], v[204:205], v[212:213], -v[96:97]
	v_mul_f64 v[204:205], v[204:205], v[98:99]
	v_fmac_f64_e32 v[204:205], v[206:207], v[212:213]
	v_add_f64 v[66:67], v[66:67], -v[204:205]
	ds_read2_b64 v[204:207], v202 offset0:72 offset1:73
	v_add_f64 v[64:65], v[64:65], -v[96:97]
	s_waitcnt lgkmcnt(0)
	v_mul_f64 v[96:97], v[206:207], v[98:99]
	v_fma_f64 v[96:97], v[204:205], v[212:213], -v[96:97]
	v_mul_f64 v[204:205], v[204:205], v[98:99]
	v_fmac_f64_e32 v[204:205], v[206:207], v[212:213]
	v_add_f64 v[62:63], v[62:63], -v[204:205]
	ds_read2_b64 v[204:207], v202 offset0:74 offset1:75
	v_add_f64 v[60:61], v[60:61], -v[96:97]
	s_waitcnt lgkmcnt(0)
	v_mul_f64 v[96:97], v[206:207], v[98:99]
	v_fma_f64 v[96:97], v[204:205], v[212:213], -v[96:97]
	v_mul_f64 v[204:205], v[204:205], v[98:99]
	v_fmac_f64_e32 v[204:205], v[206:207], v[212:213]
	v_add_f64 v[58:59], v[58:59], -v[204:205]
	ds_read2_b64 v[204:207], v202 offset0:76 offset1:77
	v_add_f64 v[56:57], v[56:57], -v[96:97]
	s_waitcnt lgkmcnt(0)
	v_mul_f64 v[96:97], v[206:207], v[98:99]
	v_fma_f64 v[96:97], v[204:205], v[212:213], -v[96:97]
	v_mul_f64 v[204:205], v[204:205], v[98:99]
	v_fmac_f64_e32 v[204:205], v[206:207], v[212:213]
	v_add_f64 v[54:55], v[54:55], -v[204:205]
	ds_read2_b64 v[204:207], v202 offset0:78 offset1:79
	v_add_f64 v[52:53], v[52:53], -v[96:97]
	s_waitcnt lgkmcnt(0)
	v_mul_f64 v[96:97], v[206:207], v[98:99]
	v_fma_f64 v[96:97], v[204:205], v[212:213], -v[96:97]
	v_mul_f64 v[204:205], v[204:205], v[98:99]
	v_fmac_f64_e32 v[204:205], v[206:207], v[212:213]
	v_add_f64 v[50:51], v[50:51], -v[204:205]
	ds_read2_b64 v[204:207], v202 offset0:80 offset1:81
	v_add_f64 v[48:49], v[48:49], -v[96:97]
	s_waitcnt lgkmcnt(0)
	v_mul_f64 v[96:97], v[206:207], v[98:99]
	v_fma_f64 v[96:97], v[204:205], v[212:213], -v[96:97]
	v_mul_f64 v[204:205], v[204:205], v[98:99]
	v_fmac_f64_e32 v[204:205], v[206:207], v[212:213]
	v_add_f64 v[46:47], v[46:47], -v[204:205]
	ds_read2_b64 v[204:207], v202 offset0:82 offset1:83
	v_add_f64 v[44:45], v[44:45], -v[96:97]
	s_waitcnt lgkmcnt(0)
	v_mul_f64 v[96:97], v[206:207], v[98:99]
	v_fma_f64 v[96:97], v[204:205], v[212:213], -v[96:97]
	v_mul_f64 v[204:205], v[204:205], v[98:99]
	v_fmac_f64_e32 v[204:205], v[206:207], v[212:213]
	v_add_f64 v[42:43], v[42:43], -v[204:205]
	ds_read2_b64 v[204:207], v202 offset0:84 offset1:85
	v_add_f64 v[40:41], v[40:41], -v[96:97]
	s_waitcnt lgkmcnt(0)
	v_mul_f64 v[96:97], v[206:207], v[98:99]
	v_fma_f64 v[96:97], v[204:205], v[212:213], -v[96:97]
	v_mul_f64 v[204:205], v[204:205], v[98:99]
	v_fmac_f64_e32 v[204:205], v[206:207], v[212:213]
	v_add_f64 v[38:39], v[38:39], -v[204:205]
	ds_read2_b64 v[204:207], v202 offset0:86 offset1:87
	v_add_f64 v[36:37], v[36:37], -v[96:97]
	s_waitcnt lgkmcnt(0)
	v_mul_f64 v[96:97], v[206:207], v[98:99]
	v_fma_f64 v[96:97], v[204:205], v[212:213], -v[96:97]
	v_mul_f64 v[204:205], v[204:205], v[98:99]
	v_fmac_f64_e32 v[204:205], v[206:207], v[212:213]
	v_add_f64 v[34:35], v[34:35], -v[204:205]
	ds_read2_b64 v[204:207], v202 offset0:88 offset1:89
	v_add_f64 v[32:33], v[32:33], -v[96:97]
	s_waitcnt lgkmcnt(0)
	v_mul_f64 v[96:97], v[206:207], v[98:99]
	v_fma_f64 v[96:97], v[204:205], v[212:213], -v[96:97]
	v_mul_f64 v[204:205], v[204:205], v[98:99]
	v_fmac_f64_e32 v[204:205], v[206:207], v[212:213]
	v_add_f64 v[30:31], v[30:31], -v[204:205]
	ds_read2_b64 v[204:207], v202 offset0:90 offset1:91
	v_add_f64 v[28:29], v[28:29], -v[96:97]
	s_waitcnt lgkmcnt(0)
	v_mul_f64 v[96:97], v[206:207], v[98:99]
	v_fma_f64 v[96:97], v[204:205], v[212:213], -v[96:97]
	v_mul_f64 v[204:205], v[204:205], v[98:99]
	v_fmac_f64_e32 v[204:205], v[206:207], v[212:213]
	v_add_f64 v[26:27], v[26:27], -v[204:205]
	ds_read2_b64 v[204:207], v202 offset0:92 offset1:93
	v_add_f64 v[24:25], v[24:25], -v[96:97]
	s_waitcnt lgkmcnt(0)
	v_mul_f64 v[96:97], v[206:207], v[98:99]
	v_fma_f64 v[96:97], v[204:205], v[212:213], -v[96:97]
	v_mul_f64 v[204:205], v[204:205], v[98:99]
	v_fmac_f64_e32 v[204:205], v[206:207], v[212:213]
	v_add_f64 v[22:23], v[22:23], -v[204:205]
	ds_read2_b64 v[204:207], v202 offset0:94 offset1:95
	v_add_f64 v[20:21], v[20:21], -v[96:97]
	s_waitcnt lgkmcnt(0)
	v_mul_f64 v[96:97], v[206:207], v[98:99]
	v_fma_f64 v[96:97], v[204:205], v[212:213], -v[96:97]
	v_mul_f64 v[204:205], v[204:205], v[98:99]
	v_fmac_f64_e32 v[204:205], v[206:207], v[212:213]
	v_add_f64 v[18:19], v[18:19], -v[204:205]
	ds_read2_b64 v[204:207], v202 offset0:96 offset1:97
	v_add_f64 v[16:17], v[16:17], -v[96:97]
	s_waitcnt lgkmcnt(0)
	v_mul_f64 v[96:97], v[206:207], v[98:99]
	v_fma_f64 v[96:97], v[204:205], v[212:213], -v[96:97]
	v_mul_f64 v[204:205], v[204:205], v[98:99]
	v_fmac_f64_e32 v[204:205], v[206:207], v[212:213]
	v_add_f64 v[14:15], v[14:15], -v[204:205]
	ds_read2_b64 v[204:207], v202 offset0:98 offset1:99
	v_add_f64 v[12:13], v[12:13], -v[96:97]
	s_waitcnt lgkmcnt(0)
	v_mul_f64 v[96:97], v[206:207], v[98:99]
	v_fma_f64 v[96:97], v[204:205], v[212:213], -v[96:97]
	v_mul_f64 v[204:205], v[204:205], v[98:99]
	v_fmac_f64_e32 v[204:205], v[206:207], v[212:213]
	v_add_f64 v[10:11], v[10:11], -v[204:205]
	ds_read2_b64 v[204:207], v202 offset0:100 offset1:101
	v_add_f64 v[8:9], v[8:9], -v[96:97]
	s_waitcnt lgkmcnt(0)
	v_mul_f64 v[96:97], v[206:207], v[98:99]
	v_fma_f64 v[96:97], v[204:205], v[212:213], -v[96:97]
	v_mul_f64 v[204:205], v[204:205], v[98:99]
	v_fmac_f64_e32 v[204:205], v[206:207], v[212:213]
	v_add_f64 v[6:7], v[6:7], -v[204:205]
	ds_read2_b64 v[204:207], v202 offset0:102 offset1:103
	v_add_f64 v[4:5], v[4:5], -v[96:97]
	s_waitcnt lgkmcnt(0)
	v_mul_f64 v[96:97], v[206:207], v[98:99]
	v_fma_f64 v[96:97], v[204:205], v[212:213], -v[96:97]
	v_mul_f64 v[204:205], v[204:205], v[98:99]
	v_fmac_f64_e32 v[204:205], v[206:207], v[212:213]
	v_add_f64 v[2:3], v[2:3], -v[204:205]
	ds_read2_b64 v[204:207], v202 offset0:104 offset1:105
	v_add_f64 v[0:1], v[0:1], -v[96:97]
	s_waitcnt lgkmcnt(0)
	v_mul_f64 v[96:97], v[206:207], v[98:99]
	v_fma_f64 v[96:97], v[204:205], v[212:213], -v[96:97]
	v_mul_f64 v[204:205], v[204:205], v[98:99]
	v_fmac_f64_e32 v[204:205], v[206:207], v[212:213]
	v_add_f64 v[208:209], v[208:209], -v[96:97]
	v_add_f64 v[210:211], v[210:211], -v[204:205]
	v_mov_b64_e32 v[96:97], v[212:213]
.LBB105_253:
	s_or_b64 exec, exec, s[2:3]
	v_cmp_eq_u32_e32 vcc, 28, v200
	s_waitcnt vmcnt(63) expcnt(7) lgkmcnt(15)
	s_barrier
	s_and_saveexec_b64 s[4:5], vcc
	s_cbranch_execz .LBB105_260
; %bb.254:
	ds_write2_b64 v201, v[92:93], v[94:95] offset1:1
	ds_write2_b64 v202, v[88:89], v[90:91] offset0:58 offset1:59
	ds_write2_b64 v202, v[84:85], v[86:87] offset0:60 offset1:61
	;; [unrolled: 1-line block ×7, first 2 shown]
	s_waitcnt vmcnt(59)
	ds_write2_b64 v202, v[60:61], v[62:63] offset0:72 offset1:73
	s_waitcnt vmcnt(58)
	ds_write2_b64 v202, v[56:57], v[58:59] offset0:74 offset1:75
	;; [unrolled: 2-line block ×13, first 2 shown]
	ds_write2_b64 v202, v[8:9], v[10:11] offset0:98 offset1:99
	ds_write2_b64 v202, v[4:5], v[6:7] offset0:100 offset1:101
	s_waitcnt vmcnt(46)
	ds_write2_b64 v202, v[0:1], v[2:3] offset0:102 offset1:103
	s_waitcnt vmcnt(43)
	ds_write2_b64 v202, v[208:209], v[210:211] offset0:104 offset1:105
	ds_read2_b64 v[212:215], v201 offset1:1
	s_waitcnt lgkmcnt(0)
	v_cmp_neq_f64_e32 vcc, 0, v[212:213]
	v_cmp_neq_f64_e64 s[2:3], 0, v[214:215]
	s_or_b64 s[2:3], vcc, s[2:3]
	s_and_b64 exec, exec, s[2:3]
	s_cbranch_execz .LBB105_260
; %bb.255:
	v_cmp_ngt_f64_e64 s[2:3], |v[212:213]|, |v[214:215]|
                                        ; implicit-def: $vgpr204_vgpr205
	s_and_saveexec_b64 s[10:11], s[2:3]
	s_xor_b64 s[2:3], exec, s[10:11]
                                        ; implicit-def: $vgpr206_vgpr207
	s_cbranch_execz .LBB105_257
; %bb.256:
	v_div_scale_f64 v[204:205], s[10:11], v[214:215], v[214:215], v[212:213]
	v_rcp_f64_e32 v[206:207], v[204:205]
	v_div_scale_f64 v[216:217], vcc, v[212:213], v[214:215], v[212:213]
	v_fma_f64 v[218:219], -v[204:205], v[206:207], 1.0
	v_fmac_f64_e32 v[206:207], v[206:207], v[218:219]
	v_fma_f64 v[218:219], -v[204:205], v[206:207], 1.0
	v_fmac_f64_e32 v[206:207], v[206:207], v[218:219]
	v_mul_f64 v[218:219], v[216:217], v[206:207]
	v_fma_f64 v[204:205], -v[204:205], v[218:219], v[216:217]
	v_div_fmas_f64 v[204:205], v[204:205], v[206:207], v[218:219]
	v_div_fixup_f64 v[204:205], v[204:205], v[214:215], v[212:213]
	v_fmac_f64_e32 v[214:215], v[212:213], v[204:205]
	v_div_scale_f64 v[206:207], s[10:11], v[214:215], v[214:215], 1.0
	v_rcp_f64_e32 v[212:213], v[206:207]
	s_nop 0
	v_fma_f64 v[216:217], -v[206:207], v[212:213], 1.0
	v_fmac_f64_e32 v[212:213], v[212:213], v[216:217]
	v_fma_f64 v[216:217], -v[206:207], v[212:213], 1.0
	v_fmac_f64_e32 v[212:213], v[212:213], v[216:217]
	v_div_scale_f64 v[216:217], vcc, 1.0, v[214:215], 1.0
	v_mul_f64 v[218:219], v[216:217], v[212:213]
	v_fma_f64 v[206:207], -v[206:207], v[218:219], v[216:217]
	s_nop 1
	v_div_fmas_f64 v[206:207], v[206:207], v[212:213], v[218:219]
	v_div_fixup_f64 v[206:207], v[206:207], v[214:215], 1.0
	v_mul_f64 v[204:205], v[204:205], v[206:207]
	v_xor_b32_e32 v207, 0x80000000, v207
                                        ; implicit-def: $vgpr212_vgpr213
.LBB105_257:
	s_andn2_saveexec_b64 s[2:3], s[2:3]
	s_cbranch_execz .LBB105_259
; %bb.258:
	v_div_scale_f64 v[204:205], s[10:11], v[212:213], v[212:213], v[214:215]
	v_rcp_f64_e32 v[206:207], v[204:205]
	v_div_scale_f64 v[216:217], vcc, v[214:215], v[212:213], v[214:215]
	v_fma_f64 v[218:219], -v[204:205], v[206:207], 1.0
	v_fmac_f64_e32 v[206:207], v[206:207], v[218:219]
	v_fma_f64 v[218:219], -v[204:205], v[206:207], 1.0
	v_fmac_f64_e32 v[206:207], v[206:207], v[218:219]
	v_mul_f64 v[218:219], v[216:217], v[206:207]
	v_fma_f64 v[204:205], -v[204:205], v[218:219], v[216:217]
	v_div_fmas_f64 v[204:205], v[204:205], v[206:207], v[218:219]
	v_div_fixup_f64 v[206:207], v[204:205], v[212:213], v[214:215]
	v_fmac_f64_e32 v[212:213], v[214:215], v[206:207]
	v_div_scale_f64 v[204:205], s[10:11], v[212:213], v[212:213], 1.0
	v_rcp_f64_e32 v[214:215], v[204:205]
	s_nop 0
	v_fma_f64 v[216:217], -v[204:205], v[214:215], 1.0
	v_fmac_f64_e32 v[214:215], v[214:215], v[216:217]
	v_fma_f64 v[216:217], -v[204:205], v[214:215], 1.0
	v_fmac_f64_e32 v[214:215], v[214:215], v[216:217]
	v_div_scale_f64 v[216:217], vcc, 1.0, v[212:213], 1.0
	v_mul_f64 v[218:219], v[216:217], v[214:215]
	v_fma_f64 v[204:205], -v[204:205], v[218:219], v[216:217]
	s_nop 1
	v_div_fmas_f64 v[204:205], v[204:205], v[214:215], v[218:219]
	v_div_fixup_f64 v[204:205], v[204:205], v[212:213], 1.0
	v_mul_f64 v[206:207], v[206:207], -v[204:205]
.LBB105_259:
	s_or_b64 exec, exec, s[2:3]
	ds_write2_b64 v201, v[204:205], v[206:207] offset1:1
.LBB105_260:
	s_or_b64 exec, exec, s[4:5]
	s_waitcnt lgkmcnt(0)
	s_barrier
	ds_read2_b64 v[192:195], v201 offset1:1
	v_cmp_lt_u32_e32 vcc, 28, v200
	s_waitcnt lgkmcnt(0)
	scratch_store_dwordx4 off, v[192:195], off offset:920 ; 16-byte Folded Spill
	s_and_saveexec_b64 s[2:3], vcc
	s_cbranch_execz .LBB105_262
; %bb.261:
	scratch_load_dwordx4 v[192:195], off, off offset:920 ; 16-byte Folded Reload
	s_waitcnt vmcnt(0)
	v_mul_f64 v[204:205], v[194:195], v[94:95]
	v_fma_f64 v[212:213], v[192:193], v[92:93], -v[204:205]
	ds_read2_b64 v[204:207], v202 offset0:58 offset1:59
	v_mul_f64 v[94:95], v[192:193], v[94:95]
	v_fmac_f64_e32 v[94:95], v[194:195], v[92:93]
	s_waitcnt lgkmcnt(0)
	v_mul_f64 v[92:93], v[206:207], v[94:95]
	v_fma_f64 v[92:93], v[204:205], v[212:213], -v[92:93]
	v_mul_f64 v[204:205], v[204:205], v[94:95]
	v_fmac_f64_e32 v[204:205], v[206:207], v[212:213]
	v_add_f64 v[90:91], v[90:91], -v[204:205]
	ds_read2_b64 v[204:207], v202 offset0:60 offset1:61
	v_add_f64 v[88:89], v[88:89], -v[92:93]
	s_waitcnt lgkmcnt(0)
	v_mul_f64 v[92:93], v[206:207], v[94:95]
	v_fma_f64 v[92:93], v[204:205], v[212:213], -v[92:93]
	v_mul_f64 v[204:205], v[204:205], v[94:95]
	v_fmac_f64_e32 v[204:205], v[206:207], v[212:213]
	v_add_f64 v[86:87], v[86:87], -v[204:205]
	ds_read2_b64 v[204:207], v202 offset0:62 offset1:63
	v_add_f64 v[84:85], v[84:85], -v[92:93]
	;; [unrolled: 8-line block ×23, first 2 shown]
	s_waitcnt lgkmcnt(0)
	v_mul_f64 v[92:93], v[206:207], v[94:95]
	v_fma_f64 v[92:93], v[204:205], v[212:213], -v[92:93]
	v_mul_f64 v[204:205], v[204:205], v[94:95]
	v_fmac_f64_e32 v[204:205], v[206:207], v[212:213]
	v_add_f64 v[208:209], v[208:209], -v[92:93]
	v_add_f64 v[210:211], v[210:211], -v[204:205]
	v_mov_b64_e32 v[92:93], v[212:213]
.LBB105_262:
	s_or_b64 exec, exec, s[2:3]
	v_cmp_eq_u32_e32 vcc, 29, v200
	s_waitcnt vmcnt(63) expcnt(7) lgkmcnt(15)
	s_barrier
	s_and_saveexec_b64 s[4:5], vcc
	s_cbranch_execz .LBB105_269
; %bb.263:
	ds_write2_b64 v201, v[88:89], v[90:91] offset1:1
	ds_write2_b64 v202, v[84:85], v[86:87] offset0:60 offset1:61
	ds_write2_b64 v202, v[80:81], v[82:83] offset0:62 offset1:63
	;; [unrolled: 1-line block ×6, first 2 shown]
	s_waitcnt vmcnt(60)
	ds_write2_b64 v202, v[60:61], v[62:63] offset0:72 offset1:73
	s_waitcnt vmcnt(59)
	ds_write2_b64 v202, v[56:57], v[58:59] offset0:74 offset1:75
	;; [unrolled: 2-line block ×13, first 2 shown]
	ds_write2_b64 v202, v[8:9], v[10:11] offset0:98 offset1:99
	ds_write2_b64 v202, v[4:5], v[6:7] offset0:100 offset1:101
	s_waitcnt vmcnt(47)
	ds_write2_b64 v202, v[0:1], v[2:3] offset0:102 offset1:103
	s_waitcnt vmcnt(44)
	ds_write2_b64 v202, v[208:209], v[210:211] offset0:104 offset1:105
	ds_read2_b64 v[212:215], v201 offset1:1
	s_waitcnt lgkmcnt(0)
	v_cmp_neq_f64_e32 vcc, 0, v[212:213]
	v_cmp_neq_f64_e64 s[2:3], 0, v[214:215]
	s_or_b64 s[2:3], vcc, s[2:3]
	s_and_b64 exec, exec, s[2:3]
	s_cbranch_execz .LBB105_269
; %bb.264:
	v_cmp_ngt_f64_e64 s[2:3], |v[212:213]|, |v[214:215]|
                                        ; implicit-def: $vgpr204_vgpr205
	s_and_saveexec_b64 s[10:11], s[2:3]
	s_xor_b64 s[2:3], exec, s[10:11]
                                        ; implicit-def: $vgpr206_vgpr207
	s_cbranch_execz .LBB105_266
; %bb.265:
	v_div_scale_f64 v[204:205], s[10:11], v[214:215], v[214:215], v[212:213]
	v_rcp_f64_e32 v[206:207], v[204:205]
	v_div_scale_f64 v[216:217], vcc, v[212:213], v[214:215], v[212:213]
	v_fma_f64 v[218:219], -v[204:205], v[206:207], 1.0
	v_fmac_f64_e32 v[206:207], v[206:207], v[218:219]
	v_fma_f64 v[218:219], -v[204:205], v[206:207], 1.0
	v_fmac_f64_e32 v[206:207], v[206:207], v[218:219]
	v_mul_f64 v[218:219], v[216:217], v[206:207]
	v_fma_f64 v[204:205], -v[204:205], v[218:219], v[216:217]
	v_div_fmas_f64 v[204:205], v[204:205], v[206:207], v[218:219]
	v_div_fixup_f64 v[204:205], v[204:205], v[214:215], v[212:213]
	v_fmac_f64_e32 v[214:215], v[212:213], v[204:205]
	v_div_scale_f64 v[206:207], s[10:11], v[214:215], v[214:215], 1.0
	v_rcp_f64_e32 v[212:213], v[206:207]
	s_nop 0
	v_fma_f64 v[216:217], -v[206:207], v[212:213], 1.0
	v_fmac_f64_e32 v[212:213], v[212:213], v[216:217]
	v_fma_f64 v[216:217], -v[206:207], v[212:213], 1.0
	v_fmac_f64_e32 v[212:213], v[212:213], v[216:217]
	v_div_scale_f64 v[216:217], vcc, 1.0, v[214:215], 1.0
	v_mul_f64 v[218:219], v[216:217], v[212:213]
	v_fma_f64 v[206:207], -v[206:207], v[218:219], v[216:217]
	s_nop 1
	v_div_fmas_f64 v[206:207], v[206:207], v[212:213], v[218:219]
	v_div_fixup_f64 v[206:207], v[206:207], v[214:215], 1.0
	v_mul_f64 v[204:205], v[204:205], v[206:207]
	v_xor_b32_e32 v207, 0x80000000, v207
                                        ; implicit-def: $vgpr212_vgpr213
.LBB105_266:
	s_andn2_saveexec_b64 s[2:3], s[2:3]
	s_cbranch_execz .LBB105_268
; %bb.267:
	v_div_scale_f64 v[204:205], s[10:11], v[212:213], v[212:213], v[214:215]
	v_rcp_f64_e32 v[206:207], v[204:205]
	v_div_scale_f64 v[216:217], vcc, v[214:215], v[212:213], v[214:215]
	v_fma_f64 v[218:219], -v[204:205], v[206:207], 1.0
	v_fmac_f64_e32 v[206:207], v[206:207], v[218:219]
	v_fma_f64 v[218:219], -v[204:205], v[206:207], 1.0
	v_fmac_f64_e32 v[206:207], v[206:207], v[218:219]
	v_mul_f64 v[218:219], v[216:217], v[206:207]
	v_fma_f64 v[204:205], -v[204:205], v[218:219], v[216:217]
	v_div_fmas_f64 v[204:205], v[204:205], v[206:207], v[218:219]
	v_div_fixup_f64 v[206:207], v[204:205], v[212:213], v[214:215]
	v_fmac_f64_e32 v[212:213], v[214:215], v[206:207]
	v_div_scale_f64 v[204:205], s[10:11], v[212:213], v[212:213], 1.0
	v_rcp_f64_e32 v[214:215], v[204:205]
	s_nop 0
	v_fma_f64 v[216:217], -v[204:205], v[214:215], 1.0
	v_fmac_f64_e32 v[214:215], v[214:215], v[216:217]
	v_fma_f64 v[216:217], -v[204:205], v[214:215], 1.0
	v_fmac_f64_e32 v[214:215], v[214:215], v[216:217]
	v_div_scale_f64 v[216:217], vcc, 1.0, v[212:213], 1.0
	v_mul_f64 v[218:219], v[216:217], v[214:215]
	v_fma_f64 v[204:205], -v[204:205], v[218:219], v[216:217]
	s_nop 1
	v_div_fmas_f64 v[204:205], v[204:205], v[214:215], v[218:219]
	v_div_fixup_f64 v[204:205], v[204:205], v[212:213], 1.0
	v_mul_f64 v[206:207], v[206:207], -v[204:205]
.LBB105_268:
	s_or_b64 exec, exec, s[2:3]
	ds_write2_b64 v201, v[204:205], v[206:207] offset1:1
.LBB105_269:
	s_or_b64 exec, exec, s[4:5]
	s_waitcnt lgkmcnt(0)
	s_barrier
	ds_read2_b64 v[192:195], v201 offset1:1
	v_cmp_lt_u32_e32 vcc, 29, v200
	s_waitcnt lgkmcnt(0)
	scratch_store_dwordx4 off, v[192:195], off offset:936 ; 16-byte Folded Spill
	s_and_saveexec_b64 s[2:3], vcc
	s_cbranch_execz .LBB105_271
; %bb.270:
	scratch_load_dwordx4 v[192:195], off, off offset:936 ; 16-byte Folded Reload
	s_waitcnt vmcnt(0)
	v_mul_f64 v[204:205], v[194:195], v[90:91]
	v_fma_f64 v[212:213], v[192:193], v[88:89], -v[204:205]
	ds_read2_b64 v[204:207], v202 offset0:60 offset1:61
	v_mul_f64 v[90:91], v[192:193], v[90:91]
	v_fmac_f64_e32 v[90:91], v[194:195], v[88:89]
	s_waitcnt lgkmcnt(0)
	v_mul_f64 v[88:89], v[206:207], v[90:91]
	v_fma_f64 v[88:89], v[204:205], v[212:213], -v[88:89]
	v_mul_f64 v[204:205], v[204:205], v[90:91]
	v_fmac_f64_e32 v[204:205], v[206:207], v[212:213]
	v_add_f64 v[86:87], v[86:87], -v[204:205]
	ds_read2_b64 v[204:207], v202 offset0:62 offset1:63
	v_add_f64 v[84:85], v[84:85], -v[88:89]
	s_waitcnt lgkmcnt(0)
	v_mul_f64 v[88:89], v[206:207], v[90:91]
	v_fma_f64 v[88:89], v[204:205], v[212:213], -v[88:89]
	v_mul_f64 v[204:205], v[204:205], v[90:91]
	v_fmac_f64_e32 v[204:205], v[206:207], v[212:213]
	v_add_f64 v[82:83], v[82:83], -v[204:205]
	ds_read2_b64 v[204:207], v202 offset0:64 offset1:65
	v_add_f64 v[80:81], v[80:81], -v[88:89]
	;; [unrolled: 8-line block ×22, first 2 shown]
	s_waitcnt lgkmcnt(0)
	v_mul_f64 v[88:89], v[206:207], v[90:91]
	v_fma_f64 v[88:89], v[204:205], v[212:213], -v[88:89]
	v_mul_f64 v[204:205], v[204:205], v[90:91]
	v_fmac_f64_e32 v[204:205], v[206:207], v[212:213]
	v_add_f64 v[208:209], v[208:209], -v[88:89]
	v_add_f64 v[210:211], v[210:211], -v[204:205]
	v_mov_b64_e32 v[88:89], v[212:213]
.LBB105_271:
	s_or_b64 exec, exec, s[2:3]
	v_cmp_eq_u32_e32 vcc, 30, v200
	s_waitcnt vmcnt(63) expcnt(7) lgkmcnt(15)
	s_barrier
	s_and_saveexec_b64 s[4:5], vcc
	s_cbranch_execz .LBB105_278
; %bb.272:
	ds_write2_b64 v201, v[84:85], v[86:87] offset1:1
	ds_write2_b64 v202, v[80:81], v[82:83] offset0:62 offset1:63
	ds_write2_b64 v202, v[76:77], v[78:79] offset0:64 offset1:65
	;; [unrolled: 1-line block ×5, first 2 shown]
	s_waitcnt vmcnt(61)
	ds_write2_b64 v202, v[60:61], v[62:63] offset0:72 offset1:73
	s_waitcnt vmcnt(60)
	ds_write2_b64 v202, v[56:57], v[58:59] offset0:74 offset1:75
	;; [unrolled: 2-line block ×13, first 2 shown]
	ds_write2_b64 v202, v[8:9], v[10:11] offset0:98 offset1:99
	ds_write2_b64 v202, v[4:5], v[6:7] offset0:100 offset1:101
	s_waitcnt vmcnt(48)
	ds_write2_b64 v202, v[0:1], v[2:3] offset0:102 offset1:103
	s_waitcnt vmcnt(45)
	ds_write2_b64 v202, v[208:209], v[210:211] offset0:104 offset1:105
	ds_read2_b64 v[212:215], v201 offset1:1
	s_waitcnt lgkmcnt(0)
	v_cmp_neq_f64_e32 vcc, 0, v[212:213]
	v_cmp_neq_f64_e64 s[2:3], 0, v[214:215]
	s_or_b64 s[2:3], vcc, s[2:3]
	s_and_b64 exec, exec, s[2:3]
	s_cbranch_execz .LBB105_278
; %bb.273:
	v_cmp_ngt_f64_e64 s[2:3], |v[212:213]|, |v[214:215]|
                                        ; implicit-def: $vgpr204_vgpr205
	s_and_saveexec_b64 s[10:11], s[2:3]
	s_xor_b64 s[2:3], exec, s[10:11]
                                        ; implicit-def: $vgpr206_vgpr207
	s_cbranch_execz .LBB105_275
; %bb.274:
	v_div_scale_f64 v[204:205], s[10:11], v[214:215], v[214:215], v[212:213]
	v_rcp_f64_e32 v[206:207], v[204:205]
	v_div_scale_f64 v[216:217], vcc, v[212:213], v[214:215], v[212:213]
	v_fma_f64 v[218:219], -v[204:205], v[206:207], 1.0
	v_fmac_f64_e32 v[206:207], v[206:207], v[218:219]
	v_fma_f64 v[218:219], -v[204:205], v[206:207], 1.0
	v_fmac_f64_e32 v[206:207], v[206:207], v[218:219]
	v_mul_f64 v[218:219], v[216:217], v[206:207]
	v_fma_f64 v[204:205], -v[204:205], v[218:219], v[216:217]
	v_div_fmas_f64 v[204:205], v[204:205], v[206:207], v[218:219]
	v_div_fixup_f64 v[204:205], v[204:205], v[214:215], v[212:213]
	v_fmac_f64_e32 v[214:215], v[212:213], v[204:205]
	v_div_scale_f64 v[206:207], s[10:11], v[214:215], v[214:215], 1.0
	v_rcp_f64_e32 v[212:213], v[206:207]
	s_nop 0
	v_fma_f64 v[216:217], -v[206:207], v[212:213], 1.0
	v_fmac_f64_e32 v[212:213], v[212:213], v[216:217]
	v_fma_f64 v[216:217], -v[206:207], v[212:213], 1.0
	v_fmac_f64_e32 v[212:213], v[212:213], v[216:217]
	v_div_scale_f64 v[216:217], vcc, 1.0, v[214:215], 1.0
	v_mul_f64 v[218:219], v[216:217], v[212:213]
	v_fma_f64 v[206:207], -v[206:207], v[218:219], v[216:217]
	s_nop 1
	v_div_fmas_f64 v[206:207], v[206:207], v[212:213], v[218:219]
	v_div_fixup_f64 v[206:207], v[206:207], v[214:215], 1.0
	v_mul_f64 v[204:205], v[204:205], v[206:207]
	v_xor_b32_e32 v207, 0x80000000, v207
                                        ; implicit-def: $vgpr212_vgpr213
.LBB105_275:
	s_andn2_saveexec_b64 s[2:3], s[2:3]
	s_cbranch_execz .LBB105_277
; %bb.276:
	v_div_scale_f64 v[204:205], s[10:11], v[212:213], v[212:213], v[214:215]
	v_rcp_f64_e32 v[206:207], v[204:205]
	v_div_scale_f64 v[216:217], vcc, v[214:215], v[212:213], v[214:215]
	v_fma_f64 v[218:219], -v[204:205], v[206:207], 1.0
	v_fmac_f64_e32 v[206:207], v[206:207], v[218:219]
	v_fma_f64 v[218:219], -v[204:205], v[206:207], 1.0
	v_fmac_f64_e32 v[206:207], v[206:207], v[218:219]
	v_mul_f64 v[218:219], v[216:217], v[206:207]
	v_fma_f64 v[204:205], -v[204:205], v[218:219], v[216:217]
	v_div_fmas_f64 v[204:205], v[204:205], v[206:207], v[218:219]
	v_div_fixup_f64 v[206:207], v[204:205], v[212:213], v[214:215]
	v_fmac_f64_e32 v[212:213], v[214:215], v[206:207]
	v_div_scale_f64 v[204:205], s[10:11], v[212:213], v[212:213], 1.0
	v_rcp_f64_e32 v[214:215], v[204:205]
	s_nop 0
	v_fma_f64 v[216:217], -v[204:205], v[214:215], 1.0
	v_fmac_f64_e32 v[214:215], v[214:215], v[216:217]
	v_fma_f64 v[216:217], -v[204:205], v[214:215], 1.0
	v_fmac_f64_e32 v[214:215], v[214:215], v[216:217]
	v_div_scale_f64 v[216:217], vcc, 1.0, v[212:213], 1.0
	v_mul_f64 v[218:219], v[216:217], v[214:215]
	v_fma_f64 v[204:205], -v[204:205], v[218:219], v[216:217]
	s_nop 1
	v_div_fmas_f64 v[204:205], v[204:205], v[214:215], v[218:219]
	v_div_fixup_f64 v[204:205], v[204:205], v[212:213], 1.0
	v_mul_f64 v[206:207], v[206:207], -v[204:205]
.LBB105_277:
	s_or_b64 exec, exec, s[2:3]
	ds_write2_b64 v201, v[204:205], v[206:207] offset1:1
.LBB105_278:
	s_or_b64 exec, exec, s[4:5]
	s_waitcnt lgkmcnt(0)
	s_barrier
	ds_read2_b64 v[192:195], v201 offset1:1
	v_cmp_lt_u32_e32 vcc, 30, v200
	s_waitcnt lgkmcnt(0)
	scratch_store_dwordx4 off, v[192:195], off offset:952 ; 16-byte Folded Spill
	s_and_saveexec_b64 s[2:3], vcc
	s_cbranch_execz .LBB105_280
; %bb.279:
	scratch_load_dwordx4 v[192:195], off, off offset:952 ; 16-byte Folded Reload
	s_waitcnt vmcnt(0)
	v_mul_f64 v[204:205], v[194:195], v[86:87]
	v_fma_f64 v[212:213], v[192:193], v[84:85], -v[204:205]
	ds_read2_b64 v[204:207], v202 offset0:62 offset1:63
	v_mul_f64 v[86:87], v[192:193], v[86:87]
	v_fmac_f64_e32 v[86:87], v[194:195], v[84:85]
	s_waitcnt lgkmcnt(0)
	v_mul_f64 v[84:85], v[206:207], v[86:87]
	v_fma_f64 v[84:85], v[204:205], v[212:213], -v[84:85]
	v_mul_f64 v[204:205], v[204:205], v[86:87]
	v_fmac_f64_e32 v[204:205], v[206:207], v[212:213]
	v_add_f64 v[82:83], v[82:83], -v[204:205]
	ds_read2_b64 v[204:207], v202 offset0:64 offset1:65
	v_add_f64 v[80:81], v[80:81], -v[84:85]
	s_waitcnt lgkmcnt(0)
	v_mul_f64 v[84:85], v[206:207], v[86:87]
	v_fma_f64 v[84:85], v[204:205], v[212:213], -v[84:85]
	v_mul_f64 v[204:205], v[204:205], v[86:87]
	v_fmac_f64_e32 v[204:205], v[206:207], v[212:213]
	v_add_f64 v[78:79], v[78:79], -v[204:205]
	ds_read2_b64 v[204:207], v202 offset0:66 offset1:67
	v_add_f64 v[76:77], v[76:77], -v[84:85]
	;; [unrolled: 8-line block ×21, first 2 shown]
	s_waitcnt lgkmcnt(0)
	v_mul_f64 v[84:85], v[206:207], v[86:87]
	v_fma_f64 v[84:85], v[204:205], v[212:213], -v[84:85]
	v_mul_f64 v[204:205], v[204:205], v[86:87]
	v_fmac_f64_e32 v[204:205], v[206:207], v[212:213]
	v_add_f64 v[208:209], v[208:209], -v[84:85]
	v_add_f64 v[210:211], v[210:211], -v[204:205]
	v_mov_b64_e32 v[84:85], v[212:213]
.LBB105_280:
	s_or_b64 exec, exec, s[2:3]
	v_cmp_eq_u32_e32 vcc, 31, v200
	s_waitcnt vmcnt(63) expcnt(7) lgkmcnt(15)
	s_barrier
	s_and_saveexec_b64 s[4:5], vcc
	s_cbranch_execz .LBB105_287
; %bb.281:
	ds_write2_b64 v201, v[80:81], v[82:83] offset1:1
	ds_write2_b64 v202, v[76:77], v[78:79] offset0:64 offset1:65
	ds_write2_b64 v202, v[72:73], v[74:75] offset0:66 offset1:67
	;; [unrolled: 1-line block ×4, first 2 shown]
	s_waitcnt vmcnt(62)
	ds_write2_b64 v202, v[60:61], v[62:63] offset0:72 offset1:73
	s_waitcnt vmcnt(61)
	ds_write2_b64 v202, v[56:57], v[58:59] offset0:74 offset1:75
	;; [unrolled: 2-line block ×13, first 2 shown]
	ds_write2_b64 v202, v[8:9], v[10:11] offset0:98 offset1:99
	ds_write2_b64 v202, v[4:5], v[6:7] offset0:100 offset1:101
	s_waitcnt vmcnt(49)
	ds_write2_b64 v202, v[0:1], v[2:3] offset0:102 offset1:103
	s_waitcnt vmcnt(46)
	ds_write2_b64 v202, v[208:209], v[210:211] offset0:104 offset1:105
	ds_read2_b64 v[212:215], v201 offset1:1
	s_waitcnt lgkmcnt(0)
	v_cmp_neq_f64_e32 vcc, 0, v[212:213]
	v_cmp_neq_f64_e64 s[2:3], 0, v[214:215]
	s_or_b64 s[2:3], vcc, s[2:3]
	s_and_b64 exec, exec, s[2:3]
	s_cbranch_execz .LBB105_287
; %bb.282:
	v_cmp_ngt_f64_e64 s[2:3], |v[212:213]|, |v[214:215]|
                                        ; implicit-def: $vgpr204_vgpr205
	s_and_saveexec_b64 s[10:11], s[2:3]
	s_xor_b64 s[2:3], exec, s[10:11]
                                        ; implicit-def: $vgpr206_vgpr207
	s_cbranch_execz .LBB105_284
; %bb.283:
	v_div_scale_f64 v[204:205], s[10:11], v[214:215], v[214:215], v[212:213]
	v_rcp_f64_e32 v[206:207], v[204:205]
	v_div_scale_f64 v[216:217], vcc, v[212:213], v[214:215], v[212:213]
	v_fma_f64 v[218:219], -v[204:205], v[206:207], 1.0
	v_fmac_f64_e32 v[206:207], v[206:207], v[218:219]
	v_fma_f64 v[218:219], -v[204:205], v[206:207], 1.0
	v_fmac_f64_e32 v[206:207], v[206:207], v[218:219]
	v_mul_f64 v[218:219], v[216:217], v[206:207]
	v_fma_f64 v[204:205], -v[204:205], v[218:219], v[216:217]
	v_div_fmas_f64 v[204:205], v[204:205], v[206:207], v[218:219]
	v_div_fixup_f64 v[204:205], v[204:205], v[214:215], v[212:213]
	v_fmac_f64_e32 v[214:215], v[212:213], v[204:205]
	v_div_scale_f64 v[206:207], s[10:11], v[214:215], v[214:215], 1.0
	v_rcp_f64_e32 v[212:213], v[206:207]
	s_nop 0
	v_fma_f64 v[216:217], -v[206:207], v[212:213], 1.0
	v_fmac_f64_e32 v[212:213], v[212:213], v[216:217]
	v_fma_f64 v[216:217], -v[206:207], v[212:213], 1.0
	v_fmac_f64_e32 v[212:213], v[212:213], v[216:217]
	v_div_scale_f64 v[216:217], vcc, 1.0, v[214:215], 1.0
	v_mul_f64 v[218:219], v[216:217], v[212:213]
	v_fma_f64 v[206:207], -v[206:207], v[218:219], v[216:217]
	s_nop 1
	v_div_fmas_f64 v[206:207], v[206:207], v[212:213], v[218:219]
	v_div_fixup_f64 v[206:207], v[206:207], v[214:215], 1.0
	v_mul_f64 v[204:205], v[204:205], v[206:207]
	v_xor_b32_e32 v207, 0x80000000, v207
                                        ; implicit-def: $vgpr212_vgpr213
.LBB105_284:
	s_andn2_saveexec_b64 s[2:3], s[2:3]
	s_cbranch_execz .LBB105_286
; %bb.285:
	v_div_scale_f64 v[204:205], s[10:11], v[212:213], v[212:213], v[214:215]
	v_rcp_f64_e32 v[206:207], v[204:205]
	v_div_scale_f64 v[216:217], vcc, v[214:215], v[212:213], v[214:215]
	v_fma_f64 v[218:219], -v[204:205], v[206:207], 1.0
	v_fmac_f64_e32 v[206:207], v[206:207], v[218:219]
	v_fma_f64 v[218:219], -v[204:205], v[206:207], 1.0
	v_fmac_f64_e32 v[206:207], v[206:207], v[218:219]
	v_mul_f64 v[218:219], v[216:217], v[206:207]
	v_fma_f64 v[204:205], -v[204:205], v[218:219], v[216:217]
	v_div_fmas_f64 v[204:205], v[204:205], v[206:207], v[218:219]
	v_div_fixup_f64 v[206:207], v[204:205], v[212:213], v[214:215]
	v_fmac_f64_e32 v[212:213], v[214:215], v[206:207]
	v_div_scale_f64 v[204:205], s[10:11], v[212:213], v[212:213], 1.0
	v_rcp_f64_e32 v[214:215], v[204:205]
	s_nop 0
	v_fma_f64 v[216:217], -v[204:205], v[214:215], 1.0
	v_fmac_f64_e32 v[214:215], v[214:215], v[216:217]
	v_fma_f64 v[216:217], -v[204:205], v[214:215], 1.0
	v_fmac_f64_e32 v[214:215], v[214:215], v[216:217]
	v_div_scale_f64 v[216:217], vcc, 1.0, v[212:213], 1.0
	v_mul_f64 v[218:219], v[216:217], v[214:215]
	v_fma_f64 v[204:205], -v[204:205], v[218:219], v[216:217]
	s_nop 1
	v_div_fmas_f64 v[204:205], v[204:205], v[214:215], v[218:219]
	v_div_fixup_f64 v[204:205], v[204:205], v[212:213], 1.0
	v_mul_f64 v[206:207], v[206:207], -v[204:205]
.LBB105_286:
	s_or_b64 exec, exec, s[2:3]
	ds_write2_b64 v201, v[204:205], v[206:207] offset1:1
.LBB105_287:
	s_or_b64 exec, exec, s[4:5]
	s_waitcnt lgkmcnt(0)
	s_barrier
	ds_read2_b64 v[192:195], v201 offset1:1
	v_cmp_lt_u32_e32 vcc, 31, v200
	s_waitcnt lgkmcnt(0)
	scratch_store_dwordx4 off, v[192:195], off offset:968 ; 16-byte Folded Spill
	s_and_saveexec_b64 s[2:3], vcc
	s_cbranch_execz .LBB105_289
; %bb.288:
	scratch_load_dwordx4 v[192:195], off, off offset:968 ; 16-byte Folded Reload
	s_waitcnt vmcnt(0)
	v_mul_f64 v[204:205], v[194:195], v[82:83]
	v_fma_f64 v[212:213], v[192:193], v[80:81], -v[204:205]
	ds_read2_b64 v[204:207], v202 offset0:64 offset1:65
	v_mul_f64 v[82:83], v[192:193], v[82:83]
	v_fmac_f64_e32 v[82:83], v[194:195], v[80:81]
	s_waitcnt lgkmcnt(0)
	v_mul_f64 v[80:81], v[206:207], v[82:83]
	v_fma_f64 v[80:81], v[204:205], v[212:213], -v[80:81]
	v_mul_f64 v[204:205], v[204:205], v[82:83]
	v_fmac_f64_e32 v[204:205], v[206:207], v[212:213]
	v_add_f64 v[78:79], v[78:79], -v[204:205]
	ds_read2_b64 v[204:207], v202 offset0:66 offset1:67
	v_add_f64 v[76:77], v[76:77], -v[80:81]
	s_waitcnt lgkmcnt(0)
	v_mul_f64 v[80:81], v[206:207], v[82:83]
	v_fma_f64 v[80:81], v[204:205], v[212:213], -v[80:81]
	v_mul_f64 v[204:205], v[204:205], v[82:83]
	v_fmac_f64_e32 v[204:205], v[206:207], v[212:213]
	v_add_f64 v[74:75], v[74:75], -v[204:205]
	ds_read2_b64 v[204:207], v202 offset0:68 offset1:69
	v_add_f64 v[72:73], v[72:73], -v[80:81]
	;; [unrolled: 8-line block ×20, first 2 shown]
	s_waitcnt lgkmcnt(0)
	v_mul_f64 v[80:81], v[206:207], v[82:83]
	v_fma_f64 v[80:81], v[204:205], v[212:213], -v[80:81]
	v_mul_f64 v[204:205], v[204:205], v[82:83]
	v_fmac_f64_e32 v[204:205], v[206:207], v[212:213]
	v_add_f64 v[208:209], v[208:209], -v[80:81]
	v_add_f64 v[210:211], v[210:211], -v[204:205]
	v_mov_b64_e32 v[80:81], v[212:213]
.LBB105_289:
	s_or_b64 exec, exec, s[2:3]
	v_cmp_eq_u32_e32 vcc, 32, v200
	s_waitcnt vmcnt(63) expcnt(7) lgkmcnt(15)
	s_barrier
	s_and_saveexec_b64 s[4:5], vcc
	s_cbranch_execz .LBB105_296
; %bb.290:
	ds_write2_b64 v201, v[76:77], v[78:79] offset1:1
	ds_write2_b64 v202, v[72:73], v[74:75] offset0:66 offset1:67
	ds_write2_b64 v202, v[68:69], v[70:71] offset0:68 offset1:69
	;; [unrolled: 1-line block ×4, first 2 shown]
	s_waitcnt vmcnt(62)
	ds_write2_b64 v202, v[56:57], v[58:59] offset0:74 offset1:75
	s_waitcnt vmcnt(61)
	ds_write2_b64 v202, v[52:53], v[54:55] offset0:76 offset1:77
	;; [unrolled: 2-line block ×12, first 2 shown]
	ds_write2_b64 v202, v[8:9], v[10:11] offset0:98 offset1:99
	ds_write2_b64 v202, v[4:5], v[6:7] offset0:100 offset1:101
	s_waitcnt vmcnt(50)
	ds_write2_b64 v202, v[0:1], v[2:3] offset0:102 offset1:103
	s_waitcnt vmcnt(47)
	ds_write2_b64 v202, v[208:209], v[210:211] offset0:104 offset1:105
	ds_read2_b64 v[212:215], v201 offset1:1
	s_waitcnt lgkmcnt(0)
	v_cmp_neq_f64_e32 vcc, 0, v[212:213]
	v_cmp_neq_f64_e64 s[2:3], 0, v[214:215]
	s_or_b64 s[2:3], vcc, s[2:3]
	s_and_b64 exec, exec, s[2:3]
	s_cbranch_execz .LBB105_296
; %bb.291:
	v_cmp_ngt_f64_e64 s[2:3], |v[212:213]|, |v[214:215]|
                                        ; implicit-def: $vgpr204_vgpr205
	s_and_saveexec_b64 s[10:11], s[2:3]
	s_xor_b64 s[2:3], exec, s[10:11]
                                        ; implicit-def: $vgpr206_vgpr207
	s_cbranch_execz .LBB105_293
; %bb.292:
	v_div_scale_f64 v[204:205], s[10:11], v[214:215], v[214:215], v[212:213]
	v_rcp_f64_e32 v[206:207], v[204:205]
	v_div_scale_f64 v[216:217], vcc, v[212:213], v[214:215], v[212:213]
	v_fma_f64 v[218:219], -v[204:205], v[206:207], 1.0
	v_fmac_f64_e32 v[206:207], v[206:207], v[218:219]
	v_fma_f64 v[218:219], -v[204:205], v[206:207], 1.0
	v_fmac_f64_e32 v[206:207], v[206:207], v[218:219]
	v_mul_f64 v[218:219], v[216:217], v[206:207]
	v_fma_f64 v[204:205], -v[204:205], v[218:219], v[216:217]
	v_div_fmas_f64 v[204:205], v[204:205], v[206:207], v[218:219]
	v_div_fixup_f64 v[204:205], v[204:205], v[214:215], v[212:213]
	v_fmac_f64_e32 v[214:215], v[212:213], v[204:205]
	v_div_scale_f64 v[206:207], s[10:11], v[214:215], v[214:215], 1.0
	v_rcp_f64_e32 v[212:213], v[206:207]
	s_nop 0
	v_fma_f64 v[216:217], -v[206:207], v[212:213], 1.0
	v_fmac_f64_e32 v[212:213], v[212:213], v[216:217]
	v_fma_f64 v[216:217], -v[206:207], v[212:213], 1.0
	v_fmac_f64_e32 v[212:213], v[212:213], v[216:217]
	v_div_scale_f64 v[216:217], vcc, 1.0, v[214:215], 1.0
	v_mul_f64 v[218:219], v[216:217], v[212:213]
	v_fma_f64 v[206:207], -v[206:207], v[218:219], v[216:217]
	s_nop 1
	v_div_fmas_f64 v[206:207], v[206:207], v[212:213], v[218:219]
	v_div_fixup_f64 v[206:207], v[206:207], v[214:215], 1.0
	v_mul_f64 v[204:205], v[204:205], v[206:207]
	v_xor_b32_e32 v207, 0x80000000, v207
                                        ; implicit-def: $vgpr212_vgpr213
.LBB105_293:
	s_andn2_saveexec_b64 s[2:3], s[2:3]
	s_cbranch_execz .LBB105_295
; %bb.294:
	v_div_scale_f64 v[204:205], s[10:11], v[212:213], v[212:213], v[214:215]
	v_rcp_f64_e32 v[206:207], v[204:205]
	v_div_scale_f64 v[216:217], vcc, v[214:215], v[212:213], v[214:215]
	v_fma_f64 v[218:219], -v[204:205], v[206:207], 1.0
	v_fmac_f64_e32 v[206:207], v[206:207], v[218:219]
	v_fma_f64 v[218:219], -v[204:205], v[206:207], 1.0
	v_fmac_f64_e32 v[206:207], v[206:207], v[218:219]
	v_mul_f64 v[218:219], v[216:217], v[206:207]
	v_fma_f64 v[204:205], -v[204:205], v[218:219], v[216:217]
	v_div_fmas_f64 v[204:205], v[204:205], v[206:207], v[218:219]
	v_div_fixup_f64 v[206:207], v[204:205], v[212:213], v[214:215]
	v_fmac_f64_e32 v[212:213], v[214:215], v[206:207]
	v_div_scale_f64 v[204:205], s[10:11], v[212:213], v[212:213], 1.0
	v_rcp_f64_e32 v[214:215], v[204:205]
	s_nop 0
	v_fma_f64 v[216:217], -v[204:205], v[214:215], 1.0
	v_fmac_f64_e32 v[214:215], v[214:215], v[216:217]
	v_fma_f64 v[216:217], -v[204:205], v[214:215], 1.0
	v_fmac_f64_e32 v[214:215], v[214:215], v[216:217]
	v_div_scale_f64 v[216:217], vcc, 1.0, v[212:213], 1.0
	v_mul_f64 v[218:219], v[216:217], v[214:215]
	v_fma_f64 v[204:205], -v[204:205], v[218:219], v[216:217]
	s_nop 1
	v_div_fmas_f64 v[204:205], v[204:205], v[214:215], v[218:219]
	v_div_fixup_f64 v[204:205], v[204:205], v[212:213], 1.0
	v_mul_f64 v[206:207], v[206:207], -v[204:205]
.LBB105_295:
	s_or_b64 exec, exec, s[2:3]
	ds_write2_b64 v201, v[204:205], v[206:207] offset1:1
.LBB105_296:
	s_or_b64 exec, exec, s[4:5]
	s_waitcnt lgkmcnt(0)
	s_barrier
	ds_read2_b64 v[192:195], v201 offset1:1
	v_cmp_lt_u32_e32 vcc, 32, v200
	s_waitcnt lgkmcnt(0)
	scratch_store_dwordx4 off, v[192:195], off offset:984 ; 16-byte Folded Spill
	s_and_saveexec_b64 s[2:3], vcc
	s_cbranch_execz .LBB105_298
; %bb.297:
	scratch_load_dwordx4 v[192:195], off, off offset:984 ; 16-byte Folded Reload
	s_waitcnt vmcnt(0)
	v_mul_f64 v[204:205], v[194:195], v[78:79]
	v_fma_f64 v[212:213], v[192:193], v[76:77], -v[204:205]
	ds_read2_b64 v[204:207], v202 offset0:66 offset1:67
	v_mul_f64 v[78:79], v[192:193], v[78:79]
	v_fmac_f64_e32 v[78:79], v[194:195], v[76:77]
	s_waitcnt lgkmcnt(0)
	v_mul_f64 v[76:77], v[206:207], v[78:79]
	v_fma_f64 v[76:77], v[204:205], v[212:213], -v[76:77]
	v_mul_f64 v[204:205], v[204:205], v[78:79]
	v_fmac_f64_e32 v[204:205], v[206:207], v[212:213]
	v_add_f64 v[74:75], v[74:75], -v[204:205]
	ds_read2_b64 v[204:207], v202 offset0:68 offset1:69
	v_add_f64 v[72:73], v[72:73], -v[76:77]
	s_waitcnt lgkmcnt(0)
	v_mul_f64 v[76:77], v[206:207], v[78:79]
	v_fma_f64 v[76:77], v[204:205], v[212:213], -v[76:77]
	v_mul_f64 v[204:205], v[204:205], v[78:79]
	v_fmac_f64_e32 v[204:205], v[206:207], v[212:213]
	v_add_f64 v[70:71], v[70:71], -v[204:205]
	ds_read2_b64 v[204:207], v202 offset0:70 offset1:71
	v_add_f64 v[68:69], v[68:69], -v[76:77]
	;; [unrolled: 8-line block ×19, first 2 shown]
	s_waitcnt lgkmcnt(0)
	v_mul_f64 v[76:77], v[206:207], v[78:79]
	v_fma_f64 v[76:77], v[204:205], v[212:213], -v[76:77]
	v_mul_f64 v[204:205], v[204:205], v[78:79]
	v_fmac_f64_e32 v[204:205], v[206:207], v[212:213]
	v_add_f64 v[208:209], v[208:209], -v[76:77]
	v_add_f64 v[210:211], v[210:211], -v[204:205]
	v_mov_b64_e32 v[76:77], v[212:213]
.LBB105_298:
	s_or_b64 exec, exec, s[2:3]
	v_cmp_eq_u32_e32 vcc, 33, v200
	s_waitcnt vmcnt(63) expcnt(7) lgkmcnt(15)
	s_barrier
	s_and_saveexec_b64 s[4:5], vcc
	s_cbranch_execz .LBB105_305
; %bb.299:
	ds_write2_b64 v201, v[72:73], v[74:75] offset1:1
	ds_write2_b64 v202, v[68:69], v[70:71] offset0:68 offset1:69
	ds_write2_b64 v202, v[64:65], v[66:67] offset0:70 offset1:71
	;; [unrolled: 1-line block ×4, first 2 shown]
	s_waitcnt vmcnt(62)
	ds_write2_b64 v202, v[52:53], v[54:55] offset0:76 offset1:77
	s_waitcnt vmcnt(61)
	ds_write2_b64 v202, v[48:49], v[50:51] offset0:78 offset1:79
	s_waitcnt vmcnt(60)
	ds_write2_b64 v202, v[44:45], v[46:47] offset0:80 offset1:81
	s_waitcnt vmcnt(59)
	ds_write2_b64 v202, v[40:41], v[42:43] offset0:82 offset1:83
	s_waitcnt vmcnt(58)
	ds_write2_b64 v202, v[36:37], v[38:39] offset0:84 offset1:85
	s_waitcnt vmcnt(57)
	ds_write2_b64 v202, v[32:33], v[34:35] offset0:86 offset1:87
	s_waitcnt vmcnt(56)
	ds_write2_b64 v202, v[28:29], v[30:31] offset0:88 offset1:89
	s_waitcnt vmcnt(55)
	ds_write2_b64 v202, v[24:25], v[26:27] offset0:90 offset1:91
	s_waitcnt vmcnt(54)
	ds_write2_b64 v202, v[20:21], v[22:23] offset0:92 offset1:93
	s_waitcnt vmcnt(53)
	ds_write2_b64 v202, v[16:17], v[18:19] offset0:94 offset1:95
	s_waitcnt vmcnt(52)
	ds_write2_b64 v202, v[12:13], v[14:15] offset0:96 offset1:97
	ds_write2_b64 v202, v[8:9], v[10:11] offset0:98 offset1:99
	ds_write2_b64 v202, v[4:5], v[6:7] offset0:100 offset1:101
	s_waitcnt vmcnt(51)
	ds_write2_b64 v202, v[0:1], v[2:3] offset0:102 offset1:103
	s_waitcnt vmcnt(48)
	ds_write2_b64 v202, v[208:209], v[210:211] offset0:104 offset1:105
	ds_read2_b64 v[212:215], v201 offset1:1
	s_waitcnt lgkmcnt(0)
	v_cmp_neq_f64_e32 vcc, 0, v[212:213]
	v_cmp_neq_f64_e64 s[2:3], 0, v[214:215]
	s_or_b64 s[2:3], vcc, s[2:3]
	s_and_b64 exec, exec, s[2:3]
	s_cbranch_execz .LBB105_305
; %bb.300:
	v_cmp_ngt_f64_e64 s[2:3], |v[212:213]|, |v[214:215]|
                                        ; implicit-def: $vgpr204_vgpr205
	s_and_saveexec_b64 s[10:11], s[2:3]
	s_xor_b64 s[2:3], exec, s[10:11]
                                        ; implicit-def: $vgpr206_vgpr207
	s_cbranch_execz .LBB105_302
; %bb.301:
	v_div_scale_f64 v[204:205], s[10:11], v[214:215], v[214:215], v[212:213]
	v_rcp_f64_e32 v[206:207], v[204:205]
	v_div_scale_f64 v[216:217], vcc, v[212:213], v[214:215], v[212:213]
	v_fma_f64 v[218:219], -v[204:205], v[206:207], 1.0
	v_fmac_f64_e32 v[206:207], v[206:207], v[218:219]
	v_fma_f64 v[218:219], -v[204:205], v[206:207], 1.0
	v_fmac_f64_e32 v[206:207], v[206:207], v[218:219]
	v_mul_f64 v[218:219], v[216:217], v[206:207]
	v_fma_f64 v[204:205], -v[204:205], v[218:219], v[216:217]
	v_div_fmas_f64 v[204:205], v[204:205], v[206:207], v[218:219]
	v_div_fixup_f64 v[204:205], v[204:205], v[214:215], v[212:213]
	v_fmac_f64_e32 v[214:215], v[212:213], v[204:205]
	v_div_scale_f64 v[206:207], s[10:11], v[214:215], v[214:215], 1.0
	v_rcp_f64_e32 v[212:213], v[206:207]
	s_nop 0
	v_fma_f64 v[216:217], -v[206:207], v[212:213], 1.0
	v_fmac_f64_e32 v[212:213], v[212:213], v[216:217]
	v_fma_f64 v[216:217], -v[206:207], v[212:213], 1.0
	v_fmac_f64_e32 v[212:213], v[212:213], v[216:217]
	v_div_scale_f64 v[216:217], vcc, 1.0, v[214:215], 1.0
	v_mul_f64 v[218:219], v[216:217], v[212:213]
	v_fma_f64 v[206:207], -v[206:207], v[218:219], v[216:217]
	s_nop 1
	v_div_fmas_f64 v[206:207], v[206:207], v[212:213], v[218:219]
	v_div_fixup_f64 v[206:207], v[206:207], v[214:215], 1.0
	v_mul_f64 v[204:205], v[204:205], v[206:207]
	v_xor_b32_e32 v207, 0x80000000, v207
                                        ; implicit-def: $vgpr212_vgpr213
.LBB105_302:
	s_andn2_saveexec_b64 s[2:3], s[2:3]
	s_cbranch_execz .LBB105_304
; %bb.303:
	v_div_scale_f64 v[204:205], s[10:11], v[212:213], v[212:213], v[214:215]
	v_rcp_f64_e32 v[206:207], v[204:205]
	v_div_scale_f64 v[216:217], vcc, v[214:215], v[212:213], v[214:215]
	v_fma_f64 v[218:219], -v[204:205], v[206:207], 1.0
	v_fmac_f64_e32 v[206:207], v[206:207], v[218:219]
	v_fma_f64 v[218:219], -v[204:205], v[206:207], 1.0
	v_fmac_f64_e32 v[206:207], v[206:207], v[218:219]
	v_mul_f64 v[218:219], v[216:217], v[206:207]
	v_fma_f64 v[204:205], -v[204:205], v[218:219], v[216:217]
	v_div_fmas_f64 v[204:205], v[204:205], v[206:207], v[218:219]
	v_div_fixup_f64 v[206:207], v[204:205], v[212:213], v[214:215]
	v_fmac_f64_e32 v[212:213], v[214:215], v[206:207]
	v_div_scale_f64 v[204:205], s[10:11], v[212:213], v[212:213], 1.0
	v_rcp_f64_e32 v[214:215], v[204:205]
	s_nop 0
	v_fma_f64 v[216:217], -v[204:205], v[214:215], 1.0
	v_fmac_f64_e32 v[214:215], v[214:215], v[216:217]
	v_fma_f64 v[216:217], -v[204:205], v[214:215], 1.0
	v_fmac_f64_e32 v[214:215], v[214:215], v[216:217]
	v_div_scale_f64 v[216:217], vcc, 1.0, v[212:213], 1.0
	v_mul_f64 v[218:219], v[216:217], v[214:215]
	v_fma_f64 v[204:205], -v[204:205], v[218:219], v[216:217]
	s_nop 1
	v_div_fmas_f64 v[204:205], v[204:205], v[214:215], v[218:219]
	v_div_fixup_f64 v[204:205], v[204:205], v[212:213], 1.0
	v_mul_f64 v[206:207], v[206:207], -v[204:205]
.LBB105_304:
	s_or_b64 exec, exec, s[2:3]
	ds_write2_b64 v201, v[204:205], v[206:207] offset1:1
.LBB105_305:
	s_or_b64 exec, exec, s[4:5]
	s_waitcnt lgkmcnt(0)
	s_barrier
	ds_read2_b64 v[192:195], v201 offset1:1
	v_cmp_lt_u32_e32 vcc, 33, v200
	s_waitcnt lgkmcnt(0)
	scratch_store_dwordx4 off, v[192:195], off offset:1000 ; 16-byte Folded Spill
	s_and_saveexec_b64 s[2:3], vcc
	s_cbranch_execz .LBB105_307
; %bb.306:
	scratch_load_dwordx4 v[192:195], off, off offset:1000 ; 16-byte Folded Reload
	s_waitcnt vmcnt(0)
	v_mul_f64 v[204:205], v[194:195], v[74:75]
	v_fma_f64 v[212:213], v[192:193], v[72:73], -v[204:205]
	ds_read2_b64 v[204:207], v202 offset0:68 offset1:69
	v_mul_f64 v[74:75], v[192:193], v[74:75]
	v_fmac_f64_e32 v[74:75], v[194:195], v[72:73]
	s_waitcnt lgkmcnt(0)
	v_mul_f64 v[72:73], v[206:207], v[74:75]
	v_fma_f64 v[72:73], v[204:205], v[212:213], -v[72:73]
	v_mul_f64 v[204:205], v[204:205], v[74:75]
	v_fmac_f64_e32 v[204:205], v[206:207], v[212:213]
	v_add_f64 v[70:71], v[70:71], -v[204:205]
	ds_read2_b64 v[204:207], v202 offset0:70 offset1:71
	v_add_f64 v[68:69], v[68:69], -v[72:73]
	s_waitcnt lgkmcnt(0)
	v_mul_f64 v[72:73], v[206:207], v[74:75]
	v_fma_f64 v[72:73], v[204:205], v[212:213], -v[72:73]
	v_mul_f64 v[204:205], v[204:205], v[74:75]
	v_fmac_f64_e32 v[204:205], v[206:207], v[212:213]
	v_add_f64 v[66:67], v[66:67], -v[204:205]
	ds_read2_b64 v[204:207], v202 offset0:72 offset1:73
	v_add_f64 v[64:65], v[64:65], -v[72:73]
	;; [unrolled: 8-line block ×18, first 2 shown]
	s_waitcnt lgkmcnt(0)
	v_mul_f64 v[72:73], v[206:207], v[74:75]
	v_fma_f64 v[72:73], v[204:205], v[212:213], -v[72:73]
	v_mul_f64 v[204:205], v[204:205], v[74:75]
	v_fmac_f64_e32 v[204:205], v[206:207], v[212:213]
	v_add_f64 v[208:209], v[208:209], -v[72:73]
	v_add_f64 v[210:211], v[210:211], -v[204:205]
	v_mov_b64_e32 v[72:73], v[212:213]
.LBB105_307:
	s_or_b64 exec, exec, s[2:3]
	v_cmp_eq_u32_e32 vcc, 34, v200
	s_waitcnt vmcnt(63) expcnt(7) lgkmcnt(15)
	s_barrier
	s_and_saveexec_b64 s[4:5], vcc
	s_cbranch_execz .LBB105_314
; %bb.308:
	ds_write2_b64 v201, v[68:69], v[70:71] offset1:1
	ds_write2_b64 v202, v[64:65], v[66:67] offset0:70 offset1:71
	ds_write2_b64 v202, v[60:61], v[62:63] offset0:72 offset1:73
	;; [unrolled: 1-line block ×4, first 2 shown]
	s_waitcnt vmcnt(62)
	ds_write2_b64 v202, v[48:49], v[50:51] offset0:78 offset1:79
	s_waitcnt vmcnt(61)
	ds_write2_b64 v202, v[44:45], v[46:47] offset0:80 offset1:81
	;; [unrolled: 2-line block ×10, first 2 shown]
	ds_write2_b64 v202, v[8:9], v[10:11] offset0:98 offset1:99
	ds_write2_b64 v202, v[4:5], v[6:7] offset0:100 offset1:101
	s_waitcnt vmcnt(52)
	ds_write2_b64 v202, v[0:1], v[2:3] offset0:102 offset1:103
	s_waitcnt vmcnt(49)
	ds_write2_b64 v202, v[208:209], v[210:211] offset0:104 offset1:105
	ds_read2_b64 v[212:215], v201 offset1:1
	s_waitcnt lgkmcnt(0)
	v_cmp_neq_f64_e32 vcc, 0, v[212:213]
	v_cmp_neq_f64_e64 s[2:3], 0, v[214:215]
	s_or_b64 s[2:3], vcc, s[2:3]
	s_and_b64 exec, exec, s[2:3]
	s_cbranch_execz .LBB105_314
; %bb.309:
	v_cmp_ngt_f64_e64 s[2:3], |v[212:213]|, |v[214:215]|
                                        ; implicit-def: $vgpr204_vgpr205
	s_and_saveexec_b64 s[10:11], s[2:3]
	s_xor_b64 s[2:3], exec, s[10:11]
                                        ; implicit-def: $vgpr206_vgpr207
	s_cbranch_execz .LBB105_311
; %bb.310:
	v_div_scale_f64 v[204:205], s[10:11], v[214:215], v[214:215], v[212:213]
	v_rcp_f64_e32 v[206:207], v[204:205]
	v_div_scale_f64 v[216:217], vcc, v[212:213], v[214:215], v[212:213]
	v_fma_f64 v[218:219], -v[204:205], v[206:207], 1.0
	v_fmac_f64_e32 v[206:207], v[206:207], v[218:219]
	v_fma_f64 v[218:219], -v[204:205], v[206:207], 1.0
	v_fmac_f64_e32 v[206:207], v[206:207], v[218:219]
	v_mul_f64 v[218:219], v[216:217], v[206:207]
	v_fma_f64 v[204:205], -v[204:205], v[218:219], v[216:217]
	v_div_fmas_f64 v[204:205], v[204:205], v[206:207], v[218:219]
	v_div_fixup_f64 v[204:205], v[204:205], v[214:215], v[212:213]
	v_fmac_f64_e32 v[214:215], v[212:213], v[204:205]
	v_div_scale_f64 v[206:207], s[10:11], v[214:215], v[214:215], 1.0
	v_rcp_f64_e32 v[212:213], v[206:207]
	s_nop 0
	v_fma_f64 v[216:217], -v[206:207], v[212:213], 1.0
	v_fmac_f64_e32 v[212:213], v[212:213], v[216:217]
	v_fma_f64 v[216:217], -v[206:207], v[212:213], 1.0
	v_fmac_f64_e32 v[212:213], v[212:213], v[216:217]
	v_div_scale_f64 v[216:217], vcc, 1.0, v[214:215], 1.0
	v_mul_f64 v[218:219], v[216:217], v[212:213]
	v_fma_f64 v[206:207], -v[206:207], v[218:219], v[216:217]
	s_nop 1
	v_div_fmas_f64 v[206:207], v[206:207], v[212:213], v[218:219]
	v_div_fixup_f64 v[206:207], v[206:207], v[214:215], 1.0
	v_mul_f64 v[204:205], v[204:205], v[206:207]
	v_xor_b32_e32 v207, 0x80000000, v207
                                        ; implicit-def: $vgpr212_vgpr213
.LBB105_311:
	s_andn2_saveexec_b64 s[2:3], s[2:3]
	s_cbranch_execz .LBB105_313
; %bb.312:
	v_div_scale_f64 v[204:205], s[10:11], v[212:213], v[212:213], v[214:215]
	v_rcp_f64_e32 v[206:207], v[204:205]
	v_div_scale_f64 v[216:217], vcc, v[214:215], v[212:213], v[214:215]
	v_fma_f64 v[218:219], -v[204:205], v[206:207], 1.0
	v_fmac_f64_e32 v[206:207], v[206:207], v[218:219]
	v_fma_f64 v[218:219], -v[204:205], v[206:207], 1.0
	v_fmac_f64_e32 v[206:207], v[206:207], v[218:219]
	v_mul_f64 v[218:219], v[216:217], v[206:207]
	v_fma_f64 v[204:205], -v[204:205], v[218:219], v[216:217]
	v_div_fmas_f64 v[204:205], v[204:205], v[206:207], v[218:219]
	v_div_fixup_f64 v[206:207], v[204:205], v[212:213], v[214:215]
	v_fmac_f64_e32 v[212:213], v[214:215], v[206:207]
	v_div_scale_f64 v[204:205], s[10:11], v[212:213], v[212:213], 1.0
	v_rcp_f64_e32 v[214:215], v[204:205]
	s_nop 0
	v_fma_f64 v[216:217], -v[204:205], v[214:215], 1.0
	v_fmac_f64_e32 v[214:215], v[214:215], v[216:217]
	v_fma_f64 v[216:217], -v[204:205], v[214:215], 1.0
	v_fmac_f64_e32 v[214:215], v[214:215], v[216:217]
	v_div_scale_f64 v[216:217], vcc, 1.0, v[212:213], 1.0
	v_mul_f64 v[218:219], v[216:217], v[214:215]
	v_fma_f64 v[204:205], -v[204:205], v[218:219], v[216:217]
	s_nop 1
	v_div_fmas_f64 v[204:205], v[204:205], v[214:215], v[218:219]
	v_div_fixup_f64 v[204:205], v[204:205], v[212:213], 1.0
	v_mul_f64 v[206:207], v[206:207], -v[204:205]
.LBB105_313:
	s_or_b64 exec, exec, s[2:3]
	ds_write2_b64 v201, v[204:205], v[206:207] offset1:1
.LBB105_314:
	s_or_b64 exec, exec, s[4:5]
	s_waitcnt lgkmcnt(0)
	s_barrier
	ds_read2_b64 v[192:195], v201 offset1:1
	v_cmp_lt_u32_e32 vcc, 34, v200
	s_waitcnt lgkmcnt(0)
	scratch_store_dwordx4 off, v[192:195], off offset:1016 ; 16-byte Folded Spill
	s_and_saveexec_b64 s[2:3], vcc
	s_cbranch_execz .LBB105_316
; %bb.315:
	scratch_load_dwordx4 v[192:195], off, off offset:1016 ; 16-byte Folded Reload
	s_waitcnt vmcnt(0)
	v_mul_f64 v[204:205], v[194:195], v[70:71]
	v_fma_f64 v[212:213], v[192:193], v[68:69], -v[204:205]
	ds_read2_b64 v[204:207], v202 offset0:70 offset1:71
	v_mul_f64 v[70:71], v[192:193], v[70:71]
	v_fmac_f64_e32 v[70:71], v[194:195], v[68:69]
	s_waitcnt lgkmcnt(0)
	v_mul_f64 v[68:69], v[206:207], v[70:71]
	v_fma_f64 v[68:69], v[204:205], v[212:213], -v[68:69]
	v_mul_f64 v[204:205], v[204:205], v[70:71]
	v_fmac_f64_e32 v[204:205], v[206:207], v[212:213]
	v_add_f64 v[66:67], v[66:67], -v[204:205]
	ds_read2_b64 v[204:207], v202 offset0:72 offset1:73
	v_add_f64 v[64:65], v[64:65], -v[68:69]
	s_waitcnt lgkmcnt(0)
	v_mul_f64 v[68:69], v[206:207], v[70:71]
	v_fma_f64 v[68:69], v[204:205], v[212:213], -v[68:69]
	v_mul_f64 v[204:205], v[204:205], v[70:71]
	v_fmac_f64_e32 v[204:205], v[206:207], v[212:213]
	v_add_f64 v[62:63], v[62:63], -v[204:205]
	ds_read2_b64 v[204:207], v202 offset0:74 offset1:75
	v_add_f64 v[60:61], v[60:61], -v[68:69]
	s_waitcnt lgkmcnt(0)
	v_mul_f64 v[68:69], v[206:207], v[70:71]
	v_fma_f64 v[68:69], v[204:205], v[212:213], -v[68:69]
	v_mul_f64 v[204:205], v[204:205], v[70:71]
	v_fmac_f64_e32 v[204:205], v[206:207], v[212:213]
	v_add_f64 v[58:59], v[58:59], -v[204:205]
	ds_read2_b64 v[204:207], v202 offset0:76 offset1:77
	v_add_f64 v[56:57], v[56:57], -v[68:69]
	s_waitcnt lgkmcnt(0)
	v_mul_f64 v[68:69], v[206:207], v[70:71]
	v_fma_f64 v[68:69], v[204:205], v[212:213], -v[68:69]
	v_mul_f64 v[204:205], v[204:205], v[70:71]
	v_fmac_f64_e32 v[204:205], v[206:207], v[212:213]
	v_add_f64 v[54:55], v[54:55], -v[204:205]
	ds_read2_b64 v[204:207], v202 offset0:78 offset1:79
	v_add_f64 v[52:53], v[52:53], -v[68:69]
	s_waitcnt lgkmcnt(0)
	v_mul_f64 v[68:69], v[206:207], v[70:71]
	v_fma_f64 v[68:69], v[204:205], v[212:213], -v[68:69]
	v_mul_f64 v[204:205], v[204:205], v[70:71]
	v_fmac_f64_e32 v[204:205], v[206:207], v[212:213]
	v_add_f64 v[50:51], v[50:51], -v[204:205]
	ds_read2_b64 v[204:207], v202 offset0:80 offset1:81
	v_add_f64 v[48:49], v[48:49], -v[68:69]
	s_waitcnt lgkmcnt(0)
	v_mul_f64 v[68:69], v[206:207], v[70:71]
	v_fma_f64 v[68:69], v[204:205], v[212:213], -v[68:69]
	v_mul_f64 v[204:205], v[204:205], v[70:71]
	v_fmac_f64_e32 v[204:205], v[206:207], v[212:213]
	v_add_f64 v[46:47], v[46:47], -v[204:205]
	ds_read2_b64 v[204:207], v202 offset0:82 offset1:83
	v_add_f64 v[44:45], v[44:45], -v[68:69]
	s_waitcnt lgkmcnt(0)
	v_mul_f64 v[68:69], v[206:207], v[70:71]
	v_fma_f64 v[68:69], v[204:205], v[212:213], -v[68:69]
	v_mul_f64 v[204:205], v[204:205], v[70:71]
	v_fmac_f64_e32 v[204:205], v[206:207], v[212:213]
	v_add_f64 v[42:43], v[42:43], -v[204:205]
	ds_read2_b64 v[204:207], v202 offset0:84 offset1:85
	v_add_f64 v[40:41], v[40:41], -v[68:69]
	s_waitcnt lgkmcnt(0)
	v_mul_f64 v[68:69], v[206:207], v[70:71]
	v_fma_f64 v[68:69], v[204:205], v[212:213], -v[68:69]
	v_mul_f64 v[204:205], v[204:205], v[70:71]
	v_fmac_f64_e32 v[204:205], v[206:207], v[212:213]
	v_add_f64 v[38:39], v[38:39], -v[204:205]
	ds_read2_b64 v[204:207], v202 offset0:86 offset1:87
	v_add_f64 v[36:37], v[36:37], -v[68:69]
	s_waitcnt lgkmcnt(0)
	v_mul_f64 v[68:69], v[206:207], v[70:71]
	v_fma_f64 v[68:69], v[204:205], v[212:213], -v[68:69]
	v_mul_f64 v[204:205], v[204:205], v[70:71]
	v_fmac_f64_e32 v[204:205], v[206:207], v[212:213]
	v_add_f64 v[34:35], v[34:35], -v[204:205]
	ds_read2_b64 v[204:207], v202 offset0:88 offset1:89
	v_add_f64 v[32:33], v[32:33], -v[68:69]
	s_waitcnt lgkmcnt(0)
	v_mul_f64 v[68:69], v[206:207], v[70:71]
	v_fma_f64 v[68:69], v[204:205], v[212:213], -v[68:69]
	v_mul_f64 v[204:205], v[204:205], v[70:71]
	v_fmac_f64_e32 v[204:205], v[206:207], v[212:213]
	v_add_f64 v[30:31], v[30:31], -v[204:205]
	ds_read2_b64 v[204:207], v202 offset0:90 offset1:91
	v_add_f64 v[28:29], v[28:29], -v[68:69]
	s_waitcnt lgkmcnt(0)
	v_mul_f64 v[68:69], v[206:207], v[70:71]
	v_fma_f64 v[68:69], v[204:205], v[212:213], -v[68:69]
	v_mul_f64 v[204:205], v[204:205], v[70:71]
	v_fmac_f64_e32 v[204:205], v[206:207], v[212:213]
	v_add_f64 v[26:27], v[26:27], -v[204:205]
	ds_read2_b64 v[204:207], v202 offset0:92 offset1:93
	v_add_f64 v[24:25], v[24:25], -v[68:69]
	s_waitcnt lgkmcnt(0)
	v_mul_f64 v[68:69], v[206:207], v[70:71]
	v_fma_f64 v[68:69], v[204:205], v[212:213], -v[68:69]
	v_mul_f64 v[204:205], v[204:205], v[70:71]
	v_fmac_f64_e32 v[204:205], v[206:207], v[212:213]
	v_add_f64 v[22:23], v[22:23], -v[204:205]
	ds_read2_b64 v[204:207], v202 offset0:94 offset1:95
	v_add_f64 v[20:21], v[20:21], -v[68:69]
	s_waitcnt lgkmcnt(0)
	v_mul_f64 v[68:69], v[206:207], v[70:71]
	v_fma_f64 v[68:69], v[204:205], v[212:213], -v[68:69]
	v_mul_f64 v[204:205], v[204:205], v[70:71]
	v_fmac_f64_e32 v[204:205], v[206:207], v[212:213]
	v_add_f64 v[18:19], v[18:19], -v[204:205]
	ds_read2_b64 v[204:207], v202 offset0:96 offset1:97
	v_add_f64 v[16:17], v[16:17], -v[68:69]
	s_waitcnt lgkmcnt(0)
	v_mul_f64 v[68:69], v[206:207], v[70:71]
	v_fma_f64 v[68:69], v[204:205], v[212:213], -v[68:69]
	v_mul_f64 v[204:205], v[204:205], v[70:71]
	v_fmac_f64_e32 v[204:205], v[206:207], v[212:213]
	v_add_f64 v[14:15], v[14:15], -v[204:205]
	ds_read2_b64 v[204:207], v202 offset0:98 offset1:99
	v_add_f64 v[12:13], v[12:13], -v[68:69]
	s_waitcnt lgkmcnt(0)
	v_mul_f64 v[68:69], v[206:207], v[70:71]
	v_fma_f64 v[68:69], v[204:205], v[212:213], -v[68:69]
	v_mul_f64 v[204:205], v[204:205], v[70:71]
	v_fmac_f64_e32 v[204:205], v[206:207], v[212:213]
	v_add_f64 v[10:11], v[10:11], -v[204:205]
	ds_read2_b64 v[204:207], v202 offset0:100 offset1:101
	v_add_f64 v[8:9], v[8:9], -v[68:69]
	s_waitcnt lgkmcnt(0)
	v_mul_f64 v[68:69], v[206:207], v[70:71]
	v_fma_f64 v[68:69], v[204:205], v[212:213], -v[68:69]
	v_mul_f64 v[204:205], v[204:205], v[70:71]
	v_fmac_f64_e32 v[204:205], v[206:207], v[212:213]
	v_add_f64 v[6:7], v[6:7], -v[204:205]
	ds_read2_b64 v[204:207], v202 offset0:102 offset1:103
	v_add_f64 v[4:5], v[4:5], -v[68:69]
	s_waitcnt lgkmcnt(0)
	v_mul_f64 v[68:69], v[206:207], v[70:71]
	v_fma_f64 v[68:69], v[204:205], v[212:213], -v[68:69]
	v_mul_f64 v[204:205], v[204:205], v[70:71]
	v_fmac_f64_e32 v[204:205], v[206:207], v[212:213]
	v_add_f64 v[2:3], v[2:3], -v[204:205]
	ds_read2_b64 v[204:207], v202 offset0:104 offset1:105
	v_add_f64 v[0:1], v[0:1], -v[68:69]
	s_waitcnt lgkmcnt(0)
	v_mul_f64 v[68:69], v[206:207], v[70:71]
	v_fma_f64 v[68:69], v[204:205], v[212:213], -v[68:69]
	v_mul_f64 v[204:205], v[204:205], v[70:71]
	v_fmac_f64_e32 v[204:205], v[206:207], v[212:213]
	v_add_f64 v[208:209], v[208:209], -v[68:69]
	v_add_f64 v[210:211], v[210:211], -v[204:205]
	v_mov_b64_e32 v[68:69], v[212:213]
.LBB105_316:
	s_or_b64 exec, exec, s[2:3]
	v_cmp_eq_u32_e32 vcc, 35, v200
	s_waitcnt vmcnt(63) expcnt(7) lgkmcnt(15)
	s_barrier
	s_and_saveexec_b64 s[4:5], vcc
	s_cbranch_execz .LBB105_323
; %bb.317:
	ds_write2_b64 v201, v[64:65], v[66:67] offset1:1
	ds_write2_b64 v202, v[60:61], v[62:63] offset0:72 offset1:73
	ds_write2_b64 v202, v[56:57], v[58:59] offset0:74 offset1:75
	;; [unrolled: 1-line block ×4, first 2 shown]
	s_waitcnt vmcnt(62)
	ds_write2_b64 v202, v[44:45], v[46:47] offset0:80 offset1:81
	s_waitcnt vmcnt(61)
	ds_write2_b64 v202, v[40:41], v[42:43] offset0:82 offset1:83
	;; [unrolled: 2-line block ×9, first 2 shown]
	ds_write2_b64 v202, v[8:9], v[10:11] offset0:98 offset1:99
	ds_write2_b64 v202, v[4:5], v[6:7] offset0:100 offset1:101
	s_waitcnt vmcnt(53)
	ds_write2_b64 v202, v[0:1], v[2:3] offset0:102 offset1:103
	s_waitcnt vmcnt(50)
	ds_write2_b64 v202, v[208:209], v[210:211] offset0:104 offset1:105
	ds_read2_b64 v[212:215], v201 offset1:1
	s_waitcnt lgkmcnt(0)
	v_cmp_neq_f64_e32 vcc, 0, v[212:213]
	v_cmp_neq_f64_e64 s[2:3], 0, v[214:215]
	s_or_b64 s[2:3], vcc, s[2:3]
	s_and_b64 exec, exec, s[2:3]
	s_cbranch_execz .LBB105_323
; %bb.318:
	v_cmp_ngt_f64_e64 s[2:3], |v[212:213]|, |v[214:215]|
                                        ; implicit-def: $vgpr204_vgpr205
	s_and_saveexec_b64 s[10:11], s[2:3]
	s_xor_b64 s[2:3], exec, s[10:11]
                                        ; implicit-def: $vgpr206_vgpr207
	s_cbranch_execz .LBB105_320
; %bb.319:
	v_div_scale_f64 v[204:205], s[10:11], v[214:215], v[214:215], v[212:213]
	v_rcp_f64_e32 v[206:207], v[204:205]
	v_div_scale_f64 v[216:217], vcc, v[212:213], v[214:215], v[212:213]
	v_fma_f64 v[218:219], -v[204:205], v[206:207], 1.0
	v_fmac_f64_e32 v[206:207], v[206:207], v[218:219]
	v_fma_f64 v[218:219], -v[204:205], v[206:207], 1.0
	v_fmac_f64_e32 v[206:207], v[206:207], v[218:219]
	v_mul_f64 v[218:219], v[216:217], v[206:207]
	v_fma_f64 v[204:205], -v[204:205], v[218:219], v[216:217]
	v_div_fmas_f64 v[204:205], v[204:205], v[206:207], v[218:219]
	v_div_fixup_f64 v[204:205], v[204:205], v[214:215], v[212:213]
	v_fmac_f64_e32 v[214:215], v[212:213], v[204:205]
	v_div_scale_f64 v[206:207], s[10:11], v[214:215], v[214:215], 1.0
	v_rcp_f64_e32 v[212:213], v[206:207]
	s_nop 0
	v_fma_f64 v[216:217], -v[206:207], v[212:213], 1.0
	v_fmac_f64_e32 v[212:213], v[212:213], v[216:217]
	v_fma_f64 v[216:217], -v[206:207], v[212:213], 1.0
	v_fmac_f64_e32 v[212:213], v[212:213], v[216:217]
	v_div_scale_f64 v[216:217], vcc, 1.0, v[214:215], 1.0
	v_mul_f64 v[218:219], v[216:217], v[212:213]
	v_fma_f64 v[206:207], -v[206:207], v[218:219], v[216:217]
	s_nop 1
	v_div_fmas_f64 v[206:207], v[206:207], v[212:213], v[218:219]
	v_div_fixup_f64 v[206:207], v[206:207], v[214:215], 1.0
	v_mul_f64 v[204:205], v[204:205], v[206:207]
	v_xor_b32_e32 v207, 0x80000000, v207
                                        ; implicit-def: $vgpr212_vgpr213
.LBB105_320:
	s_andn2_saveexec_b64 s[2:3], s[2:3]
	s_cbranch_execz .LBB105_322
; %bb.321:
	v_div_scale_f64 v[204:205], s[10:11], v[212:213], v[212:213], v[214:215]
	v_rcp_f64_e32 v[206:207], v[204:205]
	v_div_scale_f64 v[216:217], vcc, v[214:215], v[212:213], v[214:215]
	v_fma_f64 v[218:219], -v[204:205], v[206:207], 1.0
	v_fmac_f64_e32 v[206:207], v[206:207], v[218:219]
	v_fma_f64 v[218:219], -v[204:205], v[206:207], 1.0
	v_fmac_f64_e32 v[206:207], v[206:207], v[218:219]
	v_mul_f64 v[218:219], v[216:217], v[206:207]
	v_fma_f64 v[204:205], -v[204:205], v[218:219], v[216:217]
	v_div_fmas_f64 v[204:205], v[204:205], v[206:207], v[218:219]
	v_div_fixup_f64 v[206:207], v[204:205], v[212:213], v[214:215]
	v_fmac_f64_e32 v[212:213], v[214:215], v[206:207]
	v_div_scale_f64 v[204:205], s[10:11], v[212:213], v[212:213], 1.0
	v_rcp_f64_e32 v[214:215], v[204:205]
	s_nop 0
	v_fma_f64 v[216:217], -v[204:205], v[214:215], 1.0
	v_fmac_f64_e32 v[214:215], v[214:215], v[216:217]
	v_fma_f64 v[216:217], -v[204:205], v[214:215], 1.0
	v_fmac_f64_e32 v[214:215], v[214:215], v[216:217]
	v_div_scale_f64 v[216:217], vcc, 1.0, v[212:213], 1.0
	v_mul_f64 v[218:219], v[216:217], v[214:215]
	v_fma_f64 v[204:205], -v[204:205], v[218:219], v[216:217]
	s_nop 1
	v_div_fmas_f64 v[204:205], v[204:205], v[214:215], v[218:219]
	v_div_fixup_f64 v[204:205], v[204:205], v[212:213], 1.0
	v_mul_f64 v[206:207], v[206:207], -v[204:205]
.LBB105_322:
	s_or_b64 exec, exec, s[2:3]
	ds_write2_b64 v201, v[204:205], v[206:207] offset1:1
.LBB105_323:
	s_or_b64 exec, exec, s[4:5]
	s_waitcnt lgkmcnt(0)
	s_barrier
	ds_read2_b64 v[192:195], v201 offset1:1
	v_cmp_lt_u32_e32 vcc, 35, v200
	s_waitcnt lgkmcnt(0)
	scratch_store_dwordx4 off, v[192:195], off offset:1032 ; 16-byte Folded Spill
	s_and_saveexec_b64 s[2:3], vcc
	s_cbranch_execz .LBB105_325
; %bb.324:
	scratch_load_dwordx4 v[192:195], off, off offset:1032 ; 16-byte Folded Reload
	s_waitcnt vmcnt(0)
	v_mul_f64 v[204:205], v[194:195], v[66:67]
	v_fma_f64 v[212:213], v[192:193], v[64:65], -v[204:205]
	ds_read2_b64 v[204:207], v202 offset0:72 offset1:73
	v_mul_f64 v[66:67], v[192:193], v[66:67]
	v_fmac_f64_e32 v[66:67], v[194:195], v[64:65]
	s_waitcnt lgkmcnt(0)
	v_mul_f64 v[64:65], v[206:207], v[66:67]
	v_fma_f64 v[64:65], v[204:205], v[212:213], -v[64:65]
	v_mul_f64 v[204:205], v[204:205], v[66:67]
	v_fmac_f64_e32 v[204:205], v[206:207], v[212:213]
	v_add_f64 v[62:63], v[62:63], -v[204:205]
	ds_read2_b64 v[204:207], v202 offset0:74 offset1:75
	v_add_f64 v[60:61], v[60:61], -v[64:65]
	s_waitcnt lgkmcnt(0)
	v_mul_f64 v[64:65], v[206:207], v[66:67]
	v_fma_f64 v[64:65], v[204:205], v[212:213], -v[64:65]
	v_mul_f64 v[204:205], v[204:205], v[66:67]
	v_fmac_f64_e32 v[204:205], v[206:207], v[212:213]
	v_add_f64 v[58:59], v[58:59], -v[204:205]
	ds_read2_b64 v[204:207], v202 offset0:76 offset1:77
	v_add_f64 v[56:57], v[56:57], -v[64:65]
	s_waitcnt lgkmcnt(0)
	v_mul_f64 v[64:65], v[206:207], v[66:67]
	v_fma_f64 v[64:65], v[204:205], v[212:213], -v[64:65]
	v_mul_f64 v[204:205], v[204:205], v[66:67]
	v_fmac_f64_e32 v[204:205], v[206:207], v[212:213]
	v_add_f64 v[54:55], v[54:55], -v[204:205]
	ds_read2_b64 v[204:207], v202 offset0:78 offset1:79
	v_add_f64 v[52:53], v[52:53], -v[64:65]
	s_waitcnt lgkmcnt(0)
	v_mul_f64 v[64:65], v[206:207], v[66:67]
	v_fma_f64 v[64:65], v[204:205], v[212:213], -v[64:65]
	v_mul_f64 v[204:205], v[204:205], v[66:67]
	v_fmac_f64_e32 v[204:205], v[206:207], v[212:213]
	v_add_f64 v[50:51], v[50:51], -v[204:205]
	ds_read2_b64 v[204:207], v202 offset0:80 offset1:81
	v_add_f64 v[48:49], v[48:49], -v[64:65]
	s_waitcnt lgkmcnt(0)
	v_mul_f64 v[64:65], v[206:207], v[66:67]
	v_fma_f64 v[64:65], v[204:205], v[212:213], -v[64:65]
	v_mul_f64 v[204:205], v[204:205], v[66:67]
	v_fmac_f64_e32 v[204:205], v[206:207], v[212:213]
	v_add_f64 v[46:47], v[46:47], -v[204:205]
	ds_read2_b64 v[204:207], v202 offset0:82 offset1:83
	v_add_f64 v[44:45], v[44:45], -v[64:65]
	s_waitcnt lgkmcnt(0)
	v_mul_f64 v[64:65], v[206:207], v[66:67]
	v_fma_f64 v[64:65], v[204:205], v[212:213], -v[64:65]
	v_mul_f64 v[204:205], v[204:205], v[66:67]
	v_fmac_f64_e32 v[204:205], v[206:207], v[212:213]
	v_add_f64 v[42:43], v[42:43], -v[204:205]
	ds_read2_b64 v[204:207], v202 offset0:84 offset1:85
	v_add_f64 v[40:41], v[40:41], -v[64:65]
	s_waitcnt lgkmcnt(0)
	v_mul_f64 v[64:65], v[206:207], v[66:67]
	v_fma_f64 v[64:65], v[204:205], v[212:213], -v[64:65]
	v_mul_f64 v[204:205], v[204:205], v[66:67]
	v_fmac_f64_e32 v[204:205], v[206:207], v[212:213]
	v_add_f64 v[38:39], v[38:39], -v[204:205]
	ds_read2_b64 v[204:207], v202 offset0:86 offset1:87
	v_add_f64 v[36:37], v[36:37], -v[64:65]
	s_waitcnt lgkmcnt(0)
	v_mul_f64 v[64:65], v[206:207], v[66:67]
	v_fma_f64 v[64:65], v[204:205], v[212:213], -v[64:65]
	v_mul_f64 v[204:205], v[204:205], v[66:67]
	v_fmac_f64_e32 v[204:205], v[206:207], v[212:213]
	v_add_f64 v[34:35], v[34:35], -v[204:205]
	ds_read2_b64 v[204:207], v202 offset0:88 offset1:89
	v_add_f64 v[32:33], v[32:33], -v[64:65]
	s_waitcnt lgkmcnt(0)
	v_mul_f64 v[64:65], v[206:207], v[66:67]
	v_fma_f64 v[64:65], v[204:205], v[212:213], -v[64:65]
	v_mul_f64 v[204:205], v[204:205], v[66:67]
	v_fmac_f64_e32 v[204:205], v[206:207], v[212:213]
	v_add_f64 v[30:31], v[30:31], -v[204:205]
	ds_read2_b64 v[204:207], v202 offset0:90 offset1:91
	v_add_f64 v[28:29], v[28:29], -v[64:65]
	s_waitcnt lgkmcnt(0)
	v_mul_f64 v[64:65], v[206:207], v[66:67]
	v_fma_f64 v[64:65], v[204:205], v[212:213], -v[64:65]
	v_mul_f64 v[204:205], v[204:205], v[66:67]
	v_fmac_f64_e32 v[204:205], v[206:207], v[212:213]
	v_add_f64 v[26:27], v[26:27], -v[204:205]
	ds_read2_b64 v[204:207], v202 offset0:92 offset1:93
	v_add_f64 v[24:25], v[24:25], -v[64:65]
	s_waitcnt lgkmcnt(0)
	v_mul_f64 v[64:65], v[206:207], v[66:67]
	v_fma_f64 v[64:65], v[204:205], v[212:213], -v[64:65]
	v_mul_f64 v[204:205], v[204:205], v[66:67]
	v_fmac_f64_e32 v[204:205], v[206:207], v[212:213]
	v_add_f64 v[22:23], v[22:23], -v[204:205]
	ds_read2_b64 v[204:207], v202 offset0:94 offset1:95
	v_add_f64 v[20:21], v[20:21], -v[64:65]
	s_waitcnt lgkmcnt(0)
	v_mul_f64 v[64:65], v[206:207], v[66:67]
	v_fma_f64 v[64:65], v[204:205], v[212:213], -v[64:65]
	v_mul_f64 v[204:205], v[204:205], v[66:67]
	v_fmac_f64_e32 v[204:205], v[206:207], v[212:213]
	v_add_f64 v[18:19], v[18:19], -v[204:205]
	ds_read2_b64 v[204:207], v202 offset0:96 offset1:97
	v_add_f64 v[16:17], v[16:17], -v[64:65]
	s_waitcnt lgkmcnt(0)
	v_mul_f64 v[64:65], v[206:207], v[66:67]
	v_fma_f64 v[64:65], v[204:205], v[212:213], -v[64:65]
	v_mul_f64 v[204:205], v[204:205], v[66:67]
	v_fmac_f64_e32 v[204:205], v[206:207], v[212:213]
	v_add_f64 v[14:15], v[14:15], -v[204:205]
	ds_read2_b64 v[204:207], v202 offset0:98 offset1:99
	v_add_f64 v[12:13], v[12:13], -v[64:65]
	s_waitcnt lgkmcnt(0)
	v_mul_f64 v[64:65], v[206:207], v[66:67]
	v_fma_f64 v[64:65], v[204:205], v[212:213], -v[64:65]
	v_mul_f64 v[204:205], v[204:205], v[66:67]
	v_fmac_f64_e32 v[204:205], v[206:207], v[212:213]
	v_add_f64 v[10:11], v[10:11], -v[204:205]
	ds_read2_b64 v[204:207], v202 offset0:100 offset1:101
	v_add_f64 v[8:9], v[8:9], -v[64:65]
	s_waitcnt lgkmcnt(0)
	v_mul_f64 v[64:65], v[206:207], v[66:67]
	v_fma_f64 v[64:65], v[204:205], v[212:213], -v[64:65]
	v_mul_f64 v[204:205], v[204:205], v[66:67]
	v_fmac_f64_e32 v[204:205], v[206:207], v[212:213]
	v_add_f64 v[6:7], v[6:7], -v[204:205]
	ds_read2_b64 v[204:207], v202 offset0:102 offset1:103
	v_add_f64 v[4:5], v[4:5], -v[64:65]
	s_waitcnt lgkmcnt(0)
	v_mul_f64 v[64:65], v[206:207], v[66:67]
	v_fma_f64 v[64:65], v[204:205], v[212:213], -v[64:65]
	v_mul_f64 v[204:205], v[204:205], v[66:67]
	v_fmac_f64_e32 v[204:205], v[206:207], v[212:213]
	v_add_f64 v[2:3], v[2:3], -v[204:205]
	ds_read2_b64 v[204:207], v202 offset0:104 offset1:105
	v_add_f64 v[0:1], v[0:1], -v[64:65]
	s_waitcnt lgkmcnt(0)
	v_mul_f64 v[64:65], v[206:207], v[66:67]
	v_fma_f64 v[64:65], v[204:205], v[212:213], -v[64:65]
	v_mul_f64 v[204:205], v[204:205], v[66:67]
	v_fmac_f64_e32 v[204:205], v[206:207], v[212:213]
	v_add_f64 v[208:209], v[208:209], -v[64:65]
	v_add_f64 v[210:211], v[210:211], -v[204:205]
	v_mov_b64_e32 v[64:65], v[212:213]
.LBB105_325:
	s_or_b64 exec, exec, s[2:3]
	v_cmp_eq_u32_e32 vcc, 36, v200
	s_waitcnt vmcnt(63) expcnt(7) lgkmcnt(15)
	s_barrier
	s_and_saveexec_b64 s[4:5], vcc
	s_cbranch_execz .LBB105_332
; %bb.326:
	ds_write2_b64 v201, v[60:61], v[62:63] offset1:1
	ds_write2_b64 v202, v[56:57], v[58:59] offset0:74 offset1:75
	ds_write2_b64 v202, v[52:53], v[54:55] offset0:76 offset1:77
	;; [unrolled: 1-line block ×4, first 2 shown]
	s_waitcnt vmcnt(62)
	ds_write2_b64 v202, v[40:41], v[42:43] offset0:82 offset1:83
	s_waitcnt vmcnt(61)
	ds_write2_b64 v202, v[36:37], v[38:39] offset0:84 offset1:85
	;; [unrolled: 2-line block ×8, first 2 shown]
	ds_write2_b64 v202, v[8:9], v[10:11] offset0:98 offset1:99
	ds_write2_b64 v202, v[4:5], v[6:7] offset0:100 offset1:101
	s_waitcnt vmcnt(54)
	ds_write2_b64 v202, v[0:1], v[2:3] offset0:102 offset1:103
	s_waitcnt vmcnt(51)
	ds_write2_b64 v202, v[208:209], v[210:211] offset0:104 offset1:105
	ds_read2_b64 v[212:215], v201 offset1:1
	s_waitcnt lgkmcnt(0)
	v_cmp_neq_f64_e32 vcc, 0, v[212:213]
	v_cmp_neq_f64_e64 s[2:3], 0, v[214:215]
	s_or_b64 s[2:3], vcc, s[2:3]
	s_and_b64 exec, exec, s[2:3]
	s_cbranch_execz .LBB105_332
; %bb.327:
	v_cmp_ngt_f64_e64 s[2:3], |v[212:213]|, |v[214:215]|
                                        ; implicit-def: $vgpr204_vgpr205
	s_and_saveexec_b64 s[10:11], s[2:3]
	s_xor_b64 s[2:3], exec, s[10:11]
                                        ; implicit-def: $vgpr206_vgpr207
	s_cbranch_execz .LBB105_329
; %bb.328:
	v_div_scale_f64 v[204:205], s[10:11], v[214:215], v[214:215], v[212:213]
	v_rcp_f64_e32 v[206:207], v[204:205]
	v_div_scale_f64 v[216:217], vcc, v[212:213], v[214:215], v[212:213]
	v_fma_f64 v[218:219], -v[204:205], v[206:207], 1.0
	v_fmac_f64_e32 v[206:207], v[206:207], v[218:219]
	v_fma_f64 v[218:219], -v[204:205], v[206:207], 1.0
	v_fmac_f64_e32 v[206:207], v[206:207], v[218:219]
	v_mul_f64 v[218:219], v[216:217], v[206:207]
	v_fma_f64 v[204:205], -v[204:205], v[218:219], v[216:217]
	v_div_fmas_f64 v[204:205], v[204:205], v[206:207], v[218:219]
	v_div_fixup_f64 v[204:205], v[204:205], v[214:215], v[212:213]
	v_fmac_f64_e32 v[214:215], v[212:213], v[204:205]
	v_div_scale_f64 v[206:207], s[10:11], v[214:215], v[214:215], 1.0
	v_rcp_f64_e32 v[212:213], v[206:207]
	s_nop 0
	v_fma_f64 v[216:217], -v[206:207], v[212:213], 1.0
	v_fmac_f64_e32 v[212:213], v[212:213], v[216:217]
	v_fma_f64 v[216:217], -v[206:207], v[212:213], 1.0
	v_fmac_f64_e32 v[212:213], v[212:213], v[216:217]
	v_div_scale_f64 v[216:217], vcc, 1.0, v[214:215], 1.0
	v_mul_f64 v[218:219], v[216:217], v[212:213]
	v_fma_f64 v[206:207], -v[206:207], v[218:219], v[216:217]
	s_nop 1
	v_div_fmas_f64 v[206:207], v[206:207], v[212:213], v[218:219]
	v_div_fixup_f64 v[206:207], v[206:207], v[214:215], 1.0
	v_mul_f64 v[204:205], v[204:205], v[206:207]
	v_xor_b32_e32 v207, 0x80000000, v207
                                        ; implicit-def: $vgpr212_vgpr213
.LBB105_329:
	s_andn2_saveexec_b64 s[2:3], s[2:3]
	s_cbranch_execz .LBB105_331
; %bb.330:
	v_div_scale_f64 v[204:205], s[10:11], v[212:213], v[212:213], v[214:215]
	v_rcp_f64_e32 v[206:207], v[204:205]
	v_div_scale_f64 v[216:217], vcc, v[214:215], v[212:213], v[214:215]
	v_fma_f64 v[218:219], -v[204:205], v[206:207], 1.0
	v_fmac_f64_e32 v[206:207], v[206:207], v[218:219]
	v_fma_f64 v[218:219], -v[204:205], v[206:207], 1.0
	v_fmac_f64_e32 v[206:207], v[206:207], v[218:219]
	v_mul_f64 v[218:219], v[216:217], v[206:207]
	v_fma_f64 v[204:205], -v[204:205], v[218:219], v[216:217]
	v_div_fmas_f64 v[204:205], v[204:205], v[206:207], v[218:219]
	v_div_fixup_f64 v[206:207], v[204:205], v[212:213], v[214:215]
	v_fmac_f64_e32 v[212:213], v[214:215], v[206:207]
	v_div_scale_f64 v[204:205], s[10:11], v[212:213], v[212:213], 1.0
	v_rcp_f64_e32 v[214:215], v[204:205]
	s_nop 0
	v_fma_f64 v[216:217], -v[204:205], v[214:215], 1.0
	v_fmac_f64_e32 v[214:215], v[214:215], v[216:217]
	v_fma_f64 v[216:217], -v[204:205], v[214:215], 1.0
	v_fmac_f64_e32 v[214:215], v[214:215], v[216:217]
	v_div_scale_f64 v[216:217], vcc, 1.0, v[212:213], 1.0
	v_mul_f64 v[218:219], v[216:217], v[214:215]
	v_fma_f64 v[204:205], -v[204:205], v[218:219], v[216:217]
	s_nop 1
	v_div_fmas_f64 v[204:205], v[204:205], v[214:215], v[218:219]
	v_div_fixup_f64 v[204:205], v[204:205], v[212:213], 1.0
	v_mul_f64 v[206:207], v[206:207], -v[204:205]
.LBB105_331:
	s_or_b64 exec, exec, s[2:3]
	ds_write2_b64 v201, v[204:205], v[206:207] offset1:1
.LBB105_332:
	s_or_b64 exec, exec, s[4:5]
	s_waitcnt lgkmcnt(0)
	s_barrier
	ds_read2_b64 v[192:195], v201 offset1:1
	v_cmp_lt_u32_e32 vcc, 36, v200
	s_waitcnt lgkmcnt(0)
	scratch_store_dwordx4 off, v[192:195], off offset:1048 ; 16-byte Folded Spill
	s_and_saveexec_b64 s[2:3], vcc
	s_cbranch_execz .LBB105_334
; %bb.333:
	scratch_load_dwordx4 v[192:195], off, off offset:1048 ; 16-byte Folded Reload
	ds_read2_b64 v[204:207], v202 offset0:74 offset1:75
	s_waitcnt vmcnt(0)
	v_mul_f64 v[212:213], v[192:193], v[62:63]
	v_fmac_f64_e32 v[212:213], v[194:195], v[60:61]
	v_mul_f64 v[62:63], v[194:195], v[62:63]
	v_fma_f64 v[60:61], v[192:193], v[60:61], -v[62:63]
	s_waitcnt lgkmcnt(0)
	v_mul_f64 v[62:63], v[206:207], v[212:213]
	v_fma_f64 v[62:63], v[204:205], v[60:61], -v[62:63]
	v_mul_f64 v[204:205], v[204:205], v[212:213]
	v_fmac_f64_e32 v[204:205], v[206:207], v[60:61]
	v_add_f64 v[58:59], v[58:59], -v[204:205]
	ds_read2_b64 v[204:207], v202 offset0:76 offset1:77
	v_add_f64 v[56:57], v[56:57], -v[62:63]
	s_waitcnt lgkmcnt(0)
	v_mul_f64 v[62:63], v[206:207], v[212:213]
	v_fma_f64 v[62:63], v[204:205], v[60:61], -v[62:63]
	v_mul_f64 v[204:205], v[204:205], v[212:213]
	v_fmac_f64_e32 v[204:205], v[206:207], v[60:61]
	v_add_f64 v[54:55], v[54:55], -v[204:205]
	ds_read2_b64 v[204:207], v202 offset0:78 offset1:79
	v_add_f64 v[52:53], v[52:53], -v[62:63]
	;; [unrolled: 8-line block ×15, first 2 shown]
	s_waitcnt lgkmcnt(0)
	v_mul_f64 v[62:63], v[206:207], v[212:213]
	v_fma_f64 v[62:63], v[204:205], v[60:61], -v[62:63]
	v_mul_f64 v[204:205], v[204:205], v[212:213]
	v_fmac_f64_e32 v[204:205], v[206:207], v[60:61]
	v_add_f64 v[208:209], v[208:209], -v[62:63]
	v_add_f64 v[210:211], v[210:211], -v[204:205]
	v_mov_b64_e32 v[62:63], v[212:213]
.LBB105_334:
	s_or_b64 exec, exec, s[2:3]
	v_cmp_eq_u32_e32 vcc, 37, v200
	s_waitcnt vmcnt(63) expcnt(7) lgkmcnt(15)
	s_barrier
	s_and_saveexec_b64 s[4:5], vcc
	s_cbranch_execz .LBB105_341
; %bb.335:
	ds_write2_b64 v201, v[56:57], v[58:59] offset1:1
	ds_write2_b64 v202, v[52:53], v[54:55] offset0:76 offset1:77
	ds_write2_b64 v202, v[48:49], v[50:51] offset0:78 offset1:79
	;; [unrolled: 1-line block ×4, first 2 shown]
	s_waitcnt vmcnt(62)
	ds_write2_b64 v202, v[36:37], v[38:39] offset0:84 offset1:85
	s_waitcnt vmcnt(61)
	ds_write2_b64 v202, v[32:33], v[34:35] offset0:86 offset1:87
	s_waitcnt vmcnt(60)
	ds_write2_b64 v202, v[28:29], v[30:31] offset0:88 offset1:89
	s_waitcnt vmcnt(59)
	ds_write2_b64 v202, v[24:25], v[26:27] offset0:90 offset1:91
	s_waitcnt vmcnt(58)
	ds_write2_b64 v202, v[20:21], v[22:23] offset0:92 offset1:93
	s_waitcnt vmcnt(57)
	ds_write2_b64 v202, v[16:17], v[18:19] offset0:94 offset1:95
	s_waitcnt vmcnt(56)
	ds_write2_b64 v202, v[12:13], v[14:15] offset0:96 offset1:97
	ds_write2_b64 v202, v[8:9], v[10:11] offset0:98 offset1:99
	ds_write2_b64 v202, v[4:5], v[6:7] offset0:100 offset1:101
	s_waitcnt vmcnt(55)
	ds_write2_b64 v202, v[0:1], v[2:3] offset0:102 offset1:103
	s_waitcnt vmcnt(52)
	ds_write2_b64 v202, v[208:209], v[210:211] offset0:104 offset1:105
	ds_read2_b64 v[212:215], v201 offset1:1
	s_waitcnt lgkmcnt(0)
	v_cmp_neq_f64_e32 vcc, 0, v[212:213]
	v_cmp_neq_f64_e64 s[2:3], 0, v[214:215]
	s_or_b64 s[2:3], vcc, s[2:3]
	s_and_b64 exec, exec, s[2:3]
	s_cbranch_execz .LBB105_341
; %bb.336:
	v_cmp_ngt_f64_e64 s[2:3], |v[212:213]|, |v[214:215]|
                                        ; implicit-def: $vgpr204_vgpr205
	s_and_saveexec_b64 s[10:11], s[2:3]
	s_xor_b64 s[2:3], exec, s[10:11]
                                        ; implicit-def: $vgpr206_vgpr207
	s_cbranch_execz .LBB105_338
; %bb.337:
	v_div_scale_f64 v[204:205], s[10:11], v[214:215], v[214:215], v[212:213]
	v_rcp_f64_e32 v[206:207], v[204:205]
	v_div_scale_f64 v[216:217], vcc, v[212:213], v[214:215], v[212:213]
	v_fma_f64 v[218:219], -v[204:205], v[206:207], 1.0
	v_fmac_f64_e32 v[206:207], v[206:207], v[218:219]
	v_fma_f64 v[218:219], -v[204:205], v[206:207], 1.0
	v_fmac_f64_e32 v[206:207], v[206:207], v[218:219]
	v_mul_f64 v[218:219], v[216:217], v[206:207]
	v_fma_f64 v[204:205], -v[204:205], v[218:219], v[216:217]
	v_div_fmas_f64 v[204:205], v[204:205], v[206:207], v[218:219]
	v_div_fixup_f64 v[204:205], v[204:205], v[214:215], v[212:213]
	v_fmac_f64_e32 v[214:215], v[212:213], v[204:205]
	v_div_scale_f64 v[206:207], s[10:11], v[214:215], v[214:215], 1.0
	v_rcp_f64_e32 v[212:213], v[206:207]
	s_nop 0
	v_fma_f64 v[216:217], -v[206:207], v[212:213], 1.0
	v_fmac_f64_e32 v[212:213], v[212:213], v[216:217]
	v_fma_f64 v[216:217], -v[206:207], v[212:213], 1.0
	v_fmac_f64_e32 v[212:213], v[212:213], v[216:217]
	v_div_scale_f64 v[216:217], vcc, 1.0, v[214:215], 1.0
	v_mul_f64 v[218:219], v[216:217], v[212:213]
	v_fma_f64 v[206:207], -v[206:207], v[218:219], v[216:217]
	s_nop 1
	v_div_fmas_f64 v[206:207], v[206:207], v[212:213], v[218:219]
	v_div_fixup_f64 v[206:207], v[206:207], v[214:215], 1.0
	v_mul_f64 v[204:205], v[204:205], v[206:207]
	v_xor_b32_e32 v207, 0x80000000, v207
                                        ; implicit-def: $vgpr212_vgpr213
.LBB105_338:
	s_andn2_saveexec_b64 s[2:3], s[2:3]
	s_cbranch_execz .LBB105_340
; %bb.339:
	v_div_scale_f64 v[204:205], s[10:11], v[212:213], v[212:213], v[214:215]
	v_rcp_f64_e32 v[206:207], v[204:205]
	v_div_scale_f64 v[216:217], vcc, v[214:215], v[212:213], v[214:215]
	v_fma_f64 v[218:219], -v[204:205], v[206:207], 1.0
	v_fmac_f64_e32 v[206:207], v[206:207], v[218:219]
	v_fma_f64 v[218:219], -v[204:205], v[206:207], 1.0
	v_fmac_f64_e32 v[206:207], v[206:207], v[218:219]
	v_mul_f64 v[218:219], v[216:217], v[206:207]
	v_fma_f64 v[204:205], -v[204:205], v[218:219], v[216:217]
	v_div_fmas_f64 v[204:205], v[204:205], v[206:207], v[218:219]
	v_div_fixup_f64 v[206:207], v[204:205], v[212:213], v[214:215]
	v_fmac_f64_e32 v[212:213], v[214:215], v[206:207]
	v_div_scale_f64 v[204:205], s[10:11], v[212:213], v[212:213], 1.0
	v_rcp_f64_e32 v[214:215], v[204:205]
	s_nop 0
	v_fma_f64 v[216:217], -v[204:205], v[214:215], 1.0
	v_fmac_f64_e32 v[214:215], v[214:215], v[216:217]
	v_fma_f64 v[216:217], -v[204:205], v[214:215], 1.0
	v_fmac_f64_e32 v[214:215], v[214:215], v[216:217]
	v_div_scale_f64 v[216:217], vcc, 1.0, v[212:213], 1.0
	v_mul_f64 v[218:219], v[216:217], v[214:215]
	v_fma_f64 v[204:205], -v[204:205], v[218:219], v[216:217]
	s_nop 1
	v_div_fmas_f64 v[204:205], v[204:205], v[214:215], v[218:219]
	v_div_fixup_f64 v[204:205], v[204:205], v[212:213], 1.0
	v_mul_f64 v[206:207], v[206:207], -v[204:205]
.LBB105_340:
	s_or_b64 exec, exec, s[2:3]
	ds_write2_b64 v201, v[204:205], v[206:207] offset1:1
.LBB105_341:
	s_or_b64 exec, exec, s[4:5]
	s_waitcnt lgkmcnt(0)
	s_barrier
	ds_read2_b64 v[192:195], v201 offset1:1
	v_cmp_lt_u32_e32 vcc, 37, v200
	s_waitcnt lgkmcnt(0)
	scratch_store_dwordx4 off, v[192:195], off offset:1064 ; 16-byte Folded Spill
	s_and_saveexec_b64 s[2:3], vcc
	s_cbranch_execz .LBB105_343
; %bb.342:
	scratch_load_dwordx4 v[192:195], off, off offset:1064 ; 16-byte Folded Reload
	ds_read2_b64 v[204:207], v202 offset0:76 offset1:77
	s_waitcnt vmcnt(0)
	v_mul_f64 v[212:213], v[192:193], v[58:59]
	v_fmac_f64_e32 v[212:213], v[194:195], v[56:57]
	v_mul_f64 v[58:59], v[194:195], v[58:59]
	v_fma_f64 v[56:57], v[192:193], v[56:57], -v[58:59]
	s_waitcnt lgkmcnt(0)
	v_mul_f64 v[58:59], v[206:207], v[212:213]
	v_fma_f64 v[58:59], v[204:205], v[56:57], -v[58:59]
	v_mul_f64 v[204:205], v[204:205], v[212:213]
	v_fmac_f64_e32 v[204:205], v[206:207], v[56:57]
	v_add_f64 v[54:55], v[54:55], -v[204:205]
	ds_read2_b64 v[204:207], v202 offset0:78 offset1:79
	v_add_f64 v[52:53], v[52:53], -v[58:59]
	s_waitcnt lgkmcnt(0)
	v_mul_f64 v[58:59], v[206:207], v[212:213]
	v_fma_f64 v[58:59], v[204:205], v[56:57], -v[58:59]
	v_mul_f64 v[204:205], v[204:205], v[212:213]
	v_fmac_f64_e32 v[204:205], v[206:207], v[56:57]
	v_add_f64 v[50:51], v[50:51], -v[204:205]
	ds_read2_b64 v[204:207], v202 offset0:80 offset1:81
	v_add_f64 v[48:49], v[48:49], -v[58:59]
	;; [unrolled: 8-line block ×14, first 2 shown]
	s_waitcnt lgkmcnt(0)
	v_mul_f64 v[58:59], v[206:207], v[212:213]
	v_fma_f64 v[58:59], v[204:205], v[56:57], -v[58:59]
	v_mul_f64 v[204:205], v[204:205], v[212:213]
	v_fmac_f64_e32 v[204:205], v[206:207], v[56:57]
	v_add_f64 v[208:209], v[208:209], -v[58:59]
	v_add_f64 v[210:211], v[210:211], -v[204:205]
	v_mov_b64_e32 v[58:59], v[212:213]
.LBB105_343:
	s_or_b64 exec, exec, s[2:3]
	v_cmp_eq_u32_e32 vcc, 38, v200
	s_waitcnt vmcnt(63) expcnt(7) lgkmcnt(15)
	s_barrier
	s_and_saveexec_b64 s[4:5], vcc
	s_cbranch_execz .LBB105_350
; %bb.344:
	ds_write2_b64 v201, v[52:53], v[54:55] offset1:1
	ds_write2_b64 v202, v[48:49], v[50:51] offset0:78 offset1:79
	ds_write2_b64 v202, v[44:45], v[46:47] offset0:80 offset1:81
	;; [unrolled: 1-line block ×4, first 2 shown]
	s_waitcnt vmcnt(62)
	ds_write2_b64 v202, v[32:33], v[34:35] offset0:86 offset1:87
	s_waitcnt vmcnt(61)
	ds_write2_b64 v202, v[28:29], v[30:31] offset0:88 offset1:89
	;; [unrolled: 2-line block ×6, first 2 shown]
	ds_write2_b64 v202, v[8:9], v[10:11] offset0:98 offset1:99
	ds_write2_b64 v202, v[4:5], v[6:7] offset0:100 offset1:101
	s_waitcnt vmcnt(56)
	ds_write2_b64 v202, v[0:1], v[2:3] offset0:102 offset1:103
	s_waitcnt vmcnt(53)
	ds_write2_b64 v202, v[208:209], v[210:211] offset0:104 offset1:105
	ds_read2_b64 v[212:215], v201 offset1:1
	s_waitcnt lgkmcnt(0)
	v_cmp_neq_f64_e32 vcc, 0, v[212:213]
	v_cmp_neq_f64_e64 s[2:3], 0, v[214:215]
	s_or_b64 s[2:3], vcc, s[2:3]
	s_and_b64 exec, exec, s[2:3]
	s_cbranch_execz .LBB105_350
; %bb.345:
	v_cmp_ngt_f64_e64 s[2:3], |v[212:213]|, |v[214:215]|
                                        ; implicit-def: $vgpr204_vgpr205
	s_and_saveexec_b64 s[10:11], s[2:3]
	s_xor_b64 s[2:3], exec, s[10:11]
                                        ; implicit-def: $vgpr206_vgpr207
	s_cbranch_execz .LBB105_347
; %bb.346:
	v_div_scale_f64 v[204:205], s[10:11], v[214:215], v[214:215], v[212:213]
	v_rcp_f64_e32 v[206:207], v[204:205]
	v_div_scale_f64 v[216:217], vcc, v[212:213], v[214:215], v[212:213]
	v_fma_f64 v[218:219], -v[204:205], v[206:207], 1.0
	v_fmac_f64_e32 v[206:207], v[206:207], v[218:219]
	v_fma_f64 v[218:219], -v[204:205], v[206:207], 1.0
	v_fmac_f64_e32 v[206:207], v[206:207], v[218:219]
	v_mul_f64 v[218:219], v[216:217], v[206:207]
	v_fma_f64 v[204:205], -v[204:205], v[218:219], v[216:217]
	v_div_fmas_f64 v[204:205], v[204:205], v[206:207], v[218:219]
	v_div_fixup_f64 v[204:205], v[204:205], v[214:215], v[212:213]
	v_fmac_f64_e32 v[214:215], v[212:213], v[204:205]
	v_div_scale_f64 v[206:207], s[10:11], v[214:215], v[214:215], 1.0
	v_rcp_f64_e32 v[212:213], v[206:207]
	s_nop 0
	v_fma_f64 v[216:217], -v[206:207], v[212:213], 1.0
	v_fmac_f64_e32 v[212:213], v[212:213], v[216:217]
	v_fma_f64 v[216:217], -v[206:207], v[212:213], 1.0
	v_fmac_f64_e32 v[212:213], v[212:213], v[216:217]
	v_div_scale_f64 v[216:217], vcc, 1.0, v[214:215], 1.0
	v_mul_f64 v[218:219], v[216:217], v[212:213]
	v_fma_f64 v[206:207], -v[206:207], v[218:219], v[216:217]
	s_nop 1
	v_div_fmas_f64 v[206:207], v[206:207], v[212:213], v[218:219]
	v_div_fixup_f64 v[206:207], v[206:207], v[214:215], 1.0
	v_mul_f64 v[204:205], v[204:205], v[206:207]
	v_xor_b32_e32 v207, 0x80000000, v207
                                        ; implicit-def: $vgpr212_vgpr213
.LBB105_347:
	s_andn2_saveexec_b64 s[2:3], s[2:3]
	s_cbranch_execz .LBB105_349
; %bb.348:
	v_div_scale_f64 v[204:205], s[10:11], v[212:213], v[212:213], v[214:215]
	v_rcp_f64_e32 v[206:207], v[204:205]
	v_div_scale_f64 v[216:217], vcc, v[214:215], v[212:213], v[214:215]
	v_fma_f64 v[218:219], -v[204:205], v[206:207], 1.0
	v_fmac_f64_e32 v[206:207], v[206:207], v[218:219]
	v_fma_f64 v[218:219], -v[204:205], v[206:207], 1.0
	v_fmac_f64_e32 v[206:207], v[206:207], v[218:219]
	v_mul_f64 v[218:219], v[216:217], v[206:207]
	v_fma_f64 v[204:205], -v[204:205], v[218:219], v[216:217]
	v_div_fmas_f64 v[204:205], v[204:205], v[206:207], v[218:219]
	v_div_fixup_f64 v[206:207], v[204:205], v[212:213], v[214:215]
	v_fmac_f64_e32 v[212:213], v[214:215], v[206:207]
	v_div_scale_f64 v[204:205], s[10:11], v[212:213], v[212:213], 1.0
	v_rcp_f64_e32 v[214:215], v[204:205]
	s_nop 0
	v_fma_f64 v[216:217], -v[204:205], v[214:215], 1.0
	v_fmac_f64_e32 v[214:215], v[214:215], v[216:217]
	v_fma_f64 v[216:217], -v[204:205], v[214:215], 1.0
	v_fmac_f64_e32 v[214:215], v[214:215], v[216:217]
	v_div_scale_f64 v[216:217], vcc, 1.0, v[212:213], 1.0
	v_mul_f64 v[218:219], v[216:217], v[214:215]
	v_fma_f64 v[204:205], -v[204:205], v[218:219], v[216:217]
	s_nop 1
	v_div_fmas_f64 v[204:205], v[204:205], v[214:215], v[218:219]
	v_div_fixup_f64 v[204:205], v[204:205], v[212:213], 1.0
	v_mul_f64 v[206:207], v[206:207], -v[204:205]
.LBB105_349:
	s_or_b64 exec, exec, s[2:3]
	ds_write2_b64 v201, v[204:205], v[206:207] offset1:1
.LBB105_350:
	s_or_b64 exec, exec, s[4:5]
	s_waitcnt lgkmcnt(0)
	s_barrier
	ds_read2_b64 v[192:195], v201 offset1:1
	v_cmp_lt_u32_e32 vcc, 38, v200
	s_waitcnt lgkmcnt(0)
	scratch_store_dwordx4 off, v[192:195], off offset:1080 ; 16-byte Folded Spill
	s_and_saveexec_b64 s[2:3], vcc
	s_cbranch_execz .LBB105_352
; %bb.351:
	scratch_load_dwordx4 v[192:195], off, off offset:1080 ; 16-byte Folded Reload
	ds_read2_b64 v[204:207], v202 offset0:78 offset1:79
	s_waitcnt vmcnt(0)
	v_mul_f64 v[212:213], v[192:193], v[54:55]
	v_fmac_f64_e32 v[212:213], v[194:195], v[52:53]
	v_mul_f64 v[54:55], v[194:195], v[54:55]
	v_fma_f64 v[52:53], v[192:193], v[52:53], -v[54:55]
	s_waitcnt lgkmcnt(0)
	v_mul_f64 v[54:55], v[206:207], v[212:213]
	v_fma_f64 v[54:55], v[204:205], v[52:53], -v[54:55]
	v_mul_f64 v[204:205], v[204:205], v[212:213]
	v_fmac_f64_e32 v[204:205], v[206:207], v[52:53]
	v_add_f64 v[50:51], v[50:51], -v[204:205]
	ds_read2_b64 v[204:207], v202 offset0:80 offset1:81
	v_add_f64 v[48:49], v[48:49], -v[54:55]
	s_waitcnt lgkmcnt(0)
	v_mul_f64 v[54:55], v[206:207], v[212:213]
	v_fma_f64 v[54:55], v[204:205], v[52:53], -v[54:55]
	v_mul_f64 v[204:205], v[204:205], v[212:213]
	v_fmac_f64_e32 v[204:205], v[206:207], v[52:53]
	v_add_f64 v[46:47], v[46:47], -v[204:205]
	ds_read2_b64 v[204:207], v202 offset0:82 offset1:83
	v_add_f64 v[44:45], v[44:45], -v[54:55]
	;; [unrolled: 8-line block ×13, first 2 shown]
	s_waitcnt lgkmcnt(0)
	v_mul_f64 v[54:55], v[206:207], v[212:213]
	v_fma_f64 v[54:55], v[204:205], v[52:53], -v[54:55]
	v_mul_f64 v[204:205], v[204:205], v[212:213]
	v_fmac_f64_e32 v[204:205], v[206:207], v[52:53]
	v_add_f64 v[208:209], v[208:209], -v[54:55]
	v_add_f64 v[210:211], v[210:211], -v[204:205]
	v_mov_b64_e32 v[54:55], v[212:213]
.LBB105_352:
	s_or_b64 exec, exec, s[2:3]
	v_cmp_eq_u32_e32 vcc, 39, v200
	s_waitcnt vmcnt(63) expcnt(7) lgkmcnt(15)
	s_barrier
	s_and_saveexec_b64 s[4:5], vcc
	s_cbranch_execz .LBB105_359
; %bb.353:
	ds_write2_b64 v201, v[48:49], v[50:51] offset1:1
	ds_write2_b64 v202, v[44:45], v[46:47] offset0:80 offset1:81
	ds_write2_b64 v202, v[40:41], v[42:43] offset0:82 offset1:83
	;; [unrolled: 1-line block ×4, first 2 shown]
	s_waitcnt vmcnt(62)
	ds_write2_b64 v202, v[28:29], v[30:31] offset0:88 offset1:89
	s_waitcnt vmcnt(61)
	ds_write2_b64 v202, v[24:25], v[26:27] offset0:90 offset1:91
	;; [unrolled: 2-line block ×5, first 2 shown]
	ds_write2_b64 v202, v[8:9], v[10:11] offset0:98 offset1:99
	ds_write2_b64 v202, v[4:5], v[6:7] offset0:100 offset1:101
	s_waitcnt vmcnt(57)
	ds_write2_b64 v202, v[0:1], v[2:3] offset0:102 offset1:103
	s_waitcnt vmcnt(54)
	ds_write2_b64 v202, v[208:209], v[210:211] offset0:104 offset1:105
	ds_read2_b64 v[212:215], v201 offset1:1
	s_waitcnt lgkmcnt(0)
	v_cmp_neq_f64_e32 vcc, 0, v[212:213]
	v_cmp_neq_f64_e64 s[2:3], 0, v[214:215]
	s_or_b64 s[2:3], vcc, s[2:3]
	s_and_b64 exec, exec, s[2:3]
	s_cbranch_execz .LBB105_359
; %bb.354:
	v_cmp_ngt_f64_e64 s[2:3], |v[212:213]|, |v[214:215]|
                                        ; implicit-def: $vgpr204_vgpr205
	s_and_saveexec_b64 s[10:11], s[2:3]
	s_xor_b64 s[2:3], exec, s[10:11]
                                        ; implicit-def: $vgpr206_vgpr207
	s_cbranch_execz .LBB105_356
; %bb.355:
	v_div_scale_f64 v[204:205], s[10:11], v[214:215], v[214:215], v[212:213]
	v_rcp_f64_e32 v[206:207], v[204:205]
	v_div_scale_f64 v[216:217], vcc, v[212:213], v[214:215], v[212:213]
	v_fma_f64 v[218:219], -v[204:205], v[206:207], 1.0
	v_fmac_f64_e32 v[206:207], v[206:207], v[218:219]
	v_fma_f64 v[218:219], -v[204:205], v[206:207], 1.0
	v_fmac_f64_e32 v[206:207], v[206:207], v[218:219]
	v_mul_f64 v[218:219], v[216:217], v[206:207]
	v_fma_f64 v[204:205], -v[204:205], v[218:219], v[216:217]
	v_div_fmas_f64 v[204:205], v[204:205], v[206:207], v[218:219]
	v_div_fixup_f64 v[204:205], v[204:205], v[214:215], v[212:213]
	v_fmac_f64_e32 v[214:215], v[212:213], v[204:205]
	v_div_scale_f64 v[206:207], s[10:11], v[214:215], v[214:215], 1.0
	v_rcp_f64_e32 v[212:213], v[206:207]
	s_nop 0
	v_fma_f64 v[216:217], -v[206:207], v[212:213], 1.0
	v_fmac_f64_e32 v[212:213], v[212:213], v[216:217]
	v_fma_f64 v[216:217], -v[206:207], v[212:213], 1.0
	v_fmac_f64_e32 v[212:213], v[212:213], v[216:217]
	v_div_scale_f64 v[216:217], vcc, 1.0, v[214:215], 1.0
	v_mul_f64 v[218:219], v[216:217], v[212:213]
	v_fma_f64 v[206:207], -v[206:207], v[218:219], v[216:217]
	s_nop 1
	v_div_fmas_f64 v[206:207], v[206:207], v[212:213], v[218:219]
	v_div_fixup_f64 v[206:207], v[206:207], v[214:215], 1.0
	v_mul_f64 v[204:205], v[204:205], v[206:207]
	v_xor_b32_e32 v207, 0x80000000, v207
                                        ; implicit-def: $vgpr212_vgpr213
.LBB105_356:
	s_andn2_saveexec_b64 s[2:3], s[2:3]
	s_cbranch_execz .LBB105_358
; %bb.357:
	v_div_scale_f64 v[204:205], s[10:11], v[212:213], v[212:213], v[214:215]
	v_rcp_f64_e32 v[206:207], v[204:205]
	v_div_scale_f64 v[216:217], vcc, v[214:215], v[212:213], v[214:215]
	v_fma_f64 v[218:219], -v[204:205], v[206:207], 1.0
	v_fmac_f64_e32 v[206:207], v[206:207], v[218:219]
	v_fma_f64 v[218:219], -v[204:205], v[206:207], 1.0
	v_fmac_f64_e32 v[206:207], v[206:207], v[218:219]
	v_mul_f64 v[218:219], v[216:217], v[206:207]
	v_fma_f64 v[204:205], -v[204:205], v[218:219], v[216:217]
	v_div_fmas_f64 v[204:205], v[204:205], v[206:207], v[218:219]
	v_div_fixup_f64 v[206:207], v[204:205], v[212:213], v[214:215]
	v_fmac_f64_e32 v[212:213], v[214:215], v[206:207]
	v_div_scale_f64 v[204:205], s[10:11], v[212:213], v[212:213], 1.0
	v_rcp_f64_e32 v[214:215], v[204:205]
	s_nop 0
	v_fma_f64 v[216:217], -v[204:205], v[214:215], 1.0
	v_fmac_f64_e32 v[214:215], v[214:215], v[216:217]
	v_fma_f64 v[216:217], -v[204:205], v[214:215], 1.0
	v_fmac_f64_e32 v[214:215], v[214:215], v[216:217]
	v_div_scale_f64 v[216:217], vcc, 1.0, v[212:213], 1.0
	v_mul_f64 v[218:219], v[216:217], v[214:215]
	v_fma_f64 v[204:205], -v[204:205], v[218:219], v[216:217]
	s_nop 1
	v_div_fmas_f64 v[204:205], v[204:205], v[214:215], v[218:219]
	v_div_fixup_f64 v[204:205], v[204:205], v[212:213], 1.0
	v_mul_f64 v[206:207], v[206:207], -v[204:205]
.LBB105_358:
	s_or_b64 exec, exec, s[2:3]
	ds_write2_b64 v201, v[204:205], v[206:207] offset1:1
.LBB105_359:
	s_or_b64 exec, exec, s[4:5]
	s_waitcnt lgkmcnt(0)
	s_barrier
	ds_read2_b64 v[192:195], v201 offset1:1
	v_cmp_lt_u32_e32 vcc, 39, v200
	s_waitcnt lgkmcnt(0)
	scratch_store_dwordx4 off, v[192:195], off offset:1096 ; 16-byte Folded Spill
	s_and_saveexec_b64 s[2:3], vcc
	s_cbranch_execz .LBB105_361
; %bb.360:
	scratch_load_dwordx4 v[192:195], off, off offset:1096 ; 16-byte Folded Reload
	ds_read2_b64 v[204:207], v202 offset0:80 offset1:81
	s_waitcnt vmcnt(0)
	v_mul_f64 v[212:213], v[192:193], v[50:51]
	v_fmac_f64_e32 v[212:213], v[194:195], v[48:49]
	v_mul_f64 v[50:51], v[194:195], v[50:51]
	v_fma_f64 v[48:49], v[192:193], v[48:49], -v[50:51]
	s_waitcnt lgkmcnt(0)
	v_mul_f64 v[50:51], v[206:207], v[212:213]
	v_fma_f64 v[50:51], v[204:205], v[48:49], -v[50:51]
	v_mul_f64 v[204:205], v[204:205], v[212:213]
	v_fmac_f64_e32 v[204:205], v[206:207], v[48:49]
	v_add_f64 v[46:47], v[46:47], -v[204:205]
	ds_read2_b64 v[204:207], v202 offset0:82 offset1:83
	v_add_f64 v[44:45], v[44:45], -v[50:51]
	s_waitcnt lgkmcnt(0)
	v_mul_f64 v[50:51], v[206:207], v[212:213]
	v_fma_f64 v[50:51], v[204:205], v[48:49], -v[50:51]
	v_mul_f64 v[204:205], v[204:205], v[212:213]
	v_fmac_f64_e32 v[204:205], v[206:207], v[48:49]
	v_add_f64 v[42:43], v[42:43], -v[204:205]
	ds_read2_b64 v[204:207], v202 offset0:84 offset1:85
	v_add_f64 v[40:41], v[40:41], -v[50:51]
	;; [unrolled: 8-line block ×12, first 2 shown]
	s_waitcnt lgkmcnt(0)
	v_mul_f64 v[50:51], v[206:207], v[212:213]
	v_fma_f64 v[50:51], v[204:205], v[48:49], -v[50:51]
	v_mul_f64 v[204:205], v[204:205], v[212:213]
	v_fmac_f64_e32 v[204:205], v[206:207], v[48:49]
	v_add_f64 v[208:209], v[208:209], -v[50:51]
	v_add_f64 v[210:211], v[210:211], -v[204:205]
	v_mov_b64_e32 v[50:51], v[212:213]
.LBB105_361:
	s_or_b64 exec, exec, s[2:3]
	v_cmp_eq_u32_e32 vcc, 40, v200
	s_waitcnt vmcnt(63) expcnt(7) lgkmcnt(15)
	s_barrier
	s_and_saveexec_b64 s[4:5], vcc
	s_cbranch_execz .LBB105_368
; %bb.362:
	ds_write2_b64 v201, v[44:45], v[46:47] offset1:1
	ds_write2_b64 v202, v[40:41], v[42:43] offset0:82 offset1:83
	ds_write2_b64 v202, v[36:37], v[38:39] offset0:84 offset1:85
	;; [unrolled: 1-line block ×4, first 2 shown]
	s_waitcnt vmcnt(62)
	ds_write2_b64 v202, v[24:25], v[26:27] offset0:90 offset1:91
	s_waitcnt vmcnt(61)
	ds_write2_b64 v202, v[20:21], v[22:23] offset0:92 offset1:93
	;; [unrolled: 2-line block ×4, first 2 shown]
	ds_write2_b64 v202, v[8:9], v[10:11] offset0:98 offset1:99
	ds_write2_b64 v202, v[4:5], v[6:7] offset0:100 offset1:101
	s_waitcnt vmcnt(58)
	ds_write2_b64 v202, v[0:1], v[2:3] offset0:102 offset1:103
	s_waitcnt vmcnt(55)
	ds_write2_b64 v202, v[208:209], v[210:211] offset0:104 offset1:105
	ds_read2_b64 v[212:215], v201 offset1:1
	s_waitcnt lgkmcnt(0)
	v_cmp_neq_f64_e32 vcc, 0, v[212:213]
	v_cmp_neq_f64_e64 s[2:3], 0, v[214:215]
	s_or_b64 s[2:3], vcc, s[2:3]
	s_and_b64 exec, exec, s[2:3]
	s_cbranch_execz .LBB105_368
; %bb.363:
	v_cmp_ngt_f64_e64 s[2:3], |v[212:213]|, |v[214:215]|
                                        ; implicit-def: $vgpr204_vgpr205
	s_and_saveexec_b64 s[10:11], s[2:3]
	s_xor_b64 s[2:3], exec, s[10:11]
                                        ; implicit-def: $vgpr206_vgpr207
	s_cbranch_execz .LBB105_365
; %bb.364:
	v_div_scale_f64 v[204:205], s[10:11], v[214:215], v[214:215], v[212:213]
	v_rcp_f64_e32 v[206:207], v[204:205]
	v_div_scale_f64 v[216:217], vcc, v[212:213], v[214:215], v[212:213]
	v_fma_f64 v[218:219], -v[204:205], v[206:207], 1.0
	v_fmac_f64_e32 v[206:207], v[206:207], v[218:219]
	v_fma_f64 v[218:219], -v[204:205], v[206:207], 1.0
	v_fmac_f64_e32 v[206:207], v[206:207], v[218:219]
	v_mul_f64 v[218:219], v[216:217], v[206:207]
	v_fma_f64 v[204:205], -v[204:205], v[218:219], v[216:217]
	v_div_fmas_f64 v[204:205], v[204:205], v[206:207], v[218:219]
	v_div_fixup_f64 v[204:205], v[204:205], v[214:215], v[212:213]
	v_fmac_f64_e32 v[214:215], v[212:213], v[204:205]
	v_div_scale_f64 v[206:207], s[10:11], v[214:215], v[214:215], 1.0
	v_rcp_f64_e32 v[212:213], v[206:207]
	s_nop 0
	v_fma_f64 v[216:217], -v[206:207], v[212:213], 1.0
	v_fmac_f64_e32 v[212:213], v[212:213], v[216:217]
	v_fma_f64 v[216:217], -v[206:207], v[212:213], 1.0
	v_fmac_f64_e32 v[212:213], v[212:213], v[216:217]
	v_div_scale_f64 v[216:217], vcc, 1.0, v[214:215], 1.0
	v_mul_f64 v[218:219], v[216:217], v[212:213]
	v_fma_f64 v[206:207], -v[206:207], v[218:219], v[216:217]
	s_nop 1
	v_div_fmas_f64 v[206:207], v[206:207], v[212:213], v[218:219]
	v_div_fixup_f64 v[206:207], v[206:207], v[214:215], 1.0
	v_mul_f64 v[204:205], v[204:205], v[206:207]
	v_xor_b32_e32 v207, 0x80000000, v207
                                        ; implicit-def: $vgpr212_vgpr213
.LBB105_365:
	s_andn2_saveexec_b64 s[2:3], s[2:3]
	s_cbranch_execz .LBB105_367
; %bb.366:
	v_div_scale_f64 v[204:205], s[10:11], v[212:213], v[212:213], v[214:215]
	v_rcp_f64_e32 v[206:207], v[204:205]
	v_div_scale_f64 v[216:217], vcc, v[214:215], v[212:213], v[214:215]
	v_fma_f64 v[218:219], -v[204:205], v[206:207], 1.0
	v_fmac_f64_e32 v[206:207], v[206:207], v[218:219]
	v_fma_f64 v[218:219], -v[204:205], v[206:207], 1.0
	v_fmac_f64_e32 v[206:207], v[206:207], v[218:219]
	v_mul_f64 v[218:219], v[216:217], v[206:207]
	v_fma_f64 v[204:205], -v[204:205], v[218:219], v[216:217]
	v_div_fmas_f64 v[204:205], v[204:205], v[206:207], v[218:219]
	v_div_fixup_f64 v[206:207], v[204:205], v[212:213], v[214:215]
	v_fmac_f64_e32 v[212:213], v[214:215], v[206:207]
	v_div_scale_f64 v[204:205], s[10:11], v[212:213], v[212:213], 1.0
	v_rcp_f64_e32 v[214:215], v[204:205]
	s_nop 0
	v_fma_f64 v[216:217], -v[204:205], v[214:215], 1.0
	v_fmac_f64_e32 v[214:215], v[214:215], v[216:217]
	v_fma_f64 v[216:217], -v[204:205], v[214:215], 1.0
	v_fmac_f64_e32 v[214:215], v[214:215], v[216:217]
	v_div_scale_f64 v[216:217], vcc, 1.0, v[212:213], 1.0
	v_mul_f64 v[218:219], v[216:217], v[214:215]
	v_fma_f64 v[204:205], -v[204:205], v[218:219], v[216:217]
	s_nop 1
	v_div_fmas_f64 v[204:205], v[204:205], v[214:215], v[218:219]
	v_div_fixup_f64 v[204:205], v[204:205], v[212:213], 1.0
	v_mul_f64 v[206:207], v[206:207], -v[204:205]
.LBB105_367:
	s_or_b64 exec, exec, s[2:3]
	ds_write2_b64 v201, v[204:205], v[206:207] offset1:1
.LBB105_368:
	s_or_b64 exec, exec, s[4:5]
	s_waitcnt lgkmcnt(0)
	s_barrier
	ds_read2_b64 v[192:195], v201 offset1:1
	v_cmp_lt_u32_e32 vcc, 40, v200
	s_waitcnt lgkmcnt(0)
	scratch_store_dwordx4 off, v[192:195], off offset:1112 ; 16-byte Folded Spill
	s_and_saveexec_b64 s[2:3], vcc
	s_cbranch_execz .LBB105_370
; %bb.369:
	scratch_load_dwordx4 v[192:195], off, off offset:1112 ; 16-byte Folded Reload
	ds_read2_b64 v[204:207], v202 offset0:82 offset1:83
	s_waitcnt vmcnt(0)
	v_mul_f64 v[212:213], v[192:193], v[46:47]
	v_fmac_f64_e32 v[212:213], v[194:195], v[44:45]
	v_mul_f64 v[46:47], v[194:195], v[46:47]
	v_fma_f64 v[44:45], v[192:193], v[44:45], -v[46:47]
	s_waitcnt lgkmcnt(0)
	v_mul_f64 v[46:47], v[206:207], v[212:213]
	v_fma_f64 v[46:47], v[204:205], v[44:45], -v[46:47]
	v_mul_f64 v[204:205], v[204:205], v[212:213]
	v_fmac_f64_e32 v[204:205], v[206:207], v[44:45]
	v_add_f64 v[42:43], v[42:43], -v[204:205]
	ds_read2_b64 v[204:207], v202 offset0:84 offset1:85
	v_add_f64 v[40:41], v[40:41], -v[46:47]
	s_waitcnt lgkmcnt(0)
	v_mul_f64 v[46:47], v[206:207], v[212:213]
	v_fma_f64 v[46:47], v[204:205], v[44:45], -v[46:47]
	v_mul_f64 v[204:205], v[204:205], v[212:213]
	v_fmac_f64_e32 v[204:205], v[206:207], v[44:45]
	v_add_f64 v[38:39], v[38:39], -v[204:205]
	ds_read2_b64 v[204:207], v202 offset0:86 offset1:87
	v_add_f64 v[36:37], v[36:37], -v[46:47]
	;; [unrolled: 8-line block ×11, first 2 shown]
	s_waitcnt lgkmcnt(0)
	v_mul_f64 v[46:47], v[206:207], v[212:213]
	v_fma_f64 v[46:47], v[204:205], v[44:45], -v[46:47]
	v_mul_f64 v[204:205], v[204:205], v[212:213]
	v_fmac_f64_e32 v[204:205], v[206:207], v[44:45]
	v_add_f64 v[208:209], v[208:209], -v[46:47]
	v_add_f64 v[210:211], v[210:211], -v[204:205]
	v_mov_b64_e32 v[46:47], v[212:213]
.LBB105_370:
	s_or_b64 exec, exec, s[2:3]
	v_cmp_eq_u32_e32 vcc, 41, v200
	s_waitcnt vmcnt(63) expcnt(7) lgkmcnt(15)
	s_barrier
	s_and_saveexec_b64 s[4:5], vcc
	s_cbranch_execz .LBB105_377
; %bb.371:
	ds_write2_b64 v201, v[40:41], v[42:43] offset1:1
	ds_write2_b64 v202, v[36:37], v[38:39] offset0:84 offset1:85
	ds_write2_b64 v202, v[32:33], v[34:35] offset0:86 offset1:87
	;; [unrolled: 1-line block ×4, first 2 shown]
	s_waitcnt vmcnt(62)
	ds_write2_b64 v202, v[20:21], v[22:23] offset0:92 offset1:93
	s_waitcnt vmcnt(61)
	ds_write2_b64 v202, v[16:17], v[18:19] offset0:94 offset1:95
	;; [unrolled: 2-line block ×3, first 2 shown]
	ds_write2_b64 v202, v[8:9], v[10:11] offset0:98 offset1:99
	ds_write2_b64 v202, v[4:5], v[6:7] offset0:100 offset1:101
	s_waitcnt vmcnt(59)
	ds_write2_b64 v202, v[0:1], v[2:3] offset0:102 offset1:103
	s_waitcnt vmcnt(56)
	ds_write2_b64 v202, v[208:209], v[210:211] offset0:104 offset1:105
	ds_read2_b64 v[212:215], v201 offset1:1
	s_waitcnt lgkmcnt(0)
	v_cmp_neq_f64_e32 vcc, 0, v[212:213]
	v_cmp_neq_f64_e64 s[2:3], 0, v[214:215]
	s_or_b64 s[2:3], vcc, s[2:3]
	s_and_b64 exec, exec, s[2:3]
	s_cbranch_execz .LBB105_377
; %bb.372:
	v_cmp_ngt_f64_e64 s[2:3], |v[212:213]|, |v[214:215]|
                                        ; implicit-def: $vgpr204_vgpr205
	s_and_saveexec_b64 s[10:11], s[2:3]
	s_xor_b64 s[2:3], exec, s[10:11]
                                        ; implicit-def: $vgpr206_vgpr207
	s_cbranch_execz .LBB105_374
; %bb.373:
	v_div_scale_f64 v[204:205], s[10:11], v[214:215], v[214:215], v[212:213]
	v_rcp_f64_e32 v[206:207], v[204:205]
	v_div_scale_f64 v[216:217], vcc, v[212:213], v[214:215], v[212:213]
	v_fma_f64 v[218:219], -v[204:205], v[206:207], 1.0
	v_fmac_f64_e32 v[206:207], v[206:207], v[218:219]
	v_fma_f64 v[218:219], -v[204:205], v[206:207], 1.0
	v_fmac_f64_e32 v[206:207], v[206:207], v[218:219]
	v_mul_f64 v[218:219], v[216:217], v[206:207]
	v_fma_f64 v[204:205], -v[204:205], v[218:219], v[216:217]
	v_div_fmas_f64 v[204:205], v[204:205], v[206:207], v[218:219]
	v_div_fixup_f64 v[204:205], v[204:205], v[214:215], v[212:213]
	v_fmac_f64_e32 v[214:215], v[212:213], v[204:205]
	v_div_scale_f64 v[206:207], s[10:11], v[214:215], v[214:215], 1.0
	v_rcp_f64_e32 v[212:213], v[206:207]
	s_nop 0
	v_fma_f64 v[216:217], -v[206:207], v[212:213], 1.0
	v_fmac_f64_e32 v[212:213], v[212:213], v[216:217]
	v_fma_f64 v[216:217], -v[206:207], v[212:213], 1.0
	v_fmac_f64_e32 v[212:213], v[212:213], v[216:217]
	v_div_scale_f64 v[216:217], vcc, 1.0, v[214:215], 1.0
	v_mul_f64 v[218:219], v[216:217], v[212:213]
	v_fma_f64 v[206:207], -v[206:207], v[218:219], v[216:217]
	s_nop 1
	v_div_fmas_f64 v[206:207], v[206:207], v[212:213], v[218:219]
	v_div_fixup_f64 v[206:207], v[206:207], v[214:215], 1.0
	v_mul_f64 v[204:205], v[204:205], v[206:207]
	v_xor_b32_e32 v207, 0x80000000, v207
                                        ; implicit-def: $vgpr212_vgpr213
.LBB105_374:
	s_andn2_saveexec_b64 s[2:3], s[2:3]
	s_cbranch_execz .LBB105_376
; %bb.375:
	v_div_scale_f64 v[204:205], s[10:11], v[212:213], v[212:213], v[214:215]
	v_rcp_f64_e32 v[206:207], v[204:205]
	v_div_scale_f64 v[216:217], vcc, v[214:215], v[212:213], v[214:215]
	v_fma_f64 v[218:219], -v[204:205], v[206:207], 1.0
	v_fmac_f64_e32 v[206:207], v[206:207], v[218:219]
	v_fma_f64 v[218:219], -v[204:205], v[206:207], 1.0
	v_fmac_f64_e32 v[206:207], v[206:207], v[218:219]
	v_mul_f64 v[218:219], v[216:217], v[206:207]
	v_fma_f64 v[204:205], -v[204:205], v[218:219], v[216:217]
	v_div_fmas_f64 v[204:205], v[204:205], v[206:207], v[218:219]
	v_div_fixup_f64 v[206:207], v[204:205], v[212:213], v[214:215]
	v_fmac_f64_e32 v[212:213], v[214:215], v[206:207]
	v_div_scale_f64 v[204:205], s[10:11], v[212:213], v[212:213], 1.0
	v_rcp_f64_e32 v[214:215], v[204:205]
	s_nop 0
	v_fma_f64 v[216:217], -v[204:205], v[214:215], 1.0
	v_fmac_f64_e32 v[214:215], v[214:215], v[216:217]
	v_fma_f64 v[216:217], -v[204:205], v[214:215], 1.0
	v_fmac_f64_e32 v[214:215], v[214:215], v[216:217]
	v_div_scale_f64 v[216:217], vcc, 1.0, v[212:213], 1.0
	v_mul_f64 v[218:219], v[216:217], v[214:215]
	v_fma_f64 v[204:205], -v[204:205], v[218:219], v[216:217]
	s_nop 1
	v_div_fmas_f64 v[204:205], v[204:205], v[214:215], v[218:219]
	v_div_fixup_f64 v[204:205], v[204:205], v[212:213], 1.0
	v_mul_f64 v[206:207], v[206:207], -v[204:205]
.LBB105_376:
	s_or_b64 exec, exec, s[2:3]
	ds_write2_b64 v201, v[204:205], v[206:207] offset1:1
.LBB105_377:
	s_or_b64 exec, exec, s[4:5]
	s_waitcnt lgkmcnt(0)
	s_barrier
	ds_read2_b64 v[248:251], v201 offset1:1
	v_cmp_lt_u32_e32 vcc, 41, v200
	s_and_saveexec_b64 s[2:3], vcc
	s_cbranch_execz .LBB105_379
; %bb.378:
	ds_read2_b64 v[204:207], v202 offset0:84 offset1:85
	s_waitcnt lgkmcnt(1)
	v_mul_f64 v[212:213], v[248:249], v[42:43]
	v_fmac_f64_e32 v[212:213], v[250:251], v[40:41]
	v_mul_f64 v[42:43], v[250:251], v[42:43]
	v_fma_f64 v[40:41], v[248:249], v[40:41], -v[42:43]
	s_waitcnt lgkmcnt(0)
	v_mul_f64 v[42:43], v[206:207], v[212:213]
	v_fma_f64 v[42:43], v[204:205], v[40:41], -v[42:43]
	v_mul_f64 v[204:205], v[204:205], v[212:213]
	v_fmac_f64_e32 v[204:205], v[206:207], v[40:41]
	v_add_f64 v[38:39], v[38:39], -v[204:205]
	ds_read2_b64 v[204:207], v202 offset0:86 offset1:87
	v_add_f64 v[36:37], v[36:37], -v[42:43]
	s_waitcnt lgkmcnt(0)
	v_mul_f64 v[42:43], v[206:207], v[212:213]
	v_fma_f64 v[42:43], v[204:205], v[40:41], -v[42:43]
	v_mul_f64 v[204:205], v[204:205], v[212:213]
	v_fmac_f64_e32 v[204:205], v[206:207], v[40:41]
	v_add_f64 v[34:35], v[34:35], -v[204:205]
	ds_read2_b64 v[204:207], v202 offset0:88 offset1:89
	v_add_f64 v[32:33], v[32:33], -v[42:43]
	s_waitcnt lgkmcnt(0)
	v_mul_f64 v[42:43], v[206:207], v[212:213]
	v_fma_f64 v[42:43], v[204:205], v[40:41], -v[42:43]
	v_mul_f64 v[204:205], v[204:205], v[212:213]
	v_fmac_f64_e32 v[204:205], v[206:207], v[40:41]
	v_add_f64 v[30:31], v[30:31], -v[204:205]
	ds_read2_b64 v[204:207], v202 offset0:90 offset1:91
	v_add_f64 v[28:29], v[28:29], -v[42:43]
	s_waitcnt lgkmcnt(0)
	v_mul_f64 v[42:43], v[206:207], v[212:213]
	v_fma_f64 v[42:43], v[204:205], v[40:41], -v[42:43]
	v_mul_f64 v[204:205], v[204:205], v[212:213]
	v_fmac_f64_e32 v[204:205], v[206:207], v[40:41]
	v_add_f64 v[26:27], v[26:27], -v[204:205]
	ds_read2_b64 v[204:207], v202 offset0:92 offset1:93
	v_add_f64 v[24:25], v[24:25], -v[42:43]
	s_waitcnt lgkmcnt(0)
	v_mul_f64 v[42:43], v[206:207], v[212:213]
	v_fma_f64 v[42:43], v[204:205], v[40:41], -v[42:43]
	v_mul_f64 v[204:205], v[204:205], v[212:213]
	v_fmac_f64_e32 v[204:205], v[206:207], v[40:41]
	s_waitcnt vmcnt(62)
	v_add_f64 v[22:23], v[22:23], -v[204:205]
	ds_read2_b64 v[204:207], v202 offset0:94 offset1:95
	v_add_f64 v[20:21], v[20:21], -v[42:43]
	s_waitcnt lgkmcnt(0)
	v_mul_f64 v[42:43], v[206:207], v[212:213]
	v_fma_f64 v[42:43], v[204:205], v[40:41], -v[42:43]
	v_mul_f64 v[204:205], v[204:205], v[212:213]
	v_fmac_f64_e32 v[204:205], v[206:207], v[40:41]
	s_waitcnt vmcnt(61)
	v_add_f64 v[18:19], v[18:19], -v[204:205]
	ds_read2_b64 v[204:207], v202 offset0:96 offset1:97
	v_add_f64 v[16:17], v[16:17], -v[42:43]
	;; [unrolled: 9-line block ×3, first 2 shown]
	s_waitcnt lgkmcnt(0)
	v_mul_f64 v[42:43], v[206:207], v[212:213]
	v_fma_f64 v[42:43], v[204:205], v[40:41], -v[42:43]
	v_mul_f64 v[204:205], v[204:205], v[212:213]
	v_fmac_f64_e32 v[204:205], v[206:207], v[40:41]
	v_add_f64 v[10:11], v[10:11], -v[204:205]
	ds_read2_b64 v[204:207], v202 offset0:100 offset1:101
	v_add_f64 v[8:9], v[8:9], -v[42:43]
	s_waitcnt lgkmcnt(0)
	v_mul_f64 v[42:43], v[206:207], v[212:213]
	v_fma_f64 v[42:43], v[204:205], v[40:41], -v[42:43]
	v_mul_f64 v[204:205], v[204:205], v[212:213]
	v_fmac_f64_e32 v[204:205], v[206:207], v[40:41]
	v_add_f64 v[6:7], v[6:7], -v[204:205]
	ds_read2_b64 v[204:207], v202 offset0:102 offset1:103
	v_add_f64 v[4:5], v[4:5], -v[42:43]
	s_waitcnt lgkmcnt(0)
	v_mul_f64 v[42:43], v[206:207], v[212:213]
	v_fma_f64 v[42:43], v[204:205], v[40:41], -v[42:43]
	v_mul_f64 v[204:205], v[204:205], v[212:213]
	v_fmac_f64_e32 v[204:205], v[206:207], v[40:41]
	s_waitcnt vmcnt(59)
	v_add_f64 v[2:3], v[2:3], -v[204:205]
	ds_read2_b64 v[204:207], v202 offset0:104 offset1:105
	v_add_f64 v[0:1], v[0:1], -v[42:43]
	s_waitcnt lgkmcnt(0)
	v_mul_f64 v[42:43], v[206:207], v[212:213]
	v_fma_f64 v[42:43], v[204:205], v[40:41], -v[42:43]
	v_mul_f64 v[204:205], v[204:205], v[212:213]
	v_fmac_f64_e32 v[204:205], v[206:207], v[40:41]
	s_waitcnt vmcnt(56)
	v_add_f64 v[208:209], v[208:209], -v[42:43]
	v_add_f64 v[210:211], v[210:211], -v[204:205]
	v_mov_b64_e32 v[42:43], v[212:213]
.LBB105_379:
	s_or_b64 exec, exec, s[2:3]
	v_cmp_eq_u32_e32 vcc, 42, v200
	s_waitcnt lgkmcnt(0)
	s_barrier
	s_and_saveexec_b64 s[4:5], vcc
	s_cbranch_execz .LBB105_386
; %bb.380:
	ds_write2_b64 v201, v[36:37], v[38:39] offset1:1
	ds_write2_b64 v202, v[32:33], v[34:35] offset0:86 offset1:87
	ds_write2_b64 v202, v[28:29], v[30:31] offset0:88 offset1:89
	;; [unrolled: 1-line block ×3, first 2 shown]
	s_waitcnt vmcnt(62)
	ds_write2_b64 v202, v[20:21], v[22:23] offset0:92 offset1:93
	s_waitcnt vmcnt(61)
	ds_write2_b64 v202, v[16:17], v[18:19] offset0:94 offset1:95
	;; [unrolled: 2-line block ×3, first 2 shown]
	ds_write2_b64 v202, v[8:9], v[10:11] offset0:98 offset1:99
	ds_write2_b64 v202, v[4:5], v[6:7] offset0:100 offset1:101
	s_waitcnt vmcnt(59)
	ds_write2_b64 v202, v[0:1], v[2:3] offset0:102 offset1:103
	s_waitcnt vmcnt(56)
	ds_write2_b64 v202, v[208:209], v[210:211] offset0:104 offset1:105
	ds_read2_b64 v[212:215], v201 offset1:1
	s_waitcnt lgkmcnt(0)
	v_cmp_neq_f64_e32 vcc, 0, v[212:213]
	v_cmp_neq_f64_e64 s[2:3], 0, v[214:215]
	s_or_b64 s[2:3], vcc, s[2:3]
	s_and_b64 exec, exec, s[2:3]
	s_cbranch_execz .LBB105_386
; %bb.381:
	v_cmp_ngt_f64_e64 s[2:3], |v[212:213]|, |v[214:215]|
                                        ; implicit-def: $vgpr204_vgpr205
	s_and_saveexec_b64 s[10:11], s[2:3]
	s_xor_b64 s[2:3], exec, s[10:11]
                                        ; implicit-def: $vgpr206_vgpr207
	s_cbranch_execz .LBB105_383
; %bb.382:
	v_div_scale_f64 v[204:205], s[10:11], v[214:215], v[214:215], v[212:213]
	v_rcp_f64_e32 v[206:207], v[204:205]
	v_div_scale_f64 v[216:217], vcc, v[212:213], v[214:215], v[212:213]
	v_fma_f64 v[218:219], -v[204:205], v[206:207], 1.0
	v_fmac_f64_e32 v[206:207], v[206:207], v[218:219]
	v_fma_f64 v[218:219], -v[204:205], v[206:207], 1.0
	v_fmac_f64_e32 v[206:207], v[206:207], v[218:219]
	v_mul_f64 v[218:219], v[216:217], v[206:207]
	v_fma_f64 v[204:205], -v[204:205], v[218:219], v[216:217]
	v_div_fmas_f64 v[204:205], v[204:205], v[206:207], v[218:219]
	v_div_fixup_f64 v[204:205], v[204:205], v[214:215], v[212:213]
	v_fmac_f64_e32 v[214:215], v[212:213], v[204:205]
	v_div_scale_f64 v[206:207], s[10:11], v[214:215], v[214:215], 1.0
	v_rcp_f64_e32 v[212:213], v[206:207]
	s_nop 0
	v_fma_f64 v[216:217], -v[206:207], v[212:213], 1.0
	v_fmac_f64_e32 v[212:213], v[212:213], v[216:217]
	v_fma_f64 v[216:217], -v[206:207], v[212:213], 1.0
	v_fmac_f64_e32 v[212:213], v[212:213], v[216:217]
	v_div_scale_f64 v[216:217], vcc, 1.0, v[214:215], 1.0
	v_mul_f64 v[218:219], v[216:217], v[212:213]
	v_fma_f64 v[206:207], -v[206:207], v[218:219], v[216:217]
	s_nop 1
	v_div_fmas_f64 v[206:207], v[206:207], v[212:213], v[218:219]
	v_div_fixup_f64 v[206:207], v[206:207], v[214:215], 1.0
	v_mul_f64 v[204:205], v[204:205], v[206:207]
	v_xor_b32_e32 v207, 0x80000000, v207
                                        ; implicit-def: $vgpr212_vgpr213
.LBB105_383:
	s_andn2_saveexec_b64 s[2:3], s[2:3]
	s_cbranch_execz .LBB105_385
; %bb.384:
	v_div_scale_f64 v[204:205], s[10:11], v[212:213], v[212:213], v[214:215]
	v_rcp_f64_e32 v[206:207], v[204:205]
	v_div_scale_f64 v[216:217], vcc, v[214:215], v[212:213], v[214:215]
	v_fma_f64 v[218:219], -v[204:205], v[206:207], 1.0
	v_fmac_f64_e32 v[206:207], v[206:207], v[218:219]
	v_fma_f64 v[218:219], -v[204:205], v[206:207], 1.0
	v_fmac_f64_e32 v[206:207], v[206:207], v[218:219]
	v_mul_f64 v[218:219], v[216:217], v[206:207]
	v_fma_f64 v[204:205], -v[204:205], v[218:219], v[216:217]
	v_div_fmas_f64 v[204:205], v[204:205], v[206:207], v[218:219]
	v_div_fixup_f64 v[206:207], v[204:205], v[212:213], v[214:215]
	v_fmac_f64_e32 v[212:213], v[214:215], v[206:207]
	v_div_scale_f64 v[204:205], s[10:11], v[212:213], v[212:213], 1.0
	v_rcp_f64_e32 v[214:215], v[204:205]
	s_nop 0
	v_fma_f64 v[216:217], -v[204:205], v[214:215], 1.0
	v_fmac_f64_e32 v[214:215], v[214:215], v[216:217]
	v_fma_f64 v[216:217], -v[204:205], v[214:215], 1.0
	v_fmac_f64_e32 v[214:215], v[214:215], v[216:217]
	v_div_scale_f64 v[216:217], vcc, 1.0, v[212:213], 1.0
	v_mul_f64 v[218:219], v[216:217], v[214:215]
	v_fma_f64 v[204:205], -v[204:205], v[218:219], v[216:217]
	s_nop 1
	v_div_fmas_f64 v[204:205], v[204:205], v[214:215], v[218:219]
	v_div_fixup_f64 v[204:205], v[204:205], v[212:213], 1.0
	v_mul_f64 v[206:207], v[206:207], -v[204:205]
.LBB105_385:
	s_or_b64 exec, exec, s[2:3]
	ds_write2_b64 v201, v[204:205], v[206:207] offset1:1
.LBB105_386:
	s_or_b64 exec, exec, s[4:5]
	s_waitcnt lgkmcnt(0)
	s_barrier
	ds_read2_b64 v[252:255], v201 offset1:1
	v_cmp_lt_u32_e32 vcc, 42, v200
	s_and_saveexec_b64 s[2:3], vcc
	s_cbranch_execz .LBB105_388
; %bb.387:
	ds_read2_b64 v[204:207], v202 offset0:86 offset1:87
	s_waitcnt lgkmcnt(1)
	v_mul_f64 v[212:213], v[252:253], v[38:39]
	v_fmac_f64_e32 v[212:213], v[254:255], v[36:37]
	v_mul_f64 v[38:39], v[254:255], v[38:39]
	v_fma_f64 v[36:37], v[252:253], v[36:37], -v[38:39]
	s_waitcnt lgkmcnt(0)
	v_mul_f64 v[38:39], v[206:207], v[212:213]
	v_fma_f64 v[38:39], v[204:205], v[36:37], -v[38:39]
	v_mul_f64 v[204:205], v[204:205], v[212:213]
	v_fmac_f64_e32 v[204:205], v[206:207], v[36:37]
	v_add_f64 v[34:35], v[34:35], -v[204:205]
	ds_read2_b64 v[204:207], v202 offset0:88 offset1:89
	v_add_f64 v[32:33], v[32:33], -v[38:39]
	s_waitcnt lgkmcnt(0)
	v_mul_f64 v[38:39], v[206:207], v[212:213]
	v_fma_f64 v[38:39], v[204:205], v[36:37], -v[38:39]
	v_mul_f64 v[204:205], v[204:205], v[212:213]
	v_fmac_f64_e32 v[204:205], v[206:207], v[36:37]
	v_add_f64 v[30:31], v[30:31], -v[204:205]
	ds_read2_b64 v[204:207], v202 offset0:90 offset1:91
	v_add_f64 v[28:29], v[28:29], -v[38:39]
	;; [unrolled: 8-line block ×3, first 2 shown]
	s_waitcnt lgkmcnt(0)
	v_mul_f64 v[38:39], v[206:207], v[212:213]
	v_fma_f64 v[38:39], v[204:205], v[36:37], -v[38:39]
	v_mul_f64 v[204:205], v[204:205], v[212:213]
	v_fmac_f64_e32 v[204:205], v[206:207], v[36:37]
	s_waitcnt vmcnt(62)
	v_add_f64 v[22:23], v[22:23], -v[204:205]
	ds_read2_b64 v[204:207], v202 offset0:94 offset1:95
	v_add_f64 v[20:21], v[20:21], -v[38:39]
	s_waitcnt lgkmcnt(0)
	v_mul_f64 v[38:39], v[206:207], v[212:213]
	v_fma_f64 v[38:39], v[204:205], v[36:37], -v[38:39]
	v_mul_f64 v[204:205], v[204:205], v[212:213]
	v_fmac_f64_e32 v[204:205], v[206:207], v[36:37]
	s_waitcnt vmcnt(61)
	v_add_f64 v[18:19], v[18:19], -v[204:205]
	ds_read2_b64 v[204:207], v202 offset0:96 offset1:97
	v_add_f64 v[16:17], v[16:17], -v[38:39]
	;; [unrolled: 9-line block ×3, first 2 shown]
	s_waitcnt lgkmcnt(0)
	v_mul_f64 v[38:39], v[206:207], v[212:213]
	v_fma_f64 v[38:39], v[204:205], v[36:37], -v[38:39]
	v_mul_f64 v[204:205], v[204:205], v[212:213]
	v_fmac_f64_e32 v[204:205], v[206:207], v[36:37]
	v_add_f64 v[10:11], v[10:11], -v[204:205]
	ds_read2_b64 v[204:207], v202 offset0:100 offset1:101
	v_add_f64 v[8:9], v[8:9], -v[38:39]
	s_waitcnt lgkmcnt(0)
	v_mul_f64 v[38:39], v[206:207], v[212:213]
	v_fma_f64 v[38:39], v[204:205], v[36:37], -v[38:39]
	v_mul_f64 v[204:205], v[204:205], v[212:213]
	v_fmac_f64_e32 v[204:205], v[206:207], v[36:37]
	v_add_f64 v[6:7], v[6:7], -v[204:205]
	ds_read2_b64 v[204:207], v202 offset0:102 offset1:103
	v_add_f64 v[4:5], v[4:5], -v[38:39]
	s_waitcnt lgkmcnt(0)
	v_mul_f64 v[38:39], v[206:207], v[212:213]
	v_fma_f64 v[38:39], v[204:205], v[36:37], -v[38:39]
	v_mul_f64 v[204:205], v[204:205], v[212:213]
	v_fmac_f64_e32 v[204:205], v[206:207], v[36:37]
	s_waitcnt vmcnt(59)
	v_add_f64 v[2:3], v[2:3], -v[204:205]
	ds_read2_b64 v[204:207], v202 offset0:104 offset1:105
	v_add_f64 v[0:1], v[0:1], -v[38:39]
	s_waitcnt lgkmcnt(0)
	v_mul_f64 v[38:39], v[206:207], v[212:213]
	v_fma_f64 v[38:39], v[204:205], v[36:37], -v[38:39]
	v_mul_f64 v[204:205], v[204:205], v[212:213]
	v_fmac_f64_e32 v[204:205], v[206:207], v[36:37]
	s_waitcnt vmcnt(56)
	v_add_f64 v[208:209], v[208:209], -v[38:39]
	v_add_f64 v[210:211], v[210:211], -v[204:205]
	v_mov_b64_e32 v[38:39], v[212:213]
.LBB105_388:
	s_or_b64 exec, exec, s[2:3]
	v_cmp_eq_u32_e32 vcc, 43, v200
	s_waitcnt lgkmcnt(0)
	s_barrier
	s_and_saveexec_b64 s[4:5], vcc
	s_cbranch_execz .LBB105_395
; %bb.389:
	ds_write2_b64 v201, v[32:33], v[34:35] offset1:1
	ds_write2_b64 v202, v[28:29], v[30:31] offset0:88 offset1:89
	ds_write2_b64 v202, v[24:25], v[26:27] offset0:90 offset1:91
	s_waitcnt vmcnt(62)
	ds_write2_b64 v202, v[20:21], v[22:23] offset0:92 offset1:93
	s_waitcnt vmcnt(61)
	;; [unrolled: 2-line block ×3, first 2 shown]
	ds_write2_b64 v202, v[12:13], v[14:15] offset0:96 offset1:97
	ds_write2_b64 v202, v[8:9], v[10:11] offset0:98 offset1:99
	;; [unrolled: 1-line block ×3, first 2 shown]
	s_waitcnt vmcnt(59)
	ds_write2_b64 v202, v[0:1], v[2:3] offset0:102 offset1:103
	s_waitcnt vmcnt(56)
	ds_write2_b64 v202, v[208:209], v[210:211] offset0:104 offset1:105
	ds_read2_b64 v[212:215], v201 offset1:1
	s_waitcnt lgkmcnt(0)
	v_cmp_neq_f64_e32 vcc, 0, v[212:213]
	v_cmp_neq_f64_e64 s[2:3], 0, v[214:215]
	s_or_b64 s[2:3], vcc, s[2:3]
	s_and_b64 exec, exec, s[2:3]
	s_cbranch_execz .LBB105_395
; %bb.390:
	v_cmp_ngt_f64_e64 s[2:3], |v[212:213]|, |v[214:215]|
                                        ; implicit-def: $vgpr204_vgpr205
	s_and_saveexec_b64 s[10:11], s[2:3]
	s_xor_b64 s[2:3], exec, s[10:11]
                                        ; implicit-def: $vgpr206_vgpr207
	s_cbranch_execz .LBB105_392
; %bb.391:
	v_div_scale_f64 v[204:205], s[10:11], v[214:215], v[214:215], v[212:213]
	v_rcp_f64_e32 v[206:207], v[204:205]
	v_div_scale_f64 v[216:217], vcc, v[212:213], v[214:215], v[212:213]
	v_fma_f64 v[218:219], -v[204:205], v[206:207], 1.0
	v_fmac_f64_e32 v[206:207], v[206:207], v[218:219]
	v_fma_f64 v[218:219], -v[204:205], v[206:207], 1.0
	v_fmac_f64_e32 v[206:207], v[206:207], v[218:219]
	v_mul_f64 v[218:219], v[216:217], v[206:207]
	v_fma_f64 v[204:205], -v[204:205], v[218:219], v[216:217]
	v_div_fmas_f64 v[204:205], v[204:205], v[206:207], v[218:219]
	v_div_fixup_f64 v[204:205], v[204:205], v[214:215], v[212:213]
	v_fmac_f64_e32 v[214:215], v[212:213], v[204:205]
	v_div_scale_f64 v[206:207], s[10:11], v[214:215], v[214:215], 1.0
	v_rcp_f64_e32 v[212:213], v[206:207]
	s_nop 0
	v_fma_f64 v[216:217], -v[206:207], v[212:213], 1.0
	v_fmac_f64_e32 v[212:213], v[212:213], v[216:217]
	v_fma_f64 v[216:217], -v[206:207], v[212:213], 1.0
	v_fmac_f64_e32 v[212:213], v[212:213], v[216:217]
	v_div_scale_f64 v[216:217], vcc, 1.0, v[214:215], 1.0
	v_mul_f64 v[218:219], v[216:217], v[212:213]
	v_fma_f64 v[206:207], -v[206:207], v[218:219], v[216:217]
	s_nop 1
	v_div_fmas_f64 v[206:207], v[206:207], v[212:213], v[218:219]
	v_div_fixup_f64 v[206:207], v[206:207], v[214:215], 1.0
	v_mul_f64 v[204:205], v[204:205], v[206:207]
	v_xor_b32_e32 v207, 0x80000000, v207
                                        ; implicit-def: $vgpr212_vgpr213
.LBB105_392:
	s_andn2_saveexec_b64 s[2:3], s[2:3]
	s_cbranch_execz .LBB105_394
; %bb.393:
	v_div_scale_f64 v[204:205], s[10:11], v[212:213], v[212:213], v[214:215]
	v_rcp_f64_e32 v[206:207], v[204:205]
	v_div_scale_f64 v[216:217], vcc, v[214:215], v[212:213], v[214:215]
	v_fma_f64 v[218:219], -v[204:205], v[206:207], 1.0
	v_fmac_f64_e32 v[206:207], v[206:207], v[218:219]
	v_fma_f64 v[218:219], -v[204:205], v[206:207], 1.0
	v_fmac_f64_e32 v[206:207], v[206:207], v[218:219]
	v_mul_f64 v[218:219], v[216:217], v[206:207]
	v_fma_f64 v[204:205], -v[204:205], v[218:219], v[216:217]
	v_div_fmas_f64 v[204:205], v[204:205], v[206:207], v[218:219]
	v_div_fixup_f64 v[206:207], v[204:205], v[212:213], v[214:215]
	v_fmac_f64_e32 v[212:213], v[214:215], v[206:207]
	v_div_scale_f64 v[204:205], s[10:11], v[212:213], v[212:213], 1.0
	v_rcp_f64_e32 v[214:215], v[204:205]
	s_nop 0
	v_fma_f64 v[216:217], -v[204:205], v[214:215], 1.0
	v_fmac_f64_e32 v[214:215], v[214:215], v[216:217]
	v_fma_f64 v[216:217], -v[204:205], v[214:215], 1.0
	v_fmac_f64_e32 v[214:215], v[214:215], v[216:217]
	v_div_scale_f64 v[216:217], vcc, 1.0, v[212:213], 1.0
	v_mul_f64 v[218:219], v[216:217], v[214:215]
	v_fma_f64 v[204:205], -v[204:205], v[218:219], v[216:217]
	s_nop 1
	v_div_fmas_f64 v[204:205], v[204:205], v[214:215], v[218:219]
	v_div_fixup_f64 v[204:205], v[204:205], v[212:213], 1.0
	v_mul_f64 v[206:207], v[206:207], -v[204:205]
.LBB105_394:
	s_or_b64 exec, exec, s[2:3]
	ds_write2_b64 v201, v[204:205], v[206:207] offset1:1
.LBB105_395:
	s_or_b64 exec, exec, s[4:5]
	s_waitcnt lgkmcnt(0)
	s_barrier
	ds_read2_b64 v[192:195], v201 offset1:1
	v_cmp_lt_u32_e32 vcc, 43, v200
	s_waitcnt lgkmcnt(0)
	scratch_store_dwordx4 off, v[192:195], off offset:1128 ; 16-byte Folded Spill
	s_and_saveexec_b64 s[2:3], vcc
	s_cbranch_execz .LBB105_397
; %bb.396:
	scratch_load_dwordx4 v[192:195], off, off offset:1128 ; 16-byte Folded Reload
	ds_read2_b64 v[204:207], v202 offset0:88 offset1:89
	s_waitcnt vmcnt(0)
	v_mul_f64 v[212:213], v[192:193], v[34:35]
	v_fmac_f64_e32 v[212:213], v[194:195], v[32:33]
	v_mul_f64 v[34:35], v[194:195], v[34:35]
	v_fma_f64 v[32:33], v[192:193], v[32:33], -v[34:35]
	s_waitcnt lgkmcnt(0)
	v_mul_f64 v[34:35], v[206:207], v[212:213]
	v_fma_f64 v[34:35], v[204:205], v[32:33], -v[34:35]
	v_mul_f64 v[204:205], v[204:205], v[212:213]
	v_fmac_f64_e32 v[204:205], v[206:207], v[32:33]
	v_add_f64 v[30:31], v[30:31], -v[204:205]
	ds_read2_b64 v[204:207], v202 offset0:90 offset1:91
	v_add_f64 v[28:29], v[28:29], -v[34:35]
	s_waitcnt lgkmcnt(0)
	v_mul_f64 v[34:35], v[206:207], v[212:213]
	v_fma_f64 v[34:35], v[204:205], v[32:33], -v[34:35]
	v_mul_f64 v[204:205], v[204:205], v[212:213]
	v_fmac_f64_e32 v[204:205], v[206:207], v[32:33]
	v_add_f64 v[26:27], v[26:27], -v[204:205]
	ds_read2_b64 v[204:207], v202 offset0:92 offset1:93
	v_add_f64 v[24:25], v[24:25], -v[34:35]
	;; [unrolled: 8-line block ×8, first 2 shown]
	s_waitcnt lgkmcnt(0)
	v_mul_f64 v[34:35], v[206:207], v[212:213]
	v_fma_f64 v[34:35], v[204:205], v[32:33], -v[34:35]
	v_mul_f64 v[204:205], v[204:205], v[212:213]
	v_fmac_f64_e32 v[204:205], v[206:207], v[32:33]
	v_add_f64 v[208:209], v[208:209], -v[34:35]
	v_add_f64 v[210:211], v[210:211], -v[204:205]
	v_mov_b64_e32 v[34:35], v[212:213]
.LBB105_397:
	s_or_b64 exec, exec, s[2:3]
	v_cmp_eq_u32_e32 vcc, 44, v200
	s_waitcnt vmcnt(63) expcnt(7) lgkmcnt(15)
	s_barrier
	s_and_saveexec_b64 s[4:5], vcc
	s_cbranch_execz .LBB105_404
; %bb.398:
	ds_write2_b64 v201, v[28:29], v[30:31] offset1:1
	ds_write2_b64 v202, v[24:25], v[26:27] offset0:90 offset1:91
	ds_write2_b64 v202, v[20:21], v[22:23] offset0:92 offset1:93
	s_waitcnt vmcnt(62)
	ds_write2_b64 v202, v[16:17], v[18:19] offset0:94 offset1:95
	s_waitcnt vmcnt(61)
	ds_write2_b64 v202, v[12:13], v[14:15] offset0:96 offset1:97
	ds_write2_b64 v202, v[8:9], v[10:11] offset0:98 offset1:99
	;; [unrolled: 1-line block ×3, first 2 shown]
	s_waitcnt vmcnt(60)
	ds_write2_b64 v202, v[0:1], v[2:3] offset0:102 offset1:103
	s_waitcnt vmcnt(57)
	ds_write2_b64 v202, v[208:209], v[210:211] offset0:104 offset1:105
	ds_read2_b64 v[212:215], v201 offset1:1
	s_waitcnt lgkmcnt(0)
	v_cmp_neq_f64_e32 vcc, 0, v[212:213]
	v_cmp_neq_f64_e64 s[2:3], 0, v[214:215]
	s_or_b64 s[2:3], vcc, s[2:3]
	s_and_b64 exec, exec, s[2:3]
	s_cbranch_execz .LBB105_404
; %bb.399:
	v_cmp_ngt_f64_e64 s[2:3], |v[212:213]|, |v[214:215]|
                                        ; implicit-def: $vgpr204_vgpr205
	s_and_saveexec_b64 s[10:11], s[2:3]
	s_xor_b64 s[2:3], exec, s[10:11]
                                        ; implicit-def: $vgpr206_vgpr207
	s_cbranch_execz .LBB105_401
; %bb.400:
	v_div_scale_f64 v[204:205], s[10:11], v[214:215], v[214:215], v[212:213]
	v_rcp_f64_e32 v[206:207], v[204:205]
	v_div_scale_f64 v[216:217], vcc, v[212:213], v[214:215], v[212:213]
	v_fma_f64 v[218:219], -v[204:205], v[206:207], 1.0
	v_fmac_f64_e32 v[206:207], v[206:207], v[218:219]
	v_fma_f64 v[218:219], -v[204:205], v[206:207], 1.0
	v_fmac_f64_e32 v[206:207], v[206:207], v[218:219]
	v_mul_f64 v[218:219], v[216:217], v[206:207]
	v_fma_f64 v[204:205], -v[204:205], v[218:219], v[216:217]
	v_div_fmas_f64 v[204:205], v[204:205], v[206:207], v[218:219]
	v_div_fixup_f64 v[204:205], v[204:205], v[214:215], v[212:213]
	v_fmac_f64_e32 v[214:215], v[212:213], v[204:205]
	v_div_scale_f64 v[206:207], s[10:11], v[214:215], v[214:215], 1.0
	v_rcp_f64_e32 v[212:213], v[206:207]
	s_nop 0
	v_fma_f64 v[216:217], -v[206:207], v[212:213], 1.0
	v_fmac_f64_e32 v[212:213], v[212:213], v[216:217]
	v_fma_f64 v[216:217], -v[206:207], v[212:213], 1.0
	v_fmac_f64_e32 v[212:213], v[212:213], v[216:217]
	v_div_scale_f64 v[216:217], vcc, 1.0, v[214:215], 1.0
	v_mul_f64 v[218:219], v[216:217], v[212:213]
	v_fma_f64 v[206:207], -v[206:207], v[218:219], v[216:217]
	s_nop 1
	v_div_fmas_f64 v[206:207], v[206:207], v[212:213], v[218:219]
	v_div_fixup_f64 v[206:207], v[206:207], v[214:215], 1.0
	v_mul_f64 v[204:205], v[204:205], v[206:207]
	v_xor_b32_e32 v207, 0x80000000, v207
                                        ; implicit-def: $vgpr212_vgpr213
.LBB105_401:
	s_andn2_saveexec_b64 s[2:3], s[2:3]
	s_cbranch_execz .LBB105_403
; %bb.402:
	v_div_scale_f64 v[204:205], s[10:11], v[212:213], v[212:213], v[214:215]
	v_rcp_f64_e32 v[206:207], v[204:205]
	v_div_scale_f64 v[216:217], vcc, v[214:215], v[212:213], v[214:215]
	v_fma_f64 v[218:219], -v[204:205], v[206:207], 1.0
	v_fmac_f64_e32 v[206:207], v[206:207], v[218:219]
	v_fma_f64 v[218:219], -v[204:205], v[206:207], 1.0
	v_fmac_f64_e32 v[206:207], v[206:207], v[218:219]
	v_mul_f64 v[218:219], v[216:217], v[206:207]
	v_fma_f64 v[204:205], -v[204:205], v[218:219], v[216:217]
	v_div_fmas_f64 v[204:205], v[204:205], v[206:207], v[218:219]
	v_div_fixup_f64 v[206:207], v[204:205], v[212:213], v[214:215]
	v_fmac_f64_e32 v[212:213], v[214:215], v[206:207]
	v_div_scale_f64 v[204:205], s[10:11], v[212:213], v[212:213], 1.0
	v_rcp_f64_e32 v[214:215], v[204:205]
	s_nop 0
	v_fma_f64 v[216:217], -v[204:205], v[214:215], 1.0
	v_fmac_f64_e32 v[214:215], v[214:215], v[216:217]
	v_fma_f64 v[216:217], -v[204:205], v[214:215], 1.0
	v_fmac_f64_e32 v[214:215], v[214:215], v[216:217]
	v_div_scale_f64 v[216:217], vcc, 1.0, v[212:213], 1.0
	v_mul_f64 v[218:219], v[216:217], v[214:215]
	v_fma_f64 v[204:205], -v[204:205], v[218:219], v[216:217]
	s_nop 1
	v_div_fmas_f64 v[204:205], v[204:205], v[214:215], v[218:219]
	v_div_fixup_f64 v[204:205], v[204:205], v[212:213], 1.0
	v_mul_f64 v[206:207], v[206:207], -v[204:205]
.LBB105_403:
	s_or_b64 exec, exec, s[2:3]
	ds_write2_b64 v201, v[204:205], v[206:207] offset1:1
.LBB105_404:
	s_or_b64 exec, exec, s[4:5]
	s_waitcnt lgkmcnt(0)
	s_barrier
	ds_read2_b64 v[212:215], v201 offset1:1
	v_cmp_lt_u32_e32 vcc, 44, v200
	s_and_saveexec_b64 s[2:3], vcc
	s_cbranch_execz .LBB105_406
; %bb.405:
	ds_read2_b64 v[204:207], v202 offset0:90 offset1:91
	s_waitcnt lgkmcnt(1)
	v_mul_f64 v[216:217], v[212:213], v[30:31]
	v_fmac_f64_e32 v[216:217], v[214:215], v[28:29]
	v_mul_f64 v[30:31], v[214:215], v[30:31]
	v_fma_f64 v[28:29], v[212:213], v[28:29], -v[30:31]
	s_waitcnt lgkmcnt(0)
	v_mul_f64 v[30:31], v[206:207], v[216:217]
	v_fma_f64 v[30:31], v[204:205], v[28:29], -v[30:31]
	v_mul_f64 v[204:205], v[204:205], v[216:217]
	v_fmac_f64_e32 v[204:205], v[206:207], v[28:29]
	v_add_f64 v[26:27], v[26:27], -v[204:205]
	ds_read2_b64 v[204:207], v202 offset0:92 offset1:93
	v_add_f64 v[24:25], v[24:25], -v[30:31]
	s_waitcnt lgkmcnt(0)
	v_mul_f64 v[30:31], v[206:207], v[216:217]
	v_fma_f64 v[30:31], v[204:205], v[28:29], -v[30:31]
	v_mul_f64 v[204:205], v[204:205], v[216:217]
	v_fmac_f64_e32 v[204:205], v[206:207], v[28:29]
	v_add_f64 v[22:23], v[22:23], -v[204:205]
	ds_read2_b64 v[204:207], v202 offset0:94 offset1:95
	v_add_f64 v[20:21], v[20:21], -v[30:31]
	s_waitcnt lgkmcnt(0)
	v_mul_f64 v[30:31], v[206:207], v[216:217]
	v_fma_f64 v[30:31], v[204:205], v[28:29], -v[30:31]
	v_mul_f64 v[204:205], v[204:205], v[216:217]
	v_fmac_f64_e32 v[204:205], v[206:207], v[28:29]
	s_waitcnt vmcnt(62)
	v_add_f64 v[18:19], v[18:19], -v[204:205]
	ds_read2_b64 v[204:207], v202 offset0:96 offset1:97
	v_add_f64 v[16:17], v[16:17], -v[30:31]
	s_waitcnt lgkmcnt(0)
	v_mul_f64 v[30:31], v[206:207], v[216:217]
	v_fma_f64 v[30:31], v[204:205], v[28:29], -v[30:31]
	v_mul_f64 v[204:205], v[204:205], v[216:217]
	v_fmac_f64_e32 v[204:205], v[206:207], v[28:29]
	s_waitcnt vmcnt(61)
	v_add_f64 v[14:15], v[14:15], -v[204:205]
	ds_read2_b64 v[204:207], v202 offset0:98 offset1:99
	v_add_f64 v[12:13], v[12:13], -v[30:31]
	s_waitcnt lgkmcnt(0)
	v_mul_f64 v[30:31], v[206:207], v[216:217]
	v_fma_f64 v[30:31], v[204:205], v[28:29], -v[30:31]
	v_mul_f64 v[204:205], v[204:205], v[216:217]
	v_fmac_f64_e32 v[204:205], v[206:207], v[28:29]
	v_add_f64 v[10:11], v[10:11], -v[204:205]
	ds_read2_b64 v[204:207], v202 offset0:100 offset1:101
	v_add_f64 v[8:9], v[8:9], -v[30:31]
	s_waitcnt lgkmcnt(0)
	v_mul_f64 v[30:31], v[206:207], v[216:217]
	v_fma_f64 v[30:31], v[204:205], v[28:29], -v[30:31]
	v_mul_f64 v[204:205], v[204:205], v[216:217]
	v_fmac_f64_e32 v[204:205], v[206:207], v[28:29]
	;; [unrolled: 8-line block ×3, first 2 shown]
	s_waitcnt vmcnt(60)
	v_add_f64 v[2:3], v[2:3], -v[204:205]
	ds_read2_b64 v[204:207], v202 offset0:104 offset1:105
	v_add_f64 v[0:1], v[0:1], -v[30:31]
	s_waitcnt lgkmcnt(0)
	v_mul_f64 v[30:31], v[206:207], v[216:217]
	v_fma_f64 v[30:31], v[204:205], v[28:29], -v[30:31]
	v_mul_f64 v[204:205], v[204:205], v[216:217]
	v_fmac_f64_e32 v[204:205], v[206:207], v[28:29]
	s_waitcnt vmcnt(57)
	v_add_f64 v[208:209], v[208:209], -v[30:31]
	v_add_f64 v[210:211], v[210:211], -v[204:205]
	v_mov_b64_e32 v[30:31], v[216:217]
.LBB105_406:
	s_or_b64 exec, exec, s[2:3]
	v_cmp_eq_u32_e32 vcc, 45, v200
	s_waitcnt lgkmcnt(0)
	s_barrier
	s_and_saveexec_b64 s[4:5], vcc
	s_cbranch_execz .LBB105_413
; %bb.407:
	ds_write2_b64 v201, v[24:25], v[26:27] offset1:1
	ds_write2_b64 v202, v[20:21], v[22:23] offset0:92 offset1:93
	s_waitcnt vmcnt(62)
	ds_write2_b64 v202, v[16:17], v[18:19] offset0:94 offset1:95
	s_waitcnt vmcnt(61)
	ds_write2_b64 v202, v[12:13], v[14:15] offset0:96 offset1:97
	ds_write2_b64 v202, v[8:9], v[10:11] offset0:98 offset1:99
	;; [unrolled: 1-line block ×3, first 2 shown]
	s_waitcnt vmcnt(60)
	ds_write2_b64 v202, v[0:1], v[2:3] offset0:102 offset1:103
	s_waitcnt vmcnt(57)
	ds_write2_b64 v202, v[208:209], v[210:211] offset0:104 offset1:105
	ds_read2_b64 v[216:219], v201 offset1:1
	s_waitcnt lgkmcnt(0)
	v_cmp_neq_f64_e32 vcc, 0, v[216:217]
	v_cmp_neq_f64_e64 s[2:3], 0, v[218:219]
	s_or_b64 s[2:3], vcc, s[2:3]
	s_and_b64 exec, exec, s[2:3]
	s_cbranch_execz .LBB105_413
; %bb.408:
	v_cmp_ngt_f64_e64 s[2:3], |v[216:217]|, |v[218:219]|
                                        ; implicit-def: $vgpr204_vgpr205
	s_and_saveexec_b64 s[10:11], s[2:3]
	s_xor_b64 s[2:3], exec, s[10:11]
                                        ; implicit-def: $vgpr206_vgpr207
	s_cbranch_execz .LBB105_410
; %bb.409:
	v_div_scale_f64 v[204:205], s[10:11], v[218:219], v[218:219], v[216:217]
	v_rcp_f64_e32 v[206:207], v[204:205]
	v_div_scale_f64 v[220:221], vcc, v[216:217], v[218:219], v[216:217]
	v_fma_f64 v[222:223], -v[204:205], v[206:207], 1.0
	v_fmac_f64_e32 v[206:207], v[206:207], v[222:223]
	v_fma_f64 v[222:223], -v[204:205], v[206:207], 1.0
	v_fmac_f64_e32 v[206:207], v[206:207], v[222:223]
	v_mul_f64 v[222:223], v[220:221], v[206:207]
	v_fma_f64 v[204:205], -v[204:205], v[222:223], v[220:221]
	v_div_fmas_f64 v[204:205], v[204:205], v[206:207], v[222:223]
	v_div_fixup_f64 v[204:205], v[204:205], v[218:219], v[216:217]
	v_fmac_f64_e32 v[218:219], v[216:217], v[204:205]
	v_div_scale_f64 v[206:207], s[10:11], v[218:219], v[218:219], 1.0
	v_rcp_f64_e32 v[216:217], v[206:207]
	s_nop 0
	v_fma_f64 v[220:221], -v[206:207], v[216:217], 1.0
	v_fmac_f64_e32 v[216:217], v[216:217], v[220:221]
	v_fma_f64 v[220:221], -v[206:207], v[216:217], 1.0
	v_fmac_f64_e32 v[216:217], v[216:217], v[220:221]
	v_div_scale_f64 v[220:221], vcc, 1.0, v[218:219], 1.0
	v_mul_f64 v[222:223], v[220:221], v[216:217]
	v_fma_f64 v[206:207], -v[206:207], v[222:223], v[220:221]
	s_nop 1
	v_div_fmas_f64 v[206:207], v[206:207], v[216:217], v[222:223]
	v_div_fixup_f64 v[206:207], v[206:207], v[218:219], 1.0
	v_mul_f64 v[204:205], v[204:205], v[206:207]
	v_xor_b32_e32 v207, 0x80000000, v207
                                        ; implicit-def: $vgpr216_vgpr217
.LBB105_410:
	s_andn2_saveexec_b64 s[2:3], s[2:3]
	s_cbranch_execz .LBB105_412
; %bb.411:
	v_div_scale_f64 v[204:205], s[10:11], v[216:217], v[216:217], v[218:219]
	v_rcp_f64_e32 v[206:207], v[204:205]
	v_div_scale_f64 v[220:221], vcc, v[218:219], v[216:217], v[218:219]
	v_fma_f64 v[222:223], -v[204:205], v[206:207], 1.0
	v_fmac_f64_e32 v[206:207], v[206:207], v[222:223]
	v_fma_f64 v[222:223], -v[204:205], v[206:207], 1.0
	v_fmac_f64_e32 v[206:207], v[206:207], v[222:223]
	v_mul_f64 v[222:223], v[220:221], v[206:207]
	v_fma_f64 v[204:205], -v[204:205], v[222:223], v[220:221]
	v_div_fmas_f64 v[204:205], v[204:205], v[206:207], v[222:223]
	v_div_fixup_f64 v[206:207], v[204:205], v[216:217], v[218:219]
	v_fmac_f64_e32 v[216:217], v[218:219], v[206:207]
	v_div_scale_f64 v[204:205], s[10:11], v[216:217], v[216:217], 1.0
	v_rcp_f64_e32 v[218:219], v[204:205]
	s_nop 0
	v_fma_f64 v[220:221], -v[204:205], v[218:219], 1.0
	v_fmac_f64_e32 v[218:219], v[218:219], v[220:221]
	v_fma_f64 v[220:221], -v[204:205], v[218:219], 1.0
	v_fmac_f64_e32 v[218:219], v[218:219], v[220:221]
	v_div_scale_f64 v[220:221], vcc, 1.0, v[216:217], 1.0
	v_mul_f64 v[222:223], v[220:221], v[218:219]
	v_fma_f64 v[204:205], -v[204:205], v[222:223], v[220:221]
	s_nop 1
	v_div_fmas_f64 v[204:205], v[204:205], v[218:219], v[222:223]
	v_div_fixup_f64 v[204:205], v[204:205], v[216:217], 1.0
	v_mul_f64 v[206:207], v[206:207], -v[204:205]
.LBB105_412:
	s_or_b64 exec, exec, s[2:3]
	ds_write2_b64 v201, v[204:205], v[206:207] offset1:1
.LBB105_413:
	s_or_b64 exec, exec, s[4:5]
	s_waitcnt lgkmcnt(0)
	s_barrier
	ds_read2_b64 v[216:219], v201 offset1:1
	v_cmp_lt_u32_e32 vcc, 45, v200
	s_and_saveexec_b64 s[2:3], vcc
	s_cbranch_execz .LBB105_415
; %bb.414:
	ds_read2_b64 v[204:207], v202 offset0:92 offset1:93
	s_waitcnt lgkmcnt(1)
	v_mul_f64 v[220:221], v[216:217], v[26:27]
	v_fmac_f64_e32 v[220:221], v[218:219], v[24:25]
	v_mul_f64 v[26:27], v[218:219], v[26:27]
	v_fma_f64 v[24:25], v[216:217], v[24:25], -v[26:27]
	s_waitcnt lgkmcnt(0)
	v_mul_f64 v[26:27], v[206:207], v[220:221]
	v_fma_f64 v[26:27], v[204:205], v[24:25], -v[26:27]
	v_mul_f64 v[204:205], v[204:205], v[220:221]
	v_fmac_f64_e32 v[204:205], v[206:207], v[24:25]
	v_add_f64 v[22:23], v[22:23], -v[204:205]
	ds_read2_b64 v[204:207], v202 offset0:94 offset1:95
	v_add_f64 v[20:21], v[20:21], -v[26:27]
	s_waitcnt lgkmcnt(0)
	v_mul_f64 v[26:27], v[206:207], v[220:221]
	v_fma_f64 v[26:27], v[204:205], v[24:25], -v[26:27]
	v_mul_f64 v[204:205], v[204:205], v[220:221]
	v_fmac_f64_e32 v[204:205], v[206:207], v[24:25]
	s_waitcnt vmcnt(62)
	v_add_f64 v[18:19], v[18:19], -v[204:205]
	ds_read2_b64 v[204:207], v202 offset0:96 offset1:97
	v_add_f64 v[16:17], v[16:17], -v[26:27]
	s_waitcnt lgkmcnt(0)
	v_mul_f64 v[26:27], v[206:207], v[220:221]
	v_fma_f64 v[26:27], v[204:205], v[24:25], -v[26:27]
	v_mul_f64 v[204:205], v[204:205], v[220:221]
	v_fmac_f64_e32 v[204:205], v[206:207], v[24:25]
	s_waitcnt vmcnt(61)
	v_add_f64 v[14:15], v[14:15], -v[204:205]
	ds_read2_b64 v[204:207], v202 offset0:98 offset1:99
	v_add_f64 v[12:13], v[12:13], -v[26:27]
	s_waitcnt lgkmcnt(0)
	v_mul_f64 v[26:27], v[206:207], v[220:221]
	v_fma_f64 v[26:27], v[204:205], v[24:25], -v[26:27]
	v_mul_f64 v[204:205], v[204:205], v[220:221]
	v_fmac_f64_e32 v[204:205], v[206:207], v[24:25]
	v_add_f64 v[10:11], v[10:11], -v[204:205]
	ds_read2_b64 v[204:207], v202 offset0:100 offset1:101
	v_add_f64 v[8:9], v[8:9], -v[26:27]
	s_waitcnt lgkmcnt(0)
	v_mul_f64 v[26:27], v[206:207], v[220:221]
	v_fma_f64 v[26:27], v[204:205], v[24:25], -v[26:27]
	v_mul_f64 v[204:205], v[204:205], v[220:221]
	v_fmac_f64_e32 v[204:205], v[206:207], v[24:25]
	;; [unrolled: 8-line block ×3, first 2 shown]
	s_waitcnt vmcnt(60)
	v_add_f64 v[2:3], v[2:3], -v[204:205]
	ds_read2_b64 v[204:207], v202 offset0:104 offset1:105
	v_add_f64 v[0:1], v[0:1], -v[26:27]
	s_waitcnt lgkmcnt(0)
	v_mul_f64 v[26:27], v[206:207], v[220:221]
	v_fma_f64 v[26:27], v[204:205], v[24:25], -v[26:27]
	v_mul_f64 v[204:205], v[204:205], v[220:221]
	v_fmac_f64_e32 v[204:205], v[206:207], v[24:25]
	s_waitcnt vmcnt(57)
	v_add_f64 v[208:209], v[208:209], -v[26:27]
	v_add_f64 v[210:211], v[210:211], -v[204:205]
	v_mov_b64_e32 v[26:27], v[220:221]
.LBB105_415:
	s_or_b64 exec, exec, s[2:3]
	v_cmp_eq_u32_e32 vcc, 46, v200
	s_waitcnt lgkmcnt(0)
	s_barrier
	s_and_saveexec_b64 s[4:5], vcc
	s_cbranch_execz .LBB105_422
; %bb.416:
	ds_write2_b64 v201, v[20:21], v[22:23] offset1:1
	s_waitcnt vmcnt(62)
	ds_write2_b64 v202, v[16:17], v[18:19] offset0:94 offset1:95
	s_waitcnt vmcnt(61)
	ds_write2_b64 v202, v[12:13], v[14:15] offset0:96 offset1:97
	ds_write2_b64 v202, v[8:9], v[10:11] offset0:98 offset1:99
	;; [unrolled: 1-line block ×3, first 2 shown]
	s_waitcnt vmcnt(60)
	ds_write2_b64 v202, v[0:1], v[2:3] offset0:102 offset1:103
	s_waitcnt vmcnt(57)
	ds_write2_b64 v202, v[208:209], v[210:211] offset0:104 offset1:105
	ds_read2_b64 v[220:223], v201 offset1:1
	s_waitcnt lgkmcnt(0)
	v_cmp_neq_f64_e32 vcc, 0, v[220:221]
	v_cmp_neq_f64_e64 s[2:3], 0, v[222:223]
	s_or_b64 s[2:3], vcc, s[2:3]
	s_and_b64 exec, exec, s[2:3]
	s_cbranch_execz .LBB105_422
; %bb.417:
	v_cmp_ngt_f64_e64 s[2:3], |v[220:221]|, |v[222:223]|
                                        ; implicit-def: $vgpr204_vgpr205
	s_and_saveexec_b64 s[10:11], s[2:3]
	s_xor_b64 s[2:3], exec, s[10:11]
                                        ; implicit-def: $vgpr206_vgpr207
	s_cbranch_execz .LBB105_419
; %bb.418:
	v_div_scale_f64 v[204:205], s[10:11], v[222:223], v[222:223], v[220:221]
	v_rcp_f64_e32 v[206:207], v[204:205]
	v_div_scale_f64 v[224:225], vcc, v[220:221], v[222:223], v[220:221]
	v_fma_f64 v[226:227], -v[204:205], v[206:207], 1.0
	v_fmac_f64_e32 v[206:207], v[206:207], v[226:227]
	v_fma_f64 v[226:227], -v[204:205], v[206:207], 1.0
	v_fmac_f64_e32 v[206:207], v[206:207], v[226:227]
	v_mul_f64 v[226:227], v[224:225], v[206:207]
	v_fma_f64 v[204:205], -v[204:205], v[226:227], v[224:225]
	v_div_fmas_f64 v[204:205], v[204:205], v[206:207], v[226:227]
	v_div_fixup_f64 v[204:205], v[204:205], v[222:223], v[220:221]
	v_fmac_f64_e32 v[222:223], v[220:221], v[204:205]
	v_div_scale_f64 v[206:207], s[10:11], v[222:223], v[222:223], 1.0
	v_rcp_f64_e32 v[220:221], v[206:207]
	s_nop 0
	v_fma_f64 v[224:225], -v[206:207], v[220:221], 1.0
	v_fmac_f64_e32 v[220:221], v[220:221], v[224:225]
	v_fma_f64 v[224:225], -v[206:207], v[220:221], 1.0
	v_fmac_f64_e32 v[220:221], v[220:221], v[224:225]
	v_div_scale_f64 v[224:225], vcc, 1.0, v[222:223], 1.0
	v_mul_f64 v[226:227], v[224:225], v[220:221]
	v_fma_f64 v[206:207], -v[206:207], v[226:227], v[224:225]
	s_nop 1
	v_div_fmas_f64 v[206:207], v[206:207], v[220:221], v[226:227]
	v_div_fixup_f64 v[206:207], v[206:207], v[222:223], 1.0
	v_mul_f64 v[204:205], v[204:205], v[206:207]
	v_xor_b32_e32 v207, 0x80000000, v207
                                        ; implicit-def: $vgpr220_vgpr221
.LBB105_419:
	s_andn2_saveexec_b64 s[2:3], s[2:3]
	s_cbranch_execz .LBB105_421
; %bb.420:
	v_div_scale_f64 v[204:205], s[10:11], v[220:221], v[220:221], v[222:223]
	v_rcp_f64_e32 v[206:207], v[204:205]
	v_div_scale_f64 v[224:225], vcc, v[222:223], v[220:221], v[222:223]
	v_fma_f64 v[226:227], -v[204:205], v[206:207], 1.0
	v_fmac_f64_e32 v[206:207], v[206:207], v[226:227]
	v_fma_f64 v[226:227], -v[204:205], v[206:207], 1.0
	v_fmac_f64_e32 v[206:207], v[206:207], v[226:227]
	v_mul_f64 v[226:227], v[224:225], v[206:207]
	v_fma_f64 v[204:205], -v[204:205], v[226:227], v[224:225]
	v_div_fmas_f64 v[204:205], v[204:205], v[206:207], v[226:227]
	v_div_fixup_f64 v[206:207], v[204:205], v[220:221], v[222:223]
	v_fmac_f64_e32 v[220:221], v[222:223], v[206:207]
	v_div_scale_f64 v[204:205], s[10:11], v[220:221], v[220:221], 1.0
	v_rcp_f64_e32 v[222:223], v[204:205]
	s_nop 0
	v_fma_f64 v[224:225], -v[204:205], v[222:223], 1.0
	v_fmac_f64_e32 v[222:223], v[222:223], v[224:225]
	v_fma_f64 v[224:225], -v[204:205], v[222:223], 1.0
	v_fmac_f64_e32 v[222:223], v[222:223], v[224:225]
	v_div_scale_f64 v[224:225], vcc, 1.0, v[220:221], 1.0
	v_mul_f64 v[226:227], v[224:225], v[222:223]
	v_fma_f64 v[204:205], -v[204:205], v[226:227], v[224:225]
	s_nop 1
	v_div_fmas_f64 v[204:205], v[204:205], v[222:223], v[226:227]
	v_div_fixup_f64 v[204:205], v[204:205], v[220:221], 1.0
	v_mul_f64 v[206:207], v[206:207], -v[204:205]
.LBB105_421:
	s_or_b64 exec, exec, s[2:3]
	ds_write2_b64 v201, v[204:205], v[206:207] offset1:1
.LBB105_422:
	s_or_b64 exec, exec, s[4:5]
	s_waitcnt lgkmcnt(0)
	s_barrier
	ds_read2_b64 v[220:223], v201 offset1:1
	v_cmp_lt_u32_e32 vcc, 46, v200
	s_and_saveexec_b64 s[2:3], vcc
	s_cbranch_execz .LBB105_424
; %bb.423:
	ds_read2_b64 v[204:207], v202 offset0:94 offset1:95
	s_waitcnt lgkmcnt(1)
	v_mul_f64 v[224:225], v[220:221], v[22:23]
	v_fmac_f64_e32 v[224:225], v[222:223], v[20:21]
	v_mul_f64 v[22:23], v[222:223], v[22:23]
	v_fma_f64 v[20:21], v[220:221], v[20:21], -v[22:23]
	s_waitcnt lgkmcnt(0)
	v_mul_f64 v[22:23], v[206:207], v[224:225]
	v_fma_f64 v[22:23], v[204:205], v[20:21], -v[22:23]
	v_mul_f64 v[204:205], v[204:205], v[224:225]
	v_fmac_f64_e32 v[204:205], v[206:207], v[20:21]
	s_waitcnt vmcnt(62)
	v_add_f64 v[18:19], v[18:19], -v[204:205]
	ds_read2_b64 v[204:207], v202 offset0:96 offset1:97
	v_add_f64 v[16:17], v[16:17], -v[22:23]
	s_waitcnt lgkmcnt(0)
	v_mul_f64 v[22:23], v[206:207], v[224:225]
	v_fma_f64 v[22:23], v[204:205], v[20:21], -v[22:23]
	v_mul_f64 v[204:205], v[204:205], v[224:225]
	v_fmac_f64_e32 v[204:205], v[206:207], v[20:21]
	s_waitcnt vmcnt(61)
	v_add_f64 v[14:15], v[14:15], -v[204:205]
	ds_read2_b64 v[204:207], v202 offset0:98 offset1:99
	v_add_f64 v[12:13], v[12:13], -v[22:23]
	s_waitcnt lgkmcnt(0)
	v_mul_f64 v[22:23], v[206:207], v[224:225]
	v_fma_f64 v[22:23], v[204:205], v[20:21], -v[22:23]
	v_mul_f64 v[204:205], v[204:205], v[224:225]
	v_fmac_f64_e32 v[204:205], v[206:207], v[20:21]
	v_add_f64 v[10:11], v[10:11], -v[204:205]
	ds_read2_b64 v[204:207], v202 offset0:100 offset1:101
	v_add_f64 v[8:9], v[8:9], -v[22:23]
	s_waitcnt lgkmcnt(0)
	v_mul_f64 v[22:23], v[206:207], v[224:225]
	v_fma_f64 v[22:23], v[204:205], v[20:21], -v[22:23]
	v_mul_f64 v[204:205], v[204:205], v[224:225]
	v_fmac_f64_e32 v[204:205], v[206:207], v[20:21]
	;; [unrolled: 8-line block ×3, first 2 shown]
	s_waitcnt vmcnt(60)
	v_add_f64 v[2:3], v[2:3], -v[204:205]
	ds_read2_b64 v[204:207], v202 offset0:104 offset1:105
	v_add_f64 v[0:1], v[0:1], -v[22:23]
	s_waitcnt lgkmcnt(0)
	v_mul_f64 v[22:23], v[206:207], v[224:225]
	v_fma_f64 v[22:23], v[204:205], v[20:21], -v[22:23]
	v_mul_f64 v[204:205], v[204:205], v[224:225]
	v_fmac_f64_e32 v[204:205], v[206:207], v[20:21]
	s_waitcnt vmcnt(57)
	v_add_f64 v[208:209], v[208:209], -v[22:23]
	v_add_f64 v[210:211], v[210:211], -v[204:205]
	v_mov_b64_e32 v[22:23], v[224:225]
.LBB105_424:
	s_or_b64 exec, exec, s[2:3]
	v_cmp_eq_u32_e32 vcc, 47, v200
	s_waitcnt lgkmcnt(0)
	s_barrier
	s_and_saveexec_b64 s[4:5], vcc
	s_cbranch_execz .LBB105_431
; %bb.425:
	s_waitcnt vmcnt(62)
	ds_write2_b64 v201, v[16:17], v[18:19] offset1:1
	s_waitcnt vmcnt(61)
	ds_write2_b64 v202, v[12:13], v[14:15] offset0:96 offset1:97
	ds_write2_b64 v202, v[8:9], v[10:11] offset0:98 offset1:99
	;; [unrolled: 1-line block ×3, first 2 shown]
	s_waitcnt vmcnt(60)
	ds_write2_b64 v202, v[0:1], v[2:3] offset0:102 offset1:103
	s_waitcnt vmcnt(57)
	ds_write2_b64 v202, v[208:209], v[210:211] offset0:104 offset1:105
	ds_read2_b64 v[224:227], v201 offset1:1
	s_waitcnt lgkmcnt(0)
	v_cmp_neq_f64_e32 vcc, 0, v[224:225]
	v_cmp_neq_f64_e64 s[2:3], 0, v[226:227]
	s_or_b64 s[2:3], vcc, s[2:3]
	s_and_b64 exec, exec, s[2:3]
	s_cbranch_execz .LBB105_431
; %bb.426:
	v_cmp_ngt_f64_e64 s[2:3], |v[224:225]|, |v[226:227]|
                                        ; implicit-def: $vgpr204_vgpr205
	s_and_saveexec_b64 s[10:11], s[2:3]
	s_xor_b64 s[2:3], exec, s[10:11]
                                        ; implicit-def: $vgpr206_vgpr207
	s_cbranch_execz .LBB105_428
; %bb.427:
	v_div_scale_f64 v[204:205], s[10:11], v[226:227], v[226:227], v[224:225]
	v_rcp_f64_e32 v[206:207], v[204:205]
	v_div_scale_f64 v[228:229], vcc, v[224:225], v[226:227], v[224:225]
	v_fma_f64 v[230:231], -v[204:205], v[206:207], 1.0
	v_fmac_f64_e32 v[206:207], v[206:207], v[230:231]
	v_fma_f64 v[230:231], -v[204:205], v[206:207], 1.0
	v_fmac_f64_e32 v[206:207], v[206:207], v[230:231]
	v_mul_f64 v[230:231], v[228:229], v[206:207]
	v_fma_f64 v[204:205], -v[204:205], v[230:231], v[228:229]
	v_div_fmas_f64 v[204:205], v[204:205], v[206:207], v[230:231]
	v_div_fixup_f64 v[204:205], v[204:205], v[226:227], v[224:225]
	v_fmac_f64_e32 v[226:227], v[224:225], v[204:205]
	v_div_scale_f64 v[206:207], s[10:11], v[226:227], v[226:227], 1.0
	v_rcp_f64_e32 v[224:225], v[206:207]
	s_nop 0
	v_fma_f64 v[228:229], -v[206:207], v[224:225], 1.0
	v_fmac_f64_e32 v[224:225], v[224:225], v[228:229]
	v_fma_f64 v[228:229], -v[206:207], v[224:225], 1.0
	v_fmac_f64_e32 v[224:225], v[224:225], v[228:229]
	v_div_scale_f64 v[228:229], vcc, 1.0, v[226:227], 1.0
	v_mul_f64 v[230:231], v[228:229], v[224:225]
	v_fma_f64 v[206:207], -v[206:207], v[230:231], v[228:229]
	s_nop 1
	v_div_fmas_f64 v[206:207], v[206:207], v[224:225], v[230:231]
	v_div_fixup_f64 v[206:207], v[206:207], v[226:227], 1.0
	v_mul_f64 v[204:205], v[204:205], v[206:207]
	v_xor_b32_e32 v207, 0x80000000, v207
                                        ; implicit-def: $vgpr224_vgpr225
.LBB105_428:
	s_andn2_saveexec_b64 s[2:3], s[2:3]
	s_cbranch_execz .LBB105_430
; %bb.429:
	v_div_scale_f64 v[204:205], s[10:11], v[224:225], v[224:225], v[226:227]
	v_rcp_f64_e32 v[206:207], v[204:205]
	v_div_scale_f64 v[228:229], vcc, v[226:227], v[224:225], v[226:227]
	v_fma_f64 v[230:231], -v[204:205], v[206:207], 1.0
	v_fmac_f64_e32 v[206:207], v[206:207], v[230:231]
	v_fma_f64 v[230:231], -v[204:205], v[206:207], 1.0
	v_fmac_f64_e32 v[206:207], v[206:207], v[230:231]
	v_mul_f64 v[230:231], v[228:229], v[206:207]
	v_fma_f64 v[204:205], -v[204:205], v[230:231], v[228:229]
	v_div_fmas_f64 v[204:205], v[204:205], v[206:207], v[230:231]
	v_div_fixup_f64 v[206:207], v[204:205], v[224:225], v[226:227]
	v_fmac_f64_e32 v[224:225], v[226:227], v[206:207]
	v_div_scale_f64 v[204:205], s[10:11], v[224:225], v[224:225], 1.0
	v_rcp_f64_e32 v[226:227], v[204:205]
	s_nop 0
	v_fma_f64 v[228:229], -v[204:205], v[226:227], 1.0
	v_fmac_f64_e32 v[226:227], v[226:227], v[228:229]
	v_fma_f64 v[228:229], -v[204:205], v[226:227], 1.0
	v_fmac_f64_e32 v[226:227], v[226:227], v[228:229]
	v_div_scale_f64 v[228:229], vcc, 1.0, v[224:225], 1.0
	v_mul_f64 v[230:231], v[228:229], v[226:227]
	v_fma_f64 v[204:205], -v[204:205], v[230:231], v[228:229]
	s_nop 1
	v_div_fmas_f64 v[204:205], v[204:205], v[226:227], v[230:231]
	v_div_fixup_f64 v[204:205], v[204:205], v[224:225], 1.0
	v_mul_f64 v[206:207], v[206:207], -v[204:205]
.LBB105_430:
	s_or_b64 exec, exec, s[2:3]
	ds_write2_b64 v201, v[204:205], v[206:207] offset1:1
.LBB105_431:
	s_or_b64 exec, exec, s[4:5]
	s_waitcnt lgkmcnt(0)
	s_barrier
	ds_read2_b64 v[224:227], v201 offset1:1
	v_cmp_lt_u32_e32 vcc, 47, v200
	s_and_saveexec_b64 s[2:3], vcc
	s_cbranch_execz .LBB105_433
; %bb.432:
	ds_read2_b64 v[204:207], v202 offset0:96 offset1:97
	s_waitcnt vmcnt(62) lgkmcnt(1)
	v_mul_f64 v[228:229], v[224:225], v[18:19]
	v_fmac_f64_e32 v[228:229], v[226:227], v[16:17]
	v_mul_f64 v[18:19], v[226:227], v[18:19]
	v_fma_f64 v[16:17], v[224:225], v[16:17], -v[18:19]
	s_waitcnt lgkmcnt(0)
	v_mul_f64 v[18:19], v[206:207], v[228:229]
	v_fma_f64 v[18:19], v[204:205], v[16:17], -v[18:19]
	v_mul_f64 v[204:205], v[204:205], v[228:229]
	v_fmac_f64_e32 v[204:205], v[206:207], v[16:17]
	s_waitcnt vmcnt(61)
	v_add_f64 v[14:15], v[14:15], -v[204:205]
	ds_read2_b64 v[204:207], v202 offset0:98 offset1:99
	v_add_f64 v[12:13], v[12:13], -v[18:19]
	s_waitcnt lgkmcnt(0)
	v_mul_f64 v[18:19], v[206:207], v[228:229]
	v_fma_f64 v[18:19], v[204:205], v[16:17], -v[18:19]
	v_mul_f64 v[204:205], v[204:205], v[228:229]
	v_fmac_f64_e32 v[204:205], v[206:207], v[16:17]
	v_add_f64 v[10:11], v[10:11], -v[204:205]
	ds_read2_b64 v[204:207], v202 offset0:100 offset1:101
	v_add_f64 v[8:9], v[8:9], -v[18:19]
	s_waitcnt lgkmcnt(0)
	v_mul_f64 v[18:19], v[206:207], v[228:229]
	v_fma_f64 v[18:19], v[204:205], v[16:17], -v[18:19]
	v_mul_f64 v[204:205], v[204:205], v[228:229]
	v_fmac_f64_e32 v[204:205], v[206:207], v[16:17]
	;; [unrolled: 8-line block ×3, first 2 shown]
	s_waitcnt vmcnt(60)
	v_add_f64 v[2:3], v[2:3], -v[204:205]
	ds_read2_b64 v[204:207], v202 offset0:104 offset1:105
	v_add_f64 v[0:1], v[0:1], -v[18:19]
	s_waitcnt lgkmcnt(0)
	v_mul_f64 v[18:19], v[206:207], v[228:229]
	v_fma_f64 v[18:19], v[204:205], v[16:17], -v[18:19]
	v_mul_f64 v[204:205], v[204:205], v[228:229]
	v_fmac_f64_e32 v[204:205], v[206:207], v[16:17]
	s_waitcnt vmcnt(57)
	v_add_f64 v[208:209], v[208:209], -v[18:19]
	v_add_f64 v[210:211], v[210:211], -v[204:205]
	v_mov_b64_e32 v[18:19], v[228:229]
.LBB105_433:
	s_or_b64 exec, exec, s[2:3]
	v_cmp_eq_u32_e32 vcc, 48, v200
	s_waitcnt lgkmcnt(0)
	s_barrier
	s_and_saveexec_b64 s[4:5], vcc
	s_cbranch_execz .LBB105_440
; %bb.434:
	s_waitcnt vmcnt(61)
	ds_write2_b64 v201, v[12:13], v[14:15] offset1:1
	ds_write2_b64 v202, v[8:9], v[10:11] offset0:98 offset1:99
	ds_write2_b64 v202, v[4:5], v[6:7] offset0:100 offset1:101
	s_waitcnt vmcnt(60)
	ds_write2_b64 v202, v[0:1], v[2:3] offset0:102 offset1:103
	s_waitcnt vmcnt(57)
	ds_write2_b64 v202, v[208:209], v[210:211] offset0:104 offset1:105
	ds_read2_b64 v[228:231], v201 offset1:1
	s_waitcnt lgkmcnt(0)
	v_cmp_neq_f64_e32 vcc, 0, v[228:229]
	v_cmp_neq_f64_e64 s[2:3], 0, v[230:231]
	s_or_b64 s[2:3], vcc, s[2:3]
	s_and_b64 exec, exec, s[2:3]
	s_cbranch_execz .LBB105_440
; %bb.435:
	v_cmp_ngt_f64_e64 s[2:3], |v[228:229]|, |v[230:231]|
                                        ; implicit-def: $vgpr204_vgpr205
	s_and_saveexec_b64 s[10:11], s[2:3]
	s_xor_b64 s[2:3], exec, s[10:11]
                                        ; implicit-def: $vgpr206_vgpr207
	s_cbranch_execz .LBB105_437
; %bb.436:
	v_div_scale_f64 v[204:205], s[10:11], v[230:231], v[230:231], v[228:229]
	v_rcp_f64_e32 v[206:207], v[204:205]
	v_div_scale_f64 v[232:233], vcc, v[228:229], v[230:231], v[228:229]
	v_fma_f64 v[234:235], -v[204:205], v[206:207], 1.0
	v_fmac_f64_e32 v[206:207], v[206:207], v[234:235]
	v_fma_f64 v[234:235], -v[204:205], v[206:207], 1.0
	v_fmac_f64_e32 v[206:207], v[206:207], v[234:235]
	v_mul_f64 v[234:235], v[232:233], v[206:207]
	v_fma_f64 v[204:205], -v[204:205], v[234:235], v[232:233]
	v_div_fmas_f64 v[204:205], v[204:205], v[206:207], v[234:235]
	v_div_fixup_f64 v[204:205], v[204:205], v[230:231], v[228:229]
	v_fmac_f64_e32 v[230:231], v[228:229], v[204:205]
	v_div_scale_f64 v[206:207], s[10:11], v[230:231], v[230:231], 1.0
	v_rcp_f64_e32 v[228:229], v[206:207]
	s_nop 0
	v_fma_f64 v[232:233], -v[206:207], v[228:229], 1.0
	v_fmac_f64_e32 v[228:229], v[228:229], v[232:233]
	v_fma_f64 v[232:233], -v[206:207], v[228:229], 1.0
	v_fmac_f64_e32 v[228:229], v[228:229], v[232:233]
	v_div_scale_f64 v[232:233], vcc, 1.0, v[230:231], 1.0
	v_mul_f64 v[234:235], v[232:233], v[228:229]
	v_fma_f64 v[206:207], -v[206:207], v[234:235], v[232:233]
	s_nop 1
	v_div_fmas_f64 v[206:207], v[206:207], v[228:229], v[234:235]
	v_div_fixup_f64 v[206:207], v[206:207], v[230:231], 1.0
	v_mul_f64 v[204:205], v[204:205], v[206:207]
	v_xor_b32_e32 v207, 0x80000000, v207
                                        ; implicit-def: $vgpr228_vgpr229
.LBB105_437:
	s_andn2_saveexec_b64 s[2:3], s[2:3]
	s_cbranch_execz .LBB105_439
; %bb.438:
	v_div_scale_f64 v[204:205], s[10:11], v[228:229], v[228:229], v[230:231]
	v_rcp_f64_e32 v[206:207], v[204:205]
	v_div_scale_f64 v[232:233], vcc, v[230:231], v[228:229], v[230:231]
	v_fma_f64 v[234:235], -v[204:205], v[206:207], 1.0
	v_fmac_f64_e32 v[206:207], v[206:207], v[234:235]
	v_fma_f64 v[234:235], -v[204:205], v[206:207], 1.0
	v_fmac_f64_e32 v[206:207], v[206:207], v[234:235]
	v_mul_f64 v[234:235], v[232:233], v[206:207]
	v_fma_f64 v[204:205], -v[204:205], v[234:235], v[232:233]
	v_div_fmas_f64 v[204:205], v[204:205], v[206:207], v[234:235]
	v_div_fixup_f64 v[206:207], v[204:205], v[228:229], v[230:231]
	v_fmac_f64_e32 v[228:229], v[230:231], v[206:207]
	v_div_scale_f64 v[204:205], s[10:11], v[228:229], v[228:229], 1.0
	v_rcp_f64_e32 v[230:231], v[204:205]
	s_nop 0
	v_fma_f64 v[232:233], -v[204:205], v[230:231], 1.0
	v_fmac_f64_e32 v[230:231], v[230:231], v[232:233]
	v_fma_f64 v[232:233], -v[204:205], v[230:231], 1.0
	v_fmac_f64_e32 v[230:231], v[230:231], v[232:233]
	v_div_scale_f64 v[232:233], vcc, 1.0, v[228:229], 1.0
	v_mul_f64 v[234:235], v[232:233], v[230:231]
	v_fma_f64 v[204:205], -v[204:205], v[234:235], v[232:233]
	s_nop 1
	v_div_fmas_f64 v[204:205], v[204:205], v[230:231], v[234:235]
	v_div_fixup_f64 v[204:205], v[204:205], v[228:229], 1.0
	v_mul_f64 v[206:207], v[206:207], -v[204:205]
.LBB105_439:
	s_or_b64 exec, exec, s[2:3]
	ds_write2_b64 v201, v[204:205], v[206:207] offset1:1
.LBB105_440:
	s_or_b64 exec, exec, s[4:5]
	s_waitcnt lgkmcnt(0)
	s_barrier
	ds_read2_b64 v[228:231], v201 offset1:1
	v_cmp_lt_u32_e32 vcc, 48, v200
	s_and_saveexec_b64 s[2:3], vcc
	s_cbranch_execz .LBB105_442
; %bb.441:
	ds_read2_b64 v[204:207], v202 offset0:98 offset1:99
	s_waitcnt vmcnt(61) lgkmcnt(1)
	v_mul_f64 v[232:233], v[228:229], v[14:15]
	v_fmac_f64_e32 v[232:233], v[230:231], v[12:13]
	v_mul_f64 v[14:15], v[230:231], v[14:15]
	v_fma_f64 v[12:13], v[228:229], v[12:13], -v[14:15]
	s_waitcnt lgkmcnt(0)
	v_mul_f64 v[14:15], v[206:207], v[232:233]
	v_fma_f64 v[14:15], v[204:205], v[12:13], -v[14:15]
	v_mul_f64 v[204:205], v[204:205], v[232:233]
	v_fmac_f64_e32 v[204:205], v[206:207], v[12:13]
	v_add_f64 v[10:11], v[10:11], -v[204:205]
	ds_read2_b64 v[204:207], v202 offset0:100 offset1:101
	v_add_f64 v[8:9], v[8:9], -v[14:15]
	s_waitcnt lgkmcnt(0)
	v_mul_f64 v[14:15], v[206:207], v[232:233]
	v_fma_f64 v[14:15], v[204:205], v[12:13], -v[14:15]
	v_mul_f64 v[204:205], v[204:205], v[232:233]
	v_fmac_f64_e32 v[204:205], v[206:207], v[12:13]
	v_add_f64 v[6:7], v[6:7], -v[204:205]
	ds_read2_b64 v[204:207], v202 offset0:102 offset1:103
	v_add_f64 v[4:5], v[4:5], -v[14:15]
	s_waitcnt lgkmcnt(0)
	v_mul_f64 v[14:15], v[206:207], v[232:233]
	v_fma_f64 v[14:15], v[204:205], v[12:13], -v[14:15]
	v_mul_f64 v[204:205], v[204:205], v[232:233]
	v_fmac_f64_e32 v[204:205], v[206:207], v[12:13]
	s_waitcnt vmcnt(60)
	v_add_f64 v[2:3], v[2:3], -v[204:205]
	ds_read2_b64 v[204:207], v202 offset0:104 offset1:105
	v_add_f64 v[0:1], v[0:1], -v[14:15]
	s_waitcnt lgkmcnt(0)
	v_mul_f64 v[14:15], v[206:207], v[232:233]
	v_fma_f64 v[14:15], v[204:205], v[12:13], -v[14:15]
	v_mul_f64 v[204:205], v[204:205], v[232:233]
	v_fmac_f64_e32 v[204:205], v[206:207], v[12:13]
	s_waitcnt vmcnt(57)
	v_add_f64 v[208:209], v[208:209], -v[14:15]
	v_add_f64 v[210:211], v[210:211], -v[204:205]
	v_mov_b64_e32 v[14:15], v[232:233]
.LBB105_442:
	s_or_b64 exec, exec, s[2:3]
	v_cmp_eq_u32_e32 vcc, 49, v200
	s_waitcnt lgkmcnt(0)
	s_barrier
	s_and_saveexec_b64 s[4:5], vcc
	s_cbranch_execz .LBB105_449
; %bb.443:
	ds_write2_b64 v201, v[8:9], v[10:11] offset1:1
	ds_write2_b64 v202, v[4:5], v[6:7] offset0:100 offset1:101
	s_waitcnt vmcnt(60)
	ds_write2_b64 v202, v[0:1], v[2:3] offset0:102 offset1:103
	s_waitcnt vmcnt(57)
	ds_write2_b64 v202, v[208:209], v[210:211] offset0:104 offset1:105
	ds_read2_b64 v[232:235], v201 offset1:1
	s_waitcnt lgkmcnt(0)
	v_cmp_neq_f64_e32 vcc, 0, v[232:233]
	v_cmp_neq_f64_e64 s[2:3], 0, v[234:235]
	s_or_b64 s[2:3], vcc, s[2:3]
	s_and_b64 exec, exec, s[2:3]
	s_cbranch_execz .LBB105_449
; %bb.444:
	v_cmp_ngt_f64_e64 s[2:3], |v[232:233]|, |v[234:235]|
                                        ; implicit-def: $vgpr204_vgpr205
	s_and_saveexec_b64 s[10:11], s[2:3]
	s_xor_b64 s[2:3], exec, s[10:11]
                                        ; implicit-def: $vgpr206_vgpr207
	s_cbranch_execz .LBB105_446
; %bb.445:
	v_div_scale_f64 v[204:205], s[10:11], v[234:235], v[234:235], v[232:233]
	v_rcp_f64_e32 v[206:207], v[204:205]
	v_div_scale_f64 v[236:237], vcc, v[232:233], v[234:235], v[232:233]
	v_fma_f64 v[238:239], -v[204:205], v[206:207], 1.0
	v_fmac_f64_e32 v[206:207], v[206:207], v[238:239]
	v_fma_f64 v[238:239], -v[204:205], v[206:207], 1.0
	v_fmac_f64_e32 v[206:207], v[206:207], v[238:239]
	v_mul_f64 v[238:239], v[236:237], v[206:207]
	v_fma_f64 v[204:205], -v[204:205], v[238:239], v[236:237]
	v_div_fmas_f64 v[204:205], v[204:205], v[206:207], v[238:239]
	v_div_fixup_f64 v[204:205], v[204:205], v[234:235], v[232:233]
	v_fmac_f64_e32 v[234:235], v[232:233], v[204:205]
	v_div_scale_f64 v[206:207], s[10:11], v[234:235], v[234:235], 1.0
	v_rcp_f64_e32 v[232:233], v[206:207]
	s_nop 0
	v_fma_f64 v[236:237], -v[206:207], v[232:233], 1.0
	v_fmac_f64_e32 v[232:233], v[232:233], v[236:237]
	v_fma_f64 v[236:237], -v[206:207], v[232:233], 1.0
	v_fmac_f64_e32 v[232:233], v[232:233], v[236:237]
	v_div_scale_f64 v[236:237], vcc, 1.0, v[234:235], 1.0
	v_mul_f64 v[238:239], v[236:237], v[232:233]
	v_fma_f64 v[206:207], -v[206:207], v[238:239], v[236:237]
	s_nop 1
	v_div_fmas_f64 v[206:207], v[206:207], v[232:233], v[238:239]
	v_div_fixup_f64 v[206:207], v[206:207], v[234:235], 1.0
	v_mul_f64 v[204:205], v[204:205], v[206:207]
	v_xor_b32_e32 v207, 0x80000000, v207
                                        ; implicit-def: $vgpr232_vgpr233
.LBB105_446:
	s_andn2_saveexec_b64 s[2:3], s[2:3]
	s_cbranch_execz .LBB105_448
; %bb.447:
	v_div_scale_f64 v[204:205], s[10:11], v[232:233], v[232:233], v[234:235]
	v_rcp_f64_e32 v[206:207], v[204:205]
	v_div_scale_f64 v[236:237], vcc, v[234:235], v[232:233], v[234:235]
	v_fma_f64 v[238:239], -v[204:205], v[206:207], 1.0
	v_fmac_f64_e32 v[206:207], v[206:207], v[238:239]
	v_fma_f64 v[238:239], -v[204:205], v[206:207], 1.0
	v_fmac_f64_e32 v[206:207], v[206:207], v[238:239]
	v_mul_f64 v[238:239], v[236:237], v[206:207]
	v_fma_f64 v[204:205], -v[204:205], v[238:239], v[236:237]
	v_div_fmas_f64 v[204:205], v[204:205], v[206:207], v[238:239]
	v_div_fixup_f64 v[206:207], v[204:205], v[232:233], v[234:235]
	v_fmac_f64_e32 v[232:233], v[234:235], v[206:207]
	v_div_scale_f64 v[204:205], s[10:11], v[232:233], v[232:233], 1.0
	v_rcp_f64_e32 v[234:235], v[204:205]
	s_nop 0
	v_fma_f64 v[236:237], -v[204:205], v[234:235], 1.0
	v_fmac_f64_e32 v[234:235], v[234:235], v[236:237]
	v_fma_f64 v[236:237], -v[204:205], v[234:235], 1.0
	v_fmac_f64_e32 v[234:235], v[234:235], v[236:237]
	v_div_scale_f64 v[236:237], vcc, 1.0, v[232:233], 1.0
	v_mul_f64 v[238:239], v[236:237], v[234:235]
	v_fma_f64 v[204:205], -v[204:205], v[238:239], v[236:237]
	s_nop 1
	v_div_fmas_f64 v[204:205], v[204:205], v[234:235], v[238:239]
	v_div_fixup_f64 v[204:205], v[204:205], v[232:233], 1.0
	v_mul_f64 v[206:207], v[206:207], -v[204:205]
.LBB105_448:
	s_or_b64 exec, exec, s[2:3]
	ds_write2_b64 v201, v[204:205], v[206:207] offset1:1
.LBB105_449:
	s_or_b64 exec, exec, s[4:5]
	s_waitcnt lgkmcnt(0)
	s_barrier
	ds_read2_b64 v[232:235], v201 offset1:1
	v_cmp_lt_u32_e32 vcc, 49, v200
	s_and_saveexec_b64 s[2:3], vcc
	s_cbranch_execz .LBB105_451
; %bb.450:
	ds_read2_b64 v[204:207], v202 offset0:100 offset1:101
	s_waitcnt lgkmcnt(1)
	v_mul_f64 v[236:237], v[232:233], v[10:11]
	v_fmac_f64_e32 v[236:237], v[234:235], v[8:9]
	v_mul_f64 v[10:11], v[234:235], v[10:11]
	v_fma_f64 v[8:9], v[232:233], v[8:9], -v[10:11]
	s_waitcnt lgkmcnt(0)
	v_mul_f64 v[10:11], v[206:207], v[236:237]
	v_fma_f64 v[10:11], v[204:205], v[8:9], -v[10:11]
	v_mul_f64 v[204:205], v[204:205], v[236:237]
	v_fmac_f64_e32 v[204:205], v[206:207], v[8:9]
	v_add_f64 v[6:7], v[6:7], -v[204:205]
	ds_read2_b64 v[204:207], v202 offset0:102 offset1:103
	v_add_f64 v[4:5], v[4:5], -v[10:11]
	s_waitcnt lgkmcnt(0)
	v_mul_f64 v[10:11], v[206:207], v[236:237]
	v_fma_f64 v[10:11], v[204:205], v[8:9], -v[10:11]
	v_mul_f64 v[204:205], v[204:205], v[236:237]
	v_fmac_f64_e32 v[204:205], v[206:207], v[8:9]
	s_waitcnt vmcnt(60)
	v_add_f64 v[2:3], v[2:3], -v[204:205]
	ds_read2_b64 v[204:207], v202 offset0:104 offset1:105
	v_add_f64 v[0:1], v[0:1], -v[10:11]
	s_waitcnt lgkmcnt(0)
	v_mul_f64 v[10:11], v[206:207], v[236:237]
	v_fma_f64 v[10:11], v[204:205], v[8:9], -v[10:11]
	v_mul_f64 v[204:205], v[204:205], v[236:237]
	v_fmac_f64_e32 v[204:205], v[206:207], v[8:9]
	s_waitcnt vmcnt(57)
	v_add_f64 v[208:209], v[208:209], -v[10:11]
	v_add_f64 v[210:211], v[210:211], -v[204:205]
	v_mov_b64_e32 v[10:11], v[236:237]
.LBB105_451:
	s_or_b64 exec, exec, s[2:3]
	v_cmp_eq_u32_e32 vcc, 50, v200
	s_waitcnt lgkmcnt(0)
	s_barrier
	s_and_saveexec_b64 s[4:5], vcc
	s_cbranch_execz .LBB105_458
; %bb.452:
	ds_write2_b64 v201, v[4:5], v[6:7] offset1:1
	s_waitcnt vmcnt(60)
	ds_write2_b64 v202, v[0:1], v[2:3] offset0:102 offset1:103
	s_waitcnt vmcnt(57)
	ds_write2_b64 v202, v[208:209], v[210:211] offset0:104 offset1:105
	ds_read2_b64 v[236:239], v201 offset1:1
	s_waitcnt lgkmcnt(0)
	v_cmp_neq_f64_e32 vcc, 0, v[236:237]
	v_cmp_neq_f64_e64 s[2:3], 0, v[238:239]
	s_or_b64 s[2:3], vcc, s[2:3]
	s_and_b64 exec, exec, s[2:3]
	s_cbranch_execz .LBB105_458
; %bb.453:
	v_cmp_ngt_f64_e64 s[2:3], |v[236:237]|, |v[238:239]|
                                        ; implicit-def: $vgpr204_vgpr205
	s_and_saveexec_b64 s[10:11], s[2:3]
	s_xor_b64 s[2:3], exec, s[10:11]
                                        ; implicit-def: $vgpr206_vgpr207
	s_cbranch_execz .LBB105_455
; %bb.454:
	v_div_scale_f64 v[204:205], s[10:11], v[238:239], v[238:239], v[236:237]
	v_rcp_f64_e32 v[206:207], v[204:205]
	v_div_scale_f64 v[240:241], vcc, v[236:237], v[238:239], v[236:237]
	v_fma_f64 v[242:243], -v[204:205], v[206:207], 1.0
	v_fmac_f64_e32 v[206:207], v[206:207], v[242:243]
	v_fma_f64 v[242:243], -v[204:205], v[206:207], 1.0
	v_fmac_f64_e32 v[206:207], v[206:207], v[242:243]
	v_mul_f64 v[242:243], v[240:241], v[206:207]
	v_fma_f64 v[204:205], -v[204:205], v[242:243], v[240:241]
	v_div_fmas_f64 v[204:205], v[204:205], v[206:207], v[242:243]
	v_div_fixup_f64 v[204:205], v[204:205], v[238:239], v[236:237]
	v_fmac_f64_e32 v[238:239], v[236:237], v[204:205]
	v_div_scale_f64 v[206:207], s[10:11], v[238:239], v[238:239], 1.0
	v_rcp_f64_e32 v[236:237], v[206:207]
	s_nop 0
	v_fma_f64 v[240:241], -v[206:207], v[236:237], 1.0
	v_fmac_f64_e32 v[236:237], v[236:237], v[240:241]
	v_fma_f64 v[240:241], -v[206:207], v[236:237], 1.0
	v_fmac_f64_e32 v[236:237], v[236:237], v[240:241]
	v_div_scale_f64 v[240:241], vcc, 1.0, v[238:239], 1.0
	v_mul_f64 v[242:243], v[240:241], v[236:237]
	v_fma_f64 v[206:207], -v[206:207], v[242:243], v[240:241]
	s_nop 1
	v_div_fmas_f64 v[206:207], v[206:207], v[236:237], v[242:243]
	v_div_fixup_f64 v[206:207], v[206:207], v[238:239], 1.0
	v_mul_f64 v[204:205], v[204:205], v[206:207]
	v_xor_b32_e32 v207, 0x80000000, v207
                                        ; implicit-def: $vgpr236_vgpr237
.LBB105_455:
	s_andn2_saveexec_b64 s[2:3], s[2:3]
	s_cbranch_execz .LBB105_457
; %bb.456:
	v_div_scale_f64 v[204:205], s[10:11], v[236:237], v[236:237], v[238:239]
	v_rcp_f64_e32 v[206:207], v[204:205]
	v_div_scale_f64 v[240:241], vcc, v[238:239], v[236:237], v[238:239]
	v_fma_f64 v[242:243], -v[204:205], v[206:207], 1.0
	v_fmac_f64_e32 v[206:207], v[206:207], v[242:243]
	v_fma_f64 v[242:243], -v[204:205], v[206:207], 1.0
	v_fmac_f64_e32 v[206:207], v[206:207], v[242:243]
	v_mul_f64 v[242:243], v[240:241], v[206:207]
	v_fma_f64 v[204:205], -v[204:205], v[242:243], v[240:241]
	v_div_fmas_f64 v[204:205], v[204:205], v[206:207], v[242:243]
	v_div_fixup_f64 v[206:207], v[204:205], v[236:237], v[238:239]
	v_fmac_f64_e32 v[236:237], v[238:239], v[206:207]
	v_div_scale_f64 v[204:205], s[10:11], v[236:237], v[236:237], 1.0
	v_rcp_f64_e32 v[238:239], v[204:205]
	s_nop 0
	v_fma_f64 v[240:241], -v[204:205], v[238:239], 1.0
	v_fmac_f64_e32 v[238:239], v[238:239], v[240:241]
	v_fma_f64 v[240:241], -v[204:205], v[238:239], 1.0
	v_fmac_f64_e32 v[238:239], v[238:239], v[240:241]
	v_div_scale_f64 v[240:241], vcc, 1.0, v[236:237], 1.0
	v_mul_f64 v[242:243], v[240:241], v[238:239]
	v_fma_f64 v[204:205], -v[204:205], v[242:243], v[240:241]
	s_nop 1
	v_div_fmas_f64 v[204:205], v[204:205], v[238:239], v[242:243]
	v_div_fixup_f64 v[204:205], v[204:205], v[236:237], 1.0
	v_mul_f64 v[206:207], v[206:207], -v[204:205]
.LBB105_457:
	s_or_b64 exec, exec, s[2:3]
	ds_write2_b64 v201, v[204:205], v[206:207] offset1:1
.LBB105_458:
	s_or_b64 exec, exec, s[4:5]
	s_waitcnt lgkmcnt(0)
	s_barrier
	ds_read2_b64 v[236:239], v201 offset1:1
	v_cmp_lt_u32_e32 vcc, 50, v200
	s_and_saveexec_b64 s[2:3], vcc
	s_cbranch_execz .LBB105_460
; %bb.459:
	ds_read2_b64 v[204:207], v202 offset0:102 offset1:103
	s_waitcnt lgkmcnt(1)
	v_mul_f64 v[240:241], v[236:237], v[6:7]
	v_fmac_f64_e32 v[240:241], v[238:239], v[4:5]
	v_mul_f64 v[6:7], v[238:239], v[6:7]
	v_fma_f64 v[4:5], v[236:237], v[4:5], -v[6:7]
	s_waitcnt lgkmcnt(0)
	v_mul_f64 v[6:7], v[206:207], v[240:241]
	v_fma_f64 v[6:7], v[204:205], v[4:5], -v[6:7]
	v_mul_f64 v[204:205], v[204:205], v[240:241]
	v_fmac_f64_e32 v[204:205], v[206:207], v[4:5]
	s_waitcnt vmcnt(60)
	v_add_f64 v[2:3], v[2:3], -v[204:205]
	ds_read2_b64 v[204:207], v202 offset0:104 offset1:105
	v_add_f64 v[0:1], v[0:1], -v[6:7]
	s_waitcnt lgkmcnt(0)
	v_mul_f64 v[6:7], v[206:207], v[240:241]
	v_fma_f64 v[6:7], v[204:205], v[4:5], -v[6:7]
	v_mul_f64 v[204:205], v[204:205], v[240:241]
	v_fmac_f64_e32 v[204:205], v[206:207], v[4:5]
	s_waitcnt vmcnt(57)
	v_add_f64 v[208:209], v[208:209], -v[6:7]
	v_add_f64 v[210:211], v[210:211], -v[204:205]
	v_mov_b64_e32 v[6:7], v[240:241]
.LBB105_460:
	s_or_b64 exec, exec, s[2:3]
	v_cmp_eq_u32_e32 vcc, 51, v200
	s_waitcnt lgkmcnt(0)
	s_barrier
	s_and_saveexec_b64 s[4:5], vcc
	s_cbranch_execz .LBB105_467
; %bb.461:
	s_waitcnt vmcnt(60)
	ds_write2_b64 v201, v[0:1], v[2:3] offset1:1
	s_waitcnt vmcnt(57)
	ds_write2_b64 v202, v[208:209], v[210:211] offset0:104 offset1:105
	ds_read2_b64 v[240:243], v201 offset1:1
	s_waitcnt lgkmcnt(0)
	v_cmp_neq_f64_e32 vcc, 0, v[240:241]
	v_cmp_neq_f64_e64 s[2:3], 0, v[242:243]
	s_or_b64 s[2:3], vcc, s[2:3]
	s_and_b64 exec, exec, s[2:3]
	s_cbranch_execz .LBB105_467
; %bb.462:
	v_cmp_ngt_f64_e64 s[2:3], |v[240:241]|, |v[242:243]|
                                        ; implicit-def: $vgpr204_vgpr205
	s_and_saveexec_b64 s[10:11], s[2:3]
	s_xor_b64 s[2:3], exec, s[10:11]
                                        ; implicit-def: $vgpr206_vgpr207
	s_cbranch_execz .LBB105_464
; %bb.463:
	v_div_scale_f64 v[204:205], s[10:11], v[242:243], v[242:243], v[240:241]
	v_rcp_f64_e32 v[206:207], v[204:205]
	v_div_scale_f64 v[244:245], vcc, v[240:241], v[242:243], v[240:241]
	v_fma_f64 v[246:247], -v[204:205], v[206:207], 1.0
	v_fmac_f64_e32 v[206:207], v[206:207], v[246:247]
	v_fma_f64 v[246:247], -v[204:205], v[206:207], 1.0
	v_fmac_f64_e32 v[206:207], v[206:207], v[246:247]
	v_mul_f64 v[246:247], v[244:245], v[206:207]
	v_fma_f64 v[204:205], -v[204:205], v[246:247], v[244:245]
	v_div_fmas_f64 v[204:205], v[204:205], v[206:207], v[246:247]
	v_div_fixup_f64 v[204:205], v[204:205], v[242:243], v[240:241]
	v_fmac_f64_e32 v[242:243], v[240:241], v[204:205]
	v_div_scale_f64 v[206:207], s[10:11], v[242:243], v[242:243], 1.0
	v_rcp_f64_e32 v[240:241], v[206:207]
	s_nop 0
	v_fma_f64 v[244:245], -v[206:207], v[240:241], 1.0
	v_fmac_f64_e32 v[240:241], v[240:241], v[244:245]
	v_fma_f64 v[244:245], -v[206:207], v[240:241], 1.0
	v_fmac_f64_e32 v[240:241], v[240:241], v[244:245]
	v_div_scale_f64 v[244:245], vcc, 1.0, v[242:243], 1.0
	v_mul_f64 v[246:247], v[244:245], v[240:241]
	v_fma_f64 v[206:207], -v[206:207], v[246:247], v[244:245]
	s_nop 1
	v_div_fmas_f64 v[206:207], v[206:207], v[240:241], v[246:247]
	v_div_fixup_f64 v[206:207], v[206:207], v[242:243], 1.0
	v_mul_f64 v[204:205], v[204:205], v[206:207]
	v_xor_b32_e32 v207, 0x80000000, v207
                                        ; implicit-def: $vgpr240_vgpr241
.LBB105_464:
	s_andn2_saveexec_b64 s[2:3], s[2:3]
	s_cbranch_execz .LBB105_466
; %bb.465:
	v_div_scale_f64 v[204:205], s[10:11], v[240:241], v[240:241], v[242:243]
	v_rcp_f64_e32 v[206:207], v[204:205]
	v_div_scale_f64 v[244:245], vcc, v[242:243], v[240:241], v[242:243]
	v_fma_f64 v[246:247], -v[204:205], v[206:207], 1.0
	v_fmac_f64_e32 v[206:207], v[206:207], v[246:247]
	v_fma_f64 v[246:247], -v[204:205], v[206:207], 1.0
	v_fmac_f64_e32 v[206:207], v[206:207], v[246:247]
	v_mul_f64 v[246:247], v[244:245], v[206:207]
	v_fma_f64 v[204:205], -v[204:205], v[246:247], v[244:245]
	v_div_fmas_f64 v[204:205], v[204:205], v[206:207], v[246:247]
	v_div_fixup_f64 v[206:207], v[204:205], v[240:241], v[242:243]
	v_fmac_f64_e32 v[240:241], v[242:243], v[206:207]
	v_div_scale_f64 v[204:205], s[10:11], v[240:241], v[240:241], 1.0
	v_rcp_f64_e32 v[242:243], v[204:205]
	s_nop 0
	v_fma_f64 v[244:245], -v[204:205], v[242:243], 1.0
	v_fmac_f64_e32 v[242:243], v[242:243], v[244:245]
	v_fma_f64 v[244:245], -v[204:205], v[242:243], 1.0
	v_fmac_f64_e32 v[242:243], v[242:243], v[244:245]
	v_div_scale_f64 v[244:245], vcc, 1.0, v[240:241], 1.0
	v_mul_f64 v[246:247], v[244:245], v[242:243]
	v_fma_f64 v[204:205], -v[204:205], v[246:247], v[244:245]
	s_nop 1
	v_div_fmas_f64 v[204:205], v[204:205], v[242:243], v[246:247]
	v_div_fixup_f64 v[204:205], v[204:205], v[240:241], 1.0
	v_mul_f64 v[206:207], v[206:207], -v[204:205]
.LBB105_466:
	s_or_b64 exec, exec, s[2:3]
	ds_write2_b64 v201, v[204:205], v[206:207] offset1:1
.LBB105_467:
	s_or_b64 exec, exec, s[4:5]
	s_waitcnt lgkmcnt(0)
	s_barrier
	ds_read2_b64 v[240:243], v201 offset1:1
	v_cmp_lt_u32_e32 vcc, 51, v200
	s_and_saveexec_b64 s[2:3], vcc
	s_cbranch_execz .LBB105_469
; %bb.468:
	ds_read2_b64 v[202:205], v202 offset0:104 offset1:105
	s_waitcnt vmcnt(60) lgkmcnt(1)
	v_mul_f64 v[206:207], v[240:241], v[2:3]
	v_mul_f64 v[2:3], v[242:243], v[2:3]
	v_fmac_f64_e32 v[206:207], v[242:243], v[0:1]
	v_fma_f64 v[0:1], v[240:241], v[0:1], -v[2:3]
	s_waitcnt lgkmcnt(0)
	v_mul_f64 v[2:3], v[204:205], v[206:207]
	v_fma_f64 v[2:3], v[202:203], v[0:1], -v[2:3]
	v_mul_f64 v[202:203], v[202:203], v[206:207]
	v_fmac_f64_e32 v[202:203], v[204:205], v[0:1]
	s_waitcnt vmcnt(57)
	v_add_f64 v[208:209], v[208:209], -v[2:3]
	v_add_f64 v[210:211], v[210:211], -v[202:203]
	v_mov_b64_e32 v[2:3], v[206:207]
.LBB105_469:
	s_or_b64 exec, exec, s[2:3]
	v_cmp_eq_u32_e32 vcc, 52, v200
	s_waitcnt lgkmcnt(0)
	s_barrier
	s_and_saveexec_b64 s[4:5], vcc
	s_cbranch_execz .LBB105_476
; %bb.470:
	s_waitcnt vmcnt(57)
	v_cmp_neq_f64_e32 vcc, 0, v[208:209]
	v_cmp_neq_f64_e64 s[2:3], 0, v[210:211]
	s_or_b64 s[2:3], vcc, s[2:3]
	ds_write2_b64 v201, v[208:209], v[210:211] offset1:1
	s_and_b64 exec, exec, s[2:3]
	s_cbranch_execz .LBB105_476
; %bb.471:
	v_cmp_ngt_f64_e64 s[2:3], |v[208:209]|, |v[210:211]|
                                        ; implicit-def: $vgpr204_vgpr205
	s_and_saveexec_b64 s[10:11], s[2:3]
	s_xor_b64 s[2:3], exec, s[10:11]
                                        ; implicit-def: $vgpr206_vgpr207
	s_cbranch_execz .LBB105_473
; %bb.472:
	v_div_scale_f64 v[202:203], s[10:11], v[210:211], v[210:211], v[208:209]
	v_rcp_f64_e32 v[204:205], v[202:203]
	v_div_scale_f64 v[206:207], vcc, v[208:209], v[210:211], v[208:209]
	v_mov_b64_e32 v[192:193], v[196:197]
	v_fma_f64 v[244:245], -v[202:203], v[204:205], 1.0
	v_fmac_f64_e32 v[204:205], v[204:205], v[244:245]
	v_fma_f64 v[244:245], -v[202:203], v[204:205], 1.0
	v_fmac_f64_e32 v[204:205], v[204:205], v[244:245]
	v_mul_f64 v[244:245], v[206:207], v[204:205]
	v_fma_f64 v[202:203], -v[202:203], v[244:245], v[206:207]
	v_div_fmas_f64 v[202:203], v[202:203], v[204:205], v[244:245]
	v_div_fixup_f64 v[202:203], v[202:203], v[210:211], v[208:209]
	v_fma_f64 v[204:205], v[208:209], v[202:203], v[210:211]
	v_div_scale_f64 v[206:207], s[10:11], v[204:205], v[204:205], 1.0
	v_rcp_f64_e32 v[244:245], v[206:207]
	v_mov_b64_e32 v[194:195], v[198:199]
	v_fma_f64 v[246:247], -v[206:207], v[244:245], 1.0
	v_fmac_f64_e32 v[244:245], v[244:245], v[246:247]
	v_fma_f64 v[246:247], -v[206:207], v[244:245], 1.0
	v_fmac_f64_e32 v[244:245], v[244:245], v[246:247]
	v_div_scale_f64 v[246:247], vcc, 1.0, v[204:205], 1.0
	v_mul_f64 v[196:197], v[246:247], v[244:245]
	v_fma_f64 v[198:199], -v[206:207], v[196:197], v[246:247]
	s_nop 1
	v_div_fmas_f64 v[196:197], v[198:199], v[244:245], v[196:197]
	v_div_fixup_f64 v[206:207], v[196:197], v[204:205], 1.0
	v_mov_b64_e32 v[198:199], v[194:195]
	v_mov_b64_e32 v[196:197], v[192:193]
	v_mul_f64 v[204:205], v[202:203], v[206:207]
	v_xor_b32_e32 v207, 0x80000000, v207
.LBB105_473:
	s_andn2_saveexec_b64 s[2:3], s[2:3]
	s_cbranch_execz .LBB105_475
; %bb.474:
	v_mov_b64_e32 v[192:193], v[196:197]
	v_mov_b64_e32 v[194:195], v[198:199]
	v_div_scale_f64 v[196:197], s[10:11], v[208:209], v[208:209], v[210:211]
	v_rcp_f64_e32 v[198:199], v[196:197]
	v_div_scale_f64 v[202:203], vcc, v[210:211], v[208:209], v[210:211]
	v_fma_f64 v[204:205], -v[196:197], v[198:199], 1.0
	v_fmac_f64_e32 v[198:199], v[198:199], v[204:205]
	v_fma_f64 v[204:205], -v[196:197], v[198:199], 1.0
	v_fmac_f64_e32 v[198:199], v[198:199], v[204:205]
	v_mul_f64 v[204:205], v[202:203], v[198:199]
	v_fma_f64 v[196:197], -v[196:197], v[204:205], v[202:203]
	v_div_fmas_f64 v[196:197], v[196:197], v[198:199], v[204:205]
	v_div_fixup_f64 v[196:197], v[196:197], v[208:209], v[210:211]
	v_fma_f64 v[198:199], v[210:211], v[196:197], v[208:209]
	v_div_scale_f64 v[202:203], s[10:11], v[198:199], v[198:199], 1.0
	v_rcp_f64_e32 v[204:205], v[202:203]
	s_nop 0
	v_fma_f64 v[206:207], -v[202:203], v[204:205], 1.0
	v_fmac_f64_e32 v[204:205], v[204:205], v[206:207]
	v_fma_f64 v[206:207], -v[202:203], v[204:205], 1.0
	v_fmac_f64_e32 v[204:205], v[204:205], v[206:207]
	v_div_scale_f64 v[206:207], vcc, 1.0, v[198:199], 1.0
	v_mul_f64 v[244:245], v[206:207], v[204:205]
	v_fma_f64 v[202:203], -v[202:203], v[244:245], v[206:207]
	s_nop 1
	v_div_fmas_f64 v[202:203], v[202:203], v[204:205], v[244:245]
	v_div_fixup_f64 v[204:205], v[202:203], v[198:199], 1.0
	v_mul_f64 v[206:207], v[196:197], -v[204:205]
	v_mov_b64_e32 v[198:199], v[194:195]
	v_mov_b64_e32 v[196:197], v[192:193]
.LBB105_475:
	s_or_b64 exec, exec, s[2:3]
	ds_write2_b64 v201, v[204:205], v[206:207] offset1:1
.LBB105_476:
	s_or_b64 exec, exec, s[4:5]
	s_waitcnt lgkmcnt(0)
	s_barrier
	ds_read2_b64 v[244:247], v201 offset1:1
	v_mov_b64_e32 v[192:193], v[196:197]
	v_mov_b64_e32 v[194:195], v[198:199]
	s_waitcnt lgkmcnt(0)
	s_barrier
	s_and_saveexec_b64 s[2:3], s[0:1]
	s_cbranch_execz .LBB105_479
; %bb.477:
	scratch_load_dwordx4 v[196:199], off, off offset:472 ; 16-byte Folded Reload
	scratch_load_dwordx4 v[202:205], off, off offset:488 ; 16-byte Folded Reload
	s_waitcnt vmcnt(1)
	v_cmp_eq_f64_e32 vcc, 0, v[196:197]
	v_cmp_eq_f64_e64 s[0:1], 0, v[198:199]
	s_and_b64 s[4:5], vcc, s[0:1]
	s_waitcnt vmcnt(0)
	v_cmp_neq_f64_e32 vcc, 0, v[202:203]
	v_cmp_neq_f64_e64 s[0:1], 0, v[204:205]
	scratch_load_dwordx4 v[202:205], off, off offset:504 ; 16-byte Folded Reload
	s_or_b64 s[0:1], vcc, s[0:1]
	v_cndmask_b32_e64 v196, 0, 1, s[4:5]
	s_or_b64 vcc, s[0:1], s[4:5]
	v_cndmask_b32_e32 v196, 2, v196, vcc
	v_mov_b32_e32 v197, s7
	s_waitcnt vmcnt(0)
	v_cmp_eq_f64_e32 vcc, 0, v[202:203]
	v_cmp_eq_f64_e64 s[0:1], 0, v[204:205]
	scratch_load_dwordx4 v[202:205], off, off offset:520 ; 16-byte Folded Reload
	s_and_b64 s[0:1], vcc, s[0:1]
	v_cmp_eq_u32_e32 vcc, 0, v196
	s_and_b64 s[0:1], s[0:1], vcc
	v_cndmask_b32_e64 v196, v196, 3, s[0:1]
	s_waitcnt vmcnt(0)
	v_cmp_eq_f64_e32 vcc, 0, v[202:203]
	v_cmp_eq_f64_e64 s[0:1], 0, v[204:205]
	scratch_load_dwordx4 v[202:205], off, off offset:536 ; 16-byte Folded Reload
	s_and_b64 s[0:1], vcc, s[0:1]
	v_cmp_eq_u32_e32 vcc, 0, v196
	s_and_b64 s[0:1], s[0:1], vcc
	v_cndmask_b32_e64 v196, v196, 4, s[0:1]
	;; [unrolled: 8-line block ×37, first 2 shown]
	v_mov_b32_e32 v196, s6
	s_waitcnt vmcnt(0)
	v_cmp_eq_f64_e32 vcc, 0, v[202:203]
	scratch_load_dwordx2 v[202:203], off, off offset:1144 ; 8-byte Folded Reload
	v_cmp_eq_f64_e64 s[0:1], 0, v[204:205]
	s_and_b64 s[0:1], vcc, s[0:1]
	v_cmp_eq_u32_e32 vcc, 0, v198
	s_and_b64 s[0:1], s[0:1], vcc
	s_waitcnt vmcnt(0)
	v_lshl_add_u64 v[204:205], v[202:203], 2, v[196:197]
	v_cndmask_b32_e64 v197, v198, 40, s[0:1]
	v_mov_b32_e32 v202, v200
	v_mov_b64_e32 v[200:201], v[74:75]
	v_mov_b64_e32 v[198:199], v[72:73]
	;; [unrolled: 1-line block ×62, first 2 shown]
	scratch_load_dwordx4 v[188:191], off, off offset:1112 ; 16-byte Folded Reload
	global_load_dword v196, v[204:205], off
	s_waitcnt vmcnt(1)
	v_cmp_eq_f64_e32 vcc, 0, v[188:189]
	v_cmp_eq_f64_e64 s[0:1], 0, v[190:191]
	v_mov_b64_e32 v[190:191], v[186:187]
	v_mov_b64_e32 v[188:189], v[184:185]
	;; [unrolled: 1-line block ×34, first 2 shown]
	scratch_load_dwordx4 v[212:215], off, off offset:1128 ; 16-byte Folded Reload
	s_and_b64 s[0:1], vcc, s[0:1]
	v_cmp_eq_u32_e32 vcc, 0, v197
	s_and_b64 s[0:1], s[0:1], vcc
	v_cndmask_b32_e64 v197, v197, 41, s[0:1]
	v_cmp_eq_f64_e32 vcc, 0, v[248:249]
	v_cmp_eq_f64_e64 s[0:1], 0, v[250:251]
	s_and_b64 s[0:1], vcc, s[0:1]
	v_cmp_eq_u32_e32 vcc, 0, v197
	s_and_b64 s[0:1], s[0:1], vcc
	v_cndmask_b32_e64 v197, v197, 42, s[0:1]
	v_cmp_eq_f64_e32 vcc, 0, v[252:253]
	v_cmp_eq_f64_e64 s[0:1], 0, v[254:255]
	s_and_b64 s[0:1], vcc, s[0:1]
	v_cmp_eq_u32_e32 vcc, 0, v197
	s_and_b64 s[0:1], s[0:1], vcc
	v_cndmask_b32_e64 v197, v197, 43, s[0:1]
	s_waitcnt vmcnt(0)
	v_cmp_eq_f64_e32 vcc, 0, v[212:213]
	v_cmp_eq_f64_e64 s[0:1], 0, v[214:215]
	s_and_b64 s[0:1], vcc, s[0:1]
	v_cmp_eq_u32_e32 vcc, 0, v197
	s_and_b64 s[0:1], s[0:1], vcc
	v_cndmask_b32_e64 v197, v197, 44, s[0:1]
	v_cmp_eq_f64_e32 vcc, 0, v[120:121]
	v_cmp_eq_f64_e64 s[0:1], 0, v[122:123]
	s_and_b64 s[0:1], vcc, s[0:1]
	v_cmp_eq_u32_e32 vcc, 0, v197
	s_and_b64 s[0:1], s[0:1], vcc
	v_cndmask_b32_e64 v197, v197, 45, s[0:1]
	;; [unrolled: 6-line block ×5, first 2 shown]
	v_cmp_eq_f64_e32 vcc, 0, v[228:229]
	v_cmp_eq_f64_e64 s[0:1], 0, v[230:231]
	s_and_b64 s[0:1], vcc, s[0:1]
	v_cmp_eq_u32_e32 vcc, 0, v197
	v_mov_b64_e32 v[122:123], v[118:119]
	s_and_b64 s[0:1], s[0:1], vcc
	v_mov_b64_e32 v[120:121], v[116:117]
	v_mov_b64_e32 v[118:119], v[114:115]
	v_cndmask_b32_e64 v197, v197, 49, s[0:1]
	v_cmp_eq_f64_e32 vcc, 0, v[232:233]
	v_cmp_eq_f64_e64 s[0:1], 0, v[234:235]
	v_mov_b64_e32 v[116:117], v[112:113]
	v_mov_b64_e32 v[114:115], v[110:111]
	s_and_b64 s[0:1], vcc, s[0:1]
	v_cmp_eq_u32_e32 vcc, 0, v197
	v_mov_b64_e32 v[112:113], v[108:109]
	v_mov_b64_e32 v[110:111], v[106:107]
	s_and_b64 s[0:1], s[0:1], vcc
	v_mov_b64_e32 v[108:109], v[104:105]
	v_mov_b64_e32 v[106:107], v[102:103]
	v_cndmask_b32_e64 v197, v197, 50, s[0:1]
	v_cmp_eq_f64_e32 vcc, 0, v[236:237]
	v_cmp_eq_f64_e64 s[0:1], 0, v[238:239]
	v_mov_b64_e32 v[104:105], v[100:101]
	v_mov_b64_e32 v[102:103], v[98:99]
	s_and_b64 s[0:1], vcc, s[0:1]
	v_cmp_eq_u32_e32 vcc, 0, v197
	v_mov_b64_e32 v[100:101], v[96:97]
	;; [unrolled: 12-line block ×4, first 2 shown]
	v_mov_b64_e32 v[72:73], v[198:199]
	s_and_b64 s[0:1], s[0:1], vcc
	v_mov_b64_e32 v[74:75], v[200:201]
	v_cndmask_b32_e64 v201, v197, 53, s[0:1]
	v_cmp_eq_u32_e32 vcc, 0, v196
	v_cmp_ne_u32_e64 s[0:1], 0, v201
	v_mov_b32_e32 v200, v202
	s_and_b64 s[0:1], vcc, s[0:1]
	s_and_b64 exec, exec, s[0:1]
	s_cbranch_execz .LBB105_479
; %bb.478:
	v_add_u32_e32 v196, s9, v201
	global_store_dword v[204:205], v196, off
.LBB105_479:
	s_or_b64 exec, exec, s[2:3]
	s_waitcnt vmcnt(57)
	v_mul_f64 v[196:197], v[246:247], v[210:211]
	v_mul_f64 v[198:199], v[244:245], v[210:211]
	v_cmp_lt_u32_e32 vcc, 52, v200
	v_fma_f64 v[196:197], v[244:245], v[208:209], -v[196:197]
	v_fmac_f64_e32 v[198:199], v[246:247], v[208:209]
	v_cndmask_b32_e32 v211, v211, v199, vcc
	v_cndmask_b32_e32 v210, v210, v198, vcc
	;; [unrolled: 1-line block ×4, first 2 shown]
	scratch_load_dwordx2 v[196:197], off, off offset:48 ; 8-byte Folded Reload
	scratch_load_dwordx4 v[198:201], off, off offset:32 ; 16-byte Folded Reload
	s_waitcnt vmcnt(0)
	global_store_dwordx4 v[196:197], v[198:201], off
	scratch_load_dwordx2 v[196:197], off, off offset:464 ; 8-byte Folded Reload
	s_nop 0
	scratch_load_dwordx4 v[198:201], off, off offset:16 ; 16-byte Folded Reload
	s_waitcnt vmcnt(0)
	global_store_dwordx4 v[196:197], v[198:201], off
	scratch_load_dwordx2 v[196:197], off, off offset:56 ; 8-byte Folded Reload
	s_waitcnt vmcnt(0)
	global_store_dwordx4 v[196:197], v[192:195], off
	scratch_load_dwordx2 v[196:197], off, off offset:64 ; 8-byte Folded Reload
	s_nop 0
	scratch_load_dwordx4 v[192:195], off, off ; 16-byte Folded Reload
	s_waitcnt vmcnt(0)
	global_store_dwordx4 v[196:197], v[192:195], off
	scratch_load_dwordx2 v[192:193], off, off offset:72 ; 8-byte Folded Reload
	s_waitcnt vmcnt(0)
	global_store_dwordx4 v[192:193], v[188:191], off
	scratch_load_dwordx2 v[188:189], off, off offset:80 ; 8-byte Folded Reload
	s_waitcnt vmcnt(0)
	global_store_dwordx4 v[188:189], v[184:187], off
	scratch_load_dwordx2 v[184:185], off, off offset:88 ; 8-byte Folded Reload
	s_waitcnt vmcnt(0)
	global_store_dwordx4 v[184:185], v[180:183], off
	scratch_load_dwordx2 v[180:181], off, off offset:96 ; 8-byte Folded Reload
	s_waitcnt vmcnt(0)
	global_store_dwordx4 v[180:181], v[176:179], off
	scratch_load_dwordx2 v[176:177], off, off offset:104 ; 8-byte Folded Reload
	s_waitcnt vmcnt(0)
	global_store_dwordx4 v[176:177], v[172:175], off
	scratch_load_dwordx2 v[172:173], off, off offset:112 ; 8-byte Folded Reload
	s_waitcnt vmcnt(0)
	global_store_dwordx4 v[172:173], v[168:171], off
	scratch_load_dwordx2 v[168:169], off, off offset:120 ; 8-byte Folded Reload
	s_waitcnt vmcnt(0)
	global_store_dwordx4 v[168:169], v[164:167], off
	scratch_load_dwordx2 v[164:165], off, off offset:128 ; 8-byte Folded Reload
	s_waitcnt vmcnt(0)
	global_store_dwordx4 v[164:165], v[160:163], off
	scratch_load_dwordx2 v[160:161], off, off offset:136 ; 8-byte Folded Reload
	s_waitcnt vmcnt(0)
	global_store_dwordx4 v[160:161], v[156:159], off
	scratch_load_dwordx2 v[156:157], off, off offset:144 ; 8-byte Folded Reload
	s_waitcnt vmcnt(0)
	global_store_dwordx4 v[156:157], v[152:155], off
	scratch_load_dwordx2 v[152:153], off, off offset:152 ; 8-byte Folded Reload
	s_waitcnt vmcnt(0)
	global_store_dwordx4 v[152:153], v[148:151], off
	scratch_load_dwordx2 v[148:149], off, off offset:160 ; 8-byte Folded Reload
	s_waitcnt vmcnt(0)
	global_store_dwordx4 v[148:149], v[144:147], off
	scratch_load_dwordx2 v[144:145], off, off offset:168 ; 8-byte Folded Reload
	s_waitcnt vmcnt(0)
	global_store_dwordx4 v[144:145], v[140:143], off
	scratch_load_dwordx2 v[140:141], off, off offset:176 ; 8-byte Folded Reload
	s_waitcnt vmcnt(0)
	global_store_dwordx4 v[140:141], v[136:139], off
	scratch_load_dwordx2 v[136:137], off, off offset:184 ; 8-byte Folded Reload
	s_waitcnt vmcnt(0)
	global_store_dwordx4 v[136:137], v[132:135], off
	scratch_load_dwordx2 v[132:133], off, off offset:192 ; 8-byte Folded Reload
	s_waitcnt vmcnt(0)
	global_store_dwordx4 v[132:133], v[128:131], off
	scratch_load_dwordx2 v[128:129], off, off offset:200 ; 8-byte Folded Reload
	s_waitcnt vmcnt(0)
	global_store_dwordx4 v[128:129], v[124:127], off
	scratch_load_dwordx2 v[124:125], off, off offset:208 ; 8-byte Folded Reload
	s_waitcnt vmcnt(0)
	global_store_dwordx4 v[124:125], v[120:123], off
	scratch_load_dwordx2 v[120:121], off, off offset:216 ; 8-byte Folded Reload
	s_waitcnt vmcnt(0)
	global_store_dwordx4 v[120:121], v[116:119], off
	scratch_load_dwordx2 v[116:117], off, off offset:224 ; 8-byte Folded Reload
	s_waitcnt vmcnt(0)
	global_store_dwordx4 v[116:117], v[112:115], off
	scratch_load_dwordx2 v[112:113], off, off offset:232 ; 8-byte Folded Reload
	s_waitcnt vmcnt(0)
	global_store_dwordx4 v[112:113], v[108:111], off
	scratch_load_dwordx2 v[108:109], off, off offset:240 ; 8-byte Folded Reload
	s_waitcnt vmcnt(0)
	global_store_dwordx4 v[108:109], v[104:107], off
	scratch_load_dwordx2 v[104:105], off, off offset:248 ; 8-byte Folded Reload
	s_waitcnt vmcnt(0)
	global_store_dwordx4 v[104:105], v[100:103], off
	scratch_load_dwordx2 v[100:101], off, off offset:256 ; 8-byte Folded Reload
	s_waitcnt vmcnt(0)
	global_store_dwordx4 v[100:101], v[96:99], off
	scratch_load_dwordx2 v[96:97], off, off offset:264 ; 8-byte Folded Reload
	s_waitcnt vmcnt(0)
	global_store_dwordx4 v[96:97], v[92:95], off
	scratch_load_dwordx2 v[92:93], off, off offset:272 ; 8-byte Folded Reload
	s_waitcnt vmcnt(0)
	global_store_dwordx4 v[92:93], v[88:91], off
	scratch_load_dwordx2 v[88:89], off, off offset:280 ; 8-byte Folded Reload
	s_waitcnt vmcnt(0)
	global_store_dwordx4 v[88:89], v[84:87], off
	scratch_load_dwordx2 v[84:85], off, off offset:288 ; 8-byte Folded Reload
	s_waitcnt vmcnt(0)
	global_store_dwordx4 v[84:85], v[80:83], off
	scratch_load_dwordx2 v[80:81], off, off offset:296 ; 8-byte Folded Reload
	s_waitcnt vmcnt(0)
	global_store_dwordx4 v[80:81], v[76:79], off
	scratch_load_dwordx2 v[76:77], off, off offset:304 ; 8-byte Folded Reload
	s_waitcnt vmcnt(0)
	global_store_dwordx4 v[76:77], v[72:75], off
	scratch_load_dwordx2 v[72:73], off, off offset:312 ; 8-byte Folded Reload
	s_waitcnt vmcnt(0)
	global_store_dwordx4 v[72:73], v[68:71], off
	scratch_load_dwordx2 v[68:69], off, off offset:320 ; 8-byte Folded Reload
	s_waitcnt vmcnt(0)
	global_store_dwordx4 v[68:69], v[64:67], off
	scratch_load_dwordx2 v[64:65], off, off offset:328 ; 8-byte Folded Reload
	s_waitcnt vmcnt(0)
	global_store_dwordx4 v[64:65], v[60:63], off
	scratch_load_dwordx2 v[60:61], off, off offset:336 ; 8-byte Folded Reload
	s_waitcnt vmcnt(0)
	global_store_dwordx4 v[60:61], v[56:59], off
	scratch_load_dwordx2 v[56:57], off, off offset:344 ; 8-byte Folded Reload
	s_waitcnt vmcnt(0)
	global_store_dwordx4 v[56:57], v[52:55], off
	scratch_load_dwordx2 v[52:53], off, off offset:352 ; 8-byte Folded Reload
	s_waitcnt vmcnt(0)
	global_store_dwordx4 v[52:53], v[48:51], off
	scratch_load_dwordx2 v[48:49], off, off offset:360 ; 8-byte Folded Reload
	s_waitcnt vmcnt(0)
	global_store_dwordx4 v[48:49], v[44:47], off
	scratch_load_dwordx2 v[44:45], off, off offset:368 ; 8-byte Folded Reload
	s_waitcnt vmcnt(0)
	global_store_dwordx4 v[44:45], v[40:43], off
	scratch_load_dwordx2 v[40:41], off, off offset:376 ; 8-byte Folded Reload
	s_waitcnt vmcnt(0)
	global_store_dwordx4 v[40:41], v[36:39], off
	scratch_load_dwordx2 v[36:37], off, off offset:384 ; 8-byte Folded Reload
	s_waitcnt vmcnt(0)
	global_store_dwordx4 v[36:37], v[32:35], off
	scratch_load_dwordx2 v[32:33], off, off offset:392 ; 8-byte Folded Reload
	s_waitcnt vmcnt(0)
	global_store_dwordx4 v[32:33], v[28:31], off
	scratch_load_dwordx2 v[28:29], off, off offset:400 ; 8-byte Folded Reload
	s_waitcnt vmcnt(0)
	global_store_dwordx4 v[28:29], v[24:27], off
	scratch_load_dwordx2 v[24:25], off, off offset:408 ; 8-byte Folded Reload
	s_waitcnt vmcnt(0)
	global_store_dwordx4 v[24:25], v[20:23], off
	scratch_load_dwordx2 v[20:21], off, off offset:416 ; 8-byte Folded Reload
	s_waitcnt vmcnt(0)
	global_store_dwordx4 v[20:21], v[16:19], off
	scratch_load_dwordx2 v[16:17], off, off offset:424 ; 8-byte Folded Reload
	s_waitcnt vmcnt(0)
	global_store_dwordx4 v[16:17], v[12:15], off
	scratch_load_dwordx2 v[12:13], off, off offset:432 ; 8-byte Folded Reload
	s_waitcnt vmcnt(0)
	global_store_dwordx4 v[12:13], v[8:11], off
	scratch_load_dwordx2 v[8:9], off, off offset:440 ; 8-byte Folded Reload
	s_waitcnt vmcnt(0)
	global_store_dwordx4 v[8:9], v[4:7], off
	scratch_load_dwordx2 v[4:5], off, off offset:448 ; 8-byte Folded Reload
	s_waitcnt vmcnt(0)
	global_store_dwordx4 v[4:5], v[0:3], off
	scratch_load_dwordx2 v[0:1], off, off offset:456 ; 8-byte Folded Reload
	s_waitcnt vmcnt(0)
	global_store_dwordx4 v[0:1], v[208:211], off
.LBB105_480:
	s_endpgm
	.section	.rodata,"a",@progbits
	.p2align	6, 0x0
	.amdhsa_kernel _ZN9rocsolver6v33100L23getf2_npvt_small_kernelILi53E19rocblas_complex_numIdEiiPS3_EEvT1_T3_lS5_lPT2_S5_S5_
		.amdhsa_group_segment_fixed_size 0
		.amdhsa_private_segment_fixed_size 1156
		.amdhsa_kernarg_size 312
		.amdhsa_user_sgpr_count 2
		.amdhsa_user_sgpr_dispatch_ptr 0
		.amdhsa_user_sgpr_queue_ptr 0
		.amdhsa_user_sgpr_kernarg_segment_ptr 1
		.amdhsa_user_sgpr_dispatch_id 0
		.amdhsa_user_sgpr_kernarg_preload_length 0
		.amdhsa_user_sgpr_kernarg_preload_offset 0
		.amdhsa_user_sgpr_private_segment_size 0
		.amdhsa_uses_dynamic_stack 0
		.amdhsa_enable_private_segment 1
		.amdhsa_system_sgpr_workgroup_id_x 1
		.amdhsa_system_sgpr_workgroup_id_y 1
		.amdhsa_system_sgpr_workgroup_id_z 0
		.amdhsa_system_sgpr_workgroup_info 0
		.amdhsa_system_vgpr_workitem_id 1
		.amdhsa_next_free_vgpr 256
		.amdhsa_next_free_sgpr 16
		.amdhsa_accum_offset 256
		.amdhsa_reserve_vcc 1
		.amdhsa_float_round_mode_32 0
		.amdhsa_float_round_mode_16_64 0
		.amdhsa_float_denorm_mode_32 3
		.amdhsa_float_denorm_mode_16_64 3
		.amdhsa_dx10_clamp 1
		.amdhsa_ieee_mode 1
		.amdhsa_fp16_overflow 0
		.amdhsa_tg_split 0
		.amdhsa_exception_fp_ieee_invalid_op 0
		.amdhsa_exception_fp_denorm_src 0
		.amdhsa_exception_fp_ieee_div_zero 0
		.amdhsa_exception_fp_ieee_overflow 0
		.amdhsa_exception_fp_ieee_underflow 0
		.amdhsa_exception_fp_ieee_inexact 0
		.amdhsa_exception_int_div_zero 0
	.end_amdhsa_kernel
	.section	.text._ZN9rocsolver6v33100L23getf2_npvt_small_kernelILi53E19rocblas_complex_numIdEiiPS3_EEvT1_T3_lS5_lPT2_S5_S5_,"axG",@progbits,_ZN9rocsolver6v33100L23getf2_npvt_small_kernelILi53E19rocblas_complex_numIdEiiPS3_EEvT1_T3_lS5_lPT2_S5_S5_,comdat
.Lfunc_end105:
	.size	_ZN9rocsolver6v33100L23getf2_npvt_small_kernelILi53E19rocblas_complex_numIdEiiPS3_EEvT1_T3_lS5_lPT2_S5_S5_, .Lfunc_end105-_ZN9rocsolver6v33100L23getf2_npvt_small_kernelILi53E19rocblas_complex_numIdEiiPS3_EEvT1_T3_lS5_lPT2_S5_S5_
                                        ; -- End function
	.set _ZN9rocsolver6v33100L23getf2_npvt_small_kernelILi53E19rocblas_complex_numIdEiiPS3_EEvT1_T3_lS5_lPT2_S5_S5_.num_vgpr, 256
	.set _ZN9rocsolver6v33100L23getf2_npvt_small_kernelILi53E19rocblas_complex_numIdEiiPS3_EEvT1_T3_lS5_lPT2_S5_S5_.num_agpr, 0
	.set _ZN9rocsolver6v33100L23getf2_npvt_small_kernelILi53E19rocblas_complex_numIdEiiPS3_EEvT1_T3_lS5_lPT2_S5_S5_.numbered_sgpr, 16
	.set _ZN9rocsolver6v33100L23getf2_npvt_small_kernelILi53E19rocblas_complex_numIdEiiPS3_EEvT1_T3_lS5_lPT2_S5_S5_.num_named_barrier, 0
	.set _ZN9rocsolver6v33100L23getf2_npvt_small_kernelILi53E19rocblas_complex_numIdEiiPS3_EEvT1_T3_lS5_lPT2_S5_S5_.private_seg_size, 1156
	.set _ZN9rocsolver6v33100L23getf2_npvt_small_kernelILi53E19rocblas_complex_numIdEiiPS3_EEvT1_T3_lS5_lPT2_S5_S5_.uses_vcc, 1
	.set _ZN9rocsolver6v33100L23getf2_npvt_small_kernelILi53E19rocblas_complex_numIdEiiPS3_EEvT1_T3_lS5_lPT2_S5_S5_.uses_flat_scratch, 0
	.set _ZN9rocsolver6v33100L23getf2_npvt_small_kernelILi53E19rocblas_complex_numIdEiiPS3_EEvT1_T3_lS5_lPT2_S5_S5_.has_dyn_sized_stack, 0
	.set _ZN9rocsolver6v33100L23getf2_npvt_small_kernelILi53E19rocblas_complex_numIdEiiPS3_EEvT1_T3_lS5_lPT2_S5_S5_.has_recursion, 0
	.set _ZN9rocsolver6v33100L23getf2_npvt_small_kernelILi53E19rocblas_complex_numIdEiiPS3_EEvT1_T3_lS5_lPT2_S5_S5_.has_indirect_call, 0
	.section	.AMDGPU.csdata,"",@progbits
; Kernel info:
; codeLenInByte = 125416
; TotalNumSgprs: 22
; NumVgprs: 256
; NumAgprs: 0
; TotalNumVgprs: 256
; ScratchSize: 1156
; MemoryBound: 1
; FloatMode: 240
; IeeeMode: 1
; LDSByteSize: 0 bytes/workgroup (compile time only)
; SGPRBlocks: 2
; VGPRBlocks: 31
; NumSGPRsForWavesPerEU: 22
; NumVGPRsForWavesPerEU: 256
; AccumOffset: 256
; Occupancy: 2
; WaveLimiterHint : 0
; COMPUTE_PGM_RSRC2:SCRATCH_EN: 1
; COMPUTE_PGM_RSRC2:USER_SGPR: 2
; COMPUTE_PGM_RSRC2:TRAP_HANDLER: 0
; COMPUTE_PGM_RSRC2:TGID_X_EN: 1
; COMPUTE_PGM_RSRC2:TGID_Y_EN: 1
; COMPUTE_PGM_RSRC2:TGID_Z_EN: 0
; COMPUTE_PGM_RSRC2:TIDIG_COMP_CNT: 1
; COMPUTE_PGM_RSRC3_GFX90A:ACCUM_OFFSET: 63
; COMPUTE_PGM_RSRC3_GFX90A:TG_SPLIT: 0
	.section	.text._ZN9rocsolver6v33100L18getf2_small_kernelILi54E19rocblas_complex_numIdEiiPS3_EEvT1_T3_lS5_lPS5_llPT2_S5_S5_S7_l,"axG",@progbits,_ZN9rocsolver6v33100L18getf2_small_kernelILi54E19rocblas_complex_numIdEiiPS3_EEvT1_T3_lS5_lPS5_llPT2_S5_S5_S7_l,comdat
	.globl	_ZN9rocsolver6v33100L18getf2_small_kernelILi54E19rocblas_complex_numIdEiiPS3_EEvT1_T3_lS5_lPS5_llPT2_S5_S5_S7_l ; -- Begin function _ZN9rocsolver6v33100L18getf2_small_kernelILi54E19rocblas_complex_numIdEiiPS3_EEvT1_T3_lS5_lPS5_llPT2_S5_S5_S7_l
	.p2align	8
	.type	_ZN9rocsolver6v33100L18getf2_small_kernelILi54E19rocblas_complex_numIdEiiPS3_EEvT1_T3_lS5_lPS5_llPT2_S5_S5_S7_l,@function
_ZN9rocsolver6v33100L18getf2_small_kernelILi54E19rocblas_complex_numIdEiiPS3_EEvT1_T3_lS5_lPS5_llPT2_S5_S5_S7_l: ; @_ZN9rocsolver6v33100L18getf2_small_kernelILi54E19rocblas_complex_numIdEiiPS3_EEvT1_T3_lS5_lPS5_llPT2_S5_S5_S7_l
; %bb.0:
	s_load_dword s2, s[0:1], 0x6c
	s_load_dwordx2 s[12:13], s[0:1], 0x48
	v_bfe_u32 v216, v0, 10, 10
	s_waitcnt lgkmcnt(0)
	s_lshr_b32 s2, s2, 16
	s_mul_i32 s3, s3, s2
	v_add_u32_e32 v8, s3, v216
	v_cmp_gt_i32_e32 vcc, s12, v8
	s_and_saveexec_b64 s[2:3], vcc
	s_cbranch_execnz .LBB106_1
; %bb.1136:
	s_getpc_b64 s[24:25]
.Lpost_getpc4:
	s_add_u32 s24, s24, (.LBB106_1135-.Lpost_getpc4)&4294967295
	s_addc_u32 s25, s25, (.LBB106_1135-.Lpost_getpc4)>>32
	s_setpc_b64 s[24:25]
.LBB106_1:
	s_load_dwordx4 s[4:7], s[0:1], 0x50
	v_ashrrev_i32_e32 v9, 31, v8
	v_mov_b64_e32 v[2:3], 0
	s_waitcnt lgkmcnt(0)
	s_cmp_eq_u64 s[4:5], 0
	s_cselect_b64 s[14:15], -1, 0
	s_and_b64 vcc, exec, s[14:15]
	s_cbranch_vccnz .LBB106_3
; %bb.2:
	v_mul_lo_u32 v1, s7, v8
	v_mul_lo_u32 v4, s6, v9
	v_mad_u64_u32 v[2:3], s[2:3], s6, v8, 0
	v_add3_u32 v3, v3, v4, v1
	v_lshl_add_u64 v[2:3], v[2:3], 2, s[4:5]
.LBB106_3:
	scratch_store_dwordx2 off, v[2:3], off offset:8 ; 8-byte Folded Spill
	s_load_dwordx4 s[16:19], s[0:1], 0x8
	s_load_dwordx8 s[4:11], s[0:1], 0x20
	s_load_dword s2, s[0:1], 0x18
	s_load_dword s20, s[0:1], 0x0
	v_mov_b64_e32 v[224:225], v[8:9]
	s_waitcnt lgkmcnt(0)
	v_mov_b32_e32 v2, s16
	v_mul_lo_u32 v1, s5, v8
	v_mul_lo_u32 v6, s4, v9
	v_mad_u64_u32 v[4:5], s[4:5], s4, v8, 0
	v_mov_b32_e32 v3, s17
	v_add3_u32 v5, v5, v6, v1
	v_lshl_add_u64 v[2:3], v[4:5], 4, v[2:3]
	v_lshl_add_u64 v[70:71], s[18:19], 4, v[2:3]
	v_and_b32_e32 v2, 0x3ff, v0
	s_add_i32 s12, s2, s2
	v_lshlrev_b32_e32 v226, 4, v2
	v_mov_b32_e32 v220, v2
	v_add_u32_e32 v2, s12, v2
	v_add_u32_e32 v4, s2, v2
	;; [unrolled: 1-line block ×3, first 2 shown]
	v_mov_b32_e32 v227, 0
	v_add_u32_e32 v8, s2, v6
	v_lshl_add_u64 v[0:1], v[70:71], 0, v[226:227]
	s_ashr_i32 s3, s2, 31
	v_ashrrev_i32_e32 v9, 31, v8
	v_add_u32_e32 v12, s2, v8
	v_lshl_add_u64 v[10:11], s[2:3], 4, v[0:1]
	global_load_dwordx4 v[140:143], v[0:1], off
	global_load_dwordx4 v[148:151], v[10:11], off
	v_lshl_add_u64 v[0:1], v[8:9], 4, v[70:71]
	v_ashrrev_i32_e32 v13, 31, v12
	v_add_u32_e32 v8, s2, v12
	v_lshl_add_u64 v[10:11], v[12:13], 4, v[70:71]
	v_add_u32_e32 v12, s2, v8
	v_add_u32_e32 v14, s2, v12
	;; [unrolled: 1-line block ×15, first 2 shown]
	v_ashrrev_i32_e32 v41, 31, v40
	v_lshl_add_u64 v[42:43], v[40:41], 4, v[70:71]
	v_add_u32_e32 v40, s2, v40
	v_ashrrev_i32_e32 v41, 31, v40
	v_lshl_add_u64 v[44:45], v[40:41], 4, v[70:71]
	v_add_u32_e32 v40, s2, v40
	v_ashrrev_i32_e32 v41, 31, v40
	v_lshl_add_u64 v[46:47], v[40:41], 4, v[70:71]
	v_add_u32_e32 v40, s2, v40
	v_ashrrev_i32_e32 v41, 31, v40
	v_lshl_add_u64 v[48:49], v[40:41], 4, v[70:71]
	v_add_u32_e32 v40, s2, v40
	v_ashrrev_i32_e32 v41, 31, v40
	v_lshl_add_u64 v[50:51], v[40:41], 4, v[70:71]
	v_add_u32_e32 v40, s2, v40
	v_ashrrev_i32_e32 v41, 31, v40
	v_lshl_add_u64 v[52:53], v[40:41], 4, v[70:71]
	v_add_u32_e32 v40, s2, v40
	v_ashrrev_i32_e32 v41, 31, v40
	v_lshl_add_u64 v[54:55], v[40:41], 4, v[70:71]
	v_add_u32_e32 v40, s2, v40
	v_ashrrev_i32_e32 v41, 31, v40
	v_lshl_add_u64 v[56:57], v[40:41], 4, v[70:71]
	v_add_u32_e32 v40, s2, v40
	v_ashrrev_i32_e32 v41, 31, v40
	v_lshl_add_u64 v[58:59], v[40:41], 4, v[70:71]
	v_add_u32_e32 v40, s2, v40
	v_ashrrev_i32_e32 v41, 31, v40
	v_lshl_add_u64 v[60:61], v[40:41], 4, v[70:71]
	v_add_u32_e32 v40, s2, v40
	v_ashrrev_i32_e32 v41, 31, v40
	v_lshl_add_u64 v[62:63], v[40:41], 4, v[70:71]
	v_add_u32_e32 v40, s2, v40
	v_ashrrev_i32_e32 v41, 31, v40
	v_lshl_add_u64 v[64:65], v[40:41], 4, v[70:71]
	v_add_u32_e32 v40, s2, v40
	v_ashrrev_i32_e32 v41, 31, v40
	v_lshl_add_u64 v[66:67], v[40:41], 4, v[70:71]
	v_add_u32_e32 v40, s2, v40
	v_ashrrev_i32_e32 v41, 31, v40
	v_lshl_add_u64 v[68:69], v[40:41], 4, v[70:71]
	v_add_u32_e32 v40, s2, v40
	v_ashrrev_i32_e32 v41, 31, v40
	v_lshl_add_u64 v[212:213], v[40:41], 4, v[70:71]
	v_add_u32_e32 v40, s2, v40
	v_ashrrev_i32_e32 v41, 31, v40
	v_lshl_add_u64 v[214:215], v[40:41], 4, v[70:71]
	v_add_u32_e32 v40, s2, v40
	v_ashrrev_i32_e32 v41, 31, v40
	v_lshl_add_u64 v[218:219], v[40:41], 4, v[70:71]
	v_add_u32_e32 v40, s2, v40
	v_ashrrev_i32_e32 v41, 31, v40
	v_lshl_add_u64 v[228:229], v[40:41], 4, v[70:71]
	v_add_u32_e32 v40, s2, v40
	v_ashrrev_i32_e32 v41, 31, v40
	v_lshl_add_u64 v[232:233], v[40:41], 4, v[70:71]
	v_add_u32_e32 v40, s2, v40
	v_ashrrev_i32_e32 v41, 31, v40
	v_lshl_add_u64 v[234:235], v[40:41], 4, v[70:71]
	v_add_u32_e32 v40, s2, v40
	v_ashrrev_i32_e32 v41, 31, v40
	v_lshl_add_u64 v[236:237], v[40:41], 4, v[70:71]
	v_add_u32_e32 v40, s2, v40
	v_ashrrev_i32_e32 v41, 31, v40
	v_lshl_add_u64 v[238:239], v[40:41], 4, v[70:71]
	v_add_u32_e32 v40, s2, v40
	v_ashrrev_i32_e32 v41, 31, v40
	v_lshl_add_u64 v[240:241], v[40:41], 4, v[70:71]
	v_add_u32_e32 v40, s2, v40
	v_ashrrev_i32_e32 v41, 31, v40
	v_lshl_add_u64 v[242:243], v[40:41], 4, v[70:71]
	v_add_u32_e32 v40, s2, v40
	v_ashrrev_i32_e32 v41, 31, v40
	v_lshl_add_u64 v[244:245], v[40:41], 4, v[70:71]
	v_add_u32_e32 v40, s2, v40
	v_ashrrev_i32_e32 v41, 31, v40
	v_lshl_add_u64 v[246:247], v[40:41], 4, v[70:71]
	v_add_u32_e32 v40, s2, v40
	v_ashrrev_i32_e32 v41, 31, v40
	v_lshl_add_u64 v[248:249], v[40:41], 4, v[70:71]
	v_add_u32_e32 v40, s2, v40
	v_ashrrev_i32_e32 v41, 31, v40
	v_lshl_add_u64 v[250:251], v[40:41], 4, v[70:71]
	v_add_u32_e32 v40, s2, v40
	v_ashrrev_i32_e32 v41, 31, v40
	v_lshl_add_u64 v[252:253], v[40:41], 4, v[70:71]
	v_add_u32_e32 v40, s2, v40
	v_ashrrev_i32_e32 v41, 31, v40
	v_lshl_add_u64 v[254:255], v[40:41], 4, v[70:71]
	v_add_u32_e32 v40, s2, v40
	v_ashrrev_i32_e32 v41, 31, v40
	v_ashrrev_i32_e32 v3, 31, v2
	;; [unrolled: 1-line block ×14, first 2 shown]
	v_lshl_add_u64 v[222:223], v[40:41], 4, v[70:71]
	v_add_u32_e32 v40, s2, v40
	v_ashrrev_i32_e32 v5, 31, v4
	v_lshl_add_u64 v[2:3], v[2:3], 4, v[70:71]
	v_ashrrev_i32_e32 v7, 31, v6
	v_ashrrev_i32_e32 v9, 31, v8
	;; [unrolled: 1-line block ×4, first 2 shown]
	v_lshl_add_u64 v[16:17], v[16:17], 4, v[70:71]
	v_lshl_add_u64 v[18:19], v[18:19], 4, v[70:71]
	;; [unrolled: 1-line block ×12, first 2 shown]
	v_ashrrev_i32_e32 v41, 31, v40
	scratch_store_dwordx2 off, v[70:71], off ; 8-byte Folded Spill
	v_lshl_add_u64 v[4:5], v[4:5], 4, v[70:71]
	v_lshl_add_u64 v[6:7], v[6:7], 4, v[70:71]
	v_lshl_add_u64 v[8:9], v[8:9], 4, v[70:71]
	v_lshl_add_u64 v[12:13], v[12:13], 4, v[70:71]
	v_lshl_add_u64 v[14:15], v[14:15], 4, v[70:71]
	v_lshl_add_u64 v[230:231], v[40:41], 4, v[70:71]
	global_load_dwordx4 v[208:211], v[2:3], off
	global_load_dwordx4 v[204:207], v[4:5], off
	;; [unrolled: 1-line block ×33, first 2 shown]
	s_nop 0
	global_load_dwordx4 v[68:71], v[68:69], off
	s_nop 0
	global_load_dwordx4 v[64:67], v[212:213], off
	global_load_dwordx4 v[60:63], v[214:215], off
	;; [unrolled: 1-line block ×18, first 2 shown]
	s_load_dwordx2 s[4:5], s[0:1], 0x40
	s_max_i32 s0, s20, 54
	v_mul_lo_u32 v222, s0, v216
	s_waitcnt vmcnt(54)
	v_mov_b64_e32 v[248:249], v[142:143]
	v_lshl_add_u32 v228, v222, 4, 0
	v_mov_b64_e32 v[246:247], v[140:141]
	v_add_u32_e32 v216, v228, v226
	ds_write2_b64 v216, v[246:247], v[248:249] offset1:1
	s_waitcnt lgkmcnt(0)
	s_barrier
	ds_read2_b64 v[216:219], v228 offset1:1
	s_cmp_lt_i32 s20, 2
	v_lshlrev_b32_e32 v232, 4, v222
	s_cbranch_scc1 .LBB106_6
; %bb.4:
	v_add3_u32 v226, v232, 0, 16
	s_mov_b32 s16, 1
	v_mov_b32_e32 v227, 0
.LBB106_5:                              ; =>This Inner Loop Header: Depth=1
	ds_read2_b64 v[234:237], v226 offset1:1
	s_waitcnt lgkmcnt(1)
	v_xor_b32_e32 v223, 0x80000000, v217
	v_xor_b32_e32 v229, 0x80000000, v219
	v_cmp_gt_f64_e32 vcc, 0, v[218:219]
	v_cmp_gt_f64_e64 s[0:1], 0, v[216:217]
	v_mov_b32_e32 v222, v216
	v_mov_b32_e32 v230, v218
	v_cndmask_b32_e64 v223, v217, v223, s[0:1]
	v_cndmask_b32_e32 v231, v219, v229, vcc
	s_waitcnt lgkmcnt(0)
	v_xor_b32_e32 v229, 0x80000000, v235
	v_xor_b32_e32 v239, 0x80000000, v237
	v_cmp_gt_f64_e32 vcc, 0, v[236:237]
	v_cmp_gt_f64_e64 s[0:1], 0, v[234:235]
	v_add_f64 v[222:223], v[222:223], v[230:231]
	v_mov_b32_e32 v230, v234
	v_mov_b32_e32 v238, v236
	v_cndmask_b32_e64 v231, v235, v229, s[0:1]
	v_cndmask_b32_e32 v239, v237, v239, vcc
	v_add_f64 v[230:231], v[230:231], v[238:239]
	v_mov_b32_e32 v233, s16
	s_add_i32 s16, s16, 1
	v_cmp_lt_f64_e32 vcc, v[222:223], v[230:231]
	v_add_u32_e32 v226, 16, v226
	s_cmp_eq_u32 s20, s16
	v_cndmask_b32_e32 v217, v217, v235, vcc
	v_cndmask_b32_e32 v216, v216, v234, vcc
	;; [unrolled: 1-line block ×5, first 2 shown]
	s_cbranch_scc0 .LBB106_5
.LBB106_6:
	v_mov_b64_e32 v[244:245], v[224:225]
	scratch_load_dwordx2 v[224:225], off, off offset:8 ; 8-byte Folded Reload
	s_waitcnt vmcnt(54)
	v_mov_b64_e32 v[140:141], v[148:149]
	s_waitcnt lgkmcnt(0)
	v_cmp_neq_f64_e32 vcc, 0, v[216:217]
	v_cmp_neq_f64_e64 s[0:1], 0, v[218:219]
	v_mov_b64_e32 v[142:143], v[150:151]
	s_or_b64 s[16:17], vcc, s[0:1]
	v_mov_b32_e32 v230, 1
	v_mov_b32_e32 v233, 1
	s_and_saveexec_b64 s[0:1], s[16:17]
	s_cbranch_execz .LBB106_12
; %bb.7:
	v_cmp_ngt_f64_e64 s[16:17], |v[216:217]|, |v[218:219]|
	s_and_saveexec_b64 s[18:19], s[16:17]
	s_xor_b64 s[16:17], exec, s[18:19]
	s_cbranch_execz .LBB106_9
; %bb.8:
	v_div_scale_f64 v[222:223], s[18:19], v[218:219], v[218:219], v[216:217]
	v_rcp_f64_e32 v[230:231], v[222:223]
	v_div_scale_f64 v[234:235], vcc, v[216:217], v[218:219], v[216:217]
	v_fma_f64 v[236:237], -v[222:223], v[230:231], 1.0
	v_fmac_f64_e32 v[230:231], v[230:231], v[236:237]
	v_fma_f64 v[236:237], -v[222:223], v[230:231], 1.0
	v_fmac_f64_e32 v[230:231], v[230:231], v[236:237]
	v_mul_f64 v[236:237], v[234:235], v[230:231]
	v_fma_f64 v[222:223], -v[222:223], v[236:237], v[234:235]
	v_div_fmas_f64 v[222:223], v[222:223], v[230:231], v[236:237]
	v_div_fixup_f64 v[222:223], v[222:223], v[218:219], v[216:217]
	v_fmac_f64_e32 v[218:219], v[216:217], v[222:223]
	v_div_scale_f64 v[216:217], s[18:19], v[218:219], v[218:219], 1.0
	v_rcp_f64_e32 v[230:231], v[216:217]
	s_nop 0
	v_fma_f64 v[234:235], -v[216:217], v[230:231], 1.0
	v_fmac_f64_e32 v[230:231], v[230:231], v[234:235]
	v_fma_f64 v[234:235], -v[216:217], v[230:231], 1.0
	v_fmac_f64_e32 v[230:231], v[230:231], v[234:235]
	v_div_scale_f64 v[234:235], vcc, 1.0, v[218:219], 1.0
	v_mul_f64 v[236:237], v[234:235], v[230:231]
	v_fma_f64 v[216:217], -v[216:217], v[236:237], v[234:235]
	s_nop 1
	v_div_fmas_f64 v[216:217], v[216:217], v[230:231], v[236:237]
	v_div_fixup_f64 v[218:219], v[216:217], v[218:219], 1.0
	v_mul_f64 v[216:217], v[222:223], v[218:219]
	v_xor_b32_e32 v219, 0x80000000, v219
.LBB106_9:
	s_andn2_saveexec_b64 s[16:17], s[16:17]
	s_cbranch_execz .LBB106_11
; %bb.10:
	v_div_scale_f64 v[222:223], s[18:19], v[216:217], v[216:217], v[218:219]
	v_rcp_f64_e32 v[230:231], v[222:223]
	v_div_scale_f64 v[234:235], vcc, v[218:219], v[216:217], v[218:219]
	v_fma_f64 v[236:237], -v[222:223], v[230:231], 1.0
	v_fmac_f64_e32 v[230:231], v[230:231], v[236:237]
	v_fma_f64 v[236:237], -v[222:223], v[230:231], 1.0
	v_fmac_f64_e32 v[230:231], v[230:231], v[236:237]
	v_mul_f64 v[236:237], v[234:235], v[230:231]
	v_fma_f64 v[222:223], -v[222:223], v[236:237], v[234:235]
	v_div_fmas_f64 v[222:223], v[222:223], v[230:231], v[236:237]
	v_div_fixup_f64 v[222:223], v[222:223], v[216:217], v[218:219]
	v_fmac_f64_e32 v[216:217], v[218:219], v[222:223]
	v_div_scale_f64 v[218:219], s[18:19], v[216:217], v[216:217], 1.0
	v_rcp_f64_e32 v[230:231], v[218:219]
	s_nop 0
	v_fma_f64 v[234:235], -v[218:219], v[230:231], 1.0
	v_fmac_f64_e32 v[230:231], v[230:231], v[234:235]
	v_fma_f64 v[234:235], -v[218:219], v[230:231], 1.0
	v_fmac_f64_e32 v[230:231], v[230:231], v[234:235]
	v_div_scale_f64 v[234:235], vcc, 1.0, v[216:217], 1.0
	v_mul_f64 v[236:237], v[234:235], v[230:231]
	v_fma_f64 v[218:219], -v[218:219], v[236:237], v[234:235]
	s_nop 1
	v_div_fmas_f64 v[218:219], v[218:219], v[230:231], v[236:237]
	v_div_fixup_f64 v[216:217], v[218:219], v[216:217], 1.0
	v_mul_f64 v[218:219], v[222:223], -v[216:217]
.LBB106_11:
	s_or_b64 exec, exec, s[16:17]
	v_mov_b32_e32 v233, 0
	v_mov_b32_e32 v230, 2
.LBB106_12:
	s_or_b64 exec, exec, s[0:1]
	v_cmp_ne_u32_e32 vcc, v220, v227
	s_and_saveexec_b64 s[0:1], vcc
	s_xor_b64 s[0:1], exec, s[0:1]
	s_cbranch_execz .LBB106_18
; %bb.13:
	v_cmp_eq_u32_e32 vcc, 0, v220
	s_and_saveexec_b64 s[16:17], vcc
	s_cbranch_execz .LBB106_17
; %bb.14:
	v_cmp_ne_u32_e32 vcc, 0, v227
	s_xor_b64 s[18:19], s[14:15], -1
	s_and_b64 s[22:23], s[18:19], vcc
	s_and_saveexec_b64 s[18:19], s[22:23]
	s_cbranch_execz .LBB106_16
; %bb.15:
	v_ashrrev_i32_e32 v223, 31, v227
	v_mov_b32_e32 v222, v227
	s_waitcnt vmcnt(0)
	v_lshl_add_u64 v[222:223], v[222:223], 2, v[224:225]
	global_load_dword v226, v[222:223], off
	global_load_dword v229, v[224:225], off
	s_waitcnt vmcnt(1)
	global_store_dword v[224:225], v226, off
	s_waitcnt vmcnt(1)
	global_store_dword v[222:223], v229, off
.LBB106_16:
	s_or_b64 exec, exec, s[18:19]
	v_mov_b32_e32 v220, v227
.LBB106_17:
	s_or_b64 exec, exec, s[16:17]
.LBB106_18:
	s_or_saveexec_b64 s[0:1], s[0:1]
	v_mov_b32_e32 v229, v220
	s_xor_b64 exec, exec, s[0:1]
	s_cbranch_execz .LBB106_20
; %bb.19:
	v_mov_b32_e32 v229, 0
	ds_write2_b64 v228, v[140:141], v[142:143] offset0:2 offset1:3
	s_waitcnt vmcnt(52)
	ds_write2_b64 v228, v[208:209], v[210:211] offset0:4 offset1:5
	s_waitcnt vmcnt(51)
	ds_write2_b64 v228, v[204:205], v[206:207] offset0:6 offset1:7
	s_waitcnt vmcnt(50)
	ds_write2_b64 v228, v[200:201], v[202:203] offset0:8 offset1:9
	s_waitcnt vmcnt(49)
	ds_write2_b64 v228, v[196:197], v[198:199] offset0:10 offset1:11
	s_waitcnt vmcnt(48)
	ds_write2_b64 v228, v[192:193], v[194:195] offset0:12 offset1:13
	s_waitcnt vmcnt(47)
	ds_write2_b64 v228, v[188:189], v[190:191] offset0:14 offset1:15
	s_waitcnt vmcnt(46)
	ds_write2_b64 v228, v[184:185], v[186:187] offset0:16 offset1:17
	s_waitcnt vmcnt(45)
	ds_write2_b64 v228, v[180:181], v[182:183] offset0:18 offset1:19
	s_waitcnt vmcnt(44)
	ds_write2_b64 v228, v[176:177], v[178:179] offset0:20 offset1:21
	s_waitcnt vmcnt(43)
	ds_write2_b64 v228, v[172:173], v[174:175] offset0:22 offset1:23
	s_waitcnt vmcnt(42)
	ds_write2_b64 v228, v[168:169], v[170:171] offset0:24 offset1:25
	s_waitcnt vmcnt(41)
	ds_write2_b64 v228, v[164:165], v[166:167] offset0:26 offset1:27
	s_waitcnt vmcnt(40)
	ds_write2_b64 v228, v[160:161], v[162:163] offset0:28 offset1:29
	s_waitcnt vmcnt(39)
	ds_write2_b64 v228, v[156:157], v[158:159] offset0:30 offset1:31
	s_waitcnt vmcnt(38)
	ds_write2_b64 v228, v[152:153], v[154:155] offset0:32 offset1:33
	s_waitcnt vmcnt(37)
	ds_write2_b64 v228, v[144:145], v[146:147] offset0:34 offset1:35
	s_waitcnt vmcnt(36)
	ds_write2_b64 v228, v[136:137], v[138:139] offset0:36 offset1:37
	s_waitcnt vmcnt(35)
	ds_write2_b64 v228, v[132:133], v[134:135] offset0:38 offset1:39
	s_waitcnt vmcnt(34)
	ds_write2_b64 v228, v[128:129], v[130:131] offset0:40 offset1:41
	s_waitcnt vmcnt(33)
	ds_write2_b64 v228, v[124:125], v[126:127] offset0:42 offset1:43
	s_waitcnt vmcnt(32)
	ds_write2_b64 v228, v[120:121], v[122:123] offset0:44 offset1:45
	s_waitcnt vmcnt(31)
	ds_write2_b64 v228, v[116:117], v[118:119] offset0:46 offset1:47
	s_waitcnt vmcnt(30)
	ds_write2_b64 v228, v[112:113], v[114:115] offset0:48 offset1:49
	s_waitcnt vmcnt(29)
	ds_write2_b64 v228, v[108:109], v[110:111] offset0:50 offset1:51
	s_waitcnt vmcnt(28)
	ds_write2_b64 v228, v[104:105], v[106:107] offset0:52 offset1:53
	s_waitcnt vmcnt(27)
	ds_write2_b64 v228, v[100:101], v[102:103] offset0:54 offset1:55
	s_waitcnt vmcnt(26)
	ds_write2_b64 v228, v[96:97], v[98:99] offset0:56 offset1:57
	s_waitcnt vmcnt(25)
	ds_write2_b64 v228, v[92:93], v[94:95] offset0:58 offset1:59
	s_waitcnt vmcnt(24)
	ds_write2_b64 v228, v[88:89], v[90:91] offset0:60 offset1:61
	s_waitcnt vmcnt(23)
	ds_write2_b64 v228, v[84:85], v[86:87] offset0:62 offset1:63
	s_waitcnt vmcnt(22)
	ds_write2_b64 v228, v[80:81], v[82:83] offset0:64 offset1:65
	s_waitcnt vmcnt(21)
	ds_write2_b64 v228, v[76:77], v[78:79] offset0:66 offset1:67
	s_waitcnt vmcnt(20)
	ds_write2_b64 v228, v[72:73], v[74:75] offset0:68 offset1:69
	s_waitcnt vmcnt(19)
	ds_write2_b64 v228, v[68:69], v[70:71] offset0:70 offset1:71
	s_waitcnt vmcnt(18)
	ds_write2_b64 v228, v[64:65], v[66:67] offset0:72 offset1:73
	s_waitcnt vmcnt(17)
	ds_write2_b64 v228, v[60:61], v[62:63] offset0:74 offset1:75
	s_waitcnt vmcnt(16)
	ds_write2_b64 v228, v[56:57], v[58:59] offset0:76 offset1:77
	s_waitcnt vmcnt(15)
	ds_write2_b64 v228, v[52:53], v[54:55] offset0:78 offset1:79
	s_waitcnt vmcnt(14)
	ds_write2_b64 v228, v[48:49], v[50:51] offset0:80 offset1:81
	s_waitcnt vmcnt(13)
	ds_write2_b64 v228, v[44:45], v[46:47] offset0:82 offset1:83
	s_waitcnt vmcnt(12)
	ds_write2_b64 v228, v[40:41], v[42:43] offset0:84 offset1:85
	s_waitcnt vmcnt(11)
	ds_write2_b64 v228, v[36:37], v[38:39] offset0:86 offset1:87
	s_waitcnt vmcnt(10)
	ds_write2_b64 v228, v[32:33], v[34:35] offset0:88 offset1:89
	s_waitcnt vmcnt(9)
	ds_write2_b64 v228, v[28:29], v[30:31] offset0:90 offset1:91
	s_waitcnt vmcnt(8)
	ds_write2_b64 v228, v[24:25], v[26:27] offset0:92 offset1:93
	s_waitcnt vmcnt(7)
	ds_write2_b64 v228, v[20:21], v[22:23] offset0:94 offset1:95
	s_waitcnt vmcnt(6)
	ds_write2_b64 v228, v[16:17], v[18:19] offset0:96 offset1:97
	s_waitcnt vmcnt(5)
	ds_write2_b64 v228, v[12:13], v[14:15] offset0:98 offset1:99
	s_waitcnt vmcnt(4)
	ds_write2_b64 v228, v[8:9], v[10:11] offset0:100 offset1:101
	s_waitcnt vmcnt(3)
	ds_write2_b64 v228, v[4:5], v[6:7] offset0:102 offset1:103
	s_waitcnt vmcnt(2)
	ds_write2_b64 v228, v[0:1], v[2:3] offset0:104 offset1:105
	s_waitcnt vmcnt(1)
	ds_write2_b64 v228, v[212:213], v[214:215] offset0:106 offset1:107
.LBB106_20:
	s_or_b64 exec, exec, s[0:1]
	v_cmp_lt_i32_e32 vcc, 0, v229
	s_waitcnt lgkmcnt(0)
	s_barrier
	s_and_saveexec_b64 s[0:1], vcc
	s_cbranch_execz .LBB106_22
; %bb.21:
	ds_read2_b64 v[234:237], v228 offset0:2 offset1:3
	v_mul_f64 v[222:223], v[218:219], v[248:249]
	v_mul_f64 v[248:249], v[216:217], v[248:249]
	v_fma_f64 v[226:227], v[216:217], v[246:247], -v[222:223]
	v_fmac_f64_e32 v[248:249], v[218:219], v[246:247]
	ds_read2_b64 v[216:219], v228 offset0:4 offset1:5
	s_waitcnt lgkmcnt(1)
	v_mul_f64 v[148:149], v[236:237], v[248:249]
	v_fma_f64 v[148:149], v[234:235], v[226:227], -v[148:149]
	v_mul_f64 v[222:223], v[234:235], v[248:249]
	v_add_f64 v[140:141], v[140:141], -v[148:149]
	s_waitcnt lgkmcnt(0)
	v_mul_f64 v[148:149], v[218:219], v[248:249]
	v_fmac_f64_e32 v[222:223], v[236:237], v[226:227]
	v_fma_f64 v[148:149], v[216:217], v[226:227], -v[148:149]
	v_mul_f64 v[216:217], v[216:217], v[248:249]
	ds_read2_b64 v[234:237], v228 offset0:6 offset1:7
	v_fmac_f64_e32 v[216:217], v[218:219], v[226:227]
	s_waitcnt vmcnt(52)
	v_add_f64 v[210:211], v[210:211], -v[216:217]
	ds_read2_b64 v[216:219], v228 offset0:8 offset1:9
	v_add_f64 v[208:209], v[208:209], -v[148:149]
	s_waitcnt lgkmcnt(1)
	v_mul_f64 v[148:149], v[236:237], v[248:249]
	v_fma_f64 v[148:149], v[234:235], v[226:227], -v[148:149]
	v_add_f64 v[142:143], v[142:143], -v[222:223]
	v_mul_f64 v[222:223], v[234:235], v[248:249]
	s_waitcnt vmcnt(51)
	v_add_f64 v[204:205], v[204:205], -v[148:149]
	s_waitcnt lgkmcnt(0)
	v_mul_f64 v[148:149], v[218:219], v[248:249]
	v_fmac_f64_e32 v[222:223], v[236:237], v[226:227]
	v_fma_f64 v[148:149], v[216:217], v[226:227], -v[148:149]
	v_mul_f64 v[216:217], v[216:217], v[248:249]
	ds_read2_b64 v[234:237], v228 offset0:10 offset1:11
	v_fmac_f64_e32 v[216:217], v[218:219], v[226:227]
	s_waitcnt vmcnt(50)
	v_add_f64 v[202:203], v[202:203], -v[216:217]
	ds_read2_b64 v[216:219], v228 offset0:12 offset1:13
	v_add_f64 v[200:201], v[200:201], -v[148:149]
	s_waitcnt lgkmcnt(1)
	v_mul_f64 v[148:149], v[236:237], v[248:249]
	v_fma_f64 v[148:149], v[234:235], v[226:227], -v[148:149]
	v_add_f64 v[206:207], v[206:207], -v[222:223]
	v_mul_f64 v[222:223], v[234:235], v[248:249]
	s_waitcnt vmcnt(49)
	;; [unrolled: 18-line block ×23, first 2 shown]
	v_add_f64 v[20:21], v[20:21], -v[148:149]
	s_waitcnt lgkmcnt(0)
	v_mul_f64 v[148:149], v[218:219], v[248:249]
	v_fmac_f64_e32 v[222:223], v[236:237], v[226:227]
	v_fma_f64 v[148:149], v[216:217], v[226:227], -v[148:149]
	v_mul_f64 v[216:217], v[216:217], v[248:249]
	ds_read2_b64 v[234:237], v228 offset0:98 offset1:99
	v_fmac_f64_e32 v[216:217], v[218:219], v[226:227]
	s_waitcnt vmcnt(6)
	v_add_f64 v[18:19], v[18:19], -v[216:217]
	ds_read2_b64 v[216:219], v228 offset0:100 offset1:101
	v_add_f64 v[16:17], v[16:17], -v[148:149]
	s_waitcnt lgkmcnt(1)
	v_mul_f64 v[148:149], v[236:237], v[248:249]
	v_add_f64 v[22:23], v[22:23], -v[222:223]
	v_fma_f64 v[148:149], v[234:235], v[226:227], -v[148:149]
	v_mul_f64 v[222:223], v[234:235], v[248:249]
	v_fmac_f64_e32 v[222:223], v[236:237], v[226:227]
	s_waitcnt vmcnt(5)
	v_add_f64 v[12:13], v[12:13], -v[148:149]
	s_waitcnt lgkmcnt(0)
	v_mul_f64 v[148:149], v[218:219], v[248:249]
	ds_read2_b64 v[234:237], v228 offset0:102 offset1:103
	v_fma_f64 v[148:149], v[216:217], v[226:227], -v[148:149]
	v_mul_f64 v[216:217], v[216:217], v[248:249]
	v_fmac_f64_e32 v[216:217], v[218:219], v[226:227]
	s_waitcnt vmcnt(4)
	v_add_f64 v[10:11], v[10:11], -v[216:217]
	ds_read2_b64 v[216:219], v228 offset0:104 offset1:105
	v_add_f64 v[14:15], v[14:15], -v[222:223]
	v_add_f64 v[8:9], v[8:9], -v[148:149]
	s_waitcnt lgkmcnt(1)
	v_mul_f64 v[148:149], v[236:237], v[248:249]
	v_mul_f64 v[222:223], v[234:235], v[248:249]
	v_fma_f64 v[148:149], v[234:235], v[226:227], -v[148:149]
	v_fmac_f64_e32 v[222:223], v[236:237], v[226:227]
	ds_read2_b64 v[234:237], v228 offset0:106 offset1:107
	s_waitcnt vmcnt(3)
	v_add_f64 v[4:5], v[4:5], -v[148:149]
	s_waitcnt lgkmcnt(1)
	v_mul_f64 v[148:149], v[218:219], v[248:249]
	v_fma_f64 v[148:149], v[216:217], v[226:227], -v[148:149]
	v_mul_f64 v[216:217], v[216:217], v[248:249]
	v_fmac_f64_e32 v[216:217], v[218:219], v[226:227]
	s_waitcnt vmcnt(2)
	v_add_f64 v[0:1], v[0:1], -v[148:149]
	v_add_f64 v[2:3], v[2:3], -v[216:217]
	s_waitcnt lgkmcnt(0)
	v_mul_f64 v[148:149], v[236:237], v[248:249]
	v_mul_f64 v[216:217], v[234:235], v[248:249]
	v_fma_f64 v[148:149], v[234:235], v[226:227], -v[148:149]
	v_fmac_f64_e32 v[216:217], v[236:237], v[226:227]
	v_add_f64 v[6:7], v[6:7], -v[222:223]
	s_waitcnt vmcnt(1)
	v_add_f64 v[212:213], v[212:213], -v[148:149]
	v_add_f64 v[214:215], v[214:215], -v[216:217]
	v_mov_b64_e32 v[246:247], v[226:227]
.LBB106_22:
	s_or_b64 exec, exec, s[0:1]
	v_lshl_add_u32 v216, v229, 4, v228
	s_barrier
	ds_write2_b64 v216, v[140:141], v[142:143] offset1:1
	s_waitcnt lgkmcnt(0)
	s_barrier
	ds_read2_b64 v[216:219], v228 offset0:2 offset1:3
	s_cmp_lt_i32 s20, 3
	v_mov_b32_e32 v226, 1
	s_cbranch_scc1 .LBB106_25
; %bb.23:
	v_add3_u32 v227, v232, 0, 32
	s_mov_b32 s16, 2
	v_mov_b32_e32 v226, 1
.LBB106_24:                             ; =>This Inner Loop Header: Depth=1
	ds_read2_b64 v[234:237], v227 offset1:1
	s_waitcnt lgkmcnt(1)
	v_xor_b32_e32 v223, 0x80000000, v217
	v_xor_b32_e32 v231, 0x80000000, v219
	v_cmp_gt_f64_e32 vcc, 0, v[218:219]
	v_cmp_gt_f64_e64 s[0:1], 0, v[216:217]
	v_mov_b32_e32 v222, v216
	v_mov_b32_e32 v238, v218
	v_cndmask_b32_e64 v223, v217, v223, s[0:1]
	v_cndmask_b32_e32 v239, v219, v231, vcc
	s_waitcnt lgkmcnt(0)
	v_xor_b32_e32 v231, 0x80000000, v235
	v_xor_b32_e32 v241, 0x80000000, v237
	v_cmp_gt_f64_e32 vcc, 0, v[236:237]
	v_cmp_gt_f64_e64 s[0:1], 0, v[234:235]
	v_add_f64 v[222:223], v[222:223], v[238:239]
	v_mov_b32_e32 v238, v234
	v_mov_b32_e32 v240, v236
	v_cndmask_b32_e64 v239, v235, v231, s[0:1]
	v_cndmask_b32_e32 v241, v237, v241, vcc
	v_add_f64 v[238:239], v[238:239], v[240:241]
	v_mov_b32_e32 v242, s16
	s_add_i32 s16, s16, 1
	v_cmp_lt_f64_e32 vcc, v[222:223], v[238:239]
	v_add_u32_e32 v227, 16, v227
	s_cmp_lg_u32 s20, s16
	v_cndmask_b32_e32 v217, v217, v235, vcc
	v_cndmask_b32_e32 v216, v216, v234, vcc
	;; [unrolled: 1-line block ×5, first 2 shown]
	s_cbranch_scc1 .LBB106_24
.LBB106_25:
	s_waitcnt lgkmcnt(0)
	v_cmp_neq_f64_e32 vcc, 0, v[216:217]
	v_cmp_neq_f64_e64 s[0:1], 0, v[218:219]
	s_or_b64 s[16:17], vcc, s[0:1]
	s_and_saveexec_b64 s[0:1], s[16:17]
	s_cbranch_execz .LBB106_31
; %bb.26:
	v_cmp_ngt_f64_e64 s[16:17], |v[216:217]|, |v[218:219]|
	s_and_saveexec_b64 s[18:19], s[16:17]
	s_xor_b64 s[16:17], exec, s[18:19]
	s_cbranch_execz .LBB106_28
; %bb.27:
	v_div_scale_f64 v[222:223], s[18:19], v[218:219], v[218:219], v[216:217]
	v_rcp_f64_e32 v[230:231], v[222:223]
	v_div_scale_f64 v[234:235], vcc, v[216:217], v[218:219], v[216:217]
	v_fma_f64 v[236:237], -v[222:223], v[230:231], 1.0
	v_fmac_f64_e32 v[230:231], v[230:231], v[236:237]
	v_fma_f64 v[236:237], -v[222:223], v[230:231], 1.0
	v_fmac_f64_e32 v[230:231], v[230:231], v[236:237]
	v_mul_f64 v[236:237], v[234:235], v[230:231]
	v_fma_f64 v[222:223], -v[222:223], v[236:237], v[234:235]
	v_div_fmas_f64 v[222:223], v[222:223], v[230:231], v[236:237]
	v_div_fixup_f64 v[222:223], v[222:223], v[218:219], v[216:217]
	v_fmac_f64_e32 v[218:219], v[216:217], v[222:223]
	v_div_scale_f64 v[216:217], s[18:19], v[218:219], v[218:219], 1.0
	v_rcp_f64_e32 v[230:231], v[216:217]
	s_nop 0
	v_fma_f64 v[234:235], -v[216:217], v[230:231], 1.0
	v_fmac_f64_e32 v[230:231], v[230:231], v[234:235]
	v_fma_f64 v[234:235], -v[216:217], v[230:231], 1.0
	v_fmac_f64_e32 v[230:231], v[230:231], v[234:235]
	v_div_scale_f64 v[234:235], vcc, 1.0, v[218:219], 1.0
	v_mul_f64 v[236:237], v[234:235], v[230:231]
	v_fma_f64 v[216:217], -v[216:217], v[236:237], v[234:235]
	s_nop 1
	v_div_fmas_f64 v[216:217], v[216:217], v[230:231], v[236:237]
	v_div_fixup_f64 v[218:219], v[216:217], v[218:219], 1.0
	v_mul_f64 v[216:217], v[222:223], v[218:219]
	v_xor_b32_e32 v219, 0x80000000, v219
.LBB106_28:
	s_andn2_saveexec_b64 s[16:17], s[16:17]
	s_cbranch_execz .LBB106_30
; %bb.29:
	v_div_scale_f64 v[222:223], s[18:19], v[216:217], v[216:217], v[218:219]
	v_rcp_f64_e32 v[230:231], v[222:223]
	v_div_scale_f64 v[234:235], vcc, v[218:219], v[216:217], v[218:219]
	v_fma_f64 v[236:237], -v[222:223], v[230:231], 1.0
	v_fmac_f64_e32 v[230:231], v[230:231], v[236:237]
	v_fma_f64 v[236:237], -v[222:223], v[230:231], 1.0
	v_fmac_f64_e32 v[230:231], v[230:231], v[236:237]
	v_mul_f64 v[236:237], v[234:235], v[230:231]
	v_fma_f64 v[222:223], -v[222:223], v[236:237], v[234:235]
	v_div_fmas_f64 v[222:223], v[222:223], v[230:231], v[236:237]
	v_div_fixup_f64 v[222:223], v[222:223], v[216:217], v[218:219]
	v_fmac_f64_e32 v[216:217], v[218:219], v[222:223]
	v_div_scale_f64 v[218:219], s[18:19], v[216:217], v[216:217], 1.0
	v_rcp_f64_e32 v[230:231], v[218:219]
	s_nop 0
	v_fma_f64 v[234:235], -v[218:219], v[230:231], 1.0
	v_fmac_f64_e32 v[230:231], v[230:231], v[234:235]
	v_fma_f64 v[234:235], -v[218:219], v[230:231], 1.0
	v_fmac_f64_e32 v[230:231], v[230:231], v[234:235]
	v_div_scale_f64 v[234:235], vcc, 1.0, v[216:217], 1.0
	v_mul_f64 v[236:237], v[234:235], v[230:231]
	v_fma_f64 v[218:219], -v[218:219], v[236:237], v[234:235]
	s_nop 1
	v_div_fmas_f64 v[218:219], v[218:219], v[230:231], v[236:237]
	v_div_fixup_f64 v[216:217], v[218:219], v[216:217], 1.0
	v_mul_f64 v[218:219], v[222:223], -v[216:217]
.LBB106_30:
	s_or_b64 exec, exec, s[16:17]
	v_mov_b32_e32 v230, v233
.LBB106_31:
	s_or_b64 exec, exec, s[0:1]
	v_cmp_ne_u32_e32 vcc, v229, v226
	s_and_saveexec_b64 s[0:1], vcc
	s_xor_b64 s[0:1], exec, s[0:1]
	s_cbranch_execz .LBB106_37
; %bb.32:
	v_cmp_eq_u32_e32 vcc, 1, v229
	s_and_saveexec_b64 s[16:17], vcc
	s_cbranch_execz .LBB106_36
; %bb.33:
	v_cmp_ne_u32_e32 vcc, 1, v226
	s_xor_b64 s[18:19], s[14:15], -1
	s_and_b64 s[22:23], s[18:19], vcc
	s_and_saveexec_b64 s[18:19], s[22:23]
	s_cbranch_execz .LBB106_35
; %bb.34:
	v_ashrrev_i32_e32 v227, 31, v226
	s_waitcnt vmcnt(0)
	v_lshl_add_u64 v[222:223], v[226:227], 2, v[224:225]
	global_load_dword v227, v[222:223], off
	global_load_dword v229, v[224:225], off offset:4
	s_waitcnt vmcnt(1)
	global_store_dword v[224:225], v227, off offset:4
	s_waitcnt vmcnt(1)
	global_store_dword v[222:223], v229, off
.LBB106_35:
	s_or_b64 exec, exec, s[18:19]
	v_mov_b32_e32 v229, v226
	v_mov_b32_e32 v220, v226
.LBB106_36:
	s_or_b64 exec, exec, s[16:17]
.LBB106_37:
	s_andn2_saveexec_b64 s[0:1], s[0:1]
	s_cbranch_execz .LBB106_39
; %bb.38:
	v_mov_b32_e32 v229, 1
	s_waitcnt vmcnt(52)
	ds_write2_b64 v228, v[208:209], v[210:211] offset0:4 offset1:5
	s_waitcnt vmcnt(51)
	ds_write2_b64 v228, v[204:205], v[206:207] offset0:6 offset1:7
	;; [unrolled: 2-line block ×52, first 2 shown]
.LBB106_39:
	s_or_b64 exec, exec, s[0:1]
	v_cmp_lt_i32_e32 vcc, 1, v229
	s_waitcnt lgkmcnt(0)
	s_barrier
	s_and_saveexec_b64 s[0:1], vcc
	s_cbranch_execz .LBB106_41
; %bb.40:
	ds_read2_b64 v[234:237], v228 offset0:4 offset1:5
	v_mul_f64 v[222:223], v[218:219], v[142:143]
	v_mul_f64 v[142:143], v[216:217], v[142:143]
	v_fma_f64 v[226:227], v[216:217], v[140:141], -v[222:223]
	v_fmac_f64_e32 v[142:143], v[218:219], v[140:141]
	ds_read2_b64 v[216:219], v228 offset0:6 offset1:7
	s_waitcnt lgkmcnt(1)
	v_mul_f64 v[140:141], v[236:237], v[142:143]
	v_fma_f64 v[140:141], v[234:235], v[226:227], -v[140:141]
	v_mul_f64 v[222:223], v[234:235], v[142:143]
	s_waitcnt vmcnt(52)
	v_add_f64 v[208:209], v[208:209], -v[140:141]
	s_waitcnt lgkmcnt(0)
	v_mul_f64 v[140:141], v[218:219], v[142:143]
	v_fmac_f64_e32 v[222:223], v[236:237], v[226:227]
	v_fma_f64 v[140:141], v[216:217], v[226:227], -v[140:141]
	v_mul_f64 v[216:217], v[216:217], v[142:143]
	ds_read2_b64 v[234:237], v228 offset0:8 offset1:9
	v_fmac_f64_e32 v[216:217], v[218:219], v[226:227]
	s_waitcnt vmcnt(51)
	v_add_f64 v[206:207], v[206:207], -v[216:217]
	ds_read2_b64 v[216:219], v228 offset0:10 offset1:11
	v_add_f64 v[204:205], v[204:205], -v[140:141]
	s_waitcnt lgkmcnt(1)
	v_mul_f64 v[140:141], v[236:237], v[142:143]
	v_fma_f64 v[140:141], v[234:235], v[226:227], -v[140:141]
	v_add_f64 v[210:211], v[210:211], -v[222:223]
	v_mul_f64 v[222:223], v[234:235], v[142:143]
	s_waitcnt vmcnt(50)
	v_add_f64 v[200:201], v[200:201], -v[140:141]
	s_waitcnt lgkmcnt(0)
	v_mul_f64 v[140:141], v[218:219], v[142:143]
	v_fmac_f64_e32 v[222:223], v[236:237], v[226:227]
	v_fma_f64 v[140:141], v[216:217], v[226:227], -v[140:141]
	v_mul_f64 v[216:217], v[216:217], v[142:143]
	ds_read2_b64 v[234:237], v228 offset0:12 offset1:13
	v_fmac_f64_e32 v[216:217], v[218:219], v[226:227]
	s_waitcnt vmcnt(49)
	v_add_f64 v[198:199], v[198:199], -v[216:217]
	ds_read2_b64 v[216:219], v228 offset0:14 offset1:15
	v_add_f64 v[196:197], v[196:197], -v[140:141]
	s_waitcnt lgkmcnt(1)
	v_mul_f64 v[140:141], v[236:237], v[142:143]
	v_fma_f64 v[140:141], v[234:235], v[226:227], -v[140:141]
	v_add_f64 v[202:203], v[202:203], -v[222:223]
	;; [unrolled: 18-line block ×24, first 2 shown]
	v_mul_f64 v[222:223], v[234:235], v[142:143]
	s_waitcnt vmcnt(4)
	v_add_f64 v[8:9], v[8:9], -v[140:141]
	s_waitcnt lgkmcnt(0)
	v_mul_f64 v[140:141], v[218:219], v[142:143]
	v_fmac_f64_e32 v[222:223], v[236:237], v[226:227]
	v_fma_f64 v[140:141], v[216:217], v[226:227], -v[140:141]
	v_mul_f64 v[216:217], v[216:217], v[142:143]
	ds_read2_b64 v[234:237], v228 offset0:104 offset1:105
	v_fmac_f64_e32 v[216:217], v[218:219], v[226:227]
	s_waitcnt vmcnt(3)
	v_add_f64 v[6:7], v[6:7], -v[216:217]
	ds_read2_b64 v[216:219], v228 offset0:106 offset1:107
	v_add_f64 v[4:5], v[4:5], -v[140:141]
	s_waitcnt lgkmcnt(1)
	v_mul_f64 v[140:141], v[236:237], v[142:143]
	v_fma_f64 v[140:141], v[234:235], v[226:227], -v[140:141]
	s_waitcnt vmcnt(2)
	v_add_f64 v[0:1], v[0:1], -v[140:141]
	s_waitcnt lgkmcnt(0)
	v_mul_f64 v[140:141], v[218:219], v[142:143]
	v_add_f64 v[10:11], v[10:11], -v[222:223]
	v_mul_f64 v[222:223], v[234:235], v[142:143]
	v_fma_f64 v[140:141], v[216:217], v[226:227], -v[140:141]
	v_mul_f64 v[216:217], v[216:217], v[142:143]
	v_fmac_f64_e32 v[222:223], v[236:237], v[226:227]
	v_fmac_f64_e32 v[216:217], v[218:219], v[226:227]
	v_add_f64 v[2:3], v[2:3], -v[222:223]
	s_waitcnt vmcnt(1)
	v_add_f64 v[212:213], v[212:213], -v[140:141]
	v_add_f64 v[214:215], v[214:215], -v[216:217]
	v_mov_b64_e32 v[140:141], v[226:227]
.LBB106_41:
	s_or_b64 exec, exec, s[0:1]
	v_lshl_add_u32 v216, v229, 4, v228
	s_barrier
	s_waitcnt vmcnt(52)
	ds_write2_b64 v216, v[208:209], v[210:211] offset1:1
	s_waitcnt lgkmcnt(0)
	s_barrier
	ds_read2_b64 v[216:219], v228 offset0:4 offset1:5
	s_cmp_lt_i32 s20, 4
	v_mov_b32_e32 v226, 2
	s_cbranch_scc1 .LBB106_44
; %bb.42:
	v_add3_u32 v227, v232, 0, 48
	s_mov_b32 s16, 3
	v_mov_b32_e32 v226, 2
.LBB106_43:                             ; =>This Inner Loop Header: Depth=1
	ds_read2_b64 v[234:237], v227 offset1:1
	s_waitcnt lgkmcnt(1)
	v_xor_b32_e32 v223, 0x80000000, v217
	v_xor_b32_e32 v231, 0x80000000, v219
	v_cmp_gt_f64_e32 vcc, 0, v[218:219]
	v_cmp_gt_f64_e64 s[0:1], 0, v[216:217]
	v_mov_b32_e32 v222, v216
	v_mov_b32_e32 v238, v218
	v_cndmask_b32_e64 v223, v217, v223, s[0:1]
	v_cndmask_b32_e32 v239, v219, v231, vcc
	s_waitcnt lgkmcnt(0)
	v_xor_b32_e32 v231, 0x80000000, v235
	v_xor_b32_e32 v241, 0x80000000, v237
	v_cmp_gt_f64_e32 vcc, 0, v[236:237]
	v_cmp_gt_f64_e64 s[0:1], 0, v[234:235]
	v_add_f64 v[222:223], v[222:223], v[238:239]
	v_mov_b32_e32 v238, v234
	v_mov_b32_e32 v240, v236
	v_cndmask_b32_e64 v239, v235, v231, s[0:1]
	v_cndmask_b32_e32 v241, v237, v241, vcc
	v_add_f64 v[238:239], v[238:239], v[240:241]
	v_mov_b32_e32 v233, s16
	s_add_i32 s16, s16, 1
	v_cmp_lt_f64_e32 vcc, v[222:223], v[238:239]
	v_add_u32_e32 v227, 16, v227
	s_cmp_lg_u32 s20, s16
	v_cndmask_b32_e32 v217, v217, v235, vcc
	v_cndmask_b32_e32 v216, v216, v234, vcc
	;; [unrolled: 1-line block ×5, first 2 shown]
	s_cbranch_scc1 .LBB106_43
.LBB106_44:
	s_waitcnt lgkmcnt(0)
	v_cmp_eq_f64_e32 vcc, 0, v[216:217]
	v_cmp_eq_f64_e64 s[0:1], 0, v[218:219]
	s_and_b64 s[0:1], vcc, s[0:1]
	s_and_saveexec_b64 s[16:17], s[0:1]
	s_xor_b64 s[0:1], exec, s[16:17]
; %bb.45:
	v_cmp_ne_u32_e32 vcc, 0, v230
	s_nop 1
	v_cndmask_b32_e32 v230, 3, v230, vcc
; %bb.46:
	s_andn2_saveexec_b64 s[0:1], s[0:1]
	s_cbranch_execz .LBB106_52
; %bb.47:
	v_cmp_ngt_f64_e64 s[16:17], |v[216:217]|, |v[218:219]|
	s_and_saveexec_b64 s[18:19], s[16:17]
	s_xor_b64 s[16:17], exec, s[18:19]
	s_cbranch_execz .LBB106_49
; %bb.48:
	v_div_scale_f64 v[222:223], s[18:19], v[218:219], v[218:219], v[216:217]
	v_rcp_f64_e32 v[234:235], v[222:223]
	v_div_scale_f64 v[236:237], vcc, v[216:217], v[218:219], v[216:217]
	v_fma_f64 v[238:239], -v[222:223], v[234:235], 1.0
	v_fmac_f64_e32 v[234:235], v[234:235], v[238:239]
	v_fma_f64 v[238:239], -v[222:223], v[234:235], 1.0
	v_fmac_f64_e32 v[234:235], v[234:235], v[238:239]
	v_mul_f64 v[238:239], v[236:237], v[234:235]
	v_fma_f64 v[222:223], -v[222:223], v[238:239], v[236:237]
	v_div_fmas_f64 v[222:223], v[222:223], v[234:235], v[238:239]
	v_div_fixup_f64 v[222:223], v[222:223], v[218:219], v[216:217]
	v_fmac_f64_e32 v[218:219], v[216:217], v[222:223]
	v_div_scale_f64 v[216:217], s[18:19], v[218:219], v[218:219], 1.0
	v_rcp_f64_e32 v[234:235], v[216:217]
	s_nop 0
	v_fma_f64 v[236:237], -v[216:217], v[234:235], 1.0
	v_fmac_f64_e32 v[234:235], v[234:235], v[236:237]
	v_fma_f64 v[236:237], -v[216:217], v[234:235], 1.0
	v_fmac_f64_e32 v[234:235], v[234:235], v[236:237]
	v_div_scale_f64 v[236:237], vcc, 1.0, v[218:219], 1.0
	v_mul_f64 v[238:239], v[236:237], v[234:235]
	v_fma_f64 v[216:217], -v[216:217], v[238:239], v[236:237]
	s_nop 1
	v_div_fmas_f64 v[216:217], v[216:217], v[234:235], v[238:239]
	v_div_fixup_f64 v[218:219], v[216:217], v[218:219], 1.0
	v_mul_f64 v[216:217], v[222:223], v[218:219]
	v_xor_b32_e32 v219, 0x80000000, v219
.LBB106_49:
	s_andn2_saveexec_b64 s[16:17], s[16:17]
	s_cbranch_execz .LBB106_51
; %bb.50:
	v_div_scale_f64 v[222:223], s[18:19], v[216:217], v[216:217], v[218:219]
	v_rcp_f64_e32 v[234:235], v[222:223]
	v_div_scale_f64 v[236:237], vcc, v[218:219], v[216:217], v[218:219]
	v_fma_f64 v[238:239], -v[222:223], v[234:235], 1.0
	v_fmac_f64_e32 v[234:235], v[234:235], v[238:239]
	v_fma_f64 v[238:239], -v[222:223], v[234:235], 1.0
	v_fmac_f64_e32 v[234:235], v[234:235], v[238:239]
	v_mul_f64 v[238:239], v[236:237], v[234:235]
	v_fma_f64 v[222:223], -v[222:223], v[238:239], v[236:237]
	v_div_fmas_f64 v[222:223], v[222:223], v[234:235], v[238:239]
	v_div_fixup_f64 v[222:223], v[222:223], v[216:217], v[218:219]
	v_fmac_f64_e32 v[216:217], v[218:219], v[222:223]
	v_div_scale_f64 v[218:219], s[18:19], v[216:217], v[216:217], 1.0
	v_rcp_f64_e32 v[234:235], v[218:219]
	s_nop 0
	v_fma_f64 v[236:237], -v[218:219], v[234:235], 1.0
	v_fmac_f64_e32 v[234:235], v[234:235], v[236:237]
	v_fma_f64 v[236:237], -v[218:219], v[234:235], 1.0
	v_fmac_f64_e32 v[234:235], v[234:235], v[236:237]
	v_div_scale_f64 v[236:237], vcc, 1.0, v[216:217], 1.0
	v_mul_f64 v[238:239], v[236:237], v[234:235]
	v_fma_f64 v[218:219], -v[218:219], v[238:239], v[236:237]
	s_nop 1
	v_div_fmas_f64 v[218:219], v[218:219], v[234:235], v[238:239]
	v_div_fixup_f64 v[216:217], v[218:219], v[216:217], 1.0
	v_mul_f64 v[218:219], v[222:223], -v[216:217]
.LBB106_51:
	s_or_b64 exec, exec, s[16:17]
.LBB106_52:
	s_or_b64 exec, exec, s[0:1]
	v_cmp_ne_u32_e32 vcc, v229, v226
	s_and_saveexec_b64 s[0:1], vcc
	s_xor_b64 s[0:1], exec, s[0:1]
	s_cbranch_execz .LBB106_58
; %bb.53:
	v_cmp_eq_u32_e32 vcc, 2, v229
	s_and_saveexec_b64 s[16:17], vcc
	s_cbranch_execz .LBB106_57
; %bb.54:
	v_cmp_ne_u32_e32 vcc, 2, v226
	s_xor_b64 s[18:19], s[14:15], -1
	s_and_b64 s[22:23], s[18:19], vcc
	s_and_saveexec_b64 s[18:19], s[22:23]
	s_cbranch_execz .LBB106_56
; %bb.55:
	v_ashrrev_i32_e32 v227, 31, v226
	s_waitcnt vmcnt(0)
	v_lshl_add_u64 v[222:223], v[226:227], 2, v[224:225]
	global_load_dword v227, v[222:223], off
	global_load_dword v229, v[224:225], off offset:8
	s_waitcnt vmcnt(1)
	global_store_dword v[224:225], v227, off offset:8
	s_waitcnt vmcnt(1)
	global_store_dword v[222:223], v229, off
.LBB106_56:
	s_or_b64 exec, exec, s[18:19]
	v_mov_b32_e32 v229, v226
	v_mov_b32_e32 v220, v226
.LBB106_57:
	s_or_b64 exec, exec, s[16:17]
.LBB106_58:
	s_andn2_saveexec_b64 s[0:1], s[0:1]
	s_cbranch_execz .LBB106_60
; %bb.59:
	v_mov_b32_e32 v229, 2
	s_waitcnt vmcnt(51)
	ds_write2_b64 v228, v[204:205], v[206:207] offset0:6 offset1:7
	s_waitcnt vmcnt(50)
	ds_write2_b64 v228, v[200:201], v[202:203] offset0:8 offset1:9
	;; [unrolled: 2-line block ×51, first 2 shown]
.LBB106_60:
	s_or_b64 exec, exec, s[0:1]
	v_cmp_lt_i32_e32 vcc, 2, v229
	s_waitcnt lgkmcnt(0)
	s_barrier
	s_and_saveexec_b64 s[0:1], vcc
	s_cbranch_execz .LBB106_62
; %bb.61:
	ds_read2_b64 v[234:237], v228 offset0:6 offset1:7
	v_mul_f64 v[222:223], v[218:219], v[210:211]
	v_mul_f64 v[210:211], v[216:217], v[210:211]
	v_fma_f64 v[226:227], v[216:217], v[208:209], -v[222:223]
	v_fmac_f64_e32 v[210:211], v[218:219], v[208:209]
	ds_read2_b64 v[216:219], v228 offset0:8 offset1:9
	s_waitcnt lgkmcnt(1)
	v_mul_f64 v[208:209], v[236:237], v[210:211]
	v_fma_f64 v[208:209], v[234:235], v[226:227], -v[208:209]
	v_mul_f64 v[222:223], v[234:235], v[210:211]
	s_waitcnt vmcnt(51)
	v_add_f64 v[204:205], v[204:205], -v[208:209]
	s_waitcnt lgkmcnt(0)
	v_mul_f64 v[208:209], v[218:219], v[210:211]
	v_fmac_f64_e32 v[222:223], v[236:237], v[226:227]
	v_fma_f64 v[208:209], v[216:217], v[226:227], -v[208:209]
	v_mul_f64 v[216:217], v[216:217], v[210:211]
	ds_read2_b64 v[234:237], v228 offset0:10 offset1:11
	v_fmac_f64_e32 v[216:217], v[218:219], v[226:227]
	s_waitcnt vmcnt(50)
	v_add_f64 v[202:203], v[202:203], -v[216:217]
	ds_read2_b64 v[216:219], v228 offset0:12 offset1:13
	v_add_f64 v[200:201], v[200:201], -v[208:209]
	s_waitcnt lgkmcnt(1)
	v_mul_f64 v[208:209], v[236:237], v[210:211]
	v_fma_f64 v[208:209], v[234:235], v[226:227], -v[208:209]
	v_add_f64 v[206:207], v[206:207], -v[222:223]
	v_mul_f64 v[222:223], v[234:235], v[210:211]
	s_waitcnt vmcnt(49)
	v_add_f64 v[196:197], v[196:197], -v[208:209]
	s_waitcnt lgkmcnt(0)
	v_mul_f64 v[208:209], v[218:219], v[210:211]
	v_fmac_f64_e32 v[222:223], v[236:237], v[226:227]
	v_fma_f64 v[208:209], v[216:217], v[226:227], -v[208:209]
	v_mul_f64 v[216:217], v[216:217], v[210:211]
	ds_read2_b64 v[234:237], v228 offset0:14 offset1:15
	v_fmac_f64_e32 v[216:217], v[218:219], v[226:227]
	s_waitcnt vmcnt(48)
	v_add_f64 v[194:195], v[194:195], -v[216:217]
	ds_read2_b64 v[216:219], v228 offset0:16 offset1:17
	v_add_f64 v[192:193], v[192:193], -v[208:209]
	s_waitcnt lgkmcnt(1)
	v_mul_f64 v[208:209], v[236:237], v[210:211]
	v_fma_f64 v[208:209], v[234:235], v[226:227], -v[208:209]
	v_add_f64 v[198:199], v[198:199], -v[222:223]
	;; [unrolled: 18-line block ×22, first 2 shown]
	v_mul_f64 v[222:223], v[234:235], v[210:211]
	s_waitcnt vmcnt(7)
	v_add_f64 v[20:21], v[20:21], -v[208:209]
	s_waitcnt lgkmcnt(0)
	v_mul_f64 v[208:209], v[218:219], v[210:211]
	v_fmac_f64_e32 v[222:223], v[236:237], v[226:227]
	v_fma_f64 v[208:209], v[216:217], v[226:227], -v[208:209]
	v_mul_f64 v[216:217], v[216:217], v[210:211]
	ds_read2_b64 v[234:237], v228 offset0:98 offset1:99
	v_fmac_f64_e32 v[216:217], v[218:219], v[226:227]
	s_waitcnt vmcnt(6)
	v_add_f64 v[18:19], v[18:19], -v[216:217]
	ds_read2_b64 v[216:219], v228 offset0:100 offset1:101
	v_add_f64 v[16:17], v[16:17], -v[208:209]
	s_waitcnt lgkmcnt(1)
	v_mul_f64 v[208:209], v[236:237], v[210:211]
	v_add_f64 v[22:23], v[22:23], -v[222:223]
	v_fma_f64 v[208:209], v[234:235], v[226:227], -v[208:209]
	v_mul_f64 v[222:223], v[234:235], v[210:211]
	v_fmac_f64_e32 v[222:223], v[236:237], v[226:227]
	s_waitcnt vmcnt(5)
	v_add_f64 v[12:13], v[12:13], -v[208:209]
	s_waitcnt lgkmcnt(0)
	v_mul_f64 v[208:209], v[218:219], v[210:211]
	ds_read2_b64 v[234:237], v228 offset0:102 offset1:103
	v_fma_f64 v[208:209], v[216:217], v[226:227], -v[208:209]
	v_mul_f64 v[216:217], v[216:217], v[210:211]
	v_fmac_f64_e32 v[216:217], v[218:219], v[226:227]
	s_waitcnt vmcnt(4)
	v_add_f64 v[10:11], v[10:11], -v[216:217]
	ds_read2_b64 v[216:219], v228 offset0:104 offset1:105
	v_add_f64 v[14:15], v[14:15], -v[222:223]
	v_add_f64 v[8:9], v[8:9], -v[208:209]
	s_waitcnt lgkmcnt(1)
	v_mul_f64 v[208:209], v[236:237], v[210:211]
	v_mul_f64 v[222:223], v[234:235], v[210:211]
	v_fma_f64 v[208:209], v[234:235], v[226:227], -v[208:209]
	v_fmac_f64_e32 v[222:223], v[236:237], v[226:227]
	ds_read2_b64 v[234:237], v228 offset0:106 offset1:107
	s_waitcnt vmcnt(3)
	v_add_f64 v[4:5], v[4:5], -v[208:209]
	s_waitcnt lgkmcnt(1)
	v_mul_f64 v[208:209], v[218:219], v[210:211]
	v_fma_f64 v[208:209], v[216:217], v[226:227], -v[208:209]
	v_mul_f64 v[216:217], v[216:217], v[210:211]
	v_fmac_f64_e32 v[216:217], v[218:219], v[226:227]
	s_waitcnt vmcnt(2)
	v_add_f64 v[0:1], v[0:1], -v[208:209]
	v_add_f64 v[2:3], v[2:3], -v[216:217]
	s_waitcnt lgkmcnt(0)
	v_mul_f64 v[208:209], v[236:237], v[210:211]
	v_mul_f64 v[216:217], v[234:235], v[210:211]
	v_fma_f64 v[208:209], v[234:235], v[226:227], -v[208:209]
	v_fmac_f64_e32 v[216:217], v[236:237], v[226:227]
	v_add_f64 v[6:7], v[6:7], -v[222:223]
	s_waitcnt vmcnt(1)
	v_add_f64 v[212:213], v[212:213], -v[208:209]
	v_add_f64 v[214:215], v[214:215], -v[216:217]
	v_mov_b64_e32 v[208:209], v[226:227]
.LBB106_62:
	s_or_b64 exec, exec, s[0:1]
	v_lshl_add_u32 v216, v229, 4, v228
	s_barrier
	s_waitcnt vmcnt(51)
	ds_write2_b64 v216, v[204:205], v[206:207] offset1:1
	s_waitcnt lgkmcnt(0)
	s_barrier
	ds_read2_b64 v[216:219], v228 offset0:6 offset1:7
	s_mov_b32 s16, 4
	s_cmp_lt_i32 s20, 5
	v_mov_b32_e32 v226, 3
	s_cbranch_scc1 .LBB106_65
; %bb.63:
	v_add3_u32 v227, v232, 0, 64
	v_mov_b32_e32 v226, 3
.LBB106_64:                             ; =>This Inner Loop Header: Depth=1
	ds_read2_b64 v[232:235], v227 offset1:1
	s_waitcnt lgkmcnt(1)
	v_xor_b32_e32 v223, 0x80000000, v217
	v_xor_b32_e32 v231, 0x80000000, v219
	v_cmp_gt_f64_e32 vcc, 0, v[218:219]
	v_cmp_gt_f64_e64 s[0:1], 0, v[216:217]
	v_mov_b32_e32 v222, v216
	v_mov_b32_e32 v236, v218
	v_cndmask_b32_e64 v223, v217, v223, s[0:1]
	v_cndmask_b32_e32 v237, v219, v231, vcc
	s_waitcnt lgkmcnt(0)
	v_xor_b32_e32 v231, 0x80000000, v233
	v_xor_b32_e32 v239, 0x80000000, v235
	v_cmp_gt_f64_e32 vcc, 0, v[234:235]
	v_cmp_gt_f64_e64 s[0:1], 0, v[232:233]
	v_add_f64 v[222:223], v[222:223], v[236:237]
	v_mov_b32_e32 v236, v232
	v_mov_b32_e32 v238, v234
	v_cndmask_b32_e64 v237, v233, v231, s[0:1]
	v_cndmask_b32_e32 v239, v235, v239, vcc
	v_add_f64 v[236:237], v[236:237], v[238:239]
	v_mov_b32_e32 v240, s16
	s_add_i32 s16, s16, 1
	v_cmp_lt_f64_e32 vcc, v[222:223], v[236:237]
	v_add_u32_e32 v227, 16, v227
	s_cmp_lg_u32 s20, s16
	v_cndmask_b32_e32 v217, v217, v233, vcc
	v_cndmask_b32_e32 v216, v216, v232, vcc
	;; [unrolled: 1-line block ×5, first 2 shown]
	s_cbranch_scc1 .LBB106_64
.LBB106_65:
	s_waitcnt lgkmcnt(0)
	v_cmp_eq_f64_e32 vcc, 0, v[216:217]
	v_cmp_eq_f64_e64 s[0:1], 0, v[218:219]
	s_and_b64 s[0:1], vcc, s[0:1]
	s_and_saveexec_b64 s[16:17], s[0:1]
	s_xor_b64 s[0:1], exec, s[16:17]
; %bb.66:
	v_cmp_ne_u32_e32 vcc, 0, v230
	s_nop 1
	v_cndmask_b32_e32 v230, 4, v230, vcc
; %bb.67:
	s_andn2_saveexec_b64 s[0:1], s[0:1]
	s_cbranch_execz .LBB106_73
; %bb.68:
	v_cmp_ngt_f64_e64 s[16:17], |v[216:217]|, |v[218:219]|
	s_and_saveexec_b64 s[18:19], s[16:17]
	s_xor_b64 s[16:17], exec, s[18:19]
	s_cbranch_execz .LBB106_70
; %bb.69:
	v_div_scale_f64 v[222:223], s[18:19], v[218:219], v[218:219], v[216:217]
	v_rcp_f64_e32 v[232:233], v[222:223]
	v_div_scale_f64 v[234:235], vcc, v[216:217], v[218:219], v[216:217]
	v_fma_f64 v[236:237], -v[222:223], v[232:233], 1.0
	v_fmac_f64_e32 v[232:233], v[232:233], v[236:237]
	v_fma_f64 v[236:237], -v[222:223], v[232:233], 1.0
	v_fmac_f64_e32 v[232:233], v[232:233], v[236:237]
	v_mul_f64 v[236:237], v[234:235], v[232:233]
	v_fma_f64 v[222:223], -v[222:223], v[236:237], v[234:235]
	v_div_fmas_f64 v[222:223], v[222:223], v[232:233], v[236:237]
	v_div_fixup_f64 v[222:223], v[222:223], v[218:219], v[216:217]
	v_fmac_f64_e32 v[218:219], v[216:217], v[222:223]
	v_div_scale_f64 v[216:217], s[18:19], v[218:219], v[218:219], 1.0
	v_rcp_f64_e32 v[232:233], v[216:217]
	s_nop 0
	v_fma_f64 v[234:235], -v[216:217], v[232:233], 1.0
	v_fmac_f64_e32 v[232:233], v[232:233], v[234:235]
	v_fma_f64 v[234:235], -v[216:217], v[232:233], 1.0
	v_fmac_f64_e32 v[232:233], v[232:233], v[234:235]
	v_div_scale_f64 v[234:235], vcc, 1.0, v[218:219], 1.0
	v_mul_f64 v[236:237], v[234:235], v[232:233]
	v_fma_f64 v[216:217], -v[216:217], v[236:237], v[234:235]
	s_nop 1
	v_div_fmas_f64 v[216:217], v[216:217], v[232:233], v[236:237]
	v_div_fixup_f64 v[218:219], v[216:217], v[218:219], 1.0
	v_mul_f64 v[216:217], v[222:223], v[218:219]
	v_xor_b32_e32 v219, 0x80000000, v219
.LBB106_70:
	s_andn2_saveexec_b64 s[16:17], s[16:17]
	s_cbranch_execz .LBB106_72
; %bb.71:
	v_div_scale_f64 v[222:223], s[18:19], v[216:217], v[216:217], v[218:219]
	v_rcp_f64_e32 v[232:233], v[222:223]
	v_div_scale_f64 v[234:235], vcc, v[218:219], v[216:217], v[218:219]
	v_fma_f64 v[236:237], -v[222:223], v[232:233], 1.0
	v_fmac_f64_e32 v[232:233], v[232:233], v[236:237]
	v_fma_f64 v[236:237], -v[222:223], v[232:233], 1.0
	v_fmac_f64_e32 v[232:233], v[232:233], v[236:237]
	v_mul_f64 v[236:237], v[234:235], v[232:233]
	v_fma_f64 v[222:223], -v[222:223], v[236:237], v[234:235]
	v_div_fmas_f64 v[222:223], v[222:223], v[232:233], v[236:237]
	v_div_fixup_f64 v[222:223], v[222:223], v[216:217], v[218:219]
	v_fmac_f64_e32 v[216:217], v[218:219], v[222:223]
	v_div_scale_f64 v[218:219], s[18:19], v[216:217], v[216:217], 1.0
	v_rcp_f64_e32 v[232:233], v[218:219]
	s_nop 0
	v_fma_f64 v[234:235], -v[218:219], v[232:233], 1.0
	v_fmac_f64_e32 v[232:233], v[232:233], v[234:235]
	v_fma_f64 v[234:235], -v[218:219], v[232:233], 1.0
	v_fmac_f64_e32 v[232:233], v[232:233], v[234:235]
	v_div_scale_f64 v[234:235], vcc, 1.0, v[216:217], 1.0
	v_mul_f64 v[236:237], v[234:235], v[232:233]
	v_fma_f64 v[218:219], -v[218:219], v[236:237], v[234:235]
	s_nop 1
	v_div_fmas_f64 v[218:219], v[218:219], v[232:233], v[236:237]
	v_div_fixup_f64 v[216:217], v[218:219], v[216:217], 1.0
	v_mul_f64 v[218:219], v[222:223], -v[216:217]
.LBB106_72:
	s_or_b64 exec, exec, s[16:17]
.LBB106_73:
	s_or_b64 exec, exec, s[0:1]
	v_cmp_ne_u32_e32 vcc, v229, v226
	s_and_saveexec_b64 s[0:1], vcc
	s_xor_b64 s[0:1], exec, s[0:1]
	s_cbranch_execz .LBB106_79
; %bb.74:
	v_cmp_eq_u32_e32 vcc, 3, v229
	s_and_saveexec_b64 s[16:17], vcc
	s_cbranch_execz .LBB106_78
; %bb.75:
	v_cmp_ne_u32_e32 vcc, 3, v226
	s_xor_b64 s[18:19], s[14:15], -1
	s_and_b64 s[22:23], s[18:19], vcc
	s_and_saveexec_b64 s[18:19], s[22:23]
	s_cbranch_execz .LBB106_77
; %bb.76:
	v_ashrrev_i32_e32 v227, 31, v226
	s_waitcnt vmcnt(0)
	v_lshl_add_u64 v[222:223], v[226:227], 2, v[224:225]
	global_load_dword v227, v[222:223], off
	global_load_dword v229, v[224:225], off offset:12
	s_waitcnt vmcnt(1)
	global_store_dword v[224:225], v227, off offset:12
	s_waitcnt vmcnt(1)
	global_store_dword v[222:223], v229, off
.LBB106_77:
	s_or_b64 exec, exec, s[18:19]
	v_mov_b32_e32 v229, v226
	v_mov_b32_e32 v220, v226
.LBB106_78:
	s_or_b64 exec, exec, s[16:17]
.LBB106_79:
	s_andn2_saveexec_b64 s[0:1], s[0:1]
	s_cbranch_execz .LBB106_81
; %bb.80:
	v_mov_b32_e32 v229, 3
	s_waitcnt vmcnt(50)
	ds_write2_b64 v228, v[200:201], v[202:203] offset0:8 offset1:9
	s_waitcnt vmcnt(49)
	ds_write2_b64 v228, v[196:197], v[198:199] offset0:10 offset1:11
	;; [unrolled: 2-line block ×50, first 2 shown]
.LBB106_81:
	s_or_b64 exec, exec, s[0:1]
	v_cmp_lt_i32_e32 vcc, 3, v229
	s_waitcnt lgkmcnt(0)
	s_barrier
	s_and_saveexec_b64 s[0:1], vcc
	s_cbranch_execz .LBB106_83
; %bb.82:
	ds_read2_b64 v[232:235], v228 offset0:8 offset1:9
	v_mul_f64 v[222:223], v[218:219], v[206:207]
	v_mul_f64 v[206:207], v[216:217], v[206:207]
	v_fma_f64 v[226:227], v[216:217], v[204:205], -v[222:223]
	v_fmac_f64_e32 v[206:207], v[218:219], v[204:205]
	ds_read2_b64 v[216:219], v228 offset0:10 offset1:11
	s_waitcnt lgkmcnt(1)
	v_mul_f64 v[204:205], v[234:235], v[206:207]
	v_fma_f64 v[204:205], v[232:233], v[226:227], -v[204:205]
	v_mul_f64 v[222:223], v[232:233], v[206:207]
	s_waitcnt vmcnt(50)
	v_add_f64 v[200:201], v[200:201], -v[204:205]
	s_waitcnt lgkmcnt(0)
	v_mul_f64 v[204:205], v[218:219], v[206:207]
	v_fmac_f64_e32 v[222:223], v[234:235], v[226:227]
	v_fma_f64 v[204:205], v[216:217], v[226:227], -v[204:205]
	v_mul_f64 v[216:217], v[216:217], v[206:207]
	ds_read2_b64 v[232:235], v228 offset0:12 offset1:13
	v_fmac_f64_e32 v[216:217], v[218:219], v[226:227]
	s_waitcnt vmcnt(49)
	v_add_f64 v[198:199], v[198:199], -v[216:217]
	ds_read2_b64 v[216:219], v228 offset0:14 offset1:15
	v_add_f64 v[196:197], v[196:197], -v[204:205]
	s_waitcnt lgkmcnt(1)
	v_mul_f64 v[204:205], v[234:235], v[206:207]
	v_fma_f64 v[204:205], v[232:233], v[226:227], -v[204:205]
	v_add_f64 v[202:203], v[202:203], -v[222:223]
	v_mul_f64 v[222:223], v[232:233], v[206:207]
	s_waitcnt vmcnt(48)
	v_add_f64 v[192:193], v[192:193], -v[204:205]
	s_waitcnt lgkmcnt(0)
	v_mul_f64 v[204:205], v[218:219], v[206:207]
	v_fmac_f64_e32 v[222:223], v[234:235], v[226:227]
	v_fma_f64 v[204:205], v[216:217], v[226:227], -v[204:205]
	v_mul_f64 v[216:217], v[216:217], v[206:207]
	ds_read2_b64 v[232:235], v228 offset0:16 offset1:17
	v_fmac_f64_e32 v[216:217], v[218:219], v[226:227]
	s_waitcnt vmcnt(47)
	v_add_f64 v[190:191], v[190:191], -v[216:217]
	ds_read2_b64 v[216:219], v228 offset0:18 offset1:19
	v_add_f64 v[188:189], v[188:189], -v[204:205]
	s_waitcnt lgkmcnt(1)
	v_mul_f64 v[204:205], v[234:235], v[206:207]
	v_fma_f64 v[204:205], v[232:233], v[226:227], -v[204:205]
	v_add_f64 v[194:195], v[194:195], -v[222:223]
	;; [unrolled: 18-line block ×23, first 2 shown]
	v_mul_f64 v[222:223], v[232:233], v[206:207]
	s_waitcnt vmcnt(4)
	v_add_f64 v[8:9], v[8:9], -v[204:205]
	s_waitcnt lgkmcnt(0)
	v_mul_f64 v[204:205], v[218:219], v[206:207]
	v_fmac_f64_e32 v[222:223], v[234:235], v[226:227]
	v_fma_f64 v[204:205], v[216:217], v[226:227], -v[204:205]
	v_mul_f64 v[216:217], v[216:217], v[206:207]
	ds_read2_b64 v[232:235], v228 offset0:104 offset1:105
	v_fmac_f64_e32 v[216:217], v[218:219], v[226:227]
	s_waitcnt vmcnt(3)
	v_add_f64 v[6:7], v[6:7], -v[216:217]
	ds_read2_b64 v[216:219], v228 offset0:106 offset1:107
	v_add_f64 v[4:5], v[4:5], -v[204:205]
	s_waitcnt lgkmcnt(1)
	v_mul_f64 v[204:205], v[234:235], v[206:207]
	v_fma_f64 v[204:205], v[232:233], v[226:227], -v[204:205]
	s_waitcnt vmcnt(2)
	v_add_f64 v[0:1], v[0:1], -v[204:205]
	s_waitcnt lgkmcnt(0)
	v_mul_f64 v[204:205], v[218:219], v[206:207]
	v_add_f64 v[10:11], v[10:11], -v[222:223]
	v_mul_f64 v[222:223], v[232:233], v[206:207]
	v_fma_f64 v[204:205], v[216:217], v[226:227], -v[204:205]
	v_mul_f64 v[216:217], v[216:217], v[206:207]
	v_fmac_f64_e32 v[222:223], v[234:235], v[226:227]
	v_fmac_f64_e32 v[216:217], v[218:219], v[226:227]
	v_add_f64 v[2:3], v[2:3], -v[222:223]
	s_waitcnt vmcnt(1)
	v_add_f64 v[212:213], v[212:213], -v[204:205]
	v_add_f64 v[214:215], v[214:215], -v[216:217]
	v_mov_b64_e32 v[204:205], v[226:227]
.LBB106_83:
	s_or_b64 exec, exec, s[0:1]
	v_lshl_add_u32 v216, v229, 4, v228
	s_barrier
	s_waitcnt vmcnt(50)
	ds_write2_b64 v216, v[200:201], v[202:203] offset1:1
	s_waitcnt lgkmcnt(0)
	s_barrier
	ds_read2_b64 v[216:219], v228 offset0:8 offset1:9
	s_cmp_lt_i32 s20, 6
	v_mov_b32_e32 v226, 4
	s_cbranch_scc1 .LBB106_86
; %bb.84:
	v_mov_b32_e32 v226, 4
	v_add_u32_e32 v227, 0x50, v228
	s_mov_b32 s16, 5
.LBB106_85:                             ; =>This Inner Loop Header: Depth=1
	ds_read2_b64 v[232:235], v227 offset1:1
	s_waitcnt lgkmcnt(1)
	v_xor_b32_e32 v223, 0x80000000, v217
	v_xor_b32_e32 v231, 0x80000000, v219
	v_cmp_gt_f64_e32 vcc, 0, v[218:219]
	v_cmp_gt_f64_e64 s[0:1], 0, v[216:217]
	v_mov_b32_e32 v222, v216
	v_mov_b32_e32 v236, v218
	v_cndmask_b32_e64 v223, v217, v223, s[0:1]
	v_cndmask_b32_e32 v237, v219, v231, vcc
	s_waitcnt lgkmcnt(0)
	v_xor_b32_e32 v231, 0x80000000, v233
	v_xor_b32_e32 v239, 0x80000000, v235
	v_cmp_gt_f64_e32 vcc, 0, v[234:235]
	v_cmp_gt_f64_e64 s[0:1], 0, v[232:233]
	v_add_f64 v[222:223], v[222:223], v[236:237]
	v_mov_b32_e32 v236, v232
	v_mov_b32_e32 v238, v234
	v_cndmask_b32_e64 v237, v233, v231, s[0:1]
	v_cndmask_b32_e32 v239, v235, v239, vcc
	v_add_f64 v[236:237], v[236:237], v[238:239]
	v_mov_b32_e32 v240, s16
	s_add_i32 s16, s16, 1
	v_cmp_lt_f64_e32 vcc, v[222:223], v[236:237]
	v_add_u32_e32 v227, 16, v227
	s_cmp_lg_u32 s20, s16
	v_cndmask_b32_e32 v217, v217, v233, vcc
	v_cndmask_b32_e32 v216, v216, v232, vcc
	;; [unrolled: 1-line block ×5, first 2 shown]
	s_cbranch_scc1 .LBB106_85
.LBB106_86:
	s_waitcnt lgkmcnt(0)
	v_cmp_eq_f64_e32 vcc, 0, v[216:217]
	v_cmp_eq_f64_e64 s[0:1], 0, v[218:219]
	s_and_b64 s[0:1], vcc, s[0:1]
	s_and_saveexec_b64 s[16:17], s[0:1]
	s_xor_b64 s[0:1], exec, s[16:17]
; %bb.87:
	v_cmp_ne_u32_e32 vcc, 0, v230
	s_nop 1
	v_cndmask_b32_e32 v230, 5, v230, vcc
; %bb.88:
	s_andn2_saveexec_b64 s[0:1], s[0:1]
	s_cbranch_execz .LBB106_94
; %bb.89:
	v_cmp_ngt_f64_e64 s[16:17], |v[216:217]|, |v[218:219]|
	s_and_saveexec_b64 s[18:19], s[16:17]
	s_xor_b64 s[16:17], exec, s[18:19]
	s_cbranch_execz .LBB106_91
; %bb.90:
	v_div_scale_f64 v[222:223], s[18:19], v[218:219], v[218:219], v[216:217]
	v_rcp_f64_e32 v[232:233], v[222:223]
	v_div_scale_f64 v[234:235], vcc, v[216:217], v[218:219], v[216:217]
	v_fma_f64 v[236:237], -v[222:223], v[232:233], 1.0
	v_fmac_f64_e32 v[232:233], v[232:233], v[236:237]
	v_fma_f64 v[236:237], -v[222:223], v[232:233], 1.0
	v_fmac_f64_e32 v[232:233], v[232:233], v[236:237]
	v_mul_f64 v[236:237], v[234:235], v[232:233]
	v_fma_f64 v[222:223], -v[222:223], v[236:237], v[234:235]
	v_div_fmas_f64 v[222:223], v[222:223], v[232:233], v[236:237]
	v_div_fixup_f64 v[222:223], v[222:223], v[218:219], v[216:217]
	v_fmac_f64_e32 v[218:219], v[216:217], v[222:223]
	v_div_scale_f64 v[216:217], s[18:19], v[218:219], v[218:219], 1.0
	v_rcp_f64_e32 v[232:233], v[216:217]
	s_nop 0
	v_fma_f64 v[234:235], -v[216:217], v[232:233], 1.0
	v_fmac_f64_e32 v[232:233], v[232:233], v[234:235]
	v_fma_f64 v[234:235], -v[216:217], v[232:233], 1.0
	v_fmac_f64_e32 v[232:233], v[232:233], v[234:235]
	v_div_scale_f64 v[234:235], vcc, 1.0, v[218:219], 1.0
	v_mul_f64 v[236:237], v[234:235], v[232:233]
	v_fma_f64 v[216:217], -v[216:217], v[236:237], v[234:235]
	s_nop 1
	v_div_fmas_f64 v[216:217], v[216:217], v[232:233], v[236:237]
	v_div_fixup_f64 v[218:219], v[216:217], v[218:219], 1.0
	v_mul_f64 v[216:217], v[222:223], v[218:219]
	v_xor_b32_e32 v219, 0x80000000, v219
.LBB106_91:
	s_andn2_saveexec_b64 s[16:17], s[16:17]
	s_cbranch_execz .LBB106_93
; %bb.92:
	v_div_scale_f64 v[222:223], s[18:19], v[216:217], v[216:217], v[218:219]
	v_rcp_f64_e32 v[232:233], v[222:223]
	v_div_scale_f64 v[234:235], vcc, v[218:219], v[216:217], v[218:219]
	v_fma_f64 v[236:237], -v[222:223], v[232:233], 1.0
	v_fmac_f64_e32 v[232:233], v[232:233], v[236:237]
	v_fma_f64 v[236:237], -v[222:223], v[232:233], 1.0
	v_fmac_f64_e32 v[232:233], v[232:233], v[236:237]
	v_mul_f64 v[236:237], v[234:235], v[232:233]
	v_fma_f64 v[222:223], -v[222:223], v[236:237], v[234:235]
	v_div_fmas_f64 v[222:223], v[222:223], v[232:233], v[236:237]
	v_div_fixup_f64 v[222:223], v[222:223], v[216:217], v[218:219]
	v_fmac_f64_e32 v[216:217], v[218:219], v[222:223]
	v_div_scale_f64 v[218:219], s[18:19], v[216:217], v[216:217], 1.0
	v_rcp_f64_e32 v[232:233], v[218:219]
	s_nop 0
	v_fma_f64 v[234:235], -v[218:219], v[232:233], 1.0
	v_fmac_f64_e32 v[232:233], v[232:233], v[234:235]
	v_fma_f64 v[234:235], -v[218:219], v[232:233], 1.0
	v_fmac_f64_e32 v[232:233], v[232:233], v[234:235]
	v_div_scale_f64 v[234:235], vcc, 1.0, v[216:217], 1.0
	v_mul_f64 v[236:237], v[234:235], v[232:233]
	v_fma_f64 v[218:219], -v[218:219], v[236:237], v[234:235]
	s_nop 1
	v_div_fmas_f64 v[218:219], v[218:219], v[232:233], v[236:237]
	v_div_fixup_f64 v[216:217], v[218:219], v[216:217], 1.0
	v_mul_f64 v[218:219], v[222:223], -v[216:217]
.LBB106_93:
	s_or_b64 exec, exec, s[16:17]
.LBB106_94:
	s_or_b64 exec, exec, s[0:1]
	v_cmp_ne_u32_e32 vcc, v229, v226
	s_and_saveexec_b64 s[0:1], vcc
	s_xor_b64 s[0:1], exec, s[0:1]
	s_cbranch_execz .LBB106_100
; %bb.95:
	v_cmp_eq_u32_e32 vcc, 4, v229
	s_and_saveexec_b64 s[16:17], vcc
	s_cbranch_execz .LBB106_99
; %bb.96:
	v_cmp_ne_u32_e32 vcc, 4, v226
	s_xor_b64 s[18:19], s[14:15], -1
	s_and_b64 s[22:23], s[18:19], vcc
	s_and_saveexec_b64 s[18:19], s[22:23]
	s_cbranch_execz .LBB106_98
; %bb.97:
	v_ashrrev_i32_e32 v227, 31, v226
	s_waitcnt vmcnt(0)
	v_lshl_add_u64 v[222:223], v[226:227], 2, v[224:225]
	global_load_dword v227, v[222:223], off
	global_load_dword v229, v[224:225], off offset:16
	s_waitcnt vmcnt(1)
	global_store_dword v[224:225], v227, off offset:16
	s_waitcnt vmcnt(1)
	global_store_dword v[222:223], v229, off
.LBB106_98:
	s_or_b64 exec, exec, s[18:19]
	v_mov_b32_e32 v229, v226
	v_mov_b32_e32 v220, v226
.LBB106_99:
	s_or_b64 exec, exec, s[16:17]
.LBB106_100:
	s_andn2_saveexec_b64 s[0:1], s[0:1]
	s_cbranch_execz .LBB106_102
; %bb.101:
	v_mov_b32_e32 v229, 4
	s_waitcnt vmcnt(49)
	ds_write2_b64 v228, v[196:197], v[198:199] offset0:10 offset1:11
	s_waitcnt vmcnt(48)
	ds_write2_b64 v228, v[192:193], v[194:195] offset0:12 offset1:13
	;; [unrolled: 2-line block ×49, first 2 shown]
.LBB106_102:
	s_or_b64 exec, exec, s[0:1]
	v_cmp_lt_i32_e32 vcc, 4, v229
	s_waitcnt lgkmcnt(0)
	s_barrier
	s_and_saveexec_b64 s[0:1], vcc
	s_cbranch_execz .LBB106_104
; %bb.103:
	ds_read2_b64 v[232:235], v228 offset0:10 offset1:11
	v_mul_f64 v[222:223], v[218:219], v[202:203]
	v_mul_f64 v[202:203], v[216:217], v[202:203]
	v_fma_f64 v[226:227], v[216:217], v[200:201], -v[222:223]
	v_fmac_f64_e32 v[202:203], v[218:219], v[200:201]
	ds_read2_b64 v[216:219], v228 offset0:12 offset1:13
	s_waitcnt lgkmcnt(1)
	v_mul_f64 v[200:201], v[234:235], v[202:203]
	v_fma_f64 v[200:201], v[232:233], v[226:227], -v[200:201]
	v_mul_f64 v[222:223], v[232:233], v[202:203]
	s_waitcnt vmcnt(49)
	v_add_f64 v[196:197], v[196:197], -v[200:201]
	s_waitcnt lgkmcnt(0)
	v_mul_f64 v[200:201], v[218:219], v[202:203]
	v_fmac_f64_e32 v[222:223], v[234:235], v[226:227]
	v_fma_f64 v[200:201], v[216:217], v[226:227], -v[200:201]
	v_mul_f64 v[216:217], v[216:217], v[202:203]
	ds_read2_b64 v[232:235], v228 offset0:14 offset1:15
	v_fmac_f64_e32 v[216:217], v[218:219], v[226:227]
	s_waitcnt vmcnt(48)
	v_add_f64 v[194:195], v[194:195], -v[216:217]
	ds_read2_b64 v[216:219], v228 offset0:16 offset1:17
	v_add_f64 v[192:193], v[192:193], -v[200:201]
	s_waitcnt lgkmcnt(1)
	v_mul_f64 v[200:201], v[234:235], v[202:203]
	v_fma_f64 v[200:201], v[232:233], v[226:227], -v[200:201]
	v_add_f64 v[198:199], v[198:199], -v[222:223]
	v_mul_f64 v[222:223], v[232:233], v[202:203]
	s_waitcnt vmcnt(47)
	v_add_f64 v[188:189], v[188:189], -v[200:201]
	s_waitcnt lgkmcnt(0)
	v_mul_f64 v[200:201], v[218:219], v[202:203]
	v_fmac_f64_e32 v[222:223], v[234:235], v[226:227]
	v_fma_f64 v[200:201], v[216:217], v[226:227], -v[200:201]
	v_mul_f64 v[216:217], v[216:217], v[202:203]
	ds_read2_b64 v[232:235], v228 offset0:18 offset1:19
	v_fmac_f64_e32 v[216:217], v[218:219], v[226:227]
	s_waitcnt vmcnt(46)
	v_add_f64 v[186:187], v[186:187], -v[216:217]
	ds_read2_b64 v[216:219], v228 offset0:20 offset1:21
	v_add_f64 v[184:185], v[184:185], -v[200:201]
	s_waitcnt lgkmcnt(1)
	v_mul_f64 v[200:201], v[234:235], v[202:203]
	v_fma_f64 v[200:201], v[232:233], v[226:227], -v[200:201]
	v_add_f64 v[190:191], v[190:191], -v[222:223]
	;; [unrolled: 18-line block ×21, first 2 shown]
	v_mul_f64 v[222:223], v[232:233], v[202:203]
	s_waitcnt vmcnt(7)
	v_add_f64 v[20:21], v[20:21], -v[200:201]
	s_waitcnt lgkmcnt(0)
	v_mul_f64 v[200:201], v[218:219], v[202:203]
	v_fmac_f64_e32 v[222:223], v[234:235], v[226:227]
	v_fma_f64 v[200:201], v[216:217], v[226:227], -v[200:201]
	v_mul_f64 v[216:217], v[216:217], v[202:203]
	ds_read2_b64 v[232:235], v228 offset0:98 offset1:99
	v_fmac_f64_e32 v[216:217], v[218:219], v[226:227]
	s_waitcnt vmcnt(6)
	v_add_f64 v[18:19], v[18:19], -v[216:217]
	ds_read2_b64 v[216:219], v228 offset0:100 offset1:101
	v_add_f64 v[16:17], v[16:17], -v[200:201]
	s_waitcnt lgkmcnt(1)
	v_mul_f64 v[200:201], v[234:235], v[202:203]
	v_add_f64 v[22:23], v[22:23], -v[222:223]
	v_fma_f64 v[200:201], v[232:233], v[226:227], -v[200:201]
	v_mul_f64 v[222:223], v[232:233], v[202:203]
	v_fmac_f64_e32 v[222:223], v[234:235], v[226:227]
	s_waitcnt vmcnt(5)
	v_add_f64 v[12:13], v[12:13], -v[200:201]
	s_waitcnt lgkmcnt(0)
	v_mul_f64 v[200:201], v[218:219], v[202:203]
	ds_read2_b64 v[232:235], v228 offset0:102 offset1:103
	v_fma_f64 v[200:201], v[216:217], v[226:227], -v[200:201]
	v_mul_f64 v[216:217], v[216:217], v[202:203]
	v_fmac_f64_e32 v[216:217], v[218:219], v[226:227]
	s_waitcnt vmcnt(4)
	v_add_f64 v[10:11], v[10:11], -v[216:217]
	ds_read2_b64 v[216:219], v228 offset0:104 offset1:105
	v_add_f64 v[14:15], v[14:15], -v[222:223]
	v_add_f64 v[8:9], v[8:9], -v[200:201]
	s_waitcnt lgkmcnt(1)
	v_mul_f64 v[200:201], v[234:235], v[202:203]
	v_mul_f64 v[222:223], v[232:233], v[202:203]
	v_fma_f64 v[200:201], v[232:233], v[226:227], -v[200:201]
	v_fmac_f64_e32 v[222:223], v[234:235], v[226:227]
	ds_read2_b64 v[232:235], v228 offset0:106 offset1:107
	s_waitcnt vmcnt(3)
	v_add_f64 v[4:5], v[4:5], -v[200:201]
	s_waitcnt lgkmcnt(1)
	v_mul_f64 v[200:201], v[218:219], v[202:203]
	v_fma_f64 v[200:201], v[216:217], v[226:227], -v[200:201]
	v_mul_f64 v[216:217], v[216:217], v[202:203]
	v_fmac_f64_e32 v[216:217], v[218:219], v[226:227]
	s_waitcnt vmcnt(2)
	v_add_f64 v[0:1], v[0:1], -v[200:201]
	v_add_f64 v[2:3], v[2:3], -v[216:217]
	s_waitcnt lgkmcnt(0)
	v_mul_f64 v[200:201], v[234:235], v[202:203]
	v_mul_f64 v[216:217], v[232:233], v[202:203]
	v_fma_f64 v[200:201], v[232:233], v[226:227], -v[200:201]
	v_fmac_f64_e32 v[216:217], v[234:235], v[226:227]
	v_add_f64 v[6:7], v[6:7], -v[222:223]
	s_waitcnt vmcnt(1)
	v_add_f64 v[212:213], v[212:213], -v[200:201]
	v_add_f64 v[214:215], v[214:215], -v[216:217]
	v_mov_b64_e32 v[200:201], v[226:227]
.LBB106_104:
	s_or_b64 exec, exec, s[0:1]
	v_lshl_add_u32 v216, v229, 4, v228
	s_barrier
	s_waitcnt vmcnt(49)
	ds_write2_b64 v216, v[196:197], v[198:199] offset1:1
	s_waitcnt lgkmcnt(0)
	s_barrier
	ds_read2_b64 v[216:219], v228 offset0:10 offset1:11
	s_cmp_lt_i32 s20, 7
	v_mov_b32_e32 v226, 5
	s_cbranch_scc1 .LBB106_107
; %bb.105:
	v_add_u32_e32 v227, 0x60, v228
	s_mov_b32 s16, 6
	v_mov_b32_e32 v226, 5
.LBB106_106:                            ; =>This Inner Loop Header: Depth=1
	ds_read2_b64 v[232:235], v227 offset1:1
	s_waitcnt lgkmcnt(1)
	v_xor_b32_e32 v223, 0x80000000, v217
	v_xor_b32_e32 v231, 0x80000000, v219
	v_cmp_gt_f64_e32 vcc, 0, v[218:219]
	v_cmp_gt_f64_e64 s[0:1], 0, v[216:217]
	v_mov_b32_e32 v222, v216
	v_mov_b32_e32 v236, v218
	v_cndmask_b32_e64 v223, v217, v223, s[0:1]
	v_cndmask_b32_e32 v237, v219, v231, vcc
	s_waitcnt lgkmcnt(0)
	v_xor_b32_e32 v231, 0x80000000, v233
	v_xor_b32_e32 v239, 0x80000000, v235
	v_cmp_gt_f64_e32 vcc, 0, v[234:235]
	v_cmp_gt_f64_e64 s[0:1], 0, v[232:233]
	v_add_f64 v[222:223], v[222:223], v[236:237]
	v_mov_b32_e32 v236, v232
	v_mov_b32_e32 v238, v234
	v_cndmask_b32_e64 v237, v233, v231, s[0:1]
	v_cndmask_b32_e32 v239, v235, v239, vcc
	v_add_f64 v[236:237], v[236:237], v[238:239]
	v_mov_b32_e32 v240, s16
	s_add_i32 s16, s16, 1
	v_cmp_lt_f64_e32 vcc, v[222:223], v[236:237]
	v_add_u32_e32 v227, 16, v227
	s_cmp_lg_u32 s20, s16
	v_cndmask_b32_e32 v217, v217, v233, vcc
	v_cndmask_b32_e32 v216, v216, v232, vcc
	;; [unrolled: 1-line block ×5, first 2 shown]
	s_cbranch_scc1 .LBB106_106
.LBB106_107:
	s_waitcnt lgkmcnt(0)
	v_cmp_eq_f64_e32 vcc, 0, v[216:217]
	v_cmp_eq_f64_e64 s[0:1], 0, v[218:219]
	s_and_b64 s[0:1], vcc, s[0:1]
	s_and_saveexec_b64 s[16:17], s[0:1]
	s_xor_b64 s[0:1], exec, s[16:17]
; %bb.108:
	v_cmp_ne_u32_e32 vcc, 0, v230
	s_nop 1
	v_cndmask_b32_e32 v230, 6, v230, vcc
; %bb.109:
	s_andn2_saveexec_b64 s[0:1], s[0:1]
	s_cbranch_execz .LBB106_115
; %bb.110:
	v_cmp_ngt_f64_e64 s[16:17], |v[216:217]|, |v[218:219]|
	s_and_saveexec_b64 s[18:19], s[16:17]
	s_xor_b64 s[16:17], exec, s[18:19]
	s_cbranch_execz .LBB106_112
; %bb.111:
	v_div_scale_f64 v[222:223], s[18:19], v[218:219], v[218:219], v[216:217]
	v_rcp_f64_e32 v[232:233], v[222:223]
	v_div_scale_f64 v[234:235], vcc, v[216:217], v[218:219], v[216:217]
	v_fma_f64 v[236:237], -v[222:223], v[232:233], 1.0
	v_fmac_f64_e32 v[232:233], v[232:233], v[236:237]
	v_fma_f64 v[236:237], -v[222:223], v[232:233], 1.0
	v_fmac_f64_e32 v[232:233], v[232:233], v[236:237]
	v_mul_f64 v[236:237], v[234:235], v[232:233]
	v_fma_f64 v[222:223], -v[222:223], v[236:237], v[234:235]
	v_div_fmas_f64 v[222:223], v[222:223], v[232:233], v[236:237]
	v_div_fixup_f64 v[222:223], v[222:223], v[218:219], v[216:217]
	v_fmac_f64_e32 v[218:219], v[216:217], v[222:223]
	v_div_scale_f64 v[216:217], s[18:19], v[218:219], v[218:219], 1.0
	v_rcp_f64_e32 v[232:233], v[216:217]
	s_nop 0
	v_fma_f64 v[234:235], -v[216:217], v[232:233], 1.0
	v_fmac_f64_e32 v[232:233], v[232:233], v[234:235]
	v_fma_f64 v[234:235], -v[216:217], v[232:233], 1.0
	v_fmac_f64_e32 v[232:233], v[232:233], v[234:235]
	v_div_scale_f64 v[234:235], vcc, 1.0, v[218:219], 1.0
	v_mul_f64 v[236:237], v[234:235], v[232:233]
	v_fma_f64 v[216:217], -v[216:217], v[236:237], v[234:235]
	s_nop 1
	v_div_fmas_f64 v[216:217], v[216:217], v[232:233], v[236:237]
	v_div_fixup_f64 v[218:219], v[216:217], v[218:219], 1.0
	v_mul_f64 v[216:217], v[222:223], v[218:219]
	v_xor_b32_e32 v219, 0x80000000, v219
.LBB106_112:
	s_andn2_saveexec_b64 s[16:17], s[16:17]
	s_cbranch_execz .LBB106_114
; %bb.113:
	v_div_scale_f64 v[222:223], s[18:19], v[216:217], v[216:217], v[218:219]
	v_rcp_f64_e32 v[232:233], v[222:223]
	v_div_scale_f64 v[234:235], vcc, v[218:219], v[216:217], v[218:219]
	v_fma_f64 v[236:237], -v[222:223], v[232:233], 1.0
	v_fmac_f64_e32 v[232:233], v[232:233], v[236:237]
	v_fma_f64 v[236:237], -v[222:223], v[232:233], 1.0
	v_fmac_f64_e32 v[232:233], v[232:233], v[236:237]
	v_mul_f64 v[236:237], v[234:235], v[232:233]
	v_fma_f64 v[222:223], -v[222:223], v[236:237], v[234:235]
	v_div_fmas_f64 v[222:223], v[222:223], v[232:233], v[236:237]
	v_div_fixup_f64 v[222:223], v[222:223], v[216:217], v[218:219]
	v_fmac_f64_e32 v[216:217], v[218:219], v[222:223]
	v_div_scale_f64 v[218:219], s[18:19], v[216:217], v[216:217], 1.0
	v_rcp_f64_e32 v[232:233], v[218:219]
	s_nop 0
	v_fma_f64 v[234:235], -v[218:219], v[232:233], 1.0
	v_fmac_f64_e32 v[232:233], v[232:233], v[234:235]
	v_fma_f64 v[234:235], -v[218:219], v[232:233], 1.0
	v_fmac_f64_e32 v[232:233], v[232:233], v[234:235]
	v_div_scale_f64 v[234:235], vcc, 1.0, v[216:217], 1.0
	v_mul_f64 v[236:237], v[234:235], v[232:233]
	v_fma_f64 v[218:219], -v[218:219], v[236:237], v[234:235]
	s_nop 1
	v_div_fmas_f64 v[218:219], v[218:219], v[232:233], v[236:237]
	v_div_fixup_f64 v[216:217], v[218:219], v[216:217], 1.0
	v_mul_f64 v[218:219], v[222:223], -v[216:217]
.LBB106_114:
	s_or_b64 exec, exec, s[16:17]
.LBB106_115:
	s_or_b64 exec, exec, s[0:1]
	v_cmp_ne_u32_e32 vcc, v229, v226
	s_and_saveexec_b64 s[0:1], vcc
	s_xor_b64 s[0:1], exec, s[0:1]
	s_cbranch_execz .LBB106_121
; %bb.116:
	v_cmp_eq_u32_e32 vcc, 5, v229
	s_and_saveexec_b64 s[16:17], vcc
	s_cbranch_execz .LBB106_120
; %bb.117:
	v_cmp_ne_u32_e32 vcc, 5, v226
	s_xor_b64 s[18:19], s[14:15], -1
	s_and_b64 s[22:23], s[18:19], vcc
	s_and_saveexec_b64 s[18:19], s[22:23]
	s_cbranch_execz .LBB106_119
; %bb.118:
	v_ashrrev_i32_e32 v227, 31, v226
	s_waitcnt vmcnt(0)
	v_lshl_add_u64 v[222:223], v[226:227], 2, v[224:225]
	global_load_dword v227, v[222:223], off
	global_load_dword v229, v[224:225], off offset:20
	s_waitcnt vmcnt(1)
	global_store_dword v[224:225], v227, off offset:20
	s_waitcnt vmcnt(1)
	global_store_dword v[222:223], v229, off
.LBB106_119:
	s_or_b64 exec, exec, s[18:19]
	v_mov_b32_e32 v229, v226
	v_mov_b32_e32 v220, v226
.LBB106_120:
	s_or_b64 exec, exec, s[16:17]
.LBB106_121:
	s_andn2_saveexec_b64 s[0:1], s[0:1]
	s_cbranch_execz .LBB106_123
; %bb.122:
	v_mov_b32_e32 v229, 5
	s_waitcnt vmcnt(48)
	ds_write2_b64 v228, v[192:193], v[194:195] offset0:12 offset1:13
	s_waitcnt vmcnt(47)
	ds_write2_b64 v228, v[188:189], v[190:191] offset0:14 offset1:15
	s_waitcnt vmcnt(46)
	ds_write2_b64 v228, v[184:185], v[186:187] offset0:16 offset1:17
	s_waitcnt vmcnt(45)
	ds_write2_b64 v228, v[180:181], v[182:183] offset0:18 offset1:19
	s_waitcnt vmcnt(44)
	ds_write2_b64 v228, v[176:177], v[178:179] offset0:20 offset1:21
	s_waitcnt vmcnt(43)
	ds_write2_b64 v228, v[172:173], v[174:175] offset0:22 offset1:23
	s_waitcnt vmcnt(42)
	ds_write2_b64 v228, v[168:169], v[170:171] offset0:24 offset1:25
	s_waitcnt vmcnt(41)
	ds_write2_b64 v228, v[164:165], v[166:167] offset0:26 offset1:27
	s_waitcnt vmcnt(40)
	ds_write2_b64 v228, v[160:161], v[162:163] offset0:28 offset1:29
	s_waitcnt vmcnt(39)
	ds_write2_b64 v228, v[156:157], v[158:159] offset0:30 offset1:31
	s_waitcnt vmcnt(38)
	ds_write2_b64 v228, v[152:153], v[154:155] offset0:32 offset1:33
	s_waitcnt vmcnt(37)
	ds_write2_b64 v228, v[144:145], v[146:147] offset0:34 offset1:35
	s_waitcnt vmcnt(36)
	ds_write2_b64 v228, v[136:137], v[138:139] offset0:36 offset1:37
	s_waitcnt vmcnt(35)
	ds_write2_b64 v228, v[132:133], v[134:135] offset0:38 offset1:39
	s_waitcnt vmcnt(34)
	ds_write2_b64 v228, v[128:129], v[130:131] offset0:40 offset1:41
	s_waitcnt vmcnt(33)
	ds_write2_b64 v228, v[124:125], v[126:127] offset0:42 offset1:43
	s_waitcnt vmcnt(32)
	ds_write2_b64 v228, v[120:121], v[122:123] offset0:44 offset1:45
	s_waitcnt vmcnt(31)
	ds_write2_b64 v228, v[116:117], v[118:119] offset0:46 offset1:47
	s_waitcnt vmcnt(30)
	ds_write2_b64 v228, v[112:113], v[114:115] offset0:48 offset1:49
	s_waitcnt vmcnt(29)
	ds_write2_b64 v228, v[108:109], v[110:111] offset0:50 offset1:51
	s_waitcnt vmcnt(28)
	ds_write2_b64 v228, v[104:105], v[106:107] offset0:52 offset1:53
	s_waitcnt vmcnt(27)
	ds_write2_b64 v228, v[100:101], v[102:103] offset0:54 offset1:55
	s_waitcnt vmcnt(26)
	ds_write2_b64 v228, v[96:97], v[98:99] offset0:56 offset1:57
	s_waitcnt vmcnt(25)
	ds_write2_b64 v228, v[92:93], v[94:95] offset0:58 offset1:59
	s_waitcnt vmcnt(24)
	ds_write2_b64 v228, v[88:89], v[90:91] offset0:60 offset1:61
	s_waitcnt vmcnt(23)
	ds_write2_b64 v228, v[84:85], v[86:87] offset0:62 offset1:63
	s_waitcnt vmcnt(22)
	ds_write2_b64 v228, v[80:81], v[82:83] offset0:64 offset1:65
	s_waitcnt vmcnt(21)
	ds_write2_b64 v228, v[76:77], v[78:79] offset0:66 offset1:67
	s_waitcnt vmcnt(20)
	ds_write2_b64 v228, v[72:73], v[74:75] offset0:68 offset1:69
	s_waitcnt vmcnt(19)
	ds_write2_b64 v228, v[68:69], v[70:71] offset0:70 offset1:71
	s_waitcnt vmcnt(18)
	ds_write2_b64 v228, v[64:65], v[66:67] offset0:72 offset1:73
	s_waitcnt vmcnt(17)
	ds_write2_b64 v228, v[60:61], v[62:63] offset0:74 offset1:75
	s_waitcnt vmcnt(16)
	ds_write2_b64 v228, v[56:57], v[58:59] offset0:76 offset1:77
	s_waitcnt vmcnt(15)
	ds_write2_b64 v228, v[52:53], v[54:55] offset0:78 offset1:79
	s_waitcnt vmcnt(14)
	ds_write2_b64 v228, v[48:49], v[50:51] offset0:80 offset1:81
	s_waitcnt vmcnt(13)
	ds_write2_b64 v228, v[44:45], v[46:47] offset0:82 offset1:83
	s_waitcnt vmcnt(12)
	ds_write2_b64 v228, v[40:41], v[42:43] offset0:84 offset1:85
	s_waitcnt vmcnt(11)
	ds_write2_b64 v228, v[36:37], v[38:39] offset0:86 offset1:87
	s_waitcnt vmcnt(10)
	ds_write2_b64 v228, v[32:33], v[34:35] offset0:88 offset1:89
	s_waitcnt vmcnt(9)
	ds_write2_b64 v228, v[28:29], v[30:31] offset0:90 offset1:91
	s_waitcnt vmcnt(8)
	ds_write2_b64 v228, v[24:25], v[26:27] offset0:92 offset1:93
	s_waitcnt vmcnt(7)
	ds_write2_b64 v228, v[20:21], v[22:23] offset0:94 offset1:95
	s_waitcnt vmcnt(6)
	ds_write2_b64 v228, v[16:17], v[18:19] offset0:96 offset1:97
	s_waitcnt vmcnt(5)
	ds_write2_b64 v228, v[12:13], v[14:15] offset0:98 offset1:99
	s_waitcnt vmcnt(4)
	ds_write2_b64 v228, v[8:9], v[10:11] offset0:100 offset1:101
	s_waitcnt vmcnt(3)
	ds_write2_b64 v228, v[4:5], v[6:7] offset0:102 offset1:103
	s_waitcnt vmcnt(2)
	ds_write2_b64 v228, v[0:1], v[2:3] offset0:104 offset1:105
	s_waitcnt vmcnt(1)
	ds_write2_b64 v228, v[212:213], v[214:215] offset0:106 offset1:107
.LBB106_123:
	s_or_b64 exec, exec, s[0:1]
	v_cmp_lt_i32_e32 vcc, 5, v229
	s_waitcnt lgkmcnt(0)
	s_barrier
	s_and_saveexec_b64 s[0:1], vcc
	s_cbranch_execz .LBB106_125
; %bb.124:
	ds_read2_b64 v[232:235], v228 offset0:12 offset1:13
	v_mul_f64 v[222:223], v[218:219], v[198:199]
	v_mul_f64 v[198:199], v[216:217], v[198:199]
	v_fma_f64 v[226:227], v[216:217], v[196:197], -v[222:223]
	v_fmac_f64_e32 v[198:199], v[218:219], v[196:197]
	ds_read2_b64 v[216:219], v228 offset0:14 offset1:15
	s_waitcnt lgkmcnt(1)
	v_mul_f64 v[196:197], v[234:235], v[198:199]
	v_fma_f64 v[196:197], v[232:233], v[226:227], -v[196:197]
	v_mul_f64 v[222:223], v[232:233], v[198:199]
	s_waitcnt vmcnt(48)
	v_add_f64 v[192:193], v[192:193], -v[196:197]
	s_waitcnt lgkmcnt(0)
	v_mul_f64 v[196:197], v[218:219], v[198:199]
	v_fmac_f64_e32 v[222:223], v[234:235], v[226:227]
	v_fma_f64 v[196:197], v[216:217], v[226:227], -v[196:197]
	v_mul_f64 v[216:217], v[216:217], v[198:199]
	ds_read2_b64 v[232:235], v228 offset0:16 offset1:17
	v_fmac_f64_e32 v[216:217], v[218:219], v[226:227]
	s_waitcnt vmcnt(47)
	v_add_f64 v[190:191], v[190:191], -v[216:217]
	ds_read2_b64 v[216:219], v228 offset0:18 offset1:19
	v_add_f64 v[188:189], v[188:189], -v[196:197]
	s_waitcnt lgkmcnt(1)
	v_mul_f64 v[196:197], v[234:235], v[198:199]
	v_fma_f64 v[196:197], v[232:233], v[226:227], -v[196:197]
	v_add_f64 v[194:195], v[194:195], -v[222:223]
	v_mul_f64 v[222:223], v[232:233], v[198:199]
	s_waitcnt vmcnt(46)
	v_add_f64 v[184:185], v[184:185], -v[196:197]
	s_waitcnt lgkmcnt(0)
	v_mul_f64 v[196:197], v[218:219], v[198:199]
	v_fmac_f64_e32 v[222:223], v[234:235], v[226:227]
	v_fma_f64 v[196:197], v[216:217], v[226:227], -v[196:197]
	v_mul_f64 v[216:217], v[216:217], v[198:199]
	ds_read2_b64 v[232:235], v228 offset0:20 offset1:21
	v_fmac_f64_e32 v[216:217], v[218:219], v[226:227]
	s_waitcnt vmcnt(45)
	v_add_f64 v[182:183], v[182:183], -v[216:217]
	ds_read2_b64 v[216:219], v228 offset0:22 offset1:23
	v_add_f64 v[180:181], v[180:181], -v[196:197]
	s_waitcnt lgkmcnt(1)
	v_mul_f64 v[196:197], v[234:235], v[198:199]
	v_fma_f64 v[196:197], v[232:233], v[226:227], -v[196:197]
	v_add_f64 v[186:187], v[186:187], -v[222:223]
	;; [unrolled: 18-line block ×22, first 2 shown]
	v_mul_f64 v[222:223], v[232:233], v[198:199]
	s_waitcnt vmcnt(4)
	v_add_f64 v[8:9], v[8:9], -v[196:197]
	s_waitcnt lgkmcnt(0)
	v_mul_f64 v[196:197], v[218:219], v[198:199]
	v_fmac_f64_e32 v[222:223], v[234:235], v[226:227]
	v_fma_f64 v[196:197], v[216:217], v[226:227], -v[196:197]
	v_mul_f64 v[216:217], v[216:217], v[198:199]
	ds_read2_b64 v[232:235], v228 offset0:104 offset1:105
	v_fmac_f64_e32 v[216:217], v[218:219], v[226:227]
	s_waitcnt vmcnt(3)
	v_add_f64 v[6:7], v[6:7], -v[216:217]
	ds_read2_b64 v[216:219], v228 offset0:106 offset1:107
	v_add_f64 v[4:5], v[4:5], -v[196:197]
	s_waitcnt lgkmcnt(1)
	v_mul_f64 v[196:197], v[234:235], v[198:199]
	v_fma_f64 v[196:197], v[232:233], v[226:227], -v[196:197]
	s_waitcnt vmcnt(2)
	v_add_f64 v[0:1], v[0:1], -v[196:197]
	s_waitcnt lgkmcnt(0)
	v_mul_f64 v[196:197], v[218:219], v[198:199]
	v_add_f64 v[10:11], v[10:11], -v[222:223]
	v_mul_f64 v[222:223], v[232:233], v[198:199]
	v_fma_f64 v[196:197], v[216:217], v[226:227], -v[196:197]
	v_mul_f64 v[216:217], v[216:217], v[198:199]
	v_fmac_f64_e32 v[222:223], v[234:235], v[226:227]
	v_fmac_f64_e32 v[216:217], v[218:219], v[226:227]
	v_add_f64 v[2:3], v[2:3], -v[222:223]
	s_waitcnt vmcnt(1)
	v_add_f64 v[212:213], v[212:213], -v[196:197]
	v_add_f64 v[214:215], v[214:215], -v[216:217]
	v_mov_b64_e32 v[196:197], v[226:227]
.LBB106_125:
	s_or_b64 exec, exec, s[0:1]
	v_lshl_add_u32 v216, v229, 4, v228
	s_barrier
	s_waitcnt vmcnt(48)
	ds_write2_b64 v216, v[192:193], v[194:195] offset1:1
	s_waitcnt lgkmcnt(0)
	s_barrier
	ds_read2_b64 v[216:219], v228 offset0:12 offset1:13
	s_cmp_lt_i32 s20, 8
	v_mov_b32_e32 v226, 6
	s_cbranch_scc1 .LBB106_128
; %bb.126:
	v_add_u32_e32 v227, 0x70, v228
	s_mov_b32 s16, 7
	v_mov_b32_e32 v226, 6
.LBB106_127:                            ; =>This Inner Loop Header: Depth=1
	ds_read2_b64 v[232:235], v227 offset1:1
	s_waitcnt lgkmcnt(1)
	v_xor_b32_e32 v223, 0x80000000, v217
	v_xor_b32_e32 v231, 0x80000000, v219
	v_cmp_gt_f64_e32 vcc, 0, v[218:219]
	v_cmp_gt_f64_e64 s[0:1], 0, v[216:217]
	v_mov_b32_e32 v222, v216
	v_mov_b32_e32 v236, v218
	v_cndmask_b32_e64 v223, v217, v223, s[0:1]
	v_cndmask_b32_e32 v237, v219, v231, vcc
	s_waitcnt lgkmcnt(0)
	v_xor_b32_e32 v231, 0x80000000, v233
	v_xor_b32_e32 v239, 0x80000000, v235
	v_cmp_gt_f64_e32 vcc, 0, v[234:235]
	v_cmp_gt_f64_e64 s[0:1], 0, v[232:233]
	v_add_f64 v[222:223], v[222:223], v[236:237]
	v_mov_b32_e32 v236, v232
	v_mov_b32_e32 v238, v234
	v_cndmask_b32_e64 v237, v233, v231, s[0:1]
	v_cndmask_b32_e32 v239, v235, v239, vcc
	v_add_f64 v[236:237], v[236:237], v[238:239]
	v_mov_b32_e32 v240, s16
	s_add_i32 s16, s16, 1
	v_cmp_lt_f64_e32 vcc, v[222:223], v[236:237]
	v_add_u32_e32 v227, 16, v227
	s_cmp_lg_u32 s20, s16
	v_cndmask_b32_e32 v217, v217, v233, vcc
	v_cndmask_b32_e32 v216, v216, v232, vcc
	;; [unrolled: 1-line block ×5, first 2 shown]
	s_cbranch_scc1 .LBB106_127
.LBB106_128:
	s_waitcnt lgkmcnt(0)
	v_cmp_eq_f64_e32 vcc, 0, v[216:217]
	v_cmp_eq_f64_e64 s[0:1], 0, v[218:219]
	s_and_b64 s[0:1], vcc, s[0:1]
	s_and_saveexec_b64 s[16:17], s[0:1]
	s_xor_b64 s[0:1], exec, s[16:17]
; %bb.129:
	v_cmp_ne_u32_e32 vcc, 0, v230
	s_nop 1
	v_cndmask_b32_e32 v230, 7, v230, vcc
; %bb.130:
	s_andn2_saveexec_b64 s[0:1], s[0:1]
	s_cbranch_execz .LBB106_136
; %bb.131:
	v_cmp_ngt_f64_e64 s[16:17], |v[216:217]|, |v[218:219]|
	s_and_saveexec_b64 s[18:19], s[16:17]
	s_xor_b64 s[16:17], exec, s[18:19]
	s_cbranch_execz .LBB106_133
; %bb.132:
	v_div_scale_f64 v[222:223], s[18:19], v[218:219], v[218:219], v[216:217]
	v_rcp_f64_e32 v[232:233], v[222:223]
	v_div_scale_f64 v[234:235], vcc, v[216:217], v[218:219], v[216:217]
	v_fma_f64 v[236:237], -v[222:223], v[232:233], 1.0
	v_fmac_f64_e32 v[232:233], v[232:233], v[236:237]
	v_fma_f64 v[236:237], -v[222:223], v[232:233], 1.0
	v_fmac_f64_e32 v[232:233], v[232:233], v[236:237]
	v_mul_f64 v[236:237], v[234:235], v[232:233]
	v_fma_f64 v[222:223], -v[222:223], v[236:237], v[234:235]
	v_div_fmas_f64 v[222:223], v[222:223], v[232:233], v[236:237]
	v_div_fixup_f64 v[222:223], v[222:223], v[218:219], v[216:217]
	v_fmac_f64_e32 v[218:219], v[216:217], v[222:223]
	v_div_scale_f64 v[216:217], s[18:19], v[218:219], v[218:219], 1.0
	v_rcp_f64_e32 v[232:233], v[216:217]
	s_nop 0
	v_fma_f64 v[234:235], -v[216:217], v[232:233], 1.0
	v_fmac_f64_e32 v[232:233], v[232:233], v[234:235]
	v_fma_f64 v[234:235], -v[216:217], v[232:233], 1.0
	v_fmac_f64_e32 v[232:233], v[232:233], v[234:235]
	v_div_scale_f64 v[234:235], vcc, 1.0, v[218:219], 1.0
	v_mul_f64 v[236:237], v[234:235], v[232:233]
	v_fma_f64 v[216:217], -v[216:217], v[236:237], v[234:235]
	s_nop 1
	v_div_fmas_f64 v[216:217], v[216:217], v[232:233], v[236:237]
	v_div_fixup_f64 v[218:219], v[216:217], v[218:219], 1.0
	v_mul_f64 v[216:217], v[222:223], v[218:219]
	v_xor_b32_e32 v219, 0x80000000, v219
.LBB106_133:
	s_andn2_saveexec_b64 s[16:17], s[16:17]
	s_cbranch_execz .LBB106_135
; %bb.134:
	v_div_scale_f64 v[222:223], s[18:19], v[216:217], v[216:217], v[218:219]
	v_rcp_f64_e32 v[232:233], v[222:223]
	v_div_scale_f64 v[234:235], vcc, v[218:219], v[216:217], v[218:219]
	v_fma_f64 v[236:237], -v[222:223], v[232:233], 1.0
	v_fmac_f64_e32 v[232:233], v[232:233], v[236:237]
	v_fma_f64 v[236:237], -v[222:223], v[232:233], 1.0
	v_fmac_f64_e32 v[232:233], v[232:233], v[236:237]
	v_mul_f64 v[236:237], v[234:235], v[232:233]
	v_fma_f64 v[222:223], -v[222:223], v[236:237], v[234:235]
	v_div_fmas_f64 v[222:223], v[222:223], v[232:233], v[236:237]
	v_div_fixup_f64 v[222:223], v[222:223], v[216:217], v[218:219]
	v_fmac_f64_e32 v[216:217], v[218:219], v[222:223]
	v_div_scale_f64 v[218:219], s[18:19], v[216:217], v[216:217], 1.0
	v_rcp_f64_e32 v[232:233], v[218:219]
	s_nop 0
	v_fma_f64 v[234:235], -v[218:219], v[232:233], 1.0
	v_fmac_f64_e32 v[232:233], v[232:233], v[234:235]
	v_fma_f64 v[234:235], -v[218:219], v[232:233], 1.0
	v_fmac_f64_e32 v[232:233], v[232:233], v[234:235]
	v_div_scale_f64 v[234:235], vcc, 1.0, v[216:217], 1.0
	v_mul_f64 v[236:237], v[234:235], v[232:233]
	v_fma_f64 v[218:219], -v[218:219], v[236:237], v[234:235]
	s_nop 1
	v_div_fmas_f64 v[218:219], v[218:219], v[232:233], v[236:237]
	v_div_fixup_f64 v[216:217], v[218:219], v[216:217], 1.0
	v_mul_f64 v[218:219], v[222:223], -v[216:217]
.LBB106_135:
	s_or_b64 exec, exec, s[16:17]
.LBB106_136:
	s_or_b64 exec, exec, s[0:1]
	v_cmp_ne_u32_e32 vcc, v229, v226
	s_and_saveexec_b64 s[0:1], vcc
	s_xor_b64 s[0:1], exec, s[0:1]
	s_cbranch_execz .LBB106_142
; %bb.137:
	v_cmp_eq_u32_e32 vcc, 6, v229
	s_and_saveexec_b64 s[16:17], vcc
	s_cbranch_execz .LBB106_141
; %bb.138:
	v_cmp_ne_u32_e32 vcc, 6, v226
	s_xor_b64 s[18:19], s[14:15], -1
	s_and_b64 s[22:23], s[18:19], vcc
	s_and_saveexec_b64 s[18:19], s[22:23]
	s_cbranch_execz .LBB106_140
; %bb.139:
	v_ashrrev_i32_e32 v227, 31, v226
	s_waitcnt vmcnt(0)
	v_lshl_add_u64 v[222:223], v[226:227], 2, v[224:225]
	global_load_dword v227, v[222:223], off
	global_load_dword v229, v[224:225], off offset:24
	s_waitcnt vmcnt(1)
	global_store_dword v[224:225], v227, off offset:24
	s_waitcnt vmcnt(1)
	global_store_dword v[222:223], v229, off
.LBB106_140:
	s_or_b64 exec, exec, s[18:19]
	v_mov_b32_e32 v229, v226
	v_mov_b32_e32 v220, v226
.LBB106_141:
	s_or_b64 exec, exec, s[16:17]
.LBB106_142:
	s_andn2_saveexec_b64 s[0:1], s[0:1]
	s_cbranch_execz .LBB106_144
; %bb.143:
	v_mov_b32_e32 v229, 6
	s_waitcnt vmcnt(47)
	ds_write2_b64 v228, v[188:189], v[190:191] offset0:14 offset1:15
	s_waitcnt vmcnt(46)
	ds_write2_b64 v228, v[184:185], v[186:187] offset0:16 offset1:17
	;; [unrolled: 2-line block ×47, first 2 shown]
.LBB106_144:
	s_or_b64 exec, exec, s[0:1]
	v_cmp_lt_i32_e32 vcc, 6, v229
	s_waitcnt lgkmcnt(0)
	s_barrier
	s_and_saveexec_b64 s[0:1], vcc
	s_cbranch_execz .LBB106_146
; %bb.145:
	ds_read2_b64 v[232:235], v228 offset0:14 offset1:15
	v_mul_f64 v[222:223], v[218:219], v[194:195]
	v_mul_f64 v[194:195], v[216:217], v[194:195]
	v_fma_f64 v[226:227], v[216:217], v[192:193], -v[222:223]
	v_fmac_f64_e32 v[194:195], v[218:219], v[192:193]
	ds_read2_b64 v[216:219], v228 offset0:16 offset1:17
	s_waitcnt lgkmcnt(1)
	v_mul_f64 v[192:193], v[234:235], v[194:195]
	v_fma_f64 v[192:193], v[232:233], v[226:227], -v[192:193]
	v_mul_f64 v[222:223], v[232:233], v[194:195]
	s_waitcnt vmcnt(47)
	v_add_f64 v[188:189], v[188:189], -v[192:193]
	s_waitcnt lgkmcnt(0)
	v_mul_f64 v[192:193], v[218:219], v[194:195]
	v_fmac_f64_e32 v[222:223], v[234:235], v[226:227]
	v_fma_f64 v[192:193], v[216:217], v[226:227], -v[192:193]
	v_mul_f64 v[216:217], v[216:217], v[194:195]
	ds_read2_b64 v[232:235], v228 offset0:18 offset1:19
	v_fmac_f64_e32 v[216:217], v[218:219], v[226:227]
	s_waitcnt vmcnt(46)
	v_add_f64 v[186:187], v[186:187], -v[216:217]
	ds_read2_b64 v[216:219], v228 offset0:20 offset1:21
	v_add_f64 v[184:185], v[184:185], -v[192:193]
	s_waitcnt lgkmcnt(1)
	v_mul_f64 v[192:193], v[234:235], v[194:195]
	v_fma_f64 v[192:193], v[232:233], v[226:227], -v[192:193]
	v_add_f64 v[190:191], v[190:191], -v[222:223]
	v_mul_f64 v[222:223], v[232:233], v[194:195]
	s_waitcnt vmcnt(45)
	v_add_f64 v[180:181], v[180:181], -v[192:193]
	s_waitcnt lgkmcnt(0)
	v_mul_f64 v[192:193], v[218:219], v[194:195]
	v_fmac_f64_e32 v[222:223], v[234:235], v[226:227]
	v_fma_f64 v[192:193], v[216:217], v[226:227], -v[192:193]
	v_mul_f64 v[216:217], v[216:217], v[194:195]
	ds_read2_b64 v[232:235], v228 offset0:22 offset1:23
	v_fmac_f64_e32 v[216:217], v[218:219], v[226:227]
	s_waitcnt vmcnt(44)
	v_add_f64 v[178:179], v[178:179], -v[216:217]
	ds_read2_b64 v[216:219], v228 offset0:24 offset1:25
	v_add_f64 v[176:177], v[176:177], -v[192:193]
	s_waitcnt lgkmcnt(1)
	v_mul_f64 v[192:193], v[234:235], v[194:195]
	v_fma_f64 v[192:193], v[232:233], v[226:227], -v[192:193]
	v_add_f64 v[182:183], v[182:183], -v[222:223]
	;; [unrolled: 18-line block ×20, first 2 shown]
	v_mul_f64 v[222:223], v[232:233], v[194:195]
	s_waitcnt vmcnt(7)
	v_add_f64 v[20:21], v[20:21], -v[192:193]
	s_waitcnt lgkmcnt(0)
	v_mul_f64 v[192:193], v[218:219], v[194:195]
	v_fmac_f64_e32 v[222:223], v[234:235], v[226:227]
	v_fma_f64 v[192:193], v[216:217], v[226:227], -v[192:193]
	v_mul_f64 v[216:217], v[216:217], v[194:195]
	ds_read2_b64 v[232:235], v228 offset0:98 offset1:99
	v_fmac_f64_e32 v[216:217], v[218:219], v[226:227]
	s_waitcnt vmcnt(6)
	v_add_f64 v[18:19], v[18:19], -v[216:217]
	ds_read2_b64 v[216:219], v228 offset0:100 offset1:101
	v_add_f64 v[16:17], v[16:17], -v[192:193]
	s_waitcnt lgkmcnt(1)
	v_mul_f64 v[192:193], v[234:235], v[194:195]
	v_add_f64 v[22:23], v[22:23], -v[222:223]
	v_fma_f64 v[192:193], v[232:233], v[226:227], -v[192:193]
	v_mul_f64 v[222:223], v[232:233], v[194:195]
	v_fmac_f64_e32 v[222:223], v[234:235], v[226:227]
	s_waitcnt vmcnt(5)
	v_add_f64 v[12:13], v[12:13], -v[192:193]
	s_waitcnt lgkmcnt(0)
	v_mul_f64 v[192:193], v[218:219], v[194:195]
	ds_read2_b64 v[232:235], v228 offset0:102 offset1:103
	v_fma_f64 v[192:193], v[216:217], v[226:227], -v[192:193]
	v_mul_f64 v[216:217], v[216:217], v[194:195]
	v_fmac_f64_e32 v[216:217], v[218:219], v[226:227]
	s_waitcnt vmcnt(4)
	v_add_f64 v[10:11], v[10:11], -v[216:217]
	ds_read2_b64 v[216:219], v228 offset0:104 offset1:105
	v_add_f64 v[14:15], v[14:15], -v[222:223]
	v_add_f64 v[8:9], v[8:9], -v[192:193]
	s_waitcnt lgkmcnt(1)
	v_mul_f64 v[192:193], v[234:235], v[194:195]
	v_mul_f64 v[222:223], v[232:233], v[194:195]
	v_fma_f64 v[192:193], v[232:233], v[226:227], -v[192:193]
	v_fmac_f64_e32 v[222:223], v[234:235], v[226:227]
	ds_read2_b64 v[232:235], v228 offset0:106 offset1:107
	s_waitcnt vmcnt(3)
	v_add_f64 v[4:5], v[4:5], -v[192:193]
	s_waitcnt lgkmcnt(1)
	v_mul_f64 v[192:193], v[218:219], v[194:195]
	v_fma_f64 v[192:193], v[216:217], v[226:227], -v[192:193]
	v_mul_f64 v[216:217], v[216:217], v[194:195]
	v_fmac_f64_e32 v[216:217], v[218:219], v[226:227]
	s_waitcnt vmcnt(2)
	v_add_f64 v[0:1], v[0:1], -v[192:193]
	v_add_f64 v[2:3], v[2:3], -v[216:217]
	s_waitcnt lgkmcnt(0)
	v_mul_f64 v[192:193], v[234:235], v[194:195]
	v_mul_f64 v[216:217], v[232:233], v[194:195]
	v_fma_f64 v[192:193], v[232:233], v[226:227], -v[192:193]
	v_fmac_f64_e32 v[216:217], v[234:235], v[226:227]
	v_add_f64 v[6:7], v[6:7], -v[222:223]
	s_waitcnt vmcnt(1)
	v_add_f64 v[212:213], v[212:213], -v[192:193]
	v_add_f64 v[214:215], v[214:215], -v[216:217]
	v_mov_b64_e32 v[192:193], v[226:227]
.LBB106_146:
	s_or_b64 exec, exec, s[0:1]
	v_lshl_add_u32 v216, v229, 4, v228
	s_barrier
	s_waitcnt vmcnt(47)
	ds_write2_b64 v216, v[188:189], v[190:191] offset1:1
	s_waitcnt lgkmcnt(0)
	s_barrier
	ds_read2_b64 v[216:219], v228 offset0:14 offset1:15
	s_cmp_lt_i32 s20, 9
	v_mov_b32_e32 v226, 7
	s_cbranch_scc1 .LBB106_149
; %bb.147:
	v_add_u32_e32 v227, 0x80, v228
	s_mov_b32 s16, 8
	v_mov_b32_e32 v226, 7
.LBB106_148:                            ; =>This Inner Loop Header: Depth=1
	ds_read2_b64 v[232:235], v227 offset1:1
	s_waitcnt lgkmcnt(1)
	v_xor_b32_e32 v223, 0x80000000, v217
	v_xor_b32_e32 v231, 0x80000000, v219
	v_cmp_gt_f64_e32 vcc, 0, v[218:219]
	v_cmp_gt_f64_e64 s[0:1], 0, v[216:217]
	v_mov_b32_e32 v222, v216
	v_mov_b32_e32 v236, v218
	v_cndmask_b32_e64 v223, v217, v223, s[0:1]
	v_cndmask_b32_e32 v237, v219, v231, vcc
	s_waitcnt lgkmcnt(0)
	v_xor_b32_e32 v231, 0x80000000, v233
	v_xor_b32_e32 v239, 0x80000000, v235
	v_cmp_gt_f64_e32 vcc, 0, v[234:235]
	v_cmp_gt_f64_e64 s[0:1], 0, v[232:233]
	v_add_f64 v[222:223], v[222:223], v[236:237]
	v_mov_b32_e32 v236, v232
	v_mov_b32_e32 v238, v234
	v_cndmask_b32_e64 v237, v233, v231, s[0:1]
	v_cndmask_b32_e32 v239, v235, v239, vcc
	v_add_f64 v[236:237], v[236:237], v[238:239]
	v_mov_b32_e32 v240, s16
	s_add_i32 s16, s16, 1
	v_cmp_lt_f64_e32 vcc, v[222:223], v[236:237]
	v_add_u32_e32 v227, 16, v227
	s_cmp_lg_u32 s20, s16
	v_cndmask_b32_e32 v217, v217, v233, vcc
	v_cndmask_b32_e32 v216, v216, v232, vcc
	;; [unrolled: 1-line block ×5, first 2 shown]
	s_cbranch_scc1 .LBB106_148
.LBB106_149:
	s_waitcnt lgkmcnt(0)
	v_cmp_eq_f64_e32 vcc, 0, v[216:217]
	v_cmp_eq_f64_e64 s[0:1], 0, v[218:219]
	s_and_b64 s[0:1], vcc, s[0:1]
	s_and_saveexec_b64 s[16:17], s[0:1]
	s_xor_b64 s[0:1], exec, s[16:17]
; %bb.150:
	v_cmp_ne_u32_e32 vcc, 0, v230
	s_nop 1
	v_cndmask_b32_e32 v230, 8, v230, vcc
; %bb.151:
	s_andn2_saveexec_b64 s[0:1], s[0:1]
	s_cbranch_execz .LBB106_157
; %bb.152:
	v_cmp_ngt_f64_e64 s[16:17], |v[216:217]|, |v[218:219]|
	s_and_saveexec_b64 s[18:19], s[16:17]
	s_xor_b64 s[16:17], exec, s[18:19]
	s_cbranch_execz .LBB106_154
; %bb.153:
	v_div_scale_f64 v[222:223], s[18:19], v[218:219], v[218:219], v[216:217]
	v_rcp_f64_e32 v[232:233], v[222:223]
	v_div_scale_f64 v[234:235], vcc, v[216:217], v[218:219], v[216:217]
	v_fma_f64 v[236:237], -v[222:223], v[232:233], 1.0
	v_fmac_f64_e32 v[232:233], v[232:233], v[236:237]
	v_fma_f64 v[236:237], -v[222:223], v[232:233], 1.0
	v_fmac_f64_e32 v[232:233], v[232:233], v[236:237]
	v_mul_f64 v[236:237], v[234:235], v[232:233]
	v_fma_f64 v[222:223], -v[222:223], v[236:237], v[234:235]
	v_div_fmas_f64 v[222:223], v[222:223], v[232:233], v[236:237]
	v_div_fixup_f64 v[222:223], v[222:223], v[218:219], v[216:217]
	v_fmac_f64_e32 v[218:219], v[216:217], v[222:223]
	v_div_scale_f64 v[216:217], s[18:19], v[218:219], v[218:219], 1.0
	v_rcp_f64_e32 v[232:233], v[216:217]
	s_nop 0
	v_fma_f64 v[234:235], -v[216:217], v[232:233], 1.0
	v_fmac_f64_e32 v[232:233], v[232:233], v[234:235]
	v_fma_f64 v[234:235], -v[216:217], v[232:233], 1.0
	v_fmac_f64_e32 v[232:233], v[232:233], v[234:235]
	v_div_scale_f64 v[234:235], vcc, 1.0, v[218:219], 1.0
	v_mul_f64 v[236:237], v[234:235], v[232:233]
	v_fma_f64 v[216:217], -v[216:217], v[236:237], v[234:235]
	s_nop 1
	v_div_fmas_f64 v[216:217], v[216:217], v[232:233], v[236:237]
	v_div_fixup_f64 v[218:219], v[216:217], v[218:219], 1.0
	v_mul_f64 v[216:217], v[222:223], v[218:219]
	v_xor_b32_e32 v219, 0x80000000, v219
.LBB106_154:
	s_andn2_saveexec_b64 s[16:17], s[16:17]
	s_cbranch_execz .LBB106_156
; %bb.155:
	v_div_scale_f64 v[222:223], s[18:19], v[216:217], v[216:217], v[218:219]
	v_rcp_f64_e32 v[232:233], v[222:223]
	v_div_scale_f64 v[234:235], vcc, v[218:219], v[216:217], v[218:219]
	v_fma_f64 v[236:237], -v[222:223], v[232:233], 1.0
	v_fmac_f64_e32 v[232:233], v[232:233], v[236:237]
	v_fma_f64 v[236:237], -v[222:223], v[232:233], 1.0
	v_fmac_f64_e32 v[232:233], v[232:233], v[236:237]
	v_mul_f64 v[236:237], v[234:235], v[232:233]
	v_fma_f64 v[222:223], -v[222:223], v[236:237], v[234:235]
	v_div_fmas_f64 v[222:223], v[222:223], v[232:233], v[236:237]
	v_div_fixup_f64 v[222:223], v[222:223], v[216:217], v[218:219]
	v_fmac_f64_e32 v[216:217], v[218:219], v[222:223]
	v_div_scale_f64 v[218:219], s[18:19], v[216:217], v[216:217], 1.0
	v_rcp_f64_e32 v[232:233], v[218:219]
	s_nop 0
	v_fma_f64 v[234:235], -v[218:219], v[232:233], 1.0
	v_fmac_f64_e32 v[232:233], v[232:233], v[234:235]
	v_fma_f64 v[234:235], -v[218:219], v[232:233], 1.0
	v_fmac_f64_e32 v[232:233], v[232:233], v[234:235]
	v_div_scale_f64 v[234:235], vcc, 1.0, v[216:217], 1.0
	v_mul_f64 v[236:237], v[234:235], v[232:233]
	v_fma_f64 v[218:219], -v[218:219], v[236:237], v[234:235]
	s_nop 1
	v_div_fmas_f64 v[218:219], v[218:219], v[232:233], v[236:237]
	v_div_fixup_f64 v[216:217], v[218:219], v[216:217], 1.0
	v_mul_f64 v[218:219], v[222:223], -v[216:217]
.LBB106_156:
	s_or_b64 exec, exec, s[16:17]
.LBB106_157:
	s_or_b64 exec, exec, s[0:1]
	v_cmp_ne_u32_e32 vcc, v229, v226
	s_and_saveexec_b64 s[0:1], vcc
	s_xor_b64 s[0:1], exec, s[0:1]
	s_cbranch_execz .LBB106_163
; %bb.158:
	v_cmp_eq_u32_e32 vcc, 7, v229
	s_and_saveexec_b64 s[16:17], vcc
	s_cbranch_execz .LBB106_162
; %bb.159:
	v_cmp_ne_u32_e32 vcc, 7, v226
	s_xor_b64 s[18:19], s[14:15], -1
	s_and_b64 s[22:23], s[18:19], vcc
	s_and_saveexec_b64 s[18:19], s[22:23]
	s_cbranch_execz .LBB106_161
; %bb.160:
	v_ashrrev_i32_e32 v227, 31, v226
	s_waitcnt vmcnt(0)
	v_lshl_add_u64 v[222:223], v[226:227], 2, v[224:225]
	global_load_dword v227, v[222:223], off
	global_load_dword v229, v[224:225], off offset:28
	s_waitcnt vmcnt(1)
	global_store_dword v[224:225], v227, off offset:28
	s_waitcnt vmcnt(1)
	global_store_dword v[222:223], v229, off
.LBB106_161:
	s_or_b64 exec, exec, s[18:19]
	v_mov_b32_e32 v229, v226
	v_mov_b32_e32 v220, v226
.LBB106_162:
	s_or_b64 exec, exec, s[16:17]
.LBB106_163:
	s_andn2_saveexec_b64 s[0:1], s[0:1]
	s_cbranch_execz .LBB106_165
; %bb.164:
	v_mov_b32_e32 v229, 7
	s_waitcnt vmcnt(46)
	ds_write2_b64 v228, v[184:185], v[186:187] offset0:16 offset1:17
	s_waitcnt vmcnt(45)
	ds_write2_b64 v228, v[180:181], v[182:183] offset0:18 offset1:19
	;; [unrolled: 2-line block ×46, first 2 shown]
.LBB106_165:
	s_or_b64 exec, exec, s[0:1]
	v_cmp_lt_i32_e32 vcc, 7, v229
	s_waitcnt lgkmcnt(0)
	s_barrier
	s_and_saveexec_b64 s[0:1], vcc
	s_cbranch_execz .LBB106_167
; %bb.166:
	ds_read2_b64 v[232:235], v228 offset0:16 offset1:17
	v_mul_f64 v[222:223], v[218:219], v[190:191]
	v_mul_f64 v[190:191], v[216:217], v[190:191]
	v_fma_f64 v[226:227], v[216:217], v[188:189], -v[222:223]
	v_fmac_f64_e32 v[190:191], v[218:219], v[188:189]
	ds_read2_b64 v[216:219], v228 offset0:18 offset1:19
	s_waitcnt lgkmcnt(1)
	v_mul_f64 v[188:189], v[234:235], v[190:191]
	v_fma_f64 v[188:189], v[232:233], v[226:227], -v[188:189]
	v_mul_f64 v[222:223], v[232:233], v[190:191]
	s_waitcnt vmcnt(46)
	v_add_f64 v[184:185], v[184:185], -v[188:189]
	s_waitcnt lgkmcnt(0)
	v_mul_f64 v[188:189], v[218:219], v[190:191]
	v_fmac_f64_e32 v[222:223], v[234:235], v[226:227]
	v_fma_f64 v[188:189], v[216:217], v[226:227], -v[188:189]
	v_mul_f64 v[216:217], v[216:217], v[190:191]
	ds_read2_b64 v[232:235], v228 offset0:20 offset1:21
	v_fmac_f64_e32 v[216:217], v[218:219], v[226:227]
	s_waitcnt vmcnt(45)
	v_add_f64 v[182:183], v[182:183], -v[216:217]
	ds_read2_b64 v[216:219], v228 offset0:22 offset1:23
	v_add_f64 v[180:181], v[180:181], -v[188:189]
	s_waitcnt lgkmcnt(1)
	v_mul_f64 v[188:189], v[234:235], v[190:191]
	v_fma_f64 v[188:189], v[232:233], v[226:227], -v[188:189]
	v_add_f64 v[186:187], v[186:187], -v[222:223]
	v_mul_f64 v[222:223], v[232:233], v[190:191]
	s_waitcnt vmcnt(44)
	v_add_f64 v[176:177], v[176:177], -v[188:189]
	s_waitcnt lgkmcnt(0)
	v_mul_f64 v[188:189], v[218:219], v[190:191]
	v_fmac_f64_e32 v[222:223], v[234:235], v[226:227]
	v_fma_f64 v[188:189], v[216:217], v[226:227], -v[188:189]
	v_mul_f64 v[216:217], v[216:217], v[190:191]
	ds_read2_b64 v[232:235], v228 offset0:24 offset1:25
	v_fmac_f64_e32 v[216:217], v[218:219], v[226:227]
	s_waitcnt vmcnt(43)
	v_add_f64 v[174:175], v[174:175], -v[216:217]
	ds_read2_b64 v[216:219], v228 offset0:26 offset1:27
	v_add_f64 v[172:173], v[172:173], -v[188:189]
	s_waitcnt lgkmcnt(1)
	v_mul_f64 v[188:189], v[234:235], v[190:191]
	v_fma_f64 v[188:189], v[232:233], v[226:227], -v[188:189]
	v_add_f64 v[178:179], v[178:179], -v[222:223]
	;; [unrolled: 18-line block ×21, first 2 shown]
	v_mul_f64 v[222:223], v[232:233], v[190:191]
	s_waitcnt vmcnt(4)
	v_add_f64 v[8:9], v[8:9], -v[188:189]
	s_waitcnt lgkmcnt(0)
	v_mul_f64 v[188:189], v[218:219], v[190:191]
	v_fmac_f64_e32 v[222:223], v[234:235], v[226:227]
	v_fma_f64 v[188:189], v[216:217], v[226:227], -v[188:189]
	v_mul_f64 v[216:217], v[216:217], v[190:191]
	ds_read2_b64 v[232:235], v228 offset0:104 offset1:105
	v_fmac_f64_e32 v[216:217], v[218:219], v[226:227]
	s_waitcnt vmcnt(3)
	v_add_f64 v[6:7], v[6:7], -v[216:217]
	ds_read2_b64 v[216:219], v228 offset0:106 offset1:107
	v_add_f64 v[4:5], v[4:5], -v[188:189]
	s_waitcnt lgkmcnt(1)
	v_mul_f64 v[188:189], v[234:235], v[190:191]
	v_fma_f64 v[188:189], v[232:233], v[226:227], -v[188:189]
	s_waitcnt vmcnt(2)
	v_add_f64 v[0:1], v[0:1], -v[188:189]
	s_waitcnt lgkmcnt(0)
	v_mul_f64 v[188:189], v[218:219], v[190:191]
	v_add_f64 v[10:11], v[10:11], -v[222:223]
	v_mul_f64 v[222:223], v[232:233], v[190:191]
	v_fma_f64 v[188:189], v[216:217], v[226:227], -v[188:189]
	v_mul_f64 v[216:217], v[216:217], v[190:191]
	v_fmac_f64_e32 v[222:223], v[234:235], v[226:227]
	v_fmac_f64_e32 v[216:217], v[218:219], v[226:227]
	v_add_f64 v[2:3], v[2:3], -v[222:223]
	s_waitcnt vmcnt(1)
	v_add_f64 v[212:213], v[212:213], -v[188:189]
	v_add_f64 v[214:215], v[214:215], -v[216:217]
	v_mov_b64_e32 v[188:189], v[226:227]
.LBB106_167:
	s_or_b64 exec, exec, s[0:1]
	v_lshl_add_u32 v216, v229, 4, v228
	s_barrier
	s_waitcnt vmcnt(46)
	ds_write2_b64 v216, v[184:185], v[186:187] offset1:1
	s_waitcnt lgkmcnt(0)
	s_barrier
	ds_read2_b64 v[216:219], v228 offset0:16 offset1:17
	s_cmp_lt_i32 s20, 10
	v_mov_b32_e32 v226, 8
	s_cbranch_scc1 .LBB106_170
; %bb.168:
	v_add_u32_e32 v227, 0x90, v228
	s_mov_b32 s16, 9
	v_mov_b32_e32 v226, 8
.LBB106_169:                            ; =>This Inner Loop Header: Depth=1
	ds_read2_b64 v[232:235], v227 offset1:1
	s_waitcnt lgkmcnt(1)
	v_xor_b32_e32 v223, 0x80000000, v217
	v_xor_b32_e32 v231, 0x80000000, v219
	v_cmp_gt_f64_e32 vcc, 0, v[218:219]
	v_cmp_gt_f64_e64 s[0:1], 0, v[216:217]
	v_mov_b32_e32 v222, v216
	v_mov_b32_e32 v236, v218
	v_cndmask_b32_e64 v223, v217, v223, s[0:1]
	v_cndmask_b32_e32 v237, v219, v231, vcc
	s_waitcnt lgkmcnt(0)
	v_xor_b32_e32 v231, 0x80000000, v233
	v_xor_b32_e32 v239, 0x80000000, v235
	v_cmp_gt_f64_e32 vcc, 0, v[234:235]
	v_cmp_gt_f64_e64 s[0:1], 0, v[232:233]
	v_add_f64 v[222:223], v[222:223], v[236:237]
	v_mov_b32_e32 v236, v232
	v_mov_b32_e32 v238, v234
	v_cndmask_b32_e64 v237, v233, v231, s[0:1]
	v_cndmask_b32_e32 v239, v235, v239, vcc
	v_add_f64 v[236:237], v[236:237], v[238:239]
	v_mov_b32_e32 v240, s16
	s_add_i32 s16, s16, 1
	v_cmp_lt_f64_e32 vcc, v[222:223], v[236:237]
	v_add_u32_e32 v227, 16, v227
	s_cmp_lg_u32 s20, s16
	v_cndmask_b32_e32 v217, v217, v233, vcc
	v_cndmask_b32_e32 v216, v216, v232, vcc
	;; [unrolled: 1-line block ×5, first 2 shown]
	s_cbranch_scc1 .LBB106_169
.LBB106_170:
	s_waitcnt lgkmcnt(0)
	v_cmp_eq_f64_e32 vcc, 0, v[216:217]
	v_cmp_eq_f64_e64 s[0:1], 0, v[218:219]
	s_and_b64 s[0:1], vcc, s[0:1]
	s_and_saveexec_b64 s[16:17], s[0:1]
	s_xor_b64 s[0:1], exec, s[16:17]
; %bb.171:
	v_cmp_ne_u32_e32 vcc, 0, v230
	s_nop 1
	v_cndmask_b32_e32 v230, 9, v230, vcc
; %bb.172:
	s_andn2_saveexec_b64 s[0:1], s[0:1]
	s_cbranch_execz .LBB106_178
; %bb.173:
	v_cmp_ngt_f64_e64 s[16:17], |v[216:217]|, |v[218:219]|
	s_and_saveexec_b64 s[18:19], s[16:17]
	s_xor_b64 s[16:17], exec, s[18:19]
	s_cbranch_execz .LBB106_175
; %bb.174:
	v_div_scale_f64 v[222:223], s[18:19], v[218:219], v[218:219], v[216:217]
	v_rcp_f64_e32 v[232:233], v[222:223]
	v_div_scale_f64 v[234:235], vcc, v[216:217], v[218:219], v[216:217]
	v_fma_f64 v[236:237], -v[222:223], v[232:233], 1.0
	v_fmac_f64_e32 v[232:233], v[232:233], v[236:237]
	v_fma_f64 v[236:237], -v[222:223], v[232:233], 1.0
	v_fmac_f64_e32 v[232:233], v[232:233], v[236:237]
	v_mul_f64 v[236:237], v[234:235], v[232:233]
	v_fma_f64 v[222:223], -v[222:223], v[236:237], v[234:235]
	v_div_fmas_f64 v[222:223], v[222:223], v[232:233], v[236:237]
	v_div_fixup_f64 v[222:223], v[222:223], v[218:219], v[216:217]
	v_fmac_f64_e32 v[218:219], v[216:217], v[222:223]
	v_div_scale_f64 v[216:217], s[18:19], v[218:219], v[218:219], 1.0
	v_rcp_f64_e32 v[232:233], v[216:217]
	s_nop 0
	v_fma_f64 v[234:235], -v[216:217], v[232:233], 1.0
	v_fmac_f64_e32 v[232:233], v[232:233], v[234:235]
	v_fma_f64 v[234:235], -v[216:217], v[232:233], 1.0
	v_fmac_f64_e32 v[232:233], v[232:233], v[234:235]
	v_div_scale_f64 v[234:235], vcc, 1.0, v[218:219], 1.0
	v_mul_f64 v[236:237], v[234:235], v[232:233]
	v_fma_f64 v[216:217], -v[216:217], v[236:237], v[234:235]
	s_nop 1
	v_div_fmas_f64 v[216:217], v[216:217], v[232:233], v[236:237]
	v_div_fixup_f64 v[218:219], v[216:217], v[218:219], 1.0
	v_mul_f64 v[216:217], v[222:223], v[218:219]
	v_xor_b32_e32 v219, 0x80000000, v219
.LBB106_175:
	s_andn2_saveexec_b64 s[16:17], s[16:17]
	s_cbranch_execz .LBB106_177
; %bb.176:
	v_div_scale_f64 v[222:223], s[18:19], v[216:217], v[216:217], v[218:219]
	v_rcp_f64_e32 v[232:233], v[222:223]
	v_div_scale_f64 v[234:235], vcc, v[218:219], v[216:217], v[218:219]
	v_fma_f64 v[236:237], -v[222:223], v[232:233], 1.0
	v_fmac_f64_e32 v[232:233], v[232:233], v[236:237]
	v_fma_f64 v[236:237], -v[222:223], v[232:233], 1.0
	v_fmac_f64_e32 v[232:233], v[232:233], v[236:237]
	v_mul_f64 v[236:237], v[234:235], v[232:233]
	v_fma_f64 v[222:223], -v[222:223], v[236:237], v[234:235]
	v_div_fmas_f64 v[222:223], v[222:223], v[232:233], v[236:237]
	v_div_fixup_f64 v[222:223], v[222:223], v[216:217], v[218:219]
	v_fmac_f64_e32 v[216:217], v[218:219], v[222:223]
	v_div_scale_f64 v[218:219], s[18:19], v[216:217], v[216:217], 1.0
	v_rcp_f64_e32 v[232:233], v[218:219]
	s_nop 0
	v_fma_f64 v[234:235], -v[218:219], v[232:233], 1.0
	v_fmac_f64_e32 v[232:233], v[232:233], v[234:235]
	v_fma_f64 v[234:235], -v[218:219], v[232:233], 1.0
	v_fmac_f64_e32 v[232:233], v[232:233], v[234:235]
	v_div_scale_f64 v[234:235], vcc, 1.0, v[216:217], 1.0
	v_mul_f64 v[236:237], v[234:235], v[232:233]
	v_fma_f64 v[218:219], -v[218:219], v[236:237], v[234:235]
	s_nop 1
	v_div_fmas_f64 v[218:219], v[218:219], v[232:233], v[236:237]
	v_div_fixup_f64 v[216:217], v[218:219], v[216:217], 1.0
	v_mul_f64 v[218:219], v[222:223], -v[216:217]
.LBB106_177:
	s_or_b64 exec, exec, s[16:17]
.LBB106_178:
	s_or_b64 exec, exec, s[0:1]
	v_cmp_ne_u32_e32 vcc, v229, v226
	s_and_saveexec_b64 s[0:1], vcc
	s_xor_b64 s[0:1], exec, s[0:1]
	s_cbranch_execz .LBB106_184
; %bb.179:
	v_cmp_eq_u32_e32 vcc, 8, v229
	s_and_saveexec_b64 s[16:17], vcc
	s_cbranch_execz .LBB106_183
; %bb.180:
	v_cmp_ne_u32_e32 vcc, 8, v226
	s_xor_b64 s[18:19], s[14:15], -1
	s_and_b64 s[22:23], s[18:19], vcc
	s_and_saveexec_b64 s[18:19], s[22:23]
	s_cbranch_execz .LBB106_182
; %bb.181:
	v_ashrrev_i32_e32 v227, 31, v226
	s_waitcnt vmcnt(0)
	v_lshl_add_u64 v[222:223], v[226:227], 2, v[224:225]
	global_load_dword v227, v[222:223], off
	global_load_dword v229, v[224:225], off offset:32
	s_waitcnt vmcnt(1)
	global_store_dword v[224:225], v227, off offset:32
	s_waitcnt vmcnt(1)
	global_store_dword v[222:223], v229, off
.LBB106_182:
	s_or_b64 exec, exec, s[18:19]
	v_mov_b32_e32 v229, v226
	v_mov_b32_e32 v220, v226
.LBB106_183:
	s_or_b64 exec, exec, s[16:17]
.LBB106_184:
	s_andn2_saveexec_b64 s[0:1], s[0:1]
	s_cbranch_execz .LBB106_186
; %bb.185:
	v_mov_b32_e32 v229, 8
	s_waitcnt vmcnt(45)
	ds_write2_b64 v228, v[180:181], v[182:183] offset0:18 offset1:19
	s_waitcnt vmcnt(44)
	ds_write2_b64 v228, v[176:177], v[178:179] offset0:20 offset1:21
	;; [unrolled: 2-line block ×45, first 2 shown]
.LBB106_186:
	s_or_b64 exec, exec, s[0:1]
	v_cmp_lt_i32_e32 vcc, 8, v229
	s_waitcnt lgkmcnt(0)
	s_barrier
	s_and_saveexec_b64 s[0:1], vcc
	s_cbranch_execz .LBB106_188
; %bb.187:
	ds_read2_b64 v[232:235], v228 offset0:18 offset1:19
	v_mul_f64 v[222:223], v[218:219], v[186:187]
	v_mul_f64 v[186:187], v[216:217], v[186:187]
	v_fma_f64 v[226:227], v[216:217], v[184:185], -v[222:223]
	v_fmac_f64_e32 v[186:187], v[218:219], v[184:185]
	ds_read2_b64 v[216:219], v228 offset0:20 offset1:21
	s_waitcnt lgkmcnt(1)
	v_mul_f64 v[184:185], v[234:235], v[186:187]
	v_fma_f64 v[184:185], v[232:233], v[226:227], -v[184:185]
	v_mul_f64 v[222:223], v[232:233], v[186:187]
	s_waitcnt vmcnt(45)
	v_add_f64 v[180:181], v[180:181], -v[184:185]
	s_waitcnt lgkmcnt(0)
	v_mul_f64 v[184:185], v[218:219], v[186:187]
	v_fmac_f64_e32 v[222:223], v[234:235], v[226:227]
	v_fma_f64 v[184:185], v[216:217], v[226:227], -v[184:185]
	v_mul_f64 v[216:217], v[216:217], v[186:187]
	ds_read2_b64 v[232:235], v228 offset0:22 offset1:23
	v_fmac_f64_e32 v[216:217], v[218:219], v[226:227]
	s_waitcnt vmcnt(44)
	v_add_f64 v[178:179], v[178:179], -v[216:217]
	ds_read2_b64 v[216:219], v228 offset0:24 offset1:25
	v_add_f64 v[176:177], v[176:177], -v[184:185]
	s_waitcnt lgkmcnt(1)
	v_mul_f64 v[184:185], v[234:235], v[186:187]
	v_fma_f64 v[184:185], v[232:233], v[226:227], -v[184:185]
	v_add_f64 v[182:183], v[182:183], -v[222:223]
	v_mul_f64 v[222:223], v[232:233], v[186:187]
	s_waitcnt vmcnt(43)
	v_add_f64 v[172:173], v[172:173], -v[184:185]
	s_waitcnt lgkmcnt(0)
	v_mul_f64 v[184:185], v[218:219], v[186:187]
	v_fmac_f64_e32 v[222:223], v[234:235], v[226:227]
	v_fma_f64 v[184:185], v[216:217], v[226:227], -v[184:185]
	v_mul_f64 v[216:217], v[216:217], v[186:187]
	ds_read2_b64 v[232:235], v228 offset0:26 offset1:27
	v_fmac_f64_e32 v[216:217], v[218:219], v[226:227]
	s_waitcnt vmcnt(42)
	v_add_f64 v[170:171], v[170:171], -v[216:217]
	ds_read2_b64 v[216:219], v228 offset0:28 offset1:29
	v_add_f64 v[168:169], v[168:169], -v[184:185]
	s_waitcnt lgkmcnt(1)
	v_mul_f64 v[184:185], v[234:235], v[186:187]
	v_fma_f64 v[184:185], v[232:233], v[226:227], -v[184:185]
	v_add_f64 v[174:175], v[174:175], -v[222:223]
	;; [unrolled: 18-line block ×19, first 2 shown]
	v_mul_f64 v[222:223], v[232:233], v[186:187]
	s_waitcnt vmcnt(7)
	v_add_f64 v[20:21], v[20:21], -v[184:185]
	s_waitcnt lgkmcnt(0)
	v_mul_f64 v[184:185], v[218:219], v[186:187]
	v_fmac_f64_e32 v[222:223], v[234:235], v[226:227]
	v_fma_f64 v[184:185], v[216:217], v[226:227], -v[184:185]
	v_mul_f64 v[216:217], v[216:217], v[186:187]
	ds_read2_b64 v[232:235], v228 offset0:98 offset1:99
	v_fmac_f64_e32 v[216:217], v[218:219], v[226:227]
	s_waitcnt vmcnt(6)
	v_add_f64 v[18:19], v[18:19], -v[216:217]
	ds_read2_b64 v[216:219], v228 offset0:100 offset1:101
	v_add_f64 v[16:17], v[16:17], -v[184:185]
	s_waitcnt lgkmcnt(1)
	v_mul_f64 v[184:185], v[234:235], v[186:187]
	v_add_f64 v[22:23], v[22:23], -v[222:223]
	v_fma_f64 v[184:185], v[232:233], v[226:227], -v[184:185]
	v_mul_f64 v[222:223], v[232:233], v[186:187]
	v_fmac_f64_e32 v[222:223], v[234:235], v[226:227]
	s_waitcnt vmcnt(5)
	v_add_f64 v[12:13], v[12:13], -v[184:185]
	s_waitcnt lgkmcnt(0)
	v_mul_f64 v[184:185], v[218:219], v[186:187]
	ds_read2_b64 v[232:235], v228 offset0:102 offset1:103
	v_fma_f64 v[184:185], v[216:217], v[226:227], -v[184:185]
	v_mul_f64 v[216:217], v[216:217], v[186:187]
	v_fmac_f64_e32 v[216:217], v[218:219], v[226:227]
	s_waitcnt vmcnt(4)
	v_add_f64 v[10:11], v[10:11], -v[216:217]
	ds_read2_b64 v[216:219], v228 offset0:104 offset1:105
	v_add_f64 v[14:15], v[14:15], -v[222:223]
	v_add_f64 v[8:9], v[8:9], -v[184:185]
	s_waitcnt lgkmcnt(1)
	v_mul_f64 v[184:185], v[234:235], v[186:187]
	v_mul_f64 v[222:223], v[232:233], v[186:187]
	v_fma_f64 v[184:185], v[232:233], v[226:227], -v[184:185]
	v_fmac_f64_e32 v[222:223], v[234:235], v[226:227]
	ds_read2_b64 v[232:235], v228 offset0:106 offset1:107
	s_waitcnt vmcnt(3)
	v_add_f64 v[4:5], v[4:5], -v[184:185]
	s_waitcnt lgkmcnt(1)
	v_mul_f64 v[184:185], v[218:219], v[186:187]
	v_fma_f64 v[184:185], v[216:217], v[226:227], -v[184:185]
	v_mul_f64 v[216:217], v[216:217], v[186:187]
	v_fmac_f64_e32 v[216:217], v[218:219], v[226:227]
	s_waitcnt vmcnt(2)
	v_add_f64 v[0:1], v[0:1], -v[184:185]
	v_add_f64 v[2:3], v[2:3], -v[216:217]
	s_waitcnt lgkmcnt(0)
	v_mul_f64 v[184:185], v[234:235], v[186:187]
	v_mul_f64 v[216:217], v[232:233], v[186:187]
	v_fma_f64 v[184:185], v[232:233], v[226:227], -v[184:185]
	v_fmac_f64_e32 v[216:217], v[234:235], v[226:227]
	v_add_f64 v[6:7], v[6:7], -v[222:223]
	s_waitcnt vmcnt(1)
	v_add_f64 v[212:213], v[212:213], -v[184:185]
	v_add_f64 v[214:215], v[214:215], -v[216:217]
	v_mov_b64_e32 v[184:185], v[226:227]
.LBB106_188:
	s_or_b64 exec, exec, s[0:1]
	v_lshl_add_u32 v216, v229, 4, v228
	s_barrier
	s_waitcnt vmcnt(45)
	ds_write2_b64 v216, v[180:181], v[182:183] offset1:1
	s_waitcnt lgkmcnt(0)
	s_barrier
	ds_read2_b64 v[216:219], v228 offset0:18 offset1:19
	s_cmp_lt_i32 s20, 11
	v_mov_b32_e32 v226, 9
	s_cbranch_scc1 .LBB106_191
; %bb.189:
	v_add_u32_e32 v227, 0xa0, v228
	s_mov_b32 s16, 10
	v_mov_b32_e32 v226, 9
.LBB106_190:                            ; =>This Inner Loop Header: Depth=1
	ds_read2_b64 v[232:235], v227 offset1:1
	s_waitcnt lgkmcnt(1)
	v_xor_b32_e32 v223, 0x80000000, v217
	v_xor_b32_e32 v231, 0x80000000, v219
	v_cmp_gt_f64_e32 vcc, 0, v[218:219]
	v_cmp_gt_f64_e64 s[0:1], 0, v[216:217]
	v_mov_b32_e32 v222, v216
	v_mov_b32_e32 v236, v218
	v_cndmask_b32_e64 v223, v217, v223, s[0:1]
	v_cndmask_b32_e32 v237, v219, v231, vcc
	s_waitcnt lgkmcnt(0)
	v_xor_b32_e32 v231, 0x80000000, v233
	v_xor_b32_e32 v239, 0x80000000, v235
	v_cmp_gt_f64_e32 vcc, 0, v[234:235]
	v_cmp_gt_f64_e64 s[0:1], 0, v[232:233]
	v_add_f64 v[222:223], v[222:223], v[236:237]
	v_mov_b32_e32 v236, v232
	v_mov_b32_e32 v238, v234
	v_cndmask_b32_e64 v237, v233, v231, s[0:1]
	v_cndmask_b32_e32 v239, v235, v239, vcc
	v_add_f64 v[236:237], v[236:237], v[238:239]
	v_mov_b32_e32 v240, s16
	s_add_i32 s16, s16, 1
	v_cmp_lt_f64_e32 vcc, v[222:223], v[236:237]
	v_add_u32_e32 v227, 16, v227
	s_cmp_lg_u32 s20, s16
	v_cndmask_b32_e32 v217, v217, v233, vcc
	v_cndmask_b32_e32 v216, v216, v232, vcc
	;; [unrolled: 1-line block ×5, first 2 shown]
	s_cbranch_scc1 .LBB106_190
.LBB106_191:
	s_waitcnt lgkmcnt(0)
	v_cmp_eq_f64_e32 vcc, 0, v[216:217]
	v_cmp_eq_f64_e64 s[0:1], 0, v[218:219]
	s_and_b64 s[0:1], vcc, s[0:1]
	s_and_saveexec_b64 s[16:17], s[0:1]
	s_xor_b64 s[0:1], exec, s[16:17]
; %bb.192:
	v_cmp_ne_u32_e32 vcc, 0, v230
	s_nop 1
	v_cndmask_b32_e32 v230, 10, v230, vcc
; %bb.193:
	s_andn2_saveexec_b64 s[0:1], s[0:1]
	s_cbranch_execz .LBB106_199
; %bb.194:
	v_cmp_ngt_f64_e64 s[16:17], |v[216:217]|, |v[218:219]|
	s_and_saveexec_b64 s[18:19], s[16:17]
	s_xor_b64 s[16:17], exec, s[18:19]
	s_cbranch_execz .LBB106_196
; %bb.195:
	v_div_scale_f64 v[222:223], s[18:19], v[218:219], v[218:219], v[216:217]
	v_rcp_f64_e32 v[232:233], v[222:223]
	v_div_scale_f64 v[234:235], vcc, v[216:217], v[218:219], v[216:217]
	v_fma_f64 v[236:237], -v[222:223], v[232:233], 1.0
	v_fmac_f64_e32 v[232:233], v[232:233], v[236:237]
	v_fma_f64 v[236:237], -v[222:223], v[232:233], 1.0
	v_fmac_f64_e32 v[232:233], v[232:233], v[236:237]
	v_mul_f64 v[236:237], v[234:235], v[232:233]
	v_fma_f64 v[222:223], -v[222:223], v[236:237], v[234:235]
	v_div_fmas_f64 v[222:223], v[222:223], v[232:233], v[236:237]
	v_div_fixup_f64 v[222:223], v[222:223], v[218:219], v[216:217]
	v_fmac_f64_e32 v[218:219], v[216:217], v[222:223]
	v_div_scale_f64 v[216:217], s[18:19], v[218:219], v[218:219], 1.0
	v_rcp_f64_e32 v[232:233], v[216:217]
	s_nop 0
	v_fma_f64 v[234:235], -v[216:217], v[232:233], 1.0
	v_fmac_f64_e32 v[232:233], v[232:233], v[234:235]
	v_fma_f64 v[234:235], -v[216:217], v[232:233], 1.0
	v_fmac_f64_e32 v[232:233], v[232:233], v[234:235]
	v_div_scale_f64 v[234:235], vcc, 1.0, v[218:219], 1.0
	v_mul_f64 v[236:237], v[234:235], v[232:233]
	v_fma_f64 v[216:217], -v[216:217], v[236:237], v[234:235]
	s_nop 1
	v_div_fmas_f64 v[216:217], v[216:217], v[232:233], v[236:237]
	v_div_fixup_f64 v[218:219], v[216:217], v[218:219], 1.0
	v_mul_f64 v[216:217], v[222:223], v[218:219]
	v_xor_b32_e32 v219, 0x80000000, v219
.LBB106_196:
	s_andn2_saveexec_b64 s[16:17], s[16:17]
	s_cbranch_execz .LBB106_198
; %bb.197:
	v_div_scale_f64 v[222:223], s[18:19], v[216:217], v[216:217], v[218:219]
	v_rcp_f64_e32 v[232:233], v[222:223]
	v_div_scale_f64 v[234:235], vcc, v[218:219], v[216:217], v[218:219]
	v_fma_f64 v[236:237], -v[222:223], v[232:233], 1.0
	v_fmac_f64_e32 v[232:233], v[232:233], v[236:237]
	v_fma_f64 v[236:237], -v[222:223], v[232:233], 1.0
	v_fmac_f64_e32 v[232:233], v[232:233], v[236:237]
	v_mul_f64 v[236:237], v[234:235], v[232:233]
	v_fma_f64 v[222:223], -v[222:223], v[236:237], v[234:235]
	v_div_fmas_f64 v[222:223], v[222:223], v[232:233], v[236:237]
	v_div_fixup_f64 v[222:223], v[222:223], v[216:217], v[218:219]
	v_fmac_f64_e32 v[216:217], v[218:219], v[222:223]
	v_div_scale_f64 v[218:219], s[18:19], v[216:217], v[216:217], 1.0
	v_rcp_f64_e32 v[232:233], v[218:219]
	s_nop 0
	v_fma_f64 v[234:235], -v[218:219], v[232:233], 1.0
	v_fmac_f64_e32 v[232:233], v[232:233], v[234:235]
	v_fma_f64 v[234:235], -v[218:219], v[232:233], 1.0
	v_fmac_f64_e32 v[232:233], v[232:233], v[234:235]
	v_div_scale_f64 v[234:235], vcc, 1.0, v[216:217], 1.0
	v_mul_f64 v[236:237], v[234:235], v[232:233]
	v_fma_f64 v[218:219], -v[218:219], v[236:237], v[234:235]
	s_nop 1
	v_div_fmas_f64 v[218:219], v[218:219], v[232:233], v[236:237]
	v_div_fixup_f64 v[216:217], v[218:219], v[216:217], 1.0
	v_mul_f64 v[218:219], v[222:223], -v[216:217]
.LBB106_198:
	s_or_b64 exec, exec, s[16:17]
.LBB106_199:
	s_or_b64 exec, exec, s[0:1]
	v_cmp_ne_u32_e32 vcc, v229, v226
	s_and_saveexec_b64 s[0:1], vcc
	s_xor_b64 s[0:1], exec, s[0:1]
	s_cbranch_execz .LBB106_205
; %bb.200:
	v_cmp_eq_u32_e32 vcc, 9, v229
	s_and_saveexec_b64 s[16:17], vcc
	s_cbranch_execz .LBB106_204
; %bb.201:
	v_cmp_ne_u32_e32 vcc, 9, v226
	s_xor_b64 s[18:19], s[14:15], -1
	s_and_b64 s[22:23], s[18:19], vcc
	s_and_saveexec_b64 s[18:19], s[22:23]
	s_cbranch_execz .LBB106_203
; %bb.202:
	v_ashrrev_i32_e32 v227, 31, v226
	s_waitcnt vmcnt(0)
	v_lshl_add_u64 v[222:223], v[226:227], 2, v[224:225]
	global_load_dword v227, v[222:223], off
	global_load_dword v229, v[224:225], off offset:36
	s_waitcnt vmcnt(1)
	global_store_dword v[224:225], v227, off offset:36
	s_waitcnt vmcnt(1)
	global_store_dword v[222:223], v229, off
.LBB106_203:
	s_or_b64 exec, exec, s[18:19]
	v_mov_b32_e32 v229, v226
	v_mov_b32_e32 v220, v226
.LBB106_204:
	s_or_b64 exec, exec, s[16:17]
.LBB106_205:
	s_andn2_saveexec_b64 s[0:1], s[0:1]
	s_cbranch_execz .LBB106_207
; %bb.206:
	v_mov_b32_e32 v229, 9
	s_waitcnt vmcnt(44)
	ds_write2_b64 v228, v[176:177], v[178:179] offset0:20 offset1:21
	s_waitcnt vmcnt(43)
	ds_write2_b64 v228, v[172:173], v[174:175] offset0:22 offset1:23
	;; [unrolled: 2-line block ×44, first 2 shown]
.LBB106_207:
	s_or_b64 exec, exec, s[0:1]
	v_cmp_lt_i32_e32 vcc, 9, v229
	s_waitcnt lgkmcnt(0)
	s_barrier
	s_and_saveexec_b64 s[0:1], vcc
	s_cbranch_execz .LBB106_209
; %bb.208:
	ds_read2_b64 v[232:235], v228 offset0:20 offset1:21
	v_mul_f64 v[222:223], v[218:219], v[182:183]
	v_mul_f64 v[182:183], v[216:217], v[182:183]
	v_fma_f64 v[226:227], v[216:217], v[180:181], -v[222:223]
	v_fmac_f64_e32 v[182:183], v[218:219], v[180:181]
	ds_read2_b64 v[216:219], v228 offset0:22 offset1:23
	s_waitcnt lgkmcnt(1)
	v_mul_f64 v[180:181], v[234:235], v[182:183]
	v_fma_f64 v[180:181], v[232:233], v[226:227], -v[180:181]
	v_mul_f64 v[222:223], v[232:233], v[182:183]
	s_waitcnt vmcnt(44)
	v_add_f64 v[176:177], v[176:177], -v[180:181]
	s_waitcnt lgkmcnt(0)
	v_mul_f64 v[180:181], v[218:219], v[182:183]
	v_fmac_f64_e32 v[222:223], v[234:235], v[226:227]
	v_fma_f64 v[180:181], v[216:217], v[226:227], -v[180:181]
	v_mul_f64 v[216:217], v[216:217], v[182:183]
	ds_read2_b64 v[232:235], v228 offset0:24 offset1:25
	v_fmac_f64_e32 v[216:217], v[218:219], v[226:227]
	s_waitcnt vmcnt(43)
	v_add_f64 v[174:175], v[174:175], -v[216:217]
	ds_read2_b64 v[216:219], v228 offset0:26 offset1:27
	v_add_f64 v[172:173], v[172:173], -v[180:181]
	s_waitcnt lgkmcnt(1)
	v_mul_f64 v[180:181], v[234:235], v[182:183]
	v_fma_f64 v[180:181], v[232:233], v[226:227], -v[180:181]
	v_add_f64 v[178:179], v[178:179], -v[222:223]
	v_mul_f64 v[222:223], v[232:233], v[182:183]
	s_waitcnt vmcnt(42)
	v_add_f64 v[168:169], v[168:169], -v[180:181]
	s_waitcnt lgkmcnt(0)
	v_mul_f64 v[180:181], v[218:219], v[182:183]
	v_fmac_f64_e32 v[222:223], v[234:235], v[226:227]
	v_fma_f64 v[180:181], v[216:217], v[226:227], -v[180:181]
	v_mul_f64 v[216:217], v[216:217], v[182:183]
	ds_read2_b64 v[232:235], v228 offset0:28 offset1:29
	v_fmac_f64_e32 v[216:217], v[218:219], v[226:227]
	s_waitcnt vmcnt(41)
	v_add_f64 v[166:167], v[166:167], -v[216:217]
	ds_read2_b64 v[216:219], v228 offset0:30 offset1:31
	v_add_f64 v[164:165], v[164:165], -v[180:181]
	s_waitcnt lgkmcnt(1)
	v_mul_f64 v[180:181], v[234:235], v[182:183]
	v_fma_f64 v[180:181], v[232:233], v[226:227], -v[180:181]
	v_add_f64 v[170:171], v[170:171], -v[222:223]
	;; [unrolled: 18-line block ×20, first 2 shown]
	v_mul_f64 v[222:223], v[232:233], v[182:183]
	s_waitcnt vmcnt(4)
	v_add_f64 v[8:9], v[8:9], -v[180:181]
	s_waitcnt lgkmcnt(0)
	v_mul_f64 v[180:181], v[218:219], v[182:183]
	v_fmac_f64_e32 v[222:223], v[234:235], v[226:227]
	v_fma_f64 v[180:181], v[216:217], v[226:227], -v[180:181]
	v_mul_f64 v[216:217], v[216:217], v[182:183]
	ds_read2_b64 v[232:235], v228 offset0:104 offset1:105
	v_fmac_f64_e32 v[216:217], v[218:219], v[226:227]
	s_waitcnt vmcnt(3)
	v_add_f64 v[6:7], v[6:7], -v[216:217]
	ds_read2_b64 v[216:219], v228 offset0:106 offset1:107
	v_add_f64 v[4:5], v[4:5], -v[180:181]
	s_waitcnt lgkmcnt(1)
	v_mul_f64 v[180:181], v[234:235], v[182:183]
	v_fma_f64 v[180:181], v[232:233], v[226:227], -v[180:181]
	s_waitcnt vmcnt(2)
	v_add_f64 v[0:1], v[0:1], -v[180:181]
	s_waitcnt lgkmcnt(0)
	v_mul_f64 v[180:181], v[218:219], v[182:183]
	v_add_f64 v[10:11], v[10:11], -v[222:223]
	v_mul_f64 v[222:223], v[232:233], v[182:183]
	v_fma_f64 v[180:181], v[216:217], v[226:227], -v[180:181]
	v_mul_f64 v[216:217], v[216:217], v[182:183]
	v_fmac_f64_e32 v[222:223], v[234:235], v[226:227]
	v_fmac_f64_e32 v[216:217], v[218:219], v[226:227]
	v_add_f64 v[2:3], v[2:3], -v[222:223]
	s_waitcnt vmcnt(1)
	v_add_f64 v[212:213], v[212:213], -v[180:181]
	v_add_f64 v[214:215], v[214:215], -v[216:217]
	v_mov_b64_e32 v[180:181], v[226:227]
.LBB106_209:
	s_or_b64 exec, exec, s[0:1]
	v_lshl_add_u32 v216, v229, 4, v228
	s_barrier
	s_waitcnt vmcnt(44)
	ds_write2_b64 v216, v[176:177], v[178:179] offset1:1
	s_waitcnt lgkmcnt(0)
	s_barrier
	ds_read2_b64 v[216:219], v228 offset0:20 offset1:21
	s_cmp_lt_i32 s20, 12
	v_mov_b32_e32 v226, 10
	s_cbranch_scc1 .LBB106_212
; %bb.210:
	v_add_u32_e32 v227, 0xb0, v228
	s_mov_b32 s16, 11
	v_mov_b32_e32 v226, 10
.LBB106_211:                            ; =>This Inner Loop Header: Depth=1
	ds_read2_b64 v[232:235], v227 offset1:1
	s_waitcnt lgkmcnt(1)
	v_xor_b32_e32 v223, 0x80000000, v217
	v_xor_b32_e32 v231, 0x80000000, v219
	v_cmp_gt_f64_e32 vcc, 0, v[218:219]
	v_cmp_gt_f64_e64 s[0:1], 0, v[216:217]
	v_mov_b32_e32 v222, v216
	v_mov_b32_e32 v236, v218
	v_cndmask_b32_e64 v223, v217, v223, s[0:1]
	v_cndmask_b32_e32 v237, v219, v231, vcc
	s_waitcnt lgkmcnt(0)
	v_xor_b32_e32 v231, 0x80000000, v233
	v_xor_b32_e32 v239, 0x80000000, v235
	v_cmp_gt_f64_e32 vcc, 0, v[234:235]
	v_cmp_gt_f64_e64 s[0:1], 0, v[232:233]
	v_add_f64 v[222:223], v[222:223], v[236:237]
	v_mov_b32_e32 v236, v232
	v_mov_b32_e32 v238, v234
	v_cndmask_b32_e64 v237, v233, v231, s[0:1]
	v_cndmask_b32_e32 v239, v235, v239, vcc
	v_add_f64 v[236:237], v[236:237], v[238:239]
	v_mov_b32_e32 v240, s16
	s_add_i32 s16, s16, 1
	v_cmp_lt_f64_e32 vcc, v[222:223], v[236:237]
	v_add_u32_e32 v227, 16, v227
	s_cmp_lg_u32 s20, s16
	v_cndmask_b32_e32 v217, v217, v233, vcc
	v_cndmask_b32_e32 v216, v216, v232, vcc
	v_cndmask_b32_e32 v219, v219, v235, vcc
	v_cndmask_b32_e32 v218, v218, v234, vcc
	v_cndmask_b32_e32 v226, v226, v240, vcc
	s_cbranch_scc1 .LBB106_211
.LBB106_212:
	s_waitcnt lgkmcnt(0)
	v_cmp_eq_f64_e32 vcc, 0, v[216:217]
	v_cmp_eq_f64_e64 s[0:1], 0, v[218:219]
	s_and_b64 s[0:1], vcc, s[0:1]
	s_and_saveexec_b64 s[16:17], s[0:1]
	s_xor_b64 s[0:1], exec, s[16:17]
; %bb.213:
	v_cmp_ne_u32_e32 vcc, 0, v230
	s_nop 1
	v_cndmask_b32_e32 v230, 11, v230, vcc
; %bb.214:
	s_andn2_saveexec_b64 s[0:1], s[0:1]
	s_cbranch_execz .LBB106_220
; %bb.215:
	v_cmp_ngt_f64_e64 s[16:17], |v[216:217]|, |v[218:219]|
	s_and_saveexec_b64 s[18:19], s[16:17]
	s_xor_b64 s[16:17], exec, s[18:19]
	s_cbranch_execz .LBB106_217
; %bb.216:
	v_div_scale_f64 v[222:223], s[18:19], v[218:219], v[218:219], v[216:217]
	v_rcp_f64_e32 v[232:233], v[222:223]
	v_div_scale_f64 v[234:235], vcc, v[216:217], v[218:219], v[216:217]
	v_fma_f64 v[236:237], -v[222:223], v[232:233], 1.0
	v_fmac_f64_e32 v[232:233], v[232:233], v[236:237]
	v_fma_f64 v[236:237], -v[222:223], v[232:233], 1.0
	v_fmac_f64_e32 v[232:233], v[232:233], v[236:237]
	v_mul_f64 v[236:237], v[234:235], v[232:233]
	v_fma_f64 v[222:223], -v[222:223], v[236:237], v[234:235]
	v_div_fmas_f64 v[222:223], v[222:223], v[232:233], v[236:237]
	v_div_fixup_f64 v[222:223], v[222:223], v[218:219], v[216:217]
	v_fmac_f64_e32 v[218:219], v[216:217], v[222:223]
	v_div_scale_f64 v[216:217], s[18:19], v[218:219], v[218:219], 1.0
	v_rcp_f64_e32 v[232:233], v[216:217]
	s_nop 0
	v_fma_f64 v[234:235], -v[216:217], v[232:233], 1.0
	v_fmac_f64_e32 v[232:233], v[232:233], v[234:235]
	v_fma_f64 v[234:235], -v[216:217], v[232:233], 1.0
	v_fmac_f64_e32 v[232:233], v[232:233], v[234:235]
	v_div_scale_f64 v[234:235], vcc, 1.0, v[218:219], 1.0
	v_mul_f64 v[236:237], v[234:235], v[232:233]
	v_fma_f64 v[216:217], -v[216:217], v[236:237], v[234:235]
	s_nop 1
	v_div_fmas_f64 v[216:217], v[216:217], v[232:233], v[236:237]
	v_div_fixup_f64 v[218:219], v[216:217], v[218:219], 1.0
	v_mul_f64 v[216:217], v[222:223], v[218:219]
	v_xor_b32_e32 v219, 0x80000000, v219
.LBB106_217:
	s_andn2_saveexec_b64 s[16:17], s[16:17]
	s_cbranch_execz .LBB106_219
; %bb.218:
	v_div_scale_f64 v[222:223], s[18:19], v[216:217], v[216:217], v[218:219]
	v_rcp_f64_e32 v[232:233], v[222:223]
	v_div_scale_f64 v[234:235], vcc, v[218:219], v[216:217], v[218:219]
	v_fma_f64 v[236:237], -v[222:223], v[232:233], 1.0
	v_fmac_f64_e32 v[232:233], v[232:233], v[236:237]
	v_fma_f64 v[236:237], -v[222:223], v[232:233], 1.0
	v_fmac_f64_e32 v[232:233], v[232:233], v[236:237]
	v_mul_f64 v[236:237], v[234:235], v[232:233]
	v_fma_f64 v[222:223], -v[222:223], v[236:237], v[234:235]
	v_div_fmas_f64 v[222:223], v[222:223], v[232:233], v[236:237]
	v_div_fixup_f64 v[222:223], v[222:223], v[216:217], v[218:219]
	v_fmac_f64_e32 v[216:217], v[218:219], v[222:223]
	v_div_scale_f64 v[218:219], s[18:19], v[216:217], v[216:217], 1.0
	v_rcp_f64_e32 v[232:233], v[218:219]
	s_nop 0
	v_fma_f64 v[234:235], -v[218:219], v[232:233], 1.0
	v_fmac_f64_e32 v[232:233], v[232:233], v[234:235]
	v_fma_f64 v[234:235], -v[218:219], v[232:233], 1.0
	v_fmac_f64_e32 v[232:233], v[232:233], v[234:235]
	v_div_scale_f64 v[234:235], vcc, 1.0, v[216:217], 1.0
	v_mul_f64 v[236:237], v[234:235], v[232:233]
	v_fma_f64 v[218:219], -v[218:219], v[236:237], v[234:235]
	s_nop 1
	v_div_fmas_f64 v[218:219], v[218:219], v[232:233], v[236:237]
	v_div_fixup_f64 v[216:217], v[218:219], v[216:217], 1.0
	v_mul_f64 v[218:219], v[222:223], -v[216:217]
.LBB106_219:
	s_or_b64 exec, exec, s[16:17]
.LBB106_220:
	s_or_b64 exec, exec, s[0:1]
	v_cmp_ne_u32_e32 vcc, v229, v226
	s_and_saveexec_b64 s[0:1], vcc
	s_xor_b64 s[0:1], exec, s[0:1]
	s_cbranch_execz .LBB106_226
; %bb.221:
	v_cmp_eq_u32_e32 vcc, 10, v229
	s_and_saveexec_b64 s[16:17], vcc
	s_cbranch_execz .LBB106_225
; %bb.222:
	v_cmp_ne_u32_e32 vcc, 10, v226
	s_xor_b64 s[18:19], s[14:15], -1
	s_and_b64 s[22:23], s[18:19], vcc
	s_and_saveexec_b64 s[18:19], s[22:23]
	s_cbranch_execz .LBB106_224
; %bb.223:
	v_ashrrev_i32_e32 v227, 31, v226
	s_waitcnt vmcnt(0)
	v_lshl_add_u64 v[222:223], v[226:227], 2, v[224:225]
	global_load_dword v227, v[222:223], off
	global_load_dword v229, v[224:225], off offset:40
	s_waitcnt vmcnt(1)
	global_store_dword v[224:225], v227, off offset:40
	s_waitcnt vmcnt(1)
	global_store_dword v[222:223], v229, off
.LBB106_224:
	s_or_b64 exec, exec, s[18:19]
	v_mov_b32_e32 v229, v226
	v_mov_b32_e32 v220, v226
.LBB106_225:
	s_or_b64 exec, exec, s[16:17]
.LBB106_226:
	s_andn2_saveexec_b64 s[0:1], s[0:1]
	s_cbranch_execz .LBB106_228
; %bb.227:
	v_mov_b32_e32 v229, 10
	s_waitcnt vmcnt(43)
	ds_write2_b64 v228, v[172:173], v[174:175] offset0:22 offset1:23
	s_waitcnt vmcnt(42)
	ds_write2_b64 v228, v[168:169], v[170:171] offset0:24 offset1:25
	;; [unrolled: 2-line block ×43, first 2 shown]
.LBB106_228:
	s_or_b64 exec, exec, s[0:1]
	v_cmp_lt_i32_e32 vcc, 10, v229
	s_waitcnt lgkmcnt(0)
	s_barrier
	s_and_saveexec_b64 s[0:1], vcc
	s_cbranch_execz .LBB106_230
; %bb.229:
	ds_read2_b64 v[232:235], v228 offset0:22 offset1:23
	v_mul_f64 v[222:223], v[218:219], v[178:179]
	v_mul_f64 v[178:179], v[216:217], v[178:179]
	v_fma_f64 v[226:227], v[216:217], v[176:177], -v[222:223]
	v_fmac_f64_e32 v[178:179], v[218:219], v[176:177]
	ds_read2_b64 v[216:219], v228 offset0:24 offset1:25
	s_waitcnt lgkmcnt(1)
	v_mul_f64 v[176:177], v[234:235], v[178:179]
	v_fma_f64 v[176:177], v[232:233], v[226:227], -v[176:177]
	v_mul_f64 v[222:223], v[232:233], v[178:179]
	s_waitcnt vmcnt(43)
	v_add_f64 v[172:173], v[172:173], -v[176:177]
	s_waitcnt lgkmcnt(0)
	v_mul_f64 v[176:177], v[218:219], v[178:179]
	v_fmac_f64_e32 v[222:223], v[234:235], v[226:227]
	v_fma_f64 v[176:177], v[216:217], v[226:227], -v[176:177]
	v_mul_f64 v[216:217], v[216:217], v[178:179]
	ds_read2_b64 v[232:235], v228 offset0:26 offset1:27
	v_fmac_f64_e32 v[216:217], v[218:219], v[226:227]
	s_waitcnt vmcnt(42)
	v_add_f64 v[170:171], v[170:171], -v[216:217]
	ds_read2_b64 v[216:219], v228 offset0:28 offset1:29
	v_add_f64 v[168:169], v[168:169], -v[176:177]
	s_waitcnt lgkmcnt(1)
	v_mul_f64 v[176:177], v[234:235], v[178:179]
	v_fma_f64 v[176:177], v[232:233], v[226:227], -v[176:177]
	v_add_f64 v[174:175], v[174:175], -v[222:223]
	v_mul_f64 v[222:223], v[232:233], v[178:179]
	s_waitcnt vmcnt(41)
	v_add_f64 v[164:165], v[164:165], -v[176:177]
	s_waitcnt lgkmcnt(0)
	v_mul_f64 v[176:177], v[218:219], v[178:179]
	v_fmac_f64_e32 v[222:223], v[234:235], v[226:227]
	v_fma_f64 v[176:177], v[216:217], v[226:227], -v[176:177]
	v_mul_f64 v[216:217], v[216:217], v[178:179]
	ds_read2_b64 v[232:235], v228 offset0:30 offset1:31
	v_fmac_f64_e32 v[216:217], v[218:219], v[226:227]
	s_waitcnt vmcnt(40)
	v_add_f64 v[162:163], v[162:163], -v[216:217]
	ds_read2_b64 v[216:219], v228 offset0:32 offset1:33
	v_add_f64 v[160:161], v[160:161], -v[176:177]
	s_waitcnt lgkmcnt(1)
	v_mul_f64 v[176:177], v[234:235], v[178:179]
	v_fma_f64 v[176:177], v[232:233], v[226:227], -v[176:177]
	v_add_f64 v[166:167], v[166:167], -v[222:223]
	;; [unrolled: 18-line block ×18, first 2 shown]
	v_mul_f64 v[222:223], v[232:233], v[178:179]
	s_waitcnt vmcnt(7)
	v_add_f64 v[20:21], v[20:21], -v[176:177]
	s_waitcnt lgkmcnt(0)
	v_mul_f64 v[176:177], v[218:219], v[178:179]
	v_fmac_f64_e32 v[222:223], v[234:235], v[226:227]
	v_fma_f64 v[176:177], v[216:217], v[226:227], -v[176:177]
	v_mul_f64 v[216:217], v[216:217], v[178:179]
	ds_read2_b64 v[232:235], v228 offset0:98 offset1:99
	v_fmac_f64_e32 v[216:217], v[218:219], v[226:227]
	s_waitcnt vmcnt(6)
	v_add_f64 v[18:19], v[18:19], -v[216:217]
	ds_read2_b64 v[216:219], v228 offset0:100 offset1:101
	v_add_f64 v[16:17], v[16:17], -v[176:177]
	s_waitcnt lgkmcnt(1)
	v_mul_f64 v[176:177], v[234:235], v[178:179]
	v_add_f64 v[22:23], v[22:23], -v[222:223]
	v_fma_f64 v[176:177], v[232:233], v[226:227], -v[176:177]
	v_mul_f64 v[222:223], v[232:233], v[178:179]
	v_fmac_f64_e32 v[222:223], v[234:235], v[226:227]
	s_waitcnt vmcnt(5)
	v_add_f64 v[12:13], v[12:13], -v[176:177]
	s_waitcnt lgkmcnt(0)
	v_mul_f64 v[176:177], v[218:219], v[178:179]
	ds_read2_b64 v[232:235], v228 offset0:102 offset1:103
	v_fma_f64 v[176:177], v[216:217], v[226:227], -v[176:177]
	v_mul_f64 v[216:217], v[216:217], v[178:179]
	v_fmac_f64_e32 v[216:217], v[218:219], v[226:227]
	s_waitcnt vmcnt(4)
	v_add_f64 v[10:11], v[10:11], -v[216:217]
	ds_read2_b64 v[216:219], v228 offset0:104 offset1:105
	v_add_f64 v[14:15], v[14:15], -v[222:223]
	v_add_f64 v[8:9], v[8:9], -v[176:177]
	s_waitcnt lgkmcnt(1)
	v_mul_f64 v[176:177], v[234:235], v[178:179]
	v_mul_f64 v[222:223], v[232:233], v[178:179]
	v_fma_f64 v[176:177], v[232:233], v[226:227], -v[176:177]
	v_fmac_f64_e32 v[222:223], v[234:235], v[226:227]
	ds_read2_b64 v[232:235], v228 offset0:106 offset1:107
	s_waitcnt vmcnt(3)
	v_add_f64 v[4:5], v[4:5], -v[176:177]
	s_waitcnt lgkmcnt(1)
	v_mul_f64 v[176:177], v[218:219], v[178:179]
	v_fma_f64 v[176:177], v[216:217], v[226:227], -v[176:177]
	v_mul_f64 v[216:217], v[216:217], v[178:179]
	v_fmac_f64_e32 v[216:217], v[218:219], v[226:227]
	s_waitcnt vmcnt(2)
	v_add_f64 v[0:1], v[0:1], -v[176:177]
	v_add_f64 v[2:3], v[2:3], -v[216:217]
	s_waitcnt lgkmcnt(0)
	v_mul_f64 v[176:177], v[234:235], v[178:179]
	v_mul_f64 v[216:217], v[232:233], v[178:179]
	v_fma_f64 v[176:177], v[232:233], v[226:227], -v[176:177]
	v_fmac_f64_e32 v[216:217], v[234:235], v[226:227]
	v_add_f64 v[6:7], v[6:7], -v[222:223]
	s_waitcnt vmcnt(1)
	v_add_f64 v[212:213], v[212:213], -v[176:177]
	v_add_f64 v[214:215], v[214:215], -v[216:217]
	v_mov_b64_e32 v[176:177], v[226:227]
.LBB106_230:
	s_or_b64 exec, exec, s[0:1]
	v_lshl_add_u32 v216, v229, 4, v228
	s_barrier
	s_waitcnt vmcnt(43)
	ds_write2_b64 v216, v[172:173], v[174:175] offset1:1
	s_waitcnt lgkmcnt(0)
	s_barrier
	ds_read2_b64 v[216:219], v228 offset0:22 offset1:23
	s_cmp_lt_i32 s20, 13
	v_mov_b32_e32 v226, 11
	s_cbranch_scc1 .LBB106_233
; %bb.231:
	v_add_u32_e32 v227, 0xc0, v228
	s_mov_b32 s16, 12
	v_mov_b32_e32 v226, 11
.LBB106_232:                            ; =>This Inner Loop Header: Depth=1
	ds_read2_b64 v[232:235], v227 offset1:1
	s_waitcnt lgkmcnt(1)
	v_xor_b32_e32 v223, 0x80000000, v217
	v_xor_b32_e32 v231, 0x80000000, v219
	v_cmp_gt_f64_e32 vcc, 0, v[218:219]
	v_cmp_gt_f64_e64 s[0:1], 0, v[216:217]
	v_mov_b32_e32 v222, v216
	v_mov_b32_e32 v236, v218
	v_cndmask_b32_e64 v223, v217, v223, s[0:1]
	v_cndmask_b32_e32 v237, v219, v231, vcc
	s_waitcnt lgkmcnt(0)
	v_xor_b32_e32 v231, 0x80000000, v233
	v_xor_b32_e32 v239, 0x80000000, v235
	v_cmp_gt_f64_e32 vcc, 0, v[234:235]
	v_cmp_gt_f64_e64 s[0:1], 0, v[232:233]
	v_add_f64 v[222:223], v[222:223], v[236:237]
	v_mov_b32_e32 v236, v232
	v_mov_b32_e32 v238, v234
	v_cndmask_b32_e64 v237, v233, v231, s[0:1]
	v_cndmask_b32_e32 v239, v235, v239, vcc
	v_add_f64 v[236:237], v[236:237], v[238:239]
	v_mov_b32_e32 v240, s16
	s_add_i32 s16, s16, 1
	v_cmp_lt_f64_e32 vcc, v[222:223], v[236:237]
	v_add_u32_e32 v227, 16, v227
	s_cmp_lg_u32 s20, s16
	v_cndmask_b32_e32 v217, v217, v233, vcc
	v_cndmask_b32_e32 v216, v216, v232, vcc
	;; [unrolled: 1-line block ×5, first 2 shown]
	s_cbranch_scc1 .LBB106_232
.LBB106_233:
	s_waitcnt lgkmcnt(0)
	v_cmp_eq_f64_e32 vcc, 0, v[216:217]
	v_cmp_eq_f64_e64 s[0:1], 0, v[218:219]
	s_and_b64 s[0:1], vcc, s[0:1]
	s_and_saveexec_b64 s[16:17], s[0:1]
	s_xor_b64 s[0:1], exec, s[16:17]
; %bb.234:
	v_cmp_ne_u32_e32 vcc, 0, v230
	s_nop 1
	v_cndmask_b32_e32 v230, 12, v230, vcc
; %bb.235:
	s_andn2_saveexec_b64 s[0:1], s[0:1]
	s_cbranch_execz .LBB106_241
; %bb.236:
	v_cmp_ngt_f64_e64 s[16:17], |v[216:217]|, |v[218:219]|
	s_and_saveexec_b64 s[18:19], s[16:17]
	s_xor_b64 s[16:17], exec, s[18:19]
	s_cbranch_execz .LBB106_238
; %bb.237:
	v_div_scale_f64 v[222:223], s[18:19], v[218:219], v[218:219], v[216:217]
	v_rcp_f64_e32 v[232:233], v[222:223]
	v_div_scale_f64 v[234:235], vcc, v[216:217], v[218:219], v[216:217]
	v_fma_f64 v[236:237], -v[222:223], v[232:233], 1.0
	v_fmac_f64_e32 v[232:233], v[232:233], v[236:237]
	v_fma_f64 v[236:237], -v[222:223], v[232:233], 1.0
	v_fmac_f64_e32 v[232:233], v[232:233], v[236:237]
	v_mul_f64 v[236:237], v[234:235], v[232:233]
	v_fma_f64 v[222:223], -v[222:223], v[236:237], v[234:235]
	v_div_fmas_f64 v[222:223], v[222:223], v[232:233], v[236:237]
	v_div_fixup_f64 v[222:223], v[222:223], v[218:219], v[216:217]
	v_fmac_f64_e32 v[218:219], v[216:217], v[222:223]
	v_div_scale_f64 v[216:217], s[18:19], v[218:219], v[218:219], 1.0
	v_rcp_f64_e32 v[232:233], v[216:217]
	s_nop 0
	v_fma_f64 v[234:235], -v[216:217], v[232:233], 1.0
	v_fmac_f64_e32 v[232:233], v[232:233], v[234:235]
	v_fma_f64 v[234:235], -v[216:217], v[232:233], 1.0
	v_fmac_f64_e32 v[232:233], v[232:233], v[234:235]
	v_div_scale_f64 v[234:235], vcc, 1.0, v[218:219], 1.0
	v_mul_f64 v[236:237], v[234:235], v[232:233]
	v_fma_f64 v[216:217], -v[216:217], v[236:237], v[234:235]
	s_nop 1
	v_div_fmas_f64 v[216:217], v[216:217], v[232:233], v[236:237]
	v_div_fixup_f64 v[218:219], v[216:217], v[218:219], 1.0
	v_mul_f64 v[216:217], v[222:223], v[218:219]
	v_xor_b32_e32 v219, 0x80000000, v219
.LBB106_238:
	s_andn2_saveexec_b64 s[16:17], s[16:17]
	s_cbranch_execz .LBB106_240
; %bb.239:
	v_div_scale_f64 v[222:223], s[18:19], v[216:217], v[216:217], v[218:219]
	v_rcp_f64_e32 v[232:233], v[222:223]
	v_div_scale_f64 v[234:235], vcc, v[218:219], v[216:217], v[218:219]
	v_fma_f64 v[236:237], -v[222:223], v[232:233], 1.0
	v_fmac_f64_e32 v[232:233], v[232:233], v[236:237]
	v_fma_f64 v[236:237], -v[222:223], v[232:233], 1.0
	v_fmac_f64_e32 v[232:233], v[232:233], v[236:237]
	v_mul_f64 v[236:237], v[234:235], v[232:233]
	v_fma_f64 v[222:223], -v[222:223], v[236:237], v[234:235]
	v_div_fmas_f64 v[222:223], v[222:223], v[232:233], v[236:237]
	v_div_fixup_f64 v[222:223], v[222:223], v[216:217], v[218:219]
	v_fmac_f64_e32 v[216:217], v[218:219], v[222:223]
	v_div_scale_f64 v[218:219], s[18:19], v[216:217], v[216:217], 1.0
	v_rcp_f64_e32 v[232:233], v[218:219]
	s_nop 0
	v_fma_f64 v[234:235], -v[218:219], v[232:233], 1.0
	v_fmac_f64_e32 v[232:233], v[232:233], v[234:235]
	v_fma_f64 v[234:235], -v[218:219], v[232:233], 1.0
	v_fmac_f64_e32 v[232:233], v[232:233], v[234:235]
	v_div_scale_f64 v[234:235], vcc, 1.0, v[216:217], 1.0
	v_mul_f64 v[236:237], v[234:235], v[232:233]
	v_fma_f64 v[218:219], -v[218:219], v[236:237], v[234:235]
	s_nop 1
	v_div_fmas_f64 v[218:219], v[218:219], v[232:233], v[236:237]
	v_div_fixup_f64 v[216:217], v[218:219], v[216:217], 1.0
	v_mul_f64 v[218:219], v[222:223], -v[216:217]
.LBB106_240:
	s_or_b64 exec, exec, s[16:17]
.LBB106_241:
	s_or_b64 exec, exec, s[0:1]
	v_cmp_ne_u32_e32 vcc, v229, v226
	s_and_saveexec_b64 s[0:1], vcc
	s_xor_b64 s[0:1], exec, s[0:1]
	s_cbranch_execz .LBB106_247
; %bb.242:
	v_cmp_eq_u32_e32 vcc, 11, v229
	s_and_saveexec_b64 s[16:17], vcc
	s_cbranch_execz .LBB106_246
; %bb.243:
	v_cmp_ne_u32_e32 vcc, 11, v226
	s_xor_b64 s[18:19], s[14:15], -1
	s_and_b64 s[22:23], s[18:19], vcc
	s_and_saveexec_b64 s[18:19], s[22:23]
	s_cbranch_execz .LBB106_245
; %bb.244:
	v_ashrrev_i32_e32 v227, 31, v226
	s_waitcnt vmcnt(0)
	v_lshl_add_u64 v[222:223], v[226:227], 2, v[224:225]
	global_load_dword v227, v[222:223], off
	global_load_dword v229, v[224:225], off offset:44
	s_waitcnt vmcnt(1)
	global_store_dword v[224:225], v227, off offset:44
	s_waitcnt vmcnt(1)
	global_store_dword v[222:223], v229, off
.LBB106_245:
	s_or_b64 exec, exec, s[18:19]
	v_mov_b32_e32 v229, v226
	v_mov_b32_e32 v220, v226
.LBB106_246:
	s_or_b64 exec, exec, s[16:17]
.LBB106_247:
	s_andn2_saveexec_b64 s[0:1], s[0:1]
	s_cbranch_execz .LBB106_249
; %bb.248:
	v_mov_b32_e32 v229, 11
	s_waitcnt vmcnt(42)
	ds_write2_b64 v228, v[168:169], v[170:171] offset0:24 offset1:25
	s_waitcnt vmcnt(41)
	ds_write2_b64 v228, v[164:165], v[166:167] offset0:26 offset1:27
	;; [unrolled: 2-line block ×42, first 2 shown]
.LBB106_249:
	s_or_b64 exec, exec, s[0:1]
	v_cmp_lt_i32_e32 vcc, 11, v229
	s_waitcnt lgkmcnt(0)
	s_barrier
	s_and_saveexec_b64 s[0:1], vcc
	s_cbranch_execz .LBB106_251
; %bb.250:
	ds_read2_b64 v[232:235], v228 offset0:24 offset1:25
	v_mul_f64 v[222:223], v[218:219], v[174:175]
	v_mul_f64 v[174:175], v[216:217], v[174:175]
	v_fma_f64 v[226:227], v[216:217], v[172:173], -v[222:223]
	v_fmac_f64_e32 v[174:175], v[218:219], v[172:173]
	ds_read2_b64 v[216:219], v228 offset0:26 offset1:27
	s_waitcnt lgkmcnt(1)
	v_mul_f64 v[172:173], v[234:235], v[174:175]
	v_fma_f64 v[172:173], v[232:233], v[226:227], -v[172:173]
	v_mul_f64 v[222:223], v[232:233], v[174:175]
	s_waitcnt vmcnt(42)
	v_add_f64 v[168:169], v[168:169], -v[172:173]
	s_waitcnt lgkmcnt(0)
	v_mul_f64 v[172:173], v[218:219], v[174:175]
	v_fmac_f64_e32 v[222:223], v[234:235], v[226:227]
	v_fma_f64 v[172:173], v[216:217], v[226:227], -v[172:173]
	v_mul_f64 v[216:217], v[216:217], v[174:175]
	ds_read2_b64 v[232:235], v228 offset0:28 offset1:29
	v_fmac_f64_e32 v[216:217], v[218:219], v[226:227]
	s_waitcnt vmcnt(41)
	v_add_f64 v[166:167], v[166:167], -v[216:217]
	ds_read2_b64 v[216:219], v228 offset0:30 offset1:31
	v_add_f64 v[164:165], v[164:165], -v[172:173]
	s_waitcnt lgkmcnt(1)
	v_mul_f64 v[172:173], v[234:235], v[174:175]
	v_fma_f64 v[172:173], v[232:233], v[226:227], -v[172:173]
	v_add_f64 v[170:171], v[170:171], -v[222:223]
	v_mul_f64 v[222:223], v[232:233], v[174:175]
	s_waitcnt vmcnt(40)
	v_add_f64 v[160:161], v[160:161], -v[172:173]
	s_waitcnt lgkmcnt(0)
	v_mul_f64 v[172:173], v[218:219], v[174:175]
	v_fmac_f64_e32 v[222:223], v[234:235], v[226:227]
	v_fma_f64 v[172:173], v[216:217], v[226:227], -v[172:173]
	v_mul_f64 v[216:217], v[216:217], v[174:175]
	ds_read2_b64 v[232:235], v228 offset0:32 offset1:33
	v_fmac_f64_e32 v[216:217], v[218:219], v[226:227]
	s_waitcnt vmcnt(39)
	v_add_f64 v[158:159], v[158:159], -v[216:217]
	ds_read2_b64 v[216:219], v228 offset0:34 offset1:35
	v_add_f64 v[156:157], v[156:157], -v[172:173]
	s_waitcnt lgkmcnt(1)
	v_mul_f64 v[172:173], v[234:235], v[174:175]
	v_fma_f64 v[172:173], v[232:233], v[226:227], -v[172:173]
	v_add_f64 v[162:163], v[162:163], -v[222:223]
	;; [unrolled: 18-line block ×19, first 2 shown]
	v_mul_f64 v[222:223], v[232:233], v[174:175]
	s_waitcnt vmcnt(4)
	v_add_f64 v[8:9], v[8:9], -v[172:173]
	s_waitcnt lgkmcnt(0)
	v_mul_f64 v[172:173], v[218:219], v[174:175]
	v_fmac_f64_e32 v[222:223], v[234:235], v[226:227]
	v_fma_f64 v[172:173], v[216:217], v[226:227], -v[172:173]
	v_mul_f64 v[216:217], v[216:217], v[174:175]
	ds_read2_b64 v[232:235], v228 offset0:104 offset1:105
	v_fmac_f64_e32 v[216:217], v[218:219], v[226:227]
	s_waitcnt vmcnt(3)
	v_add_f64 v[6:7], v[6:7], -v[216:217]
	ds_read2_b64 v[216:219], v228 offset0:106 offset1:107
	v_add_f64 v[4:5], v[4:5], -v[172:173]
	s_waitcnt lgkmcnt(1)
	v_mul_f64 v[172:173], v[234:235], v[174:175]
	v_fma_f64 v[172:173], v[232:233], v[226:227], -v[172:173]
	s_waitcnt vmcnt(2)
	v_add_f64 v[0:1], v[0:1], -v[172:173]
	s_waitcnt lgkmcnt(0)
	v_mul_f64 v[172:173], v[218:219], v[174:175]
	v_add_f64 v[10:11], v[10:11], -v[222:223]
	v_mul_f64 v[222:223], v[232:233], v[174:175]
	v_fma_f64 v[172:173], v[216:217], v[226:227], -v[172:173]
	v_mul_f64 v[216:217], v[216:217], v[174:175]
	v_fmac_f64_e32 v[222:223], v[234:235], v[226:227]
	v_fmac_f64_e32 v[216:217], v[218:219], v[226:227]
	v_add_f64 v[2:3], v[2:3], -v[222:223]
	s_waitcnt vmcnt(1)
	v_add_f64 v[212:213], v[212:213], -v[172:173]
	v_add_f64 v[214:215], v[214:215], -v[216:217]
	v_mov_b64_e32 v[172:173], v[226:227]
.LBB106_251:
	s_or_b64 exec, exec, s[0:1]
	v_lshl_add_u32 v216, v229, 4, v228
	s_barrier
	s_waitcnt vmcnt(42)
	ds_write2_b64 v216, v[168:169], v[170:171] offset1:1
	s_waitcnt lgkmcnt(0)
	s_barrier
	ds_read2_b64 v[216:219], v228 offset0:24 offset1:25
	s_cmp_lt_i32 s20, 14
	v_mov_b32_e32 v226, 12
	s_cbranch_scc1 .LBB106_254
; %bb.252:
	v_add_u32_e32 v227, 0xd0, v228
	s_mov_b32 s16, 13
	v_mov_b32_e32 v226, 12
.LBB106_253:                            ; =>This Inner Loop Header: Depth=1
	ds_read2_b64 v[232:235], v227 offset1:1
	s_waitcnt lgkmcnt(1)
	v_xor_b32_e32 v223, 0x80000000, v217
	v_xor_b32_e32 v231, 0x80000000, v219
	v_cmp_gt_f64_e32 vcc, 0, v[218:219]
	v_cmp_gt_f64_e64 s[0:1], 0, v[216:217]
	v_mov_b32_e32 v222, v216
	v_mov_b32_e32 v236, v218
	v_cndmask_b32_e64 v223, v217, v223, s[0:1]
	v_cndmask_b32_e32 v237, v219, v231, vcc
	s_waitcnt lgkmcnt(0)
	v_xor_b32_e32 v231, 0x80000000, v233
	v_xor_b32_e32 v239, 0x80000000, v235
	v_cmp_gt_f64_e32 vcc, 0, v[234:235]
	v_cmp_gt_f64_e64 s[0:1], 0, v[232:233]
	v_add_f64 v[222:223], v[222:223], v[236:237]
	v_mov_b32_e32 v236, v232
	v_mov_b32_e32 v238, v234
	v_cndmask_b32_e64 v237, v233, v231, s[0:1]
	v_cndmask_b32_e32 v239, v235, v239, vcc
	v_add_f64 v[236:237], v[236:237], v[238:239]
	v_mov_b32_e32 v240, s16
	s_add_i32 s16, s16, 1
	v_cmp_lt_f64_e32 vcc, v[222:223], v[236:237]
	v_add_u32_e32 v227, 16, v227
	s_cmp_lg_u32 s20, s16
	v_cndmask_b32_e32 v217, v217, v233, vcc
	v_cndmask_b32_e32 v216, v216, v232, vcc
	;; [unrolled: 1-line block ×5, first 2 shown]
	s_cbranch_scc1 .LBB106_253
.LBB106_254:
	s_waitcnt lgkmcnt(0)
	v_cmp_eq_f64_e32 vcc, 0, v[216:217]
	v_cmp_eq_f64_e64 s[0:1], 0, v[218:219]
	s_and_b64 s[0:1], vcc, s[0:1]
	s_and_saveexec_b64 s[16:17], s[0:1]
	s_xor_b64 s[0:1], exec, s[16:17]
; %bb.255:
	v_cmp_ne_u32_e32 vcc, 0, v230
	s_nop 1
	v_cndmask_b32_e32 v230, 13, v230, vcc
; %bb.256:
	s_andn2_saveexec_b64 s[0:1], s[0:1]
	s_cbranch_execz .LBB106_262
; %bb.257:
	v_cmp_ngt_f64_e64 s[16:17], |v[216:217]|, |v[218:219]|
	s_and_saveexec_b64 s[18:19], s[16:17]
	s_xor_b64 s[16:17], exec, s[18:19]
	s_cbranch_execz .LBB106_259
; %bb.258:
	v_div_scale_f64 v[222:223], s[18:19], v[218:219], v[218:219], v[216:217]
	v_rcp_f64_e32 v[232:233], v[222:223]
	v_div_scale_f64 v[234:235], vcc, v[216:217], v[218:219], v[216:217]
	v_fma_f64 v[236:237], -v[222:223], v[232:233], 1.0
	v_fmac_f64_e32 v[232:233], v[232:233], v[236:237]
	v_fma_f64 v[236:237], -v[222:223], v[232:233], 1.0
	v_fmac_f64_e32 v[232:233], v[232:233], v[236:237]
	v_mul_f64 v[236:237], v[234:235], v[232:233]
	v_fma_f64 v[222:223], -v[222:223], v[236:237], v[234:235]
	v_div_fmas_f64 v[222:223], v[222:223], v[232:233], v[236:237]
	v_div_fixup_f64 v[222:223], v[222:223], v[218:219], v[216:217]
	v_fmac_f64_e32 v[218:219], v[216:217], v[222:223]
	v_div_scale_f64 v[216:217], s[18:19], v[218:219], v[218:219], 1.0
	v_rcp_f64_e32 v[232:233], v[216:217]
	s_nop 0
	v_fma_f64 v[234:235], -v[216:217], v[232:233], 1.0
	v_fmac_f64_e32 v[232:233], v[232:233], v[234:235]
	v_fma_f64 v[234:235], -v[216:217], v[232:233], 1.0
	v_fmac_f64_e32 v[232:233], v[232:233], v[234:235]
	v_div_scale_f64 v[234:235], vcc, 1.0, v[218:219], 1.0
	v_mul_f64 v[236:237], v[234:235], v[232:233]
	v_fma_f64 v[216:217], -v[216:217], v[236:237], v[234:235]
	s_nop 1
	v_div_fmas_f64 v[216:217], v[216:217], v[232:233], v[236:237]
	v_div_fixup_f64 v[218:219], v[216:217], v[218:219], 1.0
	v_mul_f64 v[216:217], v[222:223], v[218:219]
	v_xor_b32_e32 v219, 0x80000000, v219
.LBB106_259:
	s_andn2_saveexec_b64 s[16:17], s[16:17]
	s_cbranch_execz .LBB106_261
; %bb.260:
	v_div_scale_f64 v[222:223], s[18:19], v[216:217], v[216:217], v[218:219]
	v_rcp_f64_e32 v[232:233], v[222:223]
	v_div_scale_f64 v[234:235], vcc, v[218:219], v[216:217], v[218:219]
	v_fma_f64 v[236:237], -v[222:223], v[232:233], 1.0
	v_fmac_f64_e32 v[232:233], v[232:233], v[236:237]
	v_fma_f64 v[236:237], -v[222:223], v[232:233], 1.0
	v_fmac_f64_e32 v[232:233], v[232:233], v[236:237]
	v_mul_f64 v[236:237], v[234:235], v[232:233]
	v_fma_f64 v[222:223], -v[222:223], v[236:237], v[234:235]
	v_div_fmas_f64 v[222:223], v[222:223], v[232:233], v[236:237]
	v_div_fixup_f64 v[222:223], v[222:223], v[216:217], v[218:219]
	v_fmac_f64_e32 v[216:217], v[218:219], v[222:223]
	v_div_scale_f64 v[218:219], s[18:19], v[216:217], v[216:217], 1.0
	v_rcp_f64_e32 v[232:233], v[218:219]
	s_nop 0
	v_fma_f64 v[234:235], -v[218:219], v[232:233], 1.0
	v_fmac_f64_e32 v[232:233], v[232:233], v[234:235]
	v_fma_f64 v[234:235], -v[218:219], v[232:233], 1.0
	v_fmac_f64_e32 v[232:233], v[232:233], v[234:235]
	v_div_scale_f64 v[234:235], vcc, 1.0, v[216:217], 1.0
	v_mul_f64 v[236:237], v[234:235], v[232:233]
	v_fma_f64 v[218:219], -v[218:219], v[236:237], v[234:235]
	s_nop 1
	v_div_fmas_f64 v[218:219], v[218:219], v[232:233], v[236:237]
	v_div_fixup_f64 v[216:217], v[218:219], v[216:217], 1.0
	v_mul_f64 v[218:219], v[222:223], -v[216:217]
.LBB106_261:
	s_or_b64 exec, exec, s[16:17]
.LBB106_262:
	s_or_b64 exec, exec, s[0:1]
	v_cmp_ne_u32_e32 vcc, v229, v226
	s_and_saveexec_b64 s[0:1], vcc
	s_xor_b64 s[0:1], exec, s[0:1]
	s_cbranch_execz .LBB106_268
; %bb.263:
	v_cmp_eq_u32_e32 vcc, 12, v229
	s_and_saveexec_b64 s[16:17], vcc
	s_cbranch_execz .LBB106_267
; %bb.264:
	v_cmp_ne_u32_e32 vcc, 12, v226
	s_xor_b64 s[18:19], s[14:15], -1
	s_and_b64 s[22:23], s[18:19], vcc
	s_and_saveexec_b64 s[18:19], s[22:23]
	s_cbranch_execz .LBB106_266
; %bb.265:
	v_ashrrev_i32_e32 v227, 31, v226
	s_waitcnt vmcnt(0)
	v_lshl_add_u64 v[222:223], v[226:227], 2, v[224:225]
	global_load_dword v227, v[222:223], off
	global_load_dword v229, v[224:225], off offset:48
	s_waitcnt vmcnt(1)
	global_store_dword v[224:225], v227, off offset:48
	s_waitcnt vmcnt(1)
	global_store_dword v[222:223], v229, off
.LBB106_266:
	s_or_b64 exec, exec, s[18:19]
	v_mov_b32_e32 v229, v226
	v_mov_b32_e32 v220, v226
.LBB106_267:
	s_or_b64 exec, exec, s[16:17]
.LBB106_268:
	s_andn2_saveexec_b64 s[0:1], s[0:1]
	s_cbranch_execz .LBB106_270
; %bb.269:
	v_mov_b32_e32 v229, 12
	s_waitcnt vmcnt(41)
	ds_write2_b64 v228, v[164:165], v[166:167] offset0:26 offset1:27
	s_waitcnt vmcnt(40)
	ds_write2_b64 v228, v[160:161], v[162:163] offset0:28 offset1:29
	;; [unrolled: 2-line block ×41, first 2 shown]
.LBB106_270:
	s_or_b64 exec, exec, s[0:1]
	v_cmp_lt_i32_e32 vcc, 12, v229
	s_waitcnt lgkmcnt(0)
	s_barrier
	s_and_saveexec_b64 s[0:1], vcc
	s_cbranch_execz .LBB106_272
; %bb.271:
	ds_read2_b64 v[232:235], v228 offset0:26 offset1:27
	v_mul_f64 v[222:223], v[218:219], v[170:171]
	v_mul_f64 v[170:171], v[216:217], v[170:171]
	v_fma_f64 v[226:227], v[216:217], v[168:169], -v[222:223]
	v_fmac_f64_e32 v[170:171], v[218:219], v[168:169]
	ds_read2_b64 v[216:219], v228 offset0:28 offset1:29
	s_waitcnt lgkmcnt(1)
	v_mul_f64 v[168:169], v[234:235], v[170:171]
	v_fma_f64 v[168:169], v[232:233], v[226:227], -v[168:169]
	v_mul_f64 v[222:223], v[232:233], v[170:171]
	s_waitcnt vmcnt(41)
	v_add_f64 v[164:165], v[164:165], -v[168:169]
	s_waitcnt lgkmcnt(0)
	v_mul_f64 v[168:169], v[218:219], v[170:171]
	v_fmac_f64_e32 v[222:223], v[234:235], v[226:227]
	v_fma_f64 v[168:169], v[216:217], v[226:227], -v[168:169]
	v_mul_f64 v[216:217], v[216:217], v[170:171]
	ds_read2_b64 v[232:235], v228 offset0:30 offset1:31
	v_fmac_f64_e32 v[216:217], v[218:219], v[226:227]
	s_waitcnt vmcnt(40)
	v_add_f64 v[162:163], v[162:163], -v[216:217]
	ds_read2_b64 v[216:219], v228 offset0:32 offset1:33
	v_add_f64 v[160:161], v[160:161], -v[168:169]
	s_waitcnt lgkmcnt(1)
	v_mul_f64 v[168:169], v[234:235], v[170:171]
	v_fma_f64 v[168:169], v[232:233], v[226:227], -v[168:169]
	v_add_f64 v[166:167], v[166:167], -v[222:223]
	v_mul_f64 v[222:223], v[232:233], v[170:171]
	s_waitcnt vmcnt(39)
	v_add_f64 v[156:157], v[156:157], -v[168:169]
	s_waitcnt lgkmcnt(0)
	v_mul_f64 v[168:169], v[218:219], v[170:171]
	v_fmac_f64_e32 v[222:223], v[234:235], v[226:227]
	v_fma_f64 v[168:169], v[216:217], v[226:227], -v[168:169]
	v_mul_f64 v[216:217], v[216:217], v[170:171]
	ds_read2_b64 v[232:235], v228 offset0:34 offset1:35
	v_fmac_f64_e32 v[216:217], v[218:219], v[226:227]
	s_waitcnt vmcnt(38)
	v_add_f64 v[154:155], v[154:155], -v[216:217]
	ds_read2_b64 v[216:219], v228 offset0:36 offset1:37
	v_add_f64 v[152:153], v[152:153], -v[168:169]
	s_waitcnt lgkmcnt(1)
	v_mul_f64 v[168:169], v[234:235], v[170:171]
	v_fma_f64 v[168:169], v[232:233], v[226:227], -v[168:169]
	v_add_f64 v[158:159], v[158:159], -v[222:223]
	;; [unrolled: 18-line block ×17, first 2 shown]
	v_mul_f64 v[222:223], v[232:233], v[170:171]
	s_waitcnt vmcnt(7)
	v_add_f64 v[20:21], v[20:21], -v[168:169]
	s_waitcnt lgkmcnt(0)
	v_mul_f64 v[168:169], v[218:219], v[170:171]
	v_fmac_f64_e32 v[222:223], v[234:235], v[226:227]
	v_fma_f64 v[168:169], v[216:217], v[226:227], -v[168:169]
	v_mul_f64 v[216:217], v[216:217], v[170:171]
	ds_read2_b64 v[232:235], v228 offset0:98 offset1:99
	v_fmac_f64_e32 v[216:217], v[218:219], v[226:227]
	s_waitcnt vmcnt(6)
	v_add_f64 v[18:19], v[18:19], -v[216:217]
	ds_read2_b64 v[216:219], v228 offset0:100 offset1:101
	v_add_f64 v[16:17], v[16:17], -v[168:169]
	s_waitcnt lgkmcnt(1)
	v_mul_f64 v[168:169], v[234:235], v[170:171]
	v_add_f64 v[22:23], v[22:23], -v[222:223]
	v_fma_f64 v[168:169], v[232:233], v[226:227], -v[168:169]
	v_mul_f64 v[222:223], v[232:233], v[170:171]
	v_fmac_f64_e32 v[222:223], v[234:235], v[226:227]
	s_waitcnt vmcnt(5)
	v_add_f64 v[12:13], v[12:13], -v[168:169]
	s_waitcnt lgkmcnt(0)
	v_mul_f64 v[168:169], v[218:219], v[170:171]
	ds_read2_b64 v[232:235], v228 offset0:102 offset1:103
	v_fma_f64 v[168:169], v[216:217], v[226:227], -v[168:169]
	v_mul_f64 v[216:217], v[216:217], v[170:171]
	v_fmac_f64_e32 v[216:217], v[218:219], v[226:227]
	s_waitcnt vmcnt(4)
	v_add_f64 v[10:11], v[10:11], -v[216:217]
	ds_read2_b64 v[216:219], v228 offset0:104 offset1:105
	v_add_f64 v[14:15], v[14:15], -v[222:223]
	v_add_f64 v[8:9], v[8:9], -v[168:169]
	s_waitcnt lgkmcnt(1)
	v_mul_f64 v[168:169], v[234:235], v[170:171]
	v_mul_f64 v[222:223], v[232:233], v[170:171]
	v_fma_f64 v[168:169], v[232:233], v[226:227], -v[168:169]
	v_fmac_f64_e32 v[222:223], v[234:235], v[226:227]
	ds_read2_b64 v[232:235], v228 offset0:106 offset1:107
	s_waitcnt vmcnt(3)
	v_add_f64 v[4:5], v[4:5], -v[168:169]
	s_waitcnt lgkmcnt(1)
	v_mul_f64 v[168:169], v[218:219], v[170:171]
	v_fma_f64 v[168:169], v[216:217], v[226:227], -v[168:169]
	v_mul_f64 v[216:217], v[216:217], v[170:171]
	v_fmac_f64_e32 v[216:217], v[218:219], v[226:227]
	s_waitcnt vmcnt(2)
	v_add_f64 v[0:1], v[0:1], -v[168:169]
	v_add_f64 v[2:3], v[2:3], -v[216:217]
	s_waitcnt lgkmcnt(0)
	v_mul_f64 v[168:169], v[234:235], v[170:171]
	v_mul_f64 v[216:217], v[232:233], v[170:171]
	v_fma_f64 v[168:169], v[232:233], v[226:227], -v[168:169]
	v_fmac_f64_e32 v[216:217], v[234:235], v[226:227]
	v_add_f64 v[6:7], v[6:7], -v[222:223]
	s_waitcnt vmcnt(1)
	v_add_f64 v[212:213], v[212:213], -v[168:169]
	v_add_f64 v[214:215], v[214:215], -v[216:217]
	v_mov_b64_e32 v[168:169], v[226:227]
.LBB106_272:
	s_or_b64 exec, exec, s[0:1]
	v_lshl_add_u32 v216, v229, 4, v228
	s_barrier
	s_waitcnt vmcnt(41)
	ds_write2_b64 v216, v[164:165], v[166:167] offset1:1
	s_waitcnt lgkmcnt(0)
	s_barrier
	ds_read2_b64 v[216:219], v228 offset0:26 offset1:27
	s_cmp_lt_i32 s20, 15
	v_mov_b32_e32 v226, 13
	s_cbranch_scc1 .LBB106_275
; %bb.273:
	v_add_u32_e32 v227, 0xe0, v228
	s_mov_b32 s16, 14
	v_mov_b32_e32 v226, 13
.LBB106_274:                            ; =>This Inner Loop Header: Depth=1
	ds_read2_b64 v[232:235], v227 offset1:1
	s_waitcnt lgkmcnt(1)
	v_xor_b32_e32 v223, 0x80000000, v217
	v_xor_b32_e32 v231, 0x80000000, v219
	v_cmp_gt_f64_e32 vcc, 0, v[218:219]
	v_cmp_gt_f64_e64 s[0:1], 0, v[216:217]
	v_mov_b32_e32 v222, v216
	v_mov_b32_e32 v236, v218
	v_cndmask_b32_e64 v223, v217, v223, s[0:1]
	v_cndmask_b32_e32 v237, v219, v231, vcc
	s_waitcnt lgkmcnt(0)
	v_xor_b32_e32 v231, 0x80000000, v233
	v_xor_b32_e32 v239, 0x80000000, v235
	v_cmp_gt_f64_e32 vcc, 0, v[234:235]
	v_cmp_gt_f64_e64 s[0:1], 0, v[232:233]
	v_add_f64 v[222:223], v[222:223], v[236:237]
	v_mov_b32_e32 v236, v232
	v_mov_b32_e32 v238, v234
	v_cndmask_b32_e64 v237, v233, v231, s[0:1]
	v_cndmask_b32_e32 v239, v235, v239, vcc
	v_add_f64 v[236:237], v[236:237], v[238:239]
	v_mov_b32_e32 v240, s16
	s_add_i32 s16, s16, 1
	v_cmp_lt_f64_e32 vcc, v[222:223], v[236:237]
	v_add_u32_e32 v227, 16, v227
	s_cmp_lg_u32 s20, s16
	v_cndmask_b32_e32 v217, v217, v233, vcc
	v_cndmask_b32_e32 v216, v216, v232, vcc
	;; [unrolled: 1-line block ×5, first 2 shown]
	s_cbranch_scc1 .LBB106_274
.LBB106_275:
	s_waitcnt lgkmcnt(0)
	v_cmp_eq_f64_e32 vcc, 0, v[216:217]
	v_cmp_eq_f64_e64 s[0:1], 0, v[218:219]
	s_and_b64 s[0:1], vcc, s[0:1]
	s_and_saveexec_b64 s[16:17], s[0:1]
	s_xor_b64 s[0:1], exec, s[16:17]
; %bb.276:
	v_cmp_ne_u32_e32 vcc, 0, v230
	s_nop 1
	v_cndmask_b32_e32 v230, 14, v230, vcc
; %bb.277:
	s_andn2_saveexec_b64 s[0:1], s[0:1]
	s_cbranch_execz .LBB106_283
; %bb.278:
	v_cmp_ngt_f64_e64 s[16:17], |v[216:217]|, |v[218:219]|
	s_and_saveexec_b64 s[18:19], s[16:17]
	s_xor_b64 s[16:17], exec, s[18:19]
	s_cbranch_execz .LBB106_280
; %bb.279:
	v_div_scale_f64 v[222:223], s[18:19], v[218:219], v[218:219], v[216:217]
	v_rcp_f64_e32 v[232:233], v[222:223]
	v_div_scale_f64 v[234:235], vcc, v[216:217], v[218:219], v[216:217]
	v_fma_f64 v[236:237], -v[222:223], v[232:233], 1.0
	v_fmac_f64_e32 v[232:233], v[232:233], v[236:237]
	v_fma_f64 v[236:237], -v[222:223], v[232:233], 1.0
	v_fmac_f64_e32 v[232:233], v[232:233], v[236:237]
	v_mul_f64 v[236:237], v[234:235], v[232:233]
	v_fma_f64 v[222:223], -v[222:223], v[236:237], v[234:235]
	v_div_fmas_f64 v[222:223], v[222:223], v[232:233], v[236:237]
	v_div_fixup_f64 v[222:223], v[222:223], v[218:219], v[216:217]
	v_fmac_f64_e32 v[218:219], v[216:217], v[222:223]
	v_div_scale_f64 v[216:217], s[18:19], v[218:219], v[218:219], 1.0
	v_rcp_f64_e32 v[232:233], v[216:217]
	s_nop 0
	v_fma_f64 v[234:235], -v[216:217], v[232:233], 1.0
	v_fmac_f64_e32 v[232:233], v[232:233], v[234:235]
	v_fma_f64 v[234:235], -v[216:217], v[232:233], 1.0
	v_fmac_f64_e32 v[232:233], v[232:233], v[234:235]
	v_div_scale_f64 v[234:235], vcc, 1.0, v[218:219], 1.0
	v_mul_f64 v[236:237], v[234:235], v[232:233]
	v_fma_f64 v[216:217], -v[216:217], v[236:237], v[234:235]
	s_nop 1
	v_div_fmas_f64 v[216:217], v[216:217], v[232:233], v[236:237]
	v_div_fixup_f64 v[218:219], v[216:217], v[218:219], 1.0
	v_mul_f64 v[216:217], v[222:223], v[218:219]
	v_xor_b32_e32 v219, 0x80000000, v219
.LBB106_280:
	s_andn2_saveexec_b64 s[16:17], s[16:17]
	s_cbranch_execz .LBB106_282
; %bb.281:
	v_div_scale_f64 v[222:223], s[18:19], v[216:217], v[216:217], v[218:219]
	v_rcp_f64_e32 v[232:233], v[222:223]
	v_div_scale_f64 v[234:235], vcc, v[218:219], v[216:217], v[218:219]
	v_fma_f64 v[236:237], -v[222:223], v[232:233], 1.0
	v_fmac_f64_e32 v[232:233], v[232:233], v[236:237]
	v_fma_f64 v[236:237], -v[222:223], v[232:233], 1.0
	v_fmac_f64_e32 v[232:233], v[232:233], v[236:237]
	v_mul_f64 v[236:237], v[234:235], v[232:233]
	v_fma_f64 v[222:223], -v[222:223], v[236:237], v[234:235]
	v_div_fmas_f64 v[222:223], v[222:223], v[232:233], v[236:237]
	v_div_fixup_f64 v[222:223], v[222:223], v[216:217], v[218:219]
	v_fmac_f64_e32 v[216:217], v[218:219], v[222:223]
	v_div_scale_f64 v[218:219], s[18:19], v[216:217], v[216:217], 1.0
	v_rcp_f64_e32 v[232:233], v[218:219]
	s_nop 0
	v_fma_f64 v[234:235], -v[218:219], v[232:233], 1.0
	v_fmac_f64_e32 v[232:233], v[232:233], v[234:235]
	v_fma_f64 v[234:235], -v[218:219], v[232:233], 1.0
	v_fmac_f64_e32 v[232:233], v[232:233], v[234:235]
	v_div_scale_f64 v[234:235], vcc, 1.0, v[216:217], 1.0
	v_mul_f64 v[236:237], v[234:235], v[232:233]
	v_fma_f64 v[218:219], -v[218:219], v[236:237], v[234:235]
	s_nop 1
	v_div_fmas_f64 v[218:219], v[218:219], v[232:233], v[236:237]
	v_div_fixup_f64 v[216:217], v[218:219], v[216:217], 1.0
	v_mul_f64 v[218:219], v[222:223], -v[216:217]
.LBB106_282:
	s_or_b64 exec, exec, s[16:17]
.LBB106_283:
	s_or_b64 exec, exec, s[0:1]
	v_cmp_ne_u32_e32 vcc, v229, v226
	s_and_saveexec_b64 s[0:1], vcc
	s_xor_b64 s[0:1], exec, s[0:1]
	s_cbranch_execz .LBB106_289
; %bb.284:
	v_cmp_eq_u32_e32 vcc, 13, v229
	s_and_saveexec_b64 s[16:17], vcc
	s_cbranch_execz .LBB106_288
; %bb.285:
	v_cmp_ne_u32_e32 vcc, 13, v226
	s_xor_b64 s[18:19], s[14:15], -1
	s_and_b64 s[22:23], s[18:19], vcc
	s_and_saveexec_b64 s[18:19], s[22:23]
	s_cbranch_execz .LBB106_287
; %bb.286:
	v_ashrrev_i32_e32 v227, 31, v226
	s_waitcnt vmcnt(0)
	v_lshl_add_u64 v[222:223], v[226:227], 2, v[224:225]
	global_load_dword v227, v[222:223], off
	global_load_dword v229, v[224:225], off offset:52
	s_waitcnt vmcnt(1)
	global_store_dword v[224:225], v227, off offset:52
	s_waitcnt vmcnt(1)
	global_store_dword v[222:223], v229, off
.LBB106_287:
	s_or_b64 exec, exec, s[18:19]
	v_mov_b32_e32 v229, v226
	v_mov_b32_e32 v220, v226
.LBB106_288:
	s_or_b64 exec, exec, s[16:17]
.LBB106_289:
	s_andn2_saveexec_b64 s[0:1], s[0:1]
	s_cbranch_execz .LBB106_291
; %bb.290:
	v_mov_b32_e32 v229, 13
	s_waitcnt vmcnt(40)
	ds_write2_b64 v228, v[160:161], v[162:163] offset0:28 offset1:29
	s_waitcnt vmcnt(39)
	ds_write2_b64 v228, v[156:157], v[158:159] offset0:30 offset1:31
	s_waitcnt vmcnt(38)
	ds_write2_b64 v228, v[152:153], v[154:155] offset0:32 offset1:33
	s_waitcnt vmcnt(37)
	ds_write2_b64 v228, v[144:145], v[146:147] offset0:34 offset1:35
	s_waitcnt vmcnt(36)
	ds_write2_b64 v228, v[136:137], v[138:139] offset0:36 offset1:37
	s_waitcnt vmcnt(35)
	ds_write2_b64 v228, v[132:133], v[134:135] offset0:38 offset1:39
	s_waitcnt vmcnt(34)
	ds_write2_b64 v228, v[128:129], v[130:131] offset0:40 offset1:41
	s_waitcnt vmcnt(33)
	ds_write2_b64 v228, v[124:125], v[126:127] offset0:42 offset1:43
	s_waitcnt vmcnt(32)
	ds_write2_b64 v228, v[120:121], v[122:123] offset0:44 offset1:45
	s_waitcnt vmcnt(31)
	ds_write2_b64 v228, v[116:117], v[118:119] offset0:46 offset1:47
	s_waitcnt vmcnt(30)
	ds_write2_b64 v228, v[112:113], v[114:115] offset0:48 offset1:49
	s_waitcnt vmcnt(29)
	ds_write2_b64 v228, v[108:109], v[110:111] offset0:50 offset1:51
	s_waitcnt vmcnt(28)
	ds_write2_b64 v228, v[104:105], v[106:107] offset0:52 offset1:53
	s_waitcnt vmcnt(27)
	ds_write2_b64 v228, v[100:101], v[102:103] offset0:54 offset1:55
	s_waitcnt vmcnt(26)
	ds_write2_b64 v228, v[96:97], v[98:99] offset0:56 offset1:57
	s_waitcnt vmcnt(25)
	ds_write2_b64 v228, v[92:93], v[94:95] offset0:58 offset1:59
	s_waitcnt vmcnt(24)
	ds_write2_b64 v228, v[88:89], v[90:91] offset0:60 offset1:61
	s_waitcnt vmcnt(23)
	ds_write2_b64 v228, v[84:85], v[86:87] offset0:62 offset1:63
	s_waitcnt vmcnt(22)
	ds_write2_b64 v228, v[80:81], v[82:83] offset0:64 offset1:65
	s_waitcnt vmcnt(21)
	ds_write2_b64 v228, v[76:77], v[78:79] offset0:66 offset1:67
	s_waitcnt vmcnt(20)
	ds_write2_b64 v228, v[72:73], v[74:75] offset0:68 offset1:69
	s_waitcnt vmcnt(19)
	ds_write2_b64 v228, v[68:69], v[70:71] offset0:70 offset1:71
	s_waitcnt vmcnt(18)
	ds_write2_b64 v228, v[64:65], v[66:67] offset0:72 offset1:73
	s_waitcnt vmcnt(17)
	ds_write2_b64 v228, v[60:61], v[62:63] offset0:74 offset1:75
	s_waitcnt vmcnt(16)
	ds_write2_b64 v228, v[56:57], v[58:59] offset0:76 offset1:77
	s_waitcnt vmcnt(15)
	ds_write2_b64 v228, v[52:53], v[54:55] offset0:78 offset1:79
	s_waitcnt vmcnt(14)
	ds_write2_b64 v228, v[48:49], v[50:51] offset0:80 offset1:81
	s_waitcnt vmcnt(13)
	ds_write2_b64 v228, v[44:45], v[46:47] offset0:82 offset1:83
	s_waitcnt vmcnt(12)
	ds_write2_b64 v228, v[40:41], v[42:43] offset0:84 offset1:85
	s_waitcnt vmcnt(11)
	ds_write2_b64 v228, v[36:37], v[38:39] offset0:86 offset1:87
	s_waitcnt vmcnt(10)
	ds_write2_b64 v228, v[32:33], v[34:35] offset0:88 offset1:89
	s_waitcnt vmcnt(9)
	ds_write2_b64 v228, v[28:29], v[30:31] offset0:90 offset1:91
	s_waitcnt vmcnt(8)
	ds_write2_b64 v228, v[24:25], v[26:27] offset0:92 offset1:93
	s_waitcnt vmcnt(7)
	ds_write2_b64 v228, v[20:21], v[22:23] offset0:94 offset1:95
	s_waitcnt vmcnt(6)
	ds_write2_b64 v228, v[16:17], v[18:19] offset0:96 offset1:97
	s_waitcnt vmcnt(5)
	ds_write2_b64 v228, v[12:13], v[14:15] offset0:98 offset1:99
	s_waitcnt vmcnt(4)
	ds_write2_b64 v228, v[8:9], v[10:11] offset0:100 offset1:101
	s_waitcnt vmcnt(3)
	ds_write2_b64 v228, v[4:5], v[6:7] offset0:102 offset1:103
	s_waitcnt vmcnt(2)
	ds_write2_b64 v228, v[0:1], v[2:3] offset0:104 offset1:105
	s_waitcnt vmcnt(1)
	ds_write2_b64 v228, v[212:213], v[214:215] offset0:106 offset1:107
.LBB106_291:
	s_or_b64 exec, exec, s[0:1]
	v_cmp_lt_i32_e32 vcc, 13, v229
	s_waitcnt lgkmcnt(0)
	s_barrier
	s_and_saveexec_b64 s[0:1], vcc
	s_cbranch_execz .LBB106_293
; %bb.292:
	ds_read2_b64 v[232:235], v228 offset0:28 offset1:29
	v_mul_f64 v[222:223], v[218:219], v[166:167]
	v_mul_f64 v[166:167], v[216:217], v[166:167]
	v_fma_f64 v[226:227], v[216:217], v[164:165], -v[222:223]
	v_fmac_f64_e32 v[166:167], v[218:219], v[164:165]
	ds_read2_b64 v[216:219], v228 offset0:30 offset1:31
	s_waitcnt lgkmcnt(1)
	v_mul_f64 v[164:165], v[234:235], v[166:167]
	v_fma_f64 v[164:165], v[232:233], v[226:227], -v[164:165]
	v_mul_f64 v[222:223], v[232:233], v[166:167]
	s_waitcnt vmcnt(40)
	v_add_f64 v[160:161], v[160:161], -v[164:165]
	s_waitcnt lgkmcnt(0)
	v_mul_f64 v[164:165], v[218:219], v[166:167]
	v_fmac_f64_e32 v[222:223], v[234:235], v[226:227]
	v_fma_f64 v[164:165], v[216:217], v[226:227], -v[164:165]
	v_mul_f64 v[216:217], v[216:217], v[166:167]
	ds_read2_b64 v[232:235], v228 offset0:32 offset1:33
	v_fmac_f64_e32 v[216:217], v[218:219], v[226:227]
	s_waitcnt vmcnt(39)
	v_add_f64 v[158:159], v[158:159], -v[216:217]
	ds_read2_b64 v[216:219], v228 offset0:34 offset1:35
	v_add_f64 v[156:157], v[156:157], -v[164:165]
	s_waitcnt lgkmcnt(1)
	v_mul_f64 v[164:165], v[234:235], v[166:167]
	v_fma_f64 v[164:165], v[232:233], v[226:227], -v[164:165]
	v_add_f64 v[162:163], v[162:163], -v[222:223]
	v_mul_f64 v[222:223], v[232:233], v[166:167]
	s_waitcnt vmcnt(38)
	v_add_f64 v[152:153], v[152:153], -v[164:165]
	s_waitcnt lgkmcnt(0)
	v_mul_f64 v[164:165], v[218:219], v[166:167]
	v_fmac_f64_e32 v[222:223], v[234:235], v[226:227]
	v_fma_f64 v[164:165], v[216:217], v[226:227], -v[164:165]
	v_mul_f64 v[216:217], v[216:217], v[166:167]
	ds_read2_b64 v[232:235], v228 offset0:36 offset1:37
	v_fmac_f64_e32 v[216:217], v[218:219], v[226:227]
	s_waitcnt vmcnt(37)
	v_add_f64 v[146:147], v[146:147], -v[216:217]
	ds_read2_b64 v[216:219], v228 offset0:38 offset1:39
	v_add_f64 v[144:145], v[144:145], -v[164:165]
	s_waitcnt lgkmcnt(1)
	v_mul_f64 v[164:165], v[234:235], v[166:167]
	v_fma_f64 v[164:165], v[232:233], v[226:227], -v[164:165]
	v_add_f64 v[154:155], v[154:155], -v[222:223]
	;; [unrolled: 18-line block ×18, first 2 shown]
	v_mul_f64 v[222:223], v[232:233], v[166:167]
	s_waitcnt vmcnt(4)
	v_add_f64 v[8:9], v[8:9], -v[164:165]
	s_waitcnt lgkmcnt(0)
	v_mul_f64 v[164:165], v[218:219], v[166:167]
	v_fmac_f64_e32 v[222:223], v[234:235], v[226:227]
	v_fma_f64 v[164:165], v[216:217], v[226:227], -v[164:165]
	v_mul_f64 v[216:217], v[216:217], v[166:167]
	ds_read2_b64 v[232:235], v228 offset0:104 offset1:105
	v_fmac_f64_e32 v[216:217], v[218:219], v[226:227]
	s_waitcnt vmcnt(3)
	v_add_f64 v[6:7], v[6:7], -v[216:217]
	ds_read2_b64 v[216:219], v228 offset0:106 offset1:107
	v_add_f64 v[4:5], v[4:5], -v[164:165]
	s_waitcnt lgkmcnt(1)
	v_mul_f64 v[164:165], v[234:235], v[166:167]
	v_fma_f64 v[164:165], v[232:233], v[226:227], -v[164:165]
	s_waitcnt vmcnt(2)
	v_add_f64 v[0:1], v[0:1], -v[164:165]
	s_waitcnt lgkmcnt(0)
	v_mul_f64 v[164:165], v[218:219], v[166:167]
	v_add_f64 v[10:11], v[10:11], -v[222:223]
	v_mul_f64 v[222:223], v[232:233], v[166:167]
	v_fma_f64 v[164:165], v[216:217], v[226:227], -v[164:165]
	v_mul_f64 v[216:217], v[216:217], v[166:167]
	v_fmac_f64_e32 v[222:223], v[234:235], v[226:227]
	v_fmac_f64_e32 v[216:217], v[218:219], v[226:227]
	v_add_f64 v[2:3], v[2:3], -v[222:223]
	s_waitcnt vmcnt(1)
	v_add_f64 v[212:213], v[212:213], -v[164:165]
	v_add_f64 v[214:215], v[214:215], -v[216:217]
	v_mov_b64_e32 v[164:165], v[226:227]
.LBB106_293:
	s_or_b64 exec, exec, s[0:1]
	v_lshl_add_u32 v216, v229, 4, v228
	s_barrier
	s_waitcnt vmcnt(40)
	ds_write2_b64 v216, v[160:161], v[162:163] offset1:1
	s_waitcnt lgkmcnt(0)
	s_barrier
	ds_read2_b64 v[216:219], v228 offset0:28 offset1:29
	s_cmp_lt_i32 s20, 16
	v_mov_b32_e32 v226, 14
	s_cbranch_scc1 .LBB106_296
; %bb.294:
	v_add_u32_e32 v227, 0xf0, v228
	s_mov_b32 s16, 15
	v_mov_b32_e32 v226, 14
.LBB106_295:                            ; =>This Inner Loop Header: Depth=1
	ds_read2_b64 v[232:235], v227 offset1:1
	s_waitcnt lgkmcnt(1)
	v_xor_b32_e32 v223, 0x80000000, v217
	v_xor_b32_e32 v231, 0x80000000, v219
	v_cmp_gt_f64_e32 vcc, 0, v[218:219]
	v_cmp_gt_f64_e64 s[0:1], 0, v[216:217]
	v_mov_b32_e32 v222, v216
	v_mov_b32_e32 v236, v218
	v_cndmask_b32_e64 v223, v217, v223, s[0:1]
	v_cndmask_b32_e32 v237, v219, v231, vcc
	s_waitcnt lgkmcnt(0)
	v_xor_b32_e32 v231, 0x80000000, v233
	v_xor_b32_e32 v239, 0x80000000, v235
	v_cmp_gt_f64_e32 vcc, 0, v[234:235]
	v_cmp_gt_f64_e64 s[0:1], 0, v[232:233]
	v_add_f64 v[222:223], v[222:223], v[236:237]
	v_mov_b32_e32 v236, v232
	v_mov_b32_e32 v238, v234
	v_cndmask_b32_e64 v237, v233, v231, s[0:1]
	v_cndmask_b32_e32 v239, v235, v239, vcc
	v_add_f64 v[236:237], v[236:237], v[238:239]
	v_mov_b32_e32 v240, s16
	s_add_i32 s16, s16, 1
	v_cmp_lt_f64_e32 vcc, v[222:223], v[236:237]
	v_add_u32_e32 v227, 16, v227
	s_cmp_lg_u32 s20, s16
	v_cndmask_b32_e32 v217, v217, v233, vcc
	v_cndmask_b32_e32 v216, v216, v232, vcc
	;; [unrolled: 1-line block ×5, first 2 shown]
	s_cbranch_scc1 .LBB106_295
.LBB106_296:
	s_waitcnt lgkmcnt(0)
	v_cmp_eq_f64_e32 vcc, 0, v[216:217]
	v_cmp_eq_f64_e64 s[0:1], 0, v[218:219]
	s_and_b64 s[0:1], vcc, s[0:1]
	s_and_saveexec_b64 s[16:17], s[0:1]
	s_xor_b64 s[0:1], exec, s[16:17]
; %bb.297:
	v_cmp_ne_u32_e32 vcc, 0, v230
	s_nop 1
	v_cndmask_b32_e32 v230, 15, v230, vcc
; %bb.298:
	s_andn2_saveexec_b64 s[0:1], s[0:1]
	s_cbranch_execz .LBB106_304
; %bb.299:
	v_cmp_ngt_f64_e64 s[16:17], |v[216:217]|, |v[218:219]|
	s_and_saveexec_b64 s[18:19], s[16:17]
	s_xor_b64 s[16:17], exec, s[18:19]
	s_cbranch_execz .LBB106_301
; %bb.300:
	v_div_scale_f64 v[222:223], s[18:19], v[218:219], v[218:219], v[216:217]
	v_rcp_f64_e32 v[232:233], v[222:223]
	v_div_scale_f64 v[234:235], vcc, v[216:217], v[218:219], v[216:217]
	v_fma_f64 v[236:237], -v[222:223], v[232:233], 1.0
	v_fmac_f64_e32 v[232:233], v[232:233], v[236:237]
	v_fma_f64 v[236:237], -v[222:223], v[232:233], 1.0
	v_fmac_f64_e32 v[232:233], v[232:233], v[236:237]
	v_mul_f64 v[236:237], v[234:235], v[232:233]
	v_fma_f64 v[222:223], -v[222:223], v[236:237], v[234:235]
	v_div_fmas_f64 v[222:223], v[222:223], v[232:233], v[236:237]
	v_div_fixup_f64 v[222:223], v[222:223], v[218:219], v[216:217]
	v_fmac_f64_e32 v[218:219], v[216:217], v[222:223]
	v_div_scale_f64 v[216:217], s[18:19], v[218:219], v[218:219], 1.0
	v_rcp_f64_e32 v[232:233], v[216:217]
	s_nop 0
	v_fma_f64 v[234:235], -v[216:217], v[232:233], 1.0
	v_fmac_f64_e32 v[232:233], v[232:233], v[234:235]
	v_fma_f64 v[234:235], -v[216:217], v[232:233], 1.0
	v_fmac_f64_e32 v[232:233], v[232:233], v[234:235]
	v_div_scale_f64 v[234:235], vcc, 1.0, v[218:219], 1.0
	v_mul_f64 v[236:237], v[234:235], v[232:233]
	v_fma_f64 v[216:217], -v[216:217], v[236:237], v[234:235]
	s_nop 1
	v_div_fmas_f64 v[216:217], v[216:217], v[232:233], v[236:237]
	v_div_fixup_f64 v[218:219], v[216:217], v[218:219], 1.0
	v_mul_f64 v[216:217], v[222:223], v[218:219]
	v_xor_b32_e32 v219, 0x80000000, v219
.LBB106_301:
	s_andn2_saveexec_b64 s[16:17], s[16:17]
	s_cbranch_execz .LBB106_303
; %bb.302:
	v_div_scale_f64 v[222:223], s[18:19], v[216:217], v[216:217], v[218:219]
	v_rcp_f64_e32 v[232:233], v[222:223]
	v_div_scale_f64 v[234:235], vcc, v[218:219], v[216:217], v[218:219]
	v_fma_f64 v[236:237], -v[222:223], v[232:233], 1.0
	v_fmac_f64_e32 v[232:233], v[232:233], v[236:237]
	v_fma_f64 v[236:237], -v[222:223], v[232:233], 1.0
	v_fmac_f64_e32 v[232:233], v[232:233], v[236:237]
	v_mul_f64 v[236:237], v[234:235], v[232:233]
	v_fma_f64 v[222:223], -v[222:223], v[236:237], v[234:235]
	v_div_fmas_f64 v[222:223], v[222:223], v[232:233], v[236:237]
	v_div_fixup_f64 v[222:223], v[222:223], v[216:217], v[218:219]
	v_fmac_f64_e32 v[216:217], v[218:219], v[222:223]
	v_div_scale_f64 v[218:219], s[18:19], v[216:217], v[216:217], 1.0
	v_rcp_f64_e32 v[232:233], v[218:219]
	s_nop 0
	v_fma_f64 v[234:235], -v[218:219], v[232:233], 1.0
	v_fmac_f64_e32 v[232:233], v[232:233], v[234:235]
	v_fma_f64 v[234:235], -v[218:219], v[232:233], 1.0
	v_fmac_f64_e32 v[232:233], v[232:233], v[234:235]
	v_div_scale_f64 v[234:235], vcc, 1.0, v[216:217], 1.0
	v_mul_f64 v[236:237], v[234:235], v[232:233]
	v_fma_f64 v[218:219], -v[218:219], v[236:237], v[234:235]
	s_nop 1
	v_div_fmas_f64 v[218:219], v[218:219], v[232:233], v[236:237]
	v_div_fixup_f64 v[216:217], v[218:219], v[216:217], 1.0
	v_mul_f64 v[218:219], v[222:223], -v[216:217]
.LBB106_303:
	s_or_b64 exec, exec, s[16:17]
.LBB106_304:
	s_or_b64 exec, exec, s[0:1]
	v_cmp_ne_u32_e32 vcc, v229, v226
	s_and_saveexec_b64 s[0:1], vcc
	s_xor_b64 s[0:1], exec, s[0:1]
	s_cbranch_execz .LBB106_310
; %bb.305:
	v_cmp_eq_u32_e32 vcc, 14, v229
	s_and_saveexec_b64 s[16:17], vcc
	s_cbranch_execz .LBB106_309
; %bb.306:
	v_cmp_ne_u32_e32 vcc, 14, v226
	s_xor_b64 s[18:19], s[14:15], -1
	s_and_b64 s[22:23], s[18:19], vcc
	s_and_saveexec_b64 s[18:19], s[22:23]
	s_cbranch_execz .LBB106_308
; %bb.307:
	v_ashrrev_i32_e32 v227, 31, v226
	s_waitcnt vmcnt(0)
	v_lshl_add_u64 v[222:223], v[226:227], 2, v[224:225]
	global_load_dword v227, v[222:223], off
	global_load_dword v229, v[224:225], off offset:56
	s_waitcnt vmcnt(1)
	global_store_dword v[224:225], v227, off offset:56
	s_waitcnt vmcnt(1)
	global_store_dword v[222:223], v229, off
.LBB106_308:
	s_or_b64 exec, exec, s[18:19]
	v_mov_b32_e32 v229, v226
	v_mov_b32_e32 v220, v226
.LBB106_309:
	s_or_b64 exec, exec, s[16:17]
.LBB106_310:
	s_andn2_saveexec_b64 s[0:1], s[0:1]
	s_cbranch_execz .LBB106_312
; %bb.311:
	v_mov_b32_e32 v229, 14
	s_waitcnt vmcnt(39)
	ds_write2_b64 v228, v[156:157], v[158:159] offset0:30 offset1:31
	s_waitcnt vmcnt(38)
	ds_write2_b64 v228, v[152:153], v[154:155] offset0:32 offset1:33
	;; [unrolled: 2-line block ×39, first 2 shown]
.LBB106_312:
	s_or_b64 exec, exec, s[0:1]
	v_cmp_lt_i32_e32 vcc, 14, v229
	s_waitcnt lgkmcnt(0)
	s_barrier
	s_and_saveexec_b64 s[0:1], vcc
	s_cbranch_execz .LBB106_314
; %bb.313:
	ds_read2_b64 v[232:235], v228 offset0:30 offset1:31
	v_mul_f64 v[222:223], v[218:219], v[162:163]
	v_mul_f64 v[162:163], v[216:217], v[162:163]
	v_fma_f64 v[226:227], v[216:217], v[160:161], -v[222:223]
	v_fmac_f64_e32 v[162:163], v[218:219], v[160:161]
	ds_read2_b64 v[216:219], v228 offset0:32 offset1:33
	s_waitcnt lgkmcnt(1)
	v_mul_f64 v[160:161], v[234:235], v[162:163]
	v_fma_f64 v[160:161], v[232:233], v[226:227], -v[160:161]
	v_mul_f64 v[222:223], v[232:233], v[162:163]
	s_waitcnt vmcnt(39)
	v_add_f64 v[156:157], v[156:157], -v[160:161]
	s_waitcnt lgkmcnt(0)
	v_mul_f64 v[160:161], v[218:219], v[162:163]
	v_fmac_f64_e32 v[222:223], v[234:235], v[226:227]
	v_fma_f64 v[160:161], v[216:217], v[226:227], -v[160:161]
	v_mul_f64 v[216:217], v[216:217], v[162:163]
	ds_read2_b64 v[232:235], v228 offset0:34 offset1:35
	v_fmac_f64_e32 v[216:217], v[218:219], v[226:227]
	s_waitcnt vmcnt(38)
	v_add_f64 v[154:155], v[154:155], -v[216:217]
	ds_read2_b64 v[216:219], v228 offset0:36 offset1:37
	v_add_f64 v[152:153], v[152:153], -v[160:161]
	s_waitcnt lgkmcnt(1)
	v_mul_f64 v[160:161], v[234:235], v[162:163]
	v_fma_f64 v[160:161], v[232:233], v[226:227], -v[160:161]
	v_add_f64 v[158:159], v[158:159], -v[222:223]
	v_mul_f64 v[222:223], v[232:233], v[162:163]
	s_waitcnt vmcnt(37)
	v_add_f64 v[144:145], v[144:145], -v[160:161]
	s_waitcnt lgkmcnt(0)
	v_mul_f64 v[160:161], v[218:219], v[162:163]
	v_fmac_f64_e32 v[222:223], v[234:235], v[226:227]
	v_fma_f64 v[160:161], v[216:217], v[226:227], -v[160:161]
	v_mul_f64 v[216:217], v[216:217], v[162:163]
	ds_read2_b64 v[232:235], v228 offset0:38 offset1:39
	v_fmac_f64_e32 v[216:217], v[218:219], v[226:227]
	s_waitcnt vmcnt(36)
	v_add_f64 v[138:139], v[138:139], -v[216:217]
	ds_read2_b64 v[216:219], v228 offset0:40 offset1:41
	v_add_f64 v[136:137], v[136:137], -v[160:161]
	s_waitcnt lgkmcnt(1)
	v_mul_f64 v[160:161], v[234:235], v[162:163]
	v_fma_f64 v[160:161], v[232:233], v[226:227], -v[160:161]
	v_add_f64 v[146:147], v[146:147], -v[222:223]
	;; [unrolled: 18-line block ×16, first 2 shown]
	v_mul_f64 v[222:223], v[232:233], v[162:163]
	s_waitcnt vmcnt(7)
	v_add_f64 v[20:21], v[20:21], -v[160:161]
	s_waitcnt lgkmcnt(0)
	v_mul_f64 v[160:161], v[218:219], v[162:163]
	v_fmac_f64_e32 v[222:223], v[234:235], v[226:227]
	v_fma_f64 v[160:161], v[216:217], v[226:227], -v[160:161]
	v_mul_f64 v[216:217], v[216:217], v[162:163]
	ds_read2_b64 v[232:235], v228 offset0:98 offset1:99
	v_fmac_f64_e32 v[216:217], v[218:219], v[226:227]
	s_waitcnt vmcnt(6)
	v_add_f64 v[18:19], v[18:19], -v[216:217]
	ds_read2_b64 v[216:219], v228 offset0:100 offset1:101
	v_add_f64 v[16:17], v[16:17], -v[160:161]
	s_waitcnt lgkmcnt(1)
	v_mul_f64 v[160:161], v[234:235], v[162:163]
	v_add_f64 v[22:23], v[22:23], -v[222:223]
	v_fma_f64 v[160:161], v[232:233], v[226:227], -v[160:161]
	v_mul_f64 v[222:223], v[232:233], v[162:163]
	v_fmac_f64_e32 v[222:223], v[234:235], v[226:227]
	s_waitcnt vmcnt(5)
	v_add_f64 v[12:13], v[12:13], -v[160:161]
	s_waitcnt lgkmcnt(0)
	v_mul_f64 v[160:161], v[218:219], v[162:163]
	ds_read2_b64 v[232:235], v228 offset0:102 offset1:103
	v_fma_f64 v[160:161], v[216:217], v[226:227], -v[160:161]
	v_mul_f64 v[216:217], v[216:217], v[162:163]
	v_fmac_f64_e32 v[216:217], v[218:219], v[226:227]
	s_waitcnt vmcnt(4)
	v_add_f64 v[10:11], v[10:11], -v[216:217]
	ds_read2_b64 v[216:219], v228 offset0:104 offset1:105
	v_add_f64 v[14:15], v[14:15], -v[222:223]
	v_add_f64 v[8:9], v[8:9], -v[160:161]
	s_waitcnt lgkmcnt(1)
	v_mul_f64 v[160:161], v[234:235], v[162:163]
	v_mul_f64 v[222:223], v[232:233], v[162:163]
	v_fma_f64 v[160:161], v[232:233], v[226:227], -v[160:161]
	v_fmac_f64_e32 v[222:223], v[234:235], v[226:227]
	ds_read2_b64 v[232:235], v228 offset0:106 offset1:107
	s_waitcnt vmcnt(3)
	v_add_f64 v[4:5], v[4:5], -v[160:161]
	s_waitcnt lgkmcnt(1)
	v_mul_f64 v[160:161], v[218:219], v[162:163]
	v_fma_f64 v[160:161], v[216:217], v[226:227], -v[160:161]
	v_mul_f64 v[216:217], v[216:217], v[162:163]
	v_fmac_f64_e32 v[216:217], v[218:219], v[226:227]
	s_waitcnt vmcnt(2)
	v_add_f64 v[0:1], v[0:1], -v[160:161]
	v_add_f64 v[2:3], v[2:3], -v[216:217]
	s_waitcnt lgkmcnt(0)
	v_mul_f64 v[160:161], v[234:235], v[162:163]
	v_mul_f64 v[216:217], v[232:233], v[162:163]
	v_fma_f64 v[160:161], v[232:233], v[226:227], -v[160:161]
	v_fmac_f64_e32 v[216:217], v[234:235], v[226:227]
	v_add_f64 v[6:7], v[6:7], -v[222:223]
	s_waitcnt vmcnt(1)
	v_add_f64 v[212:213], v[212:213], -v[160:161]
	v_add_f64 v[214:215], v[214:215], -v[216:217]
	v_mov_b64_e32 v[160:161], v[226:227]
.LBB106_314:
	s_or_b64 exec, exec, s[0:1]
	v_lshl_add_u32 v216, v229, 4, v228
	s_barrier
	s_waitcnt vmcnt(39)
	ds_write2_b64 v216, v[156:157], v[158:159] offset1:1
	s_waitcnt lgkmcnt(0)
	s_barrier
	ds_read2_b64 v[216:219], v228 offset0:30 offset1:31
	s_cmp_lt_i32 s20, 17
	v_mov_b32_e32 v226, 15
	s_cbranch_scc1 .LBB106_317
; %bb.315:
	v_add_u32_e32 v227, 0x100, v228
	s_mov_b32 s16, 16
	v_mov_b32_e32 v226, 15
.LBB106_316:                            ; =>This Inner Loop Header: Depth=1
	ds_read2_b64 v[232:235], v227 offset1:1
	s_waitcnt lgkmcnt(1)
	v_xor_b32_e32 v223, 0x80000000, v217
	v_xor_b32_e32 v231, 0x80000000, v219
	v_cmp_gt_f64_e32 vcc, 0, v[218:219]
	v_cmp_gt_f64_e64 s[0:1], 0, v[216:217]
	v_mov_b32_e32 v222, v216
	v_mov_b32_e32 v236, v218
	v_cndmask_b32_e64 v223, v217, v223, s[0:1]
	v_cndmask_b32_e32 v237, v219, v231, vcc
	s_waitcnt lgkmcnt(0)
	v_xor_b32_e32 v231, 0x80000000, v233
	v_xor_b32_e32 v239, 0x80000000, v235
	v_cmp_gt_f64_e32 vcc, 0, v[234:235]
	v_cmp_gt_f64_e64 s[0:1], 0, v[232:233]
	v_add_f64 v[222:223], v[222:223], v[236:237]
	v_mov_b32_e32 v236, v232
	v_mov_b32_e32 v238, v234
	v_cndmask_b32_e64 v237, v233, v231, s[0:1]
	v_cndmask_b32_e32 v239, v235, v239, vcc
	v_add_f64 v[236:237], v[236:237], v[238:239]
	v_mov_b32_e32 v240, s16
	s_add_i32 s16, s16, 1
	v_cmp_lt_f64_e32 vcc, v[222:223], v[236:237]
	v_add_u32_e32 v227, 16, v227
	s_cmp_lg_u32 s20, s16
	v_cndmask_b32_e32 v217, v217, v233, vcc
	v_cndmask_b32_e32 v216, v216, v232, vcc
	;; [unrolled: 1-line block ×5, first 2 shown]
	s_cbranch_scc1 .LBB106_316
.LBB106_317:
	s_waitcnt lgkmcnt(0)
	v_cmp_eq_f64_e32 vcc, 0, v[216:217]
	v_cmp_eq_f64_e64 s[0:1], 0, v[218:219]
	s_and_b64 s[0:1], vcc, s[0:1]
	s_and_saveexec_b64 s[16:17], s[0:1]
	s_xor_b64 s[0:1], exec, s[16:17]
; %bb.318:
	v_cmp_ne_u32_e32 vcc, 0, v230
	s_nop 1
	v_cndmask_b32_e32 v230, 16, v230, vcc
; %bb.319:
	s_andn2_saveexec_b64 s[0:1], s[0:1]
	s_cbranch_execz .LBB106_325
; %bb.320:
	v_cmp_ngt_f64_e64 s[16:17], |v[216:217]|, |v[218:219]|
	s_and_saveexec_b64 s[18:19], s[16:17]
	s_xor_b64 s[16:17], exec, s[18:19]
	s_cbranch_execz .LBB106_322
; %bb.321:
	v_div_scale_f64 v[222:223], s[18:19], v[218:219], v[218:219], v[216:217]
	v_rcp_f64_e32 v[232:233], v[222:223]
	v_div_scale_f64 v[234:235], vcc, v[216:217], v[218:219], v[216:217]
	v_fma_f64 v[236:237], -v[222:223], v[232:233], 1.0
	v_fmac_f64_e32 v[232:233], v[232:233], v[236:237]
	v_fma_f64 v[236:237], -v[222:223], v[232:233], 1.0
	v_fmac_f64_e32 v[232:233], v[232:233], v[236:237]
	v_mul_f64 v[236:237], v[234:235], v[232:233]
	v_fma_f64 v[222:223], -v[222:223], v[236:237], v[234:235]
	v_div_fmas_f64 v[222:223], v[222:223], v[232:233], v[236:237]
	v_div_fixup_f64 v[222:223], v[222:223], v[218:219], v[216:217]
	v_fmac_f64_e32 v[218:219], v[216:217], v[222:223]
	v_div_scale_f64 v[216:217], s[18:19], v[218:219], v[218:219], 1.0
	v_rcp_f64_e32 v[232:233], v[216:217]
	s_nop 0
	v_fma_f64 v[234:235], -v[216:217], v[232:233], 1.0
	v_fmac_f64_e32 v[232:233], v[232:233], v[234:235]
	v_fma_f64 v[234:235], -v[216:217], v[232:233], 1.0
	v_fmac_f64_e32 v[232:233], v[232:233], v[234:235]
	v_div_scale_f64 v[234:235], vcc, 1.0, v[218:219], 1.0
	v_mul_f64 v[236:237], v[234:235], v[232:233]
	v_fma_f64 v[216:217], -v[216:217], v[236:237], v[234:235]
	s_nop 1
	v_div_fmas_f64 v[216:217], v[216:217], v[232:233], v[236:237]
	v_div_fixup_f64 v[218:219], v[216:217], v[218:219], 1.0
	v_mul_f64 v[216:217], v[222:223], v[218:219]
	v_xor_b32_e32 v219, 0x80000000, v219
.LBB106_322:
	s_andn2_saveexec_b64 s[16:17], s[16:17]
	s_cbranch_execz .LBB106_324
; %bb.323:
	v_div_scale_f64 v[222:223], s[18:19], v[216:217], v[216:217], v[218:219]
	v_rcp_f64_e32 v[232:233], v[222:223]
	v_div_scale_f64 v[234:235], vcc, v[218:219], v[216:217], v[218:219]
	v_fma_f64 v[236:237], -v[222:223], v[232:233], 1.0
	v_fmac_f64_e32 v[232:233], v[232:233], v[236:237]
	v_fma_f64 v[236:237], -v[222:223], v[232:233], 1.0
	v_fmac_f64_e32 v[232:233], v[232:233], v[236:237]
	v_mul_f64 v[236:237], v[234:235], v[232:233]
	v_fma_f64 v[222:223], -v[222:223], v[236:237], v[234:235]
	v_div_fmas_f64 v[222:223], v[222:223], v[232:233], v[236:237]
	v_div_fixup_f64 v[222:223], v[222:223], v[216:217], v[218:219]
	v_fmac_f64_e32 v[216:217], v[218:219], v[222:223]
	v_div_scale_f64 v[218:219], s[18:19], v[216:217], v[216:217], 1.0
	v_rcp_f64_e32 v[232:233], v[218:219]
	s_nop 0
	v_fma_f64 v[234:235], -v[218:219], v[232:233], 1.0
	v_fmac_f64_e32 v[232:233], v[232:233], v[234:235]
	v_fma_f64 v[234:235], -v[218:219], v[232:233], 1.0
	v_fmac_f64_e32 v[232:233], v[232:233], v[234:235]
	v_div_scale_f64 v[234:235], vcc, 1.0, v[216:217], 1.0
	v_mul_f64 v[236:237], v[234:235], v[232:233]
	v_fma_f64 v[218:219], -v[218:219], v[236:237], v[234:235]
	s_nop 1
	v_div_fmas_f64 v[218:219], v[218:219], v[232:233], v[236:237]
	v_div_fixup_f64 v[216:217], v[218:219], v[216:217], 1.0
	v_mul_f64 v[218:219], v[222:223], -v[216:217]
.LBB106_324:
	s_or_b64 exec, exec, s[16:17]
.LBB106_325:
	s_or_b64 exec, exec, s[0:1]
	v_cmp_ne_u32_e32 vcc, v229, v226
	s_and_saveexec_b64 s[0:1], vcc
	s_xor_b64 s[0:1], exec, s[0:1]
	s_cbranch_execz .LBB106_331
; %bb.326:
	v_cmp_eq_u32_e32 vcc, 15, v229
	s_and_saveexec_b64 s[16:17], vcc
	s_cbranch_execz .LBB106_330
; %bb.327:
	v_cmp_ne_u32_e32 vcc, 15, v226
	s_xor_b64 s[18:19], s[14:15], -1
	s_and_b64 s[22:23], s[18:19], vcc
	s_and_saveexec_b64 s[18:19], s[22:23]
	s_cbranch_execz .LBB106_329
; %bb.328:
	v_ashrrev_i32_e32 v227, 31, v226
	s_waitcnt vmcnt(0)
	v_lshl_add_u64 v[222:223], v[226:227], 2, v[224:225]
	global_load_dword v227, v[222:223], off
	global_load_dword v229, v[224:225], off offset:60
	s_waitcnt vmcnt(1)
	global_store_dword v[224:225], v227, off offset:60
	s_waitcnt vmcnt(1)
	global_store_dword v[222:223], v229, off
.LBB106_329:
	s_or_b64 exec, exec, s[18:19]
	v_mov_b32_e32 v229, v226
	v_mov_b32_e32 v220, v226
.LBB106_330:
	s_or_b64 exec, exec, s[16:17]
.LBB106_331:
	s_andn2_saveexec_b64 s[0:1], s[0:1]
	s_cbranch_execz .LBB106_333
; %bb.332:
	v_mov_b32_e32 v229, 15
	s_waitcnt vmcnt(38)
	ds_write2_b64 v228, v[152:153], v[154:155] offset0:32 offset1:33
	s_waitcnt vmcnt(37)
	ds_write2_b64 v228, v[144:145], v[146:147] offset0:34 offset1:35
	;; [unrolled: 2-line block ×38, first 2 shown]
.LBB106_333:
	s_or_b64 exec, exec, s[0:1]
	v_cmp_lt_i32_e32 vcc, 15, v229
	s_waitcnt lgkmcnt(0)
	s_barrier
	s_and_saveexec_b64 s[0:1], vcc
	s_cbranch_execz .LBB106_335
; %bb.334:
	ds_read2_b64 v[232:235], v228 offset0:32 offset1:33
	v_mul_f64 v[222:223], v[218:219], v[158:159]
	v_mul_f64 v[158:159], v[216:217], v[158:159]
	v_fma_f64 v[226:227], v[216:217], v[156:157], -v[222:223]
	v_fmac_f64_e32 v[158:159], v[218:219], v[156:157]
	ds_read2_b64 v[216:219], v228 offset0:34 offset1:35
	s_waitcnt lgkmcnt(1)
	v_mul_f64 v[156:157], v[234:235], v[158:159]
	v_fma_f64 v[156:157], v[232:233], v[226:227], -v[156:157]
	v_mul_f64 v[222:223], v[232:233], v[158:159]
	s_waitcnt vmcnt(38)
	v_add_f64 v[152:153], v[152:153], -v[156:157]
	s_waitcnt lgkmcnt(0)
	v_mul_f64 v[156:157], v[218:219], v[158:159]
	v_fmac_f64_e32 v[222:223], v[234:235], v[226:227]
	v_fma_f64 v[156:157], v[216:217], v[226:227], -v[156:157]
	v_mul_f64 v[216:217], v[216:217], v[158:159]
	ds_read2_b64 v[232:235], v228 offset0:36 offset1:37
	v_fmac_f64_e32 v[216:217], v[218:219], v[226:227]
	s_waitcnt vmcnt(37)
	v_add_f64 v[146:147], v[146:147], -v[216:217]
	ds_read2_b64 v[216:219], v228 offset0:38 offset1:39
	v_add_f64 v[144:145], v[144:145], -v[156:157]
	s_waitcnt lgkmcnt(1)
	v_mul_f64 v[156:157], v[234:235], v[158:159]
	v_fma_f64 v[156:157], v[232:233], v[226:227], -v[156:157]
	v_add_f64 v[154:155], v[154:155], -v[222:223]
	v_mul_f64 v[222:223], v[232:233], v[158:159]
	s_waitcnt vmcnt(36)
	v_add_f64 v[136:137], v[136:137], -v[156:157]
	s_waitcnt lgkmcnt(0)
	v_mul_f64 v[156:157], v[218:219], v[158:159]
	v_fmac_f64_e32 v[222:223], v[234:235], v[226:227]
	v_fma_f64 v[156:157], v[216:217], v[226:227], -v[156:157]
	v_mul_f64 v[216:217], v[216:217], v[158:159]
	ds_read2_b64 v[232:235], v228 offset0:40 offset1:41
	v_fmac_f64_e32 v[216:217], v[218:219], v[226:227]
	s_waitcnt vmcnt(35)
	v_add_f64 v[134:135], v[134:135], -v[216:217]
	ds_read2_b64 v[216:219], v228 offset0:42 offset1:43
	v_add_f64 v[132:133], v[132:133], -v[156:157]
	s_waitcnt lgkmcnt(1)
	v_mul_f64 v[156:157], v[234:235], v[158:159]
	v_fma_f64 v[156:157], v[232:233], v[226:227], -v[156:157]
	v_add_f64 v[138:139], v[138:139], -v[222:223]
	;; [unrolled: 18-line block ×17, first 2 shown]
	v_mul_f64 v[222:223], v[232:233], v[158:159]
	s_waitcnt vmcnt(4)
	v_add_f64 v[8:9], v[8:9], -v[156:157]
	s_waitcnt lgkmcnt(0)
	v_mul_f64 v[156:157], v[218:219], v[158:159]
	v_fmac_f64_e32 v[222:223], v[234:235], v[226:227]
	v_fma_f64 v[156:157], v[216:217], v[226:227], -v[156:157]
	v_mul_f64 v[216:217], v[216:217], v[158:159]
	ds_read2_b64 v[232:235], v228 offset0:104 offset1:105
	v_fmac_f64_e32 v[216:217], v[218:219], v[226:227]
	s_waitcnt vmcnt(3)
	v_add_f64 v[6:7], v[6:7], -v[216:217]
	ds_read2_b64 v[216:219], v228 offset0:106 offset1:107
	v_add_f64 v[4:5], v[4:5], -v[156:157]
	s_waitcnt lgkmcnt(1)
	v_mul_f64 v[156:157], v[234:235], v[158:159]
	v_fma_f64 v[156:157], v[232:233], v[226:227], -v[156:157]
	s_waitcnt vmcnt(2)
	v_add_f64 v[0:1], v[0:1], -v[156:157]
	s_waitcnt lgkmcnt(0)
	v_mul_f64 v[156:157], v[218:219], v[158:159]
	v_add_f64 v[10:11], v[10:11], -v[222:223]
	v_mul_f64 v[222:223], v[232:233], v[158:159]
	v_fma_f64 v[156:157], v[216:217], v[226:227], -v[156:157]
	v_mul_f64 v[216:217], v[216:217], v[158:159]
	v_fmac_f64_e32 v[222:223], v[234:235], v[226:227]
	v_fmac_f64_e32 v[216:217], v[218:219], v[226:227]
	v_add_f64 v[2:3], v[2:3], -v[222:223]
	s_waitcnt vmcnt(1)
	v_add_f64 v[212:213], v[212:213], -v[156:157]
	v_add_f64 v[214:215], v[214:215], -v[216:217]
	v_mov_b64_e32 v[156:157], v[226:227]
.LBB106_335:
	s_or_b64 exec, exec, s[0:1]
	v_lshl_add_u32 v216, v229, 4, v228
	s_barrier
	s_waitcnt vmcnt(38)
	ds_write2_b64 v216, v[152:153], v[154:155] offset1:1
	s_waitcnt lgkmcnt(0)
	s_barrier
	ds_read2_b64 v[216:219], v228 offset0:32 offset1:33
	s_cmp_lt_i32 s20, 18
	v_mov_b32_e32 v226, 16
	s_cbranch_scc1 .LBB106_338
; %bb.336:
	v_add_u32_e32 v227, 0x110, v228
	s_mov_b32 s16, 17
	v_mov_b32_e32 v226, 16
.LBB106_337:                            ; =>This Inner Loop Header: Depth=1
	ds_read2_b64 v[232:235], v227 offset1:1
	s_waitcnt lgkmcnt(1)
	v_xor_b32_e32 v223, 0x80000000, v217
	v_xor_b32_e32 v231, 0x80000000, v219
	v_cmp_gt_f64_e32 vcc, 0, v[218:219]
	v_cmp_gt_f64_e64 s[0:1], 0, v[216:217]
	v_mov_b32_e32 v222, v216
	v_mov_b32_e32 v236, v218
	v_cndmask_b32_e64 v223, v217, v223, s[0:1]
	v_cndmask_b32_e32 v237, v219, v231, vcc
	s_waitcnt lgkmcnt(0)
	v_xor_b32_e32 v231, 0x80000000, v233
	v_xor_b32_e32 v239, 0x80000000, v235
	v_cmp_gt_f64_e32 vcc, 0, v[234:235]
	v_cmp_gt_f64_e64 s[0:1], 0, v[232:233]
	v_add_f64 v[222:223], v[222:223], v[236:237]
	v_mov_b32_e32 v236, v232
	v_mov_b32_e32 v238, v234
	v_cndmask_b32_e64 v237, v233, v231, s[0:1]
	v_cndmask_b32_e32 v239, v235, v239, vcc
	v_add_f64 v[236:237], v[236:237], v[238:239]
	v_mov_b32_e32 v240, s16
	s_add_i32 s16, s16, 1
	v_cmp_lt_f64_e32 vcc, v[222:223], v[236:237]
	v_add_u32_e32 v227, 16, v227
	s_cmp_lg_u32 s20, s16
	v_cndmask_b32_e32 v217, v217, v233, vcc
	v_cndmask_b32_e32 v216, v216, v232, vcc
	;; [unrolled: 1-line block ×5, first 2 shown]
	s_cbranch_scc1 .LBB106_337
.LBB106_338:
	s_waitcnt lgkmcnt(0)
	v_cmp_eq_f64_e32 vcc, 0, v[216:217]
	v_cmp_eq_f64_e64 s[0:1], 0, v[218:219]
	s_and_b64 s[0:1], vcc, s[0:1]
	s_and_saveexec_b64 s[16:17], s[0:1]
	s_xor_b64 s[0:1], exec, s[16:17]
; %bb.339:
	v_cmp_ne_u32_e32 vcc, 0, v230
	s_nop 1
	v_cndmask_b32_e32 v230, 17, v230, vcc
; %bb.340:
	s_andn2_saveexec_b64 s[0:1], s[0:1]
	s_cbranch_execz .LBB106_346
; %bb.341:
	v_cmp_ngt_f64_e64 s[16:17], |v[216:217]|, |v[218:219]|
	s_and_saveexec_b64 s[18:19], s[16:17]
	s_xor_b64 s[16:17], exec, s[18:19]
	s_cbranch_execz .LBB106_343
; %bb.342:
	v_div_scale_f64 v[222:223], s[18:19], v[218:219], v[218:219], v[216:217]
	v_rcp_f64_e32 v[232:233], v[222:223]
	v_div_scale_f64 v[234:235], vcc, v[216:217], v[218:219], v[216:217]
	v_fma_f64 v[236:237], -v[222:223], v[232:233], 1.0
	v_fmac_f64_e32 v[232:233], v[232:233], v[236:237]
	v_fma_f64 v[236:237], -v[222:223], v[232:233], 1.0
	v_fmac_f64_e32 v[232:233], v[232:233], v[236:237]
	v_mul_f64 v[236:237], v[234:235], v[232:233]
	v_fma_f64 v[222:223], -v[222:223], v[236:237], v[234:235]
	v_div_fmas_f64 v[222:223], v[222:223], v[232:233], v[236:237]
	v_div_fixup_f64 v[222:223], v[222:223], v[218:219], v[216:217]
	v_fmac_f64_e32 v[218:219], v[216:217], v[222:223]
	v_div_scale_f64 v[216:217], s[18:19], v[218:219], v[218:219], 1.0
	v_rcp_f64_e32 v[232:233], v[216:217]
	s_nop 0
	v_fma_f64 v[234:235], -v[216:217], v[232:233], 1.0
	v_fmac_f64_e32 v[232:233], v[232:233], v[234:235]
	v_fma_f64 v[234:235], -v[216:217], v[232:233], 1.0
	v_fmac_f64_e32 v[232:233], v[232:233], v[234:235]
	v_div_scale_f64 v[234:235], vcc, 1.0, v[218:219], 1.0
	v_mul_f64 v[236:237], v[234:235], v[232:233]
	v_fma_f64 v[216:217], -v[216:217], v[236:237], v[234:235]
	s_nop 1
	v_div_fmas_f64 v[216:217], v[216:217], v[232:233], v[236:237]
	v_div_fixup_f64 v[218:219], v[216:217], v[218:219], 1.0
	v_mul_f64 v[216:217], v[222:223], v[218:219]
	v_xor_b32_e32 v219, 0x80000000, v219
.LBB106_343:
	s_andn2_saveexec_b64 s[16:17], s[16:17]
	s_cbranch_execz .LBB106_345
; %bb.344:
	v_div_scale_f64 v[222:223], s[18:19], v[216:217], v[216:217], v[218:219]
	v_rcp_f64_e32 v[232:233], v[222:223]
	v_div_scale_f64 v[234:235], vcc, v[218:219], v[216:217], v[218:219]
	v_fma_f64 v[236:237], -v[222:223], v[232:233], 1.0
	v_fmac_f64_e32 v[232:233], v[232:233], v[236:237]
	v_fma_f64 v[236:237], -v[222:223], v[232:233], 1.0
	v_fmac_f64_e32 v[232:233], v[232:233], v[236:237]
	v_mul_f64 v[236:237], v[234:235], v[232:233]
	v_fma_f64 v[222:223], -v[222:223], v[236:237], v[234:235]
	v_div_fmas_f64 v[222:223], v[222:223], v[232:233], v[236:237]
	v_div_fixup_f64 v[222:223], v[222:223], v[216:217], v[218:219]
	v_fmac_f64_e32 v[216:217], v[218:219], v[222:223]
	v_div_scale_f64 v[218:219], s[18:19], v[216:217], v[216:217], 1.0
	v_rcp_f64_e32 v[232:233], v[218:219]
	s_nop 0
	v_fma_f64 v[234:235], -v[218:219], v[232:233], 1.0
	v_fmac_f64_e32 v[232:233], v[232:233], v[234:235]
	v_fma_f64 v[234:235], -v[218:219], v[232:233], 1.0
	v_fmac_f64_e32 v[232:233], v[232:233], v[234:235]
	v_div_scale_f64 v[234:235], vcc, 1.0, v[216:217], 1.0
	v_mul_f64 v[236:237], v[234:235], v[232:233]
	v_fma_f64 v[218:219], -v[218:219], v[236:237], v[234:235]
	s_nop 1
	v_div_fmas_f64 v[218:219], v[218:219], v[232:233], v[236:237]
	v_div_fixup_f64 v[216:217], v[218:219], v[216:217], 1.0
	v_mul_f64 v[218:219], v[222:223], -v[216:217]
.LBB106_345:
	s_or_b64 exec, exec, s[16:17]
.LBB106_346:
	s_or_b64 exec, exec, s[0:1]
	v_cmp_ne_u32_e32 vcc, v229, v226
	s_and_saveexec_b64 s[0:1], vcc
	s_xor_b64 s[0:1], exec, s[0:1]
	s_cbranch_execz .LBB106_352
; %bb.347:
	v_cmp_eq_u32_e32 vcc, 16, v229
	s_and_saveexec_b64 s[16:17], vcc
	s_cbranch_execz .LBB106_351
; %bb.348:
	v_cmp_ne_u32_e32 vcc, 16, v226
	s_xor_b64 s[18:19], s[14:15], -1
	s_and_b64 s[22:23], s[18:19], vcc
	s_and_saveexec_b64 s[18:19], s[22:23]
	s_cbranch_execz .LBB106_350
; %bb.349:
	v_ashrrev_i32_e32 v227, 31, v226
	s_waitcnt vmcnt(0)
	v_lshl_add_u64 v[222:223], v[226:227], 2, v[224:225]
	global_load_dword v227, v[222:223], off
	global_load_dword v229, v[224:225], off offset:64
	s_waitcnt vmcnt(1)
	global_store_dword v[224:225], v227, off offset:64
	s_waitcnt vmcnt(1)
	global_store_dword v[222:223], v229, off
.LBB106_350:
	s_or_b64 exec, exec, s[18:19]
	v_mov_b32_e32 v229, v226
	v_mov_b32_e32 v220, v226
.LBB106_351:
	s_or_b64 exec, exec, s[16:17]
.LBB106_352:
	s_andn2_saveexec_b64 s[0:1], s[0:1]
	s_cbranch_execz .LBB106_354
; %bb.353:
	v_mov_b32_e32 v229, 16
	s_waitcnt vmcnt(37)
	ds_write2_b64 v228, v[144:145], v[146:147] offset0:34 offset1:35
	s_waitcnt vmcnt(36)
	ds_write2_b64 v228, v[136:137], v[138:139] offset0:36 offset1:37
	;; [unrolled: 2-line block ×37, first 2 shown]
.LBB106_354:
	s_or_b64 exec, exec, s[0:1]
	v_cmp_lt_i32_e32 vcc, 16, v229
	s_waitcnt lgkmcnt(0)
	s_barrier
	s_and_saveexec_b64 s[0:1], vcc
	s_cbranch_execz .LBB106_356
; %bb.355:
	ds_read2_b64 v[232:235], v228 offset0:34 offset1:35
	v_mul_f64 v[222:223], v[218:219], v[154:155]
	v_mul_f64 v[154:155], v[216:217], v[154:155]
	v_fma_f64 v[226:227], v[216:217], v[152:153], -v[222:223]
	v_fmac_f64_e32 v[154:155], v[218:219], v[152:153]
	ds_read2_b64 v[216:219], v228 offset0:36 offset1:37
	s_waitcnt lgkmcnt(1)
	v_mul_f64 v[152:153], v[234:235], v[154:155]
	v_fma_f64 v[152:153], v[232:233], v[226:227], -v[152:153]
	v_mul_f64 v[222:223], v[232:233], v[154:155]
	s_waitcnt vmcnt(37)
	v_add_f64 v[144:145], v[144:145], -v[152:153]
	s_waitcnt lgkmcnt(0)
	v_mul_f64 v[152:153], v[218:219], v[154:155]
	v_fmac_f64_e32 v[222:223], v[234:235], v[226:227]
	v_fma_f64 v[152:153], v[216:217], v[226:227], -v[152:153]
	v_mul_f64 v[216:217], v[216:217], v[154:155]
	ds_read2_b64 v[232:235], v228 offset0:38 offset1:39
	v_fmac_f64_e32 v[216:217], v[218:219], v[226:227]
	s_waitcnt vmcnt(36)
	v_add_f64 v[138:139], v[138:139], -v[216:217]
	ds_read2_b64 v[216:219], v228 offset0:40 offset1:41
	v_add_f64 v[136:137], v[136:137], -v[152:153]
	s_waitcnt lgkmcnt(1)
	v_mul_f64 v[152:153], v[234:235], v[154:155]
	v_fma_f64 v[152:153], v[232:233], v[226:227], -v[152:153]
	v_add_f64 v[146:147], v[146:147], -v[222:223]
	v_mul_f64 v[222:223], v[232:233], v[154:155]
	s_waitcnt vmcnt(35)
	v_add_f64 v[132:133], v[132:133], -v[152:153]
	s_waitcnt lgkmcnt(0)
	v_mul_f64 v[152:153], v[218:219], v[154:155]
	v_fmac_f64_e32 v[222:223], v[234:235], v[226:227]
	v_fma_f64 v[152:153], v[216:217], v[226:227], -v[152:153]
	v_mul_f64 v[216:217], v[216:217], v[154:155]
	ds_read2_b64 v[232:235], v228 offset0:42 offset1:43
	v_fmac_f64_e32 v[216:217], v[218:219], v[226:227]
	s_waitcnt vmcnt(34)
	v_add_f64 v[130:131], v[130:131], -v[216:217]
	ds_read2_b64 v[216:219], v228 offset0:44 offset1:45
	v_add_f64 v[128:129], v[128:129], -v[152:153]
	s_waitcnt lgkmcnt(1)
	v_mul_f64 v[152:153], v[234:235], v[154:155]
	v_fma_f64 v[152:153], v[232:233], v[226:227], -v[152:153]
	v_add_f64 v[134:135], v[134:135], -v[222:223]
	;; [unrolled: 18-line block ×15, first 2 shown]
	v_mul_f64 v[222:223], v[232:233], v[154:155]
	s_waitcnt vmcnt(7)
	v_add_f64 v[20:21], v[20:21], -v[152:153]
	s_waitcnt lgkmcnt(0)
	v_mul_f64 v[152:153], v[218:219], v[154:155]
	v_fmac_f64_e32 v[222:223], v[234:235], v[226:227]
	v_fma_f64 v[152:153], v[216:217], v[226:227], -v[152:153]
	v_mul_f64 v[216:217], v[216:217], v[154:155]
	ds_read2_b64 v[232:235], v228 offset0:98 offset1:99
	v_fmac_f64_e32 v[216:217], v[218:219], v[226:227]
	s_waitcnt vmcnt(6)
	v_add_f64 v[18:19], v[18:19], -v[216:217]
	ds_read2_b64 v[216:219], v228 offset0:100 offset1:101
	v_add_f64 v[16:17], v[16:17], -v[152:153]
	s_waitcnt lgkmcnt(1)
	v_mul_f64 v[152:153], v[234:235], v[154:155]
	v_add_f64 v[22:23], v[22:23], -v[222:223]
	v_fma_f64 v[152:153], v[232:233], v[226:227], -v[152:153]
	v_mul_f64 v[222:223], v[232:233], v[154:155]
	v_fmac_f64_e32 v[222:223], v[234:235], v[226:227]
	s_waitcnt vmcnt(5)
	v_add_f64 v[12:13], v[12:13], -v[152:153]
	s_waitcnt lgkmcnt(0)
	v_mul_f64 v[152:153], v[218:219], v[154:155]
	ds_read2_b64 v[232:235], v228 offset0:102 offset1:103
	v_fma_f64 v[152:153], v[216:217], v[226:227], -v[152:153]
	v_mul_f64 v[216:217], v[216:217], v[154:155]
	v_fmac_f64_e32 v[216:217], v[218:219], v[226:227]
	s_waitcnt vmcnt(4)
	v_add_f64 v[10:11], v[10:11], -v[216:217]
	ds_read2_b64 v[216:219], v228 offset0:104 offset1:105
	v_add_f64 v[14:15], v[14:15], -v[222:223]
	v_add_f64 v[8:9], v[8:9], -v[152:153]
	s_waitcnt lgkmcnt(1)
	v_mul_f64 v[152:153], v[234:235], v[154:155]
	v_mul_f64 v[222:223], v[232:233], v[154:155]
	v_fma_f64 v[152:153], v[232:233], v[226:227], -v[152:153]
	v_fmac_f64_e32 v[222:223], v[234:235], v[226:227]
	ds_read2_b64 v[232:235], v228 offset0:106 offset1:107
	s_waitcnt vmcnt(3)
	v_add_f64 v[4:5], v[4:5], -v[152:153]
	s_waitcnt lgkmcnt(1)
	v_mul_f64 v[152:153], v[218:219], v[154:155]
	v_fma_f64 v[152:153], v[216:217], v[226:227], -v[152:153]
	v_mul_f64 v[216:217], v[216:217], v[154:155]
	v_fmac_f64_e32 v[216:217], v[218:219], v[226:227]
	s_waitcnt vmcnt(2)
	v_add_f64 v[0:1], v[0:1], -v[152:153]
	v_add_f64 v[2:3], v[2:3], -v[216:217]
	s_waitcnt lgkmcnt(0)
	v_mul_f64 v[152:153], v[234:235], v[154:155]
	v_mul_f64 v[216:217], v[232:233], v[154:155]
	v_fma_f64 v[152:153], v[232:233], v[226:227], -v[152:153]
	v_fmac_f64_e32 v[216:217], v[234:235], v[226:227]
	v_add_f64 v[6:7], v[6:7], -v[222:223]
	s_waitcnt vmcnt(1)
	v_add_f64 v[212:213], v[212:213], -v[152:153]
	v_add_f64 v[214:215], v[214:215], -v[216:217]
	v_mov_b64_e32 v[152:153], v[226:227]
.LBB106_356:
	s_or_b64 exec, exec, s[0:1]
	v_lshl_add_u32 v216, v229, 4, v228
	s_barrier
	s_waitcnt vmcnt(37)
	ds_write2_b64 v216, v[144:145], v[146:147] offset1:1
	s_waitcnt lgkmcnt(0)
	s_barrier
	ds_read2_b64 v[216:219], v228 offset0:34 offset1:35
	s_cmp_lt_i32 s20, 19
	v_mov_b32_e32 v226, 17
	s_cbranch_scc1 .LBB106_359
; %bb.357:
	v_add_u32_e32 v227, 0x120, v228
	s_mov_b32 s16, 18
	v_mov_b32_e32 v226, 17
.LBB106_358:                            ; =>This Inner Loop Header: Depth=1
	ds_read2_b64 v[232:235], v227 offset1:1
	s_waitcnt lgkmcnt(1)
	v_xor_b32_e32 v223, 0x80000000, v217
	v_xor_b32_e32 v231, 0x80000000, v219
	v_cmp_gt_f64_e32 vcc, 0, v[218:219]
	v_cmp_gt_f64_e64 s[0:1], 0, v[216:217]
	v_mov_b32_e32 v222, v216
	v_mov_b32_e32 v236, v218
	v_cndmask_b32_e64 v223, v217, v223, s[0:1]
	v_cndmask_b32_e32 v237, v219, v231, vcc
	s_waitcnt lgkmcnt(0)
	v_xor_b32_e32 v231, 0x80000000, v233
	v_xor_b32_e32 v239, 0x80000000, v235
	v_cmp_gt_f64_e32 vcc, 0, v[234:235]
	v_cmp_gt_f64_e64 s[0:1], 0, v[232:233]
	v_add_f64 v[222:223], v[222:223], v[236:237]
	v_mov_b32_e32 v236, v232
	v_mov_b32_e32 v238, v234
	v_cndmask_b32_e64 v237, v233, v231, s[0:1]
	v_cndmask_b32_e32 v239, v235, v239, vcc
	v_add_f64 v[236:237], v[236:237], v[238:239]
	v_mov_b32_e32 v240, s16
	s_add_i32 s16, s16, 1
	v_cmp_lt_f64_e32 vcc, v[222:223], v[236:237]
	v_add_u32_e32 v227, 16, v227
	s_cmp_lg_u32 s20, s16
	v_cndmask_b32_e32 v217, v217, v233, vcc
	v_cndmask_b32_e32 v216, v216, v232, vcc
	;; [unrolled: 1-line block ×5, first 2 shown]
	s_cbranch_scc1 .LBB106_358
.LBB106_359:
	s_waitcnt lgkmcnt(0)
	v_cmp_eq_f64_e32 vcc, 0, v[216:217]
	v_cmp_eq_f64_e64 s[0:1], 0, v[218:219]
	s_and_b64 s[0:1], vcc, s[0:1]
	s_and_saveexec_b64 s[16:17], s[0:1]
	s_xor_b64 s[0:1], exec, s[16:17]
; %bb.360:
	v_cmp_ne_u32_e32 vcc, 0, v230
	s_nop 1
	v_cndmask_b32_e32 v230, 18, v230, vcc
; %bb.361:
	s_andn2_saveexec_b64 s[0:1], s[0:1]
	s_cbranch_execz .LBB106_367
; %bb.362:
	v_cmp_ngt_f64_e64 s[16:17], |v[216:217]|, |v[218:219]|
	s_and_saveexec_b64 s[18:19], s[16:17]
	s_xor_b64 s[16:17], exec, s[18:19]
	s_cbranch_execz .LBB106_364
; %bb.363:
	v_div_scale_f64 v[222:223], s[18:19], v[218:219], v[218:219], v[216:217]
	v_rcp_f64_e32 v[232:233], v[222:223]
	v_div_scale_f64 v[234:235], vcc, v[216:217], v[218:219], v[216:217]
	v_fma_f64 v[236:237], -v[222:223], v[232:233], 1.0
	v_fmac_f64_e32 v[232:233], v[232:233], v[236:237]
	v_fma_f64 v[236:237], -v[222:223], v[232:233], 1.0
	v_fmac_f64_e32 v[232:233], v[232:233], v[236:237]
	v_mul_f64 v[236:237], v[234:235], v[232:233]
	v_fma_f64 v[222:223], -v[222:223], v[236:237], v[234:235]
	v_div_fmas_f64 v[222:223], v[222:223], v[232:233], v[236:237]
	v_div_fixup_f64 v[222:223], v[222:223], v[218:219], v[216:217]
	v_fmac_f64_e32 v[218:219], v[216:217], v[222:223]
	v_div_scale_f64 v[216:217], s[18:19], v[218:219], v[218:219], 1.0
	v_rcp_f64_e32 v[232:233], v[216:217]
	s_nop 0
	v_fma_f64 v[234:235], -v[216:217], v[232:233], 1.0
	v_fmac_f64_e32 v[232:233], v[232:233], v[234:235]
	v_fma_f64 v[234:235], -v[216:217], v[232:233], 1.0
	v_fmac_f64_e32 v[232:233], v[232:233], v[234:235]
	v_div_scale_f64 v[234:235], vcc, 1.0, v[218:219], 1.0
	v_mul_f64 v[236:237], v[234:235], v[232:233]
	v_fma_f64 v[216:217], -v[216:217], v[236:237], v[234:235]
	s_nop 1
	v_div_fmas_f64 v[216:217], v[216:217], v[232:233], v[236:237]
	v_div_fixup_f64 v[218:219], v[216:217], v[218:219], 1.0
	v_mul_f64 v[216:217], v[222:223], v[218:219]
	v_xor_b32_e32 v219, 0x80000000, v219
.LBB106_364:
	s_andn2_saveexec_b64 s[16:17], s[16:17]
	s_cbranch_execz .LBB106_366
; %bb.365:
	v_div_scale_f64 v[222:223], s[18:19], v[216:217], v[216:217], v[218:219]
	v_rcp_f64_e32 v[232:233], v[222:223]
	v_div_scale_f64 v[234:235], vcc, v[218:219], v[216:217], v[218:219]
	v_fma_f64 v[236:237], -v[222:223], v[232:233], 1.0
	v_fmac_f64_e32 v[232:233], v[232:233], v[236:237]
	v_fma_f64 v[236:237], -v[222:223], v[232:233], 1.0
	v_fmac_f64_e32 v[232:233], v[232:233], v[236:237]
	v_mul_f64 v[236:237], v[234:235], v[232:233]
	v_fma_f64 v[222:223], -v[222:223], v[236:237], v[234:235]
	v_div_fmas_f64 v[222:223], v[222:223], v[232:233], v[236:237]
	v_div_fixup_f64 v[222:223], v[222:223], v[216:217], v[218:219]
	v_fmac_f64_e32 v[216:217], v[218:219], v[222:223]
	v_div_scale_f64 v[218:219], s[18:19], v[216:217], v[216:217], 1.0
	v_rcp_f64_e32 v[232:233], v[218:219]
	s_nop 0
	v_fma_f64 v[234:235], -v[218:219], v[232:233], 1.0
	v_fmac_f64_e32 v[232:233], v[232:233], v[234:235]
	v_fma_f64 v[234:235], -v[218:219], v[232:233], 1.0
	v_fmac_f64_e32 v[232:233], v[232:233], v[234:235]
	v_div_scale_f64 v[234:235], vcc, 1.0, v[216:217], 1.0
	v_mul_f64 v[236:237], v[234:235], v[232:233]
	v_fma_f64 v[218:219], -v[218:219], v[236:237], v[234:235]
	s_nop 1
	v_div_fmas_f64 v[218:219], v[218:219], v[232:233], v[236:237]
	v_div_fixup_f64 v[216:217], v[218:219], v[216:217], 1.0
	v_mul_f64 v[218:219], v[222:223], -v[216:217]
.LBB106_366:
	s_or_b64 exec, exec, s[16:17]
.LBB106_367:
	s_or_b64 exec, exec, s[0:1]
	v_cmp_ne_u32_e32 vcc, v229, v226
	s_and_saveexec_b64 s[0:1], vcc
	s_xor_b64 s[0:1], exec, s[0:1]
	s_cbranch_execz .LBB106_373
; %bb.368:
	v_cmp_eq_u32_e32 vcc, 17, v229
	s_and_saveexec_b64 s[16:17], vcc
	s_cbranch_execz .LBB106_372
; %bb.369:
	v_cmp_ne_u32_e32 vcc, 17, v226
	s_xor_b64 s[18:19], s[14:15], -1
	s_and_b64 s[22:23], s[18:19], vcc
	s_and_saveexec_b64 s[18:19], s[22:23]
	s_cbranch_execz .LBB106_371
; %bb.370:
	v_ashrrev_i32_e32 v227, 31, v226
	s_waitcnt vmcnt(0)
	v_lshl_add_u64 v[222:223], v[226:227], 2, v[224:225]
	global_load_dword v227, v[222:223], off
	global_load_dword v229, v[224:225], off offset:68
	s_waitcnt vmcnt(1)
	global_store_dword v[224:225], v227, off offset:68
	s_waitcnt vmcnt(1)
	global_store_dword v[222:223], v229, off
.LBB106_371:
	s_or_b64 exec, exec, s[18:19]
	v_mov_b32_e32 v229, v226
	v_mov_b32_e32 v220, v226
.LBB106_372:
	s_or_b64 exec, exec, s[16:17]
.LBB106_373:
	s_andn2_saveexec_b64 s[0:1], s[0:1]
	s_cbranch_execz .LBB106_375
; %bb.374:
	v_mov_b32_e32 v229, 17
	s_waitcnt vmcnt(36)
	ds_write2_b64 v228, v[136:137], v[138:139] offset0:36 offset1:37
	s_waitcnt vmcnt(35)
	ds_write2_b64 v228, v[132:133], v[134:135] offset0:38 offset1:39
	;; [unrolled: 2-line block ×36, first 2 shown]
.LBB106_375:
	s_or_b64 exec, exec, s[0:1]
	v_cmp_lt_i32_e32 vcc, 17, v229
	s_waitcnt lgkmcnt(0)
	s_barrier
	s_and_saveexec_b64 s[0:1], vcc
	s_cbranch_execz .LBB106_377
; %bb.376:
	ds_read2_b64 v[232:235], v228 offset0:36 offset1:37
	v_mul_f64 v[222:223], v[218:219], v[146:147]
	v_mul_f64 v[146:147], v[216:217], v[146:147]
	v_fma_f64 v[226:227], v[216:217], v[144:145], -v[222:223]
	v_fmac_f64_e32 v[146:147], v[218:219], v[144:145]
	ds_read2_b64 v[216:219], v228 offset0:38 offset1:39
	s_waitcnt lgkmcnt(1)
	v_mul_f64 v[144:145], v[234:235], v[146:147]
	v_fma_f64 v[144:145], v[232:233], v[226:227], -v[144:145]
	v_mul_f64 v[222:223], v[232:233], v[146:147]
	s_waitcnt vmcnt(36)
	v_add_f64 v[136:137], v[136:137], -v[144:145]
	s_waitcnt lgkmcnt(0)
	v_mul_f64 v[144:145], v[218:219], v[146:147]
	v_fmac_f64_e32 v[222:223], v[234:235], v[226:227]
	v_fma_f64 v[144:145], v[216:217], v[226:227], -v[144:145]
	v_mul_f64 v[216:217], v[216:217], v[146:147]
	ds_read2_b64 v[232:235], v228 offset0:40 offset1:41
	v_fmac_f64_e32 v[216:217], v[218:219], v[226:227]
	s_waitcnt vmcnt(35)
	v_add_f64 v[134:135], v[134:135], -v[216:217]
	ds_read2_b64 v[216:219], v228 offset0:42 offset1:43
	v_add_f64 v[132:133], v[132:133], -v[144:145]
	s_waitcnt lgkmcnt(1)
	v_mul_f64 v[144:145], v[234:235], v[146:147]
	v_fma_f64 v[144:145], v[232:233], v[226:227], -v[144:145]
	v_add_f64 v[138:139], v[138:139], -v[222:223]
	v_mul_f64 v[222:223], v[232:233], v[146:147]
	s_waitcnt vmcnt(34)
	v_add_f64 v[128:129], v[128:129], -v[144:145]
	s_waitcnt lgkmcnt(0)
	v_mul_f64 v[144:145], v[218:219], v[146:147]
	v_fmac_f64_e32 v[222:223], v[234:235], v[226:227]
	v_fma_f64 v[144:145], v[216:217], v[226:227], -v[144:145]
	v_mul_f64 v[216:217], v[216:217], v[146:147]
	ds_read2_b64 v[232:235], v228 offset0:44 offset1:45
	v_fmac_f64_e32 v[216:217], v[218:219], v[226:227]
	s_waitcnt vmcnt(33)
	v_add_f64 v[126:127], v[126:127], -v[216:217]
	ds_read2_b64 v[216:219], v228 offset0:46 offset1:47
	v_add_f64 v[124:125], v[124:125], -v[144:145]
	s_waitcnt lgkmcnt(1)
	v_mul_f64 v[144:145], v[234:235], v[146:147]
	v_fma_f64 v[144:145], v[232:233], v[226:227], -v[144:145]
	v_add_f64 v[130:131], v[130:131], -v[222:223]
	v_mul_f64 v[222:223], v[232:233], v[146:147]
	s_waitcnt vmcnt(32)
	v_add_f64 v[120:121], v[120:121], -v[144:145]
	s_waitcnt lgkmcnt(0)
	v_mul_f64 v[144:145], v[218:219], v[146:147]
	v_fmac_f64_e32 v[222:223], v[234:235], v[226:227]
	v_fma_f64 v[144:145], v[216:217], v[226:227], -v[144:145]
	v_mul_f64 v[216:217], v[216:217], v[146:147]
	ds_read2_b64 v[232:235], v228 offset0:48 offset1:49
	v_fmac_f64_e32 v[216:217], v[218:219], v[226:227]
	s_waitcnt vmcnt(31)
	v_add_f64 v[118:119], v[118:119], -v[216:217]
	ds_read2_b64 v[216:219], v228 offset0:50 offset1:51
	v_add_f64 v[116:117], v[116:117], -v[144:145]
	s_waitcnt lgkmcnt(1)
	v_mul_f64 v[144:145], v[234:235], v[146:147]
	v_fma_f64 v[144:145], v[232:233], v[226:227], -v[144:145]
	v_add_f64 v[122:123], v[122:123], -v[222:223]
	v_mul_f64 v[222:223], v[232:233], v[146:147]
	s_waitcnt vmcnt(30)
	v_add_f64 v[112:113], v[112:113], -v[144:145]
	s_waitcnt lgkmcnt(0)
	v_mul_f64 v[144:145], v[218:219], v[146:147]
	v_fmac_f64_e32 v[222:223], v[234:235], v[226:227]
	v_fma_f64 v[144:145], v[216:217], v[226:227], -v[144:145]
	v_mul_f64 v[216:217], v[216:217], v[146:147]
	ds_read2_b64 v[232:235], v228 offset0:52 offset1:53
	v_fmac_f64_e32 v[216:217], v[218:219], v[226:227]
	s_waitcnt vmcnt(29)
	v_add_f64 v[110:111], v[110:111], -v[216:217]
	ds_read2_b64 v[216:219], v228 offset0:54 offset1:55
	v_add_f64 v[108:109], v[108:109], -v[144:145]
	s_waitcnt lgkmcnt(1)
	v_mul_f64 v[144:145], v[234:235], v[146:147]
	v_fma_f64 v[144:145], v[232:233], v[226:227], -v[144:145]
	v_add_f64 v[114:115], v[114:115], -v[222:223]
	v_mul_f64 v[222:223], v[232:233], v[146:147]
	s_waitcnt vmcnt(28)
	v_add_f64 v[104:105], v[104:105], -v[144:145]
	s_waitcnt lgkmcnt(0)
	v_mul_f64 v[144:145], v[218:219], v[146:147]
	v_fmac_f64_e32 v[222:223], v[234:235], v[226:227]
	v_fma_f64 v[144:145], v[216:217], v[226:227], -v[144:145]
	v_mul_f64 v[216:217], v[216:217], v[146:147]
	ds_read2_b64 v[232:235], v228 offset0:56 offset1:57
	v_fmac_f64_e32 v[216:217], v[218:219], v[226:227]
	s_waitcnt vmcnt(27)
	v_add_f64 v[102:103], v[102:103], -v[216:217]
	ds_read2_b64 v[216:219], v228 offset0:58 offset1:59
	v_add_f64 v[100:101], v[100:101], -v[144:145]
	s_waitcnt lgkmcnt(1)
	v_mul_f64 v[144:145], v[234:235], v[146:147]
	v_fma_f64 v[144:145], v[232:233], v[226:227], -v[144:145]
	v_add_f64 v[106:107], v[106:107], -v[222:223]
	v_mul_f64 v[222:223], v[232:233], v[146:147]
	s_waitcnt vmcnt(26)
	v_add_f64 v[96:97], v[96:97], -v[144:145]
	s_waitcnt lgkmcnt(0)
	v_mul_f64 v[144:145], v[218:219], v[146:147]
	v_fmac_f64_e32 v[222:223], v[234:235], v[226:227]
	v_fma_f64 v[144:145], v[216:217], v[226:227], -v[144:145]
	v_mul_f64 v[216:217], v[216:217], v[146:147]
	ds_read2_b64 v[232:235], v228 offset0:60 offset1:61
	v_fmac_f64_e32 v[216:217], v[218:219], v[226:227]
	s_waitcnt vmcnt(25)
	v_add_f64 v[94:95], v[94:95], -v[216:217]
	ds_read2_b64 v[216:219], v228 offset0:62 offset1:63
	v_add_f64 v[92:93], v[92:93], -v[144:145]
	s_waitcnt lgkmcnt(1)
	v_mul_f64 v[144:145], v[234:235], v[146:147]
	v_fma_f64 v[144:145], v[232:233], v[226:227], -v[144:145]
	v_add_f64 v[98:99], v[98:99], -v[222:223]
	v_mul_f64 v[222:223], v[232:233], v[146:147]
	s_waitcnt vmcnt(24)
	v_add_f64 v[88:89], v[88:89], -v[144:145]
	s_waitcnt lgkmcnt(0)
	v_mul_f64 v[144:145], v[218:219], v[146:147]
	v_fmac_f64_e32 v[222:223], v[234:235], v[226:227]
	v_fma_f64 v[144:145], v[216:217], v[226:227], -v[144:145]
	v_mul_f64 v[216:217], v[216:217], v[146:147]
	ds_read2_b64 v[232:235], v228 offset0:64 offset1:65
	v_fmac_f64_e32 v[216:217], v[218:219], v[226:227]
	s_waitcnt vmcnt(23)
	v_add_f64 v[86:87], v[86:87], -v[216:217]
	ds_read2_b64 v[216:219], v228 offset0:66 offset1:67
	v_add_f64 v[84:85], v[84:85], -v[144:145]
	s_waitcnt lgkmcnt(1)
	v_mul_f64 v[144:145], v[234:235], v[146:147]
	v_fma_f64 v[144:145], v[232:233], v[226:227], -v[144:145]
	v_add_f64 v[90:91], v[90:91], -v[222:223]
	v_mul_f64 v[222:223], v[232:233], v[146:147]
	s_waitcnt vmcnt(22)
	v_add_f64 v[80:81], v[80:81], -v[144:145]
	s_waitcnt lgkmcnt(0)
	v_mul_f64 v[144:145], v[218:219], v[146:147]
	v_fmac_f64_e32 v[222:223], v[234:235], v[226:227]
	v_fma_f64 v[144:145], v[216:217], v[226:227], -v[144:145]
	v_mul_f64 v[216:217], v[216:217], v[146:147]
	ds_read2_b64 v[232:235], v228 offset0:68 offset1:69
	v_fmac_f64_e32 v[216:217], v[218:219], v[226:227]
	s_waitcnt vmcnt(21)
	v_add_f64 v[78:79], v[78:79], -v[216:217]
	ds_read2_b64 v[216:219], v228 offset0:70 offset1:71
	v_add_f64 v[76:77], v[76:77], -v[144:145]
	s_waitcnt lgkmcnt(1)
	v_mul_f64 v[144:145], v[234:235], v[146:147]
	v_fma_f64 v[144:145], v[232:233], v[226:227], -v[144:145]
	v_add_f64 v[82:83], v[82:83], -v[222:223]
	v_mul_f64 v[222:223], v[232:233], v[146:147]
	s_waitcnt vmcnt(20)
	v_add_f64 v[72:73], v[72:73], -v[144:145]
	s_waitcnt lgkmcnt(0)
	v_mul_f64 v[144:145], v[218:219], v[146:147]
	v_fmac_f64_e32 v[222:223], v[234:235], v[226:227]
	v_fma_f64 v[144:145], v[216:217], v[226:227], -v[144:145]
	v_mul_f64 v[216:217], v[216:217], v[146:147]
	ds_read2_b64 v[232:235], v228 offset0:72 offset1:73
	v_fmac_f64_e32 v[216:217], v[218:219], v[226:227]
	s_waitcnt vmcnt(19)
	v_add_f64 v[70:71], v[70:71], -v[216:217]
	ds_read2_b64 v[216:219], v228 offset0:74 offset1:75
	v_add_f64 v[68:69], v[68:69], -v[144:145]
	s_waitcnt lgkmcnt(1)
	v_mul_f64 v[144:145], v[234:235], v[146:147]
	v_fma_f64 v[144:145], v[232:233], v[226:227], -v[144:145]
	v_add_f64 v[74:75], v[74:75], -v[222:223]
	v_mul_f64 v[222:223], v[232:233], v[146:147]
	s_waitcnt vmcnt(18)
	v_add_f64 v[64:65], v[64:65], -v[144:145]
	s_waitcnt lgkmcnt(0)
	v_mul_f64 v[144:145], v[218:219], v[146:147]
	v_fmac_f64_e32 v[222:223], v[234:235], v[226:227]
	v_fma_f64 v[144:145], v[216:217], v[226:227], -v[144:145]
	v_mul_f64 v[216:217], v[216:217], v[146:147]
	ds_read2_b64 v[232:235], v228 offset0:76 offset1:77
	v_fmac_f64_e32 v[216:217], v[218:219], v[226:227]
	s_waitcnt vmcnt(17)
	v_add_f64 v[62:63], v[62:63], -v[216:217]
	ds_read2_b64 v[216:219], v228 offset0:78 offset1:79
	v_add_f64 v[60:61], v[60:61], -v[144:145]
	s_waitcnt lgkmcnt(1)
	v_mul_f64 v[144:145], v[234:235], v[146:147]
	v_fma_f64 v[144:145], v[232:233], v[226:227], -v[144:145]
	v_add_f64 v[66:67], v[66:67], -v[222:223]
	v_mul_f64 v[222:223], v[232:233], v[146:147]
	s_waitcnt vmcnt(16)
	v_add_f64 v[56:57], v[56:57], -v[144:145]
	s_waitcnt lgkmcnt(0)
	v_mul_f64 v[144:145], v[218:219], v[146:147]
	v_fmac_f64_e32 v[222:223], v[234:235], v[226:227]
	v_fma_f64 v[144:145], v[216:217], v[226:227], -v[144:145]
	v_mul_f64 v[216:217], v[216:217], v[146:147]
	ds_read2_b64 v[232:235], v228 offset0:80 offset1:81
	v_fmac_f64_e32 v[216:217], v[218:219], v[226:227]
	s_waitcnt vmcnt(15)
	v_add_f64 v[54:55], v[54:55], -v[216:217]
	ds_read2_b64 v[216:219], v228 offset0:82 offset1:83
	v_add_f64 v[52:53], v[52:53], -v[144:145]
	s_waitcnt lgkmcnt(1)
	v_mul_f64 v[144:145], v[234:235], v[146:147]
	v_fma_f64 v[144:145], v[232:233], v[226:227], -v[144:145]
	v_add_f64 v[58:59], v[58:59], -v[222:223]
	v_mul_f64 v[222:223], v[232:233], v[146:147]
	s_waitcnt vmcnt(14)
	v_add_f64 v[48:49], v[48:49], -v[144:145]
	s_waitcnt lgkmcnt(0)
	v_mul_f64 v[144:145], v[218:219], v[146:147]
	v_fmac_f64_e32 v[222:223], v[234:235], v[226:227]
	v_fma_f64 v[144:145], v[216:217], v[226:227], -v[144:145]
	v_mul_f64 v[216:217], v[216:217], v[146:147]
	ds_read2_b64 v[232:235], v228 offset0:84 offset1:85
	v_fmac_f64_e32 v[216:217], v[218:219], v[226:227]
	s_waitcnt vmcnt(13)
	v_add_f64 v[46:47], v[46:47], -v[216:217]
	ds_read2_b64 v[216:219], v228 offset0:86 offset1:87
	v_add_f64 v[44:45], v[44:45], -v[144:145]
	s_waitcnt lgkmcnt(1)
	v_mul_f64 v[144:145], v[234:235], v[146:147]
	v_fma_f64 v[144:145], v[232:233], v[226:227], -v[144:145]
	v_add_f64 v[50:51], v[50:51], -v[222:223]
	v_mul_f64 v[222:223], v[232:233], v[146:147]
	s_waitcnt vmcnt(12)
	v_add_f64 v[40:41], v[40:41], -v[144:145]
	s_waitcnt lgkmcnt(0)
	v_mul_f64 v[144:145], v[218:219], v[146:147]
	v_fmac_f64_e32 v[222:223], v[234:235], v[226:227]
	v_fma_f64 v[144:145], v[216:217], v[226:227], -v[144:145]
	v_mul_f64 v[216:217], v[216:217], v[146:147]
	ds_read2_b64 v[232:235], v228 offset0:88 offset1:89
	v_fmac_f64_e32 v[216:217], v[218:219], v[226:227]
	s_waitcnt vmcnt(11)
	v_add_f64 v[38:39], v[38:39], -v[216:217]
	ds_read2_b64 v[216:219], v228 offset0:90 offset1:91
	v_add_f64 v[36:37], v[36:37], -v[144:145]
	s_waitcnt lgkmcnt(1)
	v_mul_f64 v[144:145], v[234:235], v[146:147]
	v_fma_f64 v[144:145], v[232:233], v[226:227], -v[144:145]
	v_add_f64 v[42:43], v[42:43], -v[222:223]
	v_mul_f64 v[222:223], v[232:233], v[146:147]
	s_waitcnt vmcnt(10)
	v_add_f64 v[32:33], v[32:33], -v[144:145]
	s_waitcnt lgkmcnt(0)
	v_mul_f64 v[144:145], v[218:219], v[146:147]
	v_fmac_f64_e32 v[222:223], v[234:235], v[226:227]
	v_fma_f64 v[144:145], v[216:217], v[226:227], -v[144:145]
	v_mul_f64 v[216:217], v[216:217], v[146:147]
	ds_read2_b64 v[232:235], v228 offset0:92 offset1:93
	v_fmac_f64_e32 v[216:217], v[218:219], v[226:227]
	s_waitcnt vmcnt(9)
	v_add_f64 v[30:31], v[30:31], -v[216:217]
	ds_read2_b64 v[216:219], v228 offset0:94 offset1:95
	v_add_f64 v[28:29], v[28:29], -v[144:145]
	s_waitcnt lgkmcnt(1)
	v_mul_f64 v[144:145], v[234:235], v[146:147]
	v_fma_f64 v[144:145], v[232:233], v[226:227], -v[144:145]
	v_add_f64 v[34:35], v[34:35], -v[222:223]
	v_mul_f64 v[222:223], v[232:233], v[146:147]
	s_waitcnt vmcnt(8)
	v_add_f64 v[24:25], v[24:25], -v[144:145]
	s_waitcnt lgkmcnt(0)
	v_mul_f64 v[144:145], v[218:219], v[146:147]
	v_fmac_f64_e32 v[222:223], v[234:235], v[226:227]
	v_fma_f64 v[144:145], v[216:217], v[226:227], -v[144:145]
	v_mul_f64 v[216:217], v[216:217], v[146:147]
	ds_read2_b64 v[232:235], v228 offset0:96 offset1:97
	v_fmac_f64_e32 v[216:217], v[218:219], v[226:227]
	s_waitcnt vmcnt(7)
	v_add_f64 v[22:23], v[22:23], -v[216:217]
	ds_read2_b64 v[216:219], v228 offset0:98 offset1:99
	v_add_f64 v[20:21], v[20:21], -v[144:145]
	s_waitcnt lgkmcnt(1)
	v_mul_f64 v[144:145], v[234:235], v[146:147]
	v_fma_f64 v[144:145], v[232:233], v[226:227], -v[144:145]
	v_add_f64 v[26:27], v[26:27], -v[222:223]
	v_mul_f64 v[222:223], v[232:233], v[146:147]
	s_waitcnt vmcnt(6)
	v_add_f64 v[16:17], v[16:17], -v[144:145]
	s_waitcnt lgkmcnt(0)
	v_mul_f64 v[144:145], v[218:219], v[146:147]
	v_fmac_f64_e32 v[222:223], v[234:235], v[226:227]
	v_fma_f64 v[144:145], v[216:217], v[226:227], -v[144:145]
	v_mul_f64 v[216:217], v[216:217], v[146:147]
	ds_read2_b64 v[232:235], v228 offset0:100 offset1:101
	v_fmac_f64_e32 v[216:217], v[218:219], v[226:227]
	s_waitcnt vmcnt(5)
	v_add_f64 v[14:15], v[14:15], -v[216:217]
	ds_read2_b64 v[216:219], v228 offset0:102 offset1:103
	v_add_f64 v[12:13], v[12:13], -v[144:145]
	s_waitcnt lgkmcnt(1)
	v_mul_f64 v[144:145], v[234:235], v[146:147]
	v_fma_f64 v[144:145], v[232:233], v[226:227], -v[144:145]
	v_add_f64 v[18:19], v[18:19], -v[222:223]
	v_mul_f64 v[222:223], v[232:233], v[146:147]
	s_waitcnt vmcnt(4)
	v_add_f64 v[8:9], v[8:9], -v[144:145]
	s_waitcnt lgkmcnt(0)
	v_mul_f64 v[144:145], v[218:219], v[146:147]
	v_fmac_f64_e32 v[222:223], v[234:235], v[226:227]
	v_fma_f64 v[144:145], v[216:217], v[226:227], -v[144:145]
	v_mul_f64 v[216:217], v[216:217], v[146:147]
	ds_read2_b64 v[232:235], v228 offset0:104 offset1:105
	v_fmac_f64_e32 v[216:217], v[218:219], v[226:227]
	s_waitcnt vmcnt(3)
	v_add_f64 v[6:7], v[6:7], -v[216:217]
	ds_read2_b64 v[216:219], v228 offset0:106 offset1:107
	v_add_f64 v[4:5], v[4:5], -v[144:145]
	s_waitcnt lgkmcnt(1)
	v_mul_f64 v[144:145], v[234:235], v[146:147]
	v_fma_f64 v[144:145], v[232:233], v[226:227], -v[144:145]
	s_waitcnt vmcnt(2)
	v_add_f64 v[0:1], v[0:1], -v[144:145]
	s_waitcnt lgkmcnt(0)
	v_mul_f64 v[144:145], v[218:219], v[146:147]
	v_add_f64 v[10:11], v[10:11], -v[222:223]
	v_mul_f64 v[222:223], v[232:233], v[146:147]
	v_fma_f64 v[144:145], v[216:217], v[226:227], -v[144:145]
	v_mul_f64 v[216:217], v[216:217], v[146:147]
	v_fmac_f64_e32 v[222:223], v[234:235], v[226:227]
	v_fmac_f64_e32 v[216:217], v[218:219], v[226:227]
	v_add_f64 v[2:3], v[2:3], -v[222:223]
	s_waitcnt vmcnt(1)
	v_add_f64 v[212:213], v[212:213], -v[144:145]
	v_add_f64 v[214:215], v[214:215], -v[216:217]
	v_mov_b64_e32 v[144:145], v[226:227]
.LBB106_377:
	s_or_b64 exec, exec, s[0:1]
	v_lshl_add_u32 v216, v229, 4, v228
	s_barrier
	s_waitcnt vmcnt(36)
	ds_write2_b64 v216, v[136:137], v[138:139] offset1:1
	s_waitcnt lgkmcnt(0)
	s_barrier
	ds_read2_b64 v[216:219], v228 offset0:36 offset1:37
	s_cmp_lt_i32 s20, 20
	v_mov_b32_e32 v226, 18
	s_cbranch_scc1 .LBB106_380
; %bb.378:
	v_add_u32_e32 v227, 0x130, v228
	s_mov_b32 s16, 19
	v_mov_b32_e32 v226, 18
.LBB106_379:                            ; =>This Inner Loop Header: Depth=1
	ds_read2_b64 v[232:235], v227 offset1:1
	s_waitcnt lgkmcnt(1)
	v_xor_b32_e32 v223, 0x80000000, v217
	v_xor_b32_e32 v231, 0x80000000, v219
	v_cmp_gt_f64_e32 vcc, 0, v[218:219]
	v_cmp_gt_f64_e64 s[0:1], 0, v[216:217]
	v_mov_b32_e32 v222, v216
	v_mov_b32_e32 v236, v218
	v_cndmask_b32_e64 v223, v217, v223, s[0:1]
	v_cndmask_b32_e32 v237, v219, v231, vcc
	s_waitcnt lgkmcnt(0)
	v_xor_b32_e32 v231, 0x80000000, v233
	v_xor_b32_e32 v239, 0x80000000, v235
	v_cmp_gt_f64_e32 vcc, 0, v[234:235]
	v_cmp_gt_f64_e64 s[0:1], 0, v[232:233]
	v_add_f64 v[222:223], v[222:223], v[236:237]
	v_mov_b32_e32 v236, v232
	v_mov_b32_e32 v238, v234
	v_cndmask_b32_e64 v237, v233, v231, s[0:1]
	v_cndmask_b32_e32 v239, v235, v239, vcc
	v_add_f64 v[236:237], v[236:237], v[238:239]
	v_mov_b32_e32 v240, s16
	s_add_i32 s16, s16, 1
	v_cmp_lt_f64_e32 vcc, v[222:223], v[236:237]
	v_add_u32_e32 v227, 16, v227
	s_cmp_lg_u32 s20, s16
	v_cndmask_b32_e32 v217, v217, v233, vcc
	v_cndmask_b32_e32 v216, v216, v232, vcc
	;; [unrolled: 1-line block ×5, first 2 shown]
	s_cbranch_scc1 .LBB106_379
.LBB106_380:
	s_waitcnt lgkmcnt(0)
	v_cmp_eq_f64_e32 vcc, 0, v[216:217]
	v_cmp_eq_f64_e64 s[0:1], 0, v[218:219]
	s_and_b64 s[0:1], vcc, s[0:1]
	s_and_saveexec_b64 s[16:17], s[0:1]
	s_xor_b64 s[0:1], exec, s[16:17]
; %bb.381:
	v_cmp_ne_u32_e32 vcc, 0, v230
	s_nop 1
	v_cndmask_b32_e32 v230, 19, v230, vcc
; %bb.382:
	s_andn2_saveexec_b64 s[0:1], s[0:1]
	s_cbranch_execz .LBB106_388
; %bb.383:
	v_cmp_ngt_f64_e64 s[16:17], |v[216:217]|, |v[218:219]|
	s_and_saveexec_b64 s[18:19], s[16:17]
	s_xor_b64 s[16:17], exec, s[18:19]
	s_cbranch_execz .LBB106_385
; %bb.384:
	v_div_scale_f64 v[222:223], s[18:19], v[218:219], v[218:219], v[216:217]
	v_rcp_f64_e32 v[232:233], v[222:223]
	v_div_scale_f64 v[234:235], vcc, v[216:217], v[218:219], v[216:217]
	v_fma_f64 v[236:237], -v[222:223], v[232:233], 1.0
	v_fmac_f64_e32 v[232:233], v[232:233], v[236:237]
	v_fma_f64 v[236:237], -v[222:223], v[232:233], 1.0
	v_fmac_f64_e32 v[232:233], v[232:233], v[236:237]
	v_mul_f64 v[236:237], v[234:235], v[232:233]
	v_fma_f64 v[222:223], -v[222:223], v[236:237], v[234:235]
	v_div_fmas_f64 v[222:223], v[222:223], v[232:233], v[236:237]
	v_div_fixup_f64 v[222:223], v[222:223], v[218:219], v[216:217]
	v_fmac_f64_e32 v[218:219], v[216:217], v[222:223]
	v_div_scale_f64 v[216:217], s[18:19], v[218:219], v[218:219], 1.0
	v_rcp_f64_e32 v[232:233], v[216:217]
	s_nop 0
	v_fma_f64 v[234:235], -v[216:217], v[232:233], 1.0
	v_fmac_f64_e32 v[232:233], v[232:233], v[234:235]
	v_fma_f64 v[234:235], -v[216:217], v[232:233], 1.0
	v_fmac_f64_e32 v[232:233], v[232:233], v[234:235]
	v_div_scale_f64 v[234:235], vcc, 1.0, v[218:219], 1.0
	v_mul_f64 v[236:237], v[234:235], v[232:233]
	v_fma_f64 v[216:217], -v[216:217], v[236:237], v[234:235]
	s_nop 1
	v_div_fmas_f64 v[216:217], v[216:217], v[232:233], v[236:237]
	v_div_fixup_f64 v[218:219], v[216:217], v[218:219], 1.0
	v_mul_f64 v[216:217], v[222:223], v[218:219]
	v_xor_b32_e32 v219, 0x80000000, v219
.LBB106_385:
	s_andn2_saveexec_b64 s[16:17], s[16:17]
	s_cbranch_execz .LBB106_387
; %bb.386:
	v_div_scale_f64 v[222:223], s[18:19], v[216:217], v[216:217], v[218:219]
	v_rcp_f64_e32 v[232:233], v[222:223]
	v_div_scale_f64 v[234:235], vcc, v[218:219], v[216:217], v[218:219]
	v_fma_f64 v[236:237], -v[222:223], v[232:233], 1.0
	v_fmac_f64_e32 v[232:233], v[232:233], v[236:237]
	v_fma_f64 v[236:237], -v[222:223], v[232:233], 1.0
	v_fmac_f64_e32 v[232:233], v[232:233], v[236:237]
	v_mul_f64 v[236:237], v[234:235], v[232:233]
	v_fma_f64 v[222:223], -v[222:223], v[236:237], v[234:235]
	v_div_fmas_f64 v[222:223], v[222:223], v[232:233], v[236:237]
	v_div_fixup_f64 v[222:223], v[222:223], v[216:217], v[218:219]
	v_fmac_f64_e32 v[216:217], v[218:219], v[222:223]
	v_div_scale_f64 v[218:219], s[18:19], v[216:217], v[216:217], 1.0
	v_rcp_f64_e32 v[232:233], v[218:219]
	s_nop 0
	v_fma_f64 v[234:235], -v[218:219], v[232:233], 1.0
	v_fmac_f64_e32 v[232:233], v[232:233], v[234:235]
	v_fma_f64 v[234:235], -v[218:219], v[232:233], 1.0
	v_fmac_f64_e32 v[232:233], v[232:233], v[234:235]
	v_div_scale_f64 v[234:235], vcc, 1.0, v[216:217], 1.0
	v_mul_f64 v[236:237], v[234:235], v[232:233]
	v_fma_f64 v[218:219], -v[218:219], v[236:237], v[234:235]
	s_nop 1
	v_div_fmas_f64 v[218:219], v[218:219], v[232:233], v[236:237]
	v_div_fixup_f64 v[216:217], v[218:219], v[216:217], 1.0
	v_mul_f64 v[218:219], v[222:223], -v[216:217]
.LBB106_387:
	s_or_b64 exec, exec, s[16:17]
.LBB106_388:
	s_or_b64 exec, exec, s[0:1]
	v_cmp_ne_u32_e32 vcc, v229, v226
	s_and_saveexec_b64 s[0:1], vcc
	s_xor_b64 s[0:1], exec, s[0:1]
	s_cbranch_execz .LBB106_394
; %bb.389:
	v_cmp_eq_u32_e32 vcc, 18, v229
	s_and_saveexec_b64 s[16:17], vcc
	s_cbranch_execz .LBB106_393
; %bb.390:
	v_cmp_ne_u32_e32 vcc, 18, v226
	s_xor_b64 s[18:19], s[14:15], -1
	s_and_b64 s[22:23], s[18:19], vcc
	s_and_saveexec_b64 s[18:19], s[22:23]
	s_cbranch_execz .LBB106_392
; %bb.391:
	v_ashrrev_i32_e32 v227, 31, v226
	s_waitcnt vmcnt(0)
	v_lshl_add_u64 v[222:223], v[226:227], 2, v[224:225]
	global_load_dword v227, v[222:223], off
	global_load_dword v229, v[224:225], off offset:72
	s_waitcnt vmcnt(1)
	global_store_dword v[224:225], v227, off offset:72
	s_waitcnt vmcnt(1)
	global_store_dword v[222:223], v229, off
.LBB106_392:
	s_or_b64 exec, exec, s[18:19]
	v_mov_b32_e32 v229, v226
	v_mov_b32_e32 v220, v226
.LBB106_393:
	s_or_b64 exec, exec, s[16:17]
.LBB106_394:
	s_andn2_saveexec_b64 s[0:1], s[0:1]
	s_cbranch_execz .LBB106_396
; %bb.395:
	v_mov_b32_e32 v229, 18
	s_waitcnt vmcnt(35)
	ds_write2_b64 v228, v[132:133], v[134:135] offset0:38 offset1:39
	s_waitcnt vmcnt(34)
	ds_write2_b64 v228, v[128:129], v[130:131] offset0:40 offset1:41
	;; [unrolled: 2-line block ×35, first 2 shown]
.LBB106_396:
	s_or_b64 exec, exec, s[0:1]
	v_cmp_lt_i32_e32 vcc, 18, v229
	s_waitcnt lgkmcnt(0)
	s_barrier
	s_and_saveexec_b64 s[0:1], vcc
	s_cbranch_execz .LBB106_398
; %bb.397:
	ds_read2_b64 v[232:235], v228 offset0:38 offset1:39
	v_mul_f64 v[222:223], v[218:219], v[138:139]
	v_mul_f64 v[138:139], v[216:217], v[138:139]
	v_fma_f64 v[226:227], v[216:217], v[136:137], -v[222:223]
	v_fmac_f64_e32 v[138:139], v[218:219], v[136:137]
	ds_read2_b64 v[216:219], v228 offset0:40 offset1:41
	s_waitcnt lgkmcnt(1)
	v_mul_f64 v[136:137], v[234:235], v[138:139]
	v_fma_f64 v[136:137], v[232:233], v[226:227], -v[136:137]
	v_mul_f64 v[222:223], v[232:233], v[138:139]
	s_waitcnt vmcnt(35)
	v_add_f64 v[132:133], v[132:133], -v[136:137]
	s_waitcnt lgkmcnt(0)
	v_mul_f64 v[136:137], v[218:219], v[138:139]
	v_fmac_f64_e32 v[222:223], v[234:235], v[226:227]
	v_fma_f64 v[136:137], v[216:217], v[226:227], -v[136:137]
	v_mul_f64 v[216:217], v[216:217], v[138:139]
	ds_read2_b64 v[232:235], v228 offset0:42 offset1:43
	v_fmac_f64_e32 v[216:217], v[218:219], v[226:227]
	s_waitcnt vmcnt(34)
	v_add_f64 v[130:131], v[130:131], -v[216:217]
	ds_read2_b64 v[216:219], v228 offset0:44 offset1:45
	v_add_f64 v[128:129], v[128:129], -v[136:137]
	s_waitcnt lgkmcnt(1)
	v_mul_f64 v[136:137], v[234:235], v[138:139]
	v_fma_f64 v[136:137], v[232:233], v[226:227], -v[136:137]
	v_add_f64 v[134:135], v[134:135], -v[222:223]
	v_mul_f64 v[222:223], v[232:233], v[138:139]
	s_waitcnt vmcnt(33)
	v_add_f64 v[124:125], v[124:125], -v[136:137]
	s_waitcnt lgkmcnt(0)
	v_mul_f64 v[136:137], v[218:219], v[138:139]
	v_fmac_f64_e32 v[222:223], v[234:235], v[226:227]
	v_fma_f64 v[136:137], v[216:217], v[226:227], -v[136:137]
	v_mul_f64 v[216:217], v[216:217], v[138:139]
	ds_read2_b64 v[232:235], v228 offset0:46 offset1:47
	v_fmac_f64_e32 v[216:217], v[218:219], v[226:227]
	s_waitcnt vmcnt(32)
	v_add_f64 v[122:123], v[122:123], -v[216:217]
	ds_read2_b64 v[216:219], v228 offset0:48 offset1:49
	v_add_f64 v[120:121], v[120:121], -v[136:137]
	s_waitcnt lgkmcnt(1)
	v_mul_f64 v[136:137], v[234:235], v[138:139]
	v_fma_f64 v[136:137], v[232:233], v[226:227], -v[136:137]
	v_add_f64 v[126:127], v[126:127], -v[222:223]
	;; [unrolled: 18-line block ×14, first 2 shown]
	v_mul_f64 v[222:223], v[232:233], v[138:139]
	s_waitcnt vmcnt(7)
	v_add_f64 v[20:21], v[20:21], -v[136:137]
	s_waitcnt lgkmcnt(0)
	v_mul_f64 v[136:137], v[218:219], v[138:139]
	v_fmac_f64_e32 v[222:223], v[234:235], v[226:227]
	v_fma_f64 v[136:137], v[216:217], v[226:227], -v[136:137]
	v_mul_f64 v[216:217], v[216:217], v[138:139]
	ds_read2_b64 v[232:235], v228 offset0:98 offset1:99
	v_fmac_f64_e32 v[216:217], v[218:219], v[226:227]
	s_waitcnt vmcnt(6)
	v_add_f64 v[18:19], v[18:19], -v[216:217]
	ds_read2_b64 v[216:219], v228 offset0:100 offset1:101
	v_add_f64 v[16:17], v[16:17], -v[136:137]
	s_waitcnt lgkmcnt(1)
	v_mul_f64 v[136:137], v[234:235], v[138:139]
	v_add_f64 v[22:23], v[22:23], -v[222:223]
	v_fma_f64 v[136:137], v[232:233], v[226:227], -v[136:137]
	v_mul_f64 v[222:223], v[232:233], v[138:139]
	v_fmac_f64_e32 v[222:223], v[234:235], v[226:227]
	s_waitcnt vmcnt(5)
	v_add_f64 v[12:13], v[12:13], -v[136:137]
	s_waitcnt lgkmcnt(0)
	v_mul_f64 v[136:137], v[218:219], v[138:139]
	ds_read2_b64 v[232:235], v228 offset0:102 offset1:103
	v_fma_f64 v[136:137], v[216:217], v[226:227], -v[136:137]
	v_mul_f64 v[216:217], v[216:217], v[138:139]
	v_fmac_f64_e32 v[216:217], v[218:219], v[226:227]
	s_waitcnt vmcnt(4)
	v_add_f64 v[10:11], v[10:11], -v[216:217]
	ds_read2_b64 v[216:219], v228 offset0:104 offset1:105
	v_add_f64 v[14:15], v[14:15], -v[222:223]
	v_add_f64 v[8:9], v[8:9], -v[136:137]
	s_waitcnt lgkmcnt(1)
	v_mul_f64 v[136:137], v[234:235], v[138:139]
	v_mul_f64 v[222:223], v[232:233], v[138:139]
	v_fma_f64 v[136:137], v[232:233], v[226:227], -v[136:137]
	v_fmac_f64_e32 v[222:223], v[234:235], v[226:227]
	ds_read2_b64 v[232:235], v228 offset0:106 offset1:107
	s_waitcnt vmcnt(3)
	v_add_f64 v[4:5], v[4:5], -v[136:137]
	s_waitcnt lgkmcnt(1)
	v_mul_f64 v[136:137], v[218:219], v[138:139]
	v_fma_f64 v[136:137], v[216:217], v[226:227], -v[136:137]
	v_mul_f64 v[216:217], v[216:217], v[138:139]
	v_fmac_f64_e32 v[216:217], v[218:219], v[226:227]
	s_waitcnt vmcnt(2)
	v_add_f64 v[0:1], v[0:1], -v[136:137]
	v_add_f64 v[2:3], v[2:3], -v[216:217]
	s_waitcnt lgkmcnt(0)
	v_mul_f64 v[136:137], v[234:235], v[138:139]
	v_mul_f64 v[216:217], v[232:233], v[138:139]
	v_fma_f64 v[136:137], v[232:233], v[226:227], -v[136:137]
	v_fmac_f64_e32 v[216:217], v[234:235], v[226:227]
	v_add_f64 v[6:7], v[6:7], -v[222:223]
	s_waitcnt vmcnt(1)
	v_add_f64 v[212:213], v[212:213], -v[136:137]
	v_add_f64 v[214:215], v[214:215], -v[216:217]
	v_mov_b64_e32 v[136:137], v[226:227]
.LBB106_398:
	s_or_b64 exec, exec, s[0:1]
	v_lshl_add_u32 v216, v229, 4, v228
	s_barrier
	s_waitcnt vmcnt(35)
	ds_write2_b64 v216, v[132:133], v[134:135] offset1:1
	s_waitcnt lgkmcnt(0)
	s_barrier
	ds_read2_b64 v[216:219], v228 offset0:38 offset1:39
	s_cmp_lt_i32 s20, 21
	v_mov_b32_e32 v226, 19
	s_cbranch_scc1 .LBB106_401
; %bb.399:
	v_add_u32_e32 v227, 0x140, v228
	s_mov_b32 s16, 20
	v_mov_b32_e32 v226, 19
.LBB106_400:                            ; =>This Inner Loop Header: Depth=1
	ds_read2_b64 v[232:235], v227 offset1:1
	s_waitcnt lgkmcnt(1)
	v_xor_b32_e32 v223, 0x80000000, v217
	v_xor_b32_e32 v231, 0x80000000, v219
	v_cmp_gt_f64_e32 vcc, 0, v[218:219]
	v_cmp_gt_f64_e64 s[0:1], 0, v[216:217]
	v_mov_b32_e32 v222, v216
	v_mov_b32_e32 v236, v218
	v_cndmask_b32_e64 v223, v217, v223, s[0:1]
	v_cndmask_b32_e32 v237, v219, v231, vcc
	s_waitcnt lgkmcnt(0)
	v_xor_b32_e32 v231, 0x80000000, v233
	v_xor_b32_e32 v239, 0x80000000, v235
	v_cmp_gt_f64_e32 vcc, 0, v[234:235]
	v_cmp_gt_f64_e64 s[0:1], 0, v[232:233]
	v_add_f64 v[222:223], v[222:223], v[236:237]
	v_mov_b32_e32 v236, v232
	v_mov_b32_e32 v238, v234
	v_cndmask_b32_e64 v237, v233, v231, s[0:1]
	v_cndmask_b32_e32 v239, v235, v239, vcc
	v_add_f64 v[236:237], v[236:237], v[238:239]
	v_mov_b32_e32 v240, s16
	s_add_i32 s16, s16, 1
	v_cmp_lt_f64_e32 vcc, v[222:223], v[236:237]
	v_add_u32_e32 v227, 16, v227
	s_cmp_lg_u32 s20, s16
	v_cndmask_b32_e32 v217, v217, v233, vcc
	v_cndmask_b32_e32 v216, v216, v232, vcc
	;; [unrolled: 1-line block ×5, first 2 shown]
	s_cbranch_scc1 .LBB106_400
.LBB106_401:
	s_waitcnt lgkmcnt(0)
	v_cmp_eq_f64_e32 vcc, 0, v[216:217]
	v_cmp_eq_f64_e64 s[0:1], 0, v[218:219]
	s_and_b64 s[0:1], vcc, s[0:1]
	s_and_saveexec_b64 s[16:17], s[0:1]
	s_xor_b64 s[0:1], exec, s[16:17]
; %bb.402:
	v_cmp_ne_u32_e32 vcc, 0, v230
	s_nop 1
	v_cndmask_b32_e32 v230, 20, v230, vcc
; %bb.403:
	s_andn2_saveexec_b64 s[0:1], s[0:1]
	s_cbranch_execz .LBB106_409
; %bb.404:
	v_cmp_ngt_f64_e64 s[16:17], |v[216:217]|, |v[218:219]|
	s_and_saveexec_b64 s[18:19], s[16:17]
	s_xor_b64 s[16:17], exec, s[18:19]
	s_cbranch_execz .LBB106_406
; %bb.405:
	v_div_scale_f64 v[222:223], s[18:19], v[218:219], v[218:219], v[216:217]
	v_rcp_f64_e32 v[232:233], v[222:223]
	v_div_scale_f64 v[234:235], vcc, v[216:217], v[218:219], v[216:217]
	v_fma_f64 v[236:237], -v[222:223], v[232:233], 1.0
	v_fmac_f64_e32 v[232:233], v[232:233], v[236:237]
	v_fma_f64 v[236:237], -v[222:223], v[232:233], 1.0
	v_fmac_f64_e32 v[232:233], v[232:233], v[236:237]
	v_mul_f64 v[236:237], v[234:235], v[232:233]
	v_fma_f64 v[222:223], -v[222:223], v[236:237], v[234:235]
	v_div_fmas_f64 v[222:223], v[222:223], v[232:233], v[236:237]
	v_div_fixup_f64 v[222:223], v[222:223], v[218:219], v[216:217]
	v_fmac_f64_e32 v[218:219], v[216:217], v[222:223]
	v_div_scale_f64 v[216:217], s[18:19], v[218:219], v[218:219], 1.0
	v_rcp_f64_e32 v[232:233], v[216:217]
	s_nop 0
	v_fma_f64 v[234:235], -v[216:217], v[232:233], 1.0
	v_fmac_f64_e32 v[232:233], v[232:233], v[234:235]
	v_fma_f64 v[234:235], -v[216:217], v[232:233], 1.0
	v_fmac_f64_e32 v[232:233], v[232:233], v[234:235]
	v_div_scale_f64 v[234:235], vcc, 1.0, v[218:219], 1.0
	v_mul_f64 v[236:237], v[234:235], v[232:233]
	v_fma_f64 v[216:217], -v[216:217], v[236:237], v[234:235]
	s_nop 1
	v_div_fmas_f64 v[216:217], v[216:217], v[232:233], v[236:237]
	v_div_fixup_f64 v[218:219], v[216:217], v[218:219], 1.0
	v_mul_f64 v[216:217], v[222:223], v[218:219]
	v_xor_b32_e32 v219, 0x80000000, v219
.LBB106_406:
	s_andn2_saveexec_b64 s[16:17], s[16:17]
	s_cbranch_execz .LBB106_408
; %bb.407:
	v_div_scale_f64 v[222:223], s[18:19], v[216:217], v[216:217], v[218:219]
	v_rcp_f64_e32 v[232:233], v[222:223]
	v_div_scale_f64 v[234:235], vcc, v[218:219], v[216:217], v[218:219]
	v_fma_f64 v[236:237], -v[222:223], v[232:233], 1.0
	v_fmac_f64_e32 v[232:233], v[232:233], v[236:237]
	v_fma_f64 v[236:237], -v[222:223], v[232:233], 1.0
	v_fmac_f64_e32 v[232:233], v[232:233], v[236:237]
	v_mul_f64 v[236:237], v[234:235], v[232:233]
	v_fma_f64 v[222:223], -v[222:223], v[236:237], v[234:235]
	v_div_fmas_f64 v[222:223], v[222:223], v[232:233], v[236:237]
	v_div_fixup_f64 v[222:223], v[222:223], v[216:217], v[218:219]
	v_fmac_f64_e32 v[216:217], v[218:219], v[222:223]
	v_div_scale_f64 v[218:219], s[18:19], v[216:217], v[216:217], 1.0
	v_rcp_f64_e32 v[232:233], v[218:219]
	s_nop 0
	v_fma_f64 v[234:235], -v[218:219], v[232:233], 1.0
	v_fmac_f64_e32 v[232:233], v[232:233], v[234:235]
	v_fma_f64 v[234:235], -v[218:219], v[232:233], 1.0
	v_fmac_f64_e32 v[232:233], v[232:233], v[234:235]
	v_div_scale_f64 v[234:235], vcc, 1.0, v[216:217], 1.0
	v_mul_f64 v[236:237], v[234:235], v[232:233]
	v_fma_f64 v[218:219], -v[218:219], v[236:237], v[234:235]
	s_nop 1
	v_div_fmas_f64 v[218:219], v[218:219], v[232:233], v[236:237]
	v_div_fixup_f64 v[216:217], v[218:219], v[216:217], 1.0
	v_mul_f64 v[218:219], v[222:223], -v[216:217]
.LBB106_408:
	s_or_b64 exec, exec, s[16:17]
.LBB106_409:
	s_or_b64 exec, exec, s[0:1]
	v_cmp_ne_u32_e32 vcc, v229, v226
	s_and_saveexec_b64 s[0:1], vcc
	s_xor_b64 s[0:1], exec, s[0:1]
	s_cbranch_execz .LBB106_415
; %bb.410:
	v_cmp_eq_u32_e32 vcc, 19, v229
	s_and_saveexec_b64 s[16:17], vcc
	s_cbranch_execz .LBB106_414
; %bb.411:
	v_cmp_ne_u32_e32 vcc, 19, v226
	s_xor_b64 s[18:19], s[14:15], -1
	s_and_b64 s[22:23], s[18:19], vcc
	s_and_saveexec_b64 s[18:19], s[22:23]
	s_cbranch_execz .LBB106_413
; %bb.412:
	v_ashrrev_i32_e32 v227, 31, v226
	s_waitcnt vmcnt(0)
	v_lshl_add_u64 v[222:223], v[226:227], 2, v[224:225]
	global_load_dword v227, v[222:223], off
	global_load_dword v229, v[224:225], off offset:76
	s_waitcnt vmcnt(1)
	global_store_dword v[224:225], v227, off offset:76
	s_waitcnt vmcnt(1)
	global_store_dword v[222:223], v229, off
.LBB106_413:
	s_or_b64 exec, exec, s[18:19]
	v_mov_b32_e32 v229, v226
	v_mov_b32_e32 v220, v226
.LBB106_414:
	s_or_b64 exec, exec, s[16:17]
.LBB106_415:
	s_andn2_saveexec_b64 s[0:1], s[0:1]
	s_cbranch_execz .LBB106_417
; %bb.416:
	v_mov_b32_e32 v229, 19
	s_waitcnt vmcnt(34)
	ds_write2_b64 v228, v[128:129], v[130:131] offset0:40 offset1:41
	s_waitcnt vmcnt(33)
	ds_write2_b64 v228, v[124:125], v[126:127] offset0:42 offset1:43
	;; [unrolled: 2-line block ×34, first 2 shown]
.LBB106_417:
	s_or_b64 exec, exec, s[0:1]
	v_cmp_lt_i32_e32 vcc, 19, v229
	s_waitcnt lgkmcnt(0)
	s_barrier
	s_and_saveexec_b64 s[0:1], vcc
	s_cbranch_execz .LBB106_419
; %bb.418:
	ds_read2_b64 v[232:235], v228 offset0:40 offset1:41
	v_mul_f64 v[222:223], v[218:219], v[134:135]
	v_mul_f64 v[134:135], v[216:217], v[134:135]
	v_fma_f64 v[226:227], v[216:217], v[132:133], -v[222:223]
	v_fmac_f64_e32 v[134:135], v[218:219], v[132:133]
	ds_read2_b64 v[216:219], v228 offset0:42 offset1:43
	s_waitcnt lgkmcnt(1)
	v_mul_f64 v[132:133], v[234:235], v[134:135]
	v_fma_f64 v[132:133], v[232:233], v[226:227], -v[132:133]
	v_mul_f64 v[222:223], v[232:233], v[134:135]
	s_waitcnt vmcnt(34)
	v_add_f64 v[128:129], v[128:129], -v[132:133]
	s_waitcnt lgkmcnt(0)
	v_mul_f64 v[132:133], v[218:219], v[134:135]
	v_fmac_f64_e32 v[222:223], v[234:235], v[226:227]
	v_fma_f64 v[132:133], v[216:217], v[226:227], -v[132:133]
	v_mul_f64 v[216:217], v[216:217], v[134:135]
	ds_read2_b64 v[232:235], v228 offset0:44 offset1:45
	v_fmac_f64_e32 v[216:217], v[218:219], v[226:227]
	s_waitcnt vmcnt(33)
	v_add_f64 v[126:127], v[126:127], -v[216:217]
	ds_read2_b64 v[216:219], v228 offset0:46 offset1:47
	v_add_f64 v[124:125], v[124:125], -v[132:133]
	s_waitcnt lgkmcnt(1)
	v_mul_f64 v[132:133], v[234:235], v[134:135]
	v_fma_f64 v[132:133], v[232:233], v[226:227], -v[132:133]
	v_add_f64 v[130:131], v[130:131], -v[222:223]
	v_mul_f64 v[222:223], v[232:233], v[134:135]
	s_waitcnt vmcnt(32)
	v_add_f64 v[120:121], v[120:121], -v[132:133]
	s_waitcnt lgkmcnt(0)
	v_mul_f64 v[132:133], v[218:219], v[134:135]
	v_fmac_f64_e32 v[222:223], v[234:235], v[226:227]
	v_fma_f64 v[132:133], v[216:217], v[226:227], -v[132:133]
	v_mul_f64 v[216:217], v[216:217], v[134:135]
	ds_read2_b64 v[232:235], v228 offset0:48 offset1:49
	v_fmac_f64_e32 v[216:217], v[218:219], v[226:227]
	s_waitcnt vmcnt(31)
	v_add_f64 v[118:119], v[118:119], -v[216:217]
	ds_read2_b64 v[216:219], v228 offset0:50 offset1:51
	v_add_f64 v[116:117], v[116:117], -v[132:133]
	s_waitcnt lgkmcnt(1)
	v_mul_f64 v[132:133], v[234:235], v[134:135]
	v_fma_f64 v[132:133], v[232:233], v[226:227], -v[132:133]
	v_add_f64 v[122:123], v[122:123], -v[222:223]
	;; [unrolled: 18-line block ×15, first 2 shown]
	v_mul_f64 v[222:223], v[232:233], v[134:135]
	s_waitcnt vmcnt(4)
	v_add_f64 v[8:9], v[8:9], -v[132:133]
	s_waitcnt lgkmcnt(0)
	v_mul_f64 v[132:133], v[218:219], v[134:135]
	v_fmac_f64_e32 v[222:223], v[234:235], v[226:227]
	v_fma_f64 v[132:133], v[216:217], v[226:227], -v[132:133]
	v_mul_f64 v[216:217], v[216:217], v[134:135]
	ds_read2_b64 v[232:235], v228 offset0:104 offset1:105
	v_fmac_f64_e32 v[216:217], v[218:219], v[226:227]
	s_waitcnt vmcnt(3)
	v_add_f64 v[6:7], v[6:7], -v[216:217]
	ds_read2_b64 v[216:219], v228 offset0:106 offset1:107
	v_add_f64 v[4:5], v[4:5], -v[132:133]
	s_waitcnt lgkmcnt(1)
	v_mul_f64 v[132:133], v[234:235], v[134:135]
	v_fma_f64 v[132:133], v[232:233], v[226:227], -v[132:133]
	s_waitcnt vmcnt(2)
	v_add_f64 v[0:1], v[0:1], -v[132:133]
	s_waitcnt lgkmcnt(0)
	v_mul_f64 v[132:133], v[218:219], v[134:135]
	v_add_f64 v[10:11], v[10:11], -v[222:223]
	v_mul_f64 v[222:223], v[232:233], v[134:135]
	v_fma_f64 v[132:133], v[216:217], v[226:227], -v[132:133]
	v_mul_f64 v[216:217], v[216:217], v[134:135]
	v_fmac_f64_e32 v[222:223], v[234:235], v[226:227]
	v_fmac_f64_e32 v[216:217], v[218:219], v[226:227]
	v_add_f64 v[2:3], v[2:3], -v[222:223]
	s_waitcnt vmcnt(1)
	v_add_f64 v[212:213], v[212:213], -v[132:133]
	v_add_f64 v[214:215], v[214:215], -v[216:217]
	v_mov_b64_e32 v[132:133], v[226:227]
.LBB106_419:
	s_or_b64 exec, exec, s[0:1]
	v_lshl_add_u32 v216, v229, 4, v228
	s_barrier
	s_waitcnt vmcnt(34)
	ds_write2_b64 v216, v[128:129], v[130:131] offset1:1
	s_waitcnt lgkmcnt(0)
	s_barrier
	ds_read2_b64 v[216:219], v228 offset0:40 offset1:41
	s_cmp_lt_i32 s20, 22
	v_mov_b32_e32 v226, 20
	s_cbranch_scc1 .LBB106_422
; %bb.420:
	v_add_u32_e32 v227, 0x150, v228
	s_mov_b32 s16, 21
	v_mov_b32_e32 v226, 20
.LBB106_421:                            ; =>This Inner Loop Header: Depth=1
	ds_read2_b64 v[232:235], v227 offset1:1
	s_waitcnt lgkmcnt(1)
	v_xor_b32_e32 v223, 0x80000000, v217
	v_xor_b32_e32 v231, 0x80000000, v219
	v_cmp_gt_f64_e32 vcc, 0, v[218:219]
	v_cmp_gt_f64_e64 s[0:1], 0, v[216:217]
	v_mov_b32_e32 v222, v216
	v_mov_b32_e32 v236, v218
	v_cndmask_b32_e64 v223, v217, v223, s[0:1]
	v_cndmask_b32_e32 v237, v219, v231, vcc
	s_waitcnt lgkmcnt(0)
	v_xor_b32_e32 v231, 0x80000000, v233
	v_xor_b32_e32 v239, 0x80000000, v235
	v_cmp_gt_f64_e32 vcc, 0, v[234:235]
	v_cmp_gt_f64_e64 s[0:1], 0, v[232:233]
	v_add_f64 v[222:223], v[222:223], v[236:237]
	v_mov_b32_e32 v236, v232
	v_mov_b32_e32 v238, v234
	v_cndmask_b32_e64 v237, v233, v231, s[0:1]
	v_cndmask_b32_e32 v239, v235, v239, vcc
	v_add_f64 v[236:237], v[236:237], v[238:239]
	v_mov_b32_e32 v240, s16
	s_add_i32 s16, s16, 1
	v_cmp_lt_f64_e32 vcc, v[222:223], v[236:237]
	v_add_u32_e32 v227, 16, v227
	s_cmp_lg_u32 s20, s16
	v_cndmask_b32_e32 v217, v217, v233, vcc
	v_cndmask_b32_e32 v216, v216, v232, vcc
	;; [unrolled: 1-line block ×5, first 2 shown]
	s_cbranch_scc1 .LBB106_421
.LBB106_422:
	s_waitcnt lgkmcnt(0)
	v_cmp_eq_f64_e32 vcc, 0, v[216:217]
	v_cmp_eq_f64_e64 s[0:1], 0, v[218:219]
	s_and_b64 s[0:1], vcc, s[0:1]
	s_and_saveexec_b64 s[16:17], s[0:1]
	s_xor_b64 s[0:1], exec, s[16:17]
; %bb.423:
	v_cmp_ne_u32_e32 vcc, 0, v230
	s_nop 1
	v_cndmask_b32_e32 v230, 21, v230, vcc
; %bb.424:
	s_andn2_saveexec_b64 s[0:1], s[0:1]
	s_cbranch_execz .LBB106_430
; %bb.425:
	v_cmp_ngt_f64_e64 s[16:17], |v[216:217]|, |v[218:219]|
	s_and_saveexec_b64 s[18:19], s[16:17]
	s_xor_b64 s[16:17], exec, s[18:19]
	s_cbranch_execz .LBB106_427
; %bb.426:
	v_div_scale_f64 v[222:223], s[18:19], v[218:219], v[218:219], v[216:217]
	v_rcp_f64_e32 v[232:233], v[222:223]
	v_div_scale_f64 v[234:235], vcc, v[216:217], v[218:219], v[216:217]
	v_fma_f64 v[236:237], -v[222:223], v[232:233], 1.0
	v_fmac_f64_e32 v[232:233], v[232:233], v[236:237]
	v_fma_f64 v[236:237], -v[222:223], v[232:233], 1.0
	v_fmac_f64_e32 v[232:233], v[232:233], v[236:237]
	v_mul_f64 v[236:237], v[234:235], v[232:233]
	v_fma_f64 v[222:223], -v[222:223], v[236:237], v[234:235]
	v_div_fmas_f64 v[222:223], v[222:223], v[232:233], v[236:237]
	v_div_fixup_f64 v[222:223], v[222:223], v[218:219], v[216:217]
	v_fmac_f64_e32 v[218:219], v[216:217], v[222:223]
	v_div_scale_f64 v[216:217], s[18:19], v[218:219], v[218:219], 1.0
	v_rcp_f64_e32 v[232:233], v[216:217]
	s_nop 0
	v_fma_f64 v[234:235], -v[216:217], v[232:233], 1.0
	v_fmac_f64_e32 v[232:233], v[232:233], v[234:235]
	v_fma_f64 v[234:235], -v[216:217], v[232:233], 1.0
	v_fmac_f64_e32 v[232:233], v[232:233], v[234:235]
	v_div_scale_f64 v[234:235], vcc, 1.0, v[218:219], 1.0
	v_mul_f64 v[236:237], v[234:235], v[232:233]
	v_fma_f64 v[216:217], -v[216:217], v[236:237], v[234:235]
	s_nop 1
	v_div_fmas_f64 v[216:217], v[216:217], v[232:233], v[236:237]
	v_div_fixup_f64 v[218:219], v[216:217], v[218:219], 1.0
	v_mul_f64 v[216:217], v[222:223], v[218:219]
	v_xor_b32_e32 v219, 0x80000000, v219
.LBB106_427:
	s_andn2_saveexec_b64 s[16:17], s[16:17]
	s_cbranch_execz .LBB106_429
; %bb.428:
	v_div_scale_f64 v[222:223], s[18:19], v[216:217], v[216:217], v[218:219]
	v_rcp_f64_e32 v[232:233], v[222:223]
	v_div_scale_f64 v[234:235], vcc, v[218:219], v[216:217], v[218:219]
	v_fma_f64 v[236:237], -v[222:223], v[232:233], 1.0
	v_fmac_f64_e32 v[232:233], v[232:233], v[236:237]
	v_fma_f64 v[236:237], -v[222:223], v[232:233], 1.0
	v_fmac_f64_e32 v[232:233], v[232:233], v[236:237]
	v_mul_f64 v[236:237], v[234:235], v[232:233]
	v_fma_f64 v[222:223], -v[222:223], v[236:237], v[234:235]
	v_div_fmas_f64 v[222:223], v[222:223], v[232:233], v[236:237]
	v_div_fixup_f64 v[222:223], v[222:223], v[216:217], v[218:219]
	v_fmac_f64_e32 v[216:217], v[218:219], v[222:223]
	v_div_scale_f64 v[218:219], s[18:19], v[216:217], v[216:217], 1.0
	v_rcp_f64_e32 v[232:233], v[218:219]
	s_nop 0
	v_fma_f64 v[234:235], -v[218:219], v[232:233], 1.0
	v_fmac_f64_e32 v[232:233], v[232:233], v[234:235]
	v_fma_f64 v[234:235], -v[218:219], v[232:233], 1.0
	v_fmac_f64_e32 v[232:233], v[232:233], v[234:235]
	v_div_scale_f64 v[234:235], vcc, 1.0, v[216:217], 1.0
	v_mul_f64 v[236:237], v[234:235], v[232:233]
	v_fma_f64 v[218:219], -v[218:219], v[236:237], v[234:235]
	s_nop 1
	v_div_fmas_f64 v[218:219], v[218:219], v[232:233], v[236:237]
	v_div_fixup_f64 v[216:217], v[218:219], v[216:217], 1.0
	v_mul_f64 v[218:219], v[222:223], -v[216:217]
.LBB106_429:
	s_or_b64 exec, exec, s[16:17]
.LBB106_430:
	s_or_b64 exec, exec, s[0:1]
	v_cmp_ne_u32_e32 vcc, v229, v226
	s_and_saveexec_b64 s[0:1], vcc
	s_xor_b64 s[0:1], exec, s[0:1]
	s_cbranch_execz .LBB106_436
; %bb.431:
	v_cmp_eq_u32_e32 vcc, 20, v229
	s_and_saveexec_b64 s[16:17], vcc
	s_cbranch_execz .LBB106_435
; %bb.432:
	v_cmp_ne_u32_e32 vcc, 20, v226
	s_xor_b64 s[18:19], s[14:15], -1
	s_and_b64 s[22:23], s[18:19], vcc
	s_and_saveexec_b64 s[18:19], s[22:23]
	s_cbranch_execz .LBB106_434
; %bb.433:
	v_ashrrev_i32_e32 v227, 31, v226
	s_waitcnt vmcnt(0)
	v_lshl_add_u64 v[222:223], v[226:227], 2, v[224:225]
	global_load_dword v227, v[222:223], off
	global_load_dword v229, v[224:225], off offset:80
	s_waitcnt vmcnt(1)
	global_store_dword v[224:225], v227, off offset:80
	s_waitcnt vmcnt(1)
	global_store_dword v[222:223], v229, off
.LBB106_434:
	s_or_b64 exec, exec, s[18:19]
	v_mov_b32_e32 v229, v226
	v_mov_b32_e32 v220, v226
.LBB106_435:
	s_or_b64 exec, exec, s[16:17]
.LBB106_436:
	s_andn2_saveexec_b64 s[0:1], s[0:1]
	s_cbranch_execz .LBB106_438
; %bb.437:
	v_mov_b32_e32 v229, 20
	s_waitcnt vmcnt(33)
	ds_write2_b64 v228, v[124:125], v[126:127] offset0:42 offset1:43
	s_waitcnt vmcnt(32)
	ds_write2_b64 v228, v[120:121], v[122:123] offset0:44 offset1:45
	;; [unrolled: 2-line block ×33, first 2 shown]
.LBB106_438:
	s_or_b64 exec, exec, s[0:1]
	v_cmp_lt_i32_e32 vcc, 20, v229
	s_waitcnt lgkmcnt(0)
	s_barrier
	s_and_saveexec_b64 s[0:1], vcc
	s_cbranch_execz .LBB106_440
; %bb.439:
	ds_read2_b64 v[232:235], v228 offset0:42 offset1:43
	v_mul_f64 v[222:223], v[218:219], v[130:131]
	v_mul_f64 v[130:131], v[216:217], v[130:131]
	v_fma_f64 v[226:227], v[216:217], v[128:129], -v[222:223]
	v_fmac_f64_e32 v[130:131], v[218:219], v[128:129]
	ds_read2_b64 v[216:219], v228 offset0:44 offset1:45
	s_waitcnt lgkmcnt(1)
	v_mul_f64 v[128:129], v[234:235], v[130:131]
	v_fma_f64 v[128:129], v[232:233], v[226:227], -v[128:129]
	v_mul_f64 v[222:223], v[232:233], v[130:131]
	s_waitcnt vmcnt(33)
	v_add_f64 v[124:125], v[124:125], -v[128:129]
	s_waitcnt lgkmcnt(0)
	v_mul_f64 v[128:129], v[218:219], v[130:131]
	v_fmac_f64_e32 v[222:223], v[234:235], v[226:227]
	v_fma_f64 v[128:129], v[216:217], v[226:227], -v[128:129]
	v_mul_f64 v[216:217], v[216:217], v[130:131]
	ds_read2_b64 v[232:235], v228 offset0:46 offset1:47
	v_fmac_f64_e32 v[216:217], v[218:219], v[226:227]
	s_waitcnt vmcnt(32)
	v_add_f64 v[122:123], v[122:123], -v[216:217]
	ds_read2_b64 v[216:219], v228 offset0:48 offset1:49
	v_add_f64 v[120:121], v[120:121], -v[128:129]
	s_waitcnt lgkmcnt(1)
	v_mul_f64 v[128:129], v[234:235], v[130:131]
	v_fma_f64 v[128:129], v[232:233], v[226:227], -v[128:129]
	v_add_f64 v[126:127], v[126:127], -v[222:223]
	v_mul_f64 v[222:223], v[232:233], v[130:131]
	s_waitcnt vmcnt(31)
	v_add_f64 v[116:117], v[116:117], -v[128:129]
	s_waitcnt lgkmcnt(0)
	v_mul_f64 v[128:129], v[218:219], v[130:131]
	v_fmac_f64_e32 v[222:223], v[234:235], v[226:227]
	v_fma_f64 v[128:129], v[216:217], v[226:227], -v[128:129]
	v_mul_f64 v[216:217], v[216:217], v[130:131]
	ds_read2_b64 v[232:235], v228 offset0:50 offset1:51
	v_fmac_f64_e32 v[216:217], v[218:219], v[226:227]
	s_waitcnt vmcnt(30)
	v_add_f64 v[114:115], v[114:115], -v[216:217]
	ds_read2_b64 v[216:219], v228 offset0:52 offset1:53
	v_add_f64 v[112:113], v[112:113], -v[128:129]
	s_waitcnt lgkmcnt(1)
	v_mul_f64 v[128:129], v[234:235], v[130:131]
	v_fma_f64 v[128:129], v[232:233], v[226:227], -v[128:129]
	v_add_f64 v[118:119], v[118:119], -v[222:223]
	;; [unrolled: 18-line block ×13, first 2 shown]
	v_mul_f64 v[222:223], v[232:233], v[130:131]
	s_waitcnt vmcnt(7)
	v_add_f64 v[20:21], v[20:21], -v[128:129]
	s_waitcnt lgkmcnt(0)
	v_mul_f64 v[128:129], v[218:219], v[130:131]
	v_fmac_f64_e32 v[222:223], v[234:235], v[226:227]
	v_fma_f64 v[128:129], v[216:217], v[226:227], -v[128:129]
	v_mul_f64 v[216:217], v[216:217], v[130:131]
	ds_read2_b64 v[232:235], v228 offset0:98 offset1:99
	v_fmac_f64_e32 v[216:217], v[218:219], v[226:227]
	s_waitcnt vmcnt(6)
	v_add_f64 v[18:19], v[18:19], -v[216:217]
	ds_read2_b64 v[216:219], v228 offset0:100 offset1:101
	v_add_f64 v[16:17], v[16:17], -v[128:129]
	s_waitcnt lgkmcnt(1)
	v_mul_f64 v[128:129], v[234:235], v[130:131]
	v_add_f64 v[22:23], v[22:23], -v[222:223]
	v_fma_f64 v[128:129], v[232:233], v[226:227], -v[128:129]
	v_mul_f64 v[222:223], v[232:233], v[130:131]
	v_fmac_f64_e32 v[222:223], v[234:235], v[226:227]
	s_waitcnt vmcnt(5)
	v_add_f64 v[12:13], v[12:13], -v[128:129]
	s_waitcnt lgkmcnt(0)
	v_mul_f64 v[128:129], v[218:219], v[130:131]
	ds_read2_b64 v[232:235], v228 offset0:102 offset1:103
	v_fma_f64 v[128:129], v[216:217], v[226:227], -v[128:129]
	v_mul_f64 v[216:217], v[216:217], v[130:131]
	v_fmac_f64_e32 v[216:217], v[218:219], v[226:227]
	s_waitcnt vmcnt(4)
	v_add_f64 v[10:11], v[10:11], -v[216:217]
	ds_read2_b64 v[216:219], v228 offset0:104 offset1:105
	v_add_f64 v[14:15], v[14:15], -v[222:223]
	v_add_f64 v[8:9], v[8:9], -v[128:129]
	s_waitcnt lgkmcnt(1)
	v_mul_f64 v[128:129], v[234:235], v[130:131]
	v_mul_f64 v[222:223], v[232:233], v[130:131]
	v_fma_f64 v[128:129], v[232:233], v[226:227], -v[128:129]
	v_fmac_f64_e32 v[222:223], v[234:235], v[226:227]
	ds_read2_b64 v[232:235], v228 offset0:106 offset1:107
	s_waitcnt vmcnt(3)
	v_add_f64 v[4:5], v[4:5], -v[128:129]
	s_waitcnt lgkmcnt(1)
	v_mul_f64 v[128:129], v[218:219], v[130:131]
	v_fma_f64 v[128:129], v[216:217], v[226:227], -v[128:129]
	v_mul_f64 v[216:217], v[216:217], v[130:131]
	v_fmac_f64_e32 v[216:217], v[218:219], v[226:227]
	s_waitcnt vmcnt(2)
	v_add_f64 v[0:1], v[0:1], -v[128:129]
	v_add_f64 v[2:3], v[2:3], -v[216:217]
	s_waitcnt lgkmcnt(0)
	v_mul_f64 v[128:129], v[234:235], v[130:131]
	v_mul_f64 v[216:217], v[232:233], v[130:131]
	v_fma_f64 v[128:129], v[232:233], v[226:227], -v[128:129]
	v_fmac_f64_e32 v[216:217], v[234:235], v[226:227]
	v_add_f64 v[6:7], v[6:7], -v[222:223]
	s_waitcnt vmcnt(1)
	v_add_f64 v[212:213], v[212:213], -v[128:129]
	v_add_f64 v[214:215], v[214:215], -v[216:217]
	v_mov_b64_e32 v[128:129], v[226:227]
.LBB106_440:
	s_or_b64 exec, exec, s[0:1]
	v_lshl_add_u32 v216, v229, 4, v228
	s_barrier
	s_waitcnt vmcnt(33)
	ds_write2_b64 v216, v[124:125], v[126:127] offset1:1
	s_waitcnt lgkmcnt(0)
	s_barrier
	ds_read2_b64 v[216:219], v228 offset0:42 offset1:43
	s_cmp_lt_i32 s20, 23
	v_mov_b32_e32 v226, 21
	s_cbranch_scc1 .LBB106_443
; %bb.441:
	v_add_u32_e32 v227, 0x160, v228
	s_mov_b32 s16, 22
	v_mov_b32_e32 v226, 21
.LBB106_442:                            ; =>This Inner Loop Header: Depth=1
	ds_read2_b64 v[232:235], v227 offset1:1
	s_waitcnt lgkmcnt(1)
	v_xor_b32_e32 v223, 0x80000000, v217
	v_xor_b32_e32 v231, 0x80000000, v219
	v_cmp_gt_f64_e32 vcc, 0, v[218:219]
	v_cmp_gt_f64_e64 s[0:1], 0, v[216:217]
	v_mov_b32_e32 v222, v216
	v_mov_b32_e32 v236, v218
	v_cndmask_b32_e64 v223, v217, v223, s[0:1]
	v_cndmask_b32_e32 v237, v219, v231, vcc
	s_waitcnt lgkmcnt(0)
	v_xor_b32_e32 v231, 0x80000000, v233
	v_xor_b32_e32 v239, 0x80000000, v235
	v_cmp_gt_f64_e32 vcc, 0, v[234:235]
	v_cmp_gt_f64_e64 s[0:1], 0, v[232:233]
	v_add_f64 v[222:223], v[222:223], v[236:237]
	v_mov_b32_e32 v236, v232
	v_mov_b32_e32 v238, v234
	v_cndmask_b32_e64 v237, v233, v231, s[0:1]
	v_cndmask_b32_e32 v239, v235, v239, vcc
	v_add_f64 v[236:237], v[236:237], v[238:239]
	v_mov_b32_e32 v240, s16
	s_add_i32 s16, s16, 1
	v_cmp_lt_f64_e32 vcc, v[222:223], v[236:237]
	v_add_u32_e32 v227, 16, v227
	s_cmp_lg_u32 s20, s16
	v_cndmask_b32_e32 v217, v217, v233, vcc
	v_cndmask_b32_e32 v216, v216, v232, vcc
	;; [unrolled: 1-line block ×5, first 2 shown]
	s_cbranch_scc1 .LBB106_442
.LBB106_443:
	s_waitcnt lgkmcnt(0)
	v_cmp_eq_f64_e32 vcc, 0, v[216:217]
	v_cmp_eq_f64_e64 s[0:1], 0, v[218:219]
	s_and_b64 s[0:1], vcc, s[0:1]
	s_and_saveexec_b64 s[16:17], s[0:1]
	s_xor_b64 s[0:1], exec, s[16:17]
; %bb.444:
	v_cmp_ne_u32_e32 vcc, 0, v230
	s_nop 1
	v_cndmask_b32_e32 v230, 22, v230, vcc
; %bb.445:
	s_andn2_saveexec_b64 s[0:1], s[0:1]
	s_cbranch_execz .LBB106_451
; %bb.446:
	v_cmp_ngt_f64_e64 s[16:17], |v[216:217]|, |v[218:219]|
	s_and_saveexec_b64 s[18:19], s[16:17]
	s_xor_b64 s[16:17], exec, s[18:19]
	s_cbranch_execz .LBB106_448
; %bb.447:
	v_div_scale_f64 v[222:223], s[18:19], v[218:219], v[218:219], v[216:217]
	v_rcp_f64_e32 v[232:233], v[222:223]
	v_div_scale_f64 v[234:235], vcc, v[216:217], v[218:219], v[216:217]
	v_fma_f64 v[236:237], -v[222:223], v[232:233], 1.0
	v_fmac_f64_e32 v[232:233], v[232:233], v[236:237]
	v_fma_f64 v[236:237], -v[222:223], v[232:233], 1.0
	v_fmac_f64_e32 v[232:233], v[232:233], v[236:237]
	v_mul_f64 v[236:237], v[234:235], v[232:233]
	v_fma_f64 v[222:223], -v[222:223], v[236:237], v[234:235]
	v_div_fmas_f64 v[222:223], v[222:223], v[232:233], v[236:237]
	v_div_fixup_f64 v[222:223], v[222:223], v[218:219], v[216:217]
	v_fmac_f64_e32 v[218:219], v[216:217], v[222:223]
	v_div_scale_f64 v[216:217], s[18:19], v[218:219], v[218:219], 1.0
	v_rcp_f64_e32 v[232:233], v[216:217]
	s_nop 0
	v_fma_f64 v[234:235], -v[216:217], v[232:233], 1.0
	v_fmac_f64_e32 v[232:233], v[232:233], v[234:235]
	v_fma_f64 v[234:235], -v[216:217], v[232:233], 1.0
	v_fmac_f64_e32 v[232:233], v[232:233], v[234:235]
	v_div_scale_f64 v[234:235], vcc, 1.0, v[218:219], 1.0
	v_mul_f64 v[236:237], v[234:235], v[232:233]
	v_fma_f64 v[216:217], -v[216:217], v[236:237], v[234:235]
	s_nop 1
	v_div_fmas_f64 v[216:217], v[216:217], v[232:233], v[236:237]
	v_div_fixup_f64 v[218:219], v[216:217], v[218:219], 1.0
	v_mul_f64 v[216:217], v[222:223], v[218:219]
	v_xor_b32_e32 v219, 0x80000000, v219
.LBB106_448:
	s_andn2_saveexec_b64 s[16:17], s[16:17]
	s_cbranch_execz .LBB106_450
; %bb.449:
	v_div_scale_f64 v[222:223], s[18:19], v[216:217], v[216:217], v[218:219]
	v_rcp_f64_e32 v[232:233], v[222:223]
	v_div_scale_f64 v[234:235], vcc, v[218:219], v[216:217], v[218:219]
	v_fma_f64 v[236:237], -v[222:223], v[232:233], 1.0
	v_fmac_f64_e32 v[232:233], v[232:233], v[236:237]
	v_fma_f64 v[236:237], -v[222:223], v[232:233], 1.0
	v_fmac_f64_e32 v[232:233], v[232:233], v[236:237]
	v_mul_f64 v[236:237], v[234:235], v[232:233]
	v_fma_f64 v[222:223], -v[222:223], v[236:237], v[234:235]
	v_div_fmas_f64 v[222:223], v[222:223], v[232:233], v[236:237]
	v_div_fixup_f64 v[222:223], v[222:223], v[216:217], v[218:219]
	v_fmac_f64_e32 v[216:217], v[218:219], v[222:223]
	v_div_scale_f64 v[218:219], s[18:19], v[216:217], v[216:217], 1.0
	v_rcp_f64_e32 v[232:233], v[218:219]
	s_nop 0
	v_fma_f64 v[234:235], -v[218:219], v[232:233], 1.0
	v_fmac_f64_e32 v[232:233], v[232:233], v[234:235]
	v_fma_f64 v[234:235], -v[218:219], v[232:233], 1.0
	v_fmac_f64_e32 v[232:233], v[232:233], v[234:235]
	v_div_scale_f64 v[234:235], vcc, 1.0, v[216:217], 1.0
	v_mul_f64 v[236:237], v[234:235], v[232:233]
	v_fma_f64 v[218:219], -v[218:219], v[236:237], v[234:235]
	s_nop 1
	v_div_fmas_f64 v[218:219], v[218:219], v[232:233], v[236:237]
	v_div_fixup_f64 v[216:217], v[218:219], v[216:217], 1.0
	v_mul_f64 v[218:219], v[222:223], -v[216:217]
.LBB106_450:
	s_or_b64 exec, exec, s[16:17]
.LBB106_451:
	s_or_b64 exec, exec, s[0:1]
	v_cmp_ne_u32_e32 vcc, v229, v226
	s_and_saveexec_b64 s[0:1], vcc
	s_xor_b64 s[0:1], exec, s[0:1]
	s_cbranch_execz .LBB106_457
; %bb.452:
	v_cmp_eq_u32_e32 vcc, 21, v229
	s_and_saveexec_b64 s[16:17], vcc
	s_cbranch_execz .LBB106_456
; %bb.453:
	v_cmp_ne_u32_e32 vcc, 21, v226
	s_xor_b64 s[18:19], s[14:15], -1
	s_and_b64 s[22:23], s[18:19], vcc
	s_and_saveexec_b64 s[18:19], s[22:23]
	s_cbranch_execz .LBB106_455
; %bb.454:
	v_ashrrev_i32_e32 v227, 31, v226
	s_waitcnt vmcnt(0)
	v_lshl_add_u64 v[222:223], v[226:227], 2, v[224:225]
	global_load_dword v227, v[222:223], off
	global_load_dword v229, v[224:225], off offset:84
	s_waitcnt vmcnt(1)
	global_store_dword v[224:225], v227, off offset:84
	s_waitcnt vmcnt(1)
	global_store_dword v[222:223], v229, off
.LBB106_455:
	s_or_b64 exec, exec, s[18:19]
	v_mov_b32_e32 v229, v226
	v_mov_b32_e32 v220, v226
.LBB106_456:
	s_or_b64 exec, exec, s[16:17]
.LBB106_457:
	s_andn2_saveexec_b64 s[0:1], s[0:1]
	s_cbranch_execz .LBB106_459
; %bb.458:
	v_mov_b32_e32 v229, 21
	s_waitcnt vmcnt(32)
	ds_write2_b64 v228, v[120:121], v[122:123] offset0:44 offset1:45
	s_waitcnt vmcnt(31)
	ds_write2_b64 v228, v[116:117], v[118:119] offset0:46 offset1:47
	;; [unrolled: 2-line block ×32, first 2 shown]
.LBB106_459:
	s_or_b64 exec, exec, s[0:1]
	v_cmp_lt_i32_e32 vcc, 21, v229
	s_waitcnt lgkmcnt(0)
	s_barrier
	s_and_saveexec_b64 s[0:1], vcc
	s_cbranch_execz .LBB106_461
; %bb.460:
	ds_read2_b64 v[232:235], v228 offset0:44 offset1:45
	v_mul_f64 v[222:223], v[218:219], v[126:127]
	v_mul_f64 v[126:127], v[216:217], v[126:127]
	v_fma_f64 v[226:227], v[216:217], v[124:125], -v[222:223]
	v_fmac_f64_e32 v[126:127], v[218:219], v[124:125]
	ds_read2_b64 v[216:219], v228 offset0:46 offset1:47
	s_waitcnt lgkmcnt(1)
	v_mul_f64 v[124:125], v[234:235], v[126:127]
	v_fma_f64 v[124:125], v[232:233], v[226:227], -v[124:125]
	v_mul_f64 v[222:223], v[232:233], v[126:127]
	s_waitcnt vmcnt(32)
	v_add_f64 v[120:121], v[120:121], -v[124:125]
	s_waitcnt lgkmcnt(0)
	v_mul_f64 v[124:125], v[218:219], v[126:127]
	v_fmac_f64_e32 v[222:223], v[234:235], v[226:227]
	v_fma_f64 v[124:125], v[216:217], v[226:227], -v[124:125]
	v_mul_f64 v[216:217], v[216:217], v[126:127]
	ds_read2_b64 v[232:235], v228 offset0:48 offset1:49
	v_fmac_f64_e32 v[216:217], v[218:219], v[226:227]
	s_waitcnt vmcnt(31)
	v_add_f64 v[118:119], v[118:119], -v[216:217]
	ds_read2_b64 v[216:219], v228 offset0:50 offset1:51
	v_add_f64 v[116:117], v[116:117], -v[124:125]
	s_waitcnt lgkmcnt(1)
	v_mul_f64 v[124:125], v[234:235], v[126:127]
	v_fma_f64 v[124:125], v[232:233], v[226:227], -v[124:125]
	v_add_f64 v[122:123], v[122:123], -v[222:223]
	v_mul_f64 v[222:223], v[232:233], v[126:127]
	s_waitcnt vmcnt(30)
	v_add_f64 v[112:113], v[112:113], -v[124:125]
	s_waitcnt lgkmcnt(0)
	v_mul_f64 v[124:125], v[218:219], v[126:127]
	v_fmac_f64_e32 v[222:223], v[234:235], v[226:227]
	v_fma_f64 v[124:125], v[216:217], v[226:227], -v[124:125]
	v_mul_f64 v[216:217], v[216:217], v[126:127]
	ds_read2_b64 v[232:235], v228 offset0:52 offset1:53
	v_fmac_f64_e32 v[216:217], v[218:219], v[226:227]
	s_waitcnt vmcnt(29)
	v_add_f64 v[110:111], v[110:111], -v[216:217]
	ds_read2_b64 v[216:219], v228 offset0:54 offset1:55
	v_add_f64 v[108:109], v[108:109], -v[124:125]
	s_waitcnt lgkmcnt(1)
	v_mul_f64 v[124:125], v[234:235], v[126:127]
	v_fma_f64 v[124:125], v[232:233], v[226:227], -v[124:125]
	v_add_f64 v[114:115], v[114:115], -v[222:223]
	;; [unrolled: 18-line block ×14, first 2 shown]
	v_mul_f64 v[222:223], v[232:233], v[126:127]
	s_waitcnt vmcnt(4)
	v_add_f64 v[8:9], v[8:9], -v[124:125]
	s_waitcnt lgkmcnt(0)
	v_mul_f64 v[124:125], v[218:219], v[126:127]
	v_fmac_f64_e32 v[222:223], v[234:235], v[226:227]
	v_fma_f64 v[124:125], v[216:217], v[226:227], -v[124:125]
	v_mul_f64 v[216:217], v[216:217], v[126:127]
	ds_read2_b64 v[232:235], v228 offset0:104 offset1:105
	v_fmac_f64_e32 v[216:217], v[218:219], v[226:227]
	s_waitcnt vmcnt(3)
	v_add_f64 v[6:7], v[6:7], -v[216:217]
	ds_read2_b64 v[216:219], v228 offset0:106 offset1:107
	v_add_f64 v[4:5], v[4:5], -v[124:125]
	s_waitcnt lgkmcnt(1)
	v_mul_f64 v[124:125], v[234:235], v[126:127]
	v_fma_f64 v[124:125], v[232:233], v[226:227], -v[124:125]
	s_waitcnt vmcnt(2)
	v_add_f64 v[0:1], v[0:1], -v[124:125]
	s_waitcnt lgkmcnt(0)
	v_mul_f64 v[124:125], v[218:219], v[126:127]
	v_add_f64 v[10:11], v[10:11], -v[222:223]
	v_mul_f64 v[222:223], v[232:233], v[126:127]
	v_fma_f64 v[124:125], v[216:217], v[226:227], -v[124:125]
	v_mul_f64 v[216:217], v[216:217], v[126:127]
	v_fmac_f64_e32 v[222:223], v[234:235], v[226:227]
	v_fmac_f64_e32 v[216:217], v[218:219], v[226:227]
	v_add_f64 v[2:3], v[2:3], -v[222:223]
	s_waitcnt vmcnt(1)
	v_add_f64 v[212:213], v[212:213], -v[124:125]
	v_add_f64 v[214:215], v[214:215], -v[216:217]
	v_mov_b64_e32 v[124:125], v[226:227]
.LBB106_461:
	s_or_b64 exec, exec, s[0:1]
	v_lshl_add_u32 v216, v229, 4, v228
	s_barrier
	s_waitcnt vmcnt(32)
	ds_write2_b64 v216, v[120:121], v[122:123] offset1:1
	s_waitcnt lgkmcnt(0)
	s_barrier
	ds_read2_b64 v[216:219], v228 offset0:44 offset1:45
	s_cmp_lt_i32 s20, 24
	v_mov_b32_e32 v226, 22
	s_cbranch_scc1 .LBB106_464
; %bb.462:
	v_add_u32_e32 v227, 0x170, v228
	s_mov_b32 s16, 23
	v_mov_b32_e32 v226, 22
.LBB106_463:                            ; =>This Inner Loop Header: Depth=1
	ds_read2_b64 v[232:235], v227 offset1:1
	s_waitcnt lgkmcnt(1)
	v_xor_b32_e32 v223, 0x80000000, v217
	v_xor_b32_e32 v231, 0x80000000, v219
	v_cmp_gt_f64_e32 vcc, 0, v[218:219]
	v_cmp_gt_f64_e64 s[0:1], 0, v[216:217]
	v_mov_b32_e32 v222, v216
	v_mov_b32_e32 v236, v218
	v_cndmask_b32_e64 v223, v217, v223, s[0:1]
	v_cndmask_b32_e32 v237, v219, v231, vcc
	s_waitcnt lgkmcnt(0)
	v_xor_b32_e32 v231, 0x80000000, v233
	v_xor_b32_e32 v239, 0x80000000, v235
	v_cmp_gt_f64_e32 vcc, 0, v[234:235]
	v_cmp_gt_f64_e64 s[0:1], 0, v[232:233]
	v_add_f64 v[222:223], v[222:223], v[236:237]
	v_mov_b32_e32 v236, v232
	v_mov_b32_e32 v238, v234
	v_cndmask_b32_e64 v237, v233, v231, s[0:1]
	v_cndmask_b32_e32 v239, v235, v239, vcc
	v_add_f64 v[236:237], v[236:237], v[238:239]
	v_mov_b32_e32 v240, s16
	s_add_i32 s16, s16, 1
	v_cmp_lt_f64_e32 vcc, v[222:223], v[236:237]
	v_add_u32_e32 v227, 16, v227
	s_cmp_lg_u32 s20, s16
	v_cndmask_b32_e32 v217, v217, v233, vcc
	v_cndmask_b32_e32 v216, v216, v232, vcc
	;; [unrolled: 1-line block ×5, first 2 shown]
	s_cbranch_scc1 .LBB106_463
.LBB106_464:
	s_waitcnt lgkmcnt(0)
	v_cmp_eq_f64_e32 vcc, 0, v[216:217]
	v_cmp_eq_f64_e64 s[0:1], 0, v[218:219]
	s_and_b64 s[0:1], vcc, s[0:1]
	s_and_saveexec_b64 s[16:17], s[0:1]
	s_xor_b64 s[0:1], exec, s[16:17]
; %bb.465:
	v_cmp_ne_u32_e32 vcc, 0, v230
	s_nop 1
	v_cndmask_b32_e32 v230, 23, v230, vcc
; %bb.466:
	s_andn2_saveexec_b64 s[0:1], s[0:1]
	s_cbranch_execz .LBB106_472
; %bb.467:
	v_cmp_ngt_f64_e64 s[16:17], |v[216:217]|, |v[218:219]|
	s_and_saveexec_b64 s[18:19], s[16:17]
	s_xor_b64 s[16:17], exec, s[18:19]
	s_cbranch_execz .LBB106_469
; %bb.468:
	v_div_scale_f64 v[222:223], s[18:19], v[218:219], v[218:219], v[216:217]
	v_rcp_f64_e32 v[232:233], v[222:223]
	v_div_scale_f64 v[234:235], vcc, v[216:217], v[218:219], v[216:217]
	v_fma_f64 v[236:237], -v[222:223], v[232:233], 1.0
	v_fmac_f64_e32 v[232:233], v[232:233], v[236:237]
	v_fma_f64 v[236:237], -v[222:223], v[232:233], 1.0
	v_fmac_f64_e32 v[232:233], v[232:233], v[236:237]
	v_mul_f64 v[236:237], v[234:235], v[232:233]
	v_fma_f64 v[222:223], -v[222:223], v[236:237], v[234:235]
	v_div_fmas_f64 v[222:223], v[222:223], v[232:233], v[236:237]
	v_div_fixup_f64 v[222:223], v[222:223], v[218:219], v[216:217]
	v_fmac_f64_e32 v[218:219], v[216:217], v[222:223]
	v_div_scale_f64 v[216:217], s[18:19], v[218:219], v[218:219], 1.0
	v_rcp_f64_e32 v[232:233], v[216:217]
	s_nop 0
	v_fma_f64 v[234:235], -v[216:217], v[232:233], 1.0
	v_fmac_f64_e32 v[232:233], v[232:233], v[234:235]
	v_fma_f64 v[234:235], -v[216:217], v[232:233], 1.0
	v_fmac_f64_e32 v[232:233], v[232:233], v[234:235]
	v_div_scale_f64 v[234:235], vcc, 1.0, v[218:219], 1.0
	v_mul_f64 v[236:237], v[234:235], v[232:233]
	v_fma_f64 v[216:217], -v[216:217], v[236:237], v[234:235]
	s_nop 1
	v_div_fmas_f64 v[216:217], v[216:217], v[232:233], v[236:237]
	v_div_fixup_f64 v[218:219], v[216:217], v[218:219], 1.0
	v_mul_f64 v[216:217], v[222:223], v[218:219]
	v_xor_b32_e32 v219, 0x80000000, v219
.LBB106_469:
	s_andn2_saveexec_b64 s[16:17], s[16:17]
	s_cbranch_execz .LBB106_471
; %bb.470:
	v_div_scale_f64 v[222:223], s[18:19], v[216:217], v[216:217], v[218:219]
	v_rcp_f64_e32 v[232:233], v[222:223]
	v_div_scale_f64 v[234:235], vcc, v[218:219], v[216:217], v[218:219]
	v_fma_f64 v[236:237], -v[222:223], v[232:233], 1.0
	v_fmac_f64_e32 v[232:233], v[232:233], v[236:237]
	v_fma_f64 v[236:237], -v[222:223], v[232:233], 1.0
	v_fmac_f64_e32 v[232:233], v[232:233], v[236:237]
	v_mul_f64 v[236:237], v[234:235], v[232:233]
	v_fma_f64 v[222:223], -v[222:223], v[236:237], v[234:235]
	v_div_fmas_f64 v[222:223], v[222:223], v[232:233], v[236:237]
	v_div_fixup_f64 v[222:223], v[222:223], v[216:217], v[218:219]
	v_fmac_f64_e32 v[216:217], v[218:219], v[222:223]
	v_div_scale_f64 v[218:219], s[18:19], v[216:217], v[216:217], 1.0
	v_rcp_f64_e32 v[232:233], v[218:219]
	s_nop 0
	v_fma_f64 v[234:235], -v[218:219], v[232:233], 1.0
	v_fmac_f64_e32 v[232:233], v[232:233], v[234:235]
	v_fma_f64 v[234:235], -v[218:219], v[232:233], 1.0
	v_fmac_f64_e32 v[232:233], v[232:233], v[234:235]
	v_div_scale_f64 v[234:235], vcc, 1.0, v[216:217], 1.0
	v_mul_f64 v[236:237], v[234:235], v[232:233]
	v_fma_f64 v[218:219], -v[218:219], v[236:237], v[234:235]
	s_nop 1
	v_div_fmas_f64 v[218:219], v[218:219], v[232:233], v[236:237]
	v_div_fixup_f64 v[216:217], v[218:219], v[216:217], 1.0
	v_mul_f64 v[218:219], v[222:223], -v[216:217]
.LBB106_471:
	s_or_b64 exec, exec, s[16:17]
.LBB106_472:
	s_or_b64 exec, exec, s[0:1]
	v_cmp_ne_u32_e32 vcc, v229, v226
	s_and_saveexec_b64 s[0:1], vcc
	s_xor_b64 s[0:1], exec, s[0:1]
	s_cbranch_execz .LBB106_478
; %bb.473:
	v_cmp_eq_u32_e32 vcc, 22, v229
	s_and_saveexec_b64 s[16:17], vcc
	s_cbranch_execz .LBB106_477
; %bb.474:
	v_cmp_ne_u32_e32 vcc, 22, v226
	s_xor_b64 s[18:19], s[14:15], -1
	s_and_b64 s[22:23], s[18:19], vcc
	s_and_saveexec_b64 s[18:19], s[22:23]
	s_cbranch_execz .LBB106_476
; %bb.475:
	v_ashrrev_i32_e32 v227, 31, v226
	s_waitcnt vmcnt(0)
	v_lshl_add_u64 v[222:223], v[226:227], 2, v[224:225]
	global_load_dword v227, v[222:223], off
	global_load_dword v229, v[224:225], off offset:88
	s_waitcnt vmcnt(1)
	global_store_dword v[224:225], v227, off offset:88
	s_waitcnt vmcnt(1)
	global_store_dword v[222:223], v229, off
.LBB106_476:
	s_or_b64 exec, exec, s[18:19]
	v_mov_b32_e32 v229, v226
	v_mov_b32_e32 v220, v226
.LBB106_477:
	s_or_b64 exec, exec, s[16:17]
.LBB106_478:
	s_andn2_saveexec_b64 s[0:1], s[0:1]
	s_cbranch_execz .LBB106_480
; %bb.479:
	v_mov_b32_e32 v229, 22
	s_waitcnt vmcnt(31)
	ds_write2_b64 v228, v[116:117], v[118:119] offset0:46 offset1:47
	s_waitcnt vmcnt(30)
	ds_write2_b64 v228, v[112:113], v[114:115] offset0:48 offset1:49
	;; [unrolled: 2-line block ×31, first 2 shown]
.LBB106_480:
	s_or_b64 exec, exec, s[0:1]
	v_cmp_lt_i32_e32 vcc, 22, v229
	s_waitcnt lgkmcnt(0)
	s_barrier
	s_and_saveexec_b64 s[0:1], vcc
	s_cbranch_execz .LBB106_482
; %bb.481:
	ds_read2_b64 v[232:235], v228 offset0:46 offset1:47
	v_mul_f64 v[222:223], v[218:219], v[122:123]
	v_mul_f64 v[122:123], v[216:217], v[122:123]
	v_fma_f64 v[226:227], v[216:217], v[120:121], -v[222:223]
	v_fmac_f64_e32 v[122:123], v[218:219], v[120:121]
	ds_read2_b64 v[216:219], v228 offset0:48 offset1:49
	s_waitcnt lgkmcnt(1)
	v_mul_f64 v[120:121], v[234:235], v[122:123]
	v_fma_f64 v[120:121], v[232:233], v[226:227], -v[120:121]
	v_mul_f64 v[222:223], v[232:233], v[122:123]
	s_waitcnt vmcnt(31)
	v_add_f64 v[116:117], v[116:117], -v[120:121]
	s_waitcnt lgkmcnt(0)
	v_mul_f64 v[120:121], v[218:219], v[122:123]
	v_fmac_f64_e32 v[222:223], v[234:235], v[226:227]
	v_fma_f64 v[120:121], v[216:217], v[226:227], -v[120:121]
	v_mul_f64 v[216:217], v[216:217], v[122:123]
	ds_read2_b64 v[232:235], v228 offset0:50 offset1:51
	v_fmac_f64_e32 v[216:217], v[218:219], v[226:227]
	s_waitcnt vmcnt(30)
	v_add_f64 v[114:115], v[114:115], -v[216:217]
	ds_read2_b64 v[216:219], v228 offset0:52 offset1:53
	v_add_f64 v[112:113], v[112:113], -v[120:121]
	s_waitcnt lgkmcnt(1)
	v_mul_f64 v[120:121], v[234:235], v[122:123]
	v_fma_f64 v[120:121], v[232:233], v[226:227], -v[120:121]
	v_add_f64 v[118:119], v[118:119], -v[222:223]
	v_mul_f64 v[222:223], v[232:233], v[122:123]
	s_waitcnt vmcnt(29)
	v_add_f64 v[108:109], v[108:109], -v[120:121]
	s_waitcnt lgkmcnt(0)
	v_mul_f64 v[120:121], v[218:219], v[122:123]
	v_fmac_f64_e32 v[222:223], v[234:235], v[226:227]
	v_fma_f64 v[120:121], v[216:217], v[226:227], -v[120:121]
	v_mul_f64 v[216:217], v[216:217], v[122:123]
	ds_read2_b64 v[232:235], v228 offset0:54 offset1:55
	v_fmac_f64_e32 v[216:217], v[218:219], v[226:227]
	s_waitcnt vmcnt(28)
	v_add_f64 v[106:107], v[106:107], -v[216:217]
	ds_read2_b64 v[216:219], v228 offset0:56 offset1:57
	v_add_f64 v[104:105], v[104:105], -v[120:121]
	s_waitcnt lgkmcnt(1)
	v_mul_f64 v[120:121], v[234:235], v[122:123]
	v_fma_f64 v[120:121], v[232:233], v[226:227], -v[120:121]
	v_add_f64 v[110:111], v[110:111], -v[222:223]
	;; [unrolled: 18-line block ×12, first 2 shown]
	v_mul_f64 v[222:223], v[232:233], v[122:123]
	s_waitcnt vmcnt(7)
	v_add_f64 v[20:21], v[20:21], -v[120:121]
	s_waitcnt lgkmcnt(0)
	v_mul_f64 v[120:121], v[218:219], v[122:123]
	v_fmac_f64_e32 v[222:223], v[234:235], v[226:227]
	v_fma_f64 v[120:121], v[216:217], v[226:227], -v[120:121]
	v_mul_f64 v[216:217], v[216:217], v[122:123]
	ds_read2_b64 v[232:235], v228 offset0:98 offset1:99
	v_fmac_f64_e32 v[216:217], v[218:219], v[226:227]
	s_waitcnt vmcnt(6)
	v_add_f64 v[18:19], v[18:19], -v[216:217]
	ds_read2_b64 v[216:219], v228 offset0:100 offset1:101
	v_add_f64 v[16:17], v[16:17], -v[120:121]
	s_waitcnt lgkmcnt(1)
	v_mul_f64 v[120:121], v[234:235], v[122:123]
	v_add_f64 v[22:23], v[22:23], -v[222:223]
	v_fma_f64 v[120:121], v[232:233], v[226:227], -v[120:121]
	v_mul_f64 v[222:223], v[232:233], v[122:123]
	v_fmac_f64_e32 v[222:223], v[234:235], v[226:227]
	s_waitcnt vmcnt(5)
	v_add_f64 v[12:13], v[12:13], -v[120:121]
	s_waitcnt lgkmcnt(0)
	v_mul_f64 v[120:121], v[218:219], v[122:123]
	ds_read2_b64 v[232:235], v228 offset0:102 offset1:103
	v_fma_f64 v[120:121], v[216:217], v[226:227], -v[120:121]
	v_mul_f64 v[216:217], v[216:217], v[122:123]
	v_fmac_f64_e32 v[216:217], v[218:219], v[226:227]
	s_waitcnt vmcnt(4)
	v_add_f64 v[10:11], v[10:11], -v[216:217]
	ds_read2_b64 v[216:219], v228 offset0:104 offset1:105
	v_add_f64 v[14:15], v[14:15], -v[222:223]
	v_add_f64 v[8:9], v[8:9], -v[120:121]
	s_waitcnt lgkmcnt(1)
	v_mul_f64 v[120:121], v[234:235], v[122:123]
	v_mul_f64 v[222:223], v[232:233], v[122:123]
	v_fma_f64 v[120:121], v[232:233], v[226:227], -v[120:121]
	v_fmac_f64_e32 v[222:223], v[234:235], v[226:227]
	ds_read2_b64 v[232:235], v228 offset0:106 offset1:107
	s_waitcnt vmcnt(3)
	v_add_f64 v[4:5], v[4:5], -v[120:121]
	s_waitcnt lgkmcnt(1)
	v_mul_f64 v[120:121], v[218:219], v[122:123]
	v_fma_f64 v[120:121], v[216:217], v[226:227], -v[120:121]
	v_mul_f64 v[216:217], v[216:217], v[122:123]
	v_fmac_f64_e32 v[216:217], v[218:219], v[226:227]
	s_waitcnt vmcnt(2)
	v_add_f64 v[0:1], v[0:1], -v[120:121]
	v_add_f64 v[2:3], v[2:3], -v[216:217]
	s_waitcnt lgkmcnt(0)
	v_mul_f64 v[120:121], v[234:235], v[122:123]
	v_mul_f64 v[216:217], v[232:233], v[122:123]
	v_fma_f64 v[120:121], v[232:233], v[226:227], -v[120:121]
	v_fmac_f64_e32 v[216:217], v[234:235], v[226:227]
	v_add_f64 v[6:7], v[6:7], -v[222:223]
	s_waitcnt vmcnt(1)
	v_add_f64 v[212:213], v[212:213], -v[120:121]
	v_add_f64 v[214:215], v[214:215], -v[216:217]
	v_mov_b64_e32 v[120:121], v[226:227]
.LBB106_482:
	s_or_b64 exec, exec, s[0:1]
	v_lshl_add_u32 v216, v229, 4, v228
	s_barrier
	s_waitcnt vmcnt(31)
	ds_write2_b64 v216, v[116:117], v[118:119] offset1:1
	s_waitcnt lgkmcnt(0)
	s_barrier
	ds_read2_b64 v[216:219], v228 offset0:46 offset1:47
	s_cmp_lt_i32 s20, 25
	v_mov_b32_e32 v226, 23
	s_cbranch_scc1 .LBB106_485
; %bb.483:
	v_add_u32_e32 v227, 0x180, v228
	s_mov_b32 s16, 24
	v_mov_b32_e32 v226, 23
.LBB106_484:                            ; =>This Inner Loop Header: Depth=1
	ds_read2_b64 v[232:235], v227 offset1:1
	s_waitcnt lgkmcnt(1)
	v_xor_b32_e32 v223, 0x80000000, v217
	v_xor_b32_e32 v231, 0x80000000, v219
	v_cmp_gt_f64_e32 vcc, 0, v[218:219]
	v_cmp_gt_f64_e64 s[0:1], 0, v[216:217]
	v_mov_b32_e32 v222, v216
	v_mov_b32_e32 v236, v218
	v_cndmask_b32_e64 v223, v217, v223, s[0:1]
	v_cndmask_b32_e32 v237, v219, v231, vcc
	s_waitcnt lgkmcnt(0)
	v_xor_b32_e32 v231, 0x80000000, v233
	v_xor_b32_e32 v239, 0x80000000, v235
	v_cmp_gt_f64_e32 vcc, 0, v[234:235]
	v_cmp_gt_f64_e64 s[0:1], 0, v[232:233]
	v_add_f64 v[222:223], v[222:223], v[236:237]
	v_mov_b32_e32 v236, v232
	v_mov_b32_e32 v238, v234
	v_cndmask_b32_e64 v237, v233, v231, s[0:1]
	v_cndmask_b32_e32 v239, v235, v239, vcc
	v_add_f64 v[236:237], v[236:237], v[238:239]
	v_mov_b32_e32 v240, s16
	s_add_i32 s16, s16, 1
	v_cmp_lt_f64_e32 vcc, v[222:223], v[236:237]
	v_add_u32_e32 v227, 16, v227
	s_cmp_lg_u32 s20, s16
	v_cndmask_b32_e32 v217, v217, v233, vcc
	v_cndmask_b32_e32 v216, v216, v232, vcc
	;; [unrolled: 1-line block ×5, first 2 shown]
	s_cbranch_scc1 .LBB106_484
.LBB106_485:
	s_waitcnt lgkmcnt(0)
	v_cmp_eq_f64_e32 vcc, 0, v[216:217]
	v_cmp_eq_f64_e64 s[0:1], 0, v[218:219]
	s_and_b64 s[0:1], vcc, s[0:1]
	s_and_saveexec_b64 s[16:17], s[0:1]
	s_xor_b64 s[0:1], exec, s[16:17]
; %bb.486:
	v_cmp_ne_u32_e32 vcc, 0, v230
	s_nop 1
	v_cndmask_b32_e32 v230, 24, v230, vcc
; %bb.487:
	s_andn2_saveexec_b64 s[0:1], s[0:1]
	s_cbranch_execz .LBB106_493
; %bb.488:
	v_cmp_ngt_f64_e64 s[16:17], |v[216:217]|, |v[218:219]|
	s_and_saveexec_b64 s[18:19], s[16:17]
	s_xor_b64 s[16:17], exec, s[18:19]
	s_cbranch_execz .LBB106_490
; %bb.489:
	v_div_scale_f64 v[222:223], s[18:19], v[218:219], v[218:219], v[216:217]
	v_rcp_f64_e32 v[232:233], v[222:223]
	v_div_scale_f64 v[234:235], vcc, v[216:217], v[218:219], v[216:217]
	v_fma_f64 v[236:237], -v[222:223], v[232:233], 1.0
	v_fmac_f64_e32 v[232:233], v[232:233], v[236:237]
	v_fma_f64 v[236:237], -v[222:223], v[232:233], 1.0
	v_fmac_f64_e32 v[232:233], v[232:233], v[236:237]
	v_mul_f64 v[236:237], v[234:235], v[232:233]
	v_fma_f64 v[222:223], -v[222:223], v[236:237], v[234:235]
	v_div_fmas_f64 v[222:223], v[222:223], v[232:233], v[236:237]
	v_div_fixup_f64 v[222:223], v[222:223], v[218:219], v[216:217]
	v_fmac_f64_e32 v[218:219], v[216:217], v[222:223]
	v_div_scale_f64 v[216:217], s[18:19], v[218:219], v[218:219], 1.0
	v_rcp_f64_e32 v[232:233], v[216:217]
	s_nop 0
	v_fma_f64 v[234:235], -v[216:217], v[232:233], 1.0
	v_fmac_f64_e32 v[232:233], v[232:233], v[234:235]
	v_fma_f64 v[234:235], -v[216:217], v[232:233], 1.0
	v_fmac_f64_e32 v[232:233], v[232:233], v[234:235]
	v_div_scale_f64 v[234:235], vcc, 1.0, v[218:219], 1.0
	v_mul_f64 v[236:237], v[234:235], v[232:233]
	v_fma_f64 v[216:217], -v[216:217], v[236:237], v[234:235]
	s_nop 1
	v_div_fmas_f64 v[216:217], v[216:217], v[232:233], v[236:237]
	v_div_fixup_f64 v[218:219], v[216:217], v[218:219], 1.0
	v_mul_f64 v[216:217], v[222:223], v[218:219]
	v_xor_b32_e32 v219, 0x80000000, v219
.LBB106_490:
	s_andn2_saveexec_b64 s[16:17], s[16:17]
	s_cbranch_execz .LBB106_492
; %bb.491:
	v_div_scale_f64 v[222:223], s[18:19], v[216:217], v[216:217], v[218:219]
	v_rcp_f64_e32 v[232:233], v[222:223]
	v_div_scale_f64 v[234:235], vcc, v[218:219], v[216:217], v[218:219]
	v_fma_f64 v[236:237], -v[222:223], v[232:233], 1.0
	v_fmac_f64_e32 v[232:233], v[232:233], v[236:237]
	v_fma_f64 v[236:237], -v[222:223], v[232:233], 1.0
	v_fmac_f64_e32 v[232:233], v[232:233], v[236:237]
	v_mul_f64 v[236:237], v[234:235], v[232:233]
	v_fma_f64 v[222:223], -v[222:223], v[236:237], v[234:235]
	v_div_fmas_f64 v[222:223], v[222:223], v[232:233], v[236:237]
	v_div_fixup_f64 v[222:223], v[222:223], v[216:217], v[218:219]
	v_fmac_f64_e32 v[216:217], v[218:219], v[222:223]
	v_div_scale_f64 v[218:219], s[18:19], v[216:217], v[216:217], 1.0
	v_rcp_f64_e32 v[232:233], v[218:219]
	s_nop 0
	v_fma_f64 v[234:235], -v[218:219], v[232:233], 1.0
	v_fmac_f64_e32 v[232:233], v[232:233], v[234:235]
	v_fma_f64 v[234:235], -v[218:219], v[232:233], 1.0
	v_fmac_f64_e32 v[232:233], v[232:233], v[234:235]
	v_div_scale_f64 v[234:235], vcc, 1.0, v[216:217], 1.0
	v_mul_f64 v[236:237], v[234:235], v[232:233]
	v_fma_f64 v[218:219], -v[218:219], v[236:237], v[234:235]
	s_nop 1
	v_div_fmas_f64 v[218:219], v[218:219], v[232:233], v[236:237]
	v_div_fixup_f64 v[216:217], v[218:219], v[216:217], 1.0
	v_mul_f64 v[218:219], v[222:223], -v[216:217]
.LBB106_492:
	s_or_b64 exec, exec, s[16:17]
.LBB106_493:
	s_or_b64 exec, exec, s[0:1]
	v_cmp_ne_u32_e32 vcc, v229, v226
	s_and_saveexec_b64 s[0:1], vcc
	s_xor_b64 s[0:1], exec, s[0:1]
	s_cbranch_execz .LBB106_499
; %bb.494:
	v_cmp_eq_u32_e32 vcc, 23, v229
	s_and_saveexec_b64 s[16:17], vcc
	s_cbranch_execz .LBB106_498
; %bb.495:
	v_cmp_ne_u32_e32 vcc, 23, v226
	s_xor_b64 s[18:19], s[14:15], -1
	s_and_b64 s[22:23], s[18:19], vcc
	s_and_saveexec_b64 s[18:19], s[22:23]
	s_cbranch_execz .LBB106_497
; %bb.496:
	v_ashrrev_i32_e32 v227, 31, v226
	s_waitcnt vmcnt(0)
	v_lshl_add_u64 v[222:223], v[226:227], 2, v[224:225]
	global_load_dword v227, v[222:223], off
	global_load_dword v229, v[224:225], off offset:92
	s_waitcnt vmcnt(1)
	global_store_dword v[224:225], v227, off offset:92
	s_waitcnt vmcnt(1)
	global_store_dword v[222:223], v229, off
.LBB106_497:
	s_or_b64 exec, exec, s[18:19]
	v_mov_b32_e32 v229, v226
	v_mov_b32_e32 v220, v226
.LBB106_498:
	s_or_b64 exec, exec, s[16:17]
.LBB106_499:
	s_andn2_saveexec_b64 s[0:1], s[0:1]
	s_cbranch_execz .LBB106_501
; %bb.500:
	v_mov_b32_e32 v229, 23
	s_waitcnt vmcnt(30)
	ds_write2_b64 v228, v[112:113], v[114:115] offset0:48 offset1:49
	s_waitcnt vmcnt(29)
	ds_write2_b64 v228, v[108:109], v[110:111] offset0:50 offset1:51
	;; [unrolled: 2-line block ×30, first 2 shown]
.LBB106_501:
	s_or_b64 exec, exec, s[0:1]
	v_cmp_lt_i32_e32 vcc, 23, v229
	s_waitcnt lgkmcnt(0)
	s_barrier
	s_and_saveexec_b64 s[0:1], vcc
	s_cbranch_execz .LBB106_503
; %bb.502:
	ds_read2_b64 v[232:235], v228 offset0:48 offset1:49
	v_mul_f64 v[222:223], v[218:219], v[118:119]
	v_mul_f64 v[118:119], v[216:217], v[118:119]
	v_fma_f64 v[226:227], v[216:217], v[116:117], -v[222:223]
	v_fmac_f64_e32 v[118:119], v[218:219], v[116:117]
	ds_read2_b64 v[216:219], v228 offset0:50 offset1:51
	s_waitcnt lgkmcnt(1)
	v_mul_f64 v[116:117], v[234:235], v[118:119]
	v_fma_f64 v[116:117], v[232:233], v[226:227], -v[116:117]
	v_mul_f64 v[222:223], v[232:233], v[118:119]
	s_waitcnt vmcnt(30)
	v_add_f64 v[112:113], v[112:113], -v[116:117]
	s_waitcnt lgkmcnt(0)
	v_mul_f64 v[116:117], v[218:219], v[118:119]
	v_fmac_f64_e32 v[222:223], v[234:235], v[226:227]
	v_fma_f64 v[116:117], v[216:217], v[226:227], -v[116:117]
	v_mul_f64 v[216:217], v[216:217], v[118:119]
	ds_read2_b64 v[232:235], v228 offset0:52 offset1:53
	v_fmac_f64_e32 v[216:217], v[218:219], v[226:227]
	s_waitcnt vmcnt(29)
	v_add_f64 v[110:111], v[110:111], -v[216:217]
	ds_read2_b64 v[216:219], v228 offset0:54 offset1:55
	v_add_f64 v[108:109], v[108:109], -v[116:117]
	s_waitcnt lgkmcnt(1)
	v_mul_f64 v[116:117], v[234:235], v[118:119]
	v_fma_f64 v[116:117], v[232:233], v[226:227], -v[116:117]
	v_add_f64 v[114:115], v[114:115], -v[222:223]
	v_mul_f64 v[222:223], v[232:233], v[118:119]
	s_waitcnt vmcnt(28)
	v_add_f64 v[104:105], v[104:105], -v[116:117]
	s_waitcnt lgkmcnt(0)
	v_mul_f64 v[116:117], v[218:219], v[118:119]
	v_fmac_f64_e32 v[222:223], v[234:235], v[226:227]
	v_fma_f64 v[116:117], v[216:217], v[226:227], -v[116:117]
	v_mul_f64 v[216:217], v[216:217], v[118:119]
	ds_read2_b64 v[232:235], v228 offset0:56 offset1:57
	v_fmac_f64_e32 v[216:217], v[218:219], v[226:227]
	s_waitcnt vmcnt(27)
	v_add_f64 v[102:103], v[102:103], -v[216:217]
	ds_read2_b64 v[216:219], v228 offset0:58 offset1:59
	v_add_f64 v[100:101], v[100:101], -v[116:117]
	s_waitcnt lgkmcnt(1)
	v_mul_f64 v[116:117], v[234:235], v[118:119]
	v_fma_f64 v[116:117], v[232:233], v[226:227], -v[116:117]
	v_add_f64 v[106:107], v[106:107], -v[222:223]
	;; [unrolled: 18-line block ×13, first 2 shown]
	v_mul_f64 v[222:223], v[232:233], v[118:119]
	s_waitcnt vmcnt(4)
	v_add_f64 v[8:9], v[8:9], -v[116:117]
	s_waitcnt lgkmcnt(0)
	v_mul_f64 v[116:117], v[218:219], v[118:119]
	v_fmac_f64_e32 v[222:223], v[234:235], v[226:227]
	v_fma_f64 v[116:117], v[216:217], v[226:227], -v[116:117]
	v_mul_f64 v[216:217], v[216:217], v[118:119]
	ds_read2_b64 v[232:235], v228 offset0:104 offset1:105
	v_fmac_f64_e32 v[216:217], v[218:219], v[226:227]
	s_waitcnt vmcnt(3)
	v_add_f64 v[6:7], v[6:7], -v[216:217]
	ds_read2_b64 v[216:219], v228 offset0:106 offset1:107
	v_add_f64 v[4:5], v[4:5], -v[116:117]
	s_waitcnt lgkmcnt(1)
	v_mul_f64 v[116:117], v[234:235], v[118:119]
	v_fma_f64 v[116:117], v[232:233], v[226:227], -v[116:117]
	s_waitcnt vmcnt(2)
	v_add_f64 v[0:1], v[0:1], -v[116:117]
	s_waitcnt lgkmcnt(0)
	v_mul_f64 v[116:117], v[218:219], v[118:119]
	v_add_f64 v[10:11], v[10:11], -v[222:223]
	v_mul_f64 v[222:223], v[232:233], v[118:119]
	v_fma_f64 v[116:117], v[216:217], v[226:227], -v[116:117]
	v_mul_f64 v[216:217], v[216:217], v[118:119]
	v_fmac_f64_e32 v[222:223], v[234:235], v[226:227]
	v_fmac_f64_e32 v[216:217], v[218:219], v[226:227]
	v_add_f64 v[2:3], v[2:3], -v[222:223]
	s_waitcnt vmcnt(1)
	v_add_f64 v[212:213], v[212:213], -v[116:117]
	v_add_f64 v[214:215], v[214:215], -v[216:217]
	v_mov_b64_e32 v[116:117], v[226:227]
.LBB106_503:
	s_or_b64 exec, exec, s[0:1]
	v_lshl_add_u32 v216, v229, 4, v228
	s_barrier
	s_waitcnt vmcnt(30)
	ds_write2_b64 v216, v[112:113], v[114:115] offset1:1
	s_waitcnt lgkmcnt(0)
	s_barrier
	ds_read2_b64 v[216:219], v228 offset0:48 offset1:49
	s_cmp_lt_i32 s20, 26
	v_mov_b32_e32 v226, 24
	s_cbranch_scc1 .LBB106_506
; %bb.504:
	v_add_u32_e32 v227, 0x190, v228
	s_mov_b32 s16, 25
	v_mov_b32_e32 v226, 24
.LBB106_505:                            ; =>This Inner Loop Header: Depth=1
	ds_read2_b64 v[232:235], v227 offset1:1
	s_waitcnt lgkmcnt(1)
	v_xor_b32_e32 v223, 0x80000000, v217
	v_xor_b32_e32 v231, 0x80000000, v219
	v_cmp_gt_f64_e32 vcc, 0, v[218:219]
	v_cmp_gt_f64_e64 s[0:1], 0, v[216:217]
	v_mov_b32_e32 v222, v216
	v_mov_b32_e32 v236, v218
	v_cndmask_b32_e64 v223, v217, v223, s[0:1]
	v_cndmask_b32_e32 v237, v219, v231, vcc
	s_waitcnt lgkmcnt(0)
	v_xor_b32_e32 v231, 0x80000000, v233
	v_xor_b32_e32 v239, 0x80000000, v235
	v_cmp_gt_f64_e32 vcc, 0, v[234:235]
	v_cmp_gt_f64_e64 s[0:1], 0, v[232:233]
	v_add_f64 v[222:223], v[222:223], v[236:237]
	v_mov_b32_e32 v236, v232
	v_mov_b32_e32 v238, v234
	v_cndmask_b32_e64 v237, v233, v231, s[0:1]
	v_cndmask_b32_e32 v239, v235, v239, vcc
	v_add_f64 v[236:237], v[236:237], v[238:239]
	v_mov_b32_e32 v240, s16
	s_add_i32 s16, s16, 1
	v_cmp_lt_f64_e32 vcc, v[222:223], v[236:237]
	v_add_u32_e32 v227, 16, v227
	s_cmp_lg_u32 s20, s16
	v_cndmask_b32_e32 v217, v217, v233, vcc
	v_cndmask_b32_e32 v216, v216, v232, vcc
	;; [unrolled: 1-line block ×5, first 2 shown]
	s_cbranch_scc1 .LBB106_505
.LBB106_506:
	s_waitcnt lgkmcnt(0)
	v_cmp_eq_f64_e32 vcc, 0, v[216:217]
	v_cmp_eq_f64_e64 s[0:1], 0, v[218:219]
	s_and_b64 s[0:1], vcc, s[0:1]
	s_and_saveexec_b64 s[16:17], s[0:1]
	s_xor_b64 s[0:1], exec, s[16:17]
; %bb.507:
	v_cmp_ne_u32_e32 vcc, 0, v230
	s_nop 1
	v_cndmask_b32_e32 v230, 25, v230, vcc
; %bb.508:
	s_andn2_saveexec_b64 s[0:1], s[0:1]
	s_cbranch_execz .LBB106_514
; %bb.509:
	v_cmp_ngt_f64_e64 s[16:17], |v[216:217]|, |v[218:219]|
	s_and_saveexec_b64 s[18:19], s[16:17]
	s_xor_b64 s[16:17], exec, s[18:19]
	s_cbranch_execz .LBB106_511
; %bb.510:
	v_div_scale_f64 v[222:223], s[18:19], v[218:219], v[218:219], v[216:217]
	v_rcp_f64_e32 v[232:233], v[222:223]
	v_div_scale_f64 v[234:235], vcc, v[216:217], v[218:219], v[216:217]
	v_fma_f64 v[236:237], -v[222:223], v[232:233], 1.0
	v_fmac_f64_e32 v[232:233], v[232:233], v[236:237]
	v_fma_f64 v[236:237], -v[222:223], v[232:233], 1.0
	v_fmac_f64_e32 v[232:233], v[232:233], v[236:237]
	v_mul_f64 v[236:237], v[234:235], v[232:233]
	v_fma_f64 v[222:223], -v[222:223], v[236:237], v[234:235]
	v_div_fmas_f64 v[222:223], v[222:223], v[232:233], v[236:237]
	v_div_fixup_f64 v[222:223], v[222:223], v[218:219], v[216:217]
	v_fmac_f64_e32 v[218:219], v[216:217], v[222:223]
	v_div_scale_f64 v[216:217], s[18:19], v[218:219], v[218:219], 1.0
	v_rcp_f64_e32 v[232:233], v[216:217]
	s_nop 0
	v_fma_f64 v[234:235], -v[216:217], v[232:233], 1.0
	v_fmac_f64_e32 v[232:233], v[232:233], v[234:235]
	v_fma_f64 v[234:235], -v[216:217], v[232:233], 1.0
	v_fmac_f64_e32 v[232:233], v[232:233], v[234:235]
	v_div_scale_f64 v[234:235], vcc, 1.0, v[218:219], 1.0
	v_mul_f64 v[236:237], v[234:235], v[232:233]
	v_fma_f64 v[216:217], -v[216:217], v[236:237], v[234:235]
	s_nop 1
	v_div_fmas_f64 v[216:217], v[216:217], v[232:233], v[236:237]
	v_div_fixup_f64 v[218:219], v[216:217], v[218:219], 1.0
	v_mul_f64 v[216:217], v[222:223], v[218:219]
	v_xor_b32_e32 v219, 0x80000000, v219
.LBB106_511:
	s_andn2_saveexec_b64 s[16:17], s[16:17]
	s_cbranch_execz .LBB106_513
; %bb.512:
	v_div_scale_f64 v[222:223], s[18:19], v[216:217], v[216:217], v[218:219]
	v_rcp_f64_e32 v[232:233], v[222:223]
	v_div_scale_f64 v[234:235], vcc, v[218:219], v[216:217], v[218:219]
	v_fma_f64 v[236:237], -v[222:223], v[232:233], 1.0
	v_fmac_f64_e32 v[232:233], v[232:233], v[236:237]
	v_fma_f64 v[236:237], -v[222:223], v[232:233], 1.0
	v_fmac_f64_e32 v[232:233], v[232:233], v[236:237]
	v_mul_f64 v[236:237], v[234:235], v[232:233]
	v_fma_f64 v[222:223], -v[222:223], v[236:237], v[234:235]
	v_div_fmas_f64 v[222:223], v[222:223], v[232:233], v[236:237]
	v_div_fixup_f64 v[222:223], v[222:223], v[216:217], v[218:219]
	v_fmac_f64_e32 v[216:217], v[218:219], v[222:223]
	v_div_scale_f64 v[218:219], s[18:19], v[216:217], v[216:217], 1.0
	v_rcp_f64_e32 v[232:233], v[218:219]
	s_nop 0
	v_fma_f64 v[234:235], -v[218:219], v[232:233], 1.0
	v_fmac_f64_e32 v[232:233], v[232:233], v[234:235]
	v_fma_f64 v[234:235], -v[218:219], v[232:233], 1.0
	v_fmac_f64_e32 v[232:233], v[232:233], v[234:235]
	v_div_scale_f64 v[234:235], vcc, 1.0, v[216:217], 1.0
	v_mul_f64 v[236:237], v[234:235], v[232:233]
	v_fma_f64 v[218:219], -v[218:219], v[236:237], v[234:235]
	s_nop 1
	v_div_fmas_f64 v[218:219], v[218:219], v[232:233], v[236:237]
	v_div_fixup_f64 v[216:217], v[218:219], v[216:217], 1.0
	v_mul_f64 v[218:219], v[222:223], -v[216:217]
.LBB106_513:
	s_or_b64 exec, exec, s[16:17]
.LBB106_514:
	s_or_b64 exec, exec, s[0:1]
	v_cmp_ne_u32_e32 vcc, v229, v226
	s_and_saveexec_b64 s[0:1], vcc
	s_xor_b64 s[0:1], exec, s[0:1]
	s_cbranch_execz .LBB106_520
; %bb.515:
	v_cmp_eq_u32_e32 vcc, 24, v229
	s_and_saveexec_b64 s[16:17], vcc
	s_cbranch_execz .LBB106_519
; %bb.516:
	v_cmp_ne_u32_e32 vcc, 24, v226
	s_xor_b64 s[18:19], s[14:15], -1
	s_and_b64 s[22:23], s[18:19], vcc
	s_and_saveexec_b64 s[18:19], s[22:23]
	s_cbranch_execz .LBB106_518
; %bb.517:
	v_ashrrev_i32_e32 v227, 31, v226
	s_waitcnt vmcnt(0)
	v_lshl_add_u64 v[222:223], v[226:227], 2, v[224:225]
	global_load_dword v227, v[222:223], off
	global_load_dword v229, v[224:225], off offset:96
	s_waitcnt vmcnt(1)
	global_store_dword v[224:225], v227, off offset:96
	s_waitcnt vmcnt(1)
	global_store_dword v[222:223], v229, off
.LBB106_518:
	s_or_b64 exec, exec, s[18:19]
	v_mov_b32_e32 v229, v226
	v_mov_b32_e32 v220, v226
.LBB106_519:
	s_or_b64 exec, exec, s[16:17]
.LBB106_520:
	s_andn2_saveexec_b64 s[0:1], s[0:1]
	s_cbranch_execz .LBB106_522
; %bb.521:
	v_mov_b32_e32 v229, 24
	s_waitcnt vmcnt(29)
	ds_write2_b64 v228, v[108:109], v[110:111] offset0:50 offset1:51
	s_waitcnt vmcnt(28)
	ds_write2_b64 v228, v[104:105], v[106:107] offset0:52 offset1:53
	;; [unrolled: 2-line block ×29, first 2 shown]
.LBB106_522:
	s_or_b64 exec, exec, s[0:1]
	v_cmp_lt_i32_e32 vcc, 24, v229
	s_waitcnt lgkmcnt(0)
	s_barrier
	s_and_saveexec_b64 s[0:1], vcc
	s_cbranch_execz .LBB106_524
; %bb.523:
	ds_read2_b64 v[232:235], v228 offset0:50 offset1:51
	v_mul_f64 v[222:223], v[218:219], v[114:115]
	v_mul_f64 v[114:115], v[216:217], v[114:115]
	v_fma_f64 v[226:227], v[216:217], v[112:113], -v[222:223]
	v_fmac_f64_e32 v[114:115], v[218:219], v[112:113]
	ds_read2_b64 v[216:219], v228 offset0:52 offset1:53
	s_waitcnt lgkmcnt(1)
	v_mul_f64 v[112:113], v[234:235], v[114:115]
	v_fma_f64 v[112:113], v[232:233], v[226:227], -v[112:113]
	v_mul_f64 v[222:223], v[232:233], v[114:115]
	s_waitcnt vmcnt(29)
	v_add_f64 v[108:109], v[108:109], -v[112:113]
	s_waitcnt lgkmcnt(0)
	v_mul_f64 v[112:113], v[218:219], v[114:115]
	v_fmac_f64_e32 v[222:223], v[234:235], v[226:227]
	v_fma_f64 v[112:113], v[216:217], v[226:227], -v[112:113]
	v_mul_f64 v[216:217], v[216:217], v[114:115]
	ds_read2_b64 v[232:235], v228 offset0:54 offset1:55
	v_fmac_f64_e32 v[216:217], v[218:219], v[226:227]
	s_waitcnt vmcnt(28)
	v_add_f64 v[106:107], v[106:107], -v[216:217]
	ds_read2_b64 v[216:219], v228 offset0:56 offset1:57
	v_add_f64 v[104:105], v[104:105], -v[112:113]
	s_waitcnt lgkmcnt(1)
	v_mul_f64 v[112:113], v[234:235], v[114:115]
	v_fma_f64 v[112:113], v[232:233], v[226:227], -v[112:113]
	v_add_f64 v[110:111], v[110:111], -v[222:223]
	v_mul_f64 v[222:223], v[232:233], v[114:115]
	s_waitcnt vmcnt(27)
	v_add_f64 v[100:101], v[100:101], -v[112:113]
	s_waitcnt lgkmcnt(0)
	v_mul_f64 v[112:113], v[218:219], v[114:115]
	v_fmac_f64_e32 v[222:223], v[234:235], v[226:227]
	v_fma_f64 v[112:113], v[216:217], v[226:227], -v[112:113]
	v_mul_f64 v[216:217], v[216:217], v[114:115]
	ds_read2_b64 v[232:235], v228 offset0:58 offset1:59
	v_fmac_f64_e32 v[216:217], v[218:219], v[226:227]
	s_waitcnt vmcnt(26)
	v_add_f64 v[98:99], v[98:99], -v[216:217]
	ds_read2_b64 v[216:219], v228 offset0:60 offset1:61
	v_add_f64 v[96:97], v[96:97], -v[112:113]
	s_waitcnt lgkmcnt(1)
	v_mul_f64 v[112:113], v[234:235], v[114:115]
	v_fma_f64 v[112:113], v[232:233], v[226:227], -v[112:113]
	v_add_f64 v[102:103], v[102:103], -v[222:223]
	;; [unrolled: 18-line block ×11, first 2 shown]
	v_mul_f64 v[222:223], v[232:233], v[114:115]
	s_waitcnt vmcnt(7)
	v_add_f64 v[20:21], v[20:21], -v[112:113]
	s_waitcnt lgkmcnt(0)
	v_mul_f64 v[112:113], v[218:219], v[114:115]
	v_fmac_f64_e32 v[222:223], v[234:235], v[226:227]
	v_fma_f64 v[112:113], v[216:217], v[226:227], -v[112:113]
	v_mul_f64 v[216:217], v[216:217], v[114:115]
	ds_read2_b64 v[232:235], v228 offset0:98 offset1:99
	v_fmac_f64_e32 v[216:217], v[218:219], v[226:227]
	s_waitcnt vmcnt(6)
	v_add_f64 v[18:19], v[18:19], -v[216:217]
	ds_read2_b64 v[216:219], v228 offset0:100 offset1:101
	v_add_f64 v[16:17], v[16:17], -v[112:113]
	s_waitcnt lgkmcnt(1)
	v_mul_f64 v[112:113], v[234:235], v[114:115]
	v_add_f64 v[22:23], v[22:23], -v[222:223]
	v_fma_f64 v[112:113], v[232:233], v[226:227], -v[112:113]
	v_mul_f64 v[222:223], v[232:233], v[114:115]
	v_fmac_f64_e32 v[222:223], v[234:235], v[226:227]
	s_waitcnt vmcnt(5)
	v_add_f64 v[12:13], v[12:13], -v[112:113]
	s_waitcnt lgkmcnt(0)
	v_mul_f64 v[112:113], v[218:219], v[114:115]
	ds_read2_b64 v[232:235], v228 offset0:102 offset1:103
	v_fma_f64 v[112:113], v[216:217], v[226:227], -v[112:113]
	v_mul_f64 v[216:217], v[216:217], v[114:115]
	v_fmac_f64_e32 v[216:217], v[218:219], v[226:227]
	s_waitcnt vmcnt(4)
	v_add_f64 v[10:11], v[10:11], -v[216:217]
	ds_read2_b64 v[216:219], v228 offset0:104 offset1:105
	v_add_f64 v[14:15], v[14:15], -v[222:223]
	v_add_f64 v[8:9], v[8:9], -v[112:113]
	s_waitcnt lgkmcnt(1)
	v_mul_f64 v[112:113], v[234:235], v[114:115]
	v_mul_f64 v[222:223], v[232:233], v[114:115]
	v_fma_f64 v[112:113], v[232:233], v[226:227], -v[112:113]
	v_fmac_f64_e32 v[222:223], v[234:235], v[226:227]
	ds_read2_b64 v[232:235], v228 offset0:106 offset1:107
	s_waitcnt vmcnt(3)
	v_add_f64 v[4:5], v[4:5], -v[112:113]
	s_waitcnt lgkmcnt(1)
	v_mul_f64 v[112:113], v[218:219], v[114:115]
	v_fma_f64 v[112:113], v[216:217], v[226:227], -v[112:113]
	v_mul_f64 v[216:217], v[216:217], v[114:115]
	v_fmac_f64_e32 v[216:217], v[218:219], v[226:227]
	s_waitcnt vmcnt(2)
	v_add_f64 v[0:1], v[0:1], -v[112:113]
	v_add_f64 v[2:3], v[2:3], -v[216:217]
	s_waitcnt lgkmcnt(0)
	v_mul_f64 v[112:113], v[234:235], v[114:115]
	v_mul_f64 v[216:217], v[232:233], v[114:115]
	v_fma_f64 v[112:113], v[232:233], v[226:227], -v[112:113]
	v_fmac_f64_e32 v[216:217], v[234:235], v[226:227]
	v_add_f64 v[6:7], v[6:7], -v[222:223]
	s_waitcnt vmcnt(1)
	v_add_f64 v[212:213], v[212:213], -v[112:113]
	v_add_f64 v[214:215], v[214:215], -v[216:217]
	v_mov_b64_e32 v[112:113], v[226:227]
.LBB106_524:
	s_or_b64 exec, exec, s[0:1]
	v_lshl_add_u32 v216, v229, 4, v228
	s_barrier
	s_waitcnt vmcnt(29)
	ds_write2_b64 v216, v[108:109], v[110:111] offset1:1
	s_waitcnt lgkmcnt(0)
	s_barrier
	ds_read2_b64 v[216:219], v228 offset0:50 offset1:51
	s_cmp_lt_i32 s20, 27
	v_mov_b32_e32 v226, 25
	s_cbranch_scc1 .LBB106_527
; %bb.525:
	v_add_u32_e32 v227, 0x1a0, v228
	s_mov_b32 s16, 26
	v_mov_b32_e32 v226, 25
.LBB106_526:                            ; =>This Inner Loop Header: Depth=1
	ds_read2_b64 v[232:235], v227 offset1:1
	s_waitcnt lgkmcnt(1)
	v_xor_b32_e32 v223, 0x80000000, v217
	v_xor_b32_e32 v231, 0x80000000, v219
	v_cmp_gt_f64_e32 vcc, 0, v[218:219]
	v_cmp_gt_f64_e64 s[0:1], 0, v[216:217]
	v_mov_b32_e32 v222, v216
	v_mov_b32_e32 v236, v218
	v_cndmask_b32_e64 v223, v217, v223, s[0:1]
	v_cndmask_b32_e32 v237, v219, v231, vcc
	s_waitcnt lgkmcnt(0)
	v_xor_b32_e32 v231, 0x80000000, v233
	v_xor_b32_e32 v239, 0x80000000, v235
	v_cmp_gt_f64_e32 vcc, 0, v[234:235]
	v_cmp_gt_f64_e64 s[0:1], 0, v[232:233]
	v_add_f64 v[222:223], v[222:223], v[236:237]
	v_mov_b32_e32 v236, v232
	v_mov_b32_e32 v238, v234
	v_cndmask_b32_e64 v237, v233, v231, s[0:1]
	v_cndmask_b32_e32 v239, v235, v239, vcc
	v_add_f64 v[236:237], v[236:237], v[238:239]
	v_mov_b32_e32 v240, s16
	s_add_i32 s16, s16, 1
	v_cmp_lt_f64_e32 vcc, v[222:223], v[236:237]
	v_add_u32_e32 v227, 16, v227
	s_cmp_lg_u32 s20, s16
	v_cndmask_b32_e32 v217, v217, v233, vcc
	v_cndmask_b32_e32 v216, v216, v232, vcc
	;; [unrolled: 1-line block ×5, first 2 shown]
	s_cbranch_scc1 .LBB106_526
.LBB106_527:
	s_waitcnt lgkmcnt(0)
	v_cmp_eq_f64_e32 vcc, 0, v[216:217]
	v_cmp_eq_f64_e64 s[0:1], 0, v[218:219]
	s_and_b64 s[0:1], vcc, s[0:1]
	s_and_saveexec_b64 s[16:17], s[0:1]
	s_xor_b64 s[0:1], exec, s[16:17]
; %bb.528:
	v_cmp_ne_u32_e32 vcc, 0, v230
	s_nop 1
	v_cndmask_b32_e32 v230, 26, v230, vcc
; %bb.529:
	s_andn2_saveexec_b64 s[0:1], s[0:1]
	s_cbranch_execz .LBB106_535
; %bb.530:
	v_cmp_ngt_f64_e64 s[16:17], |v[216:217]|, |v[218:219]|
	s_and_saveexec_b64 s[18:19], s[16:17]
	s_xor_b64 s[16:17], exec, s[18:19]
	s_cbranch_execz .LBB106_532
; %bb.531:
	v_div_scale_f64 v[222:223], s[18:19], v[218:219], v[218:219], v[216:217]
	v_rcp_f64_e32 v[232:233], v[222:223]
	v_div_scale_f64 v[234:235], vcc, v[216:217], v[218:219], v[216:217]
	v_fma_f64 v[236:237], -v[222:223], v[232:233], 1.0
	v_fmac_f64_e32 v[232:233], v[232:233], v[236:237]
	v_fma_f64 v[236:237], -v[222:223], v[232:233], 1.0
	v_fmac_f64_e32 v[232:233], v[232:233], v[236:237]
	v_mul_f64 v[236:237], v[234:235], v[232:233]
	v_fma_f64 v[222:223], -v[222:223], v[236:237], v[234:235]
	v_div_fmas_f64 v[222:223], v[222:223], v[232:233], v[236:237]
	v_div_fixup_f64 v[222:223], v[222:223], v[218:219], v[216:217]
	v_fmac_f64_e32 v[218:219], v[216:217], v[222:223]
	v_div_scale_f64 v[216:217], s[18:19], v[218:219], v[218:219], 1.0
	v_rcp_f64_e32 v[232:233], v[216:217]
	s_nop 0
	v_fma_f64 v[234:235], -v[216:217], v[232:233], 1.0
	v_fmac_f64_e32 v[232:233], v[232:233], v[234:235]
	v_fma_f64 v[234:235], -v[216:217], v[232:233], 1.0
	v_fmac_f64_e32 v[232:233], v[232:233], v[234:235]
	v_div_scale_f64 v[234:235], vcc, 1.0, v[218:219], 1.0
	v_mul_f64 v[236:237], v[234:235], v[232:233]
	v_fma_f64 v[216:217], -v[216:217], v[236:237], v[234:235]
	s_nop 1
	v_div_fmas_f64 v[216:217], v[216:217], v[232:233], v[236:237]
	v_div_fixup_f64 v[218:219], v[216:217], v[218:219], 1.0
	v_mul_f64 v[216:217], v[222:223], v[218:219]
	v_xor_b32_e32 v219, 0x80000000, v219
.LBB106_532:
	s_andn2_saveexec_b64 s[16:17], s[16:17]
	s_cbranch_execz .LBB106_534
; %bb.533:
	v_div_scale_f64 v[222:223], s[18:19], v[216:217], v[216:217], v[218:219]
	v_rcp_f64_e32 v[232:233], v[222:223]
	v_div_scale_f64 v[234:235], vcc, v[218:219], v[216:217], v[218:219]
	v_fma_f64 v[236:237], -v[222:223], v[232:233], 1.0
	v_fmac_f64_e32 v[232:233], v[232:233], v[236:237]
	v_fma_f64 v[236:237], -v[222:223], v[232:233], 1.0
	v_fmac_f64_e32 v[232:233], v[232:233], v[236:237]
	v_mul_f64 v[236:237], v[234:235], v[232:233]
	v_fma_f64 v[222:223], -v[222:223], v[236:237], v[234:235]
	v_div_fmas_f64 v[222:223], v[222:223], v[232:233], v[236:237]
	v_div_fixup_f64 v[222:223], v[222:223], v[216:217], v[218:219]
	v_fmac_f64_e32 v[216:217], v[218:219], v[222:223]
	v_div_scale_f64 v[218:219], s[18:19], v[216:217], v[216:217], 1.0
	v_rcp_f64_e32 v[232:233], v[218:219]
	s_nop 0
	v_fma_f64 v[234:235], -v[218:219], v[232:233], 1.0
	v_fmac_f64_e32 v[232:233], v[232:233], v[234:235]
	v_fma_f64 v[234:235], -v[218:219], v[232:233], 1.0
	v_fmac_f64_e32 v[232:233], v[232:233], v[234:235]
	v_div_scale_f64 v[234:235], vcc, 1.0, v[216:217], 1.0
	v_mul_f64 v[236:237], v[234:235], v[232:233]
	v_fma_f64 v[218:219], -v[218:219], v[236:237], v[234:235]
	s_nop 1
	v_div_fmas_f64 v[218:219], v[218:219], v[232:233], v[236:237]
	v_div_fixup_f64 v[216:217], v[218:219], v[216:217], 1.0
	v_mul_f64 v[218:219], v[222:223], -v[216:217]
.LBB106_534:
	s_or_b64 exec, exec, s[16:17]
.LBB106_535:
	s_or_b64 exec, exec, s[0:1]
	v_cmp_ne_u32_e32 vcc, v229, v226
	s_and_saveexec_b64 s[0:1], vcc
	s_xor_b64 s[0:1], exec, s[0:1]
	s_cbranch_execz .LBB106_541
; %bb.536:
	v_cmp_eq_u32_e32 vcc, 25, v229
	s_and_saveexec_b64 s[16:17], vcc
	s_cbranch_execz .LBB106_540
; %bb.537:
	v_cmp_ne_u32_e32 vcc, 25, v226
	s_xor_b64 s[18:19], s[14:15], -1
	s_and_b64 s[22:23], s[18:19], vcc
	s_and_saveexec_b64 s[18:19], s[22:23]
	s_cbranch_execz .LBB106_539
; %bb.538:
	v_ashrrev_i32_e32 v227, 31, v226
	s_waitcnt vmcnt(0)
	v_lshl_add_u64 v[222:223], v[226:227], 2, v[224:225]
	global_load_dword v227, v[222:223], off
	global_load_dword v229, v[224:225], off offset:100
	s_waitcnt vmcnt(1)
	global_store_dword v[224:225], v227, off offset:100
	s_waitcnt vmcnt(1)
	global_store_dword v[222:223], v229, off
.LBB106_539:
	s_or_b64 exec, exec, s[18:19]
	v_mov_b32_e32 v229, v226
	v_mov_b32_e32 v220, v226
.LBB106_540:
	s_or_b64 exec, exec, s[16:17]
.LBB106_541:
	s_andn2_saveexec_b64 s[0:1], s[0:1]
	s_cbranch_execz .LBB106_543
; %bb.542:
	v_mov_b32_e32 v229, 25
	s_waitcnt vmcnt(28)
	ds_write2_b64 v228, v[104:105], v[106:107] offset0:52 offset1:53
	s_waitcnt vmcnt(27)
	ds_write2_b64 v228, v[100:101], v[102:103] offset0:54 offset1:55
	s_waitcnt vmcnt(26)
	ds_write2_b64 v228, v[96:97], v[98:99] offset0:56 offset1:57
	s_waitcnt vmcnt(25)
	ds_write2_b64 v228, v[92:93], v[94:95] offset0:58 offset1:59
	s_waitcnt vmcnt(24)
	ds_write2_b64 v228, v[88:89], v[90:91] offset0:60 offset1:61
	s_waitcnt vmcnt(23)
	ds_write2_b64 v228, v[84:85], v[86:87] offset0:62 offset1:63
	s_waitcnt vmcnt(22)
	ds_write2_b64 v228, v[80:81], v[82:83] offset0:64 offset1:65
	s_waitcnt vmcnt(21)
	ds_write2_b64 v228, v[76:77], v[78:79] offset0:66 offset1:67
	s_waitcnt vmcnt(20)
	ds_write2_b64 v228, v[72:73], v[74:75] offset0:68 offset1:69
	s_waitcnt vmcnt(19)
	ds_write2_b64 v228, v[68:69], v[70:71] offset0:70 offset1:71
	s_waitcnt vmcnt(18)
	ds_write2_b64 v228, v[64:65], v[66:67] offset0:72 offset1:73
	s_waitcnt vmcnt(17)
	ds_write2_b64 v228, v[60:61], v[62:63] offset0:74 offset1:75
	s_waitcnt vmcnt(16)
	ds_write2_b64 v228, v[56:57], v[58:59] offset0:76 offset1:77
	s_waitcnt vmcnt(15)
	ds_write2_b64 v228, v[52:53], v[54:55] offset0:78 offset1:79
	s_waitcnt vmcnt(14)
	ds_write2_b64 v228, v[48:49], v[50:51] offset0:80 offset1:81
	s_waitcnt vmcnt(13)
	ds_write2_b64 v228, v[44:45], v[46:47] offset0:82 offset1:83
	s_waitcnt vmcnt(12)
	ds_write2_b64 v228, v[40:41], v[42:43] offset0:84 offset1:85
	s_waitcnt vmcnt(11)
	ds_write2_b64 v228, v[36:37], v[38:39] offset0:86 offset1:87
	s_waitcnt vmcnt(10)
	ds_write2_b64 v228, v[32:33], v[34:35] offset0:88 offset1:89
	s_waitcnt vmcnt(9)
	ds_write2_b64 v228, v[28:29], v[30:31] offset0:90 offset1:91
	s_waitcnt vmcnt(8)
	ds_write2_b64 v228, v[24:25], v[26:27] offset0:92 offset1:93
	s_waitcnt vmcnt(7)
	ds_write2_b64 v228, v[20:21], v[22:23] offset0:94 offset1:95
	s_waitcnt vmcnt(6)
	ds_write2_b64 v228, v[16:17], v[18:19] offset0:96 offset1:97
	s_waitcnt vmcnt(5)
	ds_write2_b64 v228, v[12:13], v[14:15] offset0:98 offset1:99
	s_waitcnt vmcnt(4)
	ds_write2_b64 v228, v[8:9], v[10:11] offset0:100 offset1:101
	s_waitcnt vmcnt(3)
	ds_write2_b64 v228, v[4:5], v[6:7] offset0:102 offset1:103
	s_waitcnt vmcnt(2)
	ds_write2_b64 v228, v[0:1], v[2:3] offset0:104 offset1:105
	s_waitcnt vmcnt(1)
	ds_write2_b64 v228, v[212:213], v[214:215] offset0:106 offset1:107
.LBB106_543:
	s_or_b64 exec, exec, s[0:1]
	v_cmp_lt_i32_e32 vcc, 25, v229
	s_waitcnt lgkmcnt(0)
	s_barrier
	s_and_saveexec_b64 s[0:1], vcc
	s_cbranch_execz .LBB106_545
; %bb.544:
	ds_read2_b64 v[232:235], v228 offset0:52 offset1:53
	v_mul_f64 v[222:223], v[218:219], v[110:111]
	v_mul_f64 v[110:111], v[216:217], v[110:111]
	v_fma_f64 v[226:227], v[216:217], v[108:109], -v[222:223]
	v_fmac_f64_e32 v[110:111], v[218:219], v[108:109]
	ds_read2_b64 v[216:219], v228 offset0:54 offset1:55
	s_waitcnt lgkmcnt(1)
	v_mul_f64 v[108:109], v[234:235], v[110:111]
	v_fma_f64 v[108:109], v[232:233], v[226:227], -v[108:109]
	v_mul_f64 v[222:223], v[232:233], v[110:111]
	s_waitcnt vmcnt(28)
	v_add_f64 v[104:105], v[104:105], -v[108:109]
	s_waitcnt lgkmcnt(0)
	v_mul_f64 v[108:109], v[218:219], v[110:111]
	v_fmac_f64_e32 v[222:223], v[234:235], v[226:227]
	v_fma_f64 v[108:109], v[216:217], v[226:227], -v[108:109]
	v_mul_f64 v[216:217], v[216:217], v[110:111]
	ds_read2_b64 v[232:235], v228 offset0:56 offset1:57
	v_fmac_f64_e32 v[216:217], v[218:219], v[226:227]
	s_waitcnt vmcnt(27)
	v_add_f64 v[102:103], v[102:103], -v[216:217]
	ds_read2_b64 v[216:219], v228 offset0:58 offset1:59
	v_add_f64 v[100:101], v[100:101], -v[108:109]
	s_waitcnt lgkmcnt(1)
	v_mul_f64 v[108:109], v[234:235], v[110:111]
	v_fma_f64 v[108:109], v[232:233], v[226:227], -v[108:109]
	v_add_f64 v[106:107], v[106:107], -v[222:223]
	v_mul_f64 v[222:223], v[232:233], v[110:111]
	s_waitcnt vmcnt(26)
	v_add_f64 v[96:97], v[96:97], -v[108:109]
	s_waitcnt lgkmcnt(0)
	v_mul_f64 v[108:109], v[218:219], v[110:111]
	v_fmac_f64_e32 v[222:223], v[234:235], v[226:227]
	v_fma_f64 v[108:109], v[216:217], v[226:227], -v[108:109]
	v_mul_f64 v[216:217], v[216:217], v[110:111]
	ds_read2_b64 v[232:235], v228 offset0:60 offset1:61
	v_fmac_f64_e32 v[216:217], v[218:219], v[226:227]
	s_waitcnt vmcnt(25)
	v_add_f64 v[94:95], v[94:95], -v[216:217]
	ds_read2_b64 v[216:219], v228 offset0:62 offset1:63
	v_add_f64 v[92:93], v[92:93], -v[108:109]
	s_waitcnt lgkmcnt(1)
	v_mul_f64 v[108:109], v[234:235], v[110:111]
	v_fma_f64 v[108:109], v[232:233], v[226:227], -v[108:109]
	v_add_f64 v[98:99], v[98:99], -v[222:223]
	v_mul_f64 v[222:223], v[232:233], v[110:111]
	s_waitcnt vmcnt(24)
	v_add_f64 v[88:89], v[88:89], -v[108:109]
	s_waitcnt lgkmcnt(0)
	v_mul_f64 v[108:109], v[218:219], v[110:111]
	v_fmac_f64_e32 v[222:223], v[234:235], v[226:227]
	v_fma_f64 v[108:109], v[216:217], v[226:227], -v[108:109]
	v_mul_f64 v[216:217], v[216:217], v[110:111]
	ds_read2_b64 v[232:235], v228 offset0:64 offset1:65
	v_fmac_f64_e32 v[216:217], v[218:219], v[226:227]
	s_waitcnt vmcnt(23)
	v_add_f64 v[86:87], v[86:87], -v[216:217]
	ds_read2_b64 v[216:219], v228 offset0:66 offset1:67
	v_add_f64 v[84:85], v[84:85], -v[108:109]
	s_waitcnt lgkmcnt(1)
	v_mul_f64 v[108:109], v[234:235], v[110:111]
	v_fma_f64 v[108:109], v[232:233], v[226:227], -v[108:109]
	v_add_f64 v[90:91], v[90:91], -v[222:223]
	v_mul_f64 v[222:223], v[232:233], v[110:111]
	s_waitcnt vmcnt(22)
	v_add_f64 v[80:81], v[80:81], -v[108:109]
	s_waitcnt lgkmcnt(0)
	v_mul_f64 v[108:109], v[218:219], v[110:111]
	v_fmac_f64_e32 v[222:223], v[234:235], v[226:227]
	v_fma_f64 v[108:109], v[216:217], v[226:227], -v[108:109]
	v_mul_f64 v[216:217], v[216:217], v[110:111]
	ds_read2_b64 v[232:235], v228 offset0:68 offset1:69
	v_fmac_f64_e32 v[216:217], v[218:219], v[226:227]
	s_waitcnt vmcnt(21)
	v_add_f64 v[78:79], v[78:79], -v[216:217]
	ds_read2_b64 v[216:219], v228 offset0:70 offset1:71
	v_add_f64 v[76:77], v[76:77], -v[108:109]
	s_waitcnt lgkmcnt(1)
	v_mul_f64 v[108:109], v[234:235], v[110:111]
	v_fma_f64 v[108:109], v[232:233], v[226:227], -v[108:109]
	v_add_f64 v[82:83], v[82:83], -v[222:223]
	v_mul_f64 v[222:223], v[232:233], v[110:111]
	s_waitcnt vmcnt(20)
	v_add_f64 v[72:73], v[72:73], -v[108:109]
	s_waitcnt lgkmcnt(0)
	v_mul_f64 v[108:109], v[218:219], v[110:111]
	v_fmac_f64_e32 v[222:223], v[234:235], v[226:227]
	v_fma_f64 v[108:109], v[216:217], v[226:227], -v[108:109]
	v_mul_f64 v[216:217], v[216:217], v[110:111]
	ds_read2_b64 v[232:235], v228 offset0:72 offset1:73
	v_fmac_f64_e32 v[216:217], v[218:219], v[226:227]
	s_waitcnt vmcnt(19)
	v_add_f64 v[70:71], v[70:71], -v[216:217]
	ds_read2_b64 v[216:219], v228 offset0:74 offset1:75
	v_add_f64 v[68:69], v[68:69], -v[108:109]
	s_waitcnt lgkmcnt(1)
	v_mul_f64 v[108:109], v[234:235], v[110:111]
	v_fma_f64 v[108:109], v[232:233], v[226:227], -v[108:109]
	v_add_f64 v[74:75], v[74:75], -v[222:223]
	v_mul_f64 v[222:223], v[232:233], v[110:111]
	s_waitcnt vmcnt(18)
	v_add_f64 v[64:65], v[64:65], -v[108:109]
	s_waitcnt lgkmcnt(0)
	v_mul_f64 v[108:109], v[218:219], v[110:111]
	v_fmac_f64_e32 v[222:223], v[234:235], v[226:227]
	v_fma_f64 v[108:109], v[216:217], v[226:227], -v[108:109]
	v_mul_f64 v[216:217], v[216:217], v[110:111]
	ds_read2_b64 v[232:235], v228 offset0:76 offset1:77
	v_fmac_f64_e32 v[216:217], v[218:219], v[226:227]
	s_waitcnt vmcnt(17)
	v_add_f64 v[62:63], v[62:63], -v[216:217]
	ds_read2_b64 v[216:219], v228 offset0:78 offset1:79
	v_add_f64 v[60:61], v[60:61], -v[108:109]
	s_waitcnt lgkmcnt(1)
	v_mul_f64 v[108:109], v[234:235], v[110:111]
	v_fma_f64 v[108:109], v[232:233], v[226:227], -v[108:109]
	v_add_f64 v[66:67], v[66:67], -v[222:223]
	v_mul_f64 v[222:223], v[232:233], v[110:111]
	s_waitcnt vmcnt(16)
	v_add_f64 v[56:57], v[56:57], -v[108:109]
	s_waitcnt lgkmcnt(0)
	v_mul_f64 v[108:109], v[218:219], v[110:111]
	v_fmac_f64_e32 v[222:223], v[234:235], v[226:227]
	v_fma_f64 v[108:109], v[216:217], v[226:227], -v[108:109]
	v_mul_f64 v[216:217], v[216:217], v[110:111]
	ds_read2_b64 v[232:235], v228 offset0:80 offset1:81
	v_fmac_f64_e32 v[216:217], v[218:219], v[226:227]
	s_waitcnt vmcnt(15)
	v_add_f64 v[54:55], v[54:55], -v[216:217]
	ds_read2_b64 v[216:219], v228 offset0:82 offset1:83
	v_add_f64 v[52:53], v[52:53], -v[108:109]
	s_waitcnt lgkmcnt(1)
	v_mul_f64 v[108:109], v[234:235], v[110:111]
	v_fma_f64 v[108:109], v[232:233], v[226:227], -v[108:109]
	v_add_f64 v[58:59], v[58:59], -v[222:223]
	v_mul_f64 v[222:223], v[232:233], v[110:111]
	s_waitcnt vmcnt(14)
	v_add_f64 v[48:49], v[48:49], -v[108:109]
	s_waitcnt lgkmcnt(0)
	v_mul_f64 v[108:109], v[218:219], v[110:111]
	v_fmac_f64_e32 v[222:223], v[234:235], v[226:227]
	v_fma_f64 v[108:109], v[216:217], v[226:227], -v[108:109]
	v_mul_f64 v[216:217], v[216:217], v[110:111]
	ds_read2_b64 v[232:235], v228 offset0:84 offset1:85
	v_fmac_f64_e32 v[216:217], v[218:219], v[226:227]
	s_waitcnt vmcnt(13)
	v_add_f64 v[46:47], v[46:47], -v[216:217]
	ds_read2_b64 v[216:219], v228 offset0:86 offset1:87
	v_add_f64 v[44:45], v[44:45], -v[108:109]
	s_waitcnt lgkmcnt(1)
	v_mul_f64 v[108:109], v[234:235], v[110:111]
	v_fma_f64 v[108:109], v[232:233], v[226:227], -v[108:109]
	v_add_f64 v[50:51], v[50:51], -v[222:223]
	v_mul_f64 v[222:223], v[232:233], v[110:111]
	s_waitcnt vmcnt(12)
	v_add_f64 v[40:41], v[40:41], -v[108:109]
	s_waitcnt lgkmcnt(0)
	v_mul_f64 v[108:109], v[218:219], v[110:111]
	v_fmac_f64_e32 v[222:223], v[234:235], v[226:227]
	v_fma_f64 v[108:109], v[216:217], v[226:227], -v[108:109]
	v_mul_f64 v[216:217], v[216:217], v[110:111]
	ds_read2_b64 v[232:235], v228 offset0:88 offset1:89
	v_fmac_f64_e32 v[216:217], v[218:219], v[226:227]
	s_waitcnt vmcnt(11)
	v_add_f64 v[38:39], v[38:39], -v[216:217]
	ds_read2_b64 v[216:219], v228 offset0:90 offset1:91
	v_add_f64 v[36:37], v[36:37], -v[108:109]
	s_waitcnt lgkmcnt(1)
	v_mul_f64 v[108:109], v[234:235], v[110:111]
	v_fma_f64 v[108:109], v[232:233], v[226:227], -v[108:109]
	v_add_f64 v[42:43], v[42:43], -v[222:223]
	v_mul_f64 v[222:223], v[232:233], v[110:111]
	s_waitcnt vmcnt(10)
	v_add_f64 v[32:33], v[32:33], -v[108:109]
	s_waitcnt lgkmcnt(0)
	v_mul_f64 v[108:109], v[218:219], v[110:111]
	v_fmac_f64_e32 v[222:223], v[234:235], v[226:227]
	v_fma_f64 v[108:109], v[216:217], v[226:227], -v[108:109]
	v_mul_f64 v[216:217], v[216:217], v[110:111]
	ds_read2_b64 v[232:235], v228 offset0:92 offset1:93
	v_fmac_f64_e32 v[216:217], v[218:219], v[226:227]
	s_waitcnt vmcnt(9)
	v_add_f64 v[30:31], v[30:31], -v[216:217]
	ds_read2_b64 v[216:219], v228 offset0:94 offset1:95
	v_add_f64 v[28:29], v[28:29], -v[108:109]
	s_waitcnt lgkmcnt(1)
	v_mul_f64 v[108:109], v[234:235], v[110:111]
	v_fma_f64 v[108:109], v[232:233], v[226:227], -v[108:109]
	v_add_f64 v[34:35], v[34:35], -v[222:223]
	v_mul_f64 v[222:223], v[232:233], v[110:111]
	s_waitcnt vmcnt(8)
	v_add_f64 v[24:25], v[24:25], -v[108:109]
	s_waitcnt lgkmcnt(0)
	v_mul_f64 v[108:109], v[218:219], v[110:111]
	v_fmac_f64_e32 v[222:223], v[234:235], v[226:227]
	v_fma_f64 v[108:109], v[216:217], v[226:227], -v[108:109]
	v_mul_f64 v[216:217], v[216:217], v[110:111]
	ds_read2_b64 v[232:235], v228 offset0:96 offset1:97
	v_fmac_f64_e32 v[216:217], v[218:219], v[226:227]
	s_waitcnt vmcnt(7)
	v_add_f64 v[22:23], v[22:23], -v[216:217]
	ds_read2_b64 v[216:219], v228 offset0:98 offset1:99
	v_add_f64 v[20:21], v[20:21], -v[108:109]
	s_waitcnt lgkmcnt(1)
	v_mul_f64 v[108:109], v[234:235], v[110:111]
	v_fma_f64 v[108:109], v[232:233], v[226:227], -v[108:109]
	v_add_f64 v[26:27], v[26:27], -v[222:223]
	v_mul_f64 v[222:223], v[232:233], v[110:111]
	s_waitcnt vmcnt(6)
	v_add_f64 v[16:17], v[16:17], -v[108:109]
	s_waitcnt lgkmcnt(0)
	v_mul_f64 v[108:109], v[218:219], v[110:111]
	v_fmac_f64_e32 v[222:223], v[234:235], v[226:227]
	v_fma_f64 v[108:109], v[216:217], v[226:227], -v[108:109]
	v_mul_f64 v[216:217], v[216:217], v[110:111]
	ds_read2_b64 v[232:235], v228 offset0:100 offset1:101
	v_fmac_f64_e32 v[216:217], v[218:219], v[226:227]
	s_waitcnt vmcnt(5)
	v_add_f64 v[14:15], v[14:15], -v[216:217]
	ds_read2_b64 v[216:219], v228 offset0:102 offset1:103
	v_add_f64 v[12:13], v[12:13], -v[108:109]
	s_waitcnt lgkmcnt(1)
	v_mul_f64 v[108:109], v[234:235], v[110:111]
	v_fma_f64 v[108:109], v[232:233], v[226:227], -v[108:109]
	v_add_f64 v[18:19], v[18:19], -v[222:223]
	v_mul_f64 v[222:223], v[232:233], v[110:111]
	s_waitcnt vmcnt(4)
	v_add_f64 v[8:9], v[8:9], -v[108:109]
	s_waitcnt lgkmcnt(0)
	v_mul_f64 v[108:109], v[218:219], v[110:111]
	v_fmac_f64_e32 v[222:223], v[234:235], v[226:227]
	v_fma_f64 v[108:109], v[216:217], v[226:227], -v[108:109]
	v_mul_f64 v[216:217], v[216:217], v[110:111]
	ds_read2_b64 v[232:235], v228 offset0:104 offset1:105
	v_fmac_f64_e32 v[216:217], v[218:219], v[226:227]
	s_waitcnt vmcnt(3)
	v_add_f64 v[6:7], v[6:7], -v[216:217]
	ds_read2_b64 v[216:219], v228 offset0:106 offset1:107
	v_add_f64 v[4:5], v[4:5], -v[108:109]
	s_waitcnt lgkmcnt(1)
	v_mul_f64 v[108:109], v[234:235], v[110:111]
	v_fma_f64 v[108:109], v[232:233], v[226:227], -v[108:109]
	s_waitcnt vmcnt(2)
	v_add_f64 v[0:1], v[0:1], -v[108:109]
	s_waitcnt lgkmcnt(0)
	v_mul_f64 v[108:109], v[218:219], v[110:111]
	v_add_f64 v[10:11], v[10:11], -v[222:223]
	v_mul_f64 v[222:223], v[232:233], v[110:111]
	v_fma_f64 v[108:109], v[216:217], v[226:227], -v[108:109]
	v_mul_f64 v[216:217], v[216:217], v[110:111]
	v_fmac_f64_e32 v[222:223], v[234:235], v[226:227]
	v_fmac_f64_e32 v[216:217], v[218:219], v[226:227]
	v_add_f64 v[2:3], v[2:3], -v[222:223]
	s_waitcnt vmcnt(1)
	v_add_f64 v[212:213], v[212:213], -v[108:109]
	v_add_f64 v[214:215], v[214:215], -v[216:217]
	v_mov_b64_e32 v[108:109], v[226:227]
.LBB106_545:
	s_or_b64 exec, exec, s[0:1]
	v_lshl_add_u32 v216, v229, 4, v228
	s_barrier
	s_waitcnt vmcnt(28)
	ds_write2_b64 v216, v[104:105], v[106:107] offset1:1
	s_waitcnt lgkmcnt(0)
	s_barrier
	ds_read2_b64 v[216:219], v228 offset0:52 offset1:53
	s_cmp_lt_i32 s20, 28
	v_mov_b32_e32 v226, 26
	s_cbranch_scc1 .LBB106_548
; %bb.546:
	v_add_u32_e32 v227, 0x1b0, v228
	s_mov_b32 s16, 27
	v_mov_b32_e32 v226, 26
.LBB106_547:                            ; =>This Inner Loop Header: Depth=1
	ds_read2_b64 v[232:235], v227 offset1:1
	s_waitcnt lgkmcnt(1)
	v_xor_b32_e32 v223, 0x80000000, v217
	v_xor_b32_e32 v231, 0x80000000, v219
	v_cmp_gt_f64_e32 vcc, 0, v[218:219]
	v_cmp_gt_f64_e64 s[0:1], 0, v[216:217]
	v_mov_b32_e32 v222, v216
	v_mov_b32_e32 v236, v218
	v_cndmask_b32_e64 v223, v217, v223, s[0:1]
	v_cndmask_b32_e32 v237, v219, v231, vcc
	s_waitcnt lgkmcnt(0)
	v_xor_b32_e32 v231, 0x80000000, v233
	v_xor_b32_e32 v239, 0x80000000, v235
	v_cmp_gt_f64_e32 vcc, 0, v[234:235]
	v_cmp_gt_f64_e64 s[0:1], 0, v[232:233]
	v_add_f64 v[222:223], v[222:223], v[236:237]
	v_mov_b32_e32 v236, v232
	v_mov_b32_e32 v238, v234
	v_cndmask_b32_e64 v237, v233, v231, s[0:1]
	v_cndmask_b32_e32 v239, v235, v239, vcc
	v_add_f64 v[236:237], v[236:237], v[238:239]
	v_mov_b32_e32 v240, s16
	s_add_i32 s16, s16, 1
	v_cmp_lt_f64_e32 vcc, v[222:223], v[236:237]
	v_add_u32_e32 v227, 16, v227
	s_cmp_lg_u32 s20, s16
	v_cndmask_b32_e32 v217, v217, v233, vcc
	v_cndmask_b32_e32 v216, v216, v232, vcc
	;; [unrolled: 1-line block ×5, first 2 shown]
	s_cbranch_scc1 .LBB106_547
.LBB106_548:
	s_waitcnt lgkmcnt(0)
	v_cmp_eq_f64_e32 vcc, 0, v[216:217]
	v_cmp_eq_f64_e64 s[0:1], 0, v[218:219]
	s_and_b64 s[0:1], vcc, s[0:1]
	s_and_saveexec_b64 s[16:17], s[0:1]
	s_xor_b64 s[0:1], exec, s[16:17]
; %bb.549:
	v_cmp_ne_u32_e32 vcc, 0, v230
	s_nop 1
	v_cndmask_b32_e32 v230, 27, v230, vcc
; %bb.550:
	s_andn2_saveexec_b64 s[0:1], s[0:1]
	s_cbranch_execz .LBB106_556
; %bb.551:
	v_cmp_ngt_f64_e64 s[16:17], |v[216:217]|, |v[218:219]|
	s_and_saveexec_b64 s[18:19], s[16:17]
	s_xor_b64 s[16:17], exec, s[18:19]
	s_cbranch_execz .LBB106_553
; %bb.552:
	v_div_scale_f64 v[222:223], s[18:19], v[218:219], v[218:219], v[216:217]
	v_rcp_f64_e32 v[232:233], v[222:223]
	v_div_scale_f64 v[234:235], vcc, v[216:217], v[218:219], v[216:217]
	v_fma_f64 v[236:237], -v[222:223], v[232:233], 1.0
	v_fmac_f64_e32 v[232:233], v[232:233], v[236:237]
	v_fma_f64 v[236:237], -v[222:223], v[232:233], 1.0
	v_fmac_f64_e32 v[232:233], v[232:233], v[236:237]
	v_mul_f64 v[236:237], v[234:235], v[232:233]
	v_fma_f64 v[222:223], -v[222:223], v[236:237], v[234:235]
	v_div_fmas_f64 v[222:223], v[222:223], v[232:233], v[236:237]
	v_div_fixup_f64 v[222:223], v[222:223], v[218:219], v[216:217]
	v_fmac_f64_e32 v[218:219], v[216:217], v[222:223]
	v_div_scale_f64 v[216:217], s[18:19], v[218:219], v[218:219], 1.0
	v_rcp_f64_e32 v[232:233], v[216:217]
	s_nop 0
	v_fma_f64 v[234:235], -v[216:217], v[232:233], 1.0
	v_fmac_f64_e32 v[232:233], v[232:233], v[234:235]
	v_fma_f64 v[234:235], -v[216:217], v[232:233], 1.0
	v_fmac_f64_e32 v[232:233], v[232:233], v[234:235]
	v_div_scale_f64 v[234:235], vcc, 1.0, v[218:219], 1.0
	v_mul_f64 v[236:237], v[234:235], v[232:233]
	v_fma_f64 v[216:217], -v[216:217], v[236:237], v[234:235]
	s_nop 1
	v_div_fmas_f64 v[216:217], v[216:217], v[232:233], v[236:237]
	v_div_fixup_f64 v[218:219], v[216:217], v[218:219], 1.0
	v_mul_f64 v[216:217], v[222:223], v[218:219]
	v_xor_b32_e32 v219, 0x80000000, v219
.LBB106_553:
	s_andn2_saveexec_b64 s[16:17], s[16:17]
	s_cbranch_execz .LBB106_555
; %bb.554:
	v_div_scale_f64 v[222:223], s[18:19], v[216:217], v[216:217], v[218:219]
	v_rcp_f64_e32 v[232:233], v[222:223]
	v_div_scale_f64 v[234:235], vcc, v[218:219], v[216:217], v[218:219]
	v_fma_f64 v[236:237], -v[222:223], v[232:233], 1.0
	v_fmac_f64_e32 v[232:233], v[232:233], v[236:237]
	v_fma_f64 v[236:237], -v[222:223], v[232:233], 1.0
	v_fmac_f64_e32 v[232:233], v[232:233], v[236:237]
	v_mul_f64 v[236:237], v[234:235], v[232:233]
	v_fma_f64 v[222:223], -v[222:223], v[236:237], v[234:235]
	v_div_fmas_f64 v[222:223], v[222:223], v[232:233], v[236:237]
	v_div_fixup_f64 v[222:223], v[222:223], v[216:217], v[218:219]
	v_fmac_f64_e32 v[216:217], v[218:219], v[222:223]
	v_div_scale_f64 v[218:219], s[18:19], v[216:217], v[216:217], 1.0
	v_rcp_f64_e32 v[232:233], v[218:219]
	s_nop 0
	v_fma_f64 v[234:235], -v[218:219], v[232:233], 1.0
	v_fmac_f64_e32 v[232:233], v[232:233], v[234:235]
	v_fma_f64 v[234:235], -v[218:219], v[232:233], 1.0
	v_fmac_f64_e32 v[232:233], v[232:233], v[234:235]
	v_div_scale_f64 v[234:235], vcc, 1.0, v[216:217], 1.0
	v_mul_f64 v[236:237], v[234:235], v[232:233]
	v_fma_f64 v[218:219], -v[218:219], v[236:237], v[234:235]
	s_nop 1
	v_div_fmas_f64 v[218:219], v[218:219], v[232:233], v[236:237]
	v_div_fixup_f64 v[216:217], v[218:219], v[216:217], 1.0
	v_mul_f64 v[218:219], v[222:223], -v[216:217]
.LBB106_555:
	s_or_b64 exec, exec, s[16:17]
.LBB106_556:
	s_or_b64 exec, exec, s[0:1]
	v_cmp_ne_u32_e32 vcc, v229, v226
	s_and_saveexec_b64 s[0:1], vcc
	s_xor_b64 s[0:1], exec, s[0:1]
	s_cbranch_execz .LBB106_562
; %bb.557:
	v_cmp_eq_u32_e32 vcc, 26, v229
	s_and_saveexec_b64 s[16:17], vcc
	s_cbranch_execz .LBB106_561
; %bb.558:
	v_cmp_ne_u32_e32 vcc, 26, v226
	s_xor_b64 s[18:19], s[14:15], -1
	s_and_b64 s[22:23], s[18:19], vcc
	s_and_saveexec_b64 s[18:19], s[22:23]
	s_cbranch_execz .LBB106_560
; %bb.559:
	v_ashrrev_i32_e32 v227, 31, v226
	s_waitcnt vmcnt(0)
	v_lshl_add_u64 v[222:223], v[226:227], 2, v[224:225]
	global_load_dword v227, v[222:223], off
	global_load_dword v229, v[224:225], off offset:104
	s_waitcnt vmcnt(1)
	global_store_dword v[224:225], v227, off offset:104
	s_waitcnt vmcnt(1)
	global_store_dword v[222:223], v229, off
.LBB106_560:
	s_or_b64 exec, exec, s[18:19]
	v_mov_b32_e32 v229, v226
	v_mov_b32_e32 v220, v226
.LBB106_561:
	s_or_b64 exec, exec, s[16:17]
.LBB106_562:
	s_andn2_saveexec_b64 s[0:1], s[0:1]
	s_cbranch_execz .LBB106_564
; %bb.563:
	v_mov_b32_e32 v229, 26
	s_waitcnt vmcnt(27)
	ds_write2_b64 v228, v[100:101], v[102:103] offset0:54 offset1:55
	s_waitcnt vmcnt(26)
	ds_write2_b64 v228, v[96:97], v[98:99] offset0:56 offset1:57
	;; [unrolled: 2-line block ×27, first 2 shown]
.LBB106_564:
	s_or_b64 exec, exec, s[0:1]
	v_cmp_lt_i32_e32 vcc, 26, v229
	s_waitcnt lgkmcnt(0)
	s_barrier
	s_and_saveexec_b64 s[0:1], vcc
	s_cbranch_execz .LBB106_566
; %bb.565:
	ds_read2_b64 v[232:235], v228 offset0:54 offset1:55
	v_mul_f64 v[222:223], v[218:219], v[106:107]
	v_mul_f64 v[106:107], v[216:217], v[106:107]
	v_fma_f64 v[226:227], v[216:217], v[104:105], -v[222:223]
	v_fmac_f64_e32 v[106:107], v[218:219], v[104:105]
	ds_read2_b64 v[216:219], v228 offset0:56 offset1:57
	s_waitcnt lgkmcnt(1)
	v_mul_f64 v[104:105], v[234:235], v[106:107]
	v_fma_f64 v[104:105], v[232:233], v[226:227], -v[104:105]
	v_mul_f64 v[222:223], v[232:233], v[106:107]
	s_waitcnt vmcnt(27)
	v_add_f64 v[100:101], v[100:101], -v[104:105]
	s_waitcnt lgkmcnt(0)
	v_mul_f64 v[104:105], v[218:219], v[106:107]
	v_fmac_f64_e32 v[222:223], v[234:235], v[226:227]
	v_fma_f64 v[104:105], v[216:217], v[226:227], -v[104:105]
	v_mul_f64 v[216:217], v[216:217], v[106:107]
	ds_read2_b64 v[232:235], v228 offset0:58 offset1:59
	v_fmac_f64_e32 v[216:217], v[218:219], v[226:227]
	s_waitcnt vmcnt(26)
	v_add_f64 v[98:99], v[98:99], -v[216:217]
	ds_read2_b64 v[216:219], v228 offset0:60 offset1:61
	v_add_f64 v[96:97], v[96:97], -v[104:105]
	s_waitcnt lgkmcnt(1)
	v_mul_f64 v[104:105], v[234:235], v[106:107]
	v_fma_f64 v[104:105], v[232:233], v[226:227], -v[104:105]
	v_add_f64 v[102:103], v[102:103], -v[222:223]
	v_mul_f64 v[222:223], v[232:233], v[106:107]
	s_waitcnt vmcnt(25)
	v_add_f64 v[92:93], v[92:93], -v[104:105]
	s_waitcnt lgkmcnt(0)
	v_mul_f64 v[104:105], v[218:219], v[106:107]
	v_fmac_f64_e32 v[222:223], v[234:235], v[226:227]
	v_fma_f64 v[104:105], v[216:217], v[226:227], -v[104:105]
	v_mul_f64 v[216:217], v[216:217], v[106:107]
	ds_read2_b64 v[232:235], v228 offset0:62 offset1:63
	v_fmac_f64_e32 v[216:217], v[218:219], v[226:227]
	s_waitcnt vmcnt(24)
	v_add_f64 v[90:91], v[90:91], -v[216:217]
	ds_read2_b64 v[216:219], v228 offset0:64 offset1:65
	v_add_f64 v[88:89], v[88:89], -v[104:105]
	s_waitcnt lgkmcnt(1)
	v_mul_f64 v[104:105], v[234:235], v[106:107]
	v_fma_f64 v[104:105], v[232:233], v[226:227], -v[104:105]
	v_add_f64 v[94:95], v[94:95], -v[222:223]
	;; [unrolled: 18-line block ×10, first 2 shown]
	v_mul_f64 v[222:223], v[232:233], v[106:107]
	s_waitcnt vmcnt(7)
	v_add_f64 v[20:21], v[20:21], -v[104:105]
	s_waitcnt lgkmcnt(0)
	v_mul_f64 v[104:105], v[218:219], v[106:107]
	v_fmac_f64_e32 v[222:223], v[234:235], v[226:227]
	v_fma_f64 v[104:105], v[216:217], v[226:227], -v[104:105]
	v_mul_f64 v[216:217], v[216:217], v[106:107]
	ds_read2_b64 v[232:235], v228 offset0:98 offset1:99
	v_fmac_f64_e32 v[216:217], v[218:219], v[226:227]
	s_waitcnt vmcnt(6)
	v_add_f64 v[18:19], v[18:19], -v[216:217]
	ds_read2_b64 v[216:219], v228 offset0:100 offset1:101
	v_add_f64 v[16:17], v[16:17], -v[104:105]
	s_waitcnt lgkmcnt(1)
	v_mul_f64 v[104:105], v[234:235], v[106:107]
	v_add_f64 v[22:23], v[22:23], -v[222:223]
	v_fma_f64 v[104:105], v[232:233], v[226:227], -v[104:105]
	v_mul_f64 v[222:223], v[232:233], v[106:107]
	v_fmac_f64_e32 v[222:223], v[234:235], v[226:227]
	s_waitcnt vmcnt(5)
	v_add_f64 v[12:13], v[12:13], -v[104:105]
	s_waitcnt lgkmcnt(0)
	v_mul_f64 v[104:105], v[218:219], v[106:107]
	ds_read2_b64 v[232:235], v228 offset0:102 offset1:103
	v_fma_f64 v[104:105], v[216:217], v[226:227], -v[104:105]
	v_mul_f64 v[216:217], v[216:217], v[106:107]
	v_fmac_f64_e32 v[216:217], v[218:219], v[226:227]
	s_waitcnt vmcnt(4)
	v_add_f64 v[10:11], v[10:11], -v[216:217]
	ds_read2_b64 v[216:219], v228 offset0:104 offset1:105
	v_add_f64 v[14:15], v[14:15], -v[222:223]
	v_add_f64 v[8:9], v[8:9], -v[104:105]
	s_waitcnt lgkmcnt(1)
	v_mul_f64 v[104:105], v[234:235], v[106:107]
	v_mul_f64 v[222:223], v[232:233], v[106:107]
	v_fma_f64 v[104:105], v[232:233], v[226:227], -v[104:105]
	v_fmac_f64_e32 v[222:223], v[234:235], v[226:227]
	ds_read2_b64 v[232:235], v228 offset0:106 offset1:107
	s_waitcnt vmcnt(3)
	v_add_f64 v[4:5], v[4:5], -v[104:105]
	s_waitcnt lgkmcnt(1)
	v_mul_f64 v[104:105], v[218:219], v[106:107]
	v_fma_f64 v[104:105], v[216:217], v[226:227], -v[104:105]
	v_mul_f64 v[216:217], v[216:217], v[106:107]
	v_fmac_f64_e32 v[216:217], v[218:219], v[226:227]
	s_waitcnt vmcnt(2)
	v_add_f64 v[0:1], v[0:1], -v[104:105]
	v_add_f64 v[2:3], v[2:3], -v[216:217]
	s_waitcnt lgkmcnt(0)
	v_mul_f64 v[104:105], v[234:235], v[106:107]
	v_mul_f64 v[216:217], v[232:233], v[106:107]
	v_fma_f64 v[104:105], v[232:233], v[226:227], -v[104:105]
	v_fmac_f64_e32 v[216:217], v[234:235], v[226:227]
	v_add_f64 v[6:7], v[6:7], -v[222:223]
	s_waitcnt vmcnt(1)
	v_add_f64 v[212:213], v[212:213], -v[104:105]
	v_add_f64 v[214:215], v[214:215], -v[216:217]
	v_mov_b64_e32 v[104:105], v[226:227]
.LBB106_566:
	s_or_b64 exec, exec, s[0:1]
	v_lshl_add_u32 v216, v229, 4, v228
	s_barrier
	s_waitcnt vmcnt(27)
	ds_write2_b64 v216, v[100:101], v[102:103] offset1:1
	s_waitcnt lgkmcnt(0)
	s_barrier
	ds_read2_b64 v[216:219], v228 offset0:54 offset1:55
	s_cmp_lt_i32 s20, 29
	v_mov_b32_e32 v226, 27
	s_cbranch_scc1 .LBB106_569
; %bb.567:
	v_add_u32_e32 v227, 0x1c0, v228
	s_mov_b32 s16, 28
	v_mov_b32_e32 v226, 27
.LBB106_568:                            ; =>This Inner Loop Header: Depth=1
	ds_read2_b64 v[232:235], v227 offset1:1
	s_waitcnt lgkmcnt(1)
	v_xor_b32_e32 v223, 0x80000000, v217
	v_xor_b32_e32 v231, 0x80000000, v219
	v_cmp_gt_f64_e32 vcc, 0, v[218:219]
	v_cmp_gt_f64_e64 s[0:1], 0, v[216:217]
	v_mov_b32_e32 v222, v216
	v_mov_b32_e32 v236, v218
	v_cndmask_b32_e64 v223, v217, v223, s[0:1]
	v_cndmask_b32_e32 v237, v219, v231, vcc
	s_waitcnt lgkmcnt(0)
	v_xor_b32_e32 v231, 0x80000000, v233
	v_xor_b32_e32 v239, 0x80000000, v235
	v_cmp_gt_f64_e32 vcc, 0, v[234:235]
	v_cmp_gt_f64_e64 s[0:1], 0, v[232:233]
	v_add_f64 v[222:223], v[222:223], v[236:237]
	v_mov_b32_e32 v236, v232
	v_mov_b32_e32 v238, v234
	v_cndmask_b32_e64 v237, v233, v231, s[0:1]
	v_cndmask_b32_e32 v239, v235, v239, vcc
	v_add_f64 v[236:237], v[236:237], v[238:239]
	v_mov_b32_e32 v240, s16
	s_add_i32 s16, s16, 1
	v_cmp_lt_f64_e32 vcc, v[222:223], v[236:237]
	v_add_u32_e32 v227, 16, v227
	s_cmp_lg_u32 s20, s16
	v_cndmask_b32_e32 v217, v217, v233, vcc
	v_cndmask_b32_e32 v216, v216, v232, vcc
	v_cndmask_b32_e32 v219, v219, v235, vcc
	v_cndmask_b32_e32 v218, v218, v234, vcc
	v_cndmask_b32_e32 v226, v226, v240, vcc
	s_cbranch_scc1 .LBB106_568
.LBB106_569:
	s_waitcnt lgkmcnt(0)
	v_cmp_eq_f64_e32 vcc, 0, v[216:217]
	v_cmp_eq_f64_e64 s[0:1], 0, v[218:219]
	s_and_b64 s[0:1], vcc, s[0:1]
	s_and_saveexec_b64 s[16:17], s[0:1]
	s_xor_b64 s[0:1], exec, s[16:17]
; %bb.570:
	v_cmp_ne_u32_e32 vcc, 0, v230
	s_nop 1
	v_cndmask_b32_e32 v230, 28, v230, vcc
; %bb.571:
	s_andn2_saveexec_b64 s[0:1], s[0:1]
	s_cbranch_execz .LBB106_577
; %bb.572:
	v_cmp_ngt_f64_e64 s[16:17], |v[216:217]|, |v[218:219]|
	s_and_saveexec_b64 s[18:19], s[16:17]
	s_xor_b64 s[16:17], exec, s[18:19]
	s_cbranch_execz .LBB106_574
; %bb.573:
	v_div_scale_f64 v[222:223], s[18:19], v[218:219], v[218:219], v[216:217]
	v_rcp_f64_e32 v[232:233], v[222:223]
	v_div_scale_f64 v[234:235], vcc, v[216:217], v[218:219], v[216:217]
	v_fma_f64 v[236:237], -v[222:223], v[232:233], 1.0
	v_fmac_f64_e32 v[232:233], v[232:233], v[236:237]
	v_fma_f64 v[236:237], -v[222:223], v[232:233], 1.0
	v_fmac_f64_e32 v[232:233], v[232:233], v[236:237]
	v_mul_f64 v[236:237], v[234:235], v[232:233]
	v_fma_f64 v[222:223], -v[222:223], v[236:237], v[234:235]
	v_div_fmas_f64 v[222:223], v[222:223], v[232:233], v[236:237]
	v_div_fixup_f64 v[222:223], v[222:223], v[218:219], v[216:217]
	v_fmac_f64_e32 v[218:219], v[216:217], v[222:223]
	v_div_scale_f64 v[216:217], s[18:19], v[218:219], v[218:219], 1.0
	v_rcp_f64_e32 v[232:233], v[216:217]
	s_nop 0
	v_fma_f64 v[234:235], -v[216:217], v[232:233], 1.0
	v_fmac_f64_e32 v[232:233], v[232:233], v[234:235]
	v_fma_f64 v[234:235], -v[216:217], v[232:233], 1.0
	v_fmac_f64_e32 v[232:233], v[232:233], v[234:235]
	v_div_scale_f64 v[234:235], vcc, 1.0, v[218:219], 1.0
	v_mul_f64 v[236:237], v[234:235], v[232:233]
	v_fma_f64 v[216:217], -v[216:217], v[236:237], v[234:235]
	s_nop 1
	v_div_fmas_f64 v[216:217], v[216:217], v[232:233], v[236:237]
	v_div_fixup_f64 v[218:219], v[216:217], v[218:219], 1.0
	v_mul_f64 v[216:217], v[222:223], v[218:219]
	v_xor_b32_e32 v219, 0x80000000, v219
.LBB106_574:
	s_andn2_saveexec_b64 s[16:17], s[16:17]
	s_cbranch_execz .LBB106_576
; %bb.575:
	v_div_scale_f64 v[222:223], s[18:19], v[216:217], v[216:217], v[218:219]
	v_rcp_f64_e32 v[232:233], v[222:223]
	v_div_scale_f64 v[234:235], vcc, v[218:219], v[216:217], v[218:219]
	v_fma_f64 v[236:237], -v[222:223], v[232:233], 1.0
	v_fmac_f64_e32 v[232:233], v[232:233], v[236:237]
	v_fma_f64 v[236:237], -v[222:223], v[232:233], 1.0
	v_fmac_f64_e32 v[232:233], v[232:233], v[236:237]
	v_mul_f64 v[236:237], v[234:235], v[232:233]
	v_fma_f64 v[222:223], -v[222:223], v[236:237], v[234:235]
	v_div_fmas_f64 v[222:223], v[222:223], v[232:233], v[236:237]
	v_div_fixup_f64 v[222:223], v[222:223], v[216:217], v[218:219]
	v_fmac_f64_e32 v[216:217], v[218:219], v[222:223]
	v_div_scale_f64 v[218:219], s[18:19], v[216:217], v[216:217], 1.0
	v_rcp_f64_e32 v[232:233], v[218:219]
	s_nop 0
	v_fma_f64 v[234:235], -v[218:219], v[232:233], 1.0
	v_fmac_f64_e32 v[232:233], v[232:233], v[234:235]
	v_fma_f64 v[234:235], -v[218:219], v[232:233], 1.0
	v_fmac_f64_e32 v[232:233], v[232:233], v[234:235]
	v_div_scale_f64 v[234:235], vcc, 1.0, v[216:217], 1.0
	v_mul_f64 v[236:237], v[234:235], v[232:233]
	v_fma_f64 v[218:219], -v[218:219], v[236:237], v[234:235]
	s_nop 1
	v_div_fmas_f64 v[218:219], v[218:219], v[232:233], v[236:237]
	v_div_fixup_f64 v[216:217], v[218:219], v[216:217], 1.0
	v_mul_f64 v[218:219], v[222:223], -v[216:217]
.LBB106_576:
	s_or_b64 exec, exec, s[16:17]
.LBB106_577:
	s_or_b64 exec, exec, s[0:1]
	v_cmp_ne_u32_e32 vcc, v229, v226
	s_and_saveexec_b64 s[0:1], vcc
	s_xor_b64 s[0:1], exec, s[0:1]
	s_cbranch_execz .LBB106_583
; %bb.578:
	v_cmp_eq_u32_e32 vcc, 27, v229
	s_and_saveexec_b64 s[16:17], vcc
	s_cbranch_execz .LBB106_582
; %bb.579:
	v_cmp_ne_u32_e32 vcc, 27, v226
	s_xor_b64 s[18:19], s[14:15], -1
	s_and_b64 s[22:23], s[18:19], vcc
	s_and_saveexec_b64 s[18:19], s[22:23]
	s_cbranch_execz .LBB106_581
; %bb.580:
	v_ashrrev_i32_e32 v227, 31, v226
	s_waitcnt vmcnt(0)
	v_lshl_add_u64 v[222:223], v[226:227], 2, v[224:225]
	global_load_dword v227, v[222:223], off
	global_load_dword v229, v[224:225], off offset:108
	s_waitcnt vmcnt(1)
	global_store_dword v[224:225], v227, off offset:108
	s_waitcnt vmcnt(1)
	global_store_dword v[222:223], v229, off
.LBB106_581:
	s_or_b64 exec, exec, s[18:19]
	v_mov_b32_e32 v229, v226
	v_mov_b32_e32 v220, v226
.LBB106_582:
	s_or_b64 exec, exec, s[16:17]
.LBB106_583:
	s_andn2_saveexec_b64 s[0:1], s[0:1]
	s_cbranch_execz .LBB106_585
; %bb.584:
	v_mov_b32_e32 v229, 27
	s_waitcnt vmcnt(26)
	ds_write2_b64 v228, v[96:97], v[98:99] offset0:56 offset1:57
	s_waitcnt vmcnt(25)
	ds_write2_b64 v228, v[92:93], v[94:95] offset0:58 offset1:59
	;; [unrolled: 2-line block ×26, first 2 shown]
.LBB106_585:
	s_or_b64 exec, exec, s[0:1]
	v_cmp_lt_i32_e32 vcc, 27, v229
	s_waitcnt lgkmcnt(0)
	s_barrier
	s_and_saveexec_b64 s[0:1], vcc
	s_cbranch_execz .LBB106_587
; %bb.586:
	ds_read2_b64 v[232:235], v228 offset0:56 offset1:57
	v_mul_f64 v[222:223], v[218:219], v[102:103]
	v_mul_f64 v[102:103], v[216:217], v[102:103]
	v_fma_f64 v[226:227], v[216:217], v[100:101], -v[222:223]
	v_fmac_f64_e32 v[102:103], v[218:219], v[100:101]
	ds_read2_b64 v[216:219], v228 offset0:58 offset1:59
	s_waitcnt lgkmcnt(1)
	v_mul_f64 v[100:101], v[234:235], v[102:103]
	v_fma_f64 v[100:101], v[232:233], v[226:227], -v[100:101]
	v_mul_f64 v[222:223], v[232:233], v[102:103]
	s_waitcnt vmcnt(26)
	v_add_f64 v[96:97], v[96:97], -v[100:101]
	s_waitcnt lgkmcnt(0)
	v_mul_f64 v[100:101], v[218:219], v[102:103]
	v_fmac_f64_e32 v[222:223], v[234:235], v[226:227]
	v_fma_f64 v[100:101], v[216:217], v[226:227], -v[100:101]
	v_mul_f64 v[216:217], v[216:217], v[102:103]
	ds_read2_b64 v[232:235], v228 offset0:60 offset1:61
	v_fmac_f64_e32 v[216:217], v[218:219], v[226:227]
	s_waitcnt vmcnt(25)
	v_add_f64 v[94:95], v[94:95], -v[216:217]
	ds_read2_b64 v[216:219], v228 offset0:62 offset1:63
	v_add_f64 v[92:93], v[92:93], -v[100:101]
	s_waitcnt lgkmcnt(1)
	v_mul_f64 v[100:101], v[234:235], v[102:103]
	v_fma_f64 v[100:101], v[232:233], v[226:227], -v[100:101]
	v_add_f64 v[98:99], v[98:99], -v[222:223]
	v_mul_f64 v[222:223], v[232:233], v[102:103]
	s_waitcnt vmcnt(24)
	v_add_f64 v[88:89], v[88:89], -v[100:101]
	s_waitcnt lgkmcnt(0)
	v_mul_f64 v[100:101], v[218:219], v[102:103]
	v_fmac_f64_e32 v[222:223], v[234:235], v[226:227]
	v_fma_f64 v[100:101], v[216:217], v[226:227], -v[100:101]
	v_mul_f64 v[216:217], v[216:217], v[102:103]
	ds_read2_b64 v[232:235], v228 offset0:64 offset1:65
	v_fmac_f64_e32 v[216:217], v[218:219], v[226:227]
	s_waitcnt vmcnt(23)
	v_add_f64 v[86:87], v[86:87], -v[216:217]
	ds_read2_b64 v[216:219], v228 offset0:66 offset1:67
	v_add_f64 v[84:85], v[84:85], -v[100:101]
	s_waitcnt lgkmcnt(1)
	v_mul_f64 v[100:101], v[234:235], v[102:103]
	v_fma_f64 v[100:101], v[232:233], v[226:227], -v[100:101]
	v_add_f64 v[90:91], v[90:91], -v[222:223]
	;; [unrolled: 18-line block ×11, first 2 shown]
	v_mul_f64 v[222:223], v[232:233], v[102:103]
	s_waitcnt vmcnt(4)
	v_add_f64 v[8:9], v[8:9], -v[100:101]
	s_waitcnt lgkmcnt(0)
	v_mul_f64 v[100:101], v[218:219], v[102:103]
	v_fmac_f64_e32 v[222:223], v[234:235], v[226:227]
	v_fma_f64 v[100:101], v[216:217], v[226:227], -v[100:101]
	v_mul_f64 v[216:217], v[216:217], v[102:103]
	ds_read2_b64 v[232:235], v228 offset0:104 offset1:105
	v_fmac_f64_e32 v[216:217], v[218:219], v[226:227]
	s_waitcnt vmcnt(3)
	v_add_f64 v[6:7], v[6:7], -v[216:217]
	ds_read2_b64 v[216:219], v228 offset0:106 offset1:107
	v_add_f64 v[4:5], v[4:5], -v[100:101]
	s_waitcnt lgkmcnt(1)
	v_mul_f64 v[100:101], v[234:235], v[102:103]
	v_fma_f64 v[100:101], v[232:233], v[226:227], -v[100:101]
	s_waitcnt vmcnt(2)
	v_add_f64 v[0:1], v[0:1], -v[100:101]
	s_waitcnt lgkmcnt(0)
	v_mul_f64 v[100:101], v[218:219], v[102:103]
	v_add_f64 v[10:11], v[10:11], -v[222:223]
	v_mul_f64 v[222:223], v[232:233], v[102:103]
	v_fma_f64 v[100:101], v[216:217], v[226:227], -v[100:101]
	v_mul_f64 v[216:217], v[216:217], v[102:103]
	v_fmac_f64_e32 v[222:223], v[234:235], v[226:227]
	v_fmac_f64_e32 v[216:217], v[218:219], v[226:227]
	v_add_f64 v[2:3], v[2:3], -v[222:223]
	s_waitcnt vmcnt(1)
	v_add_f64 v[212:213], v[212:213], -v[100:101]
	v_add_f64 v[214:215], v[214:215], -v[216:217]
	v_mov_b64_e32 v[100:101], v[226:227]
.LBB106_587:
	s_or_b64 exec, exec, s[0:1]
	v_lshl_add_u32 v216, v229, 4, v228
	s_barrier
	s_waitcnt vmcnt(26)
	ds_write2_b64 v216, v[96:97], v[98:99] offset1:1
	s_waitcnt lgkmcnt(0)
	s_barrier
	ds_read2_b64 v[216:219], v228 offset0:56 offset1:57
	s_cmp_lt_i32 s20, 30
	v_mov_b32_e32 v226, 28
	s_cbranch_scc1 .LBB106_590
; %bb.588:
	v_add_u32_e32 v227, 0x1d0, v228
	s_mov_b32 s16, 29
	v_mov_b32_e32 v226, 28
.LBB106_589:                            ; =>This Inner Loop Header: Depth=1
	ds_read2_b64 v[232:235], v227 offset1:1
	s_waitcnt lgkmcnt(1)
	v_xor_b32_e32 v223, 0x80000000, v217
	v_xor_b32_e32 v231, 0x80000000, v219
	v_cmp_gt_f64_e32 vcc, 0, v[218:219]
	v_cmp_gt_f64_e64 s[0:1], 0, v[216:217]
	v_mov_b32_e32 v222, v216
	v_mov_b32_e32 v236, v218
	v_cndmask_b32_e64 v223, v217, v223, s[0:1]
	v_cndmask_b32_e32 v237, v219, v231, vcc
	s_waitcnt lgkmcnt(0)
	v_xor_b32_e32 v231, 0x80000000, v233
	v_xor_b32_e32 v239, 0x80000000, v235
	v_cmp_gt_f64_e32 vcc, 0, v[234:235]
	v_cmp_gt_f64_e64 s[0:1], 0, v[232:233]
	v_add_f64 v[222:223], v[222:223], v[236:237]
	v_mov_b32_e32 v236, v232
	v_mov_b32_e32 v238, v234
	v_cndmask_b32_e64 v237, v233, v231, s[0:1]
	v_cndmask_b32_e32 v239, v235, v239, vcc
	v_add_f64 v[236:237], v[236:237], v[238:239]
	v_mov_b32_e32 v240, s16
	s_add_i32 s16, s16, 1
	v_cmp_lt_f64_e32 vcc, v[222:223], v[236:237]
	v_add_u32_e32 v227, 16, v227
	s_cmp_lg_u32 s20, s16
	v_cndmask_b32_e32 v217, v217, v233, vcc
	v_cndmask_b32_e32 v216, v216, v232, vcc
	;; [unrolled: 1-line block ×5, first 2 shown]
	s_cbranch_scc1 .LBB106_589
.LBB106_590:
	s_waitcnt lgkmcnt(0)
	v_cmp_eq_f64_e32 vcc, 0, v[216:217]
	v_cmp_eq_f64_e64 s[0:1], 0, v[218:219]
	s_and_b64 s[0:1], vcc, s[0:1]
	s_and_saveexec_b64 s[16:17], s[0:1]
	s_xor_b64 s[0:1], exec, s[16:17]
; %bb.591:
	v_cmp_ne_u32_e32 vcc, 0, v230
	s_nop 1
	v_cndmask_b32_e32 v230, 29, v230, vcc
; %bb.592:
	s_andn2_saveexec_b64 s[0:1], s[0:1]
	s_cbranch_execz .LBB106_598
; %bb.593:
	v_cmp_ngt_f64_e64 s[16:17], |v[216:217]|, |v[218:219]|
	s_and_saveexec_b64 s[18:19], s[16:17]
	s_xor_b64 s[16:17], exec, s[18:19]
	s_cbranch_execz .LBB106_595
; %bb.594:
	v_div_scale_f64 v[222:223], s[18:19], v[218:219], v[218:219], v[216:217]
	v_rcp_f64_e32 v[232:233], v[222:223]
	v_div_scale_f64 v[234:235], vcc, v[216:217], v[218:219], v[216:217]
	v_fma_f64 v[236:237], -v[222:223], v[232:233], 1.0
	v_fmac_f64_e32 v[232:233], v[232:233], v[236:237]
	v_fma_f64 v[236:237], -v[222:223], v[232:233], 1.0
	v_fmac_f64_e32 v[232:233], v[232:233], v[236:237]
	v_mul_f64 v[236:237], v[234:235], v[232:233]
	v_fma_f64 v[222:223], -v[222:223], v[236:237], v[234:235]
	v_div_fmas_f64 v[222:223], v[222:223], v[232:233], v[236:237]
	v_div_fixup_f64 v[222:223], v[222:223], v[218:219], v[216:217]
	v_fmac_f64_e32 v[218:219], v[216:217], v[222:223]
	v_div_scale_f64 v[216:217], s[18:19], v[218:219], v[218:219], 1.0
	v_rcp_f64_e32 v[232:233], v[216:217]
	s_nop 0
	v_fma_f64 v[234:235], -v[216:217], v[232:233], 1.0
	v_fmac_f64_e32 v[232:233], v[232:233], v[234:235]
	v_fma_f64 v[234:235], -v[216:217], v[232:233], 1.0
	v_fmac_f64_e32 v[232:233], v[232:233], v[234:235]
	v_div_scale_f64 v[234:235], vcc, 1.0, v[218:219], 1.0
	v_mul_f64 v[236:237], v[234:235], v[232:233]
	v_fma_f64 v[216:217], -v[216:217], v[236:237], v[234:235]
	s_nop 1
	v_div_fmas_f64 v[216:217], v[216:217], v[232:233], v[236:237]
	v_div_fixup_f64 v[218:219], v[216:217], v[218:219], 1.0
	v_mul_f64 v[216:217], v[222:223], v[218:219]
	v_xor_b32_e32 v219, 0x80000000, v219
.LBB106_595:
	s_andn2_saveexec_b64 s[16:17], s[16:17]
	s_cbranch_execz .LBB106_597
; %bb.596:
	v_div_scale_f64 v[222:223], s[18:19], v[216:217], v[216:217], v[218:219]
	v_rcp_f64_e32 v[232:233], v[222:223]
	v_div_scale_f64 v[234:235], vcc, v[218:219], v[216:217], v[218:219]
	v_fma_f64 v[236:237], -v[222:223], v[232:233], 1.0
	v_fmac_f64_e32 v[232:233], v[232:233], v[236:237]
	v_fma_f64 v[236:237], -v[222:223], v[232:233], 1.0
	v_fmac_f64_e32 v[232:233], v[232:233], v[236:237]
	v_mul_f64 v[236:237], v[234:235], v[232:233]
	v_fma_f64 v[222:223], -v[222:223], v[236:237], v[234:235]
	v_div_fmas_f64 v[222:223], v[222:223], v[232:233], v[236:237]
	v_div_fixup_f64 v[222:223], v[222:223], v[216:217], v[218:219]
	v_fmac_f64_e32 v[216:217], v[218:219], v[222:223]
	v_div_scale_f64 v[218:219], s[18:19], v[216:217], v[216:217], 1.0
	v_rcp_f64_e32 v[232:233], v[218:219]
	s_nop 0
	v_fma_f64 v[234:235], -v[218:219], v[232:233], 1.0
	v_fmac_f64_e32 v[232:233], v[232:233], v[234:235]
	v_fma_f64 v[234:235], -v[218:219], v[232:233], 1.0
	v_fmac_f64_e32 v[232:233], v[232:233], v[234:235]
	v_div_scale_f64 v[234:235], vcc, 1.0, v[216:217], 1.0
	v_mul_f64 v[236:237], v[234:235], v[232:233]
	v_fma_f64 v[218:219], -v[218:219], v[236:237], v[234:235]
	s_nop 1
	v_div_fmas_f64 v[218:219], v[218:219], v[232:233], v[236:237]
	v_div_fixup_f64 v[216:217], v[218:219], v[216:217], 1.0
	v_mul_f64 v[218:219], v[222:223], -v[216:217]
.LBB106_597:
	s_or_b64 exec, exec, s[16:17]
.LBB106_598:
	s_or_b64 exec, exec, s[0:1]
	v_cmp_ne_u32_e32 vcc, v229, v226
	s_and_saveexec_b64 s[0:1], vcc
	s_xor_b64 s[0:1], exec, s[0:1]
	s_cbranch_execz .LBB106_604
; %bb.599:
	v_cmp_eq_u32_e32 vcc, 28, v229
	s_and_saveexec_b64 s[16:17], vcc
	s_cbranch_execz .LBB106_603
; %bb.600:
	v_cmp_ne_u32_e32 vcc, 28, v226
	s_xor_b64 s[18:19], s[14:15], -1
	s_and_b64 s[22:23], s[18:19], vcc
	s_and_saveexec_b64 s[18:19], s[22:23]
	s_cbranch_execz .LBB106_602
; %bb.601:
	v_ashrrev_i32_e32 v227, 31, v226
	s_waitcnt vmcnt(0)
	v_lshl_add_u64 v[222:223], v[226:227], 2, v[224:225]
	global_load_dword v227, v[222:223], off
	global_load_dword v229, v[224:225], off offset:112
	s_waitcnt vmcnt(1)
	global_store_dword v[224:225], v227, off offset:112
	s_waitcnt vmcnt(1)
	global_store_dword v[222:223], v229, off
.LBB106_602:
	s_or_b64 exec, exec, s[18:19]
	v_mov_b32_e32 v229, v226
	v_mov_b32_e32 v220, v226
.LBB106_603:
	s_or_b64 exec, exec, s[16:17]
.LBB106_604:
	s_andn2_saveexec_b64 s[0:1], s[0:1]
	s_cbranch_execz .LBB106_606
; %bb.605:
	v_mov_b32_e32 v229, 28
	s_waitcnt vmcnt(25)
	ds_write2_b64 v228, v[92:93], v[94:95] offset0:58 offset1:59
	s_waitcnt vmcnt(24)
	ds_write2_b64 v228, v[88:89], v[90:91] offset0:60 offset1:61
	;; [unrolled: 2-line block ×25, first 2 shown]
.LBB106_606:
	s_or_b64 exec, exec, s[0:1]
	v_cmp_lt_i32_e32 vcc, 28, v229
	s_waitcnt lgkmcnt(0)
	s_barrier
	s_and_saveexec_b64 s[0:1], vcc
	s_cbranch_execz .LBB106_608
; %bb.607:
	ds_read2_b64 v[232:235], v228 offset0:58 offset1:59
	v_mul_f64 v[222:223], v[218:219], v[98:99]
	v_mul_f64 v[98:99], v[216:217], v[98:99]
	v_fma_f64 v[226:227], v[216:217], v[96:97], -v[222:223]
	v_fmac_f64_e32 v[98:99], v[218:219], v[96:97]
	ds_read2_b64 v[216:219], v228 offset0:60 offset1:61
	s_waitcnt lgkmcnt(1)
	v_mul_f64 v[96:97], v[234:235], v[98:99]
	v_fma_f64 v[96:97], v[232:233], v[226:227], -v[96:97]
	v_mul_f64 v[222:223], v[232:233], v[98:99]
	s_waitcnt vmcnt(25)
	v_add_f64 v[92:93], v[92:93], -v[96:97]
	s_waitcnt lgkmcnt(0)
	v_mul_f64 v[96:97], v[218:219], v[98:99]
	v_fmac_f64_e32 v[222:223], v[234:235], v[226:227]
	v_fma_f64 v[96:97], v[216:217], v[226:227], -v[96:97]
	v_mul_f64 v[216:217], v[216:217], v[98:99]
	ds_read2_b64 v[232:235], v228 offset0:62 offset1:63
	v_fmac_f64_e32 v[216:217], v[218:219], v[226:227]
	s_waitcnt vmcnt(24)
	v_add_f64 v[90:91], v[90:91], -v[216:217]
	ds_read2_b64 v[216:219], v228 offset0:64 offset1:65
	v_add_f64 v[88:89], v[88:89], -v[96:97]
	s_waitcnt lgkmcnt(1)
	v_mul_f64 v[96:97], v[234:235], v[98:99]
	v_fma_f64 v[96:97], v[232:233], v[226:227], -v[96:97]
	v_add_f64 v[94:95], v[94:95], -v[222:223]
	v_mul_f64 v[222:223], v[232:233], v[98:99]
	s_waitcnt vmcnt(23)
	v_add_f64 v[84:85], v[84:85], -v[96:97]
	s_waitcnt lgkmcnt(0)
	v_mul_f64 v[96:97], v[218:219], v[98:99]
	v_fmac_f64_e32 v[222:223], v[234:235], v[226:227]
	v_fma_f64 v[96:97], v[216:217], v[226:227], -v[96:97]
	v_mul_f64 v[216:217], v[216:217], v[98:99]
	ds_read2_b64 v[232:235], v228 offset0:66 offset1:67
	v_fmac_f64_e32 v[216:217], v[218:219], v[226:227]
	s_waitcnt vmcnt(22)
	v_add_f64 v[82:83], v[82:83], -v[216:217]
	ds_read2_b64 v[216:219], v228 offset0:68 offset1:69
	v_add_f64 v[80:81], v[80:81], -v[96:97]
	s_waitcnt lgkmcnt(1)
	v_mul_f64 v[96:97], v[234:235], v[98:99]
	v_fma_f64 v[96:97], v[232:233], v[226:227], -v[96:97]
	v_add_f64 v[86:87], v[86:87], -v[222:223]
	;; [unrolled: 18-line block ×9, first 2 shown]
	v_mul_f64 v[222:223], v[232:233], v[98:99]
	s_waitcnt vmcnt(7)
	v_add_f64 v[20:21], v[20:21], -v[96:97]
	s_waitcnt lgkmcnt(0)
	v_mul_f64 v[96:97], v[218:219], v[98:99]
	v_fmac_f64_e32 v[222:223], v[234:235], v[226:227]
	v_fma_f64 v[96:97], v[216:217], v[226:227], -v[96:97]
	v_mul_f64 v[216:217], v[216:217], v[98:99]
	ds_read2_b64 v[232:235], v228 offset0:98 offset1:99
	v_fmac_f64_e32 v[216:217], v[218:219], v[226:227]
	s_waitcnt vmcnt(6)
	v_add_f64 v[18:19], v[18:19], -v[216:217]
	ds_read2_b64 v[216:219], v228 offset0:100 offset1:101
	v_add_f64 v[16:17], v[16:17], -v[96:97]
	s_waitcnt lgkmcnt(1)
	v_mul_f64 v[96:97], v[234:235], v[98:99]
	v_add_f64 v[22:23], v[22:23], -v[222:223]
	v_fma_f64 v[96:97], v[232:233], v[226:227], -v[96:97]
	v_mul_f64 v[222:223], v[232:233], v[98:99]
	v_fmac_f64_e32 v[222:223], v[234:235], v[226:227]
	s_waitcnt vmcnt(5)
	v_add_f64 v[12:13], v[12:13], -v[96:97]
	s_waitcnt lgkmcnt(0)
	v_mul_f64 v[96:97], v[218:219], v[98:99]
	ds_read2_b64 v[232:235], v228 offset0:102 offset1:103
	v_fma_f64 v[96:97], v[216:217], v[226:227], -v[96:97]
	v_mul_f64 v[216:217], v[216:217], v[98:99]
	v_fmac_f64_e32 v[216:217], v[218:219], v[226:227]
	s_waitcnt vmcnt(4)
	v_add_f64 v[10:11], v[10:11], -v[216:217]
	ds_read2_b64 v[216:219], v228 offset0:104 offset1:105
	v_add_f64 v[14:15], v[14:15], -v[222:223]
	v_add_f64 v[8:9], v[8:9], -v[96:97]
	s_waitcnt lgkmcnt(1)
	v_mul_f64 v[96:97], v[234:235], v[98:99]
	v_mul_f64 v[222:223], v[232:233], v[98:99]
	v_fma_f64 v[96:97], v[232:233], v[226:227], -v[96:97]
	v_fmac_f64_e32 v[222:223], v[234:235], v[226:227]
	ds_read2_b64 v[232:235], v228 offset0:106 offset1:107
	s_waitcnt vmcnt(3)
	v_add_f64 v[4:5], v[4:5], -v[96:97]
	s_waitcnt lgkmcnt(1)
	v_mul_f64 v[96:97], v[218:219], v[98:99]
	v_fma_f64 v[96:97], v[216:217], v[226:227], -v[96:97]
	v_mul_f64 v[216:217], v[216:217], v[98:99]
	v_fmac_f64_e32 v[216:217], v[218:219], v[226:227]
	s_waitcnt vmcnt(2)
	v_add_f64 v[0:1], v[0:1], -v[96:97]
	v_add_f64 v[2:3], v[2:3], -v[216:217]
	s_waitcnt lgkmcnt(0)
	v_mul_f64 v[96:97], v[234:235], v[98:99]
	v_mul_f64 v[216:217], v[232:233], v[98:99]
	v_fma_f64 v[96:97], v[232:233], v[226:227], -v[96:97]
	v_fmac_f64_e32 v[216:217], v[234:235], v[226:227]
	v_add_f64 v[6:7], v[6:7], -v[222:223]
	s_waitcnt vmcnt(1)
	v_add_f64 v[212:213], v[212:213], -v[96:97]
	v_add_f64 v[214:215], v[214:215], -v[216:217]
	v_mov_b64_e32 v[96:97], v[226:227]
.LBB106_608:
	s_or_b64 exec, exec, s[0:1]
	v_lshl_add_u32 v216, v229, 4, v228
	s_barrier
	s_waitcnt vmcnt(25)
	ds_write2_b64 v216, v[92:93], v[94:95] offset1:1
	s_waitcnt lgkmcnt(0)
	s_barrier
	ds_read2_b64 v[216:219], v228 offset0:58 offset1:59
	s_cmp_lt_i32 s20, 31
	v_mov_b32_e32 v226, 29
	s_cbranch_scc1 .LBB106_611
; %bb.609:
	v_add_u32_e32 v227, 0x1e0, v228
	s_mov_b32 s16, 30
	v_mov_b32_e32 v226, 29
.LBB106_610:                            ; =>This Inner Loop Header: Depth=1
	ds_read2_b64 v[232:235], v227 offset1:1
	s_waitcnt lgkmcnt(1)
	v_xor_b32_e32 v223, 0x80000000, v217
	v_xor_b32_e32 v231, 0x80000000, v219
	v_cmp_gt_f64_e32 vcc, 0, v[218:219]
	v_cmp_gt_f64_e64 s[0:1], 0, v[216:217]
	v_mov_b32_e32 v222, v216
	v_mov_b32_e32 v236, v218
	v_cndmask_b32_e64 v223, v217, v223, s[0:1]
	v_cndmask_b32_e32 v237, v219, v231, vcc
	s_waitcnt lgkmcnt(0)
	v_xor_b32_e32 v231, 0x80000000, v233
	v_xor_b32_e32 v239, 0x80000000, v235
	v_cmp_gt_f64_e32 vcc, 0, v[234:235]
	v_cmp_gt_f64_e64 s[0:1], 0, v[232:233]
	v_add_f64 v[222:223], v[222:223], v[236:237]
	v_mov_b32_e32 v236, v232
	v_mov_b32_e32 v238, v234
	v_cndmask_b32_e64 v237, v233, v231, s[0:1]
	v_cndmask_b32_e32 v239, v235, v239, vcc
	v_add_f64 v[236:237], v[236:237], v[238:239]
	v_mov_b32_e32 v240, s16
	s_add_i32 s16, s16, 1
	v_cmp_lt_f64_e32 vcc, v[222:223], v[236:237]
	v_add_u32_e32 v227, 16, v227
	s_cmp_lg_u32 s20, s16
	v_cndmask_b32_e32 v217, v217, v233, vcc
	v_cndmask_b32_e32 v216, v216, v232, vcc
	;; [unrolled: 1-line block ×5, first 2 shown]
	s_cbranch_scc1 .LBB106_610
.LBB106_611:
	s_waitcnt lgkmcnt(0)
	v_cmp_eq_f64_e32 vcc, 0, v[216:217]
	v_cmp_eq_f64_e64 s[0:1], 0, v[218:219]
	s_and_b64 s[0:1], vcc, s[0:1]
	s_and_saveexec_b64 s[16:17], s[0:1]
	s_xor_b64 s[0:1], exec, s[16:17]
; %bb.612:
	v_cmp_ne_u32_e32 vcc, 0, v230
	s_nop 1
	v_cndmask_b32_e32 v230, 30, v230, vcc
; %bb.613:
	s_andn2_saveexec_b64 s[0:1], s[0:1]
	s_cbranch_execz .LBB106_619
; %bb.614:
	v_cmp_ngt_f64_e64 s[16:17], |v[216:217]|, |v[218:219]|
	s_and_saveexec_b64 s[18:19], s[16:17]
	s_xor_b64 s[16:17], exec, s[18:19]
	s_cbranch_execz .LBB106_616
; %bb.615:
	v_div_scale_f64 v[222:223], s[18:19], v[218:219], v[218:219], v[216:217]
	v_rcp_f64_e32 v[232:233], v[222:223]
	v_div_scale_f64 v[234:235], vcc, v[216:217], v[218:219], v[216:217]
	v_fma_f64 v[236:237], -v[222:223], v[232:233], 1.0
	v_fmac_f64_e32 v[232:233], v[232:233], v[236:237]
	v_fma_f64 v[236:237], -v[222:223], v[232:233], 1.0
	v_fmac_f64_e32 v[232:233], v[232:233], v[236:237]
	v_mul_f64 v[236:237], v[234:235], v[232:233]
	v_fma_f64 v[222:223], -v[222:223], v[236:237], v[234:235]
	v_div_fmas_f64 v[222:223], v[222:223], v[232:233], v[236:237]
	v_div_fixup_f64 v[222:223], v[222:223], v[218:219], v[216:217]
	v_fmac_f64_e32 v[218:219], v[216:217], v[222:223]
	v_div_scale_f64 v[216:217], s[18:19], v[218:219], v[218:219], 1.0
	v_rcp_f64_e32 v[232:233], v[216:217]
	s_nop 0
	v_fma_f64 v[234:235], -v[216:217], v[232:233], 1.0
	v_fmac_f64_e32 v[232:233], v[232:233], v[234:235]
	v_fma_f64 v[234:235], -v[216:217], v[232:233], 1.0
	v_fmac_f64_e32 v[232:233], v[232:233], v[234:235]
	v_div_scale_f64 v[234:235], vcc, 1.0, v[218:219], 1.0
	v_mul_f64 v[236:237], v[234:235], v[232:233]
	v_fma_f64 v[216:217], -v[216:217], v[236:237], v[234:235]
	s_nop 1
	v_div_fmas_f64 v[216:217], v[216:217], v[232:233], v[236:237]
	v_div_fixup_f64 v[218:219], v[216:217], v[218:219], 1.0
	v_mul_f64 v[216:217], v[222:223], v[218:219]
	v_xor_b32_e32 v219, 0x80000000, v219
.LBB106_616:
	s_andn2_saveexec_b64 s[16:17], s[16:17]
	s_cbranch_execz .LBB106_618
; %bb.617:
	v_div_scale_f64 v[222:223], s[18:19], v[216:217], v[216:217], v[218:219]
	v_rcp_f64_e32 v[232:233], v[222:223]
	v_div_scale_f64 v[234:235], vcc, v[218:219], v[216:217], v[218:219]
	v_fma_f64 v[236:237], -v[222:223], v[232:233], 1.0
	v_fmac_f64_e32 v[232:233], v[232:233], v[236:237]
	v_fma_f64 v[236:237], -v[222:223], v[232:233], 1.0
	v_fmac_f64_e32 v[232:233], v[232:233], v[236:237]
	v_mul_f64 v[236:237], v[234:235], v[232:233]
	v_fma_f64 v[222:223], -v[222:223], v[236:237], v[234:235]
	v_div_fmas_f64 v[222:223], v[222:223], v[232:233], v[236:237]
	v_div_fixup_f64 v[222:223], v[222:223], v[216:217], v[218:219]
	v_fmac_f64_e32 v[216:217], v[218:219], v[222:223]
	v_div_scale_f64 v[218:219], s[18:19], v[216:217], v[216:217], 1.0
	v_rcp_f64_e32 v[232:233], v[218:219]
	s_nop 0
	v_fma_f64 v[234:235], -v[218:219], v[232:233], 1.0
	v_fmac_f64_e32 v[232:233], v[232:233], v[234:235]
	v_fma_f64 v[234:235], -v[218:219], v[232:233], 1.0
	v_fmac_f64_e32 v[232:233], v[232:233], v[234:235]
	v_div_scale_f64 v[234:235], vcc, 1.0, v[216:217], 1.0
	v_mul_f64 v[236:237], v[234:235], v[232:233]
	v_fma_f64 v[218:219], -v[218:219], v[236:237], v[234:235]
	s_nop 1
	v_div_fmas_f64 v[218:219], v[218:219], v[232:233], v[236:237]
	v_div_fixup_f64 v[216:217], v[218:219], v[216:217], 1.0
	v_mul_f64 v[218:219], v[222:223], -v[216:217]
.LBB106_618:
	s_or_b64 exec, exec, s[16:17]
.LBB106_619:
	s_or_b64 exec, exec, s[0:1]
	v_cmp_ne_u32_e32 vcc, v229, v226
	s_and_saveexec_b64 s[0:1], vcc
	s_xor_b64 s[0:1], exec, s[0:1]
	s_cbranch_execz .LBB106_625
; %bb.620:
	v_cmp_eq_u32_e32 vcc, 29, v229
	s_and_saveexec_b64 s[16:17], vcc
	s_cbranch_execz .LBB106_624
; %bb.621:
	v_cmp_ne_u32_e32 vcc, 29, v226
	s_xor_b64 s[18:19], s[14:15], -1
	s_and_b64 s[22:23], s[18:19], vcc
	s_and_saveexec_b64 s[18:19], s[22:23]
	s_cbranch_execz .LBB106_623
; %bb.622:
	v_ashrrev_i32_e32 v227, 31, v226
	s_waitcnt vmcnt(0)
	v_lshl_add_u64 v[222:223], v[226:227], 2, v[224:225]
	global_load_dword v227, v[222:223], off
	global_load_dword v229, v[224:225], off offset:116
	s_waitcnt vmcnt(1)
	global_store_dword v[224:225], v227, off offset:116
	s_waitcnt vmcnt(1)
	global_store_dword v[222:223], v229, off
.LBB106_623:
	s_or_b64 exec, exec, s[18:19]
	v_mov_b32_e32 v229, v226
	v_mov_b32_e32 v220, v226
.LBB106_624:
	s_or_b64 exec, exec, s[16:17]
.LBB106_625:
	s_andn2_saveexec_b64 s[0:1], s[0:1]
	s_cbranch_execz .LBB106_627
; %bb.626:
	v_mov_b32_e32 v229, 29
	s_waitcnt vmcnt(24)
	ds_write2_b64 v228, v[88:89], v[90:91] offset0:60 offset1:61
	s_waitcnt vmcnt(23)
	ds_write2_b64 v228, v[84:85], v[86:87] offset0:62 offset1:63
	;; [unrolled: 2-line block ×24, first 2 shown]
.LBB106_627:
	s_or_b64 exec, exec, s[0:1]
	v_cmp_lt_i32_e32 vcc, 29, v229
	s_waitcnt lgkmcnt(0)
	s_barrier
	s_and_saveexec_b64 s[0:1], vcc
	s_cbranch_execz .LBB106_629
; %bb.628:
	ds_read2_b64 v[232:235], v228 offset0:60 offset1:61
	v_mul_f64 v[222:223], v[218:219], v[94:95]
	v_mul_f64 v[94:95], v[216:217], v[94:95]
	v_fma_f64 v[226:227], v[216:217], v[92:93], -v[222:223]
	v_fmac_f64_e32 v[94:95], v[218:219], v[92:93]
	ds_read2_b64 v[216:219], v228 offset0:62 offset1:63
	s_waitcnt lgkmcnt(1)
	v_mul_f64 v[92:93], v[234:235], v[94:95]
	v_fma_f64 v[92:93], v[232:233], v[226:227], -v[92:93]
	v_mul_f64 v[222:223], v[232:233], v[94:95]
	s_waitcnt vmcnt(24)
	v_add_f64 v[88:89], v[88:89], -v[92:93]
	s_waitcnt lgkmcnt(0)
	v_mul_f64 v[92:93], v[218:219], v[94:95]
	v_fmac_f64_e32 v[222:223], v[234:235], v[226:227]
	v_fma_f64 v[92:93], v[216:217], v[226:227], -v[92:93]
	v_mul_f64 v[216:217], v[216:217], v[94:95]
	ds_read2_b64 v[232:235], v228 offset0:64 offset1:65
	v_fmac_f64_e32 v[216:217], v[218:219], v[226:227]
	s_waitcnt vmcnt(23)
	v_add_f64 v[86:87], v[86:87], -v[216:217]
	ds_read2_b64 v[216:219], v228 offset0:66 offset1:67
	v_add_f64 v[84:85], v[84:85], -v[92:93]
	s_waitcnt lgkmcnt(1)
	v_mul_f64 v[92:93], v[234:235], v[94:95]
	v_fma_f64 v[92:93], v[232:233], v[226:227], -v[92:93]
	v_add_f64 v[90:91], v[90:91], -v[222:223]
	v_mul_f64 v[222:223], v[232:233], v[94:95]
	s_waitcnt vmcnt(22)
	v_add_f64 v[80:81], v[80:81], -v[92:93]
	s_waitcnt lgkmcnt(0)
	v_mul_f64 v[92:93], v[218:219], v[94:95]
	v_fmac_f64_e32 v[222:223], v[234:235], v[226:227]
	v_fma_f64 v[92:93], v[216:217], v[226:227], -v[92:93]
	v_mul_f64 v[216:217], v[216:217], v[94:95]
	ds_read2_b64 v[232:235], v228 offset0:68 offset1:69
	v_fmac_f64_e32 v[216:217], v[218:219], v[226:227]
	s_waitcnt vmcnt(21)
	v_add_f64 v[78:79], v[78:79], -v[216:217]
	ds_read2_b64 v[216:219], v228 offset0:70 offset1:71
	v_add_f64 v[76:77], v[76:77], -v[92:93]
	s_waitcnt lgkmcnt(1)
	v_mul_f64 v[92:93], v[234:235], v[94:95]
	v_fma_f64 v[92:93], v[232:233], v[226:227], -v[92:93]
	v_add_f64 v[82:83], v[82:83], -v[222:223]
	;; [unrolled: 18-line block ×10, first 2 shown]
	v_mul_f64 v[222:223], v[232:233], v[94:95]
	s_waitcnt vmcnt(4)
	v_add_f64 v[8:9], v[8:9], -v[92:93]
	s_waitcnt lgkmcnt(0)
	v_mul_f64 v[92:93], v[218:219], v[94:95]
	v_fmac_f64_e32 v[222:223], v[234:235], v[226:227]
	v_fma_f64 v[92:93], v[216:217], v[226:227], -v[92:93]
	v_mul_f64 v[216:217], v[216:217], v[94:95]
	ds_read2_b64 v[232:235], v228 offset0:104 offset1:105
	v_fmac_f64_e32 v[216:217], v[218:219], v[226:227]
	s_waitcnt vmcnt(3)
	v_add_f64 v[6:7], v[6:7], -v[216:217]
	ds_read2_b64 v[216:219], v228 offset0:106 offset1:107
	v_add_f64 v[4:5], v[4:5], -v[92:93]
	s_waitcnt lgkmcnt(1)
	v_mul_f64 v[92:93], v[234:235], v[94:95]
	v_fma_f64 v[92:93], v[232:233], v[226:227], -v[92:93]
	s_waitcnt vmcnt(2)
	v_add_f64 v[0:1], v[0:1], -v[92:93]
	s_waitcnt lgkmcnt(0)
	v_mul_f64 v[92:93], v[218:219], v[94:95]
	v_add_f64 v[10:11], v[10:11], -v[222:223]
	v_mul_f64 v[222:223], v[232:233], v[94:95]
	v_fma_f64 v[92:93], v[216:217], v[226:227], -v[92:93]
	v_mul_f64 v[216:217], v[216:217], v[94:95]
	v_fmac_f64_e32 v[222:223], v[234:235], v[226:227]
	v_fmac_f64_e32 v[216:217], v[218:219], v[226:227]
	v_add_f64 v[2:3], v[2:3], -v[222:223]
	s_waitcnt vmcnt(1)
	v_add_f64 v[212:213], v[212:213], -v[92:93]
	v_add_f64 v[214:215], v[214:215], -v[216:217]
	v_mov_b64_e32 v[92:93], v[226:227]
.LBB106_629:
	s_or_b64 exec, exec, s[0:1]
	v_lshl_add_u32 v216, v229, 4, v228
	s_barrier
	s_waitcnt vmcnt(24)
	ds_write2_b64 v216, v[88:89], v[90:91] offset1:1
	s_waitcnt lgkmcnt(0)
	s_barrier
	ds_read2_b64 v[216:219], v228 offset0:60 offset1:61
	s_cmp_lt_i32 s20, 32
	v_mov_b32_e32 v226, 30
	s_cbranch_scc1 .LBB106_632
; %bb.630:
	v_add_u32_e32 v227, 0x1f0, v228
	s_mov_b32 s16, 31
	v_mov_b32_e32 v226, 30
.LBB106_631:                            ; =>This Inner Loop Header: Depth=1
	ds_read2_b64 v[232:235], v227 offset1:1
	s_waitcnt lgkmcnt(1)
	v_xor_b32_e32 v223, 0x80000000, v217
	v_xor_b32_e32 v231, 0x80000000, v219
	v_cmp_gt_f64_e32 vcc, 0, v[218:219]
	v_cmp_gt_f64_e64 s[0:1], 0, v[216:217]
	v_mov_b32_e32 v222, v216
	v_mov_b32_e32 v236, v218
	v_cndmask_b32_e64 v223, v217, v223, s[0:1]
	v_cndmask_b32_e32 v237, v219, v231, vcc
	s_waitcnt lgkmcnt(0)
	v_xor_b32_e32 v231, 0x80000000, v233
	v_xor_b32_e32 v239, 0x80000000, v235
	v_cmp_gt_f64_e32 vcc, 0, v[234:235]
	v_cmp_gt_f64_e64 s[0:1], 0, v[232:233]
	v_add_f64 v[222:223], v[222:223], v[236:237]
	v_mov_b32_e32 v236, v232
	v_mov_b32_e32 v238, v234
	v_cndmask_b32_e64 v237, v233, v231, s[0:1]
	v_cndmask_b32_e32 v239, v235, v239, vcc
	v_add_f64 v[236:237], v[236:237], v[238:239]
	v_mov_b32_e32 v240, s16
	s_add_i32 s16, s16, 1
	v_cmp_lt_f64_e32 vcc, v[222:223], v[236:237]
	v_add_u32_e32 v227, 16, v227
	s_cmp_lg_u32 s20, s16
	v_cndmask_b32_e32 v217, v217, v233, vcc
	v_cndmask_b32_e32 v216, v216, v232, vcc
	v_cndmask_b32_e32 v219, v219, v235, vcc
	v_cndmask_b32_e32 v218, v218, v234, vcc
	v_cndmask_b32_e32 v226, v226, v240, vcc
	s_cbranch_scc1 .LBB106_631
.LBB106_632:
	s_waitcnt lgkmcnt(0)
	v_cmp_eq_f64_e32 vcc, 0, v[216:217]
	v_cmp_eq_f64_e64 s[0:1], 0, v[218:219]
	s_and_b64 s[0:1], vcc, s[0:1]
	s_and_saveexec_b64 s[16:17], s[0:1]
	s_xor_b64 s[0:1], exec, s[16:17]
; %bb.633:
	v_cmp_ne_u32_e32 vcc, 0, v230
	s_nop 1
	v_cndmask_b32_e32 v230, 31, v230, vcc
; %bb.634:
	s_andn2_saveexec_b64 s[0:1], s[0:1]
	s_cbranch_execz .LBB106_640
; %bb.635:
	v_cmp_ngt_f64_e64 s[16:17], |v[216:217]|, |v[218:219]|
	s_and_saveexec_b64 s[18:19], s[16:17]
	s_xor_b64 s[16:17], exec, s[18:19]
	s_cbranch_execz .LBB106_637
; %bb.636:
	v_div_scale_f64 v[222:223], s[18:19], v[218:219], v[218:219], v[216:217]
	v_rcp_f64_e32 v[232:233], v[222:223]
	v_div_scale_f64 v[234:235], vcc, v[216:217], v[218:219], v[216:217]
	v_fma_f64 v[236:237], -v[222:223], v[232:233], 1.0
	v_fmac_f64_e32 v[232:233], v[232:233], v[236:237]
	v_fma_f64 v[236:237], -v[222:223], v[232:233], 1.0
	v_fmac_f64_e32 v[232:233], v[232:233], v[236:237]
	v_mul_f64 v[236:237], v[234:235], v[232:233]
	v_fma_f64 v[222:223], -v[222:223], v[236:237], v[234:235]
	v_div_fmas_f64 v[222:223], v[222:223], v[232:233], v[236:237]
	v_div_fixup_f64 v[222:223], v[222:223], v[218:219], v[216:217]
	v_fmac_f64_e32 v[218:219], v[216:217], v[222:223]
	v_div_scale_f64 v[216:217], s[18:19], v[218:219], v[218:219], 1.0
	v_rcp_f64_e32 v[232:233], v[216:217]
	s_nop 0
	v_fma_f64 v[234:235], -v[216:217], v[232:233], 1.0
	v_fmac_f64_e32 v[232:233], v[232:233], v[234:235]
	v_fma_f64 v[234:235], -v[216:217], v[232:233], 1.0
	v_fmac_f64_e32 v[232:233], v[232:233], v[234:235]
	v_div_scale_f64 v[234:235], vcc, 1.0, v[218:219], 1.0
	v_mul_f64 v[236:237], v[234:235], v[232:233]
	v_fma_f64 v[216:217], -v[216:217], v[236:237], v[234:235]
	s_nop 1
	v_div_fmas_f64 v[216:217], v[216:217], v[232:233], v[236:237]
	v_div_fixup_f64 v[218:219], v[216:217], v[218:219], 1.0
	v_mul_f64 v[216:217], v[222:223], v[218:219]
	v_xor_b32_e32 v219, 0x80000000, v219
.LBB106_637:
	s_andn2_saveexec_b64 s[16:17], s[16:17]
	s_cbranch_execz .LBB106_639
; %bb.638:
	v_div_scale_f64 v[222:223], s[18:19], v[216:217], v[216:217], v[218:219]
	v_rcp_f64_e32 v[232:233], v[222:223]
	v_div_scale_f64 v[234:235], vcc, v[218:219], v[216:217], v[218:219]
	v_fma_f64 v[236:237], -v[222:223], v[232:233], 1.0
	v_fmac_f64_e32 v[232:233], v[232:233], v[236:237]
	v_fma_f64 v[236:237], -v[222:223], v[232:233], 1.0
	v_fmac_f64_e32 v[232:233], v[232:233], v[236:237]
	v_mul_f64 v[236:237], v[234:235], v[232:233]
	v_fma_f64 v[222:223], -v[222:223], v[236:237], v[234:235]
	v_div_fmas_f64 v[222:223], v[222:223], v[232:233], v[236:237]
	v_div_fixup_f64 v[222:223], v[222:223], v[216:217], v[218:219]
	v_fmac_f64_e32 v[216:217], v[218:219], v[222:223]
	v_div_scale_f64 v[218:219], s[18:19], v[216:217], v[216:217], 1.0
	v_rcp_f64_e32 v[232:233], v[218:219]
	s_nop 0
	v_fma_f64 v[234:235], -v[218:219], v[232:233], 1.0
	v_fmac_f64_e32 v[232:233], v[232:233], v[234:235]
	v_fma_f64 v[234:235], -v[218:219], v[232:233], 1.0
	v_fmac_f64_e32 v[232:233], v[232:233], v[234:235]
	v_div_scale_f64 v[234:235], vcc, 1.0, v[216:217], 1.0
	v_mul_f64 v[236:237], v[234:235], v[232:233]
	v_fma_f64 v[218:219], -v[218:219], v[236:237], v[234:235]
	s_nop 1
	v_div_fmas_f64 v[218:219], v[218:219], v[232:233], v[236:237]
	v_div_fixup_f64 v[216:217], v[218:219], v[216:217], 1.0
	v_mul_f64 v[218:219], v[222:223], -v[216:217]
.LBB106_639:
	s_or_b64 exec, exec, s[16:17]
.LBB106_640:
	s_or_b64 exec, exec, s[0:1]
	v_cmp_ne_u32_e32 vcc, v229, v226
	s_and_saveexec_b64 s[0:1], vcc
	s_xor_b64 s[0:1], exec, s[0:1]
	s_cbranch_execz .LBB106_646
; %bb.641:
	v_cmp_eq_u32_e32 vcc, 30, v229
	s_and_saveexec_b64 s[16:17], vcc
	s_cbranch_execz .LBB106_645
; %bb.642:
	v_cmp_ne_u32_e32 vcc, 30, v226
	s_xor_b64 s[18:19], s[14:15], -1
	s_and_b64 s[22:23], s[18:19], vcc
	s_and_saveexec_b64 s[18:19], s[22:23]
	s_cbranch_execz .LBB106_644
; %bb.643:
	v_ashrrev_i32_e32 v227, 31, v226
	s_waitcnt vmcnt(0)
	v_lshl_add_u64 v[222:223], v[226:227], 2, v[224:225]
	global_load_dword v227, v[222:223], off
	global_load_dword v229, v[224:225], off offset:120
	s_waitcnt vmcnt(1)
	global_store_dword v[224:225], v227, off offset:120
	s_waitcnt vmcnt(1)
	global_store_dword v[222:223], v229, off
.LBB106_644:
	s_or_b64 exec, exec, s[18:19]
	v_mov_b32_e32 v229, v226
	v_mov_b32_e32 v220, v226
.LBB106_645:
	s_or_b64 exec, exec, s[16:17]
.LBB106_646:
	s_andn2_saveexec_b64 s[0:1], s[0:1]
	s_cbranch_execz .LBB106_648
; %bb.647:
	v_mov_b32_e32 v229, 30
	s_waitcnt vmcnt(23)
	ds_write2_b64 v228, v[84:85], v[86:87] offset0:62 offset1:63
	s_waitcnt vmcnt(22)
	ds_write2_b64 v228, v[80:81], v[82:83] offset0:64 offset1:65
	;; [unrolled: 2-line block ×23, first 2 shown]
.LBB106_648:
	s_or_b64 exec, exec, s[0:1]
	v_cmp_lt_i32_e32 vcc, 30, v229
	s_waitcnt lgkmcnt(0)
	s_barrier
	s_and_saveexec_b64 s[0:1], vcc
	s_cbranch_execz .LBB106_650
; %bb.649:
	ds_read2_b64 v[232:235], v228 offset0:62 offset1:63
	v_mul_f64 v[222:223], v[218:219], v[90:91]
	v_mul_f64 v[90:91], v[216:217], v[90:91]
	v_fma_f64 v[226:227], v[216:217], v[88:89], -v[222:223]
	v_fmac_f64_e32 v[90:91], v[218:219], v[88:89]
	ds_read2_b64 v[216:219], v228 offset0:64 offset1:65
	s_waitcnt lgkmcnt(1)
	v_mul_f64 v[88:89], v[234:235], v[90:91]
	v_fma_f64 v[88:89], v[232:233], v[226:227], -v[88:89]
	v_mul_f64 v[222:223], v[232:233], v[90:91]
	s_waitcnt vmcnt(23)
	v_add_f64 v[84:85], v[84:85], -v[88:89]
	s_waitcnt lgkmcnt(0)
	v_mul_f64 v[88:89], v[218:219], v[90:91]
	v_fmac_f64_e32 v[222:223], v[234:235], v[226:227]
	v_fma_f64 v[88:89], v[216:217], v[226:227], -v[88:89]
	v_mul_f64 v[216:217], v[216:217], v[90:91]
	ds_read2_b64 v[232:235], v228 offset0:66 offset1:67
	v_fmac_f64_e32 v[216:217], v[218:219], v[226:227]
	s_waitcnt vmcnt(22)
	v_add_f64 v[82:83], v[82:83], -v[216:217]
	ds_read2_b64 v[216:219], v228 offset0:68 offset1:69
	v_add_f64 v[80:81], v[80:81], -v[88:89]
	s_waitcnt lgkmcnt(1)
	v_mul_f64 v[88:89], v[234:235], v[90:91]
	v_fma_f64 v[88:89], v[232:233], v[226:227], -v[88:89]
	v_add_f64 v[86:87], v[86:87], -v[222:223]
	v_mul_f64 v[222:223], v[232:233], v[90:91]
	s_waitcnt vmcnt(21)
	v_add_f64 v[76:77], v[76:77], -v[88:89]
	s_waitcnt lgkmcnt(0)
	v_mul_f64 v[88:89], v[218:219], v[90:91]
	v_fmac_f64_e32 v[222:223], v[234:235], v[226:227]
	v_fma_f64 v[88:89], v[216:217], v[226:227], -v[88:89]
	v_mul_f64 v[216:217], v[216:217], v[90:91]
	ds_read2_b64 v[232:235], v228 offset0:70 offset1:71
	v_fmac_f64_e32 v[216:217], v[218:219], v[226:227]
	s_waitcnt vmcnt(20)
	v_add_f64 v[74:75], v[74:75], -v[216:217]
	ds_read2_b64 v[216:219], v228 offset0:72 offset1:73
	v_add_f64 v[72:73], v[72:73], -v[88:89]
	s_waitcnt lgkmcnt(1)
	v_mul_f64 v[88:89], v[234:235], v[90:91]
	v_fma_f64 v[88:89], v[232:233], v[226:227], -v[88:89]
	v_add_f64 v[78:79], v[78:79], -v[222:223]
	;; [unrolled: 18-line block ×8, first 2 shown]
	v_mul_f64 v[222:223], v[232:233], v[90:91]
	s_waitcnt vmcnt(7)
	v_add_f64 v[20:21], v[20:21], -v[88:89]
	s_waitcnt lgkmcnt(0)
	v_mul_f64 v[88:89], v[218:219], v[90:91]
	v_fmac_f64_e32 v[222:223], v[234:235], v[226:227]
	v_fma_f64 v[88:89], v[216:217], v[226:227], -v[88:89]
	v_mul_f64 v[216:217], v[216:217], v[90:91]
	ds_read2_b64 v[232:235], v228 offset0:98 offset1:99
	v_fmac_f64_e32 v[216:217], v[218:219], v[226:227]
	s_waitcnt vmcnt(6)
	v_add_f64 v[18:19], v[18:19], -v[216:217]
	ds_read2_b64 v[216:219], v228 offset0:100 offset1:101
	v_add_f64 v[16:17], v[16:17], -v[88:89]
	s_waitcnt lgkmcnt(1)
	v_mul_f64 v[88:89], v[234:235], v[90:91]
	v_add_f64 v[22:23], v[22:23], -v[222:223]
	v_fma_f64 v[88:89], v[232:233], v[226:227], -v[88:89]
	v_mul_f64 v[222:223], v[232:233], v[90:91]
	v_fmac_f64_e32 v[222:223], v[234:235], v[226:227]
	s_waitcnt vmcnt(5)
	v_add_f64 v[12:13], v[12:13], -v[88:89]
	s_waitcnt lgkmcnt(0)
	v_mul_f64 v[88:89], v[218:219], v[90:91]
	ds_read2_b64 v[232:235], v228 offset0:102 offset1:103
	v_fma_f64 v[88:89], v[216:217], v[226:227], -v[88:89]
	v_mul_f64 v[216:217], v[216:217], v[90:91]
	v_fmac_f64_e32 v[216:217], v[218:219], v[226:227]
	s_waitcnt vmcnt(4)
	v_add_f64 v[10:11], v[10:11], -v[216:217]
	ds_read2_b64 v[216:219], v228 offset0:104 offset1:105
	v_add_f64 v[14:15], v[14:15], -v[222:223]
	v_add_f64 v[8:9], v[8:9], -v[88:89]
	s_waitcnt lgkmcnt(1)
	v_mul_f64 v[88:89], v[234:235], v[90:91]
	v_mul_f64 v[222:223], v[232:233], v[90:91]
	v_fma_f64 v[88:89], v[232:233], v[226:227], -v[88:89]
	v_fmac_f64_e32 v[222:223], v[234:235], v[226:227]
	ds_read2_b64 v[232:235], v228 offset0:106 offset1:107
	s_waitcnt vmcnt(3)
	v_add_f64 v[4:5], v[4:5], -v[88:89]
	s_waitcnt lgkmcnt(1)
	v_mul_f64 v[88:89], v[218:219], v[90:91]
	v_fma_f64 v[88:89], v[216:217], v[226:227], -v[88:89]
	v_mul_f64 v[216:217], v[216:217], v[90:91]
	v_fmac_f64_e32 v[216:217], v[218:219], v[226:227]
	s_waitcnt vmcnt(2)
	v_add_f64 v[0:1], v[0:1], -v[88:89]
	v_add_f64 v[2:3], v[2:3], -v[216:217]
	s_waitcnt lgkmcnt(0)
	v_mul_f64 v[88:89], v[234:235], v[90:91]
	v_mul_f64 v[216:217], v[232:233], v[90:91]
	v_fma_f64 v[88:89], v[232:233], v[226:227], -v[88:89]
	v_fmac_f64_e32 v[216:217], v[234:235], v[226:227]
	v_add_f64 v[6:7], v[6:7], -v[222:223]
	s_waitcnt vmcnt(1)
	v_add_f64 v[212:213], v[212:213], -v[88:89]
	v_add_f64 v[214:215], v[214:215], -v[216:217]
	v_mov_b64_e32 v[88:89], v[226:227]
.LBB106_650:
	s_or_b64 exec, exec, s[0:1]
	v_lshl_add_u32 v216, v229, 4, v228
	s_barrier
	s_waitcnt vmcnt(23)
	ds_write2_b64 v216, v[84:85], v[86:87] offset1:1
	s_waitcnt lgkmcnt(0)
	s_barrier
	ds_read2_b64 v[216:219], v228 offset0:62 offset1:63
	s_cmp_lt_i32 s20, 33
	v_mov_b32_e32 v226, 31
	s_cbranch_scc1 .LBB106_653
; %bb.651:
	v_add_u32_e32 v227, 0x200, v228
	s_mov_b32 s16, 32
	v_mov_b32_e32 v226, 31
.LBB106_652:                            ; =>This Inner Loop Header: Depth=1
	ds_read2_b64 v[232:235], v227 offset1:1
	s_waitcnt lgkmcnt(1)
	v_xor_b32_e32 v223, 0x80000000, v217
	v_xor_b32_e32 v231, 0x80000000, v219
	v_cmp_gt_f64_e32 vcc, 0, v[218:219]
	v_cmp_gt_f64_e64 s[0:1], 0, v[216:217]
	v_mov_b32_e32 v222, v216
	v_mov_b32_e32 v236, v218
	v_cndmask_b32_e64 v223, v217, v223, s[0:1]
	v_cndmask_b32_e32 v237, v219, v231, vcc
	s_waitcnt lgkmcnt(0)
	v_xor_b32_e32 v231, 0x80000000, v233
	v_xor_b32_e32 v239, 0x80000000, v235
	v_cmp_gt_f64_e32 vcc, 0, v[234:235]
	v_cmp_gt_f64_e64 s[0:1], 0, v[232:233]
	v_add_f64 v[222:223], v[222:223], v[236:237]
	v_mov_b32_e32 v236, v232
	v_mov_b32_e32 v238, v234
	v_cndmask_b32_e64 v237, v233, v231, s[0:1]
	v_cndmask_b32_e32 v239, v235, v239, vcc
	v_add_f64 v[236:237], v[236:237], v[238:239]
	v_mov_b32_e32 v240, s16
	s_add_i32 s16, s16, 1
	v_cmp_lt_f64_e32 vcc, v[222:223], v[236:237]
	v_add_u32_e32 v227, 16, v227
	s_cmp_lg_u32 s20, s16
	v_cndmask_b32_e32 v217, v217, v233, vcc
	v_cndmask_b32_e32 v216, v216, v232, vcc
	;; [unrolled: 1-line block ×5, first 2 shown]
	s_cbranch_scc1 .LBB106_652
.LBB106_653:
	s_waitcnt lgkmcnt(0)
	v_cmp_eq_f64_e32 vcc, 0, v[216:217]
	v_cmp_eq_f64_e64 s[0:1], 0, v[218:219]
	s_and_b64 s[0:1], vcc, s[0:1]
	s_and_saveexec_b64 s[16:17], s[0:1]
	s_xor_b64 s[0:1], exec, s[16:17]
; %bb.654:
	v_cmp_ne_u32_e32 vcc, 0, v230
	s_nop 1
	v_cndmask_b32_e32 v230, 32, v230, vcc
; %bb.655:
	s_andn2_saveexec_b64 s[0:1], s[0:1]
	s_cbranch_execz .LBB106_661
; %bb.656:
	v_cmp_ngt_f64_e64 s[16:17], |v[216:217]|, |v[218:219]|
	s_and_saveexec_b64 s[18:19], s[16:17]
	s_xor_b64 s[16:17], exec, s[18:19]
	s_cbranch_execz .LBB106_658
; %bb.657:
	v_div_scale_f64 v[222:223], s[18:19], v[218:219], v[218:219], v[216:217]
	v_rcp_f64_e32 v[232:233], v[222:223]
	v_div_scale_f64 v[234:235], vcc, v[216:217], v[218:219], v[216:217]
	v_fma_f64 v[236:237], -v[222:223], v[232:233], 1.0
	v_fmac_f64_e32 v[232:233], v[232:233], v[236:237]
	v_fma_f64 v[236:237], -v[222:223], v[232:233], 1.0
	v_fmac_f64_e32 v[232:233], v[232:233], v[236:237]
	v_mul_f64 v[236:237], v[234:235], v[232:233]
	v_fma_f64 v[222:223], -v[222:223], v[236:237], v[234:235]
	v_div_fmas_f64 v[222:223], v[222:223], v[232:233], v[236:237]
	v_div_fixup_f64 v[222:223], v[222:223], v[218:219], v[216:217]
	v_fmac_f64_e32 v[218:219], v[216:217], v[222:223]
	v_div_scale_f64 v[216:217], s[18:19], v[218:219], v[218:219], 1.0
	v_rcp_f64_e32 v[232:233], v[216:217]
	s_nop 0
	v_fma_f64 v[234:235], -v[216:217], v[232:233], 1.0
	v_fmac_f64_e32 v[232:233], v[232:233], v[234:235]
	v_fma_f64 v[234:235], -v[216:217], v[232:233], 1.0
	v_fmac_f64_e32 v[232:233], v[232:233], v[234:235]
	v_div_scale_f64 v[234:235], vcc, 1.0, v[218:219], 1.0
	v_mul_f64 v[236:237], v[234:235], v[232:233]
	v_fma_f64 v[216:217], -v[216:217], v[236:237], v[234:235]
	s_nop 1
	v_div_fmas_f64 v[216:217], v[216:217], v[232:233], v[236:237]
	v_div_fixup_f64 v[218:219], v[216:217], v[218:219], 1.0
	v_mul_f64 v[216:217], v[222:223], v[218:219]
	v_xor_b32_e32 v219, 0x80000000, v219
.LBB106_658:
	s_andn2_saveexec_b64 s[16:17], s[16:17]
	s_cbranch_execz .LBB106_660
; %bb.659:
	v_div_scale_f64 v[222:223], s[18:19], v[216:217], v[216:217], v[218:219]
	v_rcp_f64_e32 v[232:233], v[222:223]
	v_div_scale_f64 v[234:235], vcc, v[218:219], v[216:217], v[218:219]
	v_fma_f64 v[236:237], -v[222:223], v[232:233], 1.0
	v_fmac_f64_e32 v[232:233], v[232:233], v[236:237]
	v_fma_f64 v[236:237], -v[222:223], v[232:233], 1.0
	v_fmac_f64_e32 v[232:233], v[232:233], v[236:237]
	v_mul_f64 v[236:237], v[234:235], v[232:233]
	v_fma_f64 v[222:223], -v[222:223], v[236:237], v[234:235]
	v_div_fmas_f64 v[222:223], v[222:223], v[232:233], v[236:237]
	v_div_fixup_f64 v[222:223], v[222:223], v[216:217], v[218:219]
	v_fmac_f64_e32 v[216:217], v[218:219], v[222:223]
	v_div_scale_f64 v[218:219], s[18:19], v[216:217], v[216:217], 1.0
	v_rcp_f64_e32 v[232:233], v[218:219]
	s_nop 0
	v_fma_f64 v[234:235], -v[218:219], v[232:233], 1.0
	v_fmac_f64_e32 v[232:233], v[232:233], v[234:235]
	v_fma_f64 v[234:235], -v[218:219], v[232:233], 1.0
	v_fmac_f64_e32 v[232:233], v[232:233], v[234:235]
	v_div_scale_f64 v[234:235], vcc, 1.0, v[216:217], 1.0
	v_mul_f64 v[236:237], v[234:235], v[232:233]
	v_fma_f64 v[218:219], -v[218:219], v[236:237], v[234:235]
	s_nop 1
	v_div_fmas_f64 v[218:219], v[218:219], v[232:233], v[236:237]
	v_div_fixup_f64 v[216:217], v[218:219], v[216:217], 1.0
	v_mul_f64 v[218:219], v[222:223], -v[216:217]
.LBB106_660:
	s_or_b64 exec, exec, s[16:17]
.LBB106_661:
	s_or_b64 exec, exec, s[0:1]
	v_cmp_ne_u32_e32 vcc, v229, v226
	s_and_saveexec_b64 s[0:1], vcc
	s_xor_b64 s[0:1], exec, s[0:1]
	s_cbranch_execz .LBB106_667
; %bb.662:
	v_cmp_eq_u32_e32 vcc, 31, v229
	s_and_saveexec_b64 s[16:17], vcc
	s_cbranch_execz .LBB106_666
; %bb.663:
	v_cmp_ne_u32_e32 vcc, 31, v226
	s_xor_b64 s[18:19], s[14:15], -1
	s_and_b64 s[22:23], s[18:19], vcc
	s_and_saveexec_b64 s[18:19], s[22:23]
	s_cbranch_execz .LBB106_665
; %bb.664:
	v_ashrrev_i32_e32 v227, 31, v226
	s_waitcnt vmcnt(0)
	v_lshl_add_u64 v[222:223], v[226:227], 2, v[224:225]
	global_load_dword v227, v[222:223], off
	global_load_dword v229, v[224:225], off offset:124
	s_waitcnt vmcnt(1)
	global_store_dword v[224:225], v227, off offset:124
	s_waitcnt vmcnt(1)
	global_store_dword v[222:223], v229, off
.LBB106_665:
	s_or_b64 exec, exec, s[18:19]
	v_mov_b32_e32 v229, v226
	v_mov_b32_e32 v220, v226
.LBB106_666:
	s_or_b64 exec, exec, s[16:17]
.LBB106_667:
	s_andn2_saveexec_b64 s[0:1], s[0:1]
	s_cbranch_execz .LBB106_669
; %bb.668:
	v_mov_b32_e32 v229, 31
	s_waitcnt vmcnt(22)
	ds_write2_b64 v228, v[80:81], v[82:83] offset0:64 offset1:65
	s_waitcnt vmcnt(21)
	ds_write2_b64 v228, v[76:77], v[78:79] offset0:66 offset1:67
	;; [unrolled: 2-line block ×22, first 2 shown]
.LBB106_669:
	s_or_b64 exec, exec, s[0:1]
	v_cmp_lt_i32_e32 vcc, 31, v229
	s_waitcnt lgkmcnt(0)
	s_barrier
	s_and_saveexec_b64 s[0:1], vcc
	s_cbranch_execz .LBB106_671
; %bb.670:
	ds_read2_b64 v[232:235], v228 offset0:64 offset1:65
	v_mul_f64 v[222:223], v[218:219], v[86:87]
	v_mul_f64 v[86:87], v[216:217], v[86:87]
	v_fma_f64 v[226:227], v[216:217], v[84:85], -v[222:223]
	v_fmac_f64_e32 v[86:87], v[218:219], v[84:85]
	ds_read2_b64 v[216:219], v228 offset0:66 offset1:67
	s_waitcnt lgkmcnt(1)
	v_mul_f64 v[84:85], v[234:235], v[86:87]
	v_fma_f64 v[84:85], v[232:233], v[226:227], -v[84:85]
	v_mul_f64 v[222:223], v[232:233], v[86:87]
	s_waitcnt vmcnt(22)
	v_add_f64 v[80:81], v[80:81], -v[84:85]
	s_waitcnt lgkmcnt(0)
	v_mul_f64 v[84:85], v[218:219], v[86:87]
	v_fmac_f64_e32 v[222:223], v[234:235], v[226:227]
	v_fma_f64 v[84:85], v[216:217], v[226:227], -v[84:85]
	v_mul_f64 v[216:217], v[216:217], v[86:87]
	ds_read2_b64 v[232:235], v228 offset0:68 offset1:69
	v_fmac_f64_e32 v[216:217], v[218:219], v[226:227]
	s_waitcnt vmcnt(21)
	v_add_f64 v[78:79], v[78:79], -v[216:217]
	ds_read2_b64 v[216:219], v228 offset0:70 offset1:71
	v_add_f64 v[76:77], v[76:77], -v[84:85]
	s_waitcnt lgkmcnt(1)
	v_mul_f64 v[84:85], v[234:235], v[86:87]
	v_fma_f64 v[84:85], v[232:233], v[226:227], -v[84:85]
	v_add_f64 v[82:83], v[82:83], -v[222:223]
	v_mul_f64 v[222:223], v[232:233], v[86:87]
	s_waitcnt vmcnt(20)
	v_add_f64 v[72:73], v[72:73], -v[84:85]
	s_waitcnt lgkmcnt(0)
	v_mul_f64 v[84:85], v[218:219], v[86:87]
	v_fmac_f64_e32 v[222:223], v[234:235], v[226:227]
	v_fma_f64 v[84:85], v[216:217], v[226:227], -v[84:85]
	v_mul_f64 v[216:217], v[216:217], v[86:87]
	ds_read2_b64 v[232:235], v228 offset0:72 offset1:73
	v_fmac_f64_e32 v[216:217], v[218:219], v[226:227]
	s_waitcnt vmcnt(19)
	v_add_f64 v[70:71], v[70:71], -v[216:217]
	ds_read2_b64 v[216:219], v228 offset0:74 offset1:75
	v_add_f64 v[68:69], v[68:69], -v[84:85]
	s_waitcnt lgkmcnt(1)
	v_mul_f64 v[84:85], v[234:235], v[86:87]
	v_fma_f64 v[84:85], v[232:233], v[226:227], -v[84:85]
	v_add_f64 v[74:75], v[74:75], -v[222:223]
	;; [unrolled: 18-line block ×9, first 2 shown]
	v_mul_f64 v[222:223], v[232:233], v[86:87]
	s_waitcnt vmcnt(4)
	v_add_f64 v[8:9], v[8:9], -v[84:85]
	s_waitcnt lgkmcnt(0)
	v_mul_f64 v[84:85], v[218:219], v[86:87]
	v_fmac_f64_e32 v[222:223], v[234:235], v[226:227]
	v_fma_f64 v[84:85], v[216:217], v[226:227], -v[84:85]
	v_mul_f64 v[216:217], v[216:217], v[86:87]
	ds_read2_b64 v[232:235], v228 offset0:104 offset1:105
	v_fmac_f64_e32 v[216:217], v[218:219], v[226:227]
	s_waitcnt vmcnt(3)
	v_add_f64 v[6:7], v[6:7], -v[216:217]
	ds_read2_b64 v[216:219], v228 offset0:106 offset1:107
	v_add_f64 v[4:5], v[4:5], -v[84:85]
	s_waitcnt lgkmcnt(1)
	v_mul_f64 v[84:85], v[234:235], v[86:87]
	v_fma_f64 v[84:85], v[232:233], v[226:227], -v[84:85]
	s_waitcnt vmcnt(2)
	v_add_f64 v[0:1], v[0:1], -v[84:85]
	s_waitcnt lgkmcnt(0)
	v_mul_f64 v[84:85], v[218:219], v[86:87]
	v_add_f64 v[10:11], v[10:11], -v[222:223]
	v_mul_f64 v[222:223], v[232:233], v[86:87]
	v_fma_f64 v[84:85], v[216:217], v[226:227], -v[84:85]
	v_mul_f64 v[216:217], v[216:217], v[86:87]
	v_fmac_f64_e32 v[222:223], v[234:235], v[226:227]
	v_fmac_f64_e32 v[216:217], v[218:219], v[226:227]
	v_add_f64 v[2:3], v[2:3], -v[222:223]
	s_waitcnt vmcnt(1)
	v_add_f64 v[212:213], v[212:213], -v[84:85]
	v_add_f64 v[214:215], v[214:215], -v[216:217]
	v_mov_b64_e32 v[84:85], v[226:227]
.LBB106_671:
	s_or_b64 exec, exec, s[0:1]
	v_lshl_add_u32 v216, v229, 4, v228
	s_barrier
	s_waitcnt vmcnt(22)
	ds_write2_b64 v216, v[80:81], v[82:83] offset1:1
	s_waitcnt lgkmcnt(0)
	s_barrier
	ds_read2_b64 v[216:219], v228 offset0:64 offset1:65
	s_cmp_lt_i32 s20, 34
	v_mov_b32_e32 v226, 32
	s_cbranch_scc1 .LBB106_674
; %bb.672:
	v_add_u32_e32 v227, 0x210, v228
	s_mov_b32 s16, 33
	v_mov_b32_e32 v226, 32
.LBB106_673:                            ; =>This Inner Loop Header: Depth=1
	ds_read2_b64 v[232:235], v227 offset1:1
	s_waitcnt lgkmcnt(1)
	v_xor_b32_e32 v223, 0x80000000, v217
	v_xor_b32_e32 v231, 0x80000000, v219
	v_cmp_gt_f64_e32 vcc, 0, v[218:219]
	v_cmp_gt_f64_e64 s[0:1], 0, v[216:217]
	v_mov_b32_e32 v222, v216
	v_mov_b32_e32 v236, v218
	v_cndmask_b32_e64 v223, v217, v223, s[0:1]
	v_cndmask_b32_e32 v237, v219, v231, vcc
	s_waitcnt lgkmcnt(0)
	v_xor_b32_e32 v231, 0x80000000, v233
	v_xor_b32_e32 v239, 0x80000000, v235
	v_cmp_gt_f64_e32 vcc, 0, v[234:235]
	v_cmp_gt_f64_e64 s[0:1], 0, v[232:233]
	v_add_f64 v[222:223], v[222:223], v[236:237]
	v_mov_b32_e32 v236, v232
	v_mov_b32_e32 v238, v234
	v_cndmask_b32_e64 v237, v233, v231, s[0:1]
	v_cndmask_b32_e32 v239, v235, v239, vcc
	v_add_f64 v[236:237], v[236:237], v[238:239]
	v_mov_b32_e32 v240, s16
	s_add_i32 s16, s16, 1
	v_cmp_lt_f64_e32 vcc, v[222:223], v[236:237]
	v_add_u32_e32 v227, 16, v227
	s_cmp_lg_u32 s20, s16
	v_cndmask_b32_e32 v217, v217, v233, vcc
	v_cndmask_b32_e32 v216, v216, v232, vcc
	;; [unrolled: 1-line block ×5, first 2 shown]
	s_cbranch_scc1 .LBB106_673
.LBB106_674:
	s_waitcnt lgkmcnt(0)
	v_cmp_eq_f64_e32 vcc, 0, v[216:217]
	v_cmp_eq_f64_e64 s[0:1], 0, v[218:219]
	s_and_b64 s[0:1], vcc, s[0:1]
	s_and_saveexec_b64 s[16:17], s[0:1]
	s_xor_b64 s[0:1], exec, s[16:17]
; %bb.675:
	v_cmp_ne_u32_e32 vcc, 0, v230
	s_nop 1
	v_cndmask_b32_e32 v230, 33, v230, vcc
; %bb.676:
	s_andn2_saveexec_b64 s[0:1], s[0:1]
	s_cbranch_execz .LBB106_682
; %bb.677:
	v_cmp_ngt_f64_e64 s[16:17], |v[216:217]|, |v[218:219]|
	s_and_saveexec_b64 s[18:19], s[16:17]
	s_xor_b64 s[16:17], exec, s[18:19]
	s_cbranch_execz .LBB106_679
; %bb.678:
	v_div_scale_f64 v[222:223], s[18:19], v[218:219], v[218:219], v[216:217]
	v_rcp_f64_e32 v[232:233], v[222:223]
	v_div_scale_f64 v[234:235], vcc, v[216:217], v[218:219], v[216:217]
	v_fma_f64 v[236:237], -v[222:223], v[232:233], 1.0
	v_fmac_f64_e32 v[232:233], v[232:233], v[236:237]
	v_fma_f64 v[236:237], -v[222:223], v[232:233], 1.0
	v_fmac_f64_e32 v[232:233], v[232:233], v[236:237]
	v_mul_f64 v[236:237], v[234:235], v[232:233]
	v_fma_f64 v[222:223], -v[222:223], v[236:237], v[234:235]
	v_div_fmas_f64 v[222:223], v[222:223], v[232:233], v[236:237]
	v_div_fixup_f64 v[222:223], v[222:223], v[218:219], v[216:217]
	v_fmac_f64_e32 v[218:219], v[216:217], v[222:223]
	v_div_scale_f64 v[216:217], s[18:19], v[218:219], v[218:219], 1.0
	v_rcp_f64_e32 v[232:233], v[216:217]
	s_nop 0
	v_fma_f64 v[234:235], -v[216:217], v[232:233], 1.0
	v_fmac_f64_e32 v[232:233], v[232:233], v[234:235]
	v_fma_f64 v[234:235], -v[216:217], v[232:233], 1.0
	v_fmac_f64_e32 v[232:233], v[232:233], v[234:235]
	v_div_scale_f64 v[234:235], vcc, 1.0, v[218:219], 1.0
	v_mul_f64 v[236:237], v[234:235], v[232:233]
	v_fma_f64 v[216:217], -v[216:217], v[236:237], v[234:235]
	s_nop 1
	v_div_fmas_f64 v[216:217], v[216:217], v[232:233], v[236:237]
	v_div_fixup_f64 v[218:219], v[216:217], v[218:219], 1.0
	v_mul_f64 v[216:217], v[222:223], v[218:219]
	v_xor_b32_e32 v219, 0x80000000, v219
.LBB106_679:
	s_andn2_saveexec_b64 s[16:17], s[16:17]
	s_cbranch_execz .LBB106_681
; %bb.680:
	v_div_scale_f64 v[222:223], s[18:19], v[216:217], v[216:217], v[218:219]
	v_rcp_f64_e32 v[232:233], v[222:223]
	v_div_scale_f64 v[234:235], vcc, v[218:219], v[216:217], v[218:219]
	v_fma_f64 v[236:237], -v[222:223], v[232:233], 1.0
	v_fmac_f64_e32 v[232:233], v[232:233], v[236:237]
	v_fma_f64 v[236:237], -v[222:223], v[232:233], 1.0
	v_fmac_f64_e32 v[232:233], v[232:233], v[236:237]
	v_mul_f64 v[236:237], v[234:235], v[232:233]
	v_fma_f64 v[222:223], -v[222:223], v[236:237], v[234:235]
	v_div_fmas_f64 v[222:223], v[222:223], v[232:233], v[236:237]
	v_div_fixup_f64 v[222:223], v[222:223], v[216:217], v[218:219]
	v_fmac_f64_e32 v[216:217], v[218:219], v[222:223]
	v_div_scale_f64 v[218:219], s[18:19], v[216:217], v[216:217], 1.0
	v_rcp_f64_e32 v[232:233], v[218:219]
	s_nop 0
	v_fma_f64 v[234:235], -v[218:219], v[232:233], 1.0
	v_fmac_f64_e32 v[232:233], v[232:233], v[234:235]
	v_fma_f64 v[234:235], -v[218:219], v[232:233], 1.0
	v_fmac_f64_e32 v[232:233], v[232:233], v[234:235]
	v_div_scale_f64 v[234:235], vcc, 1.0, v[216:217], 1.0
	v_mul_f64 v[236:237], v[234:235], v[232:233]
	v_fma_f64 v[218:219], -v[218:219], v[236:237], v[234:235]
	s_nop 1
	v_div_fmas_f64 v[218:219], v[218:219], v[232:233], v[236:237]
	v_div_fixup_f64 v[216:217], v[218:219], v[216:217], 1.0
	v_mul_f64 v[218:219], v[222:223], -v[216:217]
.LBB106_681:
	s_or_b64 exec, exec, s[16:17]
.LBB106_682:
	s_or_b64 exec, exec, s[0:1]
	v_cmp_ne_u32_e32 vcc, v229, v226
	s_and_saveexec_b64 s[0:1], vcc
	s_xor_b64 s[0:1], exec, s[0:1]
	s_cbranch_execz .LBB106_688
; %bb.683:
	v_cmp_eq_u32_e32 vcc, 32, v229
	s_and_saveexec_b64 s[16:17], vcc
	s_cbranch_execz .LBB106_687
; %bb.684:
	v_cmp_ne_u32_e32 vcc, 32, v226
	s_xor_b64 s[18:19], s[14:15], -1
	s_and_b64 s[22:23], s[18:19], vcc
	s_and_saveexec_b64 s[18:19], s[22:23]
	s_cbranch_execz .LBB106_686
; %bb.685:
	v_ashrrev_i32_e32 v227, 31, v226
	s_waitcnt vmcnt(0)
	v_lshl_add_u64 v[222:223], v[226:227], 2, v[224:225]
	global_load_dword v227, v[222:223], off
	global_load_dword v229, v[224:225], off offset:128
	s_waitcnt vmcnt(1)
	global_store_dword v[224:225], v227, off offset:128
	s_waitcnt vmcnt(1)
	global_store_dword v[222:223], v229, off
.LBB106_686:
	s_or_b64 exec, exec, s[18:19]
	v_mov_b32_e32 v229, v226
	v_mov_b32_e32 v220, v226
.LBB106_687:
	s_or_b64 exec, exec, s[16:17]
.LBB106_688:
	s_andn2_saveexec_b64 s[0:1], s[0:1]
	s_cbranch_execz .LBB106_690
; %bb.689:
	v_mov_b32_e32 v229, 32
	s_waitcnt vmcnt(21)
	ds_write2_b64 v228, v[76:77], v[78:79] offset0:66 offset1:67
	s_waitcnt vmcnt(20)
	ds_write2_b64 v228, v[72:73], v[74:75] offset0:68 offset1:69
	;; [unrolled: 2-line block ×21, first 2 shown]
.LBB106_690:
	s_or_b64 exec, exec, s[0:1]
	v_cmp_lt_i32_e32 vcc, 32, v229
	s_waitcnt lgkmcnt(0)
	s_barrier
	s_and_saveexec_b64 s[0:1], vcc
	s_cbranch_execz .LBB106_692
; %bb.691:
	ds_read2_b64 v[232:235], v228 offset0:66 offset1:67
	v_mul_f64 v[222:223], v[218:219], v[82:83]
	v_mul_f64 v[82:83], v[216:217], v[82:83]
	v_fma_f64 v[226:227], v[216:217], v[80:81], -v[222:223]
	v_fmac_f64_e32 v[82:83], v[218:219], v[80:81]
	ds_read2_b64 v[216:219], v228 offset0:68 offset1:69
	s_waitcnt lgkmcnt(1)
	v_mul_f64 v[80:81], v[234:235], v[82:83]
	v_fma_f64 v[80:81], v[232:233], v[226:227], -v[80:81]
	v_mul_f64 v[222:223], v[232:233], v[82:83]
	s_waitcnt vmcnt(21)
	v_add_f64 v[76:77], v[76:77], -v[80:81]
	s_waitcnt lgkmcnt(0)
	v_mul_f64 v[80:81], v[218:219], v[82:83]
	v_fmac_f64_e32 v[222:223], v[234:235], v[226:227]
	v_fma_f64 v[80:81], v[216:217], v[226:227], -v[80:81]
	v_mul_f64 v[216:217], v[216:217], v[82:83]
	ds_read2_b64 v[232:235], v228 offset0:70 offset1:71
	v_fmac_f64_e32 v[216:217], v[218:219], v[226:227]
	s_waitcnt vmcnt(20)
	v_add_f64 v[74:75], v[74:75], -v[216:217]
	ds_read2_b64 v[216:219], v228 offset0:72 offset1:73
	v_add_f64 v[72:73], v[72:73], -v[80:81]
	s_waitcnt lgkmcnt(1)
	v_mul_f64 v[80:81], v[234:235], v[82:83]
	v_fma_f64 v[80:81], v[232:233], v[226:227], -v[80:81]
	v_add_f64 v[78:79], v[78:79], -v[222:223]
	v_mul_f64 v[222:223], v[232:233], v[82:83]
	s_waitcnt vmcnt(19)
	v_add_f64 v[68:69], v[68:69], -v[80:81]
	s_waitcnt lgkmcnt(0)
	v_mul_f64 v[80:81], v[218:219], v[82:83]
	v_fmac_f64_e32 v[222:223], v[234:235], v[226:227]
	v_fma_f64 v[80:81], v[216:217], v[226:227], -v[80:81]
	v_mul_f64 v[216:217], v[216:217], v[82:83]
	ds_read2_b64 v[232:235], v228 offset0:74 offset1:75
	v_fmac_f64_e32 v[216:217], v[218:219], v[226:227]
	s_waitcnt vmcnt(18)
	v_add_f64 v[66:67], v[66:67], -v[216:217]
	ds_read2_b64 v[216:219], v228 offset0:76 offset1:77
	v_add_f64 v[64:65], v[64:65], -v[80:81]
	s_waitcnt lgkmcnt(1)
	v_mul_f64 v[80:81], v[234:235], v[82:83]
	v_fma_f64 v[80:81], v[232:233], v[226:227], -v[80:81]
	v_add_f64 v[70:71], v[70:71], -v[222:223]
	;; [unrolled: 18-line block ×7, first 2 shown]
	v_mul_f64 v[222:223], v[232:233], v[82:83]
	s_waitcnt vmcnt(7)
	v_add_f64 v[20:21], v[20:21], -v[80:81]
	s_waitcnt lgkmcnt(0)
	v_mul_f64 v[80:81], v[218:219], v[82:83]
	v_fmac_f64_e32 v[222:223], v[234:235], v[226:227]
	v_fma_f64 v[80:81], v[216:217], v[226:227], -v[80:81]
	v_mul_f64 v[216:217], v[216:217], v[82:83]
	ds_read2_b64 v[232:235], v228 offset0:98 offset1:99
	v_fmac_f64_e32 v[216:217], v[218:219], v[226:227]
	s_waitcnt vmcnt(6)
	v_add_f64 v[18:19], v[18:19], -v[216:217]
	ds_read2_b64 v[216:219], v228 offset0:100 offset1:101
	v_add_f64 v[16:17], v[16:17], -v[80:81]
	s_waitcnt lgkmcnt(1)
	v_mul_f64 v[80:81], v[234:235], v[82:83]
	v_add_f64 v[22:23], v[22:23], -v[222:223]
	v_fma_f64 v[80:81], v[232:233], v[226:227], -v[80:81]
	v_mul_f64 v[222:223], v[232:233], v[82:83]
	v_fmac_f64_e32 v[222:223], v[234:235], v[226:227]
	s_waitcnt vmcnt(5)
	v_add_f64 v[12:13], v[12:13], -v[80:81]
	s_waitcnt lgkmcnt(0)
	v_mul_f64 v[80:81], v[218:219], v[82:83]
	ds_read2_b64 v[232:235], v228 offset0:102 offset1:103
	v_fma_f64 v[80:81], v[216:217], v[226:227], -v[80:81]
	v_mul_f64 v[216:217], v[216:217], v[82:83]
	v_fmac_f64_e32 v[216:217], v[218:219], v[226:227]
	s_waitcnt vmcnt(4)
	v_add_f64 v[10:11], v[10:11], -v[216:217]
	ds_read2_b64 v[216:219], v228 offset0:104 offset1:105
	v_add_f64 v[14:15], v[14:15], -v[222:223]
	v_add_f64 v[8:9], v[8:9], -v[80:81]
	s_waitcnt lgkmcnt(1)
	v_mul_f64 v[80:81], v[234:235], v[82:83]
	v_mul_f64 v[222:223], v[232:233], v[82:83]
	v_fma_f64 v[80:81], v[232:233], v[226:227], -v[80:81]
	v_fmac_f64_e32 v[222:223], v[234:235], v[226:227]
	ds_read2_b64 v[232:235], v228 offset0:106 offset1:107
	s_waitcnt vmcnt(3)
	v_add_f64 v[4:5], v[4:5], -v[80:81]
	s_waitcnt lgkmcnt(1)
	v_mul_f64 v[80:81], v[218:219], v[82:83]
	v_fma_f64 v[80:81], v[216:217], v[226:227], -v[80:81]
	v_mul_f64 v[216:217], v[216:217], v[82:83]
	v_fmac_f64_e32 v[216:217], v[218:219], v[226:227]
	s_waitcnt vmcnt(2)
	v_add_f64 v[0:1], v[0:1], -v[80:81]
	v_add_f64 v[2:3], v[2:3], -v[216:217]
	s_waitcnt lgkmcnt(0)
	v_mul_f64 v[80:81], v[234:235], v[82:83]
	v_mul_f64 v[216:217], v[232:233], v[82:83]
	v_fma_f64 v[80:81], v[232:233], v[226:227], -v[80:81]
	v_fmac_f64_e32 v[216:217], v[234:235], v[226:227]
	v_add_f64 v[6:7], v[6:7], -v[222:223]
	s_waitcnt vmcnt(1)
	v_add_f64 v[212:213], v[212:213], -v[80:81]
	v_add_f64 v[214:215], v[214:215], -v[216:217]
	v_mov_b64_e32 v[80:81], v[226:227]
.LBB106_692:
	s_or_b64 exec, exec, s[0:1]
	v_lshl_add_u32 v216, v229, 4, v228
	s_barrier
	s_waitcnt vmcnt(21)
	ds_write2_b64 v216, v[76:77], v[78:79] offset1:1
	s_waitcnt lgkmcnt(0)
	s_barrier
	ds_read2_b64 v[216:219], v228 offset0:66 offset1:67
	s_cmp_lt_i32 s20, 35
	v_mov_b32_e32 v226, 33
	s_cbranch_scc1 .LBB106_695
; %bb.693:
	v_add_u32_e32 v227, 0x220, v228
	s_mov_b32 s16, 34
	v_mov_b32_e32 v226, 33
.LBB106_694:                            ; =>This Inner Loop Header: Depth=1
	ds_read2_b64 v[232:235], v227 offset1:1
	s_waitcnt lgkmcnt(1)
	v_xor_b32_e32 v223, 0x80000000, v217
	v_xor_b32_e32 v231, 0x80000000, v219
	v_cmp_gt_f64_e32 vcc, 0, v[218:219]
	v_cmp_gt_f64_e64 s[0:1], 0, v[216:217]
	v_mov_b32_e32 v222, v216
	v_mov_b32_e32 v236, v218
	v_cndmask_b32_e64 v223, v217, v223, s[0:1]
	v_cndmask_b32_e32 v237, v219, v231, vcc
	s_waitcnt lgkmcnt(0)
	v_xor_b32_e32 v231, 0x80000000, v233
	v_xor_b32_e32 v239, 0x80000000, v235
	v_cmp_gt_f64_e32 vcc, 0, v[234:235]
	v_cmp_gt_f64_e64 s[0:1], 0, v[232:233]
	v_add_f64 v[222:223], v[222:223], v[236:237]
	v_mov_b32_e32 v236, v232
	v_mov_b32_e32 v238, v234
	v_cndmask_b32_e64 v237, v233, v231, s[0:1]
	v_cndmask_b32_e32 v239, v235, v239, vcc
	v_add_f64 v[236:237], v[236:237], v[238:239]
	v_mov_b32_e32 v240, s16
	s_add_i32 s16, s16, 1
	v_cmp_lt_f64_e32 vcc, v[222:223], v[236:237]
	v_add_u32_e32 v227, 16, v227
	s_cmp_lg_u32 s20, s16
	v_cndmask_b32_e32 v217, v217, v233, vcc
	v_cndmask_b32_e32 v216, v216, v232, vcc
	v_cndmask_b32_e32 v219, v219, v235, vcc
	v_cndmask_b32_e32 v218, v218, v234, vcc
	v_cndmask_b32_e32 v226, v226, v240, vcc
	s_cbranch_scc1 .LBB106_694
.LBB106_695:
	s_waitcnt lgkmcnt(0)
	v_cmp_eq_f64_e32 vcc, 0, v[216:217]
	v_cmp_eq_f64_e64 s[0:1], 0, v[218:219]
	s_and_b64 s[0:1], vcc, s[0:1]
	s_and_saveexec_b64 s[16:17], s[0:1]
	s_xor_b64 s[0:1], exec, s[16:17]
; %bb.696:
	v_cmp_ne_u32_e32 vcc, 0, v230
	s_nop 1
	v_cndmask_b32_e32 v230, 34, v230, vcc
; %bb.697:
	s_andn2_saveexec_b64 s[0:1], s[0:1]
	s_cbranch_execz .LBB106_703
; %bb.698:
	v_cmp_ngt_f64_e64 s[16:17], |v[216:217]|, |v[218:219]|
	s_and_saveexec_b64 s[18:19], s[16:17]
	s_xor_b64 s[16:17], exec, s[18:19]
	s_cbranch_execz .LBB106_700
; %bb.699:
	v_div_scale_f64 v[222:223], s[18:19], v[218:219], v[218:219], v[216:217]
	v_rcp_f64_e32 v[232:233], v[222:223]
	v_div_scale_f64 v[234:235], vcc, v[216:217], v[218:219], v[216:217]
	v_fma_f64 v[236:237], -v[222:223], v[232:233], 1.0
	v_fmac_f64_e32 v[232:233], v[232:233], v[236:237]
	v_fma_f64 v[236:237], -v[222:223], v[232:233], 1.0
	v_fmac_f64_e32 v[232:233], v[232:233], v[236:237]
	v_mul_f64 v[236:237], v[234:235], v[232:233]
	v_fma_f64 v[222:223], -v[222:223], v[236:237], v[234:235]
	v_div_fmas_f64 v[222:223], v[222:223], v[232:233], v[236:237]
	v_div_fixup_f64 v[222:223], v[222:223], v[218:219], v[216:217]
	v_fmac_f64_e32 v[218:219], v[216:217], v[222:223]
	v_div_scale_f64 v[216:217], s[18:19], v[218:219], v[218:219], 1.0
	v_rcp_f64_e32 v[232:233], v[216:217]
	s_nop 0
	v_fma_f64 v[234:235], -v[216:217], v[232:233], 1.0
	v_fmac_f64_e32 v[232:233], v[232:233], v[234:235]
	v_fma_f64 v[234:235], -v[216:217], v[232:233], 1.0
	v_fmac_f64_e32 v[232:233], v[232:233], v[234:235]
	v_div_scale_f64 v[234:235], vcc, 1.0, v[218:219], 1.0
	v_mul_f64 v[236:237], v[234:235], v[232:233]
	v_fma_f64 v[216:217], -v[216:217], v[236:237], v[234:235]
	s_nop 1
	v_div_fmas_f64 v[216:217], v[216:217], v[232:233], v[236:237]
	v_div_fixup_f64 v[218:219], v[216:217], v[218:219], 1.0
	v_mul_f64 v[216:217], v[222:223], v[218:219]
	v_xor_b32_e32 v219, 0x80000000, v219
.LBB106_700:
	s_andn2_saveexec_b64 s[16:17], s[16:17]
	s_cbranch_execz .LBB106_702
; %bb.701:
	v_div_scale_f64 v[222:223], s[18:19], v[216:217], v[216:217], v[218:219]
	v_rcp_f64_e32 v[232:233], v[222:223]
	v_div_scale_f64 v[234:235], vcc, v[218:219], v[216:217], v[218:219]
	v_fma_f64 v[236:237], -v[222:223], v[232:233], 1.0
	v_fmac_f64_e32 v[232:233], v[232:233], v[236:237]
	v_fma_f64 v[236:237], -v[222:223], v[232:233], 1.0
	v_fmac_f64_e32 v[232:233], v[232:233], v[236:237]
	v_mul_f64 v[236:237], v[234:235], v[232:233]
	v_fma_f64 v[222:223], -v[222:223], v[236:237], v[234:235]
	v_div_fmas_f64 v[222:223], v[222:223], v[232:233], v[236:237]
	v_div_fixup_f64 v[222:223], v[222:223], v[216:217], v[218:219]
	v_fmac_f64_e32 v[216:217], v[218:219], v[222:223]
	v_div_scale_f64 v[218:219], s[18:19], v[216:217], v[216:217], 1.0
	v_rcp_f64_e32 v[232:233], v[218:219]
	s_nop 0
	v_fma_f64 v[234:235], -v[218:219], v[232:233], 1.0
	v_fmac_f64_e32 v[232:233], v[232:233], v[234:235]
	v_fma_f64 v[234:235], -v[218:219], v[232:233], 1.0
	v_fmac_f64_e32 v[232:233], v[232:233], v[234:235]
	v_div_scale_f64 v[234:235], vcc, 1.0, v[216:217], 1.0
	v_mul_f64 v[236:237], v[234:235], v[232:233]
	v_fma_f64 v[218:219], -v[218:219], v[236:237], v[234:235]
	s_nop 1
	v_div_fmas_f64 v[218:219], v[218:219], v[232:233], v[236:237]
	v_div_fixup_f64 v[216:217], v[218:219], v[216:217], 1.0
	v_mul_f64 v[218:219], v[222:223], -v[216:217]
.LBB106_702:
	s_or_b64 exec, exec, s[16:17]
.LBB106_703:
	s_or_b64 exec, exec, s[0:1]
	v_cmp_ne_u32_e32 vcc, v229, v226
	s_and_saveexec_b64 s[0:1], vcc
	s_xor_b64 s[0:1], exec, s[0:1]
	s_cbranch_execz .LBB106_709
; %bb.704:
	v_cmp_eq_u32_e32 vcc, 33, v229
	s_and_saveexec_b64 s[16:17], vcc
	s_cbranch_execz .LBB106_708
; %bb.705:
	v_cmp_ne_u32_e32 vcc, 33, v226
	s_xor_b64 s[18:19], s[14:15], -1
	s_and_b64 s[22:23], s[18:19], vcc
	s_and_saveexec_b64 s[18:19], s[22:23]
	s_cbranch_execz .LBB106_707
; %bb.706:
	v_ashrrev_i32_e32 v227, 31, v226
	s_waitcnt vmcnt(0)
	v_lshl_add_u64 v[222:223], v[226:227], 2, v[224:225]
	global_load_dword v227, v[222:223], off
	global_load_dword v229, v[224:225], off offset:132
	s_waitcnt vmcnt(1)
	global_store_dword v[224:225], v227, off offset:132
	s_waitcnt vmcnt(1)
	global_store_dword v[222:223], v229, off
.LBB106_707:
	s_or_b64 exec, exec, s[18:19]
	v_mov_b32_e32 v229, v226
	v_mov_b32_e32 v220, v226
.LBB106_708:
	s_or_b64 exec, exec, s[16:17]
.LBB106_709:
	s_andn2_saveexec_b64 s[0:1], s[0:1]
	s_cbranch_execz .LBB106_711
; %bb.710:
	v_mov_b32_e32 v229, 33
	s_waitcnt vmcnt(20)
	ds_write2_b64 v228, v[72:73], v[74:75] offset0:68 offset1:69
	s_waitcnt vmcnt(19)
	ds_write2_b64 v228, v[68:69], v[70:71] offset0:70 offset1:71
	;; [unrolled: 2-line block ×20, first 2 shown]
.LBB106_711:
	s_or_b64 exec, exec, s[0:1]
	v_cmp_lt_i32_e32 vcc, 33, v229
	s_waitcnt lgkmcnt(0)
	s_barrier
	s_and_saveexec_b64 s[0:1], vcc
	s_cbranch_execz .LBB106_713
; %bb.712:
	ds_read2_b64 v[232:235], v228 offset0:68 offset1:69
	v_mul_f64 v[222:223], v[218:219], v[78:79]
	v_mul_f64 v[78:79], v[216:217], v[78:79]
	v_fma_f64 v[226:227], v[216:217], v[76:77], -v[222:223]
	v_fmac_f64_e32 v[78:79], v[218:219], v[76:77]
	ds_read2_b64 v[216:219], v228 offset0:70 offset1:71
	s_waitcnt lgkmcnt(1)
	v_mul_f64 v[76:77], v[234:235], v[78:79]
	v_fma_f64 v[76:77], v[232:233], v[226:227], -v[76:77]
	v_mul_f64 v[222:223], v[232:233], v[78:79]
	s_waitcnt vmcnt(20)
	v_add_f64 v[72:73], v[72:73], -v[76:77]
	s_waitcnt lgkmcnt(0)
	v_mul_f64 v[76:77], v[218:219], v[78:79]
	v_fmac_f64_e32 v[222:223], v[234:235], v[226:227]
	v_fma_f64 v[76:77], v[216:217], v[226:227], -v[76:77]
	v_mul_f64 v[216:217], v[216:217], v[78:79]
	ds_read2_b64 v[232:235], v228 offset0:72 offset1:73
	v_fmac_f64_e32 v[216:217], v[218:219], v[226:227]
	s_waitcnt vmcnt(19)
	v_add_f64 v[70:71], v[70:71], -v[216:217]
	ds_read2_b64 v[216:219], v228 offset0:74 offset1:75
	v_add_f64 v[68:69], v[68:69], -v[76:77]
	s_waitcnt lgkmcnt(1)
	v_mul_f64 v[76:77], v[234:235], v[78:79]
	v_fma_f64 v[76:77], v[232:233], v[226:227], -v[76:77]
	v_add_f64 v[74:75], v[74:75], -v[222:223]
	v_mul_f64 v[222:223], v[232:233], v[78:79]
	s_waitcnt vmcnt(18)
	v_add_f64 v[64:65], v[64:65], -v[76:77]
	s_waitcnt lgkmcnt(0)
	v_mul_f64 v[76:77], v[218:219], v[78:79]
	v_fmac_f64_e32 v[222:223], v[234:235], v[226:227]
	v_fma_f64 v[76:77], v[216:217], v[226:227], -v[76:77]
	v_mul_f64 v[216:217], v[216:217], v[78:79]
	ds_read2_b64 v[232:235], v228 offset0:76 offset1:77
	v_fmac_f64_e32 v[216:217], v[218:219], v[226:227]
	s_waitcnt vmcnt(17)
	v_add_f64 v[62:63], v[62:63], -v[216:217]
	ds_read2_b64 v[216:219], v228 offset0:78 offset1:79
	v_add_f64 v[60:61], v[60:61], -v[76:77]
	s_waitcnt lgkmcnt(1)
	v_mul_f64 v[76:77], v[234:235], v[78:79]
	v_fma_f64 v[76:77], v[232:233], v[226:227], -v[76:77]
	v_add_f64 v[66:67], v[66:67], -v[222:223]
	;; [unrolled: 18-line block ×8, first 2 shown]
	v_mul_f64 v[222:223], v[232:233], v[78:79]
	s_waitcnt vmcnt(4)
	v_add_f64 v[8:9], v[8:9], -v[76:77]
	s_waitcnt lgkmcnt(0)
	v_mul_f64 v[76:77], v[218:219], v[78:79]
	v_fmac_f64_e32 v[222:223], v[234:235], v[226:227]
	v_fma_f64 v[76:77], v[216:217], v[226:227], -v[76:77]
	v_mul_f64 v[216:217], v[216:217], v[78:79]
	ds_read2_b64 v[232:235], v228 offset0:104 offset1:105
	v_fmac_f64_e32 v[216:217], v[218:219], v[226:227]
	s_waitcnt vmcnt(3)
	v_add_f64 v[6:7], v[6:7], -v[216:217]
	ds_read2_b64 v[216:219], v228 offset0:106 offset1:107
	v_add_f64 v[4:5], v[4:5], -v[76:77]
	s_waitcnt lgkmcnt(1)
	v_mul_f64 v[76:77], v[234:235], v[78:79]
	v_fma_f64 v[76:77], v[232:233], v[226:227], -v[76:77]
	s_waitcnt vmcnt(2)
	v_add_f64 v[0:1], v[0:1], -v[76:77]
	s_waitcnt lgkmcnt(0)
	v_mul_f64 v[76:77], v[218:219], v[78:79]
	v_add_f64 v[10:11], v[10:11], -v[222:223]
	v_mul_f64 v[222:223], v[232:233], v[78:79]
	v_fma_f64 v[76:77], v[216:217], v[226:227], -v[76:77]
	v_mul_f64 v[216:217], v[216:217], v[78:79]
	v_fmac_f64_e32 v[222:223], v[234:235], v[226:227]
	v_fmac_f64_e32 v[216:217], v[218:219], v[226:227]
	v_add_f64 v[2:3], v[2:3], -v[222:223]
	s_waitcnt vmcnt(1)
	v_add_f64 v[212:213], v[212:213], -v[76:77]
	v_add_f64 v[214:215], v[214:215], -v[216:217]
	v_mov_b64_e32 v[76:77], v[226:227]
.LBB106_713:
	s_or_b64 exec, exec, s[0:1]
	v_lshl_add_u32 v216, v229, 4, v228
	s_barrier
	s_waitcnt vmcnt(20)
	ds_write2_b64 v216, v[72:73], v[74:75] offset1:1
	s_waitcnt lgkmcnt(0)
	s_barrier
	ds_read2_b64 v[216:219], v228 offset0:68 offset1:69
	s_cmp_lt_i32 s20, 36
	v_mov_b32_e32 v226, 34
	s_cbranch_scc1 .LBB106_716
; %bb.714:
	v_add_u32_e32 v227, 0x230, v228
	s_mov_b32 s16, 35
	v_mov_b32_e32 v226, 34
.LBB106_715:                            ; =>This Inner Loop Header: Depth=1
	ds_read2_b64 v[232:235], v227 offset1:1
	s_waitcnt lgkmcnt(1)
	v_xor_b32_e32 v223, 0x80000000, v217
	v_xor_b32_e32 v231, 0x80000000, v219
	v_cmp_gt_f64_e32 vcc, 0, v[218:219]
	v_cmp_gt_f64_e64 s[0:1], 0, v[216:217]
	v_mov_b32_e32 v222, v216
	v_mov_b32_e32 v236, v218
	v_cndmask_b32_e64 v223, v217, v223, s[0:1]
	v_cndmask_b32_e32 v237, v219, v231, vcc
	s_waitcnt lgkmcnt(0)
	v_xor_b32_e32 v231, 0x80000000, v233
	v_xor_b32_e32 v239, 0x80000000, v235
	v_cmp_gt_f64_e32 vcc, 0, v[234:235]
	v_cmp_gt_f64_e64 s[0:1], 0, v[232:233]
	v_add_f64 v[222:223], v[222:223], v[236:237]
	v_mov_b32_e32 v236, v232
	v_mov_b32_e32 v238, v234
	v_cndmask_b32_e64 v237, v233, v231, s[0:1]
	v_cndmask_b32_e32 v239, v235, v239, vcc
	v_add_f64 v[236:237], v[236:237], v[238:239]
	v_mov_b32_e32 v240, s16
	s_add_i32 s16, s16, 1
	v_cmp_lt_f64_e32 vcc, v[222:223], v[236:237]
	v_add_u32_e32 v227, 16, v227
	s_cmp_lg_u32 s20, s16
	v_cndmask_b32_e32 v217, v217, v233, vcc
	v_cndmask_b32_e32 v216, v216, v232, vcc
	;; [unrolled: 1-line block ×5, first 2 shown]
	s_cbranch_scc1 .LBB106_715
.LBB106_716:
	s_waitcnt lgkmcnt(0)
	v_cmp_eq_f64_e32 vcc, 0, v[216:217]
	v_cmp_eq_f64_e64 s[0:1], 0, v[218:219]
	s_and_b64 s[0:1], vcc, s[0:1]
	s_and_saveexec_b64 s[16:17], s[0:1]
	s_xor_b64 s[0:1], exec, s[16:17]
; %bb.717:
	v_cmp_ne_u32_e32 vcc, 0, v230
	s_nop 1
	v_cndmask_b32_e32 v230, 35, v230, vcc
; %bb.718:
	s_andn2_saveexec_b64 s[0:1], s[0:1]
	s_cbranch_execz .LBB106_724
; %bb.719:
	v_cmp_ngt_f64_e64 s[16:17], |v[216:217]|, |v[218:219]|
	s_and_saveexec_b64 s[18:19], s[16:17]
	s_xor_b64 s[16:17], exec, s[18:19]
	s_cbranch_execz .LBB106_721
; %bb.720:
	v_div_scale_f64 v[222:223], s[18:19], v[218:219], v[218:219], v[216:217]
	v_rcp_f64_e32 v[232:233], v[222:223]
	v_div_scale_f64 v[234:235], vcc, v[216:217], v[218:219], v[216:217]
	v_fma_f64 v[236:237], -v[222:223], v[232:233], 1.0
	v_fmac_f64_e32 v[232:233], v[232:233], v[236:237]
	v_fma_f64 v[236:237], -v[222:223], v[232:233], 1.0
	v_fmac_f64_e32 v[232:233], v[232:233], v[236:237]
	v_mul_f64 v[236:237], v[234:235], v[232:233]
	v_fma_f64 v[222:223], -v[222:223], v[236:237], v[234:235]
	v_div_fmas_f64 v[222:223], v[222:223], v[232:233], v[236:237]
	v_div_fixup_f64 v[222:223], v[222:223], v[218:219], v[216:217]
	v_fmac_f64_e32 v[218:219], v[216:217], v[222:223]
	v_div_scale_f64 v[216:217], s[18:19], v[218:219], v[218:219], 1.0
	v_rcp_f64_e32 v[232:233], v[216:217]
	s_nop 0
	v_fma_f64 v[234:235], -v[216:217], v[232:233], 1.0
	v_fmac_f64_e32 v[232:233], v[232:233], v[234:235]
	v_fma_f64 v[234:235], -v[216:217], v[232:233], 1.0
	v_fmac_f64_e32 v[232:233], v[232:233], v[234:235]
	v_div_scale_f64 v[234:235], vcc, 1.0, v[218:219], 1.0
	v_mul_f64 v[236:237], v[234:235], v[232:233]
	v_fma_f64 v[216:217], -v[216:217], v[236:237], v[234:235]
	s_nop 1
	v_div_fmas_f64 v[216:217], v[216:217], v[232:233], v[236:237]
	v_div_fixup_f64 v[218:219], v[216:217], v[218:219], 1.0
	v_mul_f64 v[216:217], v[222:223], v[218:219]
	v_xor_b32_e32 v219, 0x80000000, v219
.LBB106_721:
	s_andn2_saveexec_b64 s[16:17], s[16:17]
	s_cbranch_execz .LBB106_723
; %bb.722:
	v_div_scale_f64 v[222:223], s[18:19], v[216:217], v[216:217], v[218:219]
	v_rcp_f64_e32 v[232:233], v[222:223]
	v_div_scale_f64 v[234:235], vcc, v[218:219], v[216:217], v[218:219]
	v_fma_f64 v[236:237], -v[222:223], v[232:233], 1.0
	v_fmac_f64_e32 v[232:233], v[232:233], v[236:237]
	v_fma_f64 v[236:237], -v[222:223], v[232:233], 1.0
	v_fmac_f64_e32 v[232:233], v[232:233], v[236:237]
	v_mul_f64 v[236:237], v[234:235], v[232:233]
	v_fma_f64 v[222:223], -v[222:223], v[236:237], v[234:235]
	v_div_fmas_f64 v[222:223], v[222:223], v[232:233], v[236:237]
	v_div_fixup_f64 v[222:223], v[222:223], v[216:217], v[218:219]
	v_fmac_f64_e32 v[216:217], v[218:219], v[222:223]
	v_div_scale_f64 v[218:219], s[18:19], v[216:217], v[216:217], 1.0
	v_rcp_f64_e32 v[232:233], v[218:219]
	s_nop 0
	v_fma_f64 v[234:235], -v[218:219], v[232:233], 1.0
	v_fmac_f64_e32 v[232:233], v[232:233], v[234:235]
	v_fma_f64 v[234:235], -v[218:219], v[232:233], 1.0
	v_fmac_f64_e32 v[232:233], v[232:233], v[234:235]
	v_div_scale_f64 v[234:235], vcc, 1.0, v[216:217], 1.0
	v_mul_f64 v[236:237], v[234:235], v[232:233]
	v_fma_f64 v[218:219], -v[218:219], v[236:237], v[234:235]
	s_nop 1
	v_div_fmas_f64 v[218:219], v[218:219], v[232:233], v[236:237]
	v_div_fixup_f64 v[216:217], v[218:219], v[216:217], 1.0
	v_mul_f64 v[218:219], v[222:223], -v[216:217]
.LBB106_723:
	s_or_b64 exec, exec, s[16:17]
.LBB106_724:
	s_or_b64 exec, exec, s[0:1]
	v_cmp_ne_u32_e32 vcc, v229, v226
	s_and_saveexec_b64 s[0:1], vcc
	s_xor_b64 s[0:1], exec, s[0:1]
	s_cbranch_execz .LBB106_730
; %bb.725:
	v_cmp_eq_u32_e32 vcc, 34, v229
	s_and_saveexec_b64 s[16:17], vcc
	s_cbranch_execz .LBB106_729
; %bb.726:
	v_cmp_ne_u32_e32 vcc, 34, v226
	s_xor_b64 s[18:19], s[14:15], -1
	s_and_b64 s[22:23], s[18:19], vcc
	s_and_saveexec_b64 s[18:19], s[22:23]
	s_cbranch_execz .LBB106_728
; %bb.727:
	v_ashrrev_i32_e32 v227, 31, v226
	s_waitcnt vmcnt(0)
	v_lshl_add_u64 v[222:223], v[226:227], 2, v[224:225]
	global_load_dword v227, v[222:223], off
	global_load_dword v229, v[224:225], off offset:136
	s_waitcnt vmcnt(1)
	global_store_dword v[224:225], v227, off offset:136
	s_waitcnt vmcnt(1)
	global_store_dword v[222:223], v229, off
.LBB106_728:
	s_or_b64 exec, exec, s[18:19]
	v_mov_b32_e32 v229, v226
	v_mov_b32_e32 v220, v226
.LBB106_729:
	s_or_b64 exec, exec, s[16:17]
.LBB106_730:
	s_andn2_saveexec_b64 s[0:1], s[0:1]
	s_cbranch_execz .LBB106_732
; %bb.731:
	v_mov_b32_e32 v229, 34
	s_waitcnt vmcnt(19)
	ds_write2_b64 v228, v[68:69], v[70:71] offset0:70 offset1:71
	s_waitcnt vmcnt(18)
	ds_write2_b64 v228, v[64:65], v[66:67] offset0:72 offset1:73
	s_waitcnt vmcnt(17)
	ds_write2_b64 v228, v[60:61], v[62:63] offset0:74 offset1:75
	s_waitcnt vmcnt(16)
	ds_write2_b64 v228, v[56:57], v[58:59] offset0:76 offset1:77
	s_waitcnt vmcnt(15)
	ds_write2_b64 v228, v[52:53], v[54:55] offset0:78 offset1:79
	s_waitcnt vmcnt(14)
	ds_write2_b64 v228, v[48:49], v[50:51] offset0:80 offset1:81
	s_waitcnt vmcnt(13)
	ds_write2_b64 v228, v[44:45], v[46:47] offset0:82 offset1:83
	s_waitcnt vmcnt(12)
	ds_write2_b64 v228, v[40:41], v[42:43] offset0:84 offset1:85
	s_waitcnt vmcnt(11)
	ds_write2_b64 v228, v[36:37], v[38:39] offset0:86 offset1:87
	s_waitcnt vmcnt(10)
	ds_write2_b64 v228, v[32:33], v[34:35] offset0:88 offset1:89
	s_waitcnt vmcnt(9)
	ds_write2_b64 v228, v[28:29], v[30:31] offset0:90 offset1:91
	s_waitcnt vmcnt(8)
	ds_write2_b64 v228, v[24:25], v[26:27] offset0:92 offset1:93
	s_waitcnt vmcnt(7)
	ds_write2_b64 v228, v[20:21], v[22:23] offset0:94 offset1:95
	s_waitcnt vmcnt(6)
	ds_write2_b64 v228, v[16:17], v[18:19] offset0:96 offset1:97
	s_waitcnt vmcnt(5)
	ds_write2_b64 v228, v[12:13], v[14:15] offset0:98 offset1:99
	s_waitcnt vmcnt(4)
	ds_write2_b64 v228, v[8:9], v[10:11] offset0:100 offset1:101
	s_waitcnt vmcnt(3)
	ds_write2_b64 v228, v[4:5], v[6:7] offset0:102 offset1:103
	s_waitcnt vmcnt(2)
	ds_write2_b64 v228, v[0:1], v[2:3] offset0:104 offset1:105
	s_waitcnt vmcnt(1)
	ds_write2_b64 v228, v[212:213], v[214:215] offset0:106 offset1:107
.LBB106_732:
	s_or_b64 exec, exec, s[0:1]
	v_cmp_lt_i32_e32 vcc, 34, v229
	s_waitcnt lgkmcnt(0)
	s_barrier
	s_and_saveexec_b64 s[0:1], vcc
	s_cbranch_execz .LBB106_734
; %bb.733:
	ds_read2_b64 v[232:235], v228 offset0:70 offset1:71
	v_mul_f64 v[222:223], v[218:219], v[74:75]
	v_mul_f64 v[74:75], v[216:217], v[74:75]
	v_fma_f64 v[226:227], v[216:217], v[72:73], -v[222:223]
	v_fmac_f64_e32 v[74:75], v[218:219], v[72:73]
	ds_read2_b64 v[216:219], v228 offset0:72 offset1:73
	s_waitcnt lgkmcnt(1)
	v_mul_f64 v[72:73], v[234:235], v[74:75]
	v_fma_f64 v[72:73], v[232:233], v[226:227], -v[72:73]
	v_mul_f64 v[222:223], v[232:233], v[74:75]
	s_waitcnt vmcnt(19)
	v_add_f64 v[68:69], v[68:69], -v[72:73]
	s_waitcnt lgkmcnt(0)
	v_mul_f64 v[72:73], v[218:219], v[74:75]
	v_fmac_f64_e32 v[222:223], v[234:235], v[226:227]
	v_fma_f64 v[72:73], v[216:217], v[226:227], -v[72:73]
	v_mul_f64 v[216:217], v[216:217], v[74:75]
	ds_read2_b64 v[232:235], v228 offset0:74 offset1:75
	v_fmac_f64_e32 v[216:217], v[218:219], v[226:227]
	s_waitcnt vmcnt(18)
	v_add_f64 v[66:67], v[66:67], -v[216:217]
	ds_read2_b64 v[216:219], v228 offset0:76 offset1:77
	v_add_f64 v[64:65], v[64:65], -v[72:73]
	s_waitcnt lgkmcnt(1)
	v_mul_f64 v[72:73], v[234:235], v[74:75]
	v_fma_f64 v[72:73], v[232:233], v[226:227], -v[72:73]
	v_add_f64 v[70:71], v[70:71], -v[222:223]
	v_mul_f64 v[222:223], v[232:233], v[74:75]
	s_waitcnt vmcnt(17)
	v_add_f64 v[60:61], v[60:61], -v[72:73]
	s_waitcnt lgkmcnt(0)
	v_mul_f64 v[72:73], v[218:219], v[74:75]
	v_fmac_f64_e32 v[222:223], v[234:235], v[226:227]
	v_fma_f64 v[72:73], v[216:217], v[226:227], -v[72:73]
	v_mul_f64 v[216:217], v[216:217], v[74:75]
	ds_read2_b64 v[232:235], v228 offset0:78 offset1:79
	v_fmac_f64_e32 v[216:217], v[218:219], v[226:227]
	s_waitcnt vmcnt(16)
	v_add_f64 v[58:59], v[58:59], -v[216:217]
	ds_read2_b64 v[216:219], v228 offset0:80 offset1:81
	v_add_f64 v[56:57], v[56:57], -v[72:73]
	s_waitcnt lgkmcnt(1)
	v_mul_f64 v[72:73], v[234:235], v[74:75]
	v_fma_f64 v[72:73], v[232:233], v[226:227], -v[72:73]
	v_add_f64 v[62:63], v[62:63], -v[222:223]
	;; [unrolled: 18-line block ×6, first 2 shown]
	v_mul_f64 v[222:223], v[232:233], v[74:75]
	s_waitcnt vmcnt(7)
	v_add_f64 v[20:21], v[20:21], -v[72:73]
	s_waitcnt lgkmcnt(0)
	v_mul_f64 v[72:73], v[218:219], v[74:75]
	v_fmac_f64_e32 v[222:223], v[234:235], v[226:227]
	v_fma_f64 v[72:73], v[216:217], v[226:227], -v[72:73]
	v_mul_f64 v[216:217], v[216:217], v[74:75]
	ds_read2_b64 v[232:235], v228 offset0:98 offset1:99
	v_fmac_f64_e32 v[216:217], v[218:219], v[226:227]
	s_waitcnt vmcnt(6)
	v_add_f64 v[18:19], v[18:19], -v[216:217]
	ds_read2_b64 v[216:219], v228 offset0:100 offset1:101
	v_add_f64 v[16:17], v[16:17], -v[72:73]
	s_waitcnt lgkmcnt(1)
	v_mul_f64 v[72:73], v[234:235], v[74:75]
	v_add_f64 v[22:23], v[22:23], -v[222:223]
	v_fma_f64 v[72:73], v[232:233], v[226:227], -v[72:73]
	v_mul_f64 v[222:223], v[232:233], v[74:75]
	v_fmac_f64_e32 v[222:223], v[234:235], v[226:227]
	s_waitcnt vmcnt(5)
	v_add_f64 v[12:13], v[12:13], -v[72:73]
	s_waitcnt lgkmcnt(0)
	v_mul_f64 v[72:73], v[218:219], v[74:75]
	ds_read2_b64 v[232:235], v228 offset0:102 offset1:103
	v_fma_f64 v[72:73], v[216:217], v[226:227], -v[72:73]
	v_mul_f64 v[216:217], v[216:217], v[74:75]
	v_fmac_f64_e32 v[216:217], v[218:219], v[226:227]
	s_waitcnt vmcnt(4)
	v_add_f64 v[10:11], v[10:11], -v[216:217]
	ds_read2_b64 v[216:219], v228 offset0:104 offset1:105
	v_add_f64 v[14:15], v[14:15], -v[222:223]
	v_add_f64 v[8:9], v[8:9], -v[72:73]
	s_waitcnt lgkmcnt(1)
	v_mul_f64 v[72:73], v[234:235], v[74:75]
	v_mul_f64 v[222:223], v[232:233], v[74:75]
	v_fma_f64 v[72:73], v[232:233], v[226:227], -v[72:73]
	v_fmac_f64_e32 v[222:223], v[234:235], v[226:227]
	ds_read2_b64 v[232:235], v228 offset0:106 offset1:107
	s_waitcnt vmcnt(3)
	v_add_f64 v[4:5], v[4:5], -v[72:73]
	s_waitcnt lgkmcnt(1)
	v_mul_f64 v[72:73], v[218:219], v[74:75]
	v_fma_f64 v[72:73], v[216:217], v[226:227], -v[72:73]
	v_mul_f64 v[216:217], v[216:217], v[74:75]
	v_fmac_f64_e32 v[216:217], v[218:219], v[226:227]
	s_waitcnt vmcnt(2)
	v_add_f64 v[0:1], v[0:1], -v[72:73]
	v_add_f64 v[2:3], v[2:3], -v[216:217]
	s_waitcnt lgkmcnt(0)
	v_mul_f64 v[72:73], v[234:235], v[74:75]
	v_mul_f64 v[216:217], v[232:233], v[74:75]
	v_fma_f64 v[72:73], v[232:233], v[226:227], -v[72:73]
	v_fmac_f64_e32 v[216:217], v[234:235], v[226:227]
	v_add_f64 v[6:7], v[6:7], -v[222:223]
	s_waitcnt vmcnt(1)
	v_add_f64 v[212:213], v[212:213], -v[72:73]
	v_add_f64 v[214:215], v[214:215], -v[216:217]
	v_mov_b64_e32 v[72:73], v[226:227]
.LBB106_734:
	s_or_b64 exec, exec, s[0:1]
	v_lshl_add_u32 v216, v229, 4, v228
	s_barrier
	s_waitcnt vmcnt(19)
	ds_write2_b64 v216, v[68:69], v[70:71] offset1:1
	s_waitcnt lgkmcnt(0)
	s_barrier
	ds_read2_b64 v[216:219], v228 offset0:70 offset1:71
	s_cmp_lt_i32 s20, 37
	v_mov_b32_e32 v226, 35
	s_cbranch_scc1 .LBB106_737
; %bb.735:
	v_add_u32_e32 v227, 0x240, v228
	s_mov_b32 s16, 36
	v_mov_b32_e32 v226, 35
.LBB106_736:                            ; =>This Inner Loop Header: Depth=1
	ds_read2_b64 v[232:235], v227 offset1:1
	s_waitcnt lgkmcnt(1)
	v_xor_b32_e32 v223, 0x80000000, v217
	v_xor_b32_e32 v231, 0x80000000, v219
	v_cmp_gt_f64_e32 vcc, 0, v[218:219]
	v_cmp_gt_f64_e64 s[0:1], 0, v[216:217]
	v_mov_b32_e32 v222, v216
	v_mov_b32_e32 v236, v218
	v_cndmask_b32_e64 v223, v217, v223, s[0:1]
	v_cndmask_b32_e32 v237, v219, v231, vcc
	s_waitcnt lgkmcnt(0)
	v_xor_b32_e32 v231, 0x80000000, v233
	v_xor_b32_e32 v239, 0x80000000, v235
	v_cmp_gt_f64_e32 vcc, 0, v[234:235]
	v_cmp_gt_f64_e64 s[0:1], 0, v[232:233]
	v_add_f64 v[222:223], v[222:223], v[236:237]
	v_mov_b32_e32 v236, v232
	v_mov_b32_e32 v238, v234
	v_cndmask_b32_e64 v237, v233, v231, s[0:1]
	v_cndmask_b32_e32 v239, v235, v239, vcc
	v_add_f64 v[236:237], v[236:237], v[238:239]
	v_mov_b32_e32 v240, s16
	s_add_i32 s16, s16, 1
	v_cmp_lt_f64_e32 vcc, v[222:223], v[236:237]
	v_add_u32_e32 v227, 16, v227
	s_cmp_lg_u32 s20, s16
	v_cndmask_b32_e32 v217, v217, v233, vcc
	v_cndmask_b32_e32 v216, v216, v232, vcc
	v_cndmask_b32_e32 v219, v219, v235, vcc
	v_cndmask_b32_e32 v218, v218, v234, vcc
	v_cndmask_b32_e32 v226, v226, v240, vcc
	s_cbranch_scc1 .LBB106_736
.LBB106_737:
	s_waitcnt lgkmcnt(0)
	v_cmp_eq_f64_e32 vcc, 0, v[216:217]
	v_cmp_eq_f64_e64 s[0:1], 0, v[218:219]
	s_and_b64 s[0:1], vcc, s[0:1]
	s_and_saveexec_b64 s[16:17], s[0:1]
	s_xor_b64 s[0:1], exec, s[16:17]
; %bb.738:
	v_cmp_ne_u32_e32 vcc, 0, v230
	s_nop 1
	v_cndmask_b32_e32 v230, 36, v230, vcc
; %bb.739:
	s_andn2_saveexec_b64 s[0:1], s[0:1]
	s_cbranch_execz .LBB106_745
; %bb.740:
	v_cmp_ngt_f64_e64 s[16:17], |v[216:217]|, |v[218:219]|
	s_and_saveexec_b64 s[18:19], s[16:17]
	s_xor_b64 s[16:17], exec, s[18:19]
	s_cbranch_execz .LBB106_742
; %bb.741:
	v_div_scale_f64 v[222:223], s[18:19], v[218:219], v[218:219], v[216:217]
	v_rcp_f64_e32 v[232:233], v[222:223]
	v_div_scale_f64 v[234:235], vcc, v[216:217], v[218:219], v[216:217]
	v_fma_f64 v[236:237], -v[222:223], v[232:233], 1.0
	v_fmac_f64_e32 v[232:233], v[232:233], v[236:237]
	v_fma_f64 v[236:237], -v[222:223], v[232:233], 1.0
	v_fmac_f64_e32 v[232:233], v[232:233], v[236:237]
	v_mul_f64 v[236:237], v[234:235], v[232:233]
	v_fma_f64 v[222:223], -v[222:223], v[236:237], v[234:235]
	v_div_fmas_f64 v[222:223], v[222:223], v[232:233], v[236:237]
	v_div_fixup_f64 v[222:223], v[222:223], v[218:219], v[216:217]
	v_fmac_f64_e32 v[218:219], v[216:217], v[222:223]
	v_div_scale_f64 v[216:217], s[18:19], v[218:219], v[218:219], 1.0
	v_rcp_f64_e32 v[232:233], v[216:217]
	s_nop 0
	v_fma_f64 v[234:235], -v[216:217], v[232:233], 1.0
	v_fmac_f64_e32 v[232:233], v[232:233], v[234:235]
	v_fma_f64 v[234:235], -v[216:217], v[232:233], 1.0
	v_fmac_f64_e32 v[232:233], v[232:233], v[234:235]
	v_div_scale_f64 v[234:235], vcc, 1.0, v[218:219], 1.0
	v_mul_f64 v[236:237], v[234:235], v[232:233]
	v_fma_f64 v[216:217], -v[216:217], v[236:237], v[234:235]
	s_nop 1
	v_div_fmas_f64 v[216:217], v[216:217], v[232:233], v[236:237]
	v_div_fixup_f64 v[218:219], v[216:217], v[218:219], 1.0
	v_mul_f64 v[216:217], v[222:223], v[218:219]
	v_xor_b32_e32 v219, 0x80000000, v219
.LBB106_742:
	s_andn2_saveexec_b64 s[16:17], s[16:17]
	s_cbranch_execz .LBB106_744
; %bb.743:
	v_div_scale_f64 v[222:223], s[18:19], v[216:217], v[216:217], v[218:219]
	v_rcp_f64_e32 v[232:233], v[222:223]
	v_div_scale_f64 v[234:235], vcc, v[218:219], v[216:217], v[218:219]
	v_fma_f64 v[236:237], -v[222:223], v[232:233], 1.0
	v_fmac_f64_e32 v[232:233], v[232:233], v[236:237]
	v_fma_f64 v[236:237], -v[222:223], v[232:233], 1.0
	v_fmac_f64_e32 v[232:233], v[232:233], v[236:237]
	v_mul_f64 v[236:237], v[234:235], v[232:233]
	v_fma_f64 v[222:223], -v[222:223], v[236:237], v[234:235]
	v_div_fmas_f64 v[222:223], v[222:223], v[232:233], v[236:237]
	v_div_fixup_f64 v[222:223], v[222:223], v[216:217], v[218:219]
	v_fmac_f64_e32 v[216:217], v[218:219], v[222:223]
	v_div_scale_f64 v[218:219], s[18:19], v[216:217], v[216:217], 1.0
	v_rcp_f64_e32 v[232:233], v[218:219]
	s_nop 0
	v_fma_f64 v[234:235], -v[218:219], v[232:233], 1.0
	v_fmac_f64_e32 v[232:233], v[232:233], v[234:235]
	v_fma_f64 v[234:235], -v[218:219], v[232:233], 1.0
	v_fmac_f64_e32 v[232:233], v[232:233], v[234:235]
	v_div_scale_f64 v[234:235], vcc, 1.0, v[216:217], 1.0
	v_mul_f64 v[236:237], v[234:235], v[232:233]
	v_fma_f64 v[218:219], -v[218:219], v[236:237], v[234:235]
	s_nop 1
	v_div_fmas_f64 v[218:219], v[218:219], v[232:233], v[236:237]
	v_div_fixup_f64 v[216:217], v[218:219], v[216:217], 1.0
	v_mul_f64 v[218:219], v[222:223], -v[216:217]
.LBB106_744:
	s_or_b64 exec, exec, s[16:17]
.LBB106_745:
	s_or_b64 exec, exec, s[0:1]
	v_cmp_ne_u32_e32 vcc, v229, v226
	s_and_saveexec_b64 s[0:1], vcc
	s_xor_b64 s[0:1], exec, s[0:1]
	s_cbranch_execz .LBB106_751
; %bb.746:
	v_cmp_eq_u32_e32 vcc, 35, v229
	s_and_saveexec_b64 s[16:17], vcc
	s_cbranch_execz .LBB106_750
; %bb.747:
	v_cmp_ne_u32_e32 vcc, 35, v226
	s_xor_b64 s[18:19], s[14:15], -1
	s_and_b64 s[22:23], s[18:19], vcc
	s_and_saveexec_b64 s[18:19], s[22:23]
	s_cbranch_execz .LBB106_749
; %bb.748:
	v_ashrrev_i32_e32 v227, 31, v226
	s_waitcnt vmcnt(0)
	v_lshl_add_u64 v[222:223], v[226:227], 2, v[224:225]
	global_load_dword v227, v[222:223], off
	global_load_dword v229, v[224:225], off offset:140
	s_waitcnt vmcnt(1)
	global_store_dword v[224:225], v227, off offset:140
	s_waitcnt vmcnt(1)
	global_store_dword v[222:223], v229, off
.LBB106_749:
	s_or_b64 exec, exec, s[18:19]
	v_mov_b32_e32 v229, v226
	v_mov_b32_e32 v220, v226
.LBB106_750:
	s_or_b64 exec, exec, s[16:17]
.LBB106_751:
	s_andn2_saveexec_b64 s[0:1], s[0:1]
	s_cbranch_execz .LBB106_753
; %bb.752:
	v_mov_b32_e32 v229, 35
	s_waitcnt vmcnt(18)
	ds_write2_b64 v228, v[64:65], v[66:67] offset0:72 offset1:73
	s_waitcnt vmcnt(17)
	ds_write2_b64 v228, v[60:61], v[62:63] offset0:74 offset1:75
	;; [unrolled: 2-line block ×18, first 2 shown]
.LBB106_753:
	s_or_b64 exec, exec, s[0:1]
	v_cmp_lt_i32_e32 vcc, 35, v229
	s_waitcnt lgkmcnt(0)
	s_barrier
	s_and_saveexec_b64 s[0:1], vcc
	s_cbranch_execz .LBB106_755
; %bb.754:
	ds_read2_b64 v[232:235], v228 offset0:72 offset1:73
	v_mul_f64 v[222:223], v[218:219], v[70:71]
	v_mul_f64 v[70:71], v[216:217], v[70:71]
	v_fma_f64 v[226:227], v[216:217], v[68:69], -v[222:223]
	v_fmac_f64_e32 v[70:71], v[218:219], v[68:69]
	ds_read2_b64 v[216:219], v228 offset0:74 offset1:75
	s_waitcnt lgkmcnt(1)
	v_mul_f64 v[68:69], v[234:235], v[70:71]
	v_fma_f64 v[68:69], v[232:233], v[226:227], -v[68:69]
	v_mul_f64 v[222:223], v[232:233], v[70:71]
	s_waitcnt vmcnt(18)
	v_add_f64 v[64:65], v[64:65], -v[68:69]
	s_waitcnt lgkmcnt(0)
	v_mul_f64 v[68:69], v[218:219], v[70:71]
	v_fmac_f64_e32 v[222:223], v[234:235], v[226:227]
	v_fma_f64 v[68:69], v[216:217], v[226:227], -v[68:69]
	v_mul_f64 v[216:217], v[216:217], v[70:71]
	ds_read2_b64 v[232:235], v228 offset0:76 offset1:77
	v_fmac_f64_e32 v[216:217], v[218:219], v[226:227]
	s_waitcnt vmcnt(17)
	v_add_f64 v[62:63], v[62:63], -v[216:217]
	ds_read2_b64 v[216:219], v228 offset0:78 offset1:79
	v_add_f64 v[60:61], v[60:61], -v[68:69]
	s_waitcnt lgkmcnt(1)
	v_mul_f64 v[68:69], v[234:235], v[70:71]
	v_fma_f64 v[68:69], v[232:233], v[226:227], -v[68:69]
	v_add_f64 v[66:67], v[66:67], -v[222:223]
	v_mul_f64 v[222:223], v[232:233], v[70:71]
	s_waitcnt vmcnt(16)
	v_add_f64 v[56:57], v[56:57], -v[68:69]
	s_waitcnt lgkmcnt(0)
	v_mul_f64 v[68:69], v[218:219], v[70:71]
	v_fmac_f64_e32 v[222:223], v[234:235], v[226:227]
	v_fma_f64 v[68:69], v[216:217], v[226:227], -v[68:69]
	v_mul_f64 v[216:217], v[216:217], v[70:71]
	ds_read2_b64 v[232:235], v228 offset0:80 offset1:81
	v_fmac_f64_e32 v[216:217], v[218:219], v[226:227]
	s_waitcnt vmcnt(15)
	v_add_f64 v[54:55], v[54:55], -v[216:217]
	ds_read2_b64 v[216:219], v228 offset0:82 offset1:83
	v_add_f64 v[52:53], v[52:53], -v[68:69]
	s_waitcnt lgkmcnt(1)
	v_mul_f64 v[68:69], v[234:235], v[70:71]
	v_fma_f64 v[68:69], v[232:233], v[226:227], -v[68:69]
	v_add_f64 v[58:59], v[58:59], -v[222:223]
	v_mul_f64 v[222:223], v[232:233], v[70:71]
	s_waitcnt vmcnt(14)
	v_add_f64 v[48:49], v[48:49], -v[68:69]
	s_waitcnt lgkmcnt(0)
	v_mul_f64 v[68:69], v[218:219], v[70:71]
	v_fmac_f64_e32 v[222:223], v[234:235], v[226:227]
	v_fma_f64 v[68:69], v[216:217], v[226:227], -v[68:69]
	v_mul_f64 v[216:217], v[216:217], v[70:71]
	ds_read2_b64 v[232:235], v228 offset0:84 offset1:85
	v_fmac_f64_e32 v[216:217], v[218:219], v[226:227]
	s_waitcnt vmcnt(13)
	v_add_f64 v[46:47], v[46:47], -v[216:217]
	ds_read2_b64 v[216:219], v228 offset0:86 offset1:87
	v_add_f64 v[44:45], v[44:45], -v[68:69]
	s_waitcnt lgkmcnt(1)
	v_mul_f64 v[68:69], v[234:235], v[70:71]
	v_fma_f64 v[68:69], v[232:233], v[226:227], -v[68:69]
	v_add_f64 v[50:51], v[50:51], -v[222:223]
	v_mul_f64 v[222:223], v[232:233], v[70:71]
	s_waitcnt vmcnt(12)
	v_add_f64 v[40:41], v[40:41], -v[68:69]
	s_waitcnt lgkmcnt(0)
	v_mul_f64 v[68:69], v[218:219], v[70:71]
	v_fmac_f64_e32 v[222:223], v[234:235], v[226:227]
	v_fma_f64 v[68:69], v[216:217], v[226:227], -v[68:69]
	v_mul_f64 v[216:217], v[216:217], v[70:71]
	ds_read2_b64 v[232:235], v228 offset0:88 offset1:89
	v_fmac_f64_e32 v[216:217], v[218:219], v[226:227]
	s_waitcnt vmcnt(11)
	v_add_f64 v[38:39], v[38:39], -v[216:217]
	ds_read2_b64 v[216:219], v228 offset0:90 offset1:91
	v_add_f64 v[36:37], v[36:37], -v[68:69]
	s_waitcnt lgkmcnt(1)
	v_mul_f64 v[68:69], v[234:235], v[70:71]
	v_fma_f64 v[68:69], v[232:233], v[226:227], -v[68:69]
	v_add_f64 v[42:43], v[42:43], -v[222:223]
	v_mul_f64 v[222:223], v[232:233], v[70:71]
	s_waitcnt vmcnt(10)
	v_add_f64 v[32:33], v[32:33], -v[68:69]
	s_waitcnt lgkmcnt(0)
	v_mul_f64 v[68:69], v[218:219], v[70:71]
	v_fmac_f64_e32 v[222:223], v[234:235], v[226:227]
	v_fma_f64 v[68:69], v[216:217], v[226:227], -v[68:69]
	v_mul_f64 v[216:217], v[216:217], v[70:71]
	ds_read2_b64 v[232:235], v228 offset0:92 offset1:93
	v_fmac_f64_e32 v[216:217], v[218:219], v[226:227]
	s_waitcnt vmcnt(9)
	v_add_f64 v[30:31], v[30:31], -v[216:217]
	ds_read2_b64 v[216:219], v228 offset0:94 offset1:95
	v_add_f64 v[28:29], v[28:29], -v[68:69]
	s_waitcnt lgkmcnt(1)
	v_mul_f64 v[68:69], v[234:235], v[70:71]
	v_fma_f64 v[68:69], v[232:233], v[226:227], -v[68:69]
	v_add_f64 v[34:35], v[34:35], -v[222:223]
	v_mul_f64 v[222:223], v[232:233], v[70:71]
	s_waitcnt vmcnt(8)
	v_add_f64 v[24:25], v[24:25], -v[68:69]
	s_waitcnt lgkmcnt(0)
	v_mul_f64 v[68:69], v[218:219], v[70:71]
	v_fmac_f64_e32 v[222:223], v[234:235], v[226:227]
	v_fma_f64 v[68:69], v[216:217], v[226:227], -v[68:69]
	v_mul_f64 v[216:217], v[216:217], v[70:71]
	ds_read2_b64 v[232:235], v228 offset0:96 offset1:97
	v_fmac_f64_e32 v[216:217], v[218:219], v[226:227]
	s_waitcnt vmcnt(7)
	v_add_f64 v[22:23], v[22:23], -v[216:217]
	ds_read2_b64 v[216:219], v228 offset0:98 offset1:99
	v_add_f64 v[20:21], v[20:21], -v[68:69]
	s_waitcnt lgkmcnt(1)
	v_mul_f64 v[68:69], v[234:235], v[70:71]
	v_fma_f64 v[68:69], v[232:233], v[226:227], -v[68:69]
	v_add_f64 v[26:27], v[26:27], -v[222:223]
	v_mul_f64 v[222:223], v[232:233], v[70:71]
	s_waitcnt vmcnt(6)
	v_add_f64 v[16:17], v[16:17], -v[68:69]
	s_waitcnt lgkmcnt(0)
	v_mul_f64 v[68:69], v[218:219], v[70:71]
	v_fmac_f64_e32 v[222:223], v[234:235], v[226:227]
	v_fma_f64 v[68:69], v[216:217], v[226:227], -v[68:69]
	v_mul_f64 v[216:217], v[216:217], v[70:71]
	ds_read2_b64 v[232:235], v228 offset0:100 offset1:101
	v_fmac_f64_e32 v[216:217], v[218:219], v[226:227]
	s_waitcnt vmcnt(5)
	v_add_f64 v[14:15], v[14:15], -v[216:217]
	ds_read2_b64 v[216:219], v228 offset0:102 offset1:103
	v_add_f64 v[12:13], v[12:13], -v[68:69]
	s_waitcnt lgkmcnt(1)
	v_mul_f64 v[68:69], v[234:235], v[70:71]
	v_fma_f64 v[68:69], v[232:233], v[226:227], -v[68:69]
	v_add_f64 v[18:19], v[18:19], -v[222:223]
	v_mul_f64 v[222:223], v[232:233], v[70:71]
	s_waitcnt vmcnt(4)
	v_add_f64 v[8:9], v[8:9], -v[68:69]
	s_waitcnt lgkmcnt(0)
	v_mul_f64 v[68:69], v[218:219], v[70:71]
	v_fmac_f64_e32 v[222:223], v[234:235], v[226:227]
	v_fma_f64 v[68:69], v[216:217], v[226:227], -v[68:69]
	v_mul_f64 v[216:217], v[216:217], v[70:71]
	ds_read2_b64 v[232:235], v228 offset0:104 offset1:105
	v_fmac_f64_e32 v[216:217], v[218:219], v[226:227]
	s_waitcnt vmcnt(3)
	v_add_f64 v[6:7], v[6:7], -v[216:217]
	ds_read2_b64 v[216:219], v228 offset0:106 offset1:107
	v_add_f64 v[4:5], v[4:5], -v[68:69]
	s_waitcnt lgkmcnt(1)
	v_mul_f64 v[68:69], v[234:235], v[70:71]
	v_fma_f64 v[68:69], v[232:233], v[226:227], -v[68:69]
	s_waitcnt vmcnt(2)
	v_add_f64 v[0:1], v[0:1], -v[68:69]
	s_waitcnt lgkmcnt(0)
	v_mul_f64 v[68:69], v[218:219], v[70:71]
	v_add_f64 v[10:11], v[10:11], -v[222:223]
	v_mul_f64 v[222:223], v[232:233], v[70:71]
	v_fma_f64 v[68:69], v[216:217], v[226:227], -v[68:69]
	v_mul_f64 v[216:217], v[216:217], v[70:71]
	v_fmac_f64_e32 v[222:223], v[234:235], v[226:227]
	v_fmac_f64_e32 v[216:217], v[218:219], v[226:227]
	v_add_f64 v[2:3], v[2:3], -v[222:223]
	s_waitcnt vmcnt(1)
	v_add_f64 v[212:213], v[212:213], -v[68:69]
	v_add_f64 v[214:215], v[214:215], -v[216:217]
	v_mov_b64_e32 v[68:69], v[226:227]
.LBB106_755:
	s_or_b64 exec, exec, s[0:1]
	v_lshl_add_u32 v216, v229, 4, v228
	s_barrier
	s_waitcnt vmcnt(18)
	ds_write2_b64 v216, v[64:65], v[66:67] offset1:1
	s_waitcnt lgkmcnt(0)
	s_barrier
	ds_read2_b64 v[216:219], v228 offset0:72 offset1:73
	s_cmp_lt_i32 s20, 38
	v_mov_b32_e32 v226, 36
	s_cbranch_scc1 .LBB106_758
; %bb.756:
	v_add_u32_e32 v227, 0x250, v228
	s_mov_b32 s16, 37
	v_mov_b32_e32 v226, 36
.LBB106_757:                            ; =>This Inner Loop Header: Depth=1
	ds_read2_b64 v[232:235], v227 offset1:1
	s_waitcnt lgkmcnt(1)
	v_xor_b32_e32 v223, 0x80000000, v217
	v_xor_b32_e32 v231, 0x80000000, v219
	v_cmp_gt_f64_e32 vcc, 0, v[218:219]
	v_cmp_gt_f64_e64 s[0:1], 0, v[216:217]
	v_mov_b32_e32 v222, v216
	v_mov_b32_e32 v236, v218
	v_cndmask_b32_e64 v223, v217, v223, s[0:1]
	v_cndmask_b32_e32 v237, v219, v231, vcc
	s_waitcnt lgkmcnt(0)
	v_xor_b32_e32 v231, 0x80000000, v233
	v_xor_b32_e32 v239, 0x80000000, v235
	v_cmp_gt_f64_e32 vcc, 0, v[234:235]
	v_cmp_gt_f64_e64 s[0:1], 0, v[232:233]
	v_add_f64 v[222:223], v[222:223], v[236:237]
	v_mov_b32_e32 v236, v232
	v_mov_b32_e32 v238, v234
	v_cndmask_b32_e64 v237, v233, v231, s[0:1]
	v_cndmask_b32_e32 v239, v235, v239, vcc
	v_add_f64 v[236:237], v[236:237], v[238:239]
	v_mov_b32_e32 v240, s16
	s_add_i32 s16, s16, 1
	v_cmp_lt_f64_e32 vcc, v[222:223], v[236:237]
	v_add_u32_e32 v227, 16, v227
	s_cmp_lg_u32 s20, s16
	v_cndmask_b32_e32 v217, v217, v233, vcc
	v_cndmask_b32_e32 v216, v216, v232, vcc
	;; [unrolled: 1-line block ×5, first 2 shown]
	s_cbranch_scc1 .LBB106_757
.LBB106_758:
	s_waitcnt lgkmcnt(0)
	v_cmp_eq_f64_e32 vcc, 0, v[216:217]
	v_cmp_eq_f64_e64 s[0:1], 0, v[218:219]
	s_and_b64 s[0:1], vcc, s[0:1]
	s_and_saveexec_b64 s[16:17], s[0:1]
	s_xor_b64 s[0:1], exec, s[16:17]
; %bb.759:
	v_cmp_ne_u32_e32 vcc, 0, v230
	s_nop 1
	v_cndmask_b32_e32 v230, 37, v230, vcc
; %bb.760:
	s_andn2_saveexec_b64 s[0:1], s[0:1]
	s_cbranch_execz .LBB106_766
; %bb.761:
	v_cmp_ngt_f64_e64 s[16:17], |v[216:217]|, |v[218:219]|
	s_and_saveexec_b64 s[18:19], s[16:17]
	s_xor_b64 s[16:17], exec, s[18:19]
	s_cbranch_execz .LBB106_763
; %bb.762:
	v_div_scale_f64 v[222:223], s[18:19], v[218:219], v[218:219], v[216:217]
	v_rcp_f64_e32 v[232:233], v[222:223]
	v_div_scale_f64 v[234:235], vcc, v[216:217], v[218:219], v[216:217]
	v_fma_f64 v[236:237], -v[222:223], v[232:233], 1.0
	v_fmac_f64_e32 v[232:233], v[232:233], v[236:237]
	v_fma_f64 v[236:237], -v[222:223], v[232:233], 1.0
	v_fmac_f64_e32 v[232:233], v[232:233], v[236:237]
	v_mul_f64 v[236:237], v[234:235], v[232:233]
	v_fma_f64 v[222:223], -v[222:223], v[236:237], v[234:235]
	v_div_fmas_f64 v[222:223], v[222:223], v[232:233], v[236:237]
	v_div_fixup_f64 v[222:223], v[222:223], v[218:219], v[216:217]
	v_fmac_f64_e32 v[218:219], v[216:217], v[222:223]
	v_div_scale_f64 v[216:217], s[18:19], v[218:219], v[218:219], 1.0
	v_rcp_f64_e32 v[232:233], v[216:217]
	s_nop 0
	v_fma_f64 v[234:235], -v[216:217], v[232:233], 1.0
	v_fmac_f64_e32 v[232:233], v[232:233], v[234:235]
	v_fma_f64 v[234:235], -v[216:217], v[232:233], 1.0
	v_fmac_f64_e32 v[232:233], v[232:233], v[234:235]
	v_div_scale_f64 v[234:235], vcc, 1.0, v[218:219], 1.0
	v_mul_f64 v[236:237], v[234:235], v[232:233]
	v_fma_f64 v[216:217], -v[216:217], v[236:237], v[234:235]
	s_nop 1
	v_div_fmas_f64 v[216:217], v[216:217], v[232:233], v[236:237]
	v_div_fixup_f64 v[218:219], v[216:217], v[218:219], 1.0
	v_mul_f64 v[216:217], v[222:223], v[218:219]
	v_xor_b32_e32 v219, 0x80000000, v219
.LBB106_763:
	s_andn2_saveexec_b64 s[16:17], s[16:17]
	s_cbranch_execz .LBB106_765
; %bb.764:
	v_div_scale_f64 v[222:223], s[18:19], v[216:217], v[216:217], v[218:219]
	v_rcp_f64_e32 v[232:233], v[222:223]
	v_div_scale_f64 v[234:235], vcc, v[218:219], v[216:217], v[218:219]
	v_fma_f64 v[236:237], -v[222:223], v[232:233], 1.0
	v_fmac_f64_e32 v[232:233], v[232:233], v[236:237]
	v_fma_f64 v[236:237], -v[222:223], v[232:233], 1.0
	v_fmac_f64_e32 v[232:233], v[232:233], v[236:237]
	v_mul_f64 v[236:237], v[234:235], v[232:233]
	v_fma_f64 v[222:223], -v[222:223], v[236:237], v[234:235]
	v_div_fmas_f64 v[222:223], v[222:223], v[232:233], v[236:237]
	v_div_fixup_f64 v[222:223], v[222:223], v[216:217], v[218:219]
	v_fmac_f64_e32 v[216:217], v[218:219], v[222:223]
	v_div_scale_f64 v[218:219], s[18:19], v[216:217], v[216:217], 1.0
	v_rcp_f64_e32 v[232:233], v[218:219]
	s_nop 0
	v_fma_f64 v[234:235], -v[218:219], v[232:233], 1.0
	v_fmac_f64_e32 v[232:233], v[232:233], v[234:235]
	v_fma_f64 v[234:235], -v[218:219], v[232:233], 1.0
	v_fmac_f64_e32 v[232:233], v[232:233], v[234:235]
	v_div_scale_f64 v[234:235], vcc, 1.0, v[216:217], 1.0
	v_mul_f64 v[236:237], v[234:235], v[232:233]
	v_fma_f64 v[218:219], -v[218:219], v[236:237], v[234:235]
	s_nop 1
	v_div_fmas_f64 v[218:219], v[218:219], v[232:233], v[236:237]
	v_div_fixup_f64 v[216:217], v[218:219], v[216:217], 1.0
	v_mul_f64 v[218:219], v[222:223], -v[216:217]
.LBB106_765:
	s_or_b64 exec, exec, s[16:17]
.LBB106_766:
	s_or_b64 exec, exec, s[0:1]
	v_cmp_ne_u32_e32 vcc, v229, v226
	s_and_saveexec_b64 s[0:1], vcc
	s_xor_b64 s[0:1], exec, s[0:1]
	s_cbranch_execz .LBB106_772
; %bb.767:
	v_cmp_eq_u32_e32 vcc, 36, v229
	s_and_saveexec_b64 s[16:17], vcc
	s_cbranch_execz .LBB106_771
; %bb.768:
	v_cmp_ne_u32_e32 vcc, 36, v226
	s_xor_b64 s[18:19], s[14:15], -1
	s_and_b64 s[22:23], s[18:19], vcc
	s_and_saveexec_b64 s[18:19], s[22:23]
	s_cbranch_execz .LBB106_770
; %bb.769:
	v_ashrrev_i32_e32 v227, 31, v226
	s_waitcnt vmcnt(0)
	v_lshl_add_u64 v[222:223], v[226:227], 2, v[224:225]
	global_load_dword v227, v[222:223], off
	global_load_dword v229, v[224:225], off offset:144
	s_waitcnt vmcnt(1)
	global_store_dword v[224:225], v227, off offset:144
	s_waitcnt vmcnt(1)
	global_store_dword v[222:223], v229, off
.LBB106_770:
	s_or_b64 exec, exec, s[18:19]
	v_mov_b32_e32 v229, v226
	v_mov_b32_e32 v220, v226
.LBB106_771:
	s_or_b64 exec, exec, s[16:17]
.LBB106_772:
	s_andn2_saveexec_b64 s[0:1], s[0:1]
	s_cbranch_execz .LBB106_774
; %bb.773:
	v_mov_b32_e32 v229, 36
	s_waitcnt vmcnt(17)
	ds_write2_b64 v228, v[60:61], v[62:63] offset0:74 offset1:75
	s_waitcnt vmcnt(16)
	ds_write2_b64 v228, v[56:57], v[58:59] offset0:76 offset1:77
	;; [unrolled: 2-line block ×17, first 2 shown]
.LBB106_774:
	s_or_b64 exec, exec, s[0:1]
	v_cmp_lt_i32_e32 vcc, 36, v229
	s_waitcnt lgkmcnt(0)
	s_barrier
	s_and_saveexec_b64 s[0:1], vcc
	s_cbranch_execz .LBB106_776
; %bb.775:
	ds_read2_b64 v[232:235], v228 offset0:74 offset1:75
	v_mul_f64 v[222:223], v[218:219], v[66:67]
	v_mul_f64 v[66:67], v[216:217], v[66:67]
	v_fma_f64 v[226:227], v[216:217], v[64:65], -v[222:223]
	v_fmac_f64_e32 v[66:67], v[218:219], v[64:65]
	ds_read2_b64 v[216:219], v228 offset0:76 offset1:77
	s_waitcnt lgkmcnt(1)
	v_mul_f64 v[64:65], v[234:235], v[66:67]
	v_fma_f64 v[64:65], v[232:233], v[226:227], -v[64:65]
	v_mul_f64 v[222:223], v[232:233], v[66:67]
	s_waitcnt vmcnt(17)
	v_add_f64 v[60:61], v[60:61], -v[64:65]
	s_waitcnt lgkmcnt(0)
	v_mul_f64 v[64:65], v[218:219], v[66:67]
	v_fmac_f64_e32 v[222:223], v[234:235], v[226:227]
	v_fma_f64 v[64:65], v[216:217], v[226:227], -v[64:65]
	v_mul_f64 v[216:217], v[216:217], v[66:67]
	ds_read2_b64 v[232:235], v228 offset0:78 offset1:79
	v_fmac_f64_e32 v[216:217], v[218:219], v[226:227]
	s_waitcnt vmcnt(16)
	v_add_f64 v[58:59], v[58:59], -v[216:217]
	ds_read2_b64 v[216:219], v228 offset0:80 offset1:81
	v_add_f64 v[56:57], v[56:57], -v[64:65]
	s_waitcnt lgkmcnt(1)
	v_mul_f64 v[64:65], v[234:235], v[66:67]
	v_fma_f64 v[64:65], v[232:233], v[226:227], -v[64:65]
	v_add_f64 v[62:63], v[62:63], -v[222:223]
	v_mul_f64 v[222:223], v[232:233], v[66:67]
	s_waitcnt vmcnt(15)
	v_add_f64 v[52:53], v[52:53], -v[64:65]
	s_waitcnt lgkmcnt(0)
	v_mul_f64 v[64:65], v[218:219], v[66:67]
	v_fmac_f64_e32 v[222:223], v[234:235], v[226:227]
	v_fma_f64 v[64:65], v[216:217], v[226:227], -v[64:65]
	v_mul_f64 v[216:217], v[216:217], v[66:67]
	ds_read2_b64 v[232:235], v228 offset0:82 offset1:83
	v_fmac_f64_e32 v[216:217], v[218:219], v[226:227]
	s_waitcnt vmcnt(14)
	v_add_f64 v[50:51], v[50:51], -v[216:217]
	ds_read2_b64 v[216:219], v228 offset0:84 offset1:85
	v_add_f64 v[48:49], v[48:49], -v[64:65]
	s_waitcnt lgkmcnt(1)
	v_mul_f64 v[64:65], v[234:235], v[66:67]
	v_fma_f64 v[64:65], v[232:233], v[226:227], -v[64:65]
	v_add_f64 v[54:55], v[54:55], -v[222:223]
	v_mul_f64 v[222:223], v[232:233], v[66:67]
	s_waitcnt vmcnt(13)
	v_add_f64 v[44:45], v[44:45], -v[64:65]
	s_waitcnt lgkmcnt(0)
	v_mul_f64 v[64:65], v[218:219], v[66:67]
	v_fmac_f64_e32 v[222:223], v[234:235], v[226:227]
	v_fma_f64 v[64:65], v[216:217], v[226:227], -v[64:65]
	v_mul_f64 v[216:217], v[216:217], v[66:67]
	ds_read2_b64 v[232:235], v228 offset0:86 offset1:87
	v_fmac_f64_e32 v[216:217], v[218:219], v[226:227]
	s_waitcnt vmcnt(12)
	v_add_f64 v[42:43], v[42:43], -v[216:217]
	ds_read2_b64 v[216:219], v228 offset0:88 offset1:89
	v_add_f64 v[40:41], v[40:41], -v[64:65]
	s_waitcnt lgkmcnt(1)
	v_mul_f64 v[64:65], v[234:235], v[66:67]
	v_fma_f64 v[64:65], v[232:233], v[226:227], -v[64:65]
	v_add_f64 v[46:47], v[46:47], -v[222:223]
	v_mul_f64 v[222:223], v[232:233], v[66:67]
	s_waitcnt vmcnt(11)
	v_add_f64 v[36:37], v[36:37], -v[64:65]
	s_waitcnt lgkmcnt(0)
	v_mul_f64 v[64:65], v[218:219], v[66:67]
	v_fmac_f64_e32 v[222:223], v[234:235], v[226:227]
	v_fma_f64 v[64:65], v[216:217], v[226:227], -v[64:65]
	v_mul_f64 v[216:217], v[216:217], v[66:67]
	ds_read2_b64 v[232:235], v228 offset0:90 offset1:91
	v_fmac_f64_e32 v[216:217], v[218:219], v[226:227]
	s_waitcnt vmcnt(10)
	v_add_f64 v[34:35], v[34:35], -v[216:217]
	ds_read2_b64 v[216:219], v228 offset0:92 offset1:93
	v_add_f64 v[32:33], v[32:33], -v[64:65]
	s_waitcnt lgkmcnt(1)
	v_mul_f64 v[64:65], v[234:235], v[66:67]
	v_fma_f64 v[64:65], v[232:233], v[226:227], -v[64:65]
	v_add_f64 v[38:39], v[38:39], -v[222:223]
	v_mul_f64 v[222:223], v[232:233], v[66:67]
	s_waitcnt vmcnt(9)
	v_add_f64 v[28:29], v[28:29], -v[64:65]
	s_waitcnt lgkmcnt(0)
	v_mul_f64 v[64:65], v[218:219], v[66:67]
	v_fmac_f64_e32 v[222:223], v[234:235], v[226:227]
	v_fma_f64 v[64:65], v[216:217], v[226:227], -v[64:65]
	v_mul_f64 v[216:217], v[216:217], v[66:67]
	ds_read2_b64 v[232:235], v228 offset0:94 offset1:95
	v_fmac_f64_e32 v[216:217], v[218:219], v[226:227]
	s_waitcnt vmcnt(8)
	v_add_f64 v[26:27], v[26:27], -v[216:217]
	ds_read2_b64 v[216:219], v228 offset0:96 offset1:97
	v_add_f64 v[24:25], v[24:25], -v[64:65]
	s_waitcnt lgkmcnt(1)
	v_mul_f64 v[64:65], v[234:235], v[66:67]
	v_fma_f64 v[64:65], v[232:233], v[226:227], -v[64:65]
	v_add_f64 v[30:31], v[30:31], -v[222:223]
	v_mul_f64 v[222:223], v[232:233], v[66:67]
	s_waitcnt vmcnt(7)
	v_add_f64 v[20:21], v[20:21], -v[64:65]
	s_waitcnt lgkmcnt(0)
	v_mul_f64 v[64:65], v[218:219], v[66:67]
	v_fmac_f64_e32 v[222:223], v[234:235], v[226:227]
	v_fma_f64 v[64:65], v[216:217], v[226:227], -v[64:65]
	v_mul_f64 v[216:217], v[216:217], v[66:67]
	ds_read2_b64 v[232:235], v228 offset0:98 offset1:99
	v_fmac_f64_e32 v[216:217], v[218:219], v[226:227]
	s_waitcnt vmcnt(6)
	v_add_f64 v[18:19], v[18:19], -v[216:217]
	ds_read2_b64 v[216:219], v228 offset0:100 offset1:101
	v_add_f64 v[16:17], v[16:17], -v[64:65]
	s_waitcnt lgkmcnt(1)
	v_mul_f64 v[64:65], v[234:235], v[66:67]
	v_add_f64 v[22:23], v[22:23], -v[222:223]
	v_fma_f64 v[64:65], v[232:233], v[226:227], -v[64:65]
	v_mul_f64 v[222:223], v[232:233], v[66:67]
	v_fmac_f64_e32 v[222:223], v[234:235], v[226:227]
	s_waitcnt vmcnt(5)
	v_add_f64 v[12:13], v[12:13], -v[64:65]
	s_waitcnt lgkmcnt(0)
	v_mul_f64 v[64:65], v[218:219], v[66:67]
	ds_read2_b64 v[232:235], v228 offset0:102 offset1:103
	v_fma_f64 v[64:65], v[216:217], v[226:227], -v[64:65]
	v_mul_f64 v[216:217], v[216:217], v[66:67]
	v_fmac_f64_e32 v[216:217], v[218:219], v[226:227]
	s_waitcnt vmcnt(4)
	v_add_f64 v[10:11], v[10:11], -v[216:217]
	ds_read2_b64 v[216:219], v228 offset0:104 offset1:105
	v_add_f64 v[14:15], v[14:15], -v[222:223]
	v_add_f64 v[8:9], v[8:9], -v[64:65]
	s_waitcnt lgkmcnt(1)
	v_mul_f64 v[64:65], v[234:235], v[66:67]
	v_mul_f64 v[222:223], v[232:233], v[66:67]
	v_fma_f64 v[64:65], v[232:233], v[226:227], -v[64:65]
	v_fmac_f64_e32 v[222:223], v[234:235], v[226:227]
	ds_read2_b64 v[232:235], v228 offset0:106 offset1:107
	s_waitcnt vmcnt(3)
	v_add_f64 v[4:5], v[4:5], -v[64:65]
	s_waitcnt lgkmcnt(1)
	v_mul_f64 v[64:65], v[218:219], v[66:67]
	v_fma_f64 v[64:65], v[216:217], v[226:227], -v[64:65]
	v_mul_f64 v[216:217], v[216:217], v[66:67]
	v_fmac_f64_e32 v[216:217], v[218:219], v[226:227]
	s_waitcnt vmcnt(2)
	v_add_f64 v[0:1], v[0:1], -v[64:65]
	v_add_f64 v[2:3], v[2:3], -v[216:217]
	s_waitcnt lgkmcnt(0)
	v_mul_f64 v[64:65], v[234:235], v[66:67]
	v_mul_f64 v[216:217], v[232:233], v[66:67]
	v_fma_f64 v[64:65], v[232:233], v[226:227], -v[64:65]
	v_fmac_f64_e32 v[216:217], v[234:235], v[226:227]
	v_add_f64 v[6:7], v[6:7], -v[222:223]
	s_waitcnt vmcnt(1)
	v_add_f64 v[212:213], v[212:213], -v[64:65]
	v_add_f64 v[214:215], v[214:215], -v[216:217]
	v_mov_b64_e32 v[64:65], v[226:227]
.LBB106_776:
	s_or_b64 exec, exec, s[0:1]
	v_lshl_add_u32 v216, v229, 4, v228
	s_barrier
	s_waitcnt vmcnt(17)
	ds_write2_b64 v216, v[60:61], v[62:63] offset1:1
	s_waitcnt lgkmcnt(0)
	s_barrier
	ds_read2_b64 v[216:219], v228 offset0:74 offset1:75
	s_cmp_lt_i32 s20, 39
	v_mov_b32_e32 v226, 37
	s_cbranch_scc1 .LBB106_779
; %bb.777:
	v_add_u32_e32 v227, 0x260, v228
	s_mov_b32 s16, 38
	v_mov_b32_e32 v226, 37
.LBB106_778:                            ; =>This Inner Loop Header: Depth=1
	ds_read2_b64 v[232:235], v227 offset1:1
	s_waitcnt lgkmcnt(1)
	v_xor_b32_e32 v223, 0x80000000, v217
	v_xor_b32_e32 v231, 0x80000000, v219
	v_cmp_gt_f64_e32 vcc, 0, v[218:219]
	v_cmp_gt_f64_e64 s[0:1], 0, v[216:217]
	v_mov_b32_e32 v222, v216
	v_mov_b32_e32 v236, v218
	v_cndmask_b32_e64 v223, v217, v223, s[0:1]
	v_cndmask_b32_e32 v237, v219, v231, vcc
	s_waitcnt lgkmcnt(0)
	v_xor_b32_e32 v231, 0x80000000, v233
	v_xor_b32_e32 v239, 0x80000000, v235
	v_cmp_gt_f64_e32 vcc, 0, v[234:235]
	v_cmp_gt_f64_e64 s[0:1], 0, v[232:233]
	v_add_f64 v[222:223], v[222:223], v[236:237]
	v_mov_b32_e32 v236, v232
	v_mov_b32_e32 v238, v234
	v_cndmask_b32_e64 v237, v233, v231, s[0:1]
	v_cndmask_b32_e32 v239, v235, v239, vcc
	v_add_f64 v[236:237], v[236:237], v[238:239]
	v_mov_b32_e32 v240, s16
	s_add_i32 s16, s16, 1
	v_cmp_lt_f64_e32 vcc, v[222:223], v[236:237]
	v_add_u32_e32 v227, 16, v227
	s_cmp_lg_u32 s20, s16
	v_cndmask_b32_e32 v217, v217, v233, vcc
	v_cndmask_b32_e32 v216, v216, v232, vcc
	;; [unrolled: 1-line block ×5, first 2 shown]
	s_cbranch_scc1 .LBB106_778
.LBB106_779:
	s_waitcnt lgkmcnt(0)
	v_cmp_eq_f64_e32 vcc, 0, v[216:217]
	v_cmp_eq_f64_e64 s[0:1], 0, v[218:219]
	s_and_b64 s[0:1], vcc, s[0:1]
	s_and_saveexec_b64 s[16:17], s[0:1]
	s_xor_b64 s[0:1], exec, s[16:17]
; %bb.780:
	v_cmp_ne_u32_e32 vcc, 0, v230
	s_nop 1
	v_cndmask_b32_e32 v230, 38, v230, vcc
; %bb.781:
	s_andn2_saveexec_b64 s[0:1], s[0:1]
	s_cbranch_execz .LBB106_787
; %bb.782:
	v_cmp_ngt_f64_e64 s[16:17], |v[216:217]|, |v[218:219]|
	s_and_saveexec_b64 s[18:19], s[16:17]
	s_xor_b64 s[16:17], exec, s[18:19]
	s_cbranch_execz .LBB106_784
; %bb.783:
	v_div_scale_f64 v[222:223], s[18:19], v[218:219], v[218:219], v[216:217]
	v_rcp_f64_e32 v[232:233], v[222:223]
	v_div_scale_f64 v[234:235], vcc, v[216:217], v[218:219], v[216:217]
	v_fma_f64 v[236:237], -v[222:223], v[232:233], 1.0
	v_fmac_f64_e32 v[232:233], v[232:233], v[236:237]
	v_fma_f64 v[236:237], -v[222:223], v[232:233], 1.0
	v_fmac_f64_e32 v[232:233], v[232:233], v[236:237]
	v_mul_f64 v[236:237], v[234:235], v[232:233]
	v_fma_f64 v[222:223], -v[222:223], v[236:237], v[234:235]
	v_div_fmas_f64 v[222:223], v[222:223], v[232:233], v[236:237]
	v_div_fixup_f64 v[222:223], v[222:223], v[218:219], v[216:217]
	v_fmac_f64_e32 v[218:219], v[216:217], v[222:223]
	v_div_scale_f64 v[216:217], s[18:19], v[218:219], v[218:219], 1.0
	v_rcp_f64_e32 v[232:233], v[216:217]
	s_nop 0
	v_fma_f64 v[234:235], -v[216:217], v[232:233], 1.0
	v_fmac_f64_e32 v[232:233], v[232:233], v[234:235]
	v_fma_f64 v[234:235], -v[216:217], v[232:233], 1.0
	v_fmac_f64_e32 v[232:233], v[232:233], v[234:235]
	v_div_scale_f64 v[234:235], vcc, 1.0, v[218:219], 1.0
	v_mul_f64 v[236:237], v[234:235], v[232:233]
	v_fma_f64 v[216:217], -v[216:217], v[236:237], v[234:235]
	s_nop 1
	v_div_fmas_f64 v[216:217], v[216:217], v[232:233], v[236:237]
	v_div_fixup_f64 v[218:219], v[216:217], v[218:219], 1.0
	v_mul_f64 v[216:217], v[222:223], v[218:219]
	v_xor_b32_e32 v219, 0x80000000, v219
.LBB106_784:
	s_andn2_saveexec_b64 s[16:17], s[16:17]
	s_cbranch_execz .LBB106_786
; %bb.785:
	v_div_scale_f64 v[222:223], s[18:19], v[216:217], v[216:217], v[218:219]
	v_rcp_f64_e32 v[232:233], v[222:223]
	v_div_scale_f64 v[234:235], vcc, v[218:219], v[216:217], v[218:219]
	v_fma_f64 v[236:237], -v[222:223], v[232:233], 1.0
	v_fmac_f64_e32 v[232:233], v[232:233], v[236:237]
	v_fma_f64 v[236:237], -v[222:223], v[232:233], 1.0
	v_fmac_f64_e32 v[232:233], v[232:233], v[236:237]
	v_mul_f64 v[236:237], v[234:235], v[232:233]
	v_fma_f64 v[222:223], -v[222:223], v[236:237], v[234:235]
	v_div_fmas_f64 v[222:223], v[222:223], v[232:233], v[236:237]
	v_div_fixup_f64 v[222:223], v[222:223], v[216:217], v[218:219]
	v_fmac_f64_e32 v[216:217], v[218:219], v[222:223]
	v_div_scale_f64 v[218:219], s[18:19], v[216:217], v[216:217], 1.0
	v_rcp_f64_e32 v[232:233], v[218:219]
	s_nop 0
	v_fma_f64 v[234:235], -v[218:219], v[232:233], 1.0
	v_fmac_f64_e32 v[232:233], v[232:233], v[234:235]
	v_fma_f64 v[234:235], -v[218:219], v[232:233], 1.0
	v_fmac_f64_e32 v[232:233], v[232:233], v[234:235]
	v_div_scale_f64 v[234:235], vcc, 1.0, v[216:217], 1.0
	v_mul_f64 v[236:237], v[234:235], v[232:233]
	v_fma_f64 v[218:219], -v[218:219], v[236:237], v[234:235]
	s_nop 1
	v_div_fmas_f64 v[218:219], v[218:219], v[232:233], v[236:237]
	v_div_fixup_f64 v[216:217], v[218:219], v[216:217], 1.0
	v_mul_f64 v[218:219], v[222:223], -v[216:217]
.LBB106_786:
	s_or_b64 exec, exec, s[16:17]
.LBB106_787:
	s_or_b64 exec, exec, s[0:1]
	v_cmp_ne_u32_e32 vcc, v229, v226
	s_and_saveexec_b64 s[0:1], vcc
	s_xor_b64 s[0:1], exec, s[0:1]
	s_cbranch_execz .LBB106_793
; %bb.788:
	v_cmp_eq_u32_e32 vcc, 37, v229
	s_and_saveexec_b64 s[16:17], vcc
	s_cbranch_execz .LBB106_792
; %bb.789:
	v_cmp_ne_u32_e32 vcc, 37, v226
	s_xor_b64 s[18:19], s[14:15], -1
	s_and_b64 s[22:23], s[18:19], vcc
	s_and_saveexec_b64 s[18:19], s[22:23]
	s_cbranch_execz .LBB106_791
; %bb.790:
	v_ashrrev_i32_e32 v227, 31, v226
	s_waitcnt vmcnt(0)
	v_lshl_add_u64 v[222:223], v[226:227], 2, v[224:225]
	global_load_dword v227, v[222:223], off
	global_load_dword v229, v[224:225], off offset:148
	s_waitcnt vmcnt(1)
	global_store_dword v[224:225], v227, off offset:148
	s_waitcnt vmcnt(1)
	global_store_dword v[222:223], v229, off
.LBB106_791:
	s_or_b64 exec, exec, s[18:19]
	v_mov_b32_e32 v229, v226
	v_mov_b32_e32 v220, v226
.LBB106_792:
	s_or_b64 exec, exec, s[16:17]
.LBB106_793:
	s_andn2_saveexec_b64 s[0:1], s[0:1]
	s_cbranch_execz .LBB106_795
; %bb.794:
	v_mov_b32_e32 v229, 37
	s_waitcnt vmcnt(16)
	ds_write2_b64 v228, v[56:57], v[58:59] offset0:76 offset1:77
	s_waitcnt vmcnt(15)
	ds_write2_b64 v228, v[52:53], v[54:55] offset0:78 offset1:79
	s_waitcnt vmcnt(14)
	ds_write2_b64 v228, v[48:49], v[50:51] offset0:80 offset1:81
	s_waitcnt vmcnt(13)
	ds_write2_b64 v228, v[44:45], v[46:47] offset0:82 offset1:83
	s_waitcnt vmcnt(12)
	ds_write2_b64 v228, v[40:41], v[42:43] offset0:84 offset1:85
	s_waitcnt vmcnt(11)
	ds_write2_b64 v228, v[36:37], v[38:39] offset0:86 offset1:87
	s_waitcnt vmcnt(10)
	ds_write2_b64 v228, v[32:33], v[34:35] offset0:88 offset1:89
	s_waitcnt vmcnt(9)
	ds_write2_b64 v228, v[28:29], v[30:31] offset0:90 offset1:91
	s_waitcnt vmcnt(8)
	ds_write2_b64 v228, v[24:25], v[26:27] offset0:92 offset1:93
	s_waitcnt vmcnt(7)
	ds_write2_b64 v228, v[20:21], v[22:23] offset0:94 offset1:95
	s_waitcnt vmcnt(6)
	ds_write2_b64 v228, v[16:17], v[18:19] offset0:96 offset1:97
	s_waitcnt vmcnt(5)
	ds_write2_b64 v228, v[12:13], v[14:15] offset0:98 offset1:99
	s_waitcnt vmcnt(4)
	ds_write2_b64 v228, v[8:9], v[10:11] offset0:100 offset1:101
	s_waitcnt vmcnt(3)
	ds_write2_b64 v228, v[4:5], v[6:7] offset0:102 offset1:103
	s_waitcnt vmcnt(2)
	ds_write2_b64 v228, v[0:1], v[2:3] offset0:104 offset1:105
	s_waitcnt vmcnt(1)
	ds_write2_b64 v228, v[212:213], v[214:215] offset0:106 offset1:107
.LBB106_795:
	s_or_b64 exec, exec, s[0:1]
	v_cmp_lt_i32_e32 vcc, 37, v229
	s_waitcnt lgkmcnt(0)
	s_barrier
	s_and_saveexec_b64 s[0:1], vcc
	s_cbranch_execz .LBB106_797
; %bb.796:
	ds_read2_b64 v[232:235], v228 offset0:76 offset1:77
	v_mul_f64 v[226:227], v[216:217], v[62:63]
	v_mul_f64 v[62:63], v[218:219], v[62:63]
	v_fmac_f64_e32 v[226:227], v[218:219], v[60:61]
	v_fma_f64 v[60:61], v[216:217], v[60:61], -v[62:63]
	ds_read2_b64 v[216:219], v228 offset0:78 offset1:79
	s_waitcnt lgkmcnt(1)
	v_mul_f64 v[62:63], v[234:235], v[226:227]
	v_fma_f64 v[62:63], v[232:233], v[60:61], -v[62:63]
	v_mul_f64 v[222:223], v[232:233], v[226:227]
	s_waitcnt vmcnt(16)
	v_add_f64 v[56:57], v[56:57], -v[62:63]
	s_waitcnt lgkmcnt(0)
	v_mul_f64 v[62:63], v[218:219], v[226:227]
	v_fmac_f64_e32 v[222:223], v[234:235], v[60:61]
	v_fma_f64 v[62:63], v[216:217], v[60:61], -v[62:63]
	v_mul_f64 v[216:217], v[216:217], v[226:227]
	ds_read2_b64 v[232:235], v228 offset0:80 offset1:81
	v_fmac_f64_e32 v[216:217], v[218:219], v[60:61]
	s_waitcnt vmcnt(15)
	v_add_f64 v[54:55], v[54:55], -v[216:217]
	ds_read2_b64 v[216:219], v228 offset0:82 offset1:83
	v_add_f64 v[52:53], v[52:53], -v[62:63]
	s_waitcnt lgkmcnt(1)
	v_mul_f64 v[62:63], v[234:235], v[226:227]
	v_fma_f64 v[62:63], v[232:233], v[60:61], -v[62:63]
	v_add_f64 v[58:59], v[58:59], -v[222:223]
	v_mul_f64 v[222:223], v[232:233], v[226:227]
	s_waitcnt vmcnt(14)
	v_add_f64 v[48:49], v[48:49], -v[62:63]
	s_waitcnt lgkmcnt(0)
	v_mul_f64 v[62:63], v[218:219], v[226:227]
	v_fmac_f64_e32 v[222:223], v[234:235], v[60:61]
	v_fma_f64 v[62:63], v[216:217], v[60:61], -v[62:63]
	v_mul_f64 v[216:217], v[216:217], v[226:227]
	ds_read2_b64 v[232:235], v228 offset0:84 offset1:85
	v_fmac_f64_e32 v[216:217], v[218:219], v[60:61]
	s_waitcnt vmcnt(13)
	v_add_f64 v[46:47], v[46:47], -v[216:217]
	ds_read2_b64 v[216:219], v228 offset0:86 offset1:87
	v_add_f64 v[44:45], v[44:45], -v[62:63]
	s_waitcnt lgkmcnt(1)
	v_mul_f64 v[62:63], v[234:235], v[226:227]
	v_fma_f64 v[62:63], v[232:233], v[60:61], -v[62:63]
	v_add_f64 v[50:51], v[50:51], -v[222:223]
	;; [unrolled: 18-line block ×6, first 2 shown]
	v_mul_f64 v[222:223], v[232:233], v[226:227]
	s_waitcnt vmcnt(4)
	v_add_f64 v[8:9], v[8:9], -v[62:63]
	s_waitcnt lgkmcnt(0)
	v_mul_f64 v[62:63], v[218:219], v[226:227]
	v_fmac_f64_e32 v[222:223], v[234:235], v[60:61]
	v_fma_f64 v[62:63], v[216:217], v[60:61], -v[62:63]
	v_mul_f64 v[216:217], v[216:217], v[226:227]
	ds_read2_b64 v[232:235], v228 offset0:104 offset1:105
	v_fmac_f64_e32 v[216:217], v[218:219], v[60:61]
	s_waitcnt vmcnt(3)
	v_add_f64 v[6:7], v[6:7], -v[216:217]
	ds_read2_b64 v[216:219], v228 offset0:106 offset1:107
	v_add_f64 v[4:5], v[4:5], -v[62:63]
	s_waitcnt lgkmcnt(1)
	v_mul_f64 v[62:63], v[234:235], v[226:227]
	v_fma_f64 v[62:63], v[232:233], v[60:61], -v[62:63]
	s_waitcnt vmcnt(2)
	v_add_f64 v[0:1], v[0:1], -v[62:63]
	s_waitcnt lgkmcnt(0)
	v_mul_f64 v[62:63], v[218:219], v[226:227]
	v_add_f64 v[10:11], v[10:11], -v[222:223]
	v_mul_f64 v[222:223], v[232:233], v[226:227]
	v_fma_f64 v[62:63], v[216:217], v[60:61], -v[62:63]
	v_mul_f64 v[216:217], v[216:217], v[226:227]
	v_fmac_f64_e32 v[222:223], v[234:235], v[60:61]
	v_fmac_f64_e32 v[216:217], v[218:219], v[60:61]
	v_add_f64 v[2:3], v[2:3], -v[222:223]
	s_waitcnt vmcnt(1)
	v_add_f64 v[212:213], v[212:213], -v[62:63]
	v_add_f64 v[214:215], v[214:215], -v[216:217]
	v_mov_b64_e32 v[62:63], v[226:227]
.LBB106_797:
	s_or_b64 exec, exec, s[0:1]
	v_lshl_add_u32 v216, v229, 4, v228
	s_barrier
	s_waitcnt vmcnt(16)
	ds_write2_b64 v216, v[56:57], v[58:59] offset1:1
	s_waitcnt lgkmcnt(0)
	s_barrier
	ds_read2_b64 v[216:219], v228 offset0:76 offset1:77
	s_cmp_lt_i32 s20, 40
	v_mov_b32_e32 v226, 38
	s_cbranch_scc1 .LBB106_800
; %bb.798:
	v_add_u32_e32 v227, 0x270, v228
	s_mov_b32 s16, 39
	v_mov_b32_e32 v226, 38
.LBB106_799:                            ; =>This Inner Loop Header: Depth=1
	ds_read2_b64 v[232:235], v227 offset1:1
	s_waitcnt lgkmcnt(1)
	v_xor_b32_e32 v223, 0x80000000, v217
	v_xor_b32_e32 v231, 0x80000000, v219
	v_cmp_gt_f64_e32 vcc, 0, v[218:219]
	v_cmp_gt_f64_e64 s[0:1], 0, v[216:217]
	v_mov_b32_e32 v222, v216
	v_mov_b32_e32 v236, v218
	v_cndmask_b32_e64 v223, v217, v223, s[0:1]
	v_cndmask_b32_e32 v237, v219, v231, vcc
	s_waitcnt lgkmcnt(0)
	v_xor_b32_e32 v231, 0x80000000, v233
	v_xor_b32_e32 v239, 0x80000000, v235
	v_cmp_gt_f64_e32 vcc, 0, v[234:235]
	v_cmp_gt_f64_e64 s[0:1], 0, v[232:233]
	v_add_f64 v[222:223], v[222:223], v[236:237]
	v_mov_b32_e32 v236, v232
	v_mov_b32_e32 v238, v234
	v_cndmask_b32_e64 v237, v233, v231, s[0:1]
	v_cndmask_b32_e32 v239, v235, v239, vcc
	v_add_f64 v[236:237], v[236:237], v[238:239]
	v_mov_b32_e32 v240, s16
	s_add_i32 s16, s16, 1
	v_cmp_lt_f64_e32 vcc, v[222:223], v[236:237]
	v_add_u32_e32 v227, 16, v227
	s_cmp_lg_u32 s20, s16
	v_cndmask_b32_e32 v217, v217, v233, vcc
	v_cndmask_b32_e32 v216, v216, v232, vcc
	;; [unrolled: 1-line block ×5, first 2 shown]
	s_cbranch_scc1 .LBB106_799
.LBB106_800:
	s_waitcnt lgkmcnt(0)
	v_cmp_eq_f64_e32 vcc, 0, v[216:217]
	v_cmp_eq_f64_e64 s[0:1], 0, v[218:219]
	s_and_b64 s[0:1], vcc, s[0:1]
	s_and_saveexec_b64 s[16:17], s[0:1]
	s_xor_b64 s[0:1], exec, s[16:17]
; %bb.801:
	v_cmp_ne_u32_e32 vcc, 0, v230
	s_nop 1
	v_cndmask_b32_e32 v230, 39, v230, vcc
; %bb.802:
	s_andn2_saveexec_b64 s[0:1], s[0:1]
	s_cbranch_execz .LBB106_808
; %bb.803:
	v_cmp_ngt_f64_e64 s[16:17], |v[216:217]|, |v[218:219]|
	s_and_saveexec_b64 s[18:19], s[16:17]
	s_xor_b64 s[16:17], exec, s[18:19]
	s_cbranch_execz .LBB106_805
; %bb.804:
	v_div_scale_f64 v[222:223], s[18:19], v[218:219], v[218:219], v[216:217]
	v_rcp_f64_e32 v[232:233], v[222:223]
	v_div_scale_f64 v[234:235], vcc, v[216:217], v[218:219], v[216:217]
	v_fma_f64 v[236:237], -v[222:223], v[232:233], 1.0
	v_fmac_f64_e32 v[232:233], v[232:233], v[236:237]
	v_fma_f64 v[236:237], -v[222:223], v[232:233], 1.0
	v_fmac_f64_e32 v[232:233], v[232:233], v[236:237]
	v_mul_f64 v[236:237], v[234:235], v[232:233]
	v_fma_f64 v[222:223], -v[222:223], v[236:237], v[234:235]
	v_div_fmas_f64 v[222:223], v[222:223], v[232:233], v[236:237]
	v_div_fixup_f64 v[222:223], v[222:223], v[218:219], v[216:217]
	v_fmac_f64_e32 v[218:219], v[216:217], v[222:223]
	v_div_scale_f64 v[216:217], s[18:19], v[218:219], v[218:219], 1.0
	v_rcp_f64_e32 v[232:233], v[216:217]
	s_nop 0
	v_fma_f64 v[234:235], -v[216:217], v[232:233], 1.0
	v_fmac_f64_e32 v[232:233], v[232:233], v[234:235]
	v_fma_f64 v[234:235], -v[216:217], v[232:233], 1.0
	v_fmac_f64_e32 v[232:233], v[232:233], v[234:235]
	v_div_scale_f64 v[234:235], vcc, 1.0, v[218:219], 1.0
	v_mul_f64 v[236:237], v[234:235], v[232:233]
	v_fma_f64 v[216:217], -v[216:217], v[236:237], v[234:235]
	s_nop 1
	v_div_fmas_f64 v[216:217], v[216:217], v[232:233], v[236:237]
	v_div_fixup_f64 v[218:219], v[216:217], v[218:219], 1.0
	v_mul_f64 v[216:217], v[222:223], v[218:219]
	v_xor_b32_e32 v219, 0x80000000, v219
.LBB106_805:
	s_andn2_saveexec_b64 s[16:17], s[16:17]
	s_cbranch_execz .LBB106_807
; %bb.806:
	v_div_scale_f64 v[222:223], s[18:19], v[216:217], v[216:217], v[218:219]
	v_rcp_f64_e32 v[232:233], v[222:223]
	v_div_scale_f64 v[234:235], vcc, v[218:219], v[216:217], v[218:219]
	v_fma_f64 v[236:237], -v[222:223], v[232:233], 1.0
	v_fmac_f64_e32 v[232:233], v[232:233], v[236:237]
	v_fma_f64 v[236:237], -v[222:223], v[232:233], 1.0
	v_fmac_f64_e32 v[232:233], v[232:233], v[236:237]
	v_mul_f64 v[236:237], v[234:235], v[232:233]
	v_fma_f64 v[222:223], -v[222:223], v[236:237], v[234:235]
	v_div_fmas_f64 v[222:223], v[222:223], v[232:233], v[236:237]
	v_div_fixup_f64 v[222:223], v[222:223], v[216:217], v[218:219]
	v_fmac_f64_e32 v[216:217], v[218:219], v[222:223]
	v_div_scale_f64 v[218:219], s[18:19], v[216:217], v[216:217], 1.0
	v_rcp_f64_e32 v[232:233], v[218:219]
	s_nop 0
	v_fma_f64 v[234:235], -v[218:219], v[232:233], 1.0
	v_fmac_f64_e32 v[232:233], v[232:233], v[234:235]
	v_fma_f64 v[234:235], -v[218:219], v[232:233], 1.0
	v_fmac_f64_e32 v[232:233], v[232:233], v[234:235]
	v_div_scale_f64 v[234:235], vcc, 1.0, v[216:217], 1.0
	v_mul_f64 v[236:237], v[234:235], v[232:233]
	v_fma_f64 v[218:219], -v[218:219], v[236:237], v[234:235]
	s_nop 1
	v_div_fmas_f64 v[218:219], v[218:219], v[232:233], v[236:237]
	v_div_fixup_f64 v[216:217], v[218:219], v[216:217], 1.0
	v_mul_f64 v[218:219], v[222:223], -v[216:217]
.LBB106_807:
	s_or_b64 exec, exec, s[16:17]
.LBB106_808:
	s_or_b64 exec, exec, s[0:1]
	v_cmp_ne_u32_e32 vcc, v229, v226
	s_and_saveexec_b64 s[0:1], vcc
	s_xor_b64 s[0:1], exec, s[0:1]
	s_cbranch_execz .LBB106_814
; %bb.809:
	v_cmp_eq_u32_e32 vcc, 38, v229
	s_and_saveexec_b64 s[16:17], vcc
	s_cbranch_execz .LBB106_813
; %bb.810:
	v_cmp_ne_u32_e32 vcc, 38, v226
	s_xor_b64 s[18:19], s[14:15], -1
	s_and_b64 s[22:23], s[18:19], vcc
	s_and_saveexec_b64 s[18:19], s[22:23]
	s_cbranch_execz .LBB106_812
; %bb.811:
	v_ashrrev_i32_e32 v227, 31, v226
	s_waitcnt vmcnt(0)
	v_lshl_add_u64 v[222:223], v[226:227], 2, v[224:225]
	global_load_dword v227, v[222:223], off
	global_load_dword v229, v[224:225], off offset:152
	s_waitcnt vmcnt(1)
	global_store_dword v[224:225], v227, off offset:152
	s_waitcnt vmcnt(1)
	global_store_dword v[222:223], v229, off
.LBB106_812:
	s_or_b64 exec, exec, s[18:19]
	v_mov_b32_e32 v229, v226
	v_mov_b32_e32 v220, v226
.LBB106_813:
	s_or_b64 exec, exec, s[16:17]
.LBB106_814:
	s_andn2_saveexec_b64 s[0:1], s[0:1]
	s_cbranch_execz .LBB106_816
; %bb.815:
	v_mov_b32_e32 v229, 38
	s_waitcnt vmcnt(15)
	ds_write2_b64 v228, v[52:53], v[54:55] offset0:78 offset1:79
	s_waitcnt vmcnt(14)
	ds_write2_b64 v228, v[48:49], v[50:51] offset0:80 offset1:81
	;; [unrolled: 2-line block ×15, first 2 shown]
.LBB106_816:
	s_or_b64 exec, exec, s[0:1]
	v_cmp_lt_i32_e32 vcc, 38, v229
	s_waitcnt lgkmcnt(0)
	s_barrier
	s_and_saveexec_b64 s[0:1], vcc
	s_cbranch_execz .LBB106_818
; %bb.817:
	ds_read2_b64 v[232:235], v228 offset0:78 offset1:79
	v_mul_f64 v[226:227], v[216:217], v[58:59]
	v_mul_f64 v[58:59], v[218:219], v[58:59]
	v_fmac_f64_e32 v[226:227], v[218:219], v[56:57]
	v_fma_f64 v[56:57], v[216:217], v[56:57], -v[58:59]
	ds_read2_b64 v[216:219], v228 offset0:80 offset1:81
	s_waitcnt lgkmcnt(1)
	v_mul_f64 v[58:59], v[234:235], v[226:227]
	v_fma_f64 v[58:59], v[232:233], v[56:57], -v[58:59]
	v_mul_f64 v[222:223], v[232:233], v[226:227]
	s_waitcnt vmcnt(15)
	v_add_f64 v[52:53], v[52:53], -v[58:59]
	s_waitcnt lgkmcnt(0)
	v_mul_f64 v[58:59], v[218:219], v[226:227]
	v_fmac_f64_e32 v[222:223], v[234:235], v[56:57]
	v_fma_f64 v[58:59], v[216:217], v[56:57], -v[58:59]
	v_mul_f64 v[216:217], v[216:217], v[226:227]
	ds_read2_b64 v[232:235], v228 offset0:82 offset1:83
	v_fmac_f64_e32 v[216:217], v[218:219], v[56:57]
	s_waitcnt vmcnt(14)
	v_add_f64 v[50:51], v[50:51], -v[216:217]
	ds_read2_b64 v[216:219], v228 offset0:84 offset1:85
	v_add_f64 v[48:49], v[48:49], -v[58:59]
	s_waitcnt lgkmcnt(1)
	v_mul_f64 v[58:59], v[234:235], v[226:227]
	v_fma_f64 v[58:59], v[232:233], v[56:57], -v[58:59]
	v_add_f64 v[54:55], v[54:55], -v[222:223]
	v_mul_f64 v[222:223], v[232:233], v[226:227]
	s_waitcnt vmcnt(13)
	v_add_f64 v[44:45], v[44:45], -v[58:59]
	s_waitcnt lgkmcnt(0)
	v_mul_f64 v[58:59], v[218:219], v[226:227]
	v_fmac_f64_e32 v[222:223], v[234:235], v[56:57]
	v_fma_f64 v[58:59], v[216:217], v[56:57], -v[58:59]
	v_mul_f64 v[216:217], v[216:217], v[226:227]
	ds_read2_b64 v[232:235], v228 offset0:86 offset1:87
	v_fmac_f64_e32 v[216:217], v[218:219], v[56:57]
	s_waitcnt vmcnt(12)
	v_add_f64 v[42:43], v[42:43], -v[216:217]
	ds_read2_b64 v[216:219], v228 offset0:88 offset1:89
	v_add_f64 v[40:41], v[40:41], -v[58:59]
	s_waitcnt lgkmcnt(1)
	v_mul_f64 v[58:59], v[234:235], v[226:227]
	v_fma_f64 v[58:59], v[232:233], v[56:57], -v[58:59]
	v_add_f64 v[46:47], v[46:47], -v[222:223]
	;; [unrolled: 18-line block ×4, first 2 shown]
	v_mul_f64 v[222:223], v[232:233], v[226:227]
	s_waitcnt vmcnt(7)
	v_add_f64 v[20:21], v[20:21], -v[58:59]
	s_waitcnt lgkmcnt(0)
	v_mul_f64 v[58:59], v[218:219], v[226:227]
	v_fmac_f64_e32 v[222:223], v[234:235], v[56:57]
	v_fma_f64 v[58:59], v[216:217], v[56:57], -v[58:59]
	v_mul_f64 v[216:217], v[216:217], v[226:227]
	ds_read2_b64 v[232:235], v228 offset0:98 offset1:99
	v_fmac_f64_e32 v[216:217], v[218:219], v[56:57]
	s_waitcnt vmcnt(6)
	v_add_f64 v[18:19], v[18:19], -v[216:217]
	ds_read2_b64 v[216:219], v228 offset0:100 offset1:101
	v_add_f64 v[16:17], v[16:17], -v[58:59]
	s_waitcnt lgkmcnt(1)
	v_mul_f64 v[58:59], v[234:235], v[226:227]
	v_add_f64 v[22:23], v[22:23], -v[222:223]
	v_fma_f64 v[58:59], v[232:233], v[56:57], -v[58:59]
	v_mul_f64 v[222:223], v[232:233], v[226:227]
	v_fmac_f64_e32 v[222:223], v[234:235], v[56:57]
	s_waitcnt vmcnt(5)
	v_add_f64 v[12:13], v[12:13], -v[58:59]
	s_waitcnt lgkmcnt(0)
	v_mul_f64 v[58:59], v[218:219], v[226:227]
	ds_read2_b64 v[232:235], v228 offset0:102 offset1:103
	v_fma_f64 v[58:59], v[216:217], v[56:57], -v[58:59]
	v_mul_f64 v[216:217], v[216:217], v[226:227]
	v_fmac_f64_e32 v[216:217], v[218:219], v[56:57]
	s_waitcnt vmcnt(4)
	v_add_f64 v[10:11], v[10:11], -v[216:217]
	ds_read2_b64 v[216:219], v228 offset0:104 offset1:105
	v_add_f64 v[14:15], v[14:15], -v[222:223]
	v_add_f64 v[8:9], v[8:9], -v[58:59]
	s_waitcnt lgkmcnt(1)
	v_mul_f64 v[58:59], v[234:235], v[226:227]
	v_mul_f64 v[222:223], v[232:233], v[226:227]
	v_fma_f64 v[58:59], v[232:233], v[56:57], -v[58:59]
	v_fmac_f64_e32 v[222:223], v[234:235], v[56:57]
	ds_read2_b64 v[232:235], v228 offset0:106 offset1:107
	s_waitcnt vmcnt(3)
	v_add_f64 v[4:5], v[4:5], -v[58:59]
	s_waitcnt lgkmcnt(1)
	v_mul_f64 v[58:59], v[218:219], v[226:227]
	v_fma_f64 v[58:59], v[216:217], v[56:57], -v[58:59]
	v_mul_f64 v[216:217], v[216:217], v[226:227]
	v_fmac_f64_e32 v[216:217], v[218:219], v[56:57]
	s_waitcnt vmcnt(2)
	v_add_f64 v[0:1], v[0:1], -v[58:59]
	v_add_f64 v[2:3], v[2:3], -v[216:217]
	s_waitcnt lgkmcnt(0)
	v_mul_f64 v[58:59], v[234:235], v[226:227]
	v_mul_f64 v[216:217], v[232:233], v[226:227]
	v_fma_f64 v[58:59], v[232:233], v[56:57], -v[58:59]
	v_fmac_f64_e32 v[216:217], v[234:235], v[56:57]
	v_add_f64 v[6:7], v[6:7], -v[222:223]
	s_waitcnt vmcnt(1)
	v_add_f64 v[212:213], v[212:213], -v[58:59]
	v_add_f64 v[214:215], v[214:215], -v[216:217]
	v_mov_b64_e32 v[58:59], v[226:227]
.LBB106_818:
	s_or_b64 exec, exec, s[0:1]
	v_lshl_add_u32 v216, v229, 4, v228
	s_barrier
	s_waitcnt vmcnt(15)
	ds_write2_b64 v216, v[52:53], v[54:55] offset1:1
	s_waitcnt lgkmcnt(0)
	s_barrier
	ds_read2_b64 v[216:219], v228 offset0:78 offset1:79
	s_cmp_lt_i32 s20, 41
	v_mov_b32_e32 v226, 39
	s_cbranch_scc1 .LBB106_821
; %bb.819:
	v_add_u32_e32 v227, 0x280, v228
	s_mov_b32 s16, 40
	v_mov_b32_e32 v226, 39
.LBB106_820:                            ; =>This Inner Loop Header: Depth=1
	ds_read2_b64 v[232:235], v227 offset1:1
	s_waitcnt lgkmcnt(1)
	v_xor_b32_e32 v223, 0x80000000, v217
	v_xor_b32_e32 v231, 0x80000000, v219
	v_cmp_gt_f64_e32 vcc, 0, v[218:219]
	v_cmp_gt_f64_e64 s[0:1], 0, v[216:217]
	v_mov_b32_e32 v222, v216
	v_mov_b32_e32 v236, v218
	v_cndmask_b32_e64 v223, v217, v223, s[0:1]
	v_cndmask_b32_e32 v237, v219, v231, vcc
	s_waitcnt lgkmcnt(0)
	v_xor_b32_e32 v231, 0x80000000, v233
	v_xor_b32_e32 v239, 0x80000000, v235
	v_cmp_gt_f64_e32 vcc, 0, v[234:235]
	v_cmp_gt_f64_e64 s[0:1], 0, v[232:233]
	v_add_f64 v[222:223], v[222:223], v[236:237]
	v_mov_b32_e32 v236, v232
	v_mov_b32_e32 v238, v234
	v_cndmask_b32_e64 v237, v233, v231, s[0:1]
	v_cndmask_b32_e32 v239, v235, v239, vcc
	v_add_f64 v[236:237], v[236:237], v[238:239]
	v_mov_b32_e32 v240, s16
	s_add_i32 s16, s16, 1
	v_cmp_lt_f64_e32 vcc, v[222:223], v[236:237]
	v_add_u32_e32 v227, 16, v227
	s_cmp_lg_u32 s20, s16
	v_cndmask_b32_e32 v217, v217, v233, vcc
	v_cndmask_b32_e32 v216, v216, v232, vcc
	;; [unrolled: 1-line block ×5, first 2 shown]
	s_cbranch_scc1 .LBB106_820
.LBB106_821:
	s_waitcnt lgkmcnt(0)
	v_cmp_eq_f64_e32 vcc, 0, v[216:217]
	v_cmp_eq_f64_e64 s[0:1], 0, v[218:219]
	s_and_b64 s[0:1], vcc, s[0:1]
	s_and_saveexec_b64 s[16:17], s[0:1]
	s_xor_b64 s[0:1], exec, s[16:17]
; %bb.822:
	v_cmp_ne_u32_e32 vcc, 0, v230
	s_nop 1
	v_cndmask_b32_e32 v230, 40, v230, vcc
; %bb.823:
	s_andn2_saveexec_b64 s[0:1], s[0:1]
	s_cbranch_execz .LBB106_829
; %bb.824:
	v_cmp_ngt_f64_e64 s[16:17], |v[216:217]|, |v[218:219]|
	s_and_saveexec_b64 s[18:19], s[16:17]
	s_xor_b64 s[16:17], exec, s[18:19]
	s_cbranch_execz .LBB106_826
; %bb.825:
	v_div_scale_f64 v[222:223], s[18:19], v[218:219], v[218:219], v[216:217]
	v_rcp_f64_e32 v[232:233], v[222:223]
	v_div_scale_f64 v[234:235], vcc, v[216:217], v[218:219], v[216:217]
	v_fma_f64 v[236:237], -v[222:223], v[232:233], 1.0
	v_fmac_f64_e32 v[232:233], v[232:233], v[236:237]
	v_fma_f64 v[236:237], -v[222:223], v[232:233], 1.0
	v_fmac_f64_e32 v[232:233], v[232:233], v[236:237]
	v_mul_f64 v[236:237], v[234:235], v[232:233]
	v_fma_f64 v[222:223], -v[222:223], v[236:237], v[234:235]
	v_div_fmas_f64 v[222:223], v[222:223], v[232:233], v[236:237]
	v_div_fixup_f64 v[222:223], v[222:223], v[218:219], v[216:217]
	v_fmac_f64_e32 v[218:219], v[216:217], v[222:223]
	v_div_scale_f64 v[216:217], s[18:19], v[218:219], v[218:219], 1.0
	v_rcp_f64_e32 v[232:233], v[216:217]
	s_nop 0
	v_fma_f64 v[234:235], -v[216:217], v[232:233], 1.0
	v_fmac_f64_e32 v[232:233], v[232:233], v[234:235]
	v_fma_f64 v[234:235], -v[216:217], v[232:233], 1.0
	v_fmac_f64_e32 v[232:233], v[232:233], v[234:235]
	v_div_scale_f64 v[234:235], vcc, 1.0, v[218:219], 1.0
	v_mul_f64 v[236:237], v[234:235], v[232:233]
	v_fma_f64 v[216:217], -v[216:217], v[236:237], v[234:235]
	s_nop 1
	v_div_fmas_f64 v[216:217], v[216:217], v[232:233], v[236:237]
	v_div_fixup_f64 v[218:219], v[216:217], v[218:219], 1.0
	v_mul_f64 v[216:217], v[222:223], v[218:219]
	v_xor_b32_e32 v219, 0x80000000, v219
.LBB106_826:
	s_andn2_saveexec_b64 s[16:17], s[16:17]
	s_cbranch_execz .LBB106_828
; %bb.827:
	v_div_scale_f64 v[222:223], s[18:19], v[216:217], v[216:217], v[218:219]
	v_rcp_f64_e32 v[232:233], v[222:223]
	v_div_scale_f64 v[234:235], vcc, v[218:219], v[216:217], v[218:219]
	v_fma_f64 v[236:237], -v[222:223], v[232:233], 1.0
	v_fmac_f64_e32 v[232:233], v[232:233], v[236:237]
	v_fma_f64 v[236:237], -v[222:223], v[232:233], 1.0
	v_fmac_f64_e32 v[232:233], v[232:233], v[236:237]
	v_mul_f64 v[236:237], v[234:235], v[232:233]
	v_fma_f64 v[222:223], -v[222:223], v[236:237], v[234:235]
	v_div_fmas_f64 v[222:223], v[222:223], v[232:233], v[236:237]
	v_div_fixup_f64 v[222:223], v[222:223], v[216:217], v[218:219]
	v_fmac_f64_e32 v[216:217], v[218:219], v[222:223]
	v_div_scale_f64 v[218:219], s[18:19], v[216:217], v[216:217], 1.0
	v_rcp_f64_e32 v[232:233], v[218:219]
	s_nop 0
	v_fma_f64 v[234:235], -v[218:219], v[232:233], 1.0
	v_fmac_f64_e32 v[232:233], v[232:233], v[234:235]
	v_fma_f64 v[234:235], -v[218:219], v[232:233], 1.0
	v_fmac_f64_e32 v[232:233], v[232:233], v[234:235]
	v_div_scale_f64 v[234:235], vcc, 1.0, v[216:217], 1.0
	v_mul_f64 v[236:237], v[234:235], v[232:233]
	v_fma_f64 v[218:219], -v[218:219], v[236:237], v[234:235]
	s_nop 1
	v_div_fmas_f64 v[218:219], v[218:219], v[232:233], v[236:237]
	v_div_fixup_f64 v[216:217], v[218:219], v[216:217], 1.0
	v_mul_f64 v[218:219], v[222:223], -v[216:217]
.LBB106_828:
	s_or_b64 exec, exec, s[16:17]
.LBB106_829:
	s_or_b64 exec, exec, s[0:1]
	v_cmp_ne_u32_e32 vcc, v229, v226
	s_and_saveexec_b64 s[0:1], vcc
	s_xor_b64 s[0:1], exec, s[0:1]
	s_cbranch_execz .LBB106_835
; %bb.830:
	v_cmp_eq_u32_e32 vcc, 39, v229
	s_and_saveexec_b64 s[16:17], vcc
	s_cbranch_execz .LBB106_834
; %bb.831:
	v_cmp_ne_u32_e32 vcc, 39, v226
	s_xor_b64 s[18:19], s[14:15], -1
	s_and_b64 s[22:23], s[18:19], vcc
	s_and_saveexec_b64 s[18:19], s[22:23]
	s_cbranch_execz .LBB106_833
; %bb.832:
	v_ashrrev_i32_e32 v227, 31, v226
	s_waitcnt vmcnt(0)
	v_lshl_add_u64 v[222:223], v[226:227], 2, v[224:225]
	global_load_dword v227, v[222:223], off
	global_load_dword v229, v[224:225], off offset:156
	s_waitcnt vmcnt(1)
	global_store_dword v[224:225], v227, off offset:156
	s_waitcnt vmcnt(1)
	global_store_dword v[222:223], v229, off
.LBB106_833:
	s_or_b64 exec, exec, s[18:19]
	v_mov_b32_e32 v229, v226
	v_mov_b32_e32 v220, v226
.LBB106_834:
	s_or_b64 exec, exec, s[16:17]
.LBB106_835:
	s_andn2_saveexec_b64 s[0:1], s[0:1]
	s_cbranch_execz .LBB106_837
; %bb.836:
	v_mov_b32_e32 v229, 39
	s_waitcnt vmcnt(14)
	ds_write2_b64 v228, v[48:49], v[50:51] offset0:80 offset1:81
	s_waitcnt vmcnt(13)
	ds_write2_b64 v228, v[44:45], v[46:47] offset0:82 offset1:83
	;; [unrolled: 2-line block ×14, first 2 shown]
.LBB106_837:
	s_or_b64 exec, exec, s[0:1]
	v_cmp_lt_i32_e32 vcc, 39, v229
	s_waitcnt lgkmcnt(0)
	s_barrier
	s_and_saveexec_b64 s[0:1], vcc
	s_cbranch_execz .LBB106_839
; %bb.838:
	ds_read2_b64 v[232:235], v228 offset0:80 offset1:81
	v_mul_f64 v[226:227], v[216:217], v[54:55]
	v_mul_f64 v[54:55], v[218:219], v[54:55]
	v_fmac_f64_e32 v[226:227], v[218:219], v[52:53]
	v_fma_f64 v[52:53], v[216:217], v[52:53], -v[54:55]
	ds_read2_b64 v[216:219], v228 offset0:82 offset1:83
	s_waitcnt lgkmcnt(1)
	v_mul_f64 v[54:55], v[234:235], v[226:227]
	v_fma_f64 v[54:55], v[232:233], v[52:53], -v[54:55]
	v_mul_f64 v[222:223], v[232:233], v[226:227]
	s_waitcnt vmcnt(14)
	v_add_f64 v[48:49], v[48:49], -v[54:55]
	s_waitcnt lgkmcnt(0)
	v_mul_f64 v[54:55], v[218:219], v[226:227]
	v_fmac_f64_e32 v[222:223], v[234:235], v[52:53]
	v_fma_f64 v[54:55], v[216:217], v[52:53], -v[54:55]
	v_mul_f64 v[216:217], v[216:217], v[226:227]
	ds_read2_b64 v[232:235], v228 offset0:84 offset1:85
	v_fmac_f64_e32 v[216:217], v[218:219], v[52:53]
	s_waitcnt vmcnt(13)
	v_add_f64 v[46:47], v[46:47], -v[216:217]
	ds_read2_b64 v[216:219], v228 offset0:86 offset1:87
	v_add_f64 v[44:45], v[44:45], -v[54:55]
	s_waitcnt lgkmcnt(1)
	v_mul_f64 v[54:55], v[234:235], v[226:227]
	v_fma_f64 v[54:55], v[232:233], v[52:53], -v[54:55]
	v_add_f64 v[50:51], v[50:51], -v[222:223]
	v_mul_f64 v[222:223], v[232:233], v[226:227]
	s_waitcnt vmcnt(12)
	v_add_f64 v[40:41], v[40:41], -v[54:55]
	s_waitcnt lgkmcnt(0)
	v_mul_f64 v[54:55], v[218:219], v[226:227]
	v_fmac_f64_e32 v[222:223], v[234:235], v[52:53]
	v_fma_f64 v[54:55], v[216:217], v[52:53], -v[54:55]
	v_mul_f64 v[216:217], v[216:217], v[226:227]
	ds_read2_b64 v[232:235], v228 offset0:88 offset1:89
	v_fmac_f64_e32 v[216:217], v[218:219], v[52:53]
	s_waitcnt vmcnt(11)
	v_add_f64 v[38:39], v[38:39], -v[216:217]
	ds_read2_b64 v[216:219], v228 offset0:90 offset1:91
	v_add_f64 v[36:37], v[36:37], -v[54:55]
	s_waitcnt lgkmcnt(1)
	v_mul_f64 v[54:55], v[234:235], v[226:227]
	v_fma_f64 v[54:55], v[232:233], v[52:53], -v[54:55]
	v_add_f64 v[42:43], v[42:43], -v[222:223]
	;; [unrolled: 18-line block ×5, first 2 shown]
	v_mul_f64 v[222:223], v[232:233], v[226:227]
	s_waitcnt vmcnt(4)
	v_add_f64 v[8:9], v[8:9], -v[54:55]
	s_waitcnt lgkmcnt(0)
	v_mul_f64 v[54:55], v[218:219], v[226:227]
	v_fmac_f64_e32 v[222:223], v[234:235], v[52:53]
	v_fma_f64 v[54:55], v[216:217], v[52:53], -v[54:55]
	v_mul_f64 v[216:217], v[216:217], v[226:227]
	ds_read2_b64 v[232:235], v228 offset0:104 offset1:105
	v_fmac_f64_e32 v[216:217], v[218:219], v[52:53]
	s_waitcnt vmcnt(3)
	v_add_f64 v[6:7], v[6:7], -v[216:217]
	ds_read2_b64 v[216:219], v228 offset0:106 offset1:107
	v_add_f64 v[4:5], v[4:5], -v[54:55]
	s_waitcnt lgkmcnt(1)
	v_mul_f64 v[54:55], v[234:235], v[226:227]
	v_fma_f64 v[54:55], v[232:233], v[52:53], -v[54:55]
	s_waitcnt vmcnt(2)
	v_add_f64 v[0:1], v[0:1], -v[54:55]
	s_waitcnt lgkmcnt(0)
	v_mul_f64 v[54:55], v[218:219], v[226:227]
	v_add_f64 v[10:11], v[10:11], -v[222:223]
	v_mul_f64 v[222:223], v[232:233], v[226:227]
	v_fma_f64 v[54:55], v[216:217], v[52:53], -v[54:55]
	v_mul_f64 v[216:217], v[216:217], v[226:227]
	v_fmac_f64_e32 v[222:223], v[234:235], v[52:53]
	v_fmac_f64_e32 v[216:217], v[218:219], v[52:53]
	v_add_f64 v[2:3], v[2:3], -v[222:223]
	s_waitcnt vmcnt(1)
	v_add_f64 v[212:213], v[212:213], -v[54:55]
	v_add_f64 v[214:215], v[214:215], -v[216:217]
	v_mov_b64_e32 v[54:55], v[226:227]
.LBB106_839:
	s_or_b64 exec, exec, s[0:1]
	v_lshl_add_u32 v216, v229, 4, v228
	s_barrier
	s_waitcnt vmcnt(14)
	ds_write2_b64 v216, v[48:49], v[50:51] offset1:1
	s_waitcnt lgkmcnt(0)
	s_barrier
	ds_read2_b64 v[216:219], v228 offset0:80 offset1:81
	s_cmp_lt_i32 s20, 42
	v_mov_b32_e32 v226, 40
	s_cbranch_scc1 .LBB106_842
; %bb.840:
	v_add_u32_e32 v227, 0x290, v228
	s_mov_b32 s16, 41
	v_mov_b32_e32 v226, 40
.LBB106_841:                            ; =>This Inner Loop Header: Depth=1
	ds_read2_b64 v[232:235], v227 offset1:1
	s_waitcnt lgkmcnt(1)
	v_xor_b32_e32 v223, 0x80000000, v217
	v_xor_b32_e32 v231, 0x80000000, v219
	v_cmp_gt_f64_e32 vcc, 0, v[218:219]
	v_cmp_gt_f64_e64 s[0:1], 0, v[216:217]
	v_mov_b32_e32 v222, v216
	v_mov_b32_e32 v236, v218
	v_cndmask_b32_e64 v223, v217, v223, s[0:1]
	v_cndmask_b32_e32 v237, v219, v231, vcc
	s_waitcnt lgkmcnt(0)
	v_xor_b32_e32 v231, 0x80000000, v233
	v_xor_b32_e32 v239, 0x80000000, v235
	v_cmp_gt_f64_e32 vcc, 0, v[234:235]
	v_cmp_gt_f64_e64 s[0:1], 0, v[232:233]
	v_add_f64 v[222:223], v[222:223], v[236:237]
	v_mov_b32_e32 v236, v232
	v_mov_b32_e32 v238, v234
	v_cndmask_b32_e64 v237, v233, v231, s[0:1]
	v_cndmask_b32_e32 v239, v235, v239, vcc
	v_add_f64 v[236:237], v[236:237], v[238:239]
	v_mov_b32_e32 v240, s16
	s_add_i32 s16, s16, 1
	v_cmp_lt_f64_e32 vcc, v[222:223], v[236:237]
	v_add_u32_e32 v227, 16, v227
	s_cmp_lg_u32 s20, s16
	v_cndmask_b32_e32 v217, v217, v233, vcc
	v_cndmask_b32_e32 v216, v216, v232, vcc
	;; [unrolled: 1-line block ×5, first 2 shown]
	s_cbranch_scc1 .LBB106_841
.LBB106_842:
	s_waitcnt lgkmcnt(0)
	v_cmp_eq_f64_e32 vcc, 0, v[216:217]
	v_cmp_eq_f64_e64 s[0:1], 0, v[218:219]
	s_and_b64 s[0:1], vcc, s[0:1]
	s_and_saveexec_b64 s[16:17], s[0:1]
	s_xor_b64 s[0:1], exec, s[16:17]
; %bb.843:
	v_cmp_ne_u32_e32 vcc, 0, v230
	s_nop 1
	v_cndmask_b32_e32 v230, 41, v230, vcc
; %bb.844:
	s_andn2_saveexec_b64 s[0:1], s[0:1]
	s_cbranch_execz .LBB106_850
; %bb.845:
	v_cmp_ngt_f64_e64 s[16:17], |v[216:217]|, |v[218:219]|
	s_and_saveexec_b64 s[18:19], s[16:17]
	s_xor_b64 s[16:17], exec, s[18:19]
	s_cbranch_execz .LBB106_847
; %bb.846:
	v_div_scale_f64 v[222:223], s[18:19], v[218:219], v[218:219], v[216:217]
	v_rcp_f64_e32 v[232:233], v[222:223]
	v_div_scale_f64 v[234:235], vcc, v[216:217], v[218:219], v[216:217]
	v_fma_f64 v[236:237], -v[222:223], v[232:233], 1.0
	v_fmac_f64_e32 v[232:233], v[232:233], v[236:237]
	v_fma_f64 v[236:237], -v[222:223], v[232:233], 1.0
	v_fmac_f64_e32 v[232:233], v[232:233], v[236:237]
	v_mul_f64 v[236:237], v[234:235], v[232:233]
	v_fma_f64 v[222:223], -v[222:223], v[236:237], v[234:235]
	v_div_fmas_f64 v[222:223], v[222:223], v[232:233], v[236:237]
	v_div_fixup_f64 v[222:223], v[222:223], v[218:219], v[216:217]
	v_fmac_f64_e32 v[218:219], v[216:217], v[222:223]
	v_div_scale_f64 v[216:217], s[18:19], v[218:219], v[218:219], 1.0
	v_rcp_f64_e32 v[232:233], v[216:217]
	s_nop 0
	v_fma_f64 v[234:235], -v[216:217], v[232:233], 1.0
	v_fmac_f64_e32 v[232:233], v[232:233], v[234:235]
	v_fma_f64 v[234:235], -v[216:217], v[232:233], 1.0
	v_fmac_f64_e32 v[232:233], v[232:233], v[234:235]
	v_div_scale_f64 v[234:235], vcc, 1.0, v[218:219], 1.0
	v_mul_f64 v[236:237], v[234:235], v[232:233]
	v_fma_f64 v[216:217], -v[216:217], v[236:237], v[234:235]
	s_nop 1
	v_div_fmas_f64 v[216:217], v[216:217], v[232:233], v[236:237]
	v_div_fixup_f64 v[218:219], v[216:217], v[218:219], 1.0
	v_mul_f64 v[216:217], v[222:223], v[218:219]
	v_xor_b32_e32 v219, 0x80000000, v219
.LBB106_847:
	s_andn2_saveexec_b64 s[16:17], s[16:17]
	s_cbranch_execz .LBB106_849
; %bb.848:
	v_div_scale_f64 v[222:223], s[18:19], v[216:217], v[216:217], v[218:219]
	v_rcp_f64_e32 v[232:233], v[222:223]
	v_div_scale_f64 v[234:235], vcc, v[218:219], v[216:217], v[218:219]
	v_fma_f64 v[236:237], -v[222:223], v[232:233], 1.0
	v_fmac_f64_e32 v[232:233], v[232:233], v[236:237]
	v_fma_f64 v[236:237], -v[222:223], v[232:233], 1.0
	v_fmac_f64_e32 v[232:233], v[232:233], v[236:237]
	v_mul_f64 v[236:237], v[234:235], v[232:233]
	v_fma_f64 v[222:223], -v[222:223], v[236:237], v[234:235]
	v_div_fmas_f64 v[222:223], v[222:223], v[232:233], v[236:237]
	v_div_fixup_f64 v[222:223], v[222:223], v[216:217], v[218:219]
	v_fmac_f64_e32 v[216:217], v[218:219], v[222:223]
	v_div_scale_f64 v[218:219], s[18:19], v[216:217], v[216:217], 1.0
	v_rcp_f64_e32 v[232:233], v[218:219]
	s_nop 0
	v_fma_f64 v[234:235], -v[218:219], v[232:233], 1.0
	v_fmac_f64_e32 v[232:233], v[232:233], v[234:235]
	v_fma_f64 v[234:235], -v[218:219], v[232:233], 1.0
	v_fmac_f64_e32 v[232:233], v[232:233], v[234:235]
	v_div_scale_f64 v[234:235], vcc, 1.0, v[216:217], 1.0
	v_mul_f64 v[236:237], v[234:235], v[232:233]
	v_fma_f64 v[218:219], -v[218:219], v[236:237], v[234:235]
	s_nop 1
	v_div_fmas_f64 v[218:219], v[218:219], v[232:233], v[236:237]
	v_div_fixup_f64 v[216:217], v[218:219], v[216:217], 1.0
	v_mul_f64 v[218:219], v[222:223], -v[216:217]
.LBB106_849:
	s_or_b64 exec, exec, s[16:17]
.LBB106_850:
	s_or_b64 exec, exec, s[0:1]
	v_cmp_ne_u32_e32 vcc, v229, v226
	s_and_saveexec_b64 s[0:1], vcc
	s_xor_b64 s[0:1], exec, s[0:1]
	s_cbranch_execz .LBB106_856
; %bb.851:
	v_cmp_eq_u32_e32 vcc, 40, v229
	s_and_saveexec_b64 s[16:17], vcc
	s_cbranch_execz .LBB106_855
; %bb.852:
	v_cmp_ne_u32_e32 vcc, 40, v226
	s_xor_b64 s[18:19], s[14:15], -1
	s_and_b64 s[22:23], s[18:19], vcc
	s_and_saveexec_b64 s[18:19], s[22:23]
	s_cbranch_execz .LBB106_854
; %bb.853:
	v_ashrrev_i32_e32 v227, 31, v226
	s_waitcnt vmcnt(0)
	v_lshl_add_u64 v[222:223], v[226:227], 2, v[224:225]
	global_load_dword v227, v[222:223], off
	global_load_dword v229, v[224:225], off offset:160
	s_waitcnt vmcnt(1)
	global_store_dword v[224:225], v227, off offset:160
	s_waitcnt vmcnt(1)
	global_store_dword v[222:223], v229, off
.LBB106_854:
	s_or_b64 exec, exec, s[18:19]
	v_mov_b32_e32 v229, v226
	v_mov_b32_e32 v220, v226
.LBB106_855:
	s_or_b64 exec, exec, s[16:17]
.LBB106_856:
	s_andn2_saveexec_b64 s[0:1], s[0:1]
	s_cbranch_execz .LBB106_858
; %bb.857:
	v_mov_b32_e32 v229, 40
	s_waitcnt vmcnt(13)
	ds_write2_b64 v228, v[44:45], v[46:47] offset0:82 offset1:83
	s_waitcnt vmcnt(12)
	ds_write2_b64 v228, v[40:41], v[42:43] offset0:84 offset1:85
	s_waitcnt vmcnt(11)
	ds_write2_b64 v228, v[36:37], v[38:39] offset0:86 offset1:87
	s_waitcnt vmcnt(10)
	ds_write2_b64 v228, v[32:33], v[34:35] offset0:88 offset1:89
	s_waitcnt vmcnt(9)
	ds_write2_b64 v228, v[28:29], v[30:31] offset0:90 offset1:91
	s_waitcnt vmcnt(8)
	ds_write2_b64 v228, v[24:25], v[26:27] offset0:92 offset1:93
	s_waitcnt vmcnt(7)
	ds_write2_b64 v228, v[20:21], v[22:23] offset0:94 offset1:95
	s_waitcnt vmcnt(6)
	ds_write2_b64 v228, v[16:17], v[18:19] offset0:96 offset1:97
	s_waitcnt vmcnt(5)
	ds_write2_b64 v228, v[12:13], v[14:15] offset0:98 offset1:99
	s_waitcnt vmcnt(4)
	ds_write2_b64 v228, v[8:9], v[10:11] offset0:100 offset1:101
	s_waitcnt vmcnt(3)
	ds_write2_b64 v228, v[4:5], v[6:7] offset0:102 offset1:103
	s_waitcnt vmcnt(2)
	ds_write2_b64 v228, v[0:1], v[2:3] offset0:104 offset1:105
	s_waitcnt vmcnt(1)
	ds_write2_b64 v228, v[212:213], v[214:215] offset0:106 offset1:107
.LBB106_858:
	s_or_b64 exec, exec, s[0:1]
	v_cmp_lt_i32_e32 vcc, 40, v229
	s_waitcnt lgkmcnt(0)
	s_barrier
	s_and_saveexec_b64 s[0:1], vcc
	s_cbranch_execz .LBB106_860
; %bb.859:
	ds_read2_b64 v[232:235], v228 offset0:82 offset1:83
	v_mul_f64 v[222:223], v[216:217], v[50:51]
	v_mul_f64 v[50:51], v[218:219], v[50:51]
	v_fmac_f64_e32 v[222:223], v[218:219], v[48:49]
	v_fma_f64 v[48:49], v[216:217], v[48:49], -v[50:51]
	ds_read2_b64 v[216:219], v228 offset0:84 offset1:85
	s_waitcnt lgkmcnt(1)
	v_mul_f64 v[50:51], v[234:235], v[222:223]
	v_fma_f64 v[50:51], v[232:233], v[48:49], -v[50:51]
	v_mul_f64 v[226:227], v[232:233], v[222:223]
	s_waitcnt vmcnt(13)
	v_add_f64 v[44:45], v[44:45], -v[50:51]
	s_waitcnt lgkmcnt(0)
	v_mul_f64 v[50:51], v[218:219], v[222:223]
	v_fmac_f64_e32 v[226:227], v[234:235], v[48:49]
	v_fma_f64 v[50:51], v[216:217], v[48:49], -v[50:51]
	v_mul_f64 v[216:217], v[216:217], v[222:223]
	ds_read2_b64 v[232:235], v228 offset0:86 offset1:87
	v_fmac_f64_e32 v[216:217], v[218:219], v[48:49]
	s_waitcnt vmcnt(12)
	v_add_f64 v[42:43], v[42:43], -v[216:217]
	ds_read2_b64 v[216:219], v228 offset0:88 offset1:89
	v_add_f64 v[40:41], v[40:41], -v[50:51]
	s_waitcnt lgkmcnt(1)
	v_mul_f64 v[50:51], v[234:235], v[222:223]
	v_fma_f64 v[50:51], v[232:233], v[48:49], -v[50:51]
	v_add_f64 v[46:47], v[46:47], -v[226:227]
	v_mul_f64 v[226:227], v[232:233], v[222:223]
	s_waitcnt vmcnt(11)
	v_add_f64 v[36:37], v[36:37], -v[50:51]
	s_waitcnt lgkmcnt(0)
	v_mul_f64 v[50:51], v[218:219], v[222:223]
	v_fmac_f64_e32 v[226:227], v[234:235], v[48:49]
	v_fma_f64 v[50:51], v[216:217], v[48:49], -v[50:51]
	v_mul_f64 v[216:217], v[216:217], v[222:223]
	ds_read2_b64 v[232:235], v228 offset0:90 offset1:91
	v_fmac_f64_e32 v[216:217], v[218:219], v[48:49]
	s_waitcnt vmcnt(10)
	v_add_f64 v[34:35], v[34:35], -v[216:217]
	ds_read2_b64 v[216:219], v228 offset0:92 offset1:93
	v_add_f64 v[32:33], v[32:33], -v[50:51]
	s_waitcnt lgkmcnt(1)
	v_mul_f64 v[50:51], v[234:235], v[222:223]
	v_fma_f64 v[50:51], v[232:233], v[48:49], -v[50:51]
	v_add_f64 v[38:39], v[38:39], -v[226:227]
	;; [unrolled: 18-line block ×3, first 2 shown]
	v_mul_f64 v[226:227], v[232:233], v[222:223]
	s_waitcnt vmcnt(7)
	v_add_f64 v[20:21], v[20:21], -v[50:51]
	s_waitcnt lgkmcnt(0)
	v_mul_f64 v[50:51], v[218:219], v[222:223]
	v_fmac_f64_e32 v[226:227], v[234:235], v[48:49]
	v_fma_f64 v[50:51], v[216:217], v[48:49], -v[50:51]
	v_mul_f64 v[216:217], v[216:217], v[222:223]
	ds_read2_b64 v[232:235], v228 offset0:98 offset1:99
	v_fmac_f64_e32 v[216:217], v[218:219], v[48:49]
	s_waitcnt vmcnt(6)
	v_add_f64 v[18:19], v[18:19], -v[216:217]
	ds_read2_b64 v[216:219], v228 offset0:100 offset1:101
	v_add_f64 v[16:17], v[16:17], -v[50:51]
	s_waitcnt lgkmcnt(1)
	v_mul_f64 v[50:51], v[234:235], v[222:223]
	v_add_f64 v[22:23], v[22:23], -v[226:227]
	v_fma_f64 v[50:51], v[232:233], v[48:49], -v[50:51]
	v_mul_f64 v[226:227], v[232:233], v[222:223]
	v_fmac_f64_e32 v[226:227], v[234:235], v[48:49]
	s_waitcnt vmcnt(5)
	v_add_f64 v[12:13], v[12:13], -v[50:51]
	s_waitcnt lgkmcnt(0)
	v_mul_f64 v[50:51], v[218:219], v[222:223]
	ds_read2_b64 v[232:235], v228 offset0:102 offset1:103
	v_fma_f64 v[50:51], v[216:217], v[48:49], -v[50:51]
	v_mul_f64 v[216:217], v[216:217], v[222:223]
	v_fmac_f64_e32 v[216:217], v[218:219], v[48:49]
	s_waitcnt vmcnt(4)
	v_add_f64 v[10:11], v[10:11], -v[216:217]
	ds_read2_b64 v[216:219], v228 offset0:104 offset1:105
	v_add_f64 v[14:15], v[14:15], -v[226:227]
	v_add_f64 v[8:9], v[8:9], -v[50:51]
	s_waitcnt lgkmcnt(1)
	v_mul_f64 v[50:51], v[234:235], v[222:223]
	v_mul_f64 v[226:227], v[232:233], v[222:223]
	v_fma_f64 v[50:51], v[232:233], v[48:49], -v[50:51]
	v_fmac_f64_e32 v[226:227], v[234:235], v[48:49]
	ds_read2_b64 v[232:235], v228 offset0:106 offset1:107
	s_waitcnt vmcnt(3)
	v_add_f64 v[4:5], v[4:5], -v[50:51]
	s_waitcnt lgkmcnt(1)
	v_mul_f64 v[50:51], v[218:219], v[222:223]
	v_fma_f64 v[50:51], v[216:217], v[48:49], -v[50:51]
	v_mul_f64 v[216:217], v[216:217], v[222:223]
	v_fmac_f64_e32 v[216:217], v[218:219], v[48:49]
	s_waitcnt vmcnt(2)
	v_add_f64 v[0:1], v[0:1], -v[50:51]
	v_add_f64 v[2:3], v[2:3], -v[216:217]
	s_waitcnt lgkmcnt(0)
	v_mul_f64 v[50:51], v[234:235], v[222:223]
	v_mul_f64 v[216:217], v[232:233], v[222:223]
	v_fma_f64 v[50:51], v[232:233], v[48:49], -v[50:51]
	v_fmac_f64_e32 v[216:217], v[234:235], v[48:49]
	v_add_f64 v[6:7], v[6:7], -v[226:227]
	s_waitcnt vmcnt(1)
	v_add_f64 v[212:213], v[212:213], -v[50:51]
	v_add_f64 v[214:215], v[214:215], -v[216:217]
	v_mov_b64_e32 v[50:51], v[222:223]
.LBB106_860:
	s_or_b64 exec, exec, s[0:1]
	v_lshl_add_u32 v216, v229, 4, v228
	s_barrier
	s_waitcnt vmcnt(13)
	ds_write2_b64 v216, v[44:45], v[46:47] offset1:1
	s_waitcnt lgkmcnt(0)
	s_barrier
	ds_read2_b64 v[216:219], v228 offset0:82 offset1:83
	s_cmp_lt_i32 s20, 43
	v_mov_b32_e32 v226, 41
	s_cbranch_scc1 .LBB106_863
; %bb.861:
	v_add_u32_e32 v227, 0x2a0, v228
	s_mov_b32 s16, 42
	v_mov_b32_e32 v226, 41
.LBB106_862:                            ; =>This Inner Loop Header: Depth=1
	ds_read2_b64 v[232:235], v227 offset1:1
	s_waitcnt lgkmcnt(1)
	v_xor_b32_e32 v223, 0x80000000, v217
	v_xor_b32_e32 v231, 0x80000000, v219
	v_cmp_gt_f64_e32 vcc, 0, v[218:219]
	v_cmp_gt_f64_e64 s[0:1], 0, v[216:217]
	v_mov_b32_e32 v222, v216
	v_mov_b32_e32 v236, v218
	v_cndmask_b32_e64 v223, v217, v223, s[0:1]
	v_cndmask_b32_e32 v237, v219, v231, vcc
	s_waitcnt lgkmcnt(0)
	v_xor_b32_e32 v231, 0x80000000, v233
	v_xor_b32_e32 v239, 0x80000000, v235
	v_cmp_gt_f64_e32 vcc, 0, v[234:235]
	v_cmp_gt_f64_e64 s[0:1], 0, v[232:233]
	v_add_f64 v[222:223], v[222:223], v[236:237]
	v_mov_b32_e32 v236, v232
	v_mov_b32_e32 v238, v234
	v_cndmask_b32_e64 v237, v233, v231, s[0:1]
	v_cndmask_b32_e32 v239, v235, v239, vcc
	v_add_f64 v[236:237], v[236:237], v[238:239]
	v_mov_b32_e32 v240, s16
	s_add_i32 s16, s16, 1
	v_cmp_lt_f64_e32 vcc, v[222:223], v[236:237]
	v_add_u32_e32 v227, 16, v227
	s_cmp_lg_u32 s20, s16
	v_cndmask_b32_e32 v217, v217, v233, vcc
	v_cndmask_b32_e32 v216, v216, v232, vcc
	;; [unrolled: 1-line block ×5, first 2 shown]
	s_cbranch_scc1 .LBB106_862
.LBB106_863:
	s_waitcnt lgkmcnt(0)
	v_cmp_eq_f64_e32 vcc, 0, v[216:217]
	v_cmp_eq_f64_e64 s[0:1], 0, v[218:219]
	s_and_b64 s[0:1], vcc, s[0:1]
	s_and_saveexec_b64 s[16:17], s[0:1]
	s_xor_b64 s[0:1], exec, s[16:17]
; %bb.864:
	v_cmp_ne_u32_e32 vcc, 0, v230
	s_nop 1
	v_cndmask_b32_e32 v230, 42, v230, vcc
; %bb.865:
	s_andn2_saveexec_b64 s[0:1], s[0:1]
	s_cbranch_execz .LBB106_871
; %bb.866:
	v_cmp_ngt_f64_e64 s[16:17], |v[216:217]|, |v[218:219]|
	s_and_saveexec_b64 s[18:19], s[16:17]
	s_xor_b64 s[16:17], exec, s[18:19]
	s_cbranch_execz .LBB106_868
; %bb.867:
	v_div_scale_f64 v[222:223], s[18:19], v[218:219], v[218:219], v[216:217]
	v_rcp_f64_e32 v[232:233], v[222:223]
	v_div_scale_f64 v[234:235], vcc, v[216:217], v[218:219], v[216:217]
	v_fma_f64 v[236:237], -v[222:223], v[232:233], 1.0
	v_fmac_f64_e32 v[232:233], v[232:233], v[236:237]
	v_fma_f64 v[236:237], -v[222:223], v[232:233], 1.0
	v_fmac_f64_e32 v[232:233], v[232:233], v[236:237]
	v_mul_f64 v[236:237], v[234:235], v[232:233]
	v_fma_f64 v[222:223], -v[222:223], v[236:237], v[234:235]
	v_div_fmas_f64 v[222:223], v[222:223], v[232:233], v[236:237]
	v_div_fixup_f64 v[222:223], v[222:223], v[218:219], v[216:217]
	v_fmac_f64_e32 v[218:219], v[216:217], v[222:223]
	v_div_scale_f64 v[216:217], s[18:19], v[218:219], v[218:219], 1.0
	v_rcp_f64_e32 v[232:233], v[216:217]
	s_nop 0
	v_fma_f64 v[234:235], -v[216:217], v[232:233], 1.0
	v_fmac_f64_e32 v[232:233], v[232:233], v[234:235]
	v_fma_f64 v[234:235], -v[216:217], v[232:233], 1.0
	v_fmac_f64_e32 v[232:233], v[232:233], v[234:235]
	v_div_scale_f64 v[234:235], vcc, 1.0, v[218:219], 1.0
	v_mul_f64 v[236:237], v[234:235], v[232:233]
	v_fma_f64 v[216:217], -v[216:217], v[236:237], v[234:235]
	s_nop 1
	v_div_fmas_f64 v[216:217], v[216:217], v[232:233], v[236:237]
	v_div_fixup_f64 v[218:219], v[216:217], v[218:219], 1.0
	v_mul_f64 v[216:217], v[222:223], v[218:219]
	v_xor_b32_e32 v219, 0x80000000, v219
.LBB106_868:
	s_andn2_saveexec_b64 s[16:17], s[16:17]
	s_cbranch_execz .LBB106_870
; %bb.869:
	v_div_scale_f64 v[222:223], s[18:19], v[216:217], v[216:217], v[218:219]
	v_rcp_f64_e32 v[232:233], v[222:223]
	v_div_scale_f64 v[234:235], vcc, v[218:219], v[216:217], v[218:219]
	v_fma_f64 v[236:237], -v[222:223], v[232:233], 1.0
	v_fmac_f64_e32 v[232:233], v[232:233], v[236:237]
	v_fma_f64 v[236:237], -v[222:223], v[232:233], 1.0
	v_fmac_f64_e32 v[232:233], v[232:233], v[236:237]
	v_mul_f64 v[236:237], v[234:235], v[232:233]
	v_fma_f64 v[222:223], -v[222:223], v[236:237], v[234:235]
	v_div_fmas_f64 v[222:223], v[222:223], v[232:233], v[236:237]
	v_div_fixup_f64 v[222:223], v[222:223], v[216:217], v[218:219]
	v_fmac_f64_e32 v[216:217], v[218:219], v[222:223]
	v_div_scale_f64 v[218:219], s[18:19], v[216:217], v[216:217], 1.0
	v_rcp_f64_e32 v[232:233], v[218:219]
	s_nop 0
	v_fma_f64 v[234:235], -v[218:219], v[232:233], 1.0
	v_fmac_f64_e32 v[232:233], v[232:233], v[234:235]
	v_fma_f64 v[234:235], -v[218:219], v[232:233], 1.0
	v_fmac_f64_e32 v[232:233], v[232:233], v[234:235]
	v_div_scale_f64 v[234:235], vcc, 1.0, v[216:217], 1.0
	v_mul_f64 v[236:237], v[234:235], v[232:233]
	v_fma_f64 v[218:219], -v[218:219], v[236:237], v[234:235]
	s_nop 1
	v_div_fmas_f64 v[218:219], v[218:219], v[232:233], v[236:237]
	v_div_fixup_f64 v[216:217], v[218:219], v[216:217], 1.0
	v_mul_f64 v[218:219], v[222:223], -v[216:217]
.LBB106_870:
	s_or_b64 exec, exec, s[16:17]
.LBB106_871:
	s_or_b64 exec, exec, s[0:1]
	v_cmp_ne_u32_e32 vcc, v229, v226
	s_and_saveexec_b64 s[0:1], vcc
	s_xor_b64 s[0:1], exec, s[0:1]
	s_cbranch_execz .LBB106_877
; %bb.872:
	v_cmp_eq_u32_e32 vcc, 41, v229
	s_and_saveexec_b64 s[16:17], vcc
	s_cbranch_execz .LBB106_876
; %bb.873:
	v_cmp_ne_u32_e32 vcc, 41, v226
	s_xor_b64 s[18:19], s[14:15], -1
	s_and_b64 s[22:23], s[18:19], vcc
	s_and_saveexec_b64 s[18:19], s[22:23]
	s_cbranch_execz .LBB106_875
; %bb.874:
	v_ashrrev_i32_e32 v227, 31, v226
	s_waitcnt vmcnt(0)
	v_lshl_add_u64 v[222:223], v[226:227], 2, v[224:225]
	global_load_dword v227, v[222:223], off
	global_load_dword v229, v[224:225], off offset:164
	s_waitcnt vmcnt(1)
	global_store_dword v[224:225], v227, off offset:164
	s_waitcnt vmcnt(1)
	global_store_dword v[222:223], v229, off
.LBB106_875:
	s_or_b64 exec, exec, s[18:19]
	v_mov_b32_e32 v229, v226
	v_mov_b32_e32 v220, v226
.LBB106_876:
	s_or_b64 exec, exec, s[16:17]
.LBB106_877:
	s_andn2_saveexec_b64 s[0:1], s[0:1]
	s_cbranch_execz .LBB106_879
; %bb.878:
	v_mov_b32_e32 v229, 41
	s_waitcnt vmcnt(12)
	ds_write2_b64 v228, v[40:41], v[42:43] offset0:84 offset1:85
	s_waitcnt vmcnt(11)
	ds_write2_b64 v228, v[36:37], v[38:39] offset0:86 offset1:87
	;; [unrolled: 2-line block ×12, first 2 shown]
.LBB106_879:
	s_or_b64 exec, exec, s[0:1]
	v_cmp_lt_i32_e32 vcc, 41, v229
	s_waitcnt lgkmcnt(0)
	s_barrier
	s_and_saveexec_b64 s[0:1], vcc
	s_cbranch_execz .LBB106_881
; %bb.880:
	ds_read2_b64 v[232:235], v228 offset0:84 offset1:85
	v_mul_f64 v[222:223], v[216:217], v[46:47]
	v_mul_f64 v[46:47], v[218:219], v[46:47]
	v_fmac_f64_e32 v[222:223], v[218:219], v[44:45]
	v_fma_f64 v[44:45], v[216:217], v[44:45], -v[46:47]
	ds_read2_b64 v[216:219], v228 offset0:86 offset1:87
	s_waitcnt lgkmcnt(1)
	v_mul_f64 v[46:47], v[234:235], v[222:223]
	v_fma_f64 v[46:47], v[232:233], v[44:45], -v[46:47]
	v_mul_f64 v[226:227], v[232:233], v[222:223]
	s_waitcnt vmcnt(12)
	v_add_f64 v[40:41], v[40:41], -v[46:47]
	s_waitcnt lgkmcnt(0)
	v_mul_f64 v[46:47], v[218:219], v[222:223]
	v_fmac_f64_e32 v[226:227], v[234:235], v[44:45]
	v_fma_f64 v[46:47], v[216:217], v[44:45], -v[46:47]
	v_mul_f64 v[216:217], v[216:217], v[222:223]
	ds_read2_b64 v[232:235], v228 offset0:88 offset1:89
	v_fmac_f64_e32 v[216:217], v[218:219], v[44:45]
	s_waitcnt vmcnt(11)
	v_add_f64 v[38:39], v[38:39], -v[216:217]
	ds_read2_b64 v[216:219], v228 offset0:90 offset1:91
	v_add_f64 v[36:37], v[36:37], -v[46:47]
	s_waitcnt lgkmcnt(1)
	v_mul_f64 v[46:47], v[234:235], v[222:223]
	v_fma_f64 v[46:47], v[232:233], v[44:45], -v[46:47]
	v_add_f64 v[42:43], v[42:43], -v[226:227]
	v_mul_f64 v[226:227], v[232:233], v[222:223]
	s_waitcnt vmcnt(10)
	v_add_f64 v[32:33], v[32:33], -v[46:47]
	s_waitcnt lgkmcnt(0)
	v_mul_f64 v[46:47], v[218:219], v[222:223]
	v_fmac_f64_e32 v[226:227], v[234:235], v[44:45]
	v_fma_f64 v[46:47], v[216:217], v[44:45], -v[46:47]
	v_mul_f64 v[216:217], v[216:217], v[222:223]
	ds_read2_b64 v[232:235], v228 offset0:92 offset1:93
	v_fmac_f64_e32 v[216:217], v[218:219], v[44:45]
	s_waitcnt vmcnt(9)
	v_add_f64 v[30:31], v[30:31], -v[216:217]
	ds_read2_b64 v[216:219], v228 offset0:94 offset1:95
	v_add_f64 v[28:29], v[28:29], -v[46:47]
	s_waitcnt lgkmcnt(1)
	v_mul_f64 v[46:47], v[234:235], v[222:223]
	v_fma_f64 v[46:47], v[232:233], v[44:45], -v[46:47]
	v_add_f64 v[34:35], v[34:35], -v[226:227]
	;; [unrolled: 18-line block ×4, first 2 shown]
	v_mul_f64 v[226:227], v[232:233], v[222:223]
	s_waitcnt vmcnt(4)
	v_add_f64 v[8:9], v[8:9], -v[46:47]
	s_waitcnt lgkmcnt(0)
	v_mul_f64 v[46:47], v[218:219], v[222:223]
	v_fmac_f64_e32 v[226:227], v[234:235], v[44:45]
	v_fma_f64 v[46:47], v[216:217], v[44:45], -v[46:47]
	v_mul_f64 v[216:217], v[216:217], v[222:223]
	ds_read2_b64 v[232:235], v228 offset0:104 offset1:105
	v_fmac_f64_e32 v[216:217], v[218:219], v[44:45]
	s_waitcnt vmcnt(3)
	v_add_f64 v[6:7], v[6:7], -v[216:217]
	ds_read2_b64 v[216:219], v228 offset0:106 offset1:107
	v_add_f64 v[4:5], v[4:5], -v[46:47]
	s_waitcnt lgkmcnt(1)
	v_mul_f64 v[46:47], v[234:235], v[222:223]
	v_fma_f64 v[46:47], v[232:233], v[44:45], -v[46:47]
	s_waitcnt vmcnt(2)
	v_add_f64 v[0:1], v[0:1], -v[46:47]
	s_waitcnt lgkmcnt(0)
	v_mul_f64 v[46:47], v[218:219], v[222:223]
	v_add_f64 v[10:11], v[10:11], -v[226:227]
	v_mul_f64 v[226:227], v[232:233], v[222:223]
	v_fma_f64 v[46:47], v[216:217], v[44:45], -v[46:47]
	v_mul_f64 v[216:217], v[216:217], v[222:223]
	v_fmac_f64_e32 v[226:227], v[234:235], v[44:45]
	v_fmac_f64_e32 v[216:217], v[218:219], v[44:45]
	v_add_f64 v[2:3], v[2:3], -v[226:227]
	s_waitcnt vmcnt(1)
	v_add_f64 v[212:213], v[212:213], -v[46:47]
	v_add_f64 v[214:215], v[214:215], -v[216:217]
	v_mov_b64_e32 v[46:47], v[222:223]
.LBB106_881:
	s_or_b64 exec, exec, s[0:1]
	v_lshl_add_u32 v216, v229, 4, v228
	s_barrier
	s_waitcnt vmcnt(12)
	ds_write2_b64 v216, v[40:41], v[42:43] offset1:1
	s_waitcnt lgkmcnt(0)
	s_barrier
	ds_read2_b64 v[216:219], v228 offset0:84 offset1:85
	s_cmp_lt_i32 s20, 44
	v_mov_b32_e32 v226, 42
	s_cbranch_scc1 .LBB106_884
; %bb.882:
	v_add_u32_e32 v227, 0x2b0, v228
	s_mov_b32 s16, 43
	v_mov_b32_e32 v226, 42
.LBB106_883:                            ; =>This Inner Loop Header: Depth=1
	ds_read2_b64 v[232:235], v227 offset1:1
	s_waitcnt lgkmcnt(1)
	v_xor_b32_e32 v223, 0x80000000, v217
	v_xor_b32_e32 v231, 0x80000000, v219
	v_cmp_gt_f64_e32 vcc, 0, v[218:219]
	v_cmp_gt_f64_e64 s[0:1], 0, v[216:217]
	v_mov_b32_e32 v222, v216
	v_mov_b32_e32 v236, v218
	v_cndmask_b32_e64 v223, v217, v223, s[0:1]
	v_cndmask_b32_e32 v237, v219, v231, vcc
	s_waitcnt lgkmcnt(0)
	v_xor_b32_e32 v231, 0x80000000, v233
	v_xor_b32_e32 v239, 0x80000000, v235
	v_cmp_gt_f64_e32 vcc, 0, v[234:235]
	v_cmp_gt_f64_e64 s[0:1], 0, v[232:233]
	v_add_f64 v[222:223], v[222:223], v[236:237]
	v_mov_b32_e32 v236, v232
	v_mov_b32_e32 v238, v234
	v_cndmask_b32_e64 v237, v233, v231, s[0:1]
	v_cndmask_b32_e32 v239, v235, v239, vcc
	v_add_f64 v[236:237], v[236:237], v[238:239]
	v_mov_b32_e32 v240, s16
	s_add_i32 s16, s16, 1
	v_cmp_lt_f64_e32 vcc, v[222:223], v[236:237]
	v_add_u32_e32 v227, 16, v227
	s_cmp_lg_u32 s20, s16
	v_cndmask_b32_e32 v217, v217, v233, vcc
	v_cndmask_b32_e32 v216, v216, v232, vcc
	;; [unrolled: 1-line block ×5, first 2 shown]
	s_cbranch_scc1 .LBB106_883
.LBB106_884:
	s_waitcnt lgkmcnt(0)
	v_cmp_eq_f64_e32 vcc, 0, v[216:217]
	v_cmp_eq_f64_e64 s[0:1], 0, v[218:219]
	s_and_b64 s[0:1], vcc, s[0:1]
	s_and_saveexec_b64 s[16:17], s[0:1]
	s_xor_b64 s[0:1], exec, s[16:17]
; %bb.885:
	v_cmp_ne_u32_e32 vcc, 0, v230
	s_nop 1
	v_cndmask_b32_e32 v230, 43, v230, vcc
; %bb.886:
	s_andn2_saveexec_b64 s[0:1], s[0:1]
	s_cbranch_execz .LBB106_892
; %bb.887:
	v_cmp_ngt_f64_e64 s[16:17], |v[216:217]|, |v[218:219]|
	s_and_saveexec_b64 s[18:19], s[16:17]
	s_xor_b64 s[16:17], exec, s[18:19]
	s_cbranch_execz .LBB106_889
; %bb.888:
	v_div_scale_f64 v[222:223], s[18:19], v[218:219], v[218:219], v[216:217]
	v_rcp_f64_e32 v[232:233], v[222:223]
	v_div_scale_f64 v[234:235], vcc, v[216:217], v[218:219], v[216:217]
	v_fma_f64 v[236:237], -v[222:223], v[232:233], 1.0
	v_fmac_f64_e32 v[232:233], v[232:233], v[236:237]
	v_fma_f64 v[236:237], -v[222:223], v[232:233], 1.0
	v_fmac_f64_e32 v[232:233], v[232:233], v[236:237]
	v_mul_f64 v[236:237], v[234:235], v[232:233]
	v_fma_f64 v[222:223], -v[222:223], v[236:237], v[234:235]
	v_div_fmas_f64 v[222:223], v[222:223], v[232:233], v[236:237]
	v_div_fixup_f64 v[222:223], v[222:223], v[218:219], v[216:217]
	v_fmac_f64_e32 v[218:219], v[216:217], v[222:223]
	v_div_scale_f64 v[216:217], s[18:19], v[218:219], v[218:219], 1.0
	v_rcp_f64_e32 v[232:233], v[216:217]
	s_nop 0
	v_fma_f64 v[234:235], -v[216:217], v[232:233], 1.0
	v_fmac_f64_e32 v[232:233], v[232:233], v[234:235]
	v_fma_f64 v[234:235], -v[216:217], v[232:233], 1.0
	v_fmac_f64_e32 v[232:233], v[232:233], v[234:235]
	v_div_scale_f64 v[234:235], vcc, 1.0, v[218:219], 1.0
	v_mul_f64 v[236:237], v[234:235], v[232:233]
	v_fma_f64 v[216:217], -v[216:217], v[236:237], v[234:235]
	s_nop 1
	v_div_fmas_f64 v[216:217], v[216:217], v[232:233], v[236:237]
	v_div_fixup_f64 v[218:219], v[216:217], v[218:219], 1.0
	v_mul_f64 v[216:217], v[222:223], v[218:219]
	v_xor_b32_e32 v219, 0x80000000, v219
.LBB106_889:
	s_andn2_saveexec_b64 s[16:17], s[16:17]
	s_cbranch_execz .LBB106_891
; %bb.890:
	v_div_scale_f64 v[222:223], s[18:19], v[216:217], v[216:217], v[218:219]
	v_rcp_f64_e32 v[232:233], v[222:223]
	v_div_scale_f64 v[234:235], vcc, v[218:219], v[216:217], v[218:219]
	v_fma_f64 v[236:237], -v[222:223], v[232:233], 1.0
	v_fmac_f64_e32 v[232:233], v[232:233], v[236:237]
	v_fma_f64 v[236:237], -v[222:223], v[232:233], 1.0
	v_fmac_f64_e32 v[232:233], v[232:233], v[236:237]
	v_mul_f64 v[236:237], v[234:235], v[232:233]
	v_fma_f64 v[222:223], -v[222:223], v[236:237], v[234:235]
	v_div_fmas_f64 v[222:223], v[222:223], v[232:233], v[236:237]
	v_div_fixup_f64 v[222:223], v[222:223], v[216:217], v[218:219]
	v_fmac_f64_e32 v[216:217], v[218:219], v[222:223]
	v_div_scale_f64 v[218:219], s[18:19], v[216:217], v[216:217], 1.0
	v_rcp_f64_e32 v[232:233], v[218:219]
	s_nop 0
	v_fma_f64 v[234:235], -v[218:219], v[232:233], 1.0
	v_fmac_f64_e32 v[232:233], v[232:233], v[234:235]
	v_fma_f64 v[234:235], -v[218:219], v[232:233], 1.0
	v_fmac_f64_e32 v[232:233], v[232:233], v[234:235]
	v_div_scale_f64 v[234:235], vcc, 1.0, v[216:217], 1.0
	v_mul_f64 v[236:237], v[234:235], v[232:233]
	v_fma_f64 v[218:219], -v[218:219], v[236:237], v[234:235]
	s_nop 1
	v_div_fmas_f64 v[218:219], v[218:219], v[232:233], v[236:237]
	v_div_fixup_f64 v[216:217], v[218:219], v[216:217], 1.0
	v_mul_f64 v[218:219], v[222:223], -v[216:217]
.LBB106_891:
	s_or_b64 exec, exec, s[16:17]
.LBB106_892:
	s_or_b64 exec, exec, s[0:1]
	v_cmp_ne_u32_e32 vcc, v229, v226
	s_and_saveexec_b64 s[0:1], vcc
	s_xor_b64 s[0:1], exec, s[0:1]
	s_cbranch_execz .LBB106_898
; %bb.893:
	v_cmp_eq_u32_e32 vcc, 42, v229
	s_and_saveexec_b64 s[16:17], vcc
	s_cbranch_execz .LBB106_897
; %bb.894:
	v_cmp_ne_u32_e32 vcc, 42, v226
	s_xor_b64 s[18:19], s[14:15], -1
	s_and_b64 s[22:23], s[18:19], vcc
	s_and_saveexec_b64 s[18:19], s[22:23]
	s_cbranch_execz .LBB106_896
; %bb.895:
	v_ashrrev_i32_e32 v227, 31, v226
	s_waitcnt vmcnt(0)
	v_lshl_add_u64 v[222:223], v[226:227], 2, v[224:225]
	global_load_dword v227, v[222:223], off
	global_load_dword v229, v[224:225], off offset:168
	s_waitcnt vmcnt(1)
	global_store_dword v[224:225], v227, off offset:168
	s_waitcnt vmcnt(1)
	global_store_dword v[222:223], v229, off
.LBB106_896:
	s_or_b64 exec, exec, s[18:19]
	v_mov_b32_e32 v229, v226
	v_mov_b32_e32 v220, v226
.LBB106_897:
	s_or_b64 exec, exec, s[16:17]
.LBB106_898:
	s_andn2_saveexec_b64 s[0:1], s[0:1]
	s_cbranch_execz .LBB106_900
; %bb.899:
	v_mov_b32_e32 v229, 42
	s_waitcnt vmcnt(11)
	ds_write2_b64 v228, v[36:37], v[38:39] offset0:86 offset1:87
	s_waitcnt vmcnt(10)
	ds_write2_b64 v228, v[32:33], v[34:35] offset0:88 offset1:89
	;; [unrolled: 2-line block ×11, first 2 shown]
.LBB106_900:
	s_or_b64 exec, exec, s[0:1]
	v_cmp_lt_i32_e32 vcc, 42, v229
	s_waitcnt lgkmcnt(0)
	s_barrier
	s_and_saveexec_b64 s[0:1], vcc
	s_cbranch_execz .LBB106_902
; %bb.901:
	ds_read2_b64 v[232:235], v228 offset0:86 offset1:87
	v_mul_f64 v[222:223], v[216:217], v[42:43]
	v_mul_f64 v[42:43], v[218:219], v[42:43]
	v_fmac_f64_e32 v[222:223], v[218:219], v[40:41]
	v_fma_f64 v[40:41], v[216:217], v[40:41], -v[42:43]
	ds_read2_b64 v[216:219], v228 offset0:88 offset1:89
	s_waitcnt lgkmcnt(1)
	v_mul_f64 v[42:43], v[234:235], v[222:223]
	v_fma_f64 v[42:43], v[232:233], v[40:41], -v[42:43]
	v_mul_f64 v[226:227], v[232:233], v[222:223]
	s_waitcnt vmcnt(11)
	v_add_f64 v[36:37], v[36:37], -v[42:43]
	s_waitcnt lgkmcnt(0)
	v_mul_f64 v[42:43], v[218:219], v[222:223]
	v_fmac_f64_e32 v[226:227], v[234:235], v[40:41]
	v_fma_f64 v[42:43], v[216:217], v[40:41], -v[42:43]
	v_mul_f64 v[216:217], v[216:217], v[222:223]
	ds_read2_b64 v[232:235], v228 offset0:90 offset1:91
	v_fmac_f64_e32 v[216:217], v[218:219], v[40:41]
	s_waitcnt vmcnt(10)
	v_add_f64 v[34:35], v[34:35], -v[216:217]
	ds_read2_b64 v[216:219], v228 offset0:92 offset1:93
	v_add_f64 v[32:33], v[32:33], -v[42:43]
	s_waitcnt lgkmcnt(1)
	v_mul_f64 v[42:43], v[234:235], v[222:223]
	v_fma_f64 v[42:43], v[232:233], v[40:41], -v[42:43]
	v_add_f64 v[38:39], v[38:39], -v[226:227]
	v_mul_f64 v[226:227], v[232:233], v[222:223]
	s_waitcnt vmcnt(9)
	v_add_f64 v[28:29], v[28:29], -v[42:43]
	s_waitcnt lgkmcnt(0)
	v_mul_f64 v[42:43], v[218:219], v[222:223]
	v_fmac_f64_e32 v[226:227], v[234:235], v[40:41]
	v_fma_f64 v[42:43], v[216:217], v[40:41], -v[42:43]
	v_mul_f64 v[216:217], v[216:217], v[222:223]
	ds_read2_b64 v[232:235], v228 offset0:94 offset1:95
	v_fmac_f64_e32 v[216:217], v[218:219], v[40:41]
	s_waitcnt vmcnt(8)
	v_add_f64 v[26:27], v[26:27], -v[216:217]
	ds_read2_b64 v[216:219], v228 offset0:96 offset1:97
	v_add_f64 v[24:25], v[24:25], -v[42:43]
	s_waitcnt lgkmcnt(1)
	v_mul_f64 v[42:43], v[234:235], v[222:223]
	v_fma_f64 v[42:43], v[232:233], v[40:41], -v[42:43]
	v_add_f64 v[30:31], v[30:31], -v[226:227]
	v_mul_f64 v[226:227], v[232:233], v[222:223]
	s_waitcnt vmcnt(7)
	v_add_f64 v[20:21], v[20:21], -v[42:43]
	s_waitcnt lgkmcnt(0)
	v_mul_f64 v[42:43], v[218:219], v[222:223]
	v_fmac_f64_e32 v[226:227], v[234:235], v[40:41]
	v_fma_f64 v[42:43], v[216:217], v[40:41], -v[42:43]
	v_mul_f64 v[216:217], v[216:217], v[222:223]
	ds_read2_b64 v[232:235], v228 offset0:98 offset1:99
	v_fmac_f64_e32 v[216:217], v[218:219], v[40:41]
	s_waitcnt vmcnt(6)
	v_add_f64 v[18:19], v[18:19], -v[216:217]
	ds_read2_b64 v[216:219], v228 offset0:100 offset1:101
	v_add_f64 v[16:17], v[16:17], -v[42:43]
	s_waitcnt lgkmcnt(1)
	v_mul_f64 v[42:43], v[234:235], v[222:223]
	v_add_f64 v[22:23], v[22:23], -v[226:227]
	v_fma_f64 v[42:43], v[232:233], v[40:41], -v[42:43]
	v_mul_f64 v[226:227], v[232:233], v[222:223]
	v_fmac_f64_e32 v[226:227], v[234:235], v[40:41]
	s_waitcnt vmcnt(5)
	v_add_f64 v[12:13], v[12:13], -v[42:43]
	s_waitcnt lgkmcnt(0)
	v_mul_f64 v[42:43], v[218:219], v[222:223]
	ds_read2_b64 v[232:235], v228 offset0:102 offset1:103
	v_fma_f64 v[42:43], v[216:217], v[40:41], -v[42:43]
	v_mul_f64 v[216:217], v[216:217], v[222:223]
	v_fmac_f64_e32 v[216:217], v[218:219], v[40:41]
	s_waitcnt vmcnt(4)
	v_add_f64 v[10:11], v[10:11], -v[216:217]
	ds_read2_b64 v[216:219], v228 offset0:104 offset1:105
	v_add_f64 v[14:15], v[14:15], -v[226:227]
	v_add_f64 v[8:9], v[8:9], -v[42:43]
	s_waitcnt lgkmcnt(1)
	v_mul_f64 v[42:43], v[234:235], v[222:223]
	v_mul_f64 v[226:227], v[232:233], v[222:223]
	v_fma_f64 v[42:43], v[232:233], v[40:41], -v[42:43]
	v_fmac_f64_e32 v[226:227], v[234:235], v[40:41]
	ds_read2_b64 v[232:235], v228 offset0:106 offset1:107
	s_waitcnt vmcnt(3)
	v_add_f64 v[4:5], v[4:5], -v[42:43]
	s_waitcnt lgkmcnt(1)
	v_mul_f64 v[42:43], v[218:219], v[222:223]
	v_fma_f64 v[42:43], v[216:217], v[40:41], -v[42:43]
	v_mul_f64 v[216:217], v[216:217], v[222:223]
	v_fmac_f64_e32 v[216:217], v[218:219], v[40:41]
	s_waitcnt vmcnt(2)
	v_add_f64 v[0:1], v[0:1], -v[42:43]
	v_add_f64 v[2:3], v[2:3], -v[216:217]
	s_waitcnt lgkmcnt(0)
	v_mul_f64 v[42:43], v[234:235], v[222:223]
	v_mul_f64 v[216:217], v[232:233], v[222:223]
	v_fma_f64 v[42:43], v[232:233], v[40:41], -v[42:43]
	v_fmac_f64_e32 v[216:217], v[234:235], v[40:41]
	v_add_f64 v[6:7], v[6:7], -v[226:227]
	s_waitcnt vmcnt(1)
	v_add_f64 v[212:213], v[212:213], -v[42:43]
	v_add_f64 v[214:215], v[214:215], -v[216:217]
	v_mov_b64_e32 v[42:43], v[222:223]
.LBB106_902:
	s_or_b64 exec, exec, s[0:1]
	v_lshl_add_u32 v216, v229, 4, v228
	s_barrier
	s_waitcnt vmcnt(11)
	ds_write2_b64 v216, v[36:37], v[38:39] offset1:1
	s_waitcnt lgkmcnt(0)
	s_barrier
	ds_read2_b64 v[216:219], v228 offset0:86 offset1:87
	s_cmp_lt_i32 s20, 45
	v_mov_b32_e32 v226, 43
	s_cbranch_scc1 .LBB106_905
; %bb.903:
	v_add_u32_e32 v227, 0x2c0, v228
	s_mov_b32 s16, 44
	v_mov_b32_e32 v226, 43
.LBB106_904:                            ; =>This Inner Loop Header: Depth=1
	ds_read2_b64 v[232:235], v227 offset1:1
	s_waitcnt lgkmcnt(1)
	v_xor_b32_e32 v223, 0x80000000, v217
	v_xor_b32_e32 v231, 0x80000000, v219
	v_cmp_gt_f64_e32 vcc, 0, v[218:219]
	v_cmp_gt_f64_e64 s[0:1], 0, v[216:217]
	v_mov_b32_e32 v222, v216
	v_mov_b32_e32 v236, v218
	v_cndmask_b32_e64 v223, v217, v223, s[0:1]
	v_cndmask_b32_e32 v237, v219, v231, vcc
	s_waitcnt lgkmcnt(0)
	v_xor_b32_e32 v231, 0x80000000, v233
	v_xor_b32_e32 v239, 0x80000000, v235
	v_cmp_gt_f64_e32 vcc, 0, v[234:235]
	v_cmp_gt_f64_e64 s[0:1], 0, v[232:233]
	v_add_f64 v[222:223], v[222:223], v[236:237]
	v_mov_b32_e32 v236, v232
	v_mov_b32_e32 v238, v234
	v_cndmask_b32_e64 v237, v233, v231, s[0:1]
	v_cndmask_b32_e32 v239, v235, v239, vcc
	v_add_f64 v[236:237], v[236:237], v[238:239]
	v_mov_b32_e32 v240, s16
	s_add_i32 s16, s16, 1
	v_cmp_lt_f64_e32 vcc, v[222:223], v[236:237]
	v_add_u32_e32 v227, 16, v227
	s_cmp_lg_u32 s20, s16
	v_cndmask_b32_e32 v217, v217, v233, vcc
	v_cndmask_b32_e32 v216, v216, v232, vcc
	;; [unrolled: 1-line block ×5, first 2 shown]
	s_cbranch_scc1 .LBB106_904
.LBB106_905:
	s_waitcnt lgkmcnt(0)
	v_cmp_eq_f64_e32 vcc, 0, v[216:217]
	v_cmp_eq_f64_e64 s[0:1], 0, v[218:219]
	s_and_b64 s[0:1], vcc, s[0:1]
	s_and_saveexec_b64 s[16:17], s[0:1]
	s_xor_b64 s[0:1], exec, s[16:17]
; %bb.906:
	v_cmp_ne_u32_e32 vcc, 0, v230
	s_nop 1
	v_cndmask_b32_e32 v230, 44, v230, vcc
; %bb.907:
	s_andn2_saveexec_b64 s[0:1], s[0:1]
	s_cbranch_execz .LBB106_913
; %bb.908:
	v_cmp_ngt_f64_e64 s[16:17], |v[216:217]|, |v[218:219]|
	s_and_saveexec_b64 s[18:19], s[16:17]
	s_xor_b64 s[16:17], exec, s[18:19]
	s_cbranch_execz .LBB106_910
; %bb.909:
	v_div_scale_f64 v[222:223], s[18:19], v[218:219], v[218:219], v[216:217]
	v_rcp_f64_e32 v[232:233], v[222:223]
	v_div_scale_f64 v[234:235], vcc, v[216:217], v[218:219], v[216:217]
	v_fma_f64 v[236:237], -v[222:223], v[232:233], 1.0
	v_fmac_f64_e32 v[232:233], v[232:233], v[236:237]
	v_fma_f64 v[236:237], -v[222:223], v[232:233], 1.0
	v_fmac_f64_e32 v[232:233], v[232:233], v[236:237]
	v_mul_f64 v[236:237], v[234:235], v[232:233]
	v_fma_f64 v[222:223], -v[222:223], v[236:237], v[234:235]
	v_div_fmas_f64 v[222:223], v[222:223], v[232:233], v[236:237]
	v_div_fixup_f64 v[222:223], v[222:223], v[218:219], v[216:217]
	v_fmac_f64_e32 v[218:219], v[216:217], v[222:223]
	v_div_scale_f64 v[216:217], s[18:19], v[218:219], v[218:219], 1.0
	v_rcp_f64_e32 v[232:233], v[216:217]
	s_nop 0
	v_fma_f64 v[234:235], -v[216:217], v[232:233], 1.0
	v_fmac_f64_e32 v[232:233], v[232:233], v[234:235]
	v_fma_f64 v[234:235], -v[216:217], v[232:233], 1.0
	v_fmac_f64_e32 v[232:233], v[232:233], v[234:235]
	v_div_scale_f64 v[234:235], vcc, 1.0, v[218:219], 1.0
	v_mul_f64 v[236:237], v[234:235], v[232:233]
	v_fma_f64 v[216:217], -v[216:217], v[236:237], v[234:235]
	s_nop 1
	v_div_fmas_f64 v[216:217], v[216:217], v[232:233], v[236:237]
	v_div_fixup_f64 v[218:219], v[216:217], v[218:219], 1.0
	v_mul_f64 v[216:217], v[222:223], v[218:219]
	v_xor_b32_e32 v219, 0x80000000, v219
.LBB106_910:
	s_andn2_saveexec_b64 s[16:17], s[16:17]
	s_cbranch_execz .LBB106_912
; %bb.911:
	v_div_scale_f64 v[222:223], s[18:19], v[216:217], v[216:217], v[218:219]
	v_rcp_f64_e32 v[232:233], v[222:223]
	v_div_scale_f64 v[234:235], vcc, v[218:219], v[216:217], v[218:219]
	v_fma_f64 v[236:237], -v[222:223], v[232:233], 1.0
	v_fmac_f64_e32 v[232:233], v[232:233], v[236:237]
	v_fma_f64 v[236:237], -v[222:223], v[232:233], 1.0
	v_fmac_f64_e32 v[232:233], v[232:233], v[236:237]
	v_mul_f64 v[236:237], v[234:235], v[232:233]
	v_fma_f64 v[222:223], -v[222:223], v[236:237], v[234:235]
	v_div_fmas_f64 v[222:223], v[222:223], v[232:233], v[236:237]
	v_div_fixup_f64 v[222:223], v[222:223], v[216:217], v[218:219]
	v_fmac_f64_e32 v[216:217], v[218:219], v[222:223]
	v_div_scale_f64 v[218:219], s[18:19], v[216:217], v[216:217], 1.0
	v_rcp_f64_e32 v[232:233], v[218:219]
	s_nop 0
	v_fma_f64 v[234:235], -v[218:219], v[232:233], 1.0
	v_fmac_f64_e32 v[232:233], v[232:233], v[234:235]
	v_fma_f64 v[234:235], -v[218:219], v[232:233], 1.0
	v_fmac_f64_e32 v[232:233], v[232:233], v[234:235]
	v_div_scale_f64 v[234:235], vcc, 1.0, v[216:217], 1.0
	v_mul_f64 v[236:237], v[234:235], v[232:233]
	v_fma_f64 v[218:219], -v[218:219], v[236:237], v[234:235]
	s_nop 1
	v_div_fmas_f64 v[218:219], v[218:219], v[232:233], v[236:237]
	v_div_fixup_f64 v[216:217], v[218:219], v[216:217], 1.0
	v_mul_f64 v[218:219], v[222:223], -v[216:217]
.LBB106_912:
	s_or_b64 exec, exec, s[16:17]
.LBB106_913:
	s_or_b64 exec, exec, s[0:1]
	v_cmp_ne_u32_e32 vcc, v229, v226
	s_and_saveexec_b64 s[0:1], vcc
	s_xor_b64 s[0:1], exec, s[0:1]
	s_cbranch_execz .LBB106_919
; %bb.914:
	v_cmp_eq_u32_e32 vcc, 43, v229
	s_and_saveexec_b64 s[16:17], vcc
	s_cbranch_execz .LBB106_918
; %bb.915:
	v_cmp_ne_u32_e32 vcc, 43, v226
	s_xor_b64 s[18:19], s[14:15], -1
	s_and_b64 s[22:23], s[18:19], vcc
	s_and_saveexec_b64 s[18:19], s[22:23]
	s_cbranch_execz .LBB106_917
; %bb.916:
	v_ashrrev_i32_e32 v227, 31, v226
	s_waitcnt vmcnt(0)
	v_lshl_add_u64 v[222:223], v[226:227], 2, v[224:225]
	global_load_dword v227, v[222:223], off
	global_load_dword v229, v[224:225], off offset:172
	s_waitcnt vmcnt(1)
	global_store_dword v[224:225], v227, off offset:172
	s_waitcnt vmcnt(1)
	global_store_dword v[222:223], v229, off
.LBB106_917:
	s_or_b64 exec, exec, s[18:19]
	v_mov_b32_e32 v229, v226
	v_mov_b32_e32 v220, v226
.LBB106_918:
	s_or_b64 exec, exec, s[16:17]
.LBB106_919:
	s_andn2_saveexec_b64 s[0:1], s[0:1]
	s_cbranch_execz .LBB106_921
; %bb.920:
	v_mov_b32_e32 v229, 43
	s_waitcnt vmcnt(10)
	ds_write2_b64 v228, v[32:33], v[34:35] offset0:88 offset1:89
	s_waitcnt vmcnt(9)
	ds_write2_b64 v228, v[28:29], v[30:31] offset0:90 offset1:91
	;; [unrolled: 2-line block ×10, first 2 shown]
.LBB106_921:
	s_or_b64 exec, exec, s[0:1]
	v_cmp_lt_i32_e32 vcc, 43, v229
	s_waitcnt lgkmcnt(0)
	s_barrier
	s_and_saveexec_b64 s[0:1], vcc
	s_cbranch_execz .LBB106_923
; %bb.922:
	ds_read2_b64 v[232:235], v228 offset0:88 offset1:89
	v_mul_f64 v[222:223], v[216:217], v[38:39]
	v_mul_f64 v[38:39], v[218:219], v[38:39]
	v_fmac_f64_e32 v[222:223], v[218:219], v[36:37]
	v_fma_f64 v[36:37], v[216:217], v[36:37], -v[38:39]
	ds_read2_b64 v[216:219], v228 offset0:90 offset1:91
	s_waitcnt lgkmcnt(1)
	v_mul_f64 v[38:39], v[234:235], v[222:223]
	v_fma_f64 v[38:39], v[232:233], v[36:37], -v[38:39]
	v_mul_f64 v[226:227], v[232:233], v[222:223]
	s_waitcnt vmcnt(10)
	v_add_f64 v[32:33], v[32:33], -v[38:39]
	s_waitcnt lgkmcnt(0)
	v_mul_f64 v[38:39], v[218:219], v[222:223]
	v_fmac_f64_e32 v[226:227], v[234:235], v[36:37]
	v_fma_f64 v[38:39], v[216:217], v[36:37], -v[38:39]
	v_mul_f64 v[216:217], v[216:217], v[222:223]
	ds_read2_b64 v[232:235], v228 offset0:92 offset1:93
	v_fmac_f64_e32 v[216:217], v[218:219], v[36:37]
	s_waitcnt vmcnt(9)
	v_add_f64 v[30:31], v[30:31], -v[216:217]
	ds_read2_b64 v[216:219], v228 offset0:94 offset1:95
	v_add_f64 v[28:29], v[28:29], -v[38:39]
	s_waitcnt lgkmcnt(1)
	v_mul_f64 v[38:39], v[234:235], v[222:223]
	v_fma_f64 v[38:39], v[232:233], v[36:37], -v[38:39]
	v_add_f64 v[34:35], v[34:35], -v[226:227]
	v_mul_f64 v[226:227], v[232:233], v[222:223]
	s_waitcnt vmcnt(8)
	v_add_f64 v[24:25], v[24:25], -v[38:39]
	s_waitcnt lgkmcnt(0)
	v_mul_f64 v[38:39], v[218:219], v[222:223]
	v_fmac_f64_e32 v[226:227], v[234:235], v[36:37]
	v_fma_f64 v[38:39], v[216:217], v[36:37], -v[38:39]
	v_mul_f64 v[216:217], v[216:217], v[222:223]
	ds_read2_b64 v[232:235], v228 offset0:96 offset1:97
	v_fmac_f64_e32 v[216:217], v[218:219], v[36:37]
	s_waitcnt vmcnt(7)
	v_add_f64 v[22:23], v[22:23], -v[216:217]
	ds_read2_b64 v[216:219], v228 offset0:98 offset1:99
	v_add_f64 v[20:21], v[20:21], -v[38:39]
	s_waitcnt lgkmcnt(1)
	v_mul_f64 v[38:39], v[234:235], v[222:223]
	v_fma_f64 v[38:39], v[232:233], v[36:37], -v[38:39]
	v_add_f64 v[26:27], v[26:27], -v[226:227]
	;; [unrolled: 18-line block ×3, first 2 shown]
	v_mul_f64 v[226:227], v[232:233], v[222:223]
	s_waitcnt vmcnt(4)
	v_add_f64 v[8:9], v[8:9], -v[38:39]
	s_waitcnt lgkmcnt(0)
	v_mul_f64 v[38:39], v[218:219], v[222:223]
	v_fmac_f64_e32 v[226:227], v[234:235], v[36:37]
	v_fma_f64 v[38:39], v[216:217], v[36:37], -v[38:39]
	v_mul_f64 v[216:217], v[216:217], v[222:223]
	ds_read2_b64 v[232:235], v228 offset0:104 offset1:105
	v_fmac_f64_e32 v[216:217], v[218:219], v[36:37]
	s_waitcnt vmcnt(3)
	v_add_f64 v[6:7], v[6:7], -v[216:217]
	ds_read2_b64 v[216:219], v228 offset0:106 offset1:107
	v_add_f64 v[4:5], v[4:5], -v[38:39]
	s_waitcnt lgkmcnt(1)
	v_mul_f64 v[38:39], v[234:235], v[222:223]
	v_fma_f64 v[38:39], v[232:233], v[36:37], -v[38:39]
	s_waitcnt vmcnt(2)
	v_add_f64 v[0:1], v[0:1], -v[38:39]
	s_waitcnt lgkmcnt(0)
	v_mul_f64 v[38:39], v[218:219], v[222:223]
	v_add_f64 v[10:11], v[10:11], -v[226:227]
	v_mul_f64 v[226:227], v[232:233], v[222:223]
	v_fma_f64 v[38:39], v[216:217], v[36:37], -v[38:39]
	v_mul_f64 v[216:217], v[216:217], v[222:223]
	v_fmac_f64_e32 v[226:227], v[234:235], v[36:37]
	v_fmac_f64_e32 v[216:217], v[218:219], v[36:37]
	v_add_f64 v[2:3], v[2:3], -v[226:227]
	s_waitcnt vmcnt(1)
	v_add_f64 v[212:213], v[212:213], -v[38:39]
	v_add_f64 v[214:215], v[214:215], -v[216:217]
	v_mov_b64_e32 v[38:39], v[222:223]
.LBB106_923:
	s_or_b64 exec, exec, s[0:1]
	v_lshl_add_u32 v216, v229, 4, v228
	s_barrier
	s_waitcnt vmcnt(10)
	ds_write2_b64 v216, v[32:33], v[34:35] offset1:1
	s_waitcnt lgkmcnt(0)
	s_barrier
	ds_read2_b64 v[216:219], v228 offset0:88 offset1:89
	s_cmp_lt_i32 s20, 46
	v_mov_b32_e32 v226, 44
	s_cbranch_scc1 .LBB106_926
; %bb.924:
	v_add_u32_e32 v227, 0x2d0, v228
	s_mov_b32 s16, 45
	v_mov_b32_e32 v226, 44
.LBB106_925:                            ; =>This Inner Loop Header: Depth=1
	ds_read2_b64 v[232:235], v227 offset1:1
	s_waitcnt lgkmcnt(1)
	v_xor_b32_e32 v223, 0x80000000, v217
	v_xor_b32_e32 v231, 0x80000000, v219
	v_cmp_gt_f64_e32 vcc, 0, v[218:219]
	v_cmp_gt_f64_e64 s[0:1], 0, v[216:217]
	v_mov_b32_e32 v222, v216
	v_mov_b32_e32 v236, v218
	v_cndmask_b32_e64 v223, v217, v223, s[0:1]
	v_cndmask_b32_e32 v237, v219, v231, vcc
	s_waitcnt lgkmcnt(0)
	v_xor_b32_e32 v231, 0x80000000, v233
	v_xor_b32_e32 v239, 0x80000000, v235
	v_cmp_gt_f64_e32 vcc, 0, v[234:235]
	v_cmp_gt_f64_e64 s[0:1], 0, v[232:233]
	v_add_f64 v[222:223], v[222:223], v[236:237]
	v_mov_b32_e32 v236, v232
	v_mov_b32_e32 v238, v234
	v_cndmask_b32_e64 v237, v233, v231, s[0:1]
	v_cndmask_b32_e32 v239, v235, v239, vcc
	v_add_f64 v[236:237], v[236:237], v[238:239]
	v_mov_b32_e32 v240, s16
	s_add_i32 s16, s16, 1
	v_cmp_lt_f64_e32 vcc, v[222:223], v[236:237]
	v_add_u32_e32 v227, 16, v227
	s_cmp_lg_u32 s20, s16
	v_cndmask_b32_e32 v217, v217, v233, vcc
	v_cndmask_b32_e32 v216, v216, v232, vcc
	;; [unrolled: 1-line block ×5, first 2 shown]
	s_cbranch_scc1 .LBB106_925
.LBB106_926:
	s_waitcnt lgkmcnt(0)
	v_cmp_eq_f64_e32 vcc, 0, v[216:217]
	v_cmp_eq_f64_e64 s[0:1], 0, v[218:219]
	s_and_b64 s[0:1], vcc, s[0:1]
	s_and_saveexec_b64 s[16:17], s[0:1]
	s_xor_b64 s[0:1], exec, s[16:17]
; %bb.927:
	v_cmp_ne_u32_e32 vcc, 0, v230
	s_nop 1
	v_cndmask_b32_e32 v230, 45, v230, vcc
; %bb.928:
	s_andn2_saveexec_b64 s[0:1], s[0:1]
	s_cbranch_execz .LBB106_934
; %bb.929:
	v_cmp_ngt_f64_e64 s[16:17], |v[216:217]|, |v[218:219]|
	s_and_saveexec_b64 s[18:19], s[16:17]
	s_xor_b64 s[16:17], exec, s[18:19]
	s_cbranch_execz .LBB106_931
; %bb.930:
	v_div_scale_f64 v[222:223], s[18:19], v[218:219], v[218:219], v[216:217]
	v_rcp_f64_e32 v[232:233], v[222:223]
	v_div_scale_f64 v[234:235], vcc, v[216:217], v[218:219], v[216:217]
	v_fma_f64 v[236:237], -v[222:223], v[232:233], 1.0
	v_fmac_f64_e32 v[232:233], v[232:233], v[236:237]
	v_fma_f64 v[236:237], -v[222:223], v[232:233], 1.0
	v_fmac_f64_e32 v[232:233], v[232:233], v[236:237]
	v_mul_f64 v[236:237], v[234:235], v[232:233]
	v_fma_f64 v[222:223], -v[222:223], v[236:237], v[234:235]
	v_div_fmas_f64 v[222:223], v[222:223], v[232:233], v[236:237]
	v_div_fixup_f64 v[222:223], v[222:223], v[218:219], v[216:217]
	v_fmac_f64_e32 v[218:219], v[216:217], v[222:223]
	v_div_scale_f64 v[216:217], s[18:19], v[218:219], v[218:219], 1.0
	v_rcp_f64_e32 v[232:233], v[216:217]
	s_nop 0
	v_fma_f64 v[234:235], -v[216:217], v[232:233], 1.0
	v_fmac_f64_e32 v[232:233], v[232:233], v[234:235]
	v_fma_f64 v[234:235], -v[216:217], v[232:233], 1.0
	v_fmac_f64_e32 v[232:233], v[232:233], v[234:235]
	v_div_scale_f64 v[234:235], vcc, 1.0, v[218:219], 1.0
	v_mul_f64 v[236:237], v[234:235], v[232:233]
	v_fma_f64 v[216:217], -v[216:217], v[236:237], v[234:235]
	s_nop 1
	v_div_fmas_f64 v[216:217], v[216:217], v[232:233], v[236:237]
	v_div_fixup_f64 v[218:219], v[216:217], v[218:219], 1.0
	v_mul_f64 v[216:217], v[222:223], v[218:219]
	v_xor_b32_e32 v219, 0x80000000, v219
.LBB106_931:
	s_andn2_saveexec_b64 s[16:17], s[16:17]
	s_cbranch_execz .LBB106_933
; %bb.932:
	v_div_scale_f64 v[222:223], s[18:19], v[216:217], v[216:217], v[218:219]
	v_rcp_f64_e32 v[232:233], v[222:223]
	v_div_scale_f64 v[234:235], vcc, v[218:219], v[216:217], v[218:219]
	v_fma_f64 v[236:237], -v[222:223], v[232:233], 1.0
	v_fmac_f64_e32 v[232:233], v[232:233], v[236:237]
	v_fma_f64 v[236:237], -v[222:223], v[232:233], 1.0
	v_fmac_f64_e32 v[232:233], v[232:233], v[236:237]
	v_mul_f64 v[236:237], v[234:235], v[232:233]
	v_fma_f64 v[222:223], -v[222:223], v[236:237], v[234:235]
	v_div_fmas_f64 v[222:223], v[222:223], v[232:233], v[236:237]
	v_div_fixup_f64 v[222:223], v[222:223], v[216:217], v[218:219]
	v_fmac_f64_e32 v[216:217], v[218:219], v[222:223]
	v_div_scale_f64 v[218:219], s[18:19], v[216:217], v[216:217], 1.0
	v_rcp_f64_e32 v[232:233], v[218:219]
	s_nop 0
	v_fma_f64 v[234:235], -v[218:219], v[232:233], 1.0
	v_fmac_f64_e32 v[232:233], v[232:233], v[234:235]
	v_fma_f64 v[234:235], -v[218:219], v[232:233], 1.0
	v_fmac_f64_e32 v[232:233], v[232:233], v[234:235]
	v_div_scale_f64 v[234:235], vcc, 1.0, v[216:217], 1.0
	v_mul_f64 v[236:237], v[234:235], v[232:233]
	v_fma_f64 v[218:219], -v[218:219], v[236:237], v[234:235]
	s_nop 1
	v_div_fmas_f64 v[218:219], v[218:219], v[232:233], v[236:237]
	v_div_fixup_f64 v[216:217], v[218:219], v[216:217], 1.0
	v_mul_f64 v[218:219], v[222:223], -v[216:217]
.LBB106_933:
	s_or_b64 exec, exec, s[16:17]
.LBB106_934:
	s_or_b64 exec, exec, s[0:1]
	v_cmp_ne_u32_e32 vcc, v229, v226
	s_and_saveexec_b64 s[0:1], vcc
	s_xor_b64 s[0:1], exec, s[0:1]
	s_cbranch_execz .LBB106_940
; %bb.935:
	v_cmp_eq_u32_e32 vcc, 44, v229
	s_and_saveexec_b64 s[16:17], vcc
	s_cbranch_execz .LBB106_939
; %bb.936:
	v_cmp_ne_u32_e32 vcc, 44, v226
	s_xor_b64 s[18:19], s[14:15], -1
	s_and_b64 s[22:23], s[18:19], vcc
	s_and_saveexec_b64 s[18:19], s[22:23]
	s_cbranch_execz .LBB106_938
; %bb.937:
	v_ashrrev_i32_e32 v227, 31, v226
	s_waitcnt vmcnt(0)
	v_lshl_add_u64 v[222:223], v[226:227], 2, v[224:225]
	global_load_dword v227, v[222:223], off
	global_load_dword v229, v[224:225], off offset:176
	s_waitcnt vmcnt(1)
	global_store_dword v[224:225], v227, off offset:176
	s_waitcnt vmcnt(1)
	global_store_dword v[222:223], v229, off
.LBB106_938:
	s_or_b64 exec, exec, s[18:19]
	v_mov_b32_e32 v229, v226
	v_mov_b32_e32 v220, v226
.LBB106_939:
	s_or_b64 exec, exec, s[16:17]
.LBB106_940:
	s_andn2_saveexec_b64 s[0:1], s[0:1]
	s_cbranch_execz .LBB106_942
; %bb.941:
	v_mov_b32_e32 v229, 44
	s_waitcnt vmcnt(9)
	ds_write2_b64 v228, v[28:29], v[30:31] offset0:90 offset1:91
	s_waitcnt vmcnt(8)
	ds_write2_b64 v228, v[24:25], v[26:27] offset0:92 offset1:93
	;; [unrolled: 2-line block ×9, first 2 shown]
.LBB106_942:
	s_or_b64 exec, exec, s[0:1]
	v_cmp_lt_i32_e32 vcc, 44, v229
	s_waitcnt lgkmcnt(0)
	s_barrier
	s_and_saveexec_b64 s[0:1], vcc
	s_cbranch_execz .LBB106_944
; %bb.943:
	ds_read2_b64 v[232:235], v228 offset0:90 offset1:91
	v_mul_f64 v[222:223], v[216:217], v[34:35]
	v_mul_f64 v[34:35], v[218:219], v[34:35]
	v_fmac_f64_e32 v[222:223], v[218:219], v[32:33]
	v_fma_f64 v[32:33], v[216:217], v[32:33], -v[34:35]
	ds_read2_b64 v[216:219], v228 offset0:92 offset1:93
	s_waitcnt lgkmcnt(1)
	v_mul_f64 v[34:35], v[234:235], v[222:223]
	v_fma_f64 v[34:35], v[232:233], v[32:33], -v[34:35]
	v_mul_f64 v[226:227], v[232:233], v[222:223]
	s_waitcnt vmcnt(9)
	v_add_f64 v[28:29], v[28:29], -v[34:35]
	s_waitcnt lgkmcnt(0)
	v_mul_f64 v[34:35], v[218:219], v[222:223]
	v_fmac_f64_e32 v[226:227], v[234:235], v[32:33]
	v_fma_f64 v[34:35], v[216:217], v[32:33], -v[34:35]
	v_mul_f64 v[216:217], v[216:217], v[222:223]
	ds_read2_b64 v[232:235], v228 offset0:94 offset1:95
	v_fmac_f64_e32 v[216:217], v[218:219], v[32:33]
	s_waitcnt vmcnt(8)
	v_add_f64 v[26:27], v[26:27], -v[216:217]
	ds_read2_b64 v[216:219], v228 offset0:96 offset1:97
	v_add_f64 v[24:25], v[24:25], -v[34:35]
	s_waitcnt lgkmcnt(1)
	v_mul_f64 v[34:35], v[234:235], v[222:223]
	v_fma_f64 v[34:35], v[232:233], v[32:33], -v[34:35]
	v_add_f64 v[30:31], v[30:31], -v[226:227]
	v_mul_f64 v[226:227], v[232:233], v[222:223]
	s_waitcnt vmcnt(7)
	v_add_f64 v[20:21], v[20:21], -v[34:35]
	s_waitcnt lgkmcnt(0)
	v_mul_f64 v[34:35], v[218:219], v[222:223]
	v_fmac_f64_e32 v[226:227], v[234:235], v[32:33]
	v_fma_f64 v[34:35], v[216:217], v[32:33], -v[34:35]
	v_mul_f64 v[216:217], v[216:217], v[222:223]
	ds_read2_b64 v[232:235], v228 offset0:98 offset1:99
	v_fmac_f64_e32 v[216:217], v[218:219], v[32:33]
	s_waitcnt vmcnt(6)
	v_add_f64 v[18:19], v[18:19], -v[216:217]
	ds_read2_b64 v[216:219], v228 offset0:100 offset1:101
	v_add_f64 v[16:17], v[16:17], -v[34:35]
	s_waitcnt lgkmcnt(1)
	v_mul_f64 v[34:35], v[234:235], v[222:223]
	v_add_f64 v[22:23], v[22:23], -v[226:227]
	v_fma_f64 v[34:35], v[232:233], v[32:33], -v[34:35]
	v_mul_f64 v[226:227], v[232:233], v[222:223]
	v_fmac_f64_e32 v[226:227], v[234:235], v[32:33]
	s_waitcnt vmcnt(5)
	v_add_f64 v[12:13], v[12:13], -v[34:35]
	s_waitcnt lgkmcnt(0)
	v_mul_f64 v[34:35], v[218:219], v[222:223]
	ds_read2_b64 v[232:235], v228 offset0:102 offset1:103
	v_fma_f64 v[34:35], v[216:217], v[32:33], -v[34:35]
	v_mul_f64 v[216:217], v[216:217], v[222:223]
	v_fmac_f64_e32 v[216:217], v[218:219], v[32:33]
	s_waitcnt vmcnt(4)
	v_add_f64 v[10:11], v[10:11], -v[216:217]
	ds_read2_b64 v[216:219], v228 offset0:104 offset1:105
	v_add_f64 v[14:15], v[14:15], -v[226:227]
	v_add_f64 v[8:9], v[8:9], -v[34:35]
	s_waitcnt lgkmcnt(1)
	v_mul_f64 v[34:35], v[234:235], v[222:223]
	v_mul_f64 v[226:227], v[232:233], v[222:223]
	v_fma_f64 v[34:35], v[232:233], v[32:33], -v[34:35]
	v_fmac_f64_e32 v[226:227], v[234:235], v[32:33]
	ds_read2_b64 v[232:235], v228 offset0:106 offset1:107
	s_waitcnt vmcnt(3)
	v_add_f64 v[4:5], v[4:5], -v[34:35]
	s_waitcnt lgkmcnt(1)
	v_mul_f64 v[34:35], v[218:219], v[222:223]
	v_fma_f64 v[34:35], v[216:217], v[32:33], -v[34:35]
	v_mul_f64 v[216:217], v[216:217], v[222:223]
	v_fmac_f64_e32 v[216:217], v[218:219], v[32:33]
	s_waitcnt vmcnt(2)
	v_add_f64 v[0:1], v[0:1], -v[34:35]
	v_add_f64 v[2:3], v[2:3], -v[216:217]
	s_waitcnt lgkmcnt(0)
	v_mul_f64 v[34:35], v[234:235], v[222:223]
	v_mul_f64 v[216:217], v[232:233], v[222:223]
	v_fma_f64 v[34:35], v[232:233], v[32:33], -v[34:35]
	v_fmac_f64_e32 v[216:217], v[234:235], v[32:33]
	v_add_f64 v[6:7], v[6:7], -v[226:227]
	s_waitcnt vmcnt(1)
	v_add_f64 v[212:213], v[212:213], -v[34:35]
	v_add_f64 v[214:215], v[214:215], -v[216:217]
	v_mov_b64_e32 v[34:35], v[222:223]
.LBB106_944:
	s_or_b64 exec, exec, s[0:1]
	v_lshl_add_u32 v216, v229, 4, v228
	s_barrier
	s_waitcnt vmcnt(9)
	ds_write2_b64 v216, v[28:29], v[30:31] offset1:1
	s_waitcnt lgkmcnt(0)
	s_barrier
	ds_read2_b64 v[216:219], v228 offset0:90 offset1:91
	s_cmp_lt_i32 s20, 47
	v_mov_b32_e32 v226, 45
	s_cbranch_scc1 .LBB106_947
; %bb.945:
	v_add_u32_e32 v227, 0x2e0, v228
	s_mov_b32 s16, 46
	v_mov_b32_e32 v226, 45
.LBB106_946:                            ; =>This Inner Loop Header: Depth=1
	ds_read2_b64 v[232:235], v227 offset1:1
	s_waitcnt lgkmcnt(1)
	v_xor_b32_e32 v223, 0x80000000, v217
	v_xor_b32_e32 v231, 0x80000000, v219
	v_cmp_gt_f64_e32 vcc, 0, v[218:219]
	v_cmp_gt_f64_e64 s[0:1], 0, v[216:217]
	v_mov_b32_e32 v222, v216
	v_mov_b32_e32 v236, v218
	v_cndmask_b32_e64 v223, v217, v223, s[0:1]
	v_cndmask_b32_e32 v237, v219, v231, vcc
	s_waitcnt lgkmcnt(0)
	v_xor_b32_e32 v231, 0x80000000, v233
	v_xor_b32_e32 v239, 0x80000000, v235
	v_cmp_gt_f64_e32 vcc, 0, v[234:235]
	v_cmp_gt_f64_e64 s[0:1], 0, v[232:233]
	v_add_f64 v[222:223], v[222:223], v[236:237]
	v_mov_b32_e32 v236, v232
	v_mov_b32_e32 v238, v234
	v_cndmask_b32_e64 v237, v233, v231, s[0:1]
	v_cndmask_b32_e32 v239, v235, v239, vcc
	v_add_f64 v[236:237], v[236:237], v[238:239]
	v_mov_b32_e32 v240, s16
	s_add_i32 s16, s16, 1
	v_cmp_lt_f64_e32 vcc, v[222:223], v[236:237]
	v_add_u32_e32 v227, 16, v227
	s_cmp_lg_u32 s20, s16
	v_cndmask_b32_e32 v217, v217, v233, vcc
	v_cndmask_b32_e32 v216, v216, v232, vcc
	;; [unrolled: 1-line block ×5, first 2 shown]
	s_cbranch_scc1 .LBB106_946
.LBB106_947:
	s_waitcnt lgkmcnt(0)
	v_cmp_eq_f64_e32 vcc, 0, v[216:217]
	v_cmp_eq_f64_e64 s[0:1], 0, v[218:219]
	s_and_b64 s[0:1], vcc, s[0:1]
	s_and_saveexec_b64 s[16:17], s[0:1]
	s_xor_b64 s[0:1], exec, s[16:17]
; %bb.948:
	v_cmp_ne_u32_e32 vcc, 0, v230
	s_nop 1
	v_cndmask_b32_e32 v230, 46, v230, vcc
; %bb.949:
	s_andn2_saveexec_b64 s[0:1], s[0:1]
	s_cbranch_execz .LBB106_955
; %bb.950:
	v_cmp_ngt_f64_e64 s[16:17], |v[216:217]|, |v[218:219]|
	s_and_saveexec_b64 s[18:19], s[16:17]
	s_xor_b64 s[16:17], exec, s[18:19]
	s_cbranch_execz .LBB106_952
; %bb.951:
	v_div_scale_f64 v[222:223], s[18:19], v[218:219], v[218:219], v[216:217]
	v_rcp_f64_e32 v[232:233], v[222:223]
	v_div_scale_f64 v[234:235], vcc, v[216:217], v[218:219], v[216:217]
	v_fma_f64 v[236:237], -v[222:223], v[232:233], 1.0
	v_fmac_f64_e32 v[232:233], v[232:233], v[236:237]
	v_fma_f64 v[236:237], -v[222:223], v[232:233], 1.0
	v_fmac_f64_e32 v[232:233], v[232:233], v[236:237]
	v_mul_f64 v[236:237], v[234:235], v[232:233]
	v_fma_f64 v[222:223], -v[222:223], v[236:237], v[234:235]
	v_div_fmas_f64 v[222:223], v[222:223], v[232:233], v[236:237]
	v_div_fixup_f64 v[222:223], v[222:223], v[218:219], v[216:217]
	v_fmac_f64_e32 v[218:219], v[216:217], v[222:223]
	v_div_scale_f64 v[216:217], s[18:19], v[218:219], v[218:219], 1.0
	v_rcp_f64_e32 v[232:233], v[216:217]
	s_nop 0
	v_fma_f64 v[234:235], -v[216:217], v[232:233], 1.0
	v_fmac_f64_e32 v[232:233], v[232:233], v[234:235]
	v_fma_f64 v[234:235], -v[216:217], v[232:233], 1.0
	v_fmac_f64_e32 v[232:233], v[232:233], v[234:235]
	v_div_scale_f64 v[234:235], vcc, 1.0, v[218:219], 1.0
	v_mul_f64 v[236:237], v[234:235], v[232:233]
	v_fma_f64 v[216:217], -v[216:217], v[236:237], v[234:235]
	s_nop 1
	v_div_fmas_f64 v[216:217], v[216:217], v[232:233], v[236:237]
	v_div_fixup_f64 v[218:219], v[216:217], v[218:219], 1.0
	v_mul_f64 v[216:217], v[222:223], v[218:219]
	v_xor_b32_e32 v219, 0x80000000, v219
.LBB106_952:
	s_andn2_saveexec_b64 s[16:17], s[16:17]
	s_cbranch_execz .LBB106_954
; %bb.953:
	v_div_scale_f64 v[222:223], s[18:19], v[216:217], v[216:217], v[218:219]
	v_rcp_f64_e32 v[232:233], v[222:223]
	v_div_scale_f64 v[234:235], vcc, v[218:219], v[216:217], v[218:219]
	v_fma_f64 v[236:237], -v[222:223], v[232:233], 1.0
	v_fmac_f64_e32 v[232:233], v[232:233], v[236:237]
	v_fma_f64 v[236:237], -v[222:223], v[232:233], 1.0
	v_fmac_f64_e32 v[232:233], v[232:233], v[236:237]
	v_mul_f64 v[236:237], v[234:235], v[232:233]
	v_fma_f64 v[222:223], -v[222:223], v[236:237], v[234:235]
	v_div_fmas_f64 v[222:223], v[222:223], v[232:233], v[236:237]
	v_div_fixup_f64 v[222:223], v[222:223], v[216:217], v[218:219]
	v_fmac_f64_e32 v[216:217], v[218:219], v[222:223]
	v_div_scale_f64 v[218:219], s[18:19], v[216:217], v[216:217], 1.0
	v_rcp_f64_e32 v[232:233], v[218:219]
	s_nop 0
	v_fma_f64 v[234:235], -v[218:219], v[232:233], 1.0
	v_fmac_f64_e32 v[232:233], v[232:233], v[234:235]
	v_fma_f64 v[234:235], -v[218:219], v[232:233], 1.0
	v_fmac_f64_e32 v[232:233], v[232:233], v[234:235]
	v_div_scale_f64 v[234:235], vcc, 1.0, v[216:217], 1.0
	v_mul_f64 v[236:237], v[234:235], v[232:233]
	v_fma_f64 v[218:219], -v[218:219], v[236:237], v[234:235]
	s_nop 1
	v_div_fmas_f64 v[218:219], v[218:219], v[232:233], v[236:237]
	v_div_fixup_f64 v[216:217], v[218:219], v[216:217], 1.0
	v_mul_f64 v[218:219], v[222:223], -v[216:217]
.LBB106_954:
	s_or_b64 exec, exec, s[16:17]
.LBB106_955:
	s_or_b64 exec, exec, s[0:1]
	v_cmp_ne_u32_e32 vcc, v229, v226
	s_and_saveexec_b64 s[0:1], vcc
	s_xor_b64 s[0:1], exec, s[0:1]
	s_cbranch_execz .LBB106_961
; %bb.956:
	v_cmp_eq_u32_e32 vcc, 45, v229
	s_and_saveexec_b64 s[16:17], vcc
	s_cbranch_execz .LBB106_960
; %bb.957:
	v_cmp_ne_u32_e32 vcc, 45, v226
	s_xor_b64 s[18:19], s[14:15], -1
	s_and_b64 s[22:23], s[18:19], vcc
	s_and_saveexec_b64 s[18:19], s[22:23]
	s_cbranch_execz .LBB106_959
; %bb.958:
	v_ashrrev_i32_e32 v227, 31, v226
	s_waitcnt vmcnt(0)
	v_lshl_add_u64 v[222:223], v[226:227], 2, v[224:225]
	global_load_dword v227, v[222:223], off
	global_load_dword v229, v[224:225], off offset:180
	s_waitcnt vmcnt(1)
	global_store_dword v[224:225], v227, off offset:180
	s_waitcnt vmcnt(1)
	global_store_dword v[222:223], v229, off
.LBB106_959:
	s_or_b64 exec, exec, s[18:19]
	v_mov_b32_e32 v229, v226
	v_mov_b32_e32 v220, v226
.LBB106_960:
	s_or_b64 exec, exec, s[16:17]
.LBB106_961:
	s_andn2_saveexec_b64 s[0:1], s[0:1]
	s_cbranch_execz .LBB106_963
; %bb.962:
	v_mov_b32_e32 v229, 45
	s_waitcnt vmcnt(8)
	ds_write2_b64 v228, v[24:25], v[26:27] offset0:92 offset1:93
	s_waitcnt vmcnt(7)
	ds_write2_b64 v228, v[20:21], v[22:23] offset0:94 offset1:95
	s_waitcnt vmcnt(6)
	ds_write2_b64 v228, v[16:17], v[18:19] offset0:96 offset1:97
	s_waitcnt vmcnt(5)
	ds_write2_b64 v228, v[12:13], v[14:15] offset0:98 offset1:99
	s_waitcnt vmcnt(4)
	ds_write2_b64 v228, v[8:9], v[10:11] offset0:100 offset1:101
	s_waitcnt vmcnt(3)
	ds_write2_b64 v228, v[4:5], v[6:7] offset0:102 offset1:103
	s_waitcnt vmcnt(2)
	ds_write2_b64 v228, v[0:1], v[2:3] offset0:104 offset1:105
	s_waitcnt vmcnt(1)
	ds_write2_b64 v228, v[212:213], v[214:215] offset0:106 offset1:107
.LBB106_963:
	s_or_b64 exec, exec, s[0:1]
	v_cmp_lt_i32_e32 vcc, 45, v229
	s_waitcnt lgkmcnt(0)
	s_barrier
	s_and_saveexec_b64 s[0:1], vcc
	s_cbranch_execz .LBB106_965
; %bb.964:
	ds_read2_b64 v[232:235], v228 offset0:92 offset1:93
	v_mul_f64 v[222:223], v[216:217], v[30:31]
	v_mul_f64 v[30:31], v[218:219], v[30:31]
	v_fmac_f64_e32 v[222:223], v[218:219], v[28:29]
	v_fma_f64 v[28:29], v[216:217], v[28:29], -v[30:31]
	ds_read2_b64 v[216:219], v228 offset0:94 offset1:95
	s_waitcnt lgkmcnt(1)
	v_mul_f64 v[30:31], v[234:235], v[222:223]
	v_fma_f64 v[30:31], v[232:233], v[28:29], -v[30:31]
	v_mul_f64 v[226:227], v[232:233], v[222:223]
	s_waitcnt vmcnt(8)
	v_add_f64 v[24:25], v[24:25], -v[30:31]
	s_waitcnt lgkmcnt(0)
	v_mul_f64 v[30:31], v[218:219], v[222:223]
	v_fmac_f64_e32 v[226:227], v[234:235], v[28:29]
	v_fma_f64 v[30:31], v[216:217], v[28:29], -v[30:31]
	v_mul_f64 v[216:217], v[216:217], v[222:223]
	ds_read2_b64 v[232:235], v228 offset0:96 offset1:97
	v_fmac_f64_e32 v[216:217], v[218:219], v[28:29]
	s_waitcnt vmcnt(7)
	v_add_f64 v[22:23], v[22:23], -v[216:217]
	ds_read2_b64 v[216:219], v228 offset0:98 offset1:99
	v_add_f64 v[20:21], v[20:21], -v[30:31]
	s_waitcnt lgkmcnt(1)
	v_mul_f64 v[30:31], v[234:235], v[222:223]
	v_fma_f64 v[30:31], v[232:233], v[28:29], -v[30:31]
	v_add_f64 v[26:27], v[26:27], -v[226:227]
	v_mul_f64 v[226:227], v[232:233], v[222:223]
	s_waitcnt vmcnt(6)
	v_add_f64 v[16:17], v[16:17], -v[30:31]
	s_waitcnt lgkmcnt(0)
	v_mul_f64 v[30:31], v[218:219], v[222:223]
	v_fmac_f64_e32 v[226:227], v[234:235], v[28:29]
	v_fma_f64 v[30:31], v[216:217], v[28:29], -v[30:31]
	v_mul_f64 v[216:217], v[216:217], v[222:223]
	ds_read2_b64 v[232:235], v228 offset0:100 offset1:101
	v_fmac_f64_e32 v[216:217], v[218:219], v[28:29]
	s_waitcnt vmcnt(5)
	v_add_f64 v[14:15], v[14:15], -v[216:217]
	ds_read2_b64 v[216:219], v228 offset0:102 offset1:103
	v_add_f64 v[12:13], v[12:13], -v[30:31]
	s_waitcnt lgkmcnt(1)
	v_mul_f64 v[30:31], v[234:235], v[222:223]
	v_fma_f64 v[30:31], v[232:233], v[28:29], -v[30:31]
	v_add_f64 v[18:19], v[18:19], -v[226:227]
	v_mul_f64 v[226:227], v[232:233], v[222:223]
	s_waitcnt vmcnt(4)
	v_add_f64 v[8:9], v[8:9], -v[30:31]
	s_waitcnt lgkmcnt(0)
	v_mul_f64 v[30:31], v[218:219], v[222:223]
	v_fmac_f64_e32 v[226:227], v[234:235], v[28:29]
	v_fma_f64 v[30:31], v[216:217], v[28:29], -v[30:31]
	v_mul_f64 v[216:217], v[216:217], v[222:223]
	ds_read2_b64 v[232:235], v228 offset0:104 offset1:105
	v_fmac_f64_e32 v[216:217], v[218:219], v[28:29]
	s_waitcnt vmcnt(3)
	v_add_f64 v[6:7], v[6:7], -v[216:217]
	ds_read2_b64 v[216:219], v228 offset0:106 offset1:107
	v_add_f64 v[4:5], v[4:5], -v[30:31]
	s_waitcnt lgkmcnt(1)
	v_mul_f64 v[30:31], v[234:235], v[222:223]
	v_fma_f64 v[30:31], v[232:233], v[28:29], -v[30:31]
	s_waitcnt vmcnt(2)
	v_add_f64 v[0:1], v[0:1], -v[30:31]
	s_waitcnt lgkmcnt(0)
	v_mul_f64 v[30:31], v[218:219], v[222:223]
	v_add_f64 v[10:11], v[10:11], -v[226:227]
	v_mul_f64 v[226:227], v[232:233], v[222:223]
	v_fma_f64 v[30:31], v[216:217], v[28:29], -v[30:31]
	v_mul_f64 v[216:217], v[216:217], v[222:223]
	v_fmac_f64_e32 v[226:227], v[234:235], v[28:29]
	v_fmac_f64_e32 v[216:217], v[218:219], v[28:29]
	v_add_f64 v[2:3], v[2:3], -v[226:227]
	s_waitcnt vmcnt(1)
	v_add_f64 v[212:213], v[212:213], -v[30:31]
	v_add_f64 v[214:215], v[214:215], -v[216:217]
	v_mov_b64_e32 v[30:31], v[222:223]
.LBB106_965:
	s_or_b64 exec, exec, s[0:1]
	v_lshl_add_u32 v216, v229, 4, v228
	s_barrier
	s_waitcnt vmcnt(8)
	ds_write2_b64 v216, v[24:25], v[26:27] offset1:1
	s_waitcnt lgkmcnt(0)
	s_barrier
	ds_read2_b64 v[216:219], v228 offset0:92 offset1:93
	s_cmp_lt_i32 s20, 48
	v_mov_b32_e32 v226, 46
	s_cbranch_scc1 .LBB106_968
; %bb.966:
	v_add_u32_e32 v227, 0x2f0, v228
	s_mov_b32 s16, 47
	v_mov_b32_e32 v226, 46
.LBB106_967:                            ; =>This Inner Loop Header: Depth=1
	ds_read2_b64 v[232:235], v227 offset1:1
	s_waitcnt lgkmcnt(1)
	v_xor_b32_e32 v223, 0x80000000, v217
	v_xor_b32_e32 v231, 0x80000000, v219
	v_cmp_gt_f64_e32 vcc, 0, v[218:219]
	v_cmp_gt_f64_e64 s[0:1], 0, v[216:217]
	v_mov_b32_e32 v222, v216
	v_mov_b32_e32 v236, v218
	v_cndmask_b32_e64 v223, v217, v223, s[0:1]
	v_cndmask_b32_e32 v237, v219, v231, vcc
	s_waitcnt lgkmcnt(0)
	v_xor_b32_e32 v231, 0x80000000, v233
	v_xor_b32_e32 v239, 0x80000000, v235
	v_cmp_gt_f64_e32 vcc, 0, v[234:235]
	v_cmp_gt_f64_e64 s[0:1], 0, v[232:233]
	v_add_f64 v[222:223], v[222:223], v[236:237]
	v_mov_b32_e32 v236, v232
	v_mov_b32_e32 v238, v234
	v_cndmask_b32_e64 v237, v233, v231, s[0:1]
	v_cndmask_b32_e32 v239, v235, v239, vcc
	v_add_f64 v[236:237], v[236:237], v[238:239]
	v_mov_b32_e32 v240, s16
	s_add_i32 s16, s16, 1
	v_cmp_lt_f64_e32 vcc, v[222:223], v[236:237]
	v_add_u32_e32 v227, 16, v227
	s_cmp_lg_u32 s20, s16
	v_cndmask_b32_e32 v217, v217, v233, vcc
	v_cndmask_b32_e32 v216, v216, v232, vcc
	;; [unrolled: 1-line block ×5, first 2 shown]
	s_cbranch_scc1 .LBB106_967
.LBB106_968:
	s_waitcnt lgkmcnt(0)
	v_cmp_eq_f64_e32 vcc, 0, v[216:217]
	v_cmp_eq_f64_e64 s[0:1], 0, v[218:219]
	s_and_b64 s[0:1], vcc, s[0:1]
	s_and_saveexec_b64 s[16:17], s[0:1]
	s_xor_b64 s[0:1], exec, s[16:17]
; %bb.969:
	v_cmp_ne_u32_e32 vcc, 0, v230
	s_nop 1
	v_cndmask_b32_e32 v230, 47, v230, vcc
; %bb.970:
	s_andn2_saveexec_b64 s[0:1], s[0:1]
	s_cbranch_execz .LBB106_976
; %bb.971:
	v_cmp_ngt_f64_e64 s[16:17], |v[216:217]|, |v[218:219]|
	s_and_saveexec_b64 s[18:19], s[16:17]
	s_xor_b64 s[16:17], exec, s[18:19]
	s_cbranch_execz .LBB106_973
; %bb.972:
	v_div_scale_f64 v[222:223], s[18:19], v[218:219], v[218:219], v[216:217]
	v_rcp_f64_e32 v[232:233], v[222:223]
	v_div_scale_f64 v[234:235], vcc, v[216:217], v[218:219], v[216:217]
	v_fma_f64 v[236:237], -v[222:223], v[232:233], 1.0
	v_fmac_f64_e32 v[232:233], v[232:233], v[236:237]
	v_fma_f64 v[236:237], -v[222:223], v[232:233], 1.0
	v_fmac_f64_e32 v[232:233], v[232:233], v[236:237]
	v_mul_f64 v[236:237], v[234:235], v[232:233]
	v_fma_f64 v[222:223], -v[222:223], v[236:237], v[234:235]
	v_div_fmas_f64 v[222:223], v[222:223], v[232:233], v[236:237]
	v_div_fixup_f64 v[222:223], v[222:223], v[218:219], v[216:217]
	v_fmac_f64_e32 v[218:219], v[216:217], v[222:223]
	v_div_scale_f64 v[216:217], s[18:19], v[218:219], v[218:219], 1.0
	v_rcp_f64_e32 v[232:233], v[216:217]
	s_nop 0
	v_fma_f64 v[234:235], -v[216:217], v[232:233], 1.0
	v_fmac_f64_e32 v[232:233], v[232:233], v[234:235]
	v_fma_f64 v[234:235], -v[216:217], v[232:233], 1.0
	v_fmac_f64_e32 v[232:233], v[232:233], v[234:235]
	v_div_scale_f64 v[234:235], vcc, 1.0, v[218:219], 1.0
	v_mul_f64 v[236:237], v[234:235], v[232:233]
	v_fma_f64 v[216:217], -v[216:217], v[236:237], v[234:235]
	s_nop 1
	v_div_fmas_f64 v[216:217], v[216:217], v[232:233], v[236:237]
	v_div_fixup_f64 v[218:219], v[216:217], v[218:219], 1.0
	v_mul_f64 v[216:217], v[222:223], v[218:219]
	v_xor_b32_e32 v219, 0x80000000, v219
.LBB106_973:
	s_andn2_saveexec_b64 s[16:17], s[16:17]
	s_cbranch_execz .LBB106_975
; %bb.974:
	v_div_scale_f64 v[222:223], s[18:19], v[216:217], v[216:217], v[218:219]
	v_rcp_f64_e32 v[232:233], v[222:223]
	v_div_scale_f64 v[234:235], vcc, v[218:219], v[216:217], v[218:219]
	v_fma_f64 v[236:237], -v[222:223], v[232:233], 1.0
	v_fmac_f64_e32 v[232:233], v[232:233], v[236:237]
	v_fma_f64 v[236:237], -v[222:223], v[232:233], 1.0
	v_fmac_f64_e32 v[232:233], v[232:233], v[236:237]
	v_mul_f64 v[236:237], v[234:235], v[232:233]
	v_fma_f64 v[222:223], -v[222:223], v[236:237], v[234:235]
	v_div_fmas_f64 v[222:223], v[222:223], v[232:233], v[236:237]
	v_div_fixup_f64 v[222:223], v[222:223], v[216:217], v[218:219]
	v_fmac_f64_e32 v[216:217], v[218:219], v[222:223]
	v_div_scale_f64 v[218:219], s[18:19], v[216:217], v[216:217], 1.0
	v_rcp_f64_e32 v[232:233], v[218:219]
	s_nop 0
	v_fma_f64 v[234:235], -v[218:219], v[232:233], 1.0
	v_fmac_f64_e32 v[232:233], v[232:233], v[234:235]
	v_fma_f64 v[234:235], -v[218:219], v[232:233], 1.0
	v_fmac_f64_e32 v[232:233], v[232:233], v[234:235]
	v_div_scale_f64 v[234:235], vcc, 1.0, v[216:217], 1.0
	v_mul_f64 v[236:237], v[234:235], v[232:233]
	v_fma_f64 v[218:219], -v[218:219], v[236:237], v[234:235]
	s_nop 1
	v_div_fmas_f64 v[218:219], v[218:219], v[232:233], v[236:237]
	v_div_fixup_f64 v[216:217], v[218:219], v[216:217], 1.0
	v_mul_f64 v[218:219], v[222:223], -v[216:217]
.LBB106_975:
	s_or_b64 exec, exec, s[16:17]
.LBB106_976:
	s_or_b64 exec, exec, s[0:1]
	v_cmp_ne_u32_e32 vcc, v229, v226
	s_and_saveexec_b64 s[0:1], vcc
	s_xor_b64 s[0:1], exec, s[0:1]
	s_cbranch_execz .LBB106_982
; %bb.977:
	v_cmp_eq_u32_e32 vcc, 46, v229
	s_and_saveexec_b64 s[16:17], vcc
	s_cbranch_execz .LBB106_981
; %bb.978:
	v_cmp_ne_u32_e32 vcc, 46, v226
	s_xor_b64 s[18:19], s[14:15], -1
	s_and_b64 s[22:23], s[18:19], vcc
	s_and_saveexec_b64 s[18:19], s[22:23]
	s_cbranch_execz .LBB106_980
; %bb.979:
	v_ashrrev_i32_e32 v227, 31, v226
	s_waitcnt vmcnt(0)
	v_lshl_add_u64 v[222:223], v[226:227], 2, v[224:225]
	global_load_dword v227, v[222:223], off
	global_load_dword v229, v[224:225], off offset:184
	s_waitcnt vmcnt(1)
	global_store_dword v[224:225], v227, off offset:184
	s_waitcnt vmcnt(1)
	global_store_dword v[222:223], v229, off
.LBB106_980:
	s_or_b64 exec, exec, s[18:19]
	v_mov_b32_e32 v229, v226
	v_mov_b32_e32 v220, v226
.LBB106_981:
	s_or_b64 exec, exec, s[16:17]
.LBB106_982:
	s_andn2_saveexec_b64 s[0:1], s[0:1]
	s_cbranch_execz .LBB106_984
; %bb.983:
	v_mov_b32_e32 v229, 46
	s_waitcnt vmcnt(7)
	ds_write2_b64 v228, v[20:21], v[22:23] offset0:94 offset1:95
	s_waitcnt vmcnt(6)
	ds_write2_b64 v228, v[16:17], v[18:19] offset0:96 offset1:97
	;; [unrolled: 2-line block ×7, first 2 shown]
.LBB106_984:
	s_or_b64 exec, exec, s[0:1]
	v_cmp_lt_i32_e32 vcc, 46, v229
	s_waitcnt lgkmcnt(0)
	s_barrier
	s_and_saveexec_b64 s[0:1], vcc
	s_cbranch_execz .LBB106_986
; %bb.985:
	ds_read2_b64 v[232:235], v228 offset0:94 offset1:95
	v_mul_f64 v[222:223], v[216:217], v[26:27]
	v_mul_f64 v[26:27], v[218:219], v[26:27]
	v_fmac_f64_e32 v[222:223], v[218:219], v[24:25]
	v_fma_f64 v[24:25], v[216:217], v[24:25], -v[26:27]
	ds_read2_b64 v[216:219], v228 offset0:96 offset1:97
	s_waitcnt lgkmcnt(1)
	v_mul_f64 v[26:27], v[234:235], v[222:223]
	v_fma_f64 v[26:27], v[232:233], v[24:25], -v[26:27]
	v_mul_f64 v[226:227], v[232:233], v[222:223]
	s_waitcnt vmcnt(7)
	v_add_f64 v[20:21], v[20:21], -v[26:27]
	s_waitcnt lgkmcnt(0)
	v_mul_f64 v[26:27], v[218:219], v[222:223]
	v_fmac_f64_e32 v[226:227], v[234:235], v[24:25]
	v_fma_f64 v[26:27], v[216:217], v[24:25], -v[26:27]
	v_mul_f64 v[216:217], v[216:217], v[222:223]
	ds_read2_b64 v[232:235], v228 offset0:98 offset1:99
	v_fmac_f64_e32 v[216:217], v[218:219], v[24:25]
	s_waitcnt vmcnt(6)
	v_add_f64 v[18:19], v[18:19], -v[216:217]
	ds_read2_b64 v[216:219], v228 offset0:100 offset1:101
	v_add_f64 v[16:17], v[16:17], -v[26:27]
	s_waitcnt lgkmcnt(1)
	v_mul_f64 v[26:27], v[234:235], v[222:223]
	v_add_f64 v[22:23], v[22:23], -v[226:227]
	v_fma_f64 v[26:27], v[232:233], v[24:25], -v[26:27]
	v_mul_f64 v[226:227], v[232:233], v[222:223]
	v_fmac_f64_e32 v[226:227], v[234:235], v[24:25]
	s_waitcnt vmcnt(5)
	v_add_f64 v[12:13], v[12:13], -v[26:27]
	s_waitcnt lgkmcnt(0)
	v_mul_f64 v[26:27], v[218:219], v[222:223]
	ds_read2_b64 v[232:235], v228 offset0:102 offset1:103
	v_fma_f64 v[26:27], v[216:217], v[24:25], -v[26:27]
	v_mul_f64 v[216:217], v[216:217], v[222:223]
	v_fmac_f64_e32 v[216:217], v[218:219], v[24:25]
	s_waitcnt vmcnt(4)
	v_add_f64 v[10:11], v[10:11], -v[216:217]
	ds_read2_b64 v[216:219], v228 offset0:104 offset1:105
	v_add_f64 v[14:15], v[14:15], -v[226:227]
	v_add_f64 v[8:9], v[8:9], -v[26:27]
	s_waitcnt lgkmcnt(1)
	v_mul_f64 v[26:27], v[234:235], v[222:223]
	v_mul_f64 v[226:227], v[232:233], v[222:223]
	v_fma_f64 v[26:27], v[232:233], v[24:25], -v[26:27]
	v_fmac_f64_e32 v[226:227], v[234:235], v[24:25]
	ds_read2_b64 v[232:235], v228 offset0:106 offset1:107
	s_waitcnt vmcnt(3)
	v_add_f64 v[4:5], v[4:5], -v[26:27]
	s_waitcnt lgkmcnt(1)
	v_mul_f64 v[26:27], v[218:219], v[222:223]
	v_fma_f64 v[26:27], v[216:217], v[24:25], -v[26:27]
	v_mul_f64 v[216:217], v[216:217], v[222:223]
	v_fmac_f64_e32 v[216:217], v[218:219], v[24:25]
	s_waitcnt vmcnt(2)
	v_add_f64 v[0:1], v[0:1], -v[26:27]
	v_add_f64 v[2:3], v[2:3], -v[216:217]
	s_waitcnt lgkmcnt(0)
	v_mul_f64 v[26:27], v[234:235], v[222:223]
	v_mul_f64 v[216:217], v[232:233], v[222:223]
	v_fma_f64 v[26:27], v[232:233], v[24:25], -v[26:27]
	v_fmac_f64_e32 v[216:217], v[234:235], v[24:25]
	v_add_f64 v[6:7], v[6:7], -v[226:227]
	s_waitcnt vmcnt(1)
	v_add_f64 v[212:213], v[212:213], -v[26:27]
	v_add_f64 v[214:215], v[214:215], -v[216:217]
	v_mov_b64_e32 v[26:27], v[222:223]
.LBB106_986:
	s_or_b64 exec, exec, s[0:1]
	v_lshl_add_u32 v216, v229, 4, v228
	s_barrier
	s_waitcnt vmcnt(7)
	ds_write2_b64 v216, v[20:21], v[22:23] offset1:1
	s_waitcnt lgkmcnt(0)
	s_barrier
	ds_read2_b64 v[216:219], v228 offset0:94 offset1:95
	s_cmp_lt_i32 s20, 49
	v_mov_b32_e32 v226, 47
	s_cbranch_scc1 .LBB106_989
; %bb.987:
	v_add_u32_e32 v227, 0x300, v228
	s_mov_b32 s16, 48
	v_mov_b32_e32 v226, 47
.LBB106_988:                            ; =>This Inner Loop Header: Depth=1
	ds_read2_b64 v[232:235], v227 offset1:1
	s_waitcnt lgkmcnt(1)
	v_xor_b32_e32 v223, 0x80000000, v217
	v_xor_b32_e32 v231, 0x80000000, v219
	v_cmp_gt_f64_e32 vcc, 0, v[218:219]
	v_cmp_gt_f64_e64 s[0:1], 0, v[216:217]
	v_mov_b32_e32 v222, v216
	v_mov_b32_e32 v236, v218
	v_cndmask_b32_e64 v223, v217, v223, s[0:1]
	v_cndmask_b32_e32 v237, v219, v231, vcc
	s_waitcnt lgkmcnt(0)
	v_xor_b32_e32 v231, 0x80000000, v233
	v_xor_b32_e32 v239, 0x80000000, v235
	v_cmp_gt_f64_e32 vcc, 0, v[234:235]
	v_cmp_gt_f64_e64 s[0:1], 0, v[232:233]
	v_add_f64 v[222:223], v[222:223], v[236:237]
	v_mov_b32_e32 v236, v232
	v_mov_b32_e32 v238, v234
	v_cndmask_b32_e64 v237, v233, v231, s[0:1]
	v_cndmask_b32_e32 v239, v235, v239, vcc
	v_add_f64 v[236:237], v[236:237], v[238:239]
	v_mov_b32_e32 v240, s16
	s_add_i32 s16, s16, 1
	v_cmp_lt_f64_e32 vcc, v[222:223], v[236:237]
	v_add_u32_e32 v227, 16, v227
	s_cmp_lg_u32 s20, s16
	v_cndmask_b32_e32 v217, v217, v233, vcc
	v_cndmask_b32_e32 v216, v216, v232, vcc
	;; [unrolled: 1-line block ×5, first 2 shown]
	s_cbranch_scc1 .LBB106_988
.LBB106_989:
	s_waitcnt lgkmcnt(0)
	v_cmp_eq_f64_e32 vcc, 0, v[216:217]
	v_cmp_eq_f64_e64 s[0:1], 0, v[218:219]
	s_and_b64 s[0:1], vcc, s[0:1]
	s_and_saveexec_b64 s[16:17], s[0:1]
	s_xor_b64 s[0:1], exec, s[16:17]
; %bb.990:
	v_cmp_ne_u32_e32 vcc, 0, v230
	s_nop 1
	v_cndmask_b32_e32 v230, 48, v230, vcc
; %bb.991:
	s_andn2_saveexec_b64 s[0:1], s[0:1]
	s_cbranch_execz .LBB106_997
; %bb.992:
	v_cmp_ngt_f64_e64 s[16:17], |v[216:217]|, |v[218:219]|
	s_and_saveexec_b64 s[18:19], s[16:17]
	s_xor_b64 s[16:17], exec, s[18:19]
	s_cbranch_execz .LBB106_994
; %bb.993:
	v_div_scale_f64 v[222:223], s[18:19], v[218:219], v[218:219], v[216:217]
	v_rcp_f64_e32 v[232:233], v[222:223]
	v_div_scale_f64 v[234:235], vcc, v[216:217], v[218:219], v[216:217]
	v_fma_f64 v[236:237], -v[222:223], v[232:233], 1.0
	v_fmac_f64_e32 v[232:233], v[232:233], v[236:237]
	v_fma_f64 v[236:237], -v[222:223], v[232:233], 1.0
	v_fmac_f64_e32 v[232:233], v[232:233], v[236:237]
	v_mul_f64 v[236:237], v[234:235], v[232:233]
	v_fma_f64 v[222:223], -v[222:223], v[236:237], v[234:235]
	v_div_fmas_f64 v[222:223], v[222:223], v[232:233], v[236:237]
	v_div_fixup_f64 v[222:223], v[222:223], v[218:219], v[216:217]
	v_fmac_f64_e32 v[218:219], v[216:217], v[222:223]
	v_div_scale_f64 v[216:217], s[18:19], v[218:219], v[218:219], 1.0
	v_rcp_f64_e32 v[232:233], v[216:217]
	s_nop 0
	v_fma_f64 v[234:235], -v[216:217], v[232:233], 1.0
	v_fmac_f64_e32 v[232:233], v[232:233], v[234:235]
	v_fma_f64 v[234:235], -v[216:217], v[232:233], 1.0
	v_fmac_f64_e32 v[232:233], v[232:233], v[234:235]
	v_div_scale_f64 v[234:235], vcc, 1.0, v[218:219], 1.0
	v_mul_f64 v[236:237], v[234:235], v[232:233]
	v_fma_f64 v[216:217], -v[216:217], v[236:237], v[234:235]
	s_nop 1
	v_div_fmas_f64 v[216:217], v[216:217], v[232:233], v[236:237]
	v_div_fixup_f64 v[218:219], v[216:217], v[218:219], 1.0
	v_mul_f64 v[216:217], v[222:223], v[218:219]
	v_xor_b32_e32 v219, 0x80000000, v219
.LBB106_994:
	s_andn2_saveexec_b64 s[16:17], s[16:17]
	s_cbranch_execz .LBB106_996
; %bb.995:
	v_div_scale_f64 v[222:223], s[18:19], v[216:217], v[216:217], v[218:219]
	v_rcp_f64_e32 v[232:233], v[222:223]
	v_div_scale_f64 v[234:235], vcc, v[218:219], v[216:217], v[218:219]
	v_fma_f64 v[236:237], -v[222:223], v[232:233], 1.0
	v_fmac_f64_e32 v[232:233], v[232:233], v[236:237]
	v_fma_f64 v[236:237], -v[222:223], v[232:233], 1.0
	v_fmac_f64_e32 v[232:233], v[232:233], v[236:237]
	v_mul_f64 v[236:237], v[234:235], v[232:233]
	v_fma_f64 v[222:223], -v[222:223], v[236:237], v[234:235]
	v_div_fmas_f64 v[222:223], v[222:223], v[232:233], v[236:237]
	v_div_fixup_f64 v[222:223], v[222:223], v[216:217], v[218:219]
	v_fmac_f64_e32 v[216:217], v[218:219], v[222:223]
	v_div_scale_f64 v[218:219], s[18:19], v[216:217], v[216:217], 1.0
	v_rcp_f64_e32 v[232:233], v[218:219]
	s_nop 0
	v_fma_f64 v[234:235], -v[218:219], v[232:233], 1.0
	v_fmac_f64_e32 v[232:233], v[232:233], v[234:235]
	v_fma_f64 v[234:235], -v[218:219], v[232:233], 1.0
	v_fmac_f64_e32 v[232:233], v[232:233], v[234:235]
	v_div_scale_f64 v[234:235], vcc, 1.0, v[216:217], 1.0
	v_mul_f64 v[236:237], v[234:235], v[232:233]
	v_fma_f64 v[218:219], -v[218:219], v[236:237], v[234:235]
	s_nop 1
	v_div_fmas_f64 v[218:219], v[218:219], v[232:233], v[236:237]
	v_div_fixup_f64 v[216:217], v[218:219], v[216:217], 1.0
	v_mul_f64 v[218:219], v[222:223], -v[216:217]
.LBB106_996:
	s_or_b64 exec, exec, s[16:17]
.LBB106_997:
	s_or_b64 exec, exec, s[0:1]
	v_cmp_ne_u32_e32 vcc, v229, v226
	s_and_saveexec_b64 s[0:1], vcc
	s_xor_b64 s[0:1], exec, s[0:1]
	s_cbranch_execz .LBB106_1003
; %bb.998:
	v_cmp_eq_u32_e32 vcc, 47, v229
	s_and_saveexec_b64 s[16:17], vcc
	s_cbranch_execz .LBB106_1002
; %bb.999:
	v_cmp_ne_u32_e32 vcc, 47, v226
	s_xor_b64 s[18:19], s[14:15], -1
	s_and_b64 s[22:23], s[18:19], vcc
	s_and_saveexec_b64 s[18:19], s[22:23]
	s_cbranch_execz .LBB106_1001
; %bb.1000:
	v_ashrrev_i32_e32 v227, 31, v226
	s_waitcnt vmcnt(0)
	v_lshl_add_u64 v[222:223], v[226:227], 2, v[224:225]
	global_load_dword v227, v[222:223], off
	global_load_dword v229, v[224:225], off offset:188
	s_waitcnt vmcnt(1)
	global_store_dword v[224:225], v227, off offset:188
	s_waitcnt vmcnt(1)
	global_store_dword v[222:223], v229, off
.LBB106_1001:
	s_or_b64 exec, exec, s[18:19]
	v_mov_b32_e32 v229, v226
	v_mov_b32_e32 v220, v226
.LBB106_1002:
	s_or_b64 exec, exec, s[16:17]
.LBB106_1003:
	s_andn2_saveexec_b64 s[0:1], s[0:1]
	s_cbranch_execz .LBB106_1005
; %bb.1004:
	v_mov_b32_e32 v229, 47
	s_waitcnt vmcnt(6)
	ds_write2_b64 v228, v[16:17], v[18:19] offset0:96 offset1:97
	s_waitcnt vmcnt(5)
	ds_write2_b64 v228, v[12:13], v[14:15] offset0:98 offset1:99
	;; [unrolled: 2-line block ×6, first 2 shown]
.LBB106_1005:
	s_or_b64 exec, exec, s[0:1]
	v_cmp_lt_i32_e32 vcc, 47, v229
	s_waitcnt lgkmcnt(0)
	s_barrier
	s_and_saveexec_b64 s[0:1], vcc
	s_cbranch_execz .LBB106_1007
; %bb.1006:
	ds_read2_b64 v[232:235], v228 offset0:96 offset1:97
	v_mul_f64 v[222:223], v[216:217], v[22:23]
	v_mul_f64 v[22:23], v[218:219], v[22:23]
	v_fmac_f64_e32 v[222:223], v[218:219], v[20:21]
	v_fma_f64 v[20:21], v[216:217], v[20:21], -v[22:23]
	ds_read2_b64 v[216:219], v228 offset0:98 offset1:99
	s_waitcnt lgkmcnt(1)
	v_mul_f64 v[22:23], v[234:235], v[222:223]
	v_fma_f64 v[22:23], v[232:233], v[20:21], -v[22:23]
	v_mul_f64 v[226:227], v[232:233], v[222:223]
	s_waitcnt vmcnt(6)
	v_add_f64 v[16:17], v[16:17], -v[22:23]
	s_waitcnt lgkmcnt(0)
	v_mul_f64 v[22:23], v[218:219], v[222:223]
	v_fmac_f64_e32 v[226:227], v[234:235], v[20:21]
	v_fma_f64 v[22:23], v[216:217], v[20:21], -v[22:23]
	v_mul_f64 v[216:217], v[216:217], v[222:223]
	ds_read2_b64 v[232:235], v228 offset0:100 offset1:101
	v_fmac_f64_e32 v[216:217], v[218:219], v[20:21]
	s_waitcnt vmcnt(5)
	v_add_f64 v[14:15], v[14:15], -v[216:217]
	ds_read2_b64 v[216:219], v228 offset0:102 offset1:103
	v_add_f64 v[12:13], v[12:13], -v[22:23]
	s_waitcnt lgkmcnt(1)
	v_mul_f64 v[22:23], v[234:235], v[222:223]
	v_fma_f64 v[22:23], v[232:233], v[20:21], -v[22:23]
	v_add_f64 v[18:19], v[18:19], -v[226:227]
	v_mul_f64 v[226:227], v[232:233], v[222:223]
	s_waitcnt vmcnt(4)
	v_add_f64 v[8:9], v[8:9], -v[22:23]
	s_waitcnt lgkmcnt(0)
	v_mul_f64 v[22:23], v[218:219], v[222:223]
	v_fmac_f64_e32 v[226:227], v[234:235], v[20:21]
	v_fma_f64 v[22:23], v[216:217], v[20:21], -v[22:23]
	v_mul_f64 v[216:217], v[216:217], v[222:223]
	ds_read2_b64 v[232:235], v228 offset0:104 offset1:105
	v_fmac_f64_e32 v[216:217], v[218:219], v[20:21]
	s_waitcnt vmcnt(3)
	v_add_f64 v[6:7], v[6:7], -v[216:217]
	ds_read2_b64 v[216:219], v228 offset0:106 offset1:107
	v_add_f64 v[4:5], v[4:5], -v[22:23]
	s_waitcnt lgkmcnt(1)
	v_mul_f64 v[22:23], v[234:235], v[222:223]
	v_fma_f64 v[22:23], v[232:233], v[20:21], -v[22:23]
	s_waitcnt vmcnt(2)
	v_add_f64 v[0:1], v[0:1], -v[22:23]
	s_waitcnt lgkmcnt(0)
	v_mul_f64 v[22:23], v[218:219], v[222:223]
	v_add_f64 v[10:11], v[10:11], -v[226:227]
	v_mul_f64 v[226:227], v[232:233], v[222:223]
	v_fma_f64 v[22:23], v[216:217], v[20:21], -v[22:23]
	v_mul_f64 v[216:217], v[216:217], v[222:223]
	v_fmac_f64_e32 v[226:227], v[234:235], v[20:21]
	v_fmac_f64_e32 v[216:217], v[218:219], v[20:21]
	v_add_f64 v[2:3], v[2:3], -v[226:227]
	s_waitcnt vmcnt(1)
	v_add_f64 v[212:213], v[212:213], -v[22:23]
	v_add_f64 v[214:215], v[214:215], -v[216:217]
	v_mov_b64_e32 v[22:23], v[222:223]
.LBB106_1007:
	s_or_b64 exec, exec, s[0:1]
	v_lshl_add_u32 v216, v229, 4, v228
	s_barrier
	s_waitcnt vmcnt(6)
	ds_write2_b64 v216, v[16:17], v[18:19] offset1:1
	s_waitcnt lgkmcnt(0)
	s_barrier
	ds_read2_b64 v[216:219], v228 offset0:96 offset1:97
	s_cmp_lt_i32 s20, 50
	v_mov_b32_e32 v226, 48
	s_cbranch_scc1 .LBB106_1010
; %bb.1008:
	v_add_u32_e32 v227, 0x310, v228
	s_mov_b32 s16, 49
	v_mov_b32_e32 v226, 48
.LBB106_1009:                           ; =>This Inner Loop Header: Depth=1
	ds_read2_b64 v[232:235], v227 offset1:1
	s_waitcnt lgkmcnt(1)
	v_xor_b32_e32 v223, 0x80000000, v217
	v_xor_b32_e32 v231, 0x80000000, v219
	v_cmp_gt_f64_e32 vcc, 0, v[218:219]
	v_cmp_gt_f64_e64 s[0:1], 0, v[216:217]
	v_mov_b32_e32 v222, v216
	v_mov_b32_e32 v236, v218
	v_cndmask_b32_e64 v223, v217, v223, s[0:1]
	v_cndmask_b32_e32 v237, v219, v231, vcc
	s_waitcnt lgkmcnt(0)
	v_xor_b32_e32 v231, 0x80000000, v233
	v_xor_b32_e32 v239, 0x80000000, v235
	v_cmp_gt_f64_e32 vcc, 0, v[234:235]
	v_cmp_gt_f64_e64 s[0:1], 0, v[232:233]
	v_add_f64 v[222:223], v[222:223], v[236:237]
	v_mov_b32_e32 v236, v232
	v_mov_b32_e32 v238, v234
	v_cndmask_b32_e64 v237, v233, v231, s[0:1]
	v_cndmask_b32_e32 v239, v235, v239, vcc
	v_add_f64 v[236:237], v[236:237], v[238:239]
	v_mov_b32_e32 v240, s16
	s_add_i32 s16, s16, 1
	v_cmp_lt_f64_e32 vcc, v[222:223], v[236:237]
	v_add_u32_e32 v227, 16, v227
	s_cmp_lg_u32 s20, s16
	v_cndmask_b32_e32 v217, v217, v233, vcc
	v_cndmask_b32_e32 v216, v216, v232, vcc
	;; [unrolled: 1-line block ×5, first 2 shown]
	s_cbranch_scc1 .LBB106_1009
.LBB106_1010:
	s_waitcnt lgkmcnt(0)
	v_cmp_eq_f64_e32 vcc, 0, v[216:217]
	v_cmp_eq_f64_e64 s[0:1], 0, v[218:219]
	s_and_b64 s[0:1], vcc, s[0:1]
	s_and_saveexec_b64 s[16:17], s[0:1]
	s_xor_b64 s[0:1], exec, s[16:17]
; %bb.1011:
	v_cmp_ne_u32_e32 vcc, 0, v230
	s_nop 1
	v_cndmask_b32_e32 v230, 49, v230, vcc
; %bb.1012:
	s_andn2_saveexec_b64 s[0:1], s[0:1]
	s_cbranch_execz .LBB106_1018
; %bb.1013:
	v_cmp_ngt_f64_e64 s[16:17], |v[216:217]|, |v[218:219]|
	s_and_saveexec_b64 s[18:19], s[16:17]
	s_xor_b64 s[16:17], exec, s[18:19]
	s_cbranch_execz .LBB106_1015
; %bb.1014:
	v_div_scale_f64 v[222:223], s[18:19], v[218:219], v[218:219], v[216:217]
	v_rcp_f64_e32 v[232:233], v[222:223]
	v_div_scale_f64 v[234:235], vcc, v[216:217], v[218:219], v[216:217]
	v_fma_f64 v[236:237], -v[222:223], v[232:233], 1.0
	v_fmac_f64_e32 v[232:233], v[232:233], v[236:237]
	v_fma_f64 v[236:237], -v[222:223], v[232:233], 1.0
	v_fmac_f64_e32 v[232:233], v[232:233], v[236:237]
	v_mul_f64 v[236:237], v[234:235], v[232:233]
	v_fma_f64 v[222:223], -v[222:223], v[236:237], v[234:235]
	v_div_fmas_f64 v[222:223], v[222:223], v[232:233], v[236:237]
	v_div_fixup_f64 v[222:223], v[222:223], v[218:219], v[216:217]
	v_fmac_f64_e32 v[218:219], v[216:217], v[222:223]
	v_div_scale_f64 v[216:217], s[18:19], v[218:219], v[218:219], 1.0
	v_rcp_f64_e32 v[232:233], v[216:217]
	s_nop 0
	v_fma_f64 v[234:235], -v[216:217], v[232:233], 1.0
	v_fmac_f64_e32 v[232:233], v[232:233], v[234:235]
	v_fma_f64 v[234:235], -v[216:217], v[232:233], 1.0
	v_fmac_f64_e32 v[232:233], v[232:233], v[234:235]
	v_div_scale_f64 v[234:235], vcc, 1.0, v[218:219], 1.0
	v_mul_f64 v[236:237], v[234:235], v[232:233]
	v_fma_f64 v[216:217], -v[216:217], v[236:237], v[234:235]
	s_nop 1
	v_div_fmas_f64 v[216:217], v[216:217], v[232:233], v[236:237]
	v_div_fixup_f64 v[218:219], v[216:217], v[218:219], 1.0
	v_mul_f64 v[216:217], v[222:223], v[218:219]
	v_xor_b32_e32 v219, 0x80000000, v219
.LBB106_1015:
	s_andn2_saveexec_b64 s[16:17], s[16:17]
	s_cbranch_execz .LBB106_1017
; %bb.1016:
	v_div_scale_f64 v[222:223], s[18:19], v[216:217], v[216:217], v[218:219]
	v_rcp_f64_e32 v[232:233], v[222:223]
	v_div_scale_f64 v[234:235], vcc, v[218:219], v[216:217], v[218:219]
	v_fma_f64 v[236:237], -v[222:223], v[232:233], 1.0
	v_fmac_f64_e32 v[232:233], v[232:233], v[236:237]
	v_fma_f64 v[236:237], -v[222:223], v[232:233], 1.0
	v_fmac_f64_e32 v[232:233], v[232:233], v[236:237]
	v_mul_f64 v[236:237], v[234:235], v[232:233]
	v_fma_f64 v[222:223], -v[222:223], v[236:237], v[234:235]
	v_div_fmas_f64 v[222:223], v[222:223], v[232:233], v[236:237]
	v_div_fixup_f64 v[222:223], v[222:223], v[216:217], v[218:219]
	v_fmac_f64_e32 v[216:217], v[218:219], v[222:223]
	v_div_scale_f64 v[218:219], s[18:19], v[216:217], v[216:217], 1.0
	v_rcp_f64_e32 v[232:233], v[218:219]
	s_nop 0
	v_fma_f64 v[234:235], -v[218:219], v[232:233], 1.0
	v_fmac_f64_e32 v[232:233], v[232:233], v[234:235]
	v_fma_f64 v[234:235], -v[218:219], v[232:233], 1.0
	v_fmac_f64_e32 v[232:233], v[232:233], v[234:235]
	v_div_scale_f64 v[234:235], vcc, 1.0, v[216:217], 1.0
	v_mul_f64 v[236:237], v[234:235], v[232:233]
	v_fma_f64 v[218:219], -v[218:219], v[236:237], v[234:235]
	s_nop 1
	v_div_fmas_f64 v[218:219], v[218:219], v[232:233], v[236:237]
	v_div_fixup_f64 v[216:217], v[218:219], v[216:217], 1.0
	v_mul_f64 v[218:219], v[222:223], -v[216:217]
.LBB106_1017:
	s_or_b64 exec, exec, s[16:17]
.LBB106_1018:
	s_or_b64 exec, exec, s[0:1]
	v_cmp_ne_u32_e32 vcc, v229, v226
	s_and_saveexec_b64 s[0:1], vcc
	s_xor_b64 s[0:1], exec, s[0:1]
	s_cbranch_execz .LBB106_1024
; %bb.1019:
	v_cmp_eq_u32_e32 vcc, 48, v229
	s_and_saveexec_b64 s[16:17], vcc
	s_cbranch_execz .LBB106_1023
; %bb.1020:
	v_cmp_ne_u32_e32 vcc, 48, v226
	s_xor_b64 s[18:19], s[14:15], -1
	s_and_b64 s[22:23], s[18:19], vcc
	s_and_saveexec_b64 s[18:19], s[22:23]
	s_cbranch_execz .LBB106_1022
; %bb.1021:
	v_ashrrev_i32_e32 v227, 31, v226
	s_waitcnt vmcnt(0)
	v_lshl_add_u64 v[222:223], v[226:227], 2, v[224:225]
	global_load_dword v227, v[222:223], off
	global_load_dword v229, v[224:225], off offset:192
	s_waitcnt vmcnt(1)
	global_store_dword v[224:225], v227, off offset:192
	s_waitcnt vmcnt(1)
	global_store_dword v[222:223], v229, off
.LBB106_1022:
	s_or_b64 exec, exec, s[18:19]
	v_mov_b32_e32 v229, v226
	v_mov_b32_e32 v220, v226
.LBB106_1023:
	s_or_b64 exec, exec, s[16:17]
.LBB106_1024:
	s_andn2_saveexec_b64 s[0:1], s[0:1]
	s_cbranch_execz .LBB106_1026
; %bb.1025:
	v_mov_b32_e32 v229, 48
	s_waitcnt vmcnt(5)
	ds_write2_b64 v228, v[12:13], v[14:15] offset0:98 offset1:99
	s_waitcnt vmcnt(4)
	ds_write2_b64 v228, v[8:9], v[10:11] offset0:100 offset1:101
	;; [unrolled: 2-line block ×5, first 2 shown]
.LBB106_1026:
	s_or_b64 exec, exec, s[0:1]
	v_cmp_lt_i32_e32 vcc, 48, v229
	s_waitcnt lgkmcnt(0)
	s_barrier
	s_and_saveexec_b64 s[0:1], vcc
	s_cbranch_execz .LBB106_1028
; %bb.1027:
	ds_read2_b64 v[232:235], v228 offset0:98 offset1:99
	v_mul_f64 v[222:223], v[216:217], v[18:19]
	v_mul_f64 v[18:19], v[218:219], v[18:19]
	v_fmac_f64_e32 v[222:223], v[218:219], v[16:17]
	v_fma_f64 v[16:17], v[216:217], v[16:17], -v[18:19]
	ds_read2_b64 v[216:219], v228 offset0:100 offset1:101
	s_waitcnt lgkmcnt(1)
	v_mul_f64 v[18:19], v[234:235], v[222:223]
	v_fma_f64 v[18:19], v[232:233], v[16:17], -v[18:19]
	v_mul_f64 v[226:227], v[232:233], v[222:223]
	v_fmac_f64_e32 v[226:227], v[234:235], v[16:17]
	s_waitcnt vmcnt(5)
	v_add_f64 v[12:13], v[12:13], -v[18:19]
	s_waitcnt lgkmcnt(0)
	v_mul_f64 v[18:19], v[218:219], v[222:223]
	ds_read2_b64 v[232:235], v228 offset0:102 offset1:103
	v_fma_f64 v[18:19], v[216:217], v[16:17], -v[18:19]
	v_mul_f64 v[216:217], v[216:217], v[222:223]
	v_fmac_f64_e32 v[216:217], v[218:219], v[16:17]
	s_waitcnt vmcnt(4)
	v_add_f64 v[10:11], v[10:11], -v[216:217]
	ds_read2_b64 v[216:219], v228 offset0:104 offset1:105
	v_add_f64 v[14:15], v[14:15], -v[226:227]
	v_add_f64 v[8:9], v[8:9], -v[18:19]
	s_waitcnt lgkmcnt(1)
	v_mul_f64 v[18:19], v[234:235], v[222:223]
	v_mul_f64 v[226:227], v[232:233], v[222:223]
	v_fma_f64 v[18:19], v[232:233], v[16:17], -v[18:19]
	v_fmac_f64_e32 v[226:227], v[234:235], v[16:17]
	ds_read2_b64 v[232:235], v228 offset0:106 offset1:107
	s_waitcnt vmcnt(3)
	v_add_f64 v[4:5], v[4:5], -v[18:19]
	s_waitcnt lgkmcnt(1)
	v_mul_f64 v[18:19], v[218:219], v[222:223]
	v_fma_f64 v[18:19], v[216:217], v[16:17], -v[18:19]
	v_mul_f64 v[216:217], v[216:217], v[222:223]
	v_fmac_f64_e32 v[216:217], v[218:219], v[16:17]
	s_waitcnt vmcnt(2)
	v_add_f64 v[0:1], v[0:1], -v[18:19]
	v_add_f64 v[2:3], v[2:3], -v[216:217]
	s_waitcnt lgkmcnt(0)
	v_mul_f64 v[18:19], v[234:235], v[222:223]
	v_mul_f64 v[216:217], v[232:233], v[222:223]
	v_fma_f64 v[18:19], v[232:233], v[16:17], -v[18:19]
	v_fmac_f64_e32 v[216:217], v[234:235], v[16:17]
	v_add_f64 v[6:7], v[6:7], -v[226:227]
	s_waitcnt vmcnt(1)
	v_add_f64 v[212:213], v[212:213], -v[18:19]
	v_add_f64 v[214:215], v[214:215], -v[216:217]
	v_mov_b64_e32 v[18:19], v[222:223]
.LBB106_1028:
	s_or_b64 exec, exec, s[0:1]
	v_lshl_add_u32 v216, v229, 4, v228
	s_barrier
	s_waitcnt vmcnt(5)
	ds_write2_b64 v216, v[12:13], v[14:15] offset1:1
	s_waitcnt lgkmcnt(0)
	s_barrier
	ds_read2_b64 v[216:219], v228 offset0:98 offset1:99
	s_cmp_lt_i32 s20, 51
	v_mov_b32_e32 v226, 49
	s_cbranch_scc1 .LBB106_1031
; %bb.1029:
	v_add_u32_e32 v227, 0x320, v228
	s_mov_b32 s16, 50
	v_mov_b32_e32 v226, 49
.LBB106_1030:                           ; =>This Inner Loop Header: Depth=1
	ds_read2_b64 v[232:235], v227 offset1:1
	s_waitcnt lgkmcnt(1)
	v_xor_b32_e32 v223, 0x80000000, v217
	v_xor_b32_e32 v231, 0x80000000, v219
	v_cmp_gt_f64_e32 vcc, 0, v[218:219]
	v_cmp_gt_f64_e64 s[0:1], 0, v[216:217]
	v_mov_b32_e32 v222, v216
	v_mov_b32_e32 v236, v218
	v_cndmask_b32_e64 v223, v217, v223, s[0:1]
	v_cndmask_b32_e32 v237, v219, v231, vcc
	s_waitcnt lgkmcnt(0)
	v_xor_b32_e32 v231, 0x80000000, v233
	v_xor_b32_e32 v239, 0x80000000, v235
	v_cmp_gt_f64_e32 vcc, 0, v[234:235]
	v_cmp_gt_f64_e64 s[0:1], 0, v[232:233]
	v_add_f64 v[222:223], v[222:223], v[236:237]
	v_mov_b32_e32 v236, v232
	v_mov_b32_e32 v238, v234
	v_cndmask_b32_e64 v237, v233, v231, s[0:1]
	v_cndmask_b32_e32 v239, v235, v239, vcc
	v_add_f64 v[236:237], v[236:237], v[238:239]
	v_mov_b32_e32 v240, s16
	s_add_i32 s16, s16, 1
	v_cmp_lt_f64_e32 vcc, v[222:223], v[236:237]
	v_add_u32_e32 v227, 16, v227
	s_cmp_lg_u32 s20, s16
	v_cndmask_b32_e32 v217, v217, v233, vcc
	v_cndmask_b32_e32 v216, v216, v232, vcc
	;; [unrolled: 1-line block ×5, first 2 shown]
	s_cbranch_scc1 .LBB106_1030
.LBB106_1031:
	s_waitcnt lgkmcnt(0)
	v_cmp_eq_f64_e32 vcc, 0, v[216:217]
	v_cmp_eq_f64_e64 s[0:1], 0, v[218:219]
	s_and_b64 s[0:1], vcc, s[0:1]
	s_and_saveexec_b64 s[16:17], s[0:1]
	s_xor_b64 s[0:1], exec, s[16:17]
; %bb.1032:
	v_cmp_ne_u32_e32 vcc, 0, v230
	s_nop 1
	v_cndmask_b32_e32 v230, 50, v230, vcc
; %bb.1033:
	s_andn2_saveexec_b64 s[0:1], s[0:1]
	s_cbranch_execz .LBB106_1039
; %bb.1034:
	v_cmp_ngt_f64_e64 s[16:17], |v[216:217]|, |v[218:219]|
	s_and_saveexec_b64 s[18:19], s[16:17]
	s_xor_b64 s[16:17], exec, s[18:19]
	s_cbranch_execz .LBB106_1036
; %bb.1035:
	v_div_scale_f64 v[222:223], s[18:19], v[218:219], v[218:219], v[216:217]
	v_rcp_f64_e32 v[232:233], v[222:223]
	v_div_scale_f64 v[234:235], vcc, v[216:217], v[218:219], v[216:217]
	v_fma_f64 v[236:237], -v[222:223], v[232:233], 1.0
	v_fmac_f64_e32 v[232:233], v[232:233], v[236:237]
	v_fma_f64 v[236:237], -v[222:223], v[232:233], 1.0
	v_fmac_f64_e32 v[232:233], v[232:233], v[236:237]
	v_mul_f64 v[236:237], v[234:235], v[232:233]
	v_fma_f64 v[222:223], -v[222:223], v[236:237], v[234:235]
	v_div_fmas_f64 v[222:223], v[222:223], v[232:233], v[236:237]
	v_div_fixup_f64 v[222:223], v[222:223], v[218:219], v[216:217]
	v_fmac_f64_e32 v[218:219], v[216:217], v[222:223]
	v_div_scale_f64 v[216:217], s[18:19], v[218:219], v[218:219], 1.0
	v_rcp_f64_e32 v[232:233], v[216:217]
	s_nop 0
	v_fma_f64 v[234:235], -v[216:217], v[232:233], 1.0
	v_fmac_f64_e32 v[232:233], v[232:233], v[234:235]
	v_fma_f64 v[234:235], -v[216:217], v[232:233], 1.0
	v_fmac_f64_e32 v[232:233], v[232:233], v[234:235]
	v_div_scale_f64 v[234:235], vcc, 1.0, v[218:219], 1.0
	v_mul_f64 v[236:237], v[234:235], v[232:233]
	v_fma_f64 v[216:217], -v[216:217], v[236:237], v[234:235]
	s_nop 1
	v_div_fmas_f64 v[216:217], v[216:217], v[232:233], v[236:237]
	v_div_fixup_f64 v[218:219], v[216:217], v[218:219], 1.0
	v_mul_f64 v[216:217], v[222:223], v[218:219]
	v_xor_b32_e32 v219, 0x80000000, v219
.LBB106_1036:
	s_andn2_saveexec_b64 s[16:17], s[16:17]
	s_cbranch_execz .LBB106_1038
; %bb.1037:
	v_div_scale_f64 v[222:223], s[18:19], v[216:217], v[216:217], v[218:219]
	v_rcp_f64_e32 v[232:233], v[222:223]
	v_div_scale_f64 v[234:235], vcc, v[218:219], v[216:217], v[218:219]
	v_fma_f64 v[236:237], -v[222:223], v[232:233], 1.0
	v_fmac_f64_e32 v[232:233], v[232:233], v[236:237]
	v_fma_f64 v[236:237], -v[222:223], v[232:233], 1.0
	v_fmac_f64_e32 v[232:233], v[232:233], v[236:237]
	v_mul_f64 v[236:237], v[234:235], v[232:233]
	v_fma_f64 v[222:223], -v[222:223], v[236:237], v[234:235]
	v_div_fmas_f64 v[222:223], v[222:223], v[232:233], v[236:237]
	v_div_fixup_f64 v[222:223], v[222:223], v[216:217], v[218:219]
	v_fmac_f64_e32 v[216:217], v[218:219], v[222:223]
	v_div_scale_f64 v[218:219], s[18:19], v[216:217], v[216:217], 1.0
	v_rcp_f64_e32 v[232:233], v[218:219]
	s_nop 0
	v_fma_f64 v[234:235], -v[218:219], v[232:233], 1.0
	v_fmac_f64_e32 v[232:233], v[232:233], v[234:235]
	v_fma_f64 v[234:235], -v[218:219], v[232:233], 1.0
	v_fmac_f64_e32 v[232:233], v[232:233], v[234:235]
	v_div_scale_f64 v[234:235], vcc, 1.0, v[216:217], 1.0
	v_mul_f64 v[236:237], v[234:235], v[232:233]
	v_fma_f64 v[218:219], -v[218:219], v[236:237], v[234:235]
	s_nop 1
	v_div_fmas_f64 v[218:219], v[218:219], v[232:233], v[236:237]
	v_div_fixup_f64 v[216:217], v[218:219], v[216:217], 1.0
	v_mul_f64 v[218:219], v[222:223], -v[216:217]
.LBB106_1038:
	s_or_b64 exec, exec, s[16:17]
.LBB106_1039:
	s_or_b64 exec, exec, s[0:1]
	v_cmp_ne_u32_e32 vcc, v229, v226
	s_and_saveexec_b64 s[0:1], vcc
	s_xor_b64 s[0:1], exec, s[0:1]
	s_cbranch_execz .LBB106_1045
; %bb.1040:
	v_cmp_eq_u32_e32 vcc, 49, v229
	s_and_saveexec_b64 s[16:17], vcc
	s_cbranch_execz .LBB106_1044
; %bb.1041:
	v_cmp_ne_u32_e32 vcc, 49, v226
	s_xor_b64 s[18:19], s[14:15], -1
	s_and_b64 s[22:23], s[18:19], vcc
	s_and_saveexec_b64 s[18:19], s[22:23]
	s_cbranch_execz .LBB106_1043
; %bb.1042:
	v_ashrrev_i32_e32 v227, 31, v226
	s_waitcnt vmcnt(0)
	v_lshl_add_u64 v[222:223], v[226:227], 2, v[224:225]
	global_load_dword v227, v[222:223], off
	global_load_dword v229, v[224:225], off offset:196
	s_waitcnt vmcnt(1)
	global_store_dword v[224:225], v227, off offset:196
	s_waitcnt vmcnt(1)
	global_store_dword v[222:223], v229, off
.LBB106_1043:
	s_or_b64 exec, exec, s[18:19]
	v_mov_b32_e32 v229, v226
	v_mov_b32_e32 v220, v226
.LBB106_1044:
	s_or_b64 exec, exec, s[16:17]
.LBB106_1045:
	s_andn2_saveexec_b64 s[0:1], s[0:1]
	s_cbranch_execz .LBB106_1047
; %bb.1046:
	v_mov_b32_e32 v229, 49
	s_waitcnt vmcnt(4)
	ds_write2_b64 v228, v[8:9], v[10:11] offset0:100 offset1:101
	s_waitcnt vmcnt(3)
	ds_write2_b64 v228, v[4:5], v[6:7] offset0:102 offset1:103
	;; [unrolled: 2-line block ×4, first 2 shown]
.LBB106_1047:
	s_or_b64 exec, exec, s[0:1]
	v_cmp_lt_i32_e32 vcc, 49, v229
	s_waitcnt lgkmcnt(0)
	s_barrier
	s_and_saveexec_b64 s[0:1], vcc
	s_cbranch_execz .LBB106_1049
; %bb.1048:
	ds_read2_b64 v[232:235], v228 offset0:100 offset1:101
	v_mul_f64 v[222:223], v[216:217], v[14:15]
	v_mul_f64 v[14:15], v[218:219], v[14:15]
	v_fmac_f64_e32 v[222:223], v[218:219], v[12:13]
	v_fma_f64 v[12:13], v[216:217], v[12:13], -v[14:15]
	ds_read2_b64 v[216:219], v228 offset0:102 offset1:103
	s_waitcnt lgkmcnt(1)
	v_mul_f64 v[14:15], v[234:235], v[222:223]
	v_fma_f64 v[14:15], v[232:233], v[12:13], -v[14:15]
	v_mul_f64 v[226:227], v[232:233], v[222:223]
	s_waitcnt vmcnt(4)
	v_add_f64 v[8:9], v[8:9], -v[14:15]
	s_waitcnt lgkmcnt(0)
	v_mul_f64 v[14:15], v[218:219], v[222:223]
	v_fmac_f64_e32 v[226:227], v[234:235], v[12:13]
	v_fma_f64 v[14:15], v[216:217], v[12:13], -v[14:15]
	v_mul_f64 v[216:217], v[216:217], v[222:223]
	ds_read2_b64 v[232:235], v228 offset0:104 offset1:105
	v_fmac_f64_e32 v[216:217], v[218:219], v[12:13]
	s_waitcnt vmcnt(3)
	v_add_f64 v[6:7], v[6:7], -v[216:217]
	ds_read2_b64 v[216:219], v228 offset0:106 offset1:107
	v_add_f64 v[4:5], v[4:5], -v[14:15]
	s_waitcnt lgkmcnt(1)
	v_mul_f64 v[14:15], v[234:235], v[222:223]
	v_fma_f64 v[14:15], v[232:233], v[12:13], -v[14:15]
	s_waitcnt vmcnt(2)
	v_add_f64 v[0:1], v[0:1], -v[14:15]
	s_waitcnt lgkmcnt(0)
	v_mul_f64 v[14:15], v[218:219], v[222:223]
	v_add_f64 v[10:11], v[10:11], -v[226:227]
	v_mul_f64 v[226:227], v[232:233], v[222:223]
	v_fma_f64 v[14:15], v[216:217], v[12:13], -v[14:15]
	v_mul_f64 v[216:217], v[216:217], v[222:223]
	v_fmac_f64_e32 v[226:227], v[234:235], v[12:13]
	v_fmac_f64_e32 v[216:217], v[218:219], v[12:13]
	v_add_f64 v[2:3], v[2:3], -v[226:227]
	s_waitcnt vmcnt(1)
	v_add_f64 v[212:213], v[212:213], -v[14:15]
	v_add_f64 v[214:215], v[214:215], -v[216:217]
	v_mov_b64_e32 v[14:15], v[222:223]
.LBB106_1049:
	s_or_b64 exec, exec, s[0:1]
	v_lshl_add_u32 v216, v229, 4, v228
	s_barrier
	s_waitcnt vmcnt(4)
	ds_write2_b64 v216, v[8:9], v[10:11] offset1:1
	s_waitcnt lgkmcnt(0)
	s_barrier
	ds_read2_b64 v[216:219], v228 offset0:100 offset1:101
	s_cmp_lt_i32 s20, 52
	v_mov_b32_e32 v226, 50
	s_cbranch_scc1 .LBB106_1052
; %bb.1050:
	v_add_u32_e32 v227, 0x330, v228
	s_mov_b32 s16, 51
	v_mov_b32_e32 v226, 50
.LBB106_1051:                           ; =>This Inner Loop Header: Depth=1
	ds_read2_b64 v[232:235], v227 offset1:1
	s_waitcnt lgkmcnt(1)
	v_xor_b32_e32 v223, 0x80000000, v217
	v_xor_b32_e32 v231, 0x80000000, v219
	v_cmp_gt_f64_e32 vcc, 0, v[218:219]
	v_cmp_gt_f64_e64 s[0:1], 0, v[216:217]
	v_mov_b32_e32 v222, v216
	v_mov_b32_e32 v236, v218
	v_cndmask_b32_e64 v223, v217, v223, s[0:1]
	v_cndmask_b32_e32 v237, v219, v231, vcc
	s_waitcnt lgkmcnt(0)
	v_xor_b32_e32 v231, 0x80000000, v233
	v_xor_b32_e32 v239, 0x80000000, v235
	v_cmp_gt_f64_e32 vcc, 0, v[234:235]
	v_cmp_gt_f64_e64 s[0:1], 0, v[232:233]
	v_add_f64 v[222:223], v[222:223], v[236:237]
	v_mov_b32_e32 v236, v232
	v_mov_b32_e32 v238, v234
	v_cndmask_b32_e64 v237, v233, v231, s[0:1]
	v_cndmask_b32_e32 v239, v235, v239, vcc
	v_add_f64 v[236:237], v[236:237], v[238:239]
	v_mov_b32_e32 v240, s16
	s_add_i32 s16, s16, 1
	v_cmp_lt_f64_e32 vcc, v[222:223], v[236:237]
	v_add_u32_e32 v227, 16, v227
	s_cmp_lg_u32 s20, s16
	v_cndmask_b32_e32 v217, v217, v233, vcc
	v_cndmask_b32_e32 v216, v216, v232, vcc
	;; [unrolled: 1-line block ×5, first 2 shown]
	s_cbranch_scc1 .LBB106_1051
.LBB106_1052:
	s_waitcnt lgkmcnt(0)
	v_cmp_eq_f64_e32 vcc, 0, v[216:217]
	v_cmp_eq_f64_e64 s[0:1], 0, v[218:219]
	s_and_b64 s[0:1], vcc, s[0:1]
	s_and_saveexec_b64 s[16:17], s[0:1]
	s_xor_b64 s[0:1], exec, s[16:17]
; %bb.1053:
	v_cmp_ne_u32_e32 vcc, 0, v230
	s_nop 1
	v_cndmask_b32_e32 v230, 51, v230, vcc
; %bb.1054:
	s_andn2_saveexec_b64 s[0:1], s[0:1]
	s_cbranch_execz .LBB106_1060
; %bb.1055:
	v_cmp_ngt_f64_e64 s[16:17], |v[216:217]|, |v[218:219]|
	s_and_saveexec_b64 s[18:19], s[16:17]
	s_xor_b64 s[16:17], exec, s[18:19]
	s_cbranch_execz .LBB106_1057
; %bb.1056:
	v_div_scale_f64 v[222:223], s[18:19], v[218:219], v[218:219], v[216:217]
	v_rcp_f64_e32 v[232:233], v[222:223]
	v_div_scale_f64 v[234:235], vcc, v[216:217], v[218:219], v[216:217]
	v_fma_f64 v[236:237], -v[222:223], v[232:233], 1.0
	v_fmac_f64_e32 v[232:233], v[232:233], v[236:237]
	v_fma_f64 v[236:237], -v[222:223], v[232:233], 1.0
	v_fmac_f64_e32 v[232:233], v[232:233], v[236:237]
	v_mul_f64 v[236:237], v[234:235], v[232:233]
	v_fma_f64 v[222:223], -v[222:223], v[236:237], v[234:235]
	v_div_fmas_f64 v[222:223], v[222:223], v[232:233], v[236:237]
	v_div_fixup_f64 v[222:223], v[222:223], v[218:219], v[216:217]
	v_fmac_f64_e32 v[218:219], v[216:217], v[222:223]
	v_div_scale_f64 v[216:217], s[18:19], v[218:219], v[218:219], 1.0
	v_rcp_f64_e32 v[232:233], v[216:217]
	s_nop 0
	v_fma_f64 v[234:235], -v[216:217], v[232:233], 1.0
	v_fmac_f64_e32 v[232:233], v[232:233], v[234:235]
	v_fma_f64 v[234:235], -v[216:217], v[232:233], 1.0
	v_fmac_f64_e32 v[232:233], v[232:233], v[234:235]
	v_div_scale_f64 v[234:235], vcc, 1.0, v[218:219], 1.0
	v_mul_f64 v[236:237], v[234:235], v[232:233]
	v_fma_f64 v[216:217], -v[216:217], v[236:237], v[234:235]
	s_nop 1
	v_div_fmas_f64 v[216:217], v[216:217], v[232:233], v[236:237]
	v_div_fixup_f64 v[218:219], v[216:217], v[218:219], 1.0
	v_mul_f64 v[216:217], v[222:223], v[218:219]
	v_xor_b32_e32 v219, 0x80000000, v219
.LBB106_1057:
	s_andn2_saveexec_b64 s[16:17], s[16:17]
	s_cbranch_execz .LBB106_1059
; %bb.1058:
	v_div_scale_f64 v[222:223], s[18:19], v[216:217], v[216:217], v[218:219]
	v_rcp_f64_e32 v[232:233], v[222:223]
	v_div_scale_f64 v[234:235], vcc, v[218:219], v[216:217], v[218:219]
	v_fma_f64 v[236:237], -v[222:223], v[232:233], 1.0
	v_fmac_f64_e32 v[232:233], v[232:233], v[236:237]
	v_fma_f64 v[236:237], -v[222:223], v[232:233], 1.0
	v_fmac_f64_e32 v[232:233], v[232:233], v[236:237]
	v_mul_f64 v[236:237], v[234:235], v[232:233]
	v_fma_f64 v[222:223], -v[222:223], v[236:237], v[234:235]
	v_div_fmas_f64 v[222:223], v[222:223], v[232:233], v[236:237]
	v_div_fixup_f64 v[222:223], v[222:223], v[216:217], v[218:219]
	v_fmac_f64_e32 v[216:217], v[218:219], v[222:223]
	v_div_scale_f64 v[218:219], s[18:19], v[216:217], v[216:217], 1.0
	v_rcp_f64_e32 v[232:233], v[218:219]
	s_nop 0
	v_fma_f64 v[234:235], -v[218:219], v[232:233], 1.0
	v_fmac_f64_e32 v[232:233], v[232:233], v[234:235]
	v_fma_f64 v[234:235], -v[218:219], v[232:233], 1.0
	v_fmac_f64_e32 v[232:233], v[232:233], v[234:235]
	v_div_scale_f64 v[234:235], vcc, 1.0, v[216:217], 1.0
	v_mul_f64 v[236:237], v[234:235], v[232:233]
	v_fma_f64 v[218:219], -v[218:219], v[236:237], v[234:235]
	s_nop 1
	v_div_fmas_f64 v[218:219], v[218:219], v[232:233], v[236:237]
	v_div_fixup_f64 v[216:217], v[218:219], v[216:217], 1.0
	v_mul_f64 v[218:219], v[222:223], -v[216:217]
.LBB106_1059:
	s_or_b64 exec, exec, s[16:17]
.LBB106_1060:
	s_or_b64 exec, exec, s[0:1]
	v_cmp_ne_u32_e32 vcc, v229, v226
	s_and_saveexec_b64 s[0:1], vcc
	s_xor_b64 s[0:1], exec, s[0:1]
	s_cbranch_execz .LBB106_1066
; %bb.1061:
	v_cmp_eq_u32_e32 vcc, 50, v229
	s_and_saveexec_b64 s[16:17], vcc
	s_cbranch_execz .LBB106_1065
; %bb.1062:
	v_cmp_ne_u32_e32 vcc, 50, v226
	s_xor_b64 s[18:19], s[14:15], -1
	s_and_b64 s[22:23], s[18:19], vcc
	s_and_saveexec_b64 s[18:19], s[22:23]
	s_cbranch_execz .LBB106_1064
; %bb.1063:
	v_ashrrev_i32_e32 v227, 31, v226
	s_waitcnt vmcnt(0)
	v_lshl_add_u64 v[222:223], v[226:227], 2, v[224:225]
	global_load_dword v227, v[222:223], off
	global_load_dword v229, v[224:225], off offset:200
	s_waitcnt vmcnt(1)
	global_store_dword v[224:225], v227, off offset:200
	s_waitcnt vmcnt(1)
	global_store_dword v[222:223], v229, off
.LBB106_1064:
	s_or_b64 exec, exec, s[18:19]
	v_mov_b32_e32 v229, v226
	v_mov_b32_e32 v220, v226
.LBB106_1065:
	s_or_b64 exec, exec, s[16:17]
.LBB106_1066:
	s_andn2_saveexec_b64 s[0:1], s[0:1]
	s_cbranch_execz .LBB106_1068
; %bb.1067:
	v_mov_b32_e32 v229, 50
	s_waitcnt vmcnt(3)
	ds_write2_b64 v228, v[4:5], v[6:7] offset0:102 offset1:103
	s_waitcnt vmcnt(2)
	ds_write2_b64 v228, v[0:1], v[2:3] offset0:104 offset1:105
	;; [unrolled: 2-line block ×3, first 2 shown]
.LBB106_1068:
	s_or_b64 exec, exec, s[0:1]
	v_cmp_lt_i32_e32 vcc, 50, v229
	s_waitcnt lgkmcnt(0)
	s_barrier
	s_and_saveexec_b64 s[0:1], vcc
	s_cbranch_execz .LBB106_1070
; %bb.1069:
	ds_read2_b64 v[232:235], v228 offset0:102 offset1:103
	v_mul_f64 v[222:223], v[216:217], v[10:11]
	v_mul_f64 v[10:11], v[218:219], v[10:11]
	v_fmac_f64_e32 v[222:223], v[218:219], v[8:9]
	v_fma_f64 v[8:9], v[216:217], v[8:9], -v[10:11]
	ds_read2_b64 v[216:219], v228 offset0:104 offset1:105
	s_waitcnt lgkmcnt(1)
	v_mul_f64 v[10:11], v[234:235], v[222:223]
	v_mul_f64 v[226:227], v[232:233], v[222:223]
	v_fma_f64 v[10:11], v[232:233], v[8:9], -v[10:11]
	v_fmac_f64_e32 v[226:227], v[234:235], v[8:9]
	ds_read2_b64 v[232:235], v228 offset0:106 offset1:107
	s_waitcnt vmcnt(3)
	v_add_f64 v[4:5], v[4:5], -v[10:11]
	s_waitcnt lgkmcnt(1)
	v_mul_f64 v[10:11], v[218:219], v[222:223]
	v_fma_f64 v[10:11], v[216:217], v[8:9], -v[10:11]
	v_mul_f64 v[216:217], v[216:217], v[222:223]
	v_fmac_f64_e32 v[216:217], v[218:219], v[8:9]
	s_waitcnt vmcnt(2)
	v_add_f64 v[0:1], v[0:1], -v[10:11]
	v_add_f64 v[2:3], v[2:3], -v[216:217]
	s_waitcnt lgkmcnt(0)
	v_mul_f64 v[10:11], v[234:235], v[222:223]
	v_mul_f64 v[216:217], v[232:233], v[222:223]
	v_fma_f64 v[10:11], v[232:233], v[8:9], -v[10:11]
	v_fmac_f64_e32 v[216:217], v[234:235], v[8:9]
	v_add_f64 v[6:7], v[6:7], -v[226:227]
	s_waitcnt vmcnt(1)
	v_add_f64 v[212:213], v[212:213], -v[10:11]
	v_add_f64 v[214:215], v[214:215], -v[216:217]
	v_mov_b64_e32 v[10:11], v[222:223]
.LBB106_1070:
	s_or_b64 exec, exec, s[0:1]
	v_lshl_add_u32 v216, v229, 4, v228
	s_barrier
	s_waitcnt vmcnt(3)
	ds_write2_b64 v216, v[4:5], v[6:7] offset1:1
	s_waitcnt lgkmcnt(0)
	s_barrier
	ds_read2_b64 v[216:219], v228 offset0:102 offset1:103
	s_cmp_lt_i32 s20, 53
	v_mov_b32_e32 v226, 51
	s_cbranch_scc1 .LBB106_1073
; %bb.1071:
	v_add_u32_e32 v227, 0x340, v228
	s_mov_b32 s16, 52
	v_mov_b32_e32 v226, 51
.LBB106_1072:                           ; =>This Inner Loop Header: Depth=1
	ds_read2_b64 v[232:235], v227 offset1:1
	s_waitcnt lgkmcnt(1)
	v_xor_b32_e32 v223, 0x80000000, v217
	v_xor_b32_e32 v231, 0x80000000, v219
	v_cmp_gt_f64_e32 vcc, 0, v[218:219]
	v_cmp_gt_f64_e64 s[0:1], 0, v[216:217]
	v_mov_b32_e32 v222, v216
	v_mov_b32_e32 v236, v218
	v_cndmask_b32_e64 v223, v217, v223, s[0:1]
	v_cndmask_b32_e32 v237, v219, v231, vcc
	s_waitcnt lgkmcnt(0)
	v_xor_b32_e32 v231, 0x80000000, v233
	v_xor_b32_e32 v239, 0x80000000, v235
	v_cmp_gt_f64_e32 vcc, 0, v[234:235]
	v_cmp_gt_f64_e64 s[0:1], 0, v[232:233]
	v_add_f64 v[222:223], v[222:223], v[236:237]
	v_mov_b32_e32 v236, v232
	v_mov_b32_e32 v238, v234
	v_cndmask_b32_e64 v237, v233, v231, s[0:1]
	v_cndmask_b32_e32 v239, v235, v239, vcc
	v_add_f64 v[236:237], v[236:237], v[238:239]
	v_mov_b32_e32 v240, s16
	s_add_i32 s16, s16, 1
	v_cmp_lt_f64_e32 vcc, v[222:223], v[236:237]
	v_add_u32_e32 v227, 16, v227
	s_cmp_lg_u32 s20, s16
	v_cndmask_b32_e32 v217, v217, v233, vcc
	v_cndmask_b32_e32 v216, v216, v232, vcc
	;; [unrolled: 1-line block ×5, first 2 shown]
	s_cbranch_scc1 .LBB106_1072
.LBB106_1073:
	s_waitcnt lgkmcnt(0)
	v_cmp_eq_f64_e32 vcc, 0, v[216:217]
	v_cmp_eq_f64_e64 s[0:1], 0, v[218:219]
	s_and_b64 s[0:1], vcc, s[0:1]
	s_and_saveexec_b64 s[16:17], s[0:1]
	s_xor_b64 s[0:1], exec, s[16:17]
; %bb.1074:
	v_cmp_ne_u32_e32 vcc, 0, v230
	s_nop 1
	v_cndmask_b32_e32 v230, 52, v230, vcc
; %bb.1075:
	s_andn2_saveexec_b64 s[0:1], s[0:1]
	s_cbranch_execz .LBB106_1081
; %bb.1076:
	v_cmp_ngt_f64_e64 s[16:17], |v[216:217]|, |v[218:219]|
	s_and_saveexec_b64 s[18:19], s[16:17]
	s_xor_b64 s[16:17], exec, s[18:19]
	s_cbranch_execz .LBB106_1078
; %bb.1077:
	v_div_scale_f64 v[222:223], s[18:19], v[218:219], v[218:219], v[216:217]
	v_rcp_f64_e32 v[232:233], v[222:223]
	v_div_scale_f64 v[234:235], vcc, v[216:217], v[218:219], v[216:217]
	v_fma_f64 v[236:237], -v[222:223], v[232:233], 1.0
	v_fmac_f64_e32 v[232:233], v[232:233], v[236:237]
	v_fma_f64 v[236:237], -v[222:223], v[232:233], 1.0
	v_fmac_f64_e32 v[232:233], v[232:233], v[236:237]
	v_mul_f64 v[236:237], v[234:235], v[232:233]
	v_fma_f64 v[222:223], -v[222:223], v[236:237], v[234:235]
	v_div_fmas_f64 v[222:223], v[222:223], v[232:233], v[236:237]
	v_div_fixup_f64 v[222:223], v[222:223], v[218:219], v[216:217]
	v_fmac_f64_e32 v[218:219], v[216:217], v[222:223]
	v_div_scale_f64 v[216:217], s[18:19], v[218:219], v[218:219], 1.0
	v_rcp_f64_e32 v[232:233], v[216:217]
	s_nop 0
	v_fma_f64 v[234:235], -v[216:217], v[232:233], 1.0
	v_fmac_f64_e32 v[232:233], v[232:233], v[234:235]
	v_fma_f64 v[234:235], -v[216:217], v[232:233], 1.0
	v_fmac_f64_e32 v[232:233], v[232:233], v[234:235]
	v_div_scale_f64 v[234:235], vcc, 1.0, v[218:219], 1.0
	v_mul_f64 v[236:237], v[234:235], v[232:233]
	v_fma_f64 v[216:217], -v[216:217], v[236:237], v[234:235]
	s_nop 1
	v_div_fmas_f64 v[216:217], v[216:217], v[232:233], v[236:237]
	v_div_fixup_f64 v[218:219], v[216:217], v[218:219], 1.0
	v_mul_f64 v[216:217], v[222:223], v[218:219]
	v_xor_b32_e32 v219, 0x80000000, v219
.LBB106_1078:
	s_andn2_saveexec_b64 s[16:17], s[16:17]
	s_cbranch_execz .LBB106_1080
; %bb.1079:
	v_div_scale_f64 v[222:223], s[18:19], v[216:217], v[216:217], v[218:219]
	v_rcp_f64_e32 v[232:233], v[222:223]
	v_div_scale_f64 v[234:235], vcc, v[218:219], v[216:217], v[218:219]
	v_fma_f64 v[236:237], -v[222:223], v[232:233], 1.0
	v_fmac_f64_e32 v[232:233], v[232:233], v[236:237]
	v_fma_f64 v[236:237], -v[222:223], v[232:233], 1.0
	v_fmac_f64_e32 v[232:233], v[232:233], v[236:237]
	v_mul_f64 v[236:237], v[234:235], v[232:233]
	v_fma_f64 v[222:223], -v[222:223], v[236:237], v[234:235]
	v_div_fmas_f64 v[222:223], v[222:223], v[232:233], v[236:237]
	v_div_fixup_f64 v[222:223], v[222:223], v[216:217], v[218:219]
	v_fmac_f64_e32 v[216:217], v[218:219], v[222:223]
	v_div_scale_f64 v[218:219], s[18:19], v[216:217], v[216:217], 1.0
	v_rcp_f64_e32 v[232:233], v[218:219]
	s_nop 0
	v_fma_f64 v[234:235], -v[218:219], v[232:233], 1.0
	v_fmac_f64_e32 v[232:233], v[232:233], v[234:235]
	v_fma_f64 v[234:235], -v[218:219], v[232:233], 1.0
	v_fmac_f64_e32 v[232:233], v[232:233], v[234:235]
	v_div_scale_f64 v[234:235], vcc, 1.0, v[216:217], 1.0
	v_mul_f64 v[236:237], v[234:235], v[232:233]
	v_fma_f64 v[218:219], -v[218:219], v[236:237], v[234:235]
	s_nop 1
	v_div_fmas_f64 v[218:219], v[218:219], v[232:233], v[236:237]
	v_div_fixup_f64 v[216:217], v[218:219], v[216:217], 1.0
	v_mul_f64 v[218:219], v[222:223], -v[216:217]
.LBB106_1080:
	s_or_b64 exec, exec, s[16:17]
.LBB106_1081:
	s_or_b64 exec, exec, s[0:1]
	v_cmp_ne_u32_e32 vcc, v229, v226
	s_and_saveexec_b64 s[0:1], vcc
	s_xor_b64 s[0:1], exec, s[0:1]
	s_cbranch_execz .LBB106_1087
; %bb.1082:
	v_cmp_eq_u32_e32 vcc, 51, v229
	s_and_saveexec_b64 s[16:17], vcc
	s_cbranch_execz .LBB106_1086
; %bb.1083:
	v_cmp_ne_u32_e32 vcc, 51, v226
	s_xor_b64 s[18:19], s[14:15], -1
	s_and_b64 s[22:23], s[18:19], vcc
	s_and_saveexec_b64 s[18:19], s[22:23]
	s_cbranch_execz .LBB106_1085
; %bb.1084:
	v_ashrrev_i32_e32 v227, 31, v226
	s_waitcnt vmcnt(0)
	v_lshl_add_u64 v[222:223], v[226:227], 2, v[224:225]
	global_load_dword v227, v[222:223], off
	global_load_dword v229, v[224:225], off offset:204
	s_waitcnt vmcnt(1)
	global_store_dword v[224:225], v227, off offset:204
	s_waitcnt vmcnt(1)
	global_store_dword v[222:223], v229, off
.LBB106_1085:
	s_or_b64 exec, exec, s[18:19]
	v_mov_b32_e32 v229, v226
	v_mov_b32_e32 v220, v226
.LBB106_1086:
	s_or_b64 exec, exec, s[16:17]
.LBB106_1087:
	s_andn2_saveexec_b64 s[0:1], s[0:1]
	s_cbranch_execz .LBB106_1089
; %bb.1088:
	v_mov_b32_e32 v229, 51
	s_waitcnt vmcnt(2)
	ds_write2_b64 v228, v[0:1], v[2:3] offset0:104 offset1:105
	s_waitcnt vmcnt(1)
	ds_write2_b64 v228, v[212:213], v[214:215] offset0:106 offset1:107
.LBB106_1089:
	s_or_b64 exec, exec, s[0:1]
	v_cmp_lt_i32_e32 vcc, 51, v229
	s_waitcnt lgkmcnt(0)
	s_barrier
	s_and_saveexec_b64 s[0:1], vcc
	s_cbranch_execz .LBB106_1091
; %bb.1090:
	ds_read2_b64 v[232:235], v228 offset0:104 offset1:105
	v_mul_f64 v[222:223], v[216:217], v[6:7]
	v_mul_f64 v[6:7], v[218:219], v[6:7]
	v_fmac_f64_e32 v[222:223], v[218:219], v[4:5]
	v_fma_f64 v[4:5], v[216:217], v[4:5], -v[6:7]
	ds_read2_b64 v[216:219], v228 offset0:106 offset1:107
	s_waitcnt lgkmcnt(1)
	v_mul_f64 v[6:7], v[234:235], v[222:223]
	v_fma_f64 v[6:7], v[232:233], v[4:5], -v[6:7]
	s_waitcnt vmcnt(2)
	v_add_f64 v[0:1], v[0:1], -v[6:7]
	v_mul_f64 v[226:227], v[232:233], v[222:223]
	s_waitcnt lgkmcnt(0)
	v_mul_f64 v[6:7], v[218:219], v[222:223]
	v_fma_f64 v[6:7], v[216:217], v[4:5], -v[6:7]
	v_mul_f64 v[216:217], v[216:217], v[222:223]
	v_fmac_f64_e32 v[226:227], v[234:235], v[4:5]
	v_fmac_f64_e32 v[216:217], v[218:219], v[4:5]
	v_add_f64 v[2:3], v[2:3], -v[226:227]
	s_waitcnt vmcnt(1)
	v_add_f64 v[212:213], v[212:213], -v[6:7]
	v_add_f64 v[214:215], v[214:215], -v[216:217]
	v_mov_b64_e32 v[6:7], v[222:223]
.LBB106_1091:
	s_or_b64 exec, exec, s[0:1]
	v_lshl_add_u32 v216, v229, 4, v228
	s_barrier
	s_waitcnt vmcnt(2)
	ds_write2_b64 v216, v[0:1], v[2:3] offset1:1
	s_waitcnt lgkmcnt(0)
	s_barrier
	ds_read2_b64 v[216:219], v228 offset0:104 offset1:105
	s_cmp_lt_i32 s20, 54
	v_mov_b32_e32 v226, 52
	s_cbranch_scc1 .LBB106_1094
; %bb.1092:
	v_add_u32_e32 v227, 0x350, v228
	s_mov_b32 s16, 53
	v_mov_b32_e32 v226, 52
.LBB106_1093:                           ; =>This Inner Loop Header: Depth=1
	ds_read2_b64 v[232:235], v227 offset1:1
	s_waitcnt lgkmcnt(1)
	v_xor_b32_e32 v223, 0x80000000, v217
	v_xor_b32_e32 v231, 0x80000000, v219
	v_cmp_gt_f64_e32 vcc, 0, v[218:219]
	v_cmp_gt_f64_e64 s[0:1], 0, v[216:217]
	v_mov_b32_e32 v222, v216
	v_mov_b32_e32 v236, v218
	v_cndmask_b32_e64 v223, v217, v223, s[0:1]
	v_cndmask_b32_e32 v237, v219, v231, vcc
	s_waitcnt lgkmcnt(0)
	v_xor_b32_e32 v231, 0x80000000, v233
	v_xor_b32_e32 v239, 0x80000000, v235
	v_cmp_gt_f64_e32 vcc, 0, v[234:235]
	v_cmp_gt_f64_e64 s[0:1], 0, v[232:233]
	v_add_f64 v[222:223], v[222:223], v[236:237]
	v_mov_b32_e32 v236, v232
	v_mov_b32_e32 v238, v234
	v_cndmask_b32_e64 v237, v233, v231, s[0:1]
	v_cndmask_b32_e32 v239, v235, v239, vcc
	v_add_f64 v[236:237], v[236:237], v[238:239]
	v_mov_b32_e32 v240, s16
	s_add_i32 s16, s16, 1
	v_cmp_lt_f64_e32 vcc, v[222:223], v[236:237]
	v_add_u32_e32 v227, 16, v227
	s_cmp_lg_u32 s20, s16
	v_cndmask_b32_e32 v217, v217, v233, vcc
	v_cndmask_b32_e32 v216, v216, v232, vcc
	;; [unrolled: 1-line block ×5, first 2 shown]
	s_cbranch_scc1 .LBB106_1093
.LBB106_1094:
	s_waitcnt lgkmcnt(0)
	v_cmp_eq_f64_e32 vcc, 0, v[216:217]
	v_cmp_eq_f64_e64 s[0:1], 0, v[218:219]
	s_and_b64 s[0:1], vcc, s[0:1]
	s_and_saveexec_b64 s[16:17], s[0:1]
	s_xor_b64 s[0:1], exec, s[16:17]
; %bb.1095:
	v_cmp_ne_u32_e32 vcc, 0, v230
	s_nop 1
	v_cndmask_b32_e32 v230, 53, v230, vcc
; %bb.1096:
	s_andn2_saveexec_b64 s[0:1], s[0:1]
	s_cbranch_execz .LBB106_1102
; %bb.1097:
	v_cmp_ngt_f64_e64 s[16:17], |v[216:217]|, |v[218:219]|
	s_and_saveexec_b64 s[18:19], s[16:17]
	s_xor_b64 s[16:17], exec, s[18:19]
	s_cbranch_execz .LBB106_1099
; %bb.1098:
	v_div_scale_f64 v[222:223], s[18:19], v[218:219], v[218:219], v[216:217]
	v_rcp_f64_e32 v[232:233], v[222:223]
	v_div_scale_f64 v[234:235], vcc, v[216:217], v[218:219], v[216:217]
	v_fma_f64 v[236:237], -v[222:223], v[232:233], 1.0
	v_fmac_f64_e32 v[232:233], v[232:233], v[236:237]
	v_fma_f64 v[236:237], -v[222:223], v[232:233], 1.0
	v_fmac_f64_e32 v[232:233], v[232:233], v[236:237]
	v_mul_f64 v[236:237], v[234:235], v[232:233]
	v_fma_f64 v[222:223], -v[222:223], v[236:237], v[234:235]
	v_div_fmas_f64 v[222:223], v[222:223], v[232:233], v[236:237]
	v_div_fixup_f64 v[222:223], v[222:223], v[218:219], v[216:217]
	v_fmac_f64_e32 v[218:219], v[216:217], v[222:223]
	v_div_scale_f64 v[216:217], s[18:19], v[218:219], v[218:219], 1.0
	v_rcp_f64_e32 v[232:233], v[216:217]
	s_nop 0
	v_fma_f64 v[234:235], -v[216:217], v[232:233], 1.0
	v_fmac_f64_e32 v[232:233], v[232:233], v[234:235]
	v_fma_f64 v[234:235], -v[216:217], v[232:233], 1.0
	v_fmac_f64_e32 v[232:233], v[232:233], v[234:235]
	v_div_scale_f64 v[234:235], vcc, 1.0, v[218:219], 1.0
	v_mul_f64 v[236:237], v[234:235], v[232:233]
	v_fma_f64 v[216:217], -v[216:217], v[236:237], v[234:235]
	s_nop 1
	v_div_fmas_f64 v[216:217], v[216:217], v[232:233], v[236:237]
	v_div_fixup_f64 v[218:219], v[216:217], v[218:219], 1.0
	v_mul_f64 v[216:217], v[222:223], v[218:219]
	v_xor_b32_e32 v219, 0x80000000, v219
.LBB106_1099:
	s_andn2_saveexec_b64 s[16:17], s[16:17]
	s_cbranch_execz .LBB106_1101
; %bb.1100:
	v_div_scale_f64 v[222:223], s[18:19], v[216:217], v[216:217], v[218:219]
	v_rcp_f64_e32 v[232:233], v[222:223]
	v_div_scale_f64 v[234:235], vcc, v[218:219], v[216:217], v[218:219]
	v_fma_f64 v[236:237], -v[222:223], v[232:233], 1.0
	v_fmac_f64_e32 v[232:233], v[232:233], v[236:237]
	v_fma_f64 v[236:237], -v[222:223], v[232:233], 1.0
	v_fmac_f64_e32 v[232:233], v[232:233], v[236:237]
	v_mul_f64 v[236:237], v[234:235], v[232:233]
	v_fma_f64 v[222:223], -v[222:223], v[236:237], v[234:235]
	v_div_fmas_f64 v[222:223], v[222:223], v[232:233], v[236:237]
	v_div_fixup_f64 v[222:223], v[222:223], v[216:217], v[218:219]
	v_fmac_f64_e32 v[216:217], v[218:219], v[222:223]
	v_div_scale_f64 v[218:219], s[18:19], v[216:217], v[216:217], 1.0
	v_rcp_f64_e32 v[232:233], v[218:219]
	s_nop 0
	v_fma_f64 v[234:235], -v[218:219], v[232:233], 1.0
	v_fmac_f64_e32 v[232:233], v[232:233], v[234:235]
	v_fma_f64 v[234:235], -v[218:219], v[232:233], 1.0
	v_fmac_f64_e32 v[232:233], v[232:233], v[234:235]
	v_div_scale_f64 v[234:235], vcc, 1.0, v[216:217], 1.0
	v_mul_f64 v[236:237], v[234:235], v[232:233]
	v_fma_f64 v[218:219], -v[218:219], v[236:237], v[234:235]
	s_nop 1
	v_div_fmas_f64 v[218:219], v[218:219], v[232:233], v[236:237]
	v_div_fixup_f64 v[216:217], v[218:219], v[216:217], 1.0
	v_mul_f64 v[218:219], v[222:223], -v[216:217]
.LBB106_1101:
	s_or_b64 exec, exec, s[16:17]
.LBB106_1102:
	s_or_b64 exec, exec, s[0:1]
	v_cmp_ne_u32_e32 vcc, v229, v226
	s_and_saveexec_b64 s[0:1], vcc
	s_xor_b64 s[0:1], exec, s[0:1]
	s_cbranch_execz .LBB106_1108
; %bb.1103:
	v_cmp_eq_u32_e32 vcc, 52, v229
	s_and_saveexec_b64 s[16:17], vcc
	s_cbranch_execz .LBB106_1107
; %bb.1104:
	v_cmp_ne_u32_e32 vcc, 52, v226
	s_xor_b64 s[18:19], s[14:15], -1
	s_and_b64 s[22:23], s[18:19], vcc
	s_and_saveexec_b64 s[18:19], s[22:23]
	s_cbranch_execz .LBB106_1106
; %bb.1105:
	v_ashrrev_i32_e32 v227, 31, v226
	s_waitcnt vmcnt(0)
	v_lshl_add_u64 v[222:223], v[226:227], 2, v[224:225]
	global_load_dword v227, v[222:223], off
	global_load_dword v229, v[224:225], off offset:208
	s_waitcnt vmcnt(1)
	global_store_dword v[224:225], v227, off offset:208
	s_waitcnt vmcnt(1)
	global_store_dword v[222:223], v229, off
.LBB106_1106:
	s_or_b64 exec, exec, s[18:19]
	v_mov_b32_e32 v229, v226
	v_mov_b32_e32 v220, v226
.LBB106_1107:
	s_or_b64 exec, exec, s[16:17]
.LBB106_1108:
	s_andn2_saveexec_b64 s[0:1], s[0:1]
	s_cbranch_execz .LBB106_1110
; %bb.1109:
	v_mov_b32_e32 v229, 52
	s_waitcnt vmcnt(1)
	ds_write2_b64 v228, v[212:213], v[214:215] offset0:106 offset1:107
.LBB106_1110:
	s_or_b64 exec, exec, s[0:1]
	v_cmp_lt_i32_e32 vcc, 52, v229
	s_waitcnt lgkmcnt(0)
	s_barrier
	s_and_saveexec_b64 s[0:1], vcc
	s_cbranch_execz .LBB106_1112
; %bb.1111:
	ds_read2_b64 v[232:235], v228 offset0:106 offset1:107
	v_mul_f64 v[222:223], v[216:217], v[2:3]
	v_mul_f64 v[2:3], v[218:219], v[2:3]
	v_fmac_f64_e32 v[222:223], v[218:219], v[0:1]
	v_fma_f64 v[0:1], v[216:217], v[0:1], -v[2:3]
	s_waitcnt lgkmcnt(0)
	v_mul_f64 v[2:3], v[234:235], v[222:223]
	v_mul_f64 v[216:217], v[232:233], v[222:223]
	v_fma_f64 v[2:3], v[232:233], v[0:1], -v[2:3]
	v_fmac_f64_e32 v[216:217], v[234:235], v[0:1]
	s_waitcnt vmcnt(1)
	v_add_f64 v[212:213], v[212:213], -v[2:3]
	v_add_f64 v[214:215], v[214:215], -v[216:217]
	v_mov_b64_e32 v[2:3], v[222:223]
.LBB106_1112:
	s_or_b64 exec, exec, s[0:1]
	v_lshl_add_u32 v216, v229, 4, v228
	s_barrier
	s_waitcnt vmcnt(1)
	ds_write2_b64 v216, v[212:213], v[214:215] offset1:1
	s_waitcnt lgkmcnt(0)
	s_barrier
	ds_read2_b64 v[216:219], v228 offset0:106 offset1:107
	s_cmp_lt_i32 s20, 55
	v_mov_b32_e32 v226, 53
	s_cbranch_scc1 .LBB106_1115
; %bb.1113:
	v_add_u32_e32 v227, 0x360, v228
	s_mov_b32 s16, 54
	v_mov_b32_e32 v226, 53
.LBB106_1114:                           ; =>This Inner Loop Header: Depth=1
	ds_read2_b64 v[232:235], v227 offset1:1
	s_waitcnt lgkmcnt(1)
	v_xor_b32_e32 v223, 0x80000000, v217
	v_xor_b32_e32 v228, 0x80000000, v219
	v_cmp_gt_f64_e32 vcc, 0, v[218:219]
	v_cmp_gt_f64_e64 s[0:1], 0, v[216:217]
	v_mov_b32_e32 v222, v216
	v_mov_b32_e32 v236, v218
	v_cndmask_b32_e64 v223, v217, v223, s[0:1]
	v_cndmask_b32_e32 v237, v219, v228, vcc
	s_waitcnt lgkmcnt(0)
	v_xor_b32_e32 v228, 0x80000000, v233
	v_xor_b32_e32 v239, 0x80000000, v235
	v_cmp_gt_f64_e32 vcc, 0, v[234:235]
	v_cmp_gt_f64_e64 s[0:1], 0, v[232:233]
	v_add_f64 v[222:223], v[222:223], v[236:237]
	v_mov_b32_e32 v236, v232
	v_mov_b32_e32 v238, v234
	v_cndmask_b32_e64 v237, v233, v228, s[0:1]
	v_cndmask_b32_e32 v239, v235, v239, vcc
	v_add_f64 v[236:237], v[236:237], v[238:239]
	v_mov_b32_e32 v231, s16
	s_add_i32 s16, s16, 1
	v_cmp_lt_f64_e32 vcc, v[222:223], v[236:237]
	v_add_u32_e32 v227, 16, v227
	s_cmp_lg_u32 s20, s16
	v_cndmask_b32_e32 v217, v217, v233, vcc
	v_cndmask_b32_e32 v216, v216, v232, vcc
	v_cndmask_b32_e32 v219, v219, v235, vcc
	v_cndmask_b32_e32 v218, v218, v234, vcc
	v_cndmask_b32_e32 v226, v226, v231, vcc
	s_cbranch_scc1 .LBB106_1114
.LBB106_1115:
	s_waitcnt lgkmcnt(0)
	v_cmp_eq_f64_e32 vcc, 0, v[216:217]
	v_cmp_eq_f64_e64 s[0:1], 0, v[218:219]
	s_and_b64 s[0:1], vcc, s[0:1]
	s_and_saveexec_b64 s[16:17], s[0:1]
	s_xor_b64 s[0:1], exec, s[16:17]
; %bb.1116:
	v_cmp_ne_u32_e32 vcc, 0, v230
	s_nop 1
	v_cndmask_b32_e32 v230, 54, v230, vcc
; %bb.1117:
	s_andn2_saveexec_b64 s[0:1], s[0:1]
	s_cbranch_execz .LBB106_1123
; %bb.1118:
	v_cmp_ngt_f64_e64 s[16:17], |v[216:217]|, |v[218:219]|
	s_and_saveexec_b64 s[18:19], s[16:17]
	s_xor_b64 s[16:17], exec, s[18:19]
	s_cbranch_execz .LBB106_1120
; %bb.1119:
	v_div_scale_f64 v[222:223], s[18:19], v[218:219], v[218:219], v[216:217]
	v_rcp_f64_e32 v[232:233], v[222:223]
	v_div_scale_f64 v[234:235], vcc, v[216:217], v[218:219], v[216:217]
	v_fma_f64 v[236:237], -v[222:223], v[232:233], 1.0
	v_fmac_f64_e32 v[232:233], v[232:233], v[236:237]
	v_fma_f64 v[236:237], -v[222:223], v[232:233], 1.0
	v_fmac_f64_e32 v[232:233], v[232:233], v[236:237]
	v_mul_f64 v[236:237], v[234:235], v[232:233]
	v_fma_f64 v[222:223], -v[222:223], v[236:237], v[234:235]
	v_div_fmas_f64 v[222:223], v[222:223], v[232:233], v[236:237]
	v_div_fixup_f64 v[222:223], v[222:223], v[218:219], v[216:217]
	v_fmac_f64_e32 v[218:219], v[216:217], v[222:223]
	v_div_scale_f64 v[216:217], s[18:19], v[218:219], v[218:219], 1.0
	v_rcp_f64_e32 v[232:233], v[216:217]
	s_nop 0
	v_fma_f64 v[234:235], -v[216:217], v[232:233], 1.0
	v_fmac_f64_e32 v[232:233], v[232:233], v[234:235]
	v_fma_f64 v[234:235], -v[216:217], v[232:233], 1.0
	v_fmac_f64_e32 v[232:233], v[232:233], v[234:235]
	v_div_scale_f64 v[234:235], vcc, 1.0, v[218:219], 1.0
	v_mul_f64 v[236:237], v[234:235], v[232:233]
	v_fma_f64 v[216:217], -v[216:217], v[236:237], v[234:235]
	s_nop 1
	v_div_fmas_f64 v[216:217], v[216:217], v[232:233], v[236:237]
	v_div_fixup_f64 v[218:219], v[216:217], v[218:219], 1.0
	v_mul_f64 v[216:217], v[222:223], v[218:219]
	v_xor_b32_e32 v219, 0x80000000, v219
.LBB106_1120:
	s_andn2_saveexec_b64 s[16:17], s[16:17]
	s_cbranch_execz .LBB106_1122
; %bb.1121:
	v_div_scale_f64 v[222:223], s[18:19], v[216:217], v[216:217], v[218:219]
	v_rcp_f64_e32 v[232:233], v[222:223]
	v_div_scale_f64 v[234:235], vcc, v[218:219], v[216:217], v[218:219]
	v_fma_f64 v[236:237], -v[222:223], v[232:233], 1.0
	v_fmac_f64_e32 v[232:233], v[232:233], v[236:237]
	v_fma_f64 v[236:237], -v[222:223], v[232:233], 1.0
	v_fmac_f64_e32 v[232:233], v[232:233], v[236:237]
	v_mul_f64 v[236:237], v[234:235], v[232:233]
	v_fma_f64 v[222:223], -v[222:223], v[236:237], v[234:235]
	v_div_fmas_f64 v[222:223], v[222:223], v[232:233], v[236:237]
	v_div_fixup_f64 v[222:223], v[222:223], v[216:217], v[218:219]
	v_fmac_f64_e32 v[216:217], v[218:219], v[222:223]
	v_div_scale_f64 v[218:219], s[18:19], v[216:217], v[216:217], 1.0
	v_rcp_f64_e32 v[232:233], v[218:219]
	s_nop 0
	v_fma_f64 v[234:235], -v[218:219], v[232:233], 1.0
	v_fmac_f64_e32 v[232:233], v[232:233], v[234:235]
	v_fma_f64 v[234:235], -v[218:219], v[232:233], 1.0
	v_fmac_f64_e32 v[232:233], v[232:233], v[234:235]
	v_div_scale_f64 v[234:235], vcc, 1.0, v[216:217], 1.0
	v_mul_f64 v[236:237], v[234:235], v[232:233]
	v_fma_f64 v[218:219], -v[218:219], v[236:237], v[234:235]
	s_nop 1
	v_div_fmas_f64 v[218:219], v[218:219], v[232:233], v[236:237]
	v_div_fixup_f64 v[216:217], v[218:219], v[216:217], 1.0
	v_mul_f64 v[218:219], v[222:223], -v[216:217]
.LBB106_1122:
	s_or_b64 exec, exec, s[16:17]
.LBB106_1123:
	s_or_b64 exec, exec, s[0:1]
	v_cmp_ne_u32_e32 vcc, v229, v226
	v_mov_b32_e32 v228, 53
	s_and_saveexec_b64 s[0:1], vcc
	s_cbranch_execz .LBB106_1129
; %bb.1124:
	v_cmp_eq_u32_e32 vcc, 53, v229
	s_and_saveexec_b64 s[16:17], vcc
	s_cbranch_execz .LBB106_1128
; %bb.1125:
	v_cmp_ne_u32_e32 vcc, 53, v226
	s_xor_b64 s[14:15], s[14:15], -1
	s_and_b64 s[18:19], s[14:15], vcc
	s_and_saveexec_b64 s[14:15], s[18:19]
	s_cbranch_execz .LBB106_1127
; %bb.1126:
	v_ashrrev_i32_e32 v227, 31, v226
	s_waitcnt vmcnt(0)
	v_lshl_add_u64 v[222:223], v[226:227], 2, v[224:225]
	global_load_dword v227, v[222:223], off
	global_load_dword v228, v[224:225], off offset:212
	s_waitcnt vmcnt(1)
	global_store_dword v[224:225], v227, off offset:212
	s_waitcnt vmcnt(1)
	global_store_dword v[222:223], v228, off
.LBB106_1127:
	s_or_b64 exec, exec, s[14:15]
	v_mov_b32_e32 v229, v226
	v_mov_b32_e32 v220, v226
.LBB106_1128:
	s_or_b64 exec, exec, s[16:17]
	v_mov_b32_e32 v228, v229
.LBB106_1129:
	s_or_b64 exec, exec, s[0:1]
	v_cmp_gt_i32_e32 vcc, 54, v228
	v_ashrrev_i32_e32 v229, 31, v228
	s_barrier
	s_barrier
	s_and_saveexec_b64 s[0:1], vcc
	s_cbranch_execz .LBB106_1131
; %bb.1130:
	v_mov_b32_e32 v222, s6
	v_mov_b32_e32 v223, s7
	v_mul_lo_u32 v226, s11, v244
	v_mul_lo_u32 v227, s10, v245
	s_waitcnt vmcnt(0)
	v_mad_u64_u32 v[224:225], s[6:7], s10, v244, 0
	v_add3_u32 v225, v225, v227, v226
	v_lshl_add_u64 v[222:223], v[224:225], 2, v[222:223]
	v_lshl_add_u64 v[222:223], s[8:9], 2, v[222:223]
	;; [unrolled: 1-line block ×3, first 2 shown]
	v_add3_u32 v224, v220, s13, 1
	global_store_dword v[222:223], v224, off
.LBB106_1131:
	s_or_b64 exec, exec, s[0:1]
	v_cmp_eq_u32_e32 vcc, 0, v228
	s_and_saveexec_b64 s[6:7], vcc
	s_cbranch_execz .LBB106_1134
; %bb.1132:
	v_mov_b32_e32 v222, s4
	v_mov_b32_e32 v223, s5
	v_lshl_add_u64 v[222:223], v[244:245], 2, v[222:223]
	global_load_dword v224, v[222:223], off
	v_cmp_ne_u32_e64 s[0:1], 0, v230
	s_waitcnt vmcnt(0)
	v_cmp_eq_u32_e32 vcc, 0, v224
	s_and_b64 s[0:1], vcc, s[0:1]
	s_and_b64 exec, exec, s[0:1]
	s_cbranch_execz .LBB106_1134
; %bb.1133:
	v_add_u32_e32 v224, s13, v230
	global_store_dword v[222:223], v224, off
.LBB106_1134:
	s_or_b64 exec, exec, s[6:7]
	scratch_load_dwordx2 v[150:151], off, off ; 8-byte Folded Reload
	v_mul_f64 v[222:223], v[218:219], v[214:215]
	v_fma_f64 v[222:223], v[216:217], v[212:213], -v[222:223]
	v_mul_f64 v[216:217], v[216:217], v[214:215]
	v_fmac_f64_e32 v[216:217], v[218:219], v[212:213]
	v_cmp_lt_i32_e32 vcc, 53, v228
	s_nop 1
	v_cndmask_b32_e32 v215, v215, v217, vcc
	v_cndmask_b32_e32 v214, v214, v216, vcc
	;; [unrolled: 1-line block ×4, first 2 shown]
	s_waitcnt vmcnt(0)
	v_lshl_add_u64 v[216:217], v[228:229], 4, v[150:151]
	v_lshl_add_u64 v[148:149], s[2:3], 4, v[216:217]
	global_store_dwordx4 v[216:217], v[246:249], off
	global_store_dwordx4 v[148:149], v[140:143], off
	s_nop 1
	v_add_u32_e32 v140, s12, v228
	v_ashrrev_i32_e32 v141, 31, v140
	v_lshl_add_u64 v[142:143], v[140:141], 4, v[150:151]
	v_add_u32_e32 v140, s2, v140
	v_ashrrev_i32_e32 v141, 31, v140
	global_store_dwordx4 v[142:143], v[208:211], off
	v_lshl_add_u64 v[142:143], v[140:141], 4, v[150:151]
	v_add_u32_e32 v140, s2, v140
	v_ashrrev_i32_e32 v141, 31, v140
	global_store_dwordx4 v[142:143], v[204:207], off
	;; [unrolled: 4-line block ×16, first 2 shown]
	v_lshl_add_u64 v[142:143], v[140:141], 4, v[150:151]
	global_store_dwordx4 v[142:143], v[136:139], off
	s_nop 1
	v_add_u32_e32 v136, s2, v140
	v_ashrrev_i32_e32 v137, 31, v136
	v_lshl_add_u64 v[138:139], v[136:137], 4, v[150:151]
	global_store_dwordx4 v[138:139], v[132:135], off
	s_nop 1
	v_add_u32_e32 v132, s2, v136
	v_ashrrev_i32_e32 v133, 31, v132
	;; [unrolled: 5-line block ×35, first 2 shown]
	v_lshl_add_u64 v[0:1], v[0:1], 4, v[150:151]
	global_store_dwordx4 v[0:1], v[212:215], off
.LBB106_1135:
	s_endpgm
	.section	.rodata,"a",@progbits
	.p2align	6, 0x0
	.amdhsa_kernel _ZN9rocsolver6v33100L18getf2_small_kernelILi54E19rocblas_complex_numIdEiiPS3_EEvT1_T3_lS5_lPS5_llPT2_S5_S5_S7_l
		.amdhsa_group_segment_fixed_size 0
		.amdhsa_private_segment_fixed_size 20
		.amdhsa_kernarg_size 352
		.amdhsa_user_sgpr_count 2
		.amdhsa_user_sgpr_dispatch_ptr 0
		.amdhsa_user_sgpr_queue_ptr 0
		.amdhsa_user_sgpr_kernarg_segment_ptr 1
		.amdhsa_user_sgpr_dispatch_id 0
		.amdhsa_user_sgpr_kernarg_preload_length 0
		.amdhsa_user_sgpr_kernarg_preload_offset 0
		.amdhsa_user_sgpr_private_segment_size 0
		.amdhsa_uses_dynamic_stack 0
		.amdhsa_enable_private_segment 1
		.amdhsa_system_sgpr_workgroup_id_x 1
		.amdhsa_system_sgpr_workgroup_id_y 1
		.amdhsa_system_sgpr_workgroup_id_z 0
		.amdhsa_system_sgpr_workgroup_info 0
		.amdhsa_system_vgpr_workitem_id 1
		.amdhsa_next_free_vgpr 256
		.amdhsa_next_free_sgpr 26
		.amdhsa_accum_offset 256
		.amdhsa_reserve_vcc 1
		.amdhsa_float_round_mode_32 0
		.amdhsa_float_round_mode_16_64 0
		.amdhsa_float_denorm_mode_32 3
		.amdhsa_float_denorm_mode_16_64 3
		.amdhsa_dx10_clamp 1
		.amdhsa_ieee_mode 1
		.amdhsa_fp16_overflow 0
		.amdhsa_tg_split 0
		.amdhsa_exception_fp_ieee_invalid_op 0
		.amdhsa_exception_fp_denorm_src 0
		.amdhsa_exception_fp_ieee_div_zero 0
		.amdhsa_exception_fp_ieee_overflow 0
		.amdhsa_exception_fp_ieee_underflow 0
		.amdhsa_exception_fp_ieee_inexact 0
		.amdhsa_exception_int_div_zero 0
	.end_amdhsa_kernel
	.section	.text._ZN9rocsolver6v33100L18getf2_small_kernelILi54E19rocblas_complex_numIdEiiPS3_EEvT1_T3_lS5_lPS5_llPT2_S5_S5_S7_l,"axG",@progbits,_ZN9rocsolver6v33100L18getf2_small_kernelILi54E19rocblas_complex_numIdEiiPS3_EEvT1_T3_lS5_lPS5_llPT2_S5_S5_S7_l,comdat
.Lfunc_end106:
	.size	_ZN9rocsolver6v33100L18getf2_small_kernelILi54E19rocblas_complex_numIdEiiPS3_EEvT1_T3_lS5_lPS5_llPT2_S5_S5_S7_l, .Lfunc_end106-_ZN9rocsolver6v33100L18getf2_small_kernelILi54E19rocblas_complex_numIdEiiPS3_EEvT1_T3_lS5_lPS5_llPT2_S5_S5_S7_l
                                        ; -- End function
	.set _ZN9rocsolver6v33100L18getf2_small_kernelILi54E19rocblas_complex_numIdEiiPS3_EEvT1_T3_lS5_lPS5_llPT2_S5_S5_S7_l.num_vgpr, 256
	.set _ZN9rocsolver6v33100L18getf2_small_kernelILi54E19rocblas_complex_numIdEiiPS3_EEvT1_T3_lS5_lPS5_llPT2_S5_S5_S7_l.num_agpr, 0
	.set _ZN9rocsolver6v33100L18getf2_small_kernelILi54E19rocblas_complex_numIdEiiPS3_EEvT1_T3_lS5_lPS5_llPT2_S5_S5_S7_l.numbered_sgpr, 26
	.set _ZN9rocsolver6v33100L18getf2_small_kernelILi54E19rocblas_complex_numIdEiiPS3_EEvT1_T3_lS5_lPS5_llPT2_S5_S5_S7_l.num_named_barrier, 0
	.set _ZN9rocsolver6v33100L18getf2_small_kernelILi54E19rocblas_complex_numIdEiiPS3_EEvT1_T3_lS5_lPS5_llPT2_S5_S5_S7_l.private_seg_size, 20
	.set _ZN9rocsolver6v33100L18getf2_small_kernelILi54E19rocblas_complex_numIdEiiPS3_EEvT1_T3_lS5_lPS5_llPT2_S5_S5_S7_l.uses_vcc, 1
	.set _ZN9rocsolver6v33100L18getf2_small_kernelILi54E19rocblas_complex_numIdEiiPS3_EEvT1_T3_lS5_lPS5_llPT2_S5_S5_S7_l.uses_flat_scratch, 0
	.set _ZN9rocsolver6v33100L18getf2_small_kernelILi54E19rocblas_complex_numIdEiiPS3_EEvT1_T3_lS5_lPS5_llPT2_S5_S5_S7_l.has_dyn_sized_stack, 0
	.set _ZN9rocsolver6v33100L18getf2_small_kernelILi54E19rocblas_complex_numIdEiiPS3_EEvT1_T3_lS5_lPS5_llPT2_S5_S5_S7_l.has_recursion, 0
	.set _ZN9rocsolver6v33100L18getf2_small_kernelILi54E19rocblas_complex_numIdEiiPS3_EEvT1_T3_lS5_lPS5_llPT2_S5_S5_S7_l.has_indirect_call, 0
	.section	.AMDGPU.csdata,"",@progbits
; Kernel info:
; codeLenInByte = 153132
; TotalNumSgprs: 32
; NumVgprs: 256
; NumAgprs: 0
; TotalNumVgprs: 256
; ScratchSize: 20
; MemoryBound: 0
; FloatMode: 240
; IeeeMode: 1
; LDSByteSize: 0 bytes/workgroup (compile time only)
; SGPRBlocks: 3
; VGPRBlocks: 31
; NumSGPRsForWavesPerEU: 32
; NumVGPRsForWavesPerEU: 256
; AccumOffset: 256
; Occupancy: 2
; WaveLimiterHint : 0
; COMPUTE_PGM_RSRC2:SCRATCH_EN: 1
; COMPUTE_PGM_RSRC2:USER_SGPR: 2
; COMPUTE_PGM_RSRC2:TRAP_HANDLER: 0
; COMPUTE_PGM_RSRC2:TGID_X_EN: 1
; COMPUTE_PGM_RSRC2:TGID_Y_EN: 1
; COMPUTE_PGM_RSRC2:TGID_Z_EN: 0
; COMPUTE_PGM_RSRC2:TIDIG_COMP_CNT: 1
; COMPUTE_PGM_RSRC3_GFX90A:ACCUM_OFFSET: 63
; COMPUTE_PGM_RSRC3_GFX90A:TG_SPLIT: 0
	.section	.text._ZN9rocsolver6v33100L23getf2_npvt_small_kernelILi54E19rocblas_complex_numIdEiiPS3_EEvT1_T3_lS5_lPT2_S5_S5_,"axG",@progbits,_ZN9rocsolver6v33100L23getf2_npvt_small_kernelILi54E19rocblas_complex_numIdEiiPS3_EEvT1_T3_lS5_lPT2_S5_S5_,comdat
	.globl	_ZN9rocsolver6v33100L23getf2_npvt_small_kernelILi54E19rocblas_complex_numIdEiiPS3_EEvT1_T3_lS5_lPT2_S5_S5_ ; -- Begin function _ZN9rocsolver6v33100L23getf2_npvt_small_kernelILi54E19rocblas_complex_numIdEiiPS3_EEvT1_T3_lS5_lPT2_S5_S5_
	.p2align	8
	.type	_ZN9rocsolver6v33100L23getf2_npvt_small_kernelILi54E19rocblas_complex_numIdEiiPS3_EEvT1_T3_lS5_lPT2_S5_S5_,@function
_ZN9rocsolver6v33100L23getf2_npvt_small_kernelILi54E19rocblas_complex_numIdEiiPS3_EEvT1_T3_lS5_lPT2_S5_S5_: ; @_ZN9rocsolver6v33100L23getf2_npvt_small_kernelILi54E19rocblas_complex_numIdEiiPS3_EEvT1_T3_lS5_lPT2_S5_S5_
; %bb.0:
	s_load_dword s2, s[0:1], 0x44
	s_load_dwordx2 s[8:9], s[0:1], 0x30
	v_bfe_u32 v2, v0, 10, 10
	s_waitcnt lgkmcnt(0)
	s_lshr_b32 s2, s2, 16
	s_mul_i32 s3, s3, s2
	v_add_u32_e32 v4, s3, v2
	v_cmp_gt_i32_e32 vcc, s8, v4
	s_and_saveexec_b64 s[4:5], vcc
	s_cbranch_execz .LBB107_489
; %bb.1:
	s_load_dwordx4 s[12:15], s[0:1], 0x8
	s_load_dword s10, s[0:1], 0x18
	s_load_dwordx4 s[4:7], s[0:1], 0x20
	v_ashrrev_i32_e32 v5, 31, v4
	scratch_store_dwordx2 off, v[4:5], off offset:1184 ; 8-byte Folded Spill
	v_and_b32_e32 v200, 0x3ff, v0
	s_waitcnt lgkmcnt(0)
	v_mov_b32_e32 v0, s12
	v_mul_lo_u32 v3, s5, v4
	v_mul_lo_u32 v6, s4, v5
	v_mad_u64_u32 v[4:5], s[0:1], s4, v4, 0
	v_mov_b32_e32 v1, s13
	v_add3_u32 v5, v5, v6, v3
	v_lshl_add_u64 v[0:1], v[4:5], 4, v[0:1]
	v_lshl_add_u64 v[0:1], s[14:15], 4, v[0:1]
	v_lshlrev_b32_e32 v4, 4, v200
	v_mov_b32_e32 v5, 0
	s_add_i32 s0, s10, s10
	v_lshl_add_u64 v[6:7], v[0:1], 0, v[4:5]
	v_add_u32_e32 v4, s0, v200
	v_ashrrev_i32_e32 v5, 31, v4
	v_lshl_add_u64 v[8:9], v[4:5], 4, v[0:1]
	v_add_u32_e32 v4, s10, v4
	v_ashrrev_i32_e32 v5, 31, v4
	;; [unrolled: 3-line block ×51, first 2 shown]
	v_lshl_add_u64 v[234:235], v[4:5], 4, v[0:1]
	v_add_u32_e32 v4, s10, v4
	s_mulk_i32 s2, 0x360
	v_ashrrev_i32_e32 v5, 31, v4
	s_movk_i32 s0, 0x360
	s_add_i32 s1, s2, 0
	v_lshl_add_u64 v[236:237], v[4:5], 4, v[0:1]
	v_mad_u32_u24 v202, v2, s0, 0
	v_lshl_add_u32 v201, v2, 4, s1
	global_load_dwordx4 v[2:5], v[6:7], off
	s_ashr_i32 s11, s10, 31
	v_lshl_add_u64 v[0:1], s[10:11], 4, v[6:7]
	scratch_store_dwordx2 off, v[6:7], off offset:64 ; 8-byte Folded Spill
	v_cmp_ne_u32_e64 s[2:3], 0, v200
	v_cmp_eq_u32_e64 s[0:1], 0, v200
	s_waitcnt vmcnt(1)
	scratch_store_dwordx4 off, v[2:5], off offset:48 ; 16-byte Folded Spill
	scratch_store_dwordx2 off, v[0:1], off offset:488 ; 8-byte Folded Spill
	global_load_dwordx4 v[0:3], v[0:1], off
	s_waitcnt vmcnt(0)
	scratch_store_dwordx4 off, v[0:3], off offset:32 ; 16-byte Folded Spill
	scratch_store_dwordx2 off, v[8:9], off offset:72 ; 8-byte Folded Spill
	global_load_dwordx4 v[0:3], v[8:9], off
	;; [unrolled: 4-line block ×3, first 2 shown]
	s_nop 0
	global_load_dwordx4 v[4:7], v[12:13], off
	s_nop 0
	scratch_store_dwordx2 off, v[12:13], off offset:88 ; 8-byte Folded Spill
	s_waitcnt vmcnt(1)
	scratch_store_dwordx4 off, v[4:7], off  ; 16-byte Folded Spill
	scratch_store_dwordx2 off, v[14:15], off offset:96 ; 8-byte Folded Spill
	global_load_dwordx4 v[92:95], v[62:63], off
	global_load_dwordx4 v[88:91], v[64:65], off
	;; [unrolled: 1-line block ×32, first 2 shown]
	s_nop 0
	scratch_store_dwordx2 off, v[64:65], off offset:296 ; 8-byte Folded Spill
	scratch_store_dwordx2 off, v[66:67], off offset:304 ; 8-byte Folded Spill
	;; [unrolled: 1-line block ×5, first 2 shown]
	global_load_dwordx4 v[72:75], v[72:73], off
	s_nop 0
	scratch_store_dwordx2 off, v[196:197], off offset:336 ; 8-byte Folded Spill
	global_load_dwordx4 v[68:71], v[196:197], off
	global_load_dwordx4 v[64:67], v[198:199], off
	s_nop 0
	scratch_store_dwordx2 off, v[198:199], off offset:344 ; 8-byte Folded Spill
	v_mov_b64_e32 v[198:199], v[2:3]
	scratch_store_dwordx2 off, v[16:17], off offset:104 ; 8-byte Folded Spill
	scratch_store_dwordx2 off, v[18:19], off offset:112 ; 8-byte Folded Spill
	;; [unrolled: 1-line block ×24, first 2 shown]
	v_mov_b64_e32 v[196:197], v[0:1]
	global_load_dwordx4 v[60:63], v[204:205], off
	global_load_dwordx4 v[56:59], v[206:207], off
	;; [unrolled: 1-line block ×13, first 2 shown]
	s_nop 0
	scratch_store_dwordx2 off, v[212:213], off offset:384 ; 8-byte Folded Spill
	scratch_store_dwordx2 off, v[214:215], off offset:392 ; 8-byte Folded Spill
	global_load_dwordx4 v[212:215], v[236:237], off
	s_nop 0
	scratch_store_dwordx2 off, v[204:205], off offset:352 ; 8-byte Folded Spill
	scratch_store_dwordx2 off, v[206:207], off offset:360 ; 8-byte Folded Spill
	;; [unrolled: 1-line block ×15, first 2 shown]
	s_and_saveexec_b64 s[10:11], s[0:1]
	s_cbranch_execz .LBB107_8
; %bb.2:
	scratch_load_dwordx4 v[192:195], off, off offset:48 ; 16-byte Folded Reload
	s_waitcnt vmcnt(0)
	ds_write2_b64 v201, v[192:193], v[194:195] offset1:1
	scratch_load_dwordx4 v[192:195], off, off offset:32 ; 16-byte Folded Reload
	s_waitcnt vmcnt(0)
	ds_write2_b64 v202, v[192:193], v[194:195] offset0:2 offset1:3
	scratch_load_dwordx4 v[192:195], off, off offset:16 ; 16-byte Folded Reload
	s_waitcnt vmcnt(0)
	ds_write2_b64 v202, v[192:193], v[194:195] offset0:4 offset1:5
	ds_write2_b64 v202, v[196:197], v[198:199] offset0:6 offset1:7
	scratch_load_dwordx4 v[192:195], off, off ; 16-byte Folded Reload
	s_waitcnt vmcnt(0)
	ds_write2_b64 v202, v[192:193], v[194:195] offset0:8 offset1:9
	ds_write2_b64 v202, v[188:189], v[190:191] offset0:10 offset1:11
	;; [unrolled: 1-line block ×50, first 2 shown]
	ds_read2_b64 v[208:211], v201 offset1:1
	s_waitcnt lgkmcnt(0)
	v_cmp_neq_f64_e32 vcc, 0, v[208:209]
	v_cmp_neq_f64_e64 s[4:5], 0, v[210:211]
	s_or_b64 s[4:5], vcc, s[4:5]
	s_and_b64 exec, exec, s[4:5]
	s_cbranch_execz .LBB107_8
; %bb.3:
	v_cmp_ngt_f64_e64 s[4:5], |v[208:209]|, |v[210:211]|
                                        ; implicit-def: $vgpr204_vgpr205
	s_and_saveexec_b64 s[12:13], s[4:5]
	s_xor_b64 s[4:5], exec, s[12:13]
                                        ; implicit-def: $vgpr206_vgpr207
	s_cbranch_execz .LBB107_5
; %bb.4:
	v_div_scale_f64 v[204:205], s[12:13], v[210:211], v[210:211], v[208:209]
	v_rcp_f64_e32 v[206:207], v[204:205]
	v_div_scale_f64 v[216:217], vcc, v[208:209], v[210:211], v[208:209]
	v_fma_f64 v[218:219], -v[204:205], v[206:207], 1.0
	v_fmac_f64_e32 v[206:207], v[206:207], v[218:219]
	v_fma_f64 v[218:219], -v[204:205], v[206:207], 1.0
	v_fmac_f64_e32 v[206:207], v[206:207], v[218:219]
	v_mul_f64 v[218:219], v[216:217], v[206:207]
	v_fma_f64 v[204:205], -v[204:205], v[218:219], v[216:217]
	v_div_fmas_f64 v[204:205], v[204:205], v[206:207], v[218:219]
	v_div_fixup_f64 v[204:205], v[204:205], v[210:211], v[208:209]
	v_fmac_f64_e32 v[210:211], v[208:209], v[204:205]
	v_div_scale_f64 v[206:207], s[12:13], v[210:211], v[210:211], 1.0
	v_rcp_f64_e32 v[208:209], v[206:207]
	s_nop 0
	v_fma_f64 v[216:217], -v[206:207], v[208:209], 1.0
	v_fmac_f64_e32 v[208:209], v[208:209], v[216:217]
	v_fma_f64 v[216:217], -v[206:207], v[208:209], 1.0
	v_fmac_f64_e32 v[208:209], v[208:209], v[216:217]
	v_div_scale_f64 v[216:217], vcc, 1.0, v[210:211], 1.0
	v_mul_f64 v[218:219], v[216:217], v[208:209]
	v_fma_f64 v[206:207], -v[206:207], v[218:219], v[216:217]
	s_nop 1
	v_div_fmas_f64 v[206:207], v[206:207], v[208:209], v[218:219]
	v_div_fixup_f64 v[206:207], v[206:207], v[210:211], 1.0
	v_mul_f64 v[204:205], v[204:205], v[206:207]
	v_xor_b32_e32 v207, 0x80000000, v207
                                        ; implicit-def: $vgpr208_vgpr209
.LBB107_5:
	s_andn2_saveexec_b64 s[4:5], s[4:5]
	s_cbranch_execz .LBB107_7
; %bb.6:
	v_div_scale_f64 v[204:205], s[12:13], v[208:209], v[208:209], v[210:211]
	v_rcp_f64_e32 v[206:207], v[204:205]
	v_div_scale_f64 v[216:217], vcc, v[210:211], v[208:209], v[210:211]
	v_fma_f64 v[218:219], -v[204:205], v[206:207], 1.0
	v_fmac_f64_e32 v[206:207], v[206:207], v[218:219]
	v_fma_f64 v[218:219], -v[204:205], v[206:207], 1.0
	v_fmac_f64_e32 v[206:207], v[206:207], v[218:219]
	v_mul_f64 v[218:219], v[216:217], v[206:207]
	v_fma_f64 v[204:205], -v[204:205], v[218:219], v[216:217]
	v_div_fmas_f64 v[204:205], v[204:205], v[206:207], v[218:219]
	v_div_fixup_f64 v[206:207], v[204:205], v[208:209], v[210:211]
	v_fmac_f64_e32 v[208:209], v[210:211], v[206:207]
	v_div_scale_f64 v[204:205], s[12:13], v[208:209], v[208:209], 1.0
	v_rcp_f64_e32 v[210:211], v[204:205]
	s_nop 0
	v_fma_f64 v[216:217], -v[204:205], v[210:211], 1.0
	v_fmac_f64_e32 v[210:211], v[210:211], v[216:217]
	v_fma_f64 v[216:217], -v[204:205], v[210:211], 1.0
	v_fmac_f64_e32 v[210:211], v[210:211], v[216:217]
	v_div_scale_f64 v[216:217], vcc, 1.0, v[208:209], 1.0
	v_mul_f64 v[218:219], v[216:217], v[210:211]
	v_fma_f64 v[204:205], -v[204:205], v[218:219], v[216:217]
	s_nop 1
	v_div_fmas_f64 v[204:205], v[204:205], v[210:211], v[218:219]
	v_div_fixup_f64 v[204:205], v[204:205], v[208:209], 1.0
	v_mul_f64 v[206:207], v[206:207], -v[204:205]
.LBB107_7:
	s_or_b64 exec, exec, s[4:5]
	ds_write2_b64 v201, v[204:205], v[206:207] offset1:1
.LBB107_8:
	s_or_b64 exec, exec, s[10:11]
	s_waitcnt lgkmcnt(0)
	s_barrier
	ds_read2_b64 v[192:195], v201 offset1:1
	s_waitcnt lgkmcnt(0)
	scratch_store_dwordx4 off, v[192:195], off offset:496 ; 16-byte Folded Spill
	s_and_saveexec_b64 s[4:5], s[2:3]
	s_cbranch_execz .LBB107_10
; %bb.9:
	scratch_load_dwordx4 v[216:219], off, off offset:48 ; 16-byte Folded Reload
	scratch_load_dwordx4 v[192:195], off, off offset:496 ; 16-byte Folded Reload
	s_waitcnt vmcnt(0)
	v_mul_f64 v[204:205], v[194:195], v[218:219]
	v_mul_f64 v[218:219], v[192:193], v[218:219]
	v_fma_f64 v[208:209], v[192:193], v[216:217], -v[204:205]
	v_fmac_f64_e32 v[218:219], v[194:195], v[216:217]
	scratch_load_dwordx4 v[192:195], off, off offset:32 ; 16-byte Folded Reload
	ds_read2_b64 v[204:207], v202 offset0:2 offset1:3
	v_mov_b64_e32 v[216:217], v[208:209]
	scratch_store_dwordx4 off, v[216:219], off offset:48 ; 16-byte Folded Spill
	s_waitcnt lgkmcnt(0)
	v_mul_f64 v[210:211], v[206:207], v[218:219]
	v_fma_f64 v[210:211], v[204:205], v[208:209], -v[210:211]
	v_mul_f64 v[204:205], v[204:205], v[218:219]
	v_fmac_f64_e32 v[204:205], v[206:207], v[208:209]
	s_waitcnt vmcnt(1)
	v_add_f64 v[192:193], v[192:193], -v[210:211]
	v_add_f64 v[194:195], v[194:195], -v[204:205]
	scratch_store_dwordx4 off, v[192:195], off offset:32 ; 16-byte Folded Spill
	scratch_load_dwordx4 v[192:195], off, off offset:16 ; 16-byte Folded Reload
	ds_read2_b64 v[204:207], v202 offset0:4 offset1:5
	s_waitcnt lgkmcnt(0)
	v_mul_f64 v[210:211], v[206:207], v[218:219]
	v_fma_f64 v[210:211], v[204:205], v[208:209], -v[210:211]
	v_mul_f64 v[204:205], v[204:205], v[218:219]
	v_fmac_f64_e32 v[204:205], v[206:207], v[208:209]
	s_waitcnt vmcnt(0)
	v_add_f64 v[192:193], v[192:193], -v[210:211]
	v_add_f64 v[194:195], v[194:195], -v[204:205]
	scratch_store_dwordx4 off, v[192:195], off offset:16 ; 16-byte Folded Spill
	scratch_load_dwordx4 v[192:195], off, off ; 16-byte Folded Reload
	ds_read2_b64 v[204:207], v202 offset0:6 offset1:7
	s_waitcnt lgkmcnt(0)
	v_mul_f64 v[210:211], v[206:207], v[218:219]
	v_fma_f64 v[210:211], v[204:205], v[208:209], -v[210:211]
	v_mul_f64 v[204:205], v[204:205], v[218:219]
	v_fmac_f64_e32 v[204:205], v[206:207], v[208:209]
	v_add_f64 v[198:199], v[198:199], -v[204:205]
	ds_read2_b64 v[204:207], v202 offset0:8 offset1:9
	v_add_f64 v[196:197], v[196:197], -v[210:211]
	s_waitcnt lgkmcnt(0)
	v_mul_f64 v[210:211], v[206:207], v[218:219]
	v_fma_f64 v[210:211], v[204:205], v[208:209], -v[210:211]
	v_mul_f64 v[204:205], v[204:205], v[218:219]
	v_fmac_f64_e32 v[204:205], v[206:207], v[208:209]
	s_waitcnt vmcnt(0)
	v_add_f64 v[194:195], v[194:195], -v[204:205]
	ds_read2_b64 v[204:207], v202 offset0:10 offset1:11
	v_add_f64 v[192:193], v[192:193], -v[210:211]
	scratch_store_dwordx4 off, v[192:195], off ; 16-byte Folded Spill
	s_waitcnt lgkmcnt(0)
	v_mul_f64 v[210:211], v[206:207], v[218:219]
	v_fma_f64 v[210:211], v[204:205], v[208:209], -v[210:211]
	v_mul_f64 v[204:205], v[204:205], v[218:219]
	v_fmac_f64_e32 v[204:205], v[206:207], v[208:209]
	v_add_f64 v[190:191], v[190:191], -v[204:205]
	ds_read2_b64 v[204:207], v202 offset0:12 offset1:13
	v_add_f64 v[188:189], v[188:189], -v[210:211]
	s_waitcnt lgkmcnt(0)
	v_mul_f64 v[210:211], v[206:207], v[218:219]
	v_fma_f64 v[210:211], v[204:205], v[208:209], -v[210:211]
	v_mul_f64 v[204:205], v[204:205], v[218:219]
	v_fmac_f64_e32 v[204:205], v[206:207], v[208:209]
	v_add_f64 v[186:187], v[186:187], -v[204:205]
	ds_read2_b64 v[204:207], v202 offset0:14 offset1:15
	v_add_f64 v[184:185], v[184:185], -v[210:211]
	;; [unrolled: 8-line block ×48, first 2 shown]
	s_waitcnt lgkmcnt(0)
	v_mul_f64 v[210:211], v[206:207], v[218:219]
	v_fma_f64 v[210:211], v[204:205], v[208:209], -v[210:211]
	v_mul_f64 v[204:205], v[204:205], v[218:219]
	v_fmac_f64_e32 v[204:205], v[206:207], v[208:209]
	v_add_f64 v[212:213], v[212:213], -v[210:211]
	v_add_f64 v[214:215], v[214:215], -v[204:205]
.LBB107_10:
	s_or_b64 exec, exec, s[4:5]
	v_cmp_eq_u32_e32 vcc, 1, v200
	s_waitcnt vmcnt(63) expcnt(7) lgkmcnt(15)
	s_barrier
	s_and_saveexec_b64 s[4:5], vcc
	s_cbranch_execz .LBB107_17
; %bb.11:
	scratch_load_dwordx4 v[192:195], off, off offset:32 ; 16-byte Folded Reload
	s_waitcnt vmcnt(0)
	ds_write2_b64 v201, v[192:193], v[194:195] offset1:1
	scratch_load_dwordx4 v[192:195], off, off offset:16 ; 16-byte Folded Reload
	s_waitcnt vmcnt(0)
	ds_write2_b64 v202, v[192:193], v[194:195] offset0:4 offset1:5
	ds_write2_b64 v202, v[196:197], v[198:199] offset0:6 offset1:7
	scratch_load_dwordx4 v[192:195], off, off ; 16-byte Folded Reload
	s_waitcnt vmcnt(0)
	ds_write2_b64 v202, v[192:193], v[194:195] offset0:8 offset1:9
	ds_write2_b64 v202, v[188:189], v[190:191] offset0:10 offset1:11
	;; [unrolled: 1-line block ×50, first 2 shown]
	ds_read2_b64 v[208:211], v201 offset1:1
	s_waitcnt lgkmcnt(0)
	v_cmp_neq_f64_e32 vcc, 0, v[208:209]
	v_cmp_neq_f64_e64 s[2:3], 0, v[210:211]
	s_or_b64 s[2:3], vcc, s[2:3]
	s_and_b64 exec, exec, s[2:3]
	s_cbranch_execz .LBB107_17
; %bb.12:
	v_cmp_ngt_f64_e64 s[2:3], |v[208:209]|, |v[210:211]|
                                        ; implicit-def: $vgpr204_vgpr205
	s_and_saveexec_b64 s[10:11], s[2:3]
	s_xor_b64 s[2:3], exec, s[10:11]
                                        ; implicit-def: $vgpr206_vgpr207
	s_cbranch_execz .LBB107_14
; %bb.13:
	v_div_scale_f64 v[204:205], s[10:11], v[210:211], v[210:211], v[208:209]
	v_rcp_f64_e32 v[206:207], v[204:205]
	v_div_scale_f64 v[216:217], vcc, v[208:209], v[210:211], v[208:209]
	v_fma_f64 v[218:219], -v[204:205], v[206:207], 1.0
	v_fmac_f64_e32 v[206:207], v[206:207], v[218:219]
	v_fma_f64 v[218:219], -v[204:205], v[206:207], 1.0
	v_fmac_f64_e32 v[206:207], v[206:207], v[218:219]
	v_mul_f64 v[218:219], v[216:217], v[206:207]
	v_fma_f64 v[204:205], -v[204:205], v[218:219], v[216:217]
	v_div_fmas_f64 v[204:205], v[204:205], v[206:207], v[218:219]
	v_div_fixup_f64 v[204:205], v[204:205], v[210:211], v[208:209]
	v_fmac_f64_e32 v[210:211], v[208:209], v[204:205]
	v_div_scale_f64 v[206:207], s[10:11], v[210:211], v[210:211], 1.0
	v_rcp_f64_e32 v[208:209], v[206:207]
	s_nop 0
	v_fma_f64 v[216:217], -v[206:207], v[208:209], 1.0
	v_fmac_f64_e32 v[208:209], v[208:209], v[216:217]
	v_fma_f64 v[216:217], -v[206:207], v[208:209], 1.0
	v_fmac_f64_e32 v[208:209], v[208:209], v[216:217]
	v_div_scale_f64 v[216:217], vcc, 1.0, v[210:211], 1.0
	v_mul_f64 v[218:219], v[216:217], v[208:209]
	v_fma_f64 v[206:207], -v[206:207], v[218:219], v[216:217]
	s_nop 1
	v_div_fmas_f64 v[206:207], v[206:207], v[208:209], v[218:219]
	v_div_fixup_f64 v[206:207], v[206:207], v[210:211], 1.0
	v_mul_f64 v[204:205], v[204:205], v[206:207]
	v_xor_b32_e32 v207, 0x80000000, v207
                                        ; implicit-def: $vgpr208_vgpr209
.LBB107_14:
	s_andn2_saveexec_b64 s[2:3], s[2:3]
	s_cbranch_execz .LBB107_16
; %bb.15:
	v_div_scale_f64 v[204:205], s[10:11], v[208:209], v[208:209], v[210:211]
	v_rcp_f64_e32 v[206:207], v[204:205]
	v_div_scale_f64 v[216:217], vcc, v[210:211], v[208:209], v[210:211]
	v_fma_f64 v[218:219], -v[204:205], v[206:207], 1.0
	v_fmac_f64_e32 v[206:207], v[206:207], v[218:219]
	v_fma_f64 v[218:219], -v[204:205], v[206:207], 1.0
	v_fmac_f64_e32 v[206:207], v[206:207], v[218:219]
	v_mul_f64 v[218:219], v[216:217], v[206:207]
	v_fma_f64 v[204:205], -v[204:205], v[218:219], v[216:217]
	v_div_fmas_f64 v[204:205], v[204:205], v[206:207], v[218:219]
	v_div_fixup_f64 v[206:207], v[204:205], v[208:209], v[210:211]
	v_fmac_f64_e32 v[208:209], v[210:211], v[206:207]
	v_div_scale_f64 v[204:205], s[10:11], v[208:209], v[208:209], 1.0
	v_rcp_f64_e32 v[210:211], v[204:205]
	s_nop 0
	v_fma_f64 v[216:217], -v[204:205], v[210:211], 1.0
	v_fmac_f64_e32 v[210:211], v[210:211], v[216:217]
	v_fma_f64 v[216:217], -v[204:205], v[210:211], 1.0
	v_fmac_f64_e32 v[210:211], v[210:211], v[216:217]
	v_div_scale_f64 v[216:217], vcc, 1.0, v[208:209], 1.0
	v_mul_f64 v[218:219], v[216:217], v[210:211]
	v_fma_f64 v[204:205], -v[204:205], v[218:219], v[216:217]
	s_nop 1
	v_div_fmas_f64 v[204:205], v[204:205], v[210:211], v[218:219]
	v_div_fixup_f64 v[204:205], v[204:205], v[208:209], 1.0
	v_mul_f64 v[206:207], v[206:207], -v[204:205]
.LBB107_16:
	s_or_b64 exec, exec, s[2:3]
	ds_write2_b64 v201, v[204:205], v[206:207] offset1:1
.LBB107_17:
	s_or_b64 exec, exec, s[4:5]
	s_waitcnt lgkmcnt(0)
	s_barrier
	ds_read2_b64 v[192:195], v201 offset1:1
	v_cmp_lt_u32_e32 vcc, 1, v200
	s_waitcnt lgkmcnt(0)
	scratch_store_dwordx4 off, v[192:195], off offset:512 ; 16-byte Folded Spill
	s_and_saveexec_b64 s[2:3], vcc
	s_cbranch_execz .LBB107_19
; %bb.18:
	scratch_load_dwordx4 v[216:219], off, off offset:32 ; 16-byte Folded Reload
	scratch_load_dwordx4 v[192:195], off, off offset:512 ; 16-byte Folded Reload
	s_waitcnt vmcnt(0)
	v_mul_f64 v[204:205], v[194:195], v[218:219]
	v_mul_f64 v[218:219], v[192:193], v[218:219]
	v_fma_f64 v[208:209], v[192:193], v[216:217], -v[204:205]
	v_fmac_f64_e32 v[218:219], v[194:195], v[216:217]
	scratch_load_dwordx4 v[192:195], off, off offset:16 ; 16-byte Folded Reload
	ds_read2_b64 v[204:207], v202 offset0:4 offset1:5
	v_mov_b64_e32 v[216:217], v[208:209]
	scratch_store_dwordx4 off, v[216:219], off offset:32 ; 16-byte Folded Spill
	s_waitcnt lgkmcnt(0)
	v_mul_f64 v[210:211], v[206:207], v[218:219]
	v_fma_f64 v[210:211], v[204:205], v[208:209], -v[210:211]
	v_mul_f64 v[204:205], v[204:205], v[218:219]
	v_fmac_f64_e32 v[204:205], v[206:207], v[208:209]
	s_waitcnt vmcnt(1)
	v_add_f64 v[192:193], v[192:193], -v[210:211]
	v_add_f64 v[194:195], v[194:195], -v[204:205]
	scratch_store_dwordx4 off, v[192:195], off offset:16 ; 16-byte Folded Spill
	scratch_load_dwordx4 v[192:195], off, off ; 16-byte Folded Reload
	ds_read2_b64 v[204:207], v202 offset0:6 offset1:7
	s_waitcnt lgkmcnt(0)
	v_mul_f64 v[210:211], v[206:207], v[218:219]
	v_fma_f64 v[210:211], v[204:205], v[208:209], -v[210:211]
	v_mul_f64 v[204:205], v[204:205], v[218:219]
	v_fmac_f64_e32 v[204:205], v[206:207], v[208:209]
	v_add_f64 v[198:199], v[198:199], -v[204:205]
	ds_read2_b64 v[204:207], v202 offset0:8 offset1:9
	v_add_f64 v[196:197], v[196:197], -v[210:211]
	s_waitcnt lgkmcnt(0)
	v_mul_f64 v[210:211], v[206:207], v[218:219]
	v_fma_f64 v[210:211], v[204:205], v[208:209], -v[210:211]
	v_mul_f64 v[204:205], v[204:205], v[218:219]
	v_fmac_f64_e32 v[204:205], v[206:207], v[208:209]
	s_waitcnt vmcnt(0)
	v_add_f64 v[194:195], v[194:195], -v[204:205]
	ds_read2_b64 v[204:207], v202 offset0:10 offset1:11
	v_add_f64 v[192:193], v[192:193], -v[210:211]
	scratch_store_dwordx4 off, v[192:195], off ; 16-byte Folded Spill
	s_waitcnt lgkmcnt(0)
	v_mul_f64 v[210:211], v[206:207], v[218:219]
	v_fma_f64 v[210:211], v[204:205], v[208:209], -v[210:211]
	v_mul_f64 v[204:205], v[204:205], v[218:219]
	v_fmac_f64_e32 v[204:205], v[206:207], v[208:209]
	v_add_f64 v[190:191], v[190:191], -v[204:205]
	ds_read2_b64 v[204:207], v202 offset0:12 offset1:13
	v_add_f64 v[188:189], v[188:189], -v[210:211]
	s_waitcnt lgkmcnt(0)
	v_mul_f64 v[210:211], v[206:207], v[218:219]
	v_fma_f64 v[210:211], v[204:205], v[208:209], -v[210:211]
	v_mul_f64 v[204:205], v[204:205], v[218:219]
	v_fmac_f64_e32 v[204:205], v[206:207], v[208:209]
	v_add_f64 v[186:187], v[186:187], -v[204:205]
	ds_read2_b64 v[204:207], v202 offset0:14 offset1:15
	v_add_f64 v[184:185], v[184:185], -v[210:211]
	;; [unrolled: 8-line block ×48, first 2 shown]
	s_waitcnt lgkmcnt(0)
	v_mul_f64 v[210:211], v[206:207], v[218:219]
	v_fma_f64 v[210:211], v[204:205], v[208:209], -v[210:211]
	v_mul_f64 v[204:205], v[204:205], v[218:219]
	v_fmac_f64_e32 v[204:205], v[206:207], v[208:209]
	v_add_f64 v[212:213], v[212:213], -v[210:211]
	v_add_f64 v[214:215], v[214:215], -v[204:205]
.LBB107_19:
	s_or_b64 exec, exec, s[2:3]
	v_cmp_eq_u32_e32 vcc, 2, v200
	s_waitcnt vmcnt(63) expcnt(7) lgkmcnt(15)
	s_barrier
	s_and_saveexec_b64 s[4:5], vcc
	s_cbranch_execz .LBB107_26
; %bb.20:
	scratch_load_dwordx4 v[192:195], off, off offset:16 ; 16-byte Folded Reload
	s_waitcnt vmcnt(0)
	ds_write2_b64 v201, v[192:193], v[194:195] offset1:1
	ds_write2_b64 v202, v[196:197], v[198:199] offset0:6 offset1:7
	scratch_load_dwordx4 v[192:195], off, off ; 16-byte Folded Reload
	s_waitcnt vmcnt(0)
	ds_write2_b64 v202, v[192:193], v[194:195] offset0:8 offset1:9
	ds_write2_b64 v202, v[188:189], v[190:191] offset0:10 offset1:11
	;; [unrolled: 1-line block ×50, first 2 shown]
	ds_read2_b64 v[208:211], v201 offset1:1
	s_waitcnt lgkmcnt(0)
	v_cmp_neq_f64_e32 vcc, 0, v[208:209]
	v_cmp_neq_f64_e64 s[2:3], 0, v[210:211]
	s_or_b64 s[2:3], vcc, s[2:3]
	s_and_b64 exec, exec, s[2:3]
	s_cbranch_execz .LBB107_26
; %bb.21:
	v_cmp_ngt_f64_e64 s[2:3], |v[208:209]|, |v[210:211]|
                                        ; implicit-def: $vgpr204_vgpr205
	s_and_saveexec_b64 s[10:11], s[2:3]
	s_xor_b64 s[2:3], exec, s[10:11]
                                        ; implicit-def: $vgpr206_vgpr207
	s_cbranch_execz .LBB107_23
; %bb.22:
	v_div_scale_f64 v[204:205], s[10:11], v[210:211], v[210:211], v[208:209]
	v_rcp_f64_e32 v[206:207], v[204:205]
	v_div_scale_f64 v[216:217], vcc, v[208:209], v[210:211], v[208:209]
	v_fma_f64 v[218:219], -v[204:205], v[206:207], 1.0
	v_fmac_f64_e32 v[206:207], v[206:207], v[218:219]
	v_fma_f64 v[218:219], -v[204:205], v[206:207], 1.0
	v_fmac_f64_e32 v[206:207], v[206:207], v[218:219]
	v_mul_f64 v[218:219], v[216:217], v[206:207]
	v_fma_f64 v[204:205], -v[204:205], v[218:219], v[216:217]
	v_div_fmas_f64 v[204:205], v[204:205], v[206:207], v[218:219]
	v_div_fixup_f64 v[204:205], v[204:205], v[210:211], v[208:209]
	v_fmac_f64_e32 v[210:211], v[208:209], v[204:205]
	v_div_scale_f64 v[206:207], s[10:11], v[210:211], v[210:211], 1.0
	v_rcp_f64_e32 v[208:209], v[206:207]
	s_nop 0
	v_fma_f64 v[216:217], -v[206:207], v[208:209], 1.0
	v_fmac_f64_e32 v[208:209], v[208:209], v[216:217]
	v_fma_f64 v[216:217], -v[206:207], v[208:209], 1.0
	v_fmac_f64_e32 v[208:209], v[208:209], v[216:217]
	v_div_scale_f64 v[216:217], vcc, 1.0, v[210:211], 1.0
	v_mul_f64 v[218:219], v[216:217], v[208:209]
	v_fma_f64 v[206:207], -v[206:207], v[218:219], v[216:217]
	s_nop 1
	v_div_fmas_f64 v[206:207], v[206:207], v[208:209], v[218:219]
	v_div_fixup_f64 v[206:207], v[206:207], v[210:211], 1.0
	v_mul_f64 v[204:205], v[204:205], v[206:207]
	v_xor_b32_e32 v207, 0x80000000, v207
                                        ; implicit-def: $vgpr208_vgpr209
.LBB107_23:
	s_andn2_saveexec_b64 s[2:3], s[2:3]
	s_cbranch_execz .LBB107_25
; %bb.24:
	v_div_scale_f64 v[204:205], s[10:11], v[208:209], v[208:209], v[210:211]
	v_rcp_f64_e32 v[206:207], v[204:205]
	v_div_scale_f64 v[216:217], vcc, v[210:211], v[208:209], v[210:211]
	v_fma_f64 v[218:219], -v[204:205], v[206:207], 1.0
	v_fmac_f64_e32 v[206:207], v[206:207], v[218:219]
	v_fma_f64 v[218:219], -v[204:205], v[206:207], 1.0
	v_fmac_f64_e32 v[206:207], v[206:207], v[218:219]
	v_mul_f64 v[218:219], v[216:217], v[206:207]
	v_fma_f64 v[204:205], -v[204:205], v[218:219], v[216:217]
	v_div_fmas_f64 v[204:205], v[204:205], v[206:207], v[218:219]
	v_div_fixup_f64 v[206:207], v[204:205], v[208:209], v[210:211]
	v_fmac_f64_e32 v[208:209], v[210:211], v[206:207]
	v_div_scale_f64 v[204:205], s[10:11], v[208:209], v[208:209], 1.0
	v_rcp_f64_e32 v[210:211], v[204:205]
	s_nop 0
	v_fma_f64 v[216:217], -v[204:205], v[210:211], 1.0
	v_fmac_f64_e32 v[210:211], v[210:211], v[216:217]
	v_fma_f64 v[216:217], -v[204:205], v[210:211], 1.0
	v_fmac_f64_e32 v[210:211], v[210:211], v[216:217]
	v_div_scale_f64 v[216:217], vcc, 1.0, v[208:209], 1.0
	v_mul_f64 v[218:219], v[216:217], v[210:211]
	v_fma_f64 v[204:205], -v[204:205], v[218:219], v[216:217]
	s_nop 1
	v_div_fmas_f64 v[204:205], v[204:205], v[210:211], v[218:219]
	v_div_fixup_f64 v[204:205], v[204:205], v[208:209], 1.0
	v_mul_f64 v[206:207], v[206:207], -v[204:205]
.LBB107_25:
	s_or_b64 exec, exec, s[2:3]
	ds_write2_b64 v201, v[204:205], v[206:207] offset1:1
.LBB107_26:
	s_or_b64 exec, exec, s[4:5]
	s_waitcnt lgkmcnt(0)
	s_barrier
	ds_read2_b64 v[192:195], v201 offset1:1
	v_cmp_lt_u32_e32 vcc, 2, v200
	s_waitcnt lgkmcnt(0)
	scratch_store_dwordx4 off, v[192:195], off offset:528 ; 16-byte Folded Spill
	s_and_saveexec_b64 s[2:3], vcc
	s_cbranch_execz .LBB107_28
; %bb.27:
	scratch_load_dwordx4 v[216:219], off, off offset:16 ; 16-byte Folded Reload
	scratch_load_dwordx4 v[192:195], off, off offset:528 ; 16-byte Folded Reload
	s_waitcnt vmcnt(0)
	v_mul_f64 v[204:205], v[194:195], v[218:219]
	v_mul_f64 v[218:219], v[192:193], v[218:219]
	v_fma_f64 v[208:209], v[192:193], v[216:217], -v[204:205]
	v_fmac_f64_e32 v[218:219], v[194:195], v[216:217]
	scratch_load_dwordx4 v[192:195], off, off ; 16-byte Folded Reload
	ds_read2_b64 v[204:207], v202 offset0:6 offset1:7
	v_mov_b64_e32 v[216:217], v[208:209]
	scratch_store_dwordx4 off, v[216:219], off offset:16 ; 16-byte Folded Spill
	s_waitcnt lgkmcnt(0)
	v_mul_f64 v[210:211], v[206:207], v[218:219]
	v_fma_f64 v[210:211], v[204:205], v[208:209], -v[210:211]
	v_mul_f64 v[204:205], v[204:205], v[218:219]
	v_fmac_f64_e32 v[204:205], v[206:207], v[208:209]
	v_add_f64 v[198:199], v[198:199], -v[204:205]
	ds_read2_b64 v[204:207], v202 offset0:8 offset1:9
	v_add_f64 v[196:197], v[196:197], -v[210:211]
	s_waitcnt lgkmcnt(0)
	v_mul_f64 v[210:211], v[206:207], v[218:219]
	v_fma_f64 v[210:211], v[204:205], v[208:209], -v[210:211]
	v_mul_f64 v[204:205], v[204:205], v[218:219]
	v_fmac_f64_e32 v[204:205], v[206:207], v[208:209]
	s_waitcnt vmcnt(1)
	v_add_f64 v[194:195], v[194:195], -v[204:205]
	ds_read2_b64 v[204:207], v202 offset0:10 offset1:11
	v_add_f64 v[192:193], v[192:193], -v[210:211]
	scratch_store_dwordx4 off, v[192:195], off ; 16-byte Folded Spill
	s_waitcnt lgkmcnt(0)
	v_mul_f64 v[210:211], v[206:207], v[218:219]
	v_fma_f64 v[210:211], v[204:205], v[208:209], -v[210:211]
	v_mul_f64 v[204:205], v[204:205], v[218:219]
	v_fmac_f64_e32 v[204:205], v[206:207], v[208:209]
	v_add_f64 v[190:191], v[190:191], -v[204:205]
	ds_read2_b64 v[204:207], v202 offset0:12 offset1:13
	v_add_f64 v[188:189], v[188:189], -v[210:211]
	s_waitcnt lgkmcnt(0)
	v_mul_f64 v[210:211], v[206:207], v[218:219]
	v_fma_f64 v[210:211], v[204:205], v[208:209], -v[210:211]
	v_mul_f64 v[204:205], v[204:205], v[218:219]
	v_fmac_f64_e32 v[204:205], v[206:207], v[208:209]
	v_add_f64 v[186:187], v[186:187], -v[204:205]
	ds_read2_b64 v[204:207], v202 offset0:14 offset1:15
	v_add_f64 v[184:185], v[184:185], -v[210:211]
	;; [unrolled: 8-line block ×48, first 2 shown]
	s_waitcnt lgkmcnt(0)
	v_mul_f64 v[210:211], v[206:207], v[218:219]
	v_fma_f64 v[210:211], v[204:205], v[208:209], -v[210:211]
	v_mul_f64 v[204:205], v[204:205], v[218:219]
	v_fmac_f64_e32 v[204:205], v[206:207], v[208:209]
	v_add_f64 v[212:213], v[212:213], -v[210:211]
	v_add_f64 v[214:215], v[214:215], -v[204:205]
.LBB107_28:
	s_or_b64 exec, exec, s[2:3]
	v_cmp_eq_u32_e32 vcc, 3, v200
	s_waitcnt vmcnt(63) expcnt(7) lgkmcnt(15)
	s_barrier
	s_and_saveexec_b64 s[4:5], vcc
	s_cbranch_execz .LBB107_35
; %bb.29:
	scratch_load_dwordx4 v[192:195], off, off ; 16-byte Folded Reload
	ds_write2_b64 v201, v[196:197], v[198:199] offset1:1
	s_waitcnt vmcnt(0)
	ds_write2_b64 v202, v[192:193], v[194:195] offset0:8 offset1:9
	ds_write2_b64 v202, v[188:189], v[190:191] offset0:10 offset1:11
	ds_write2_b64 v202, v[184:185], v[186:187] offset0:12 offset1:13
	ds_write2_b64 v202, v[180:181], v[182:183] offset0:14 offset1:15
	ds_write2_b64 v202, v[176:177], v[178:179] offset0:16 offset1:17
	ds_write2_b64 v202, v[172:173], v[174:175] offset0:18 offset1:19
	ds_write2_b64 v202, v[168:169], v[170:171] offset0:20 offset1:21
	ds_write2_b64 v202, v[164:165], v[166:167] offset0:22 offset1:23
	ds_write2_b64 v202, v[160:161], v[162:163] offset0:24 offset1:25
	ds_write2_b64 v202, v[156:157], v[158:159] offset0:26 offset1:27
	ds_write2_b64 v202, v[152:153], v[154:155] offset0:28 offset1:29
	ds_write2_b64 v202, v[148:149], v[150:151] offset0:30 offset1:31
	ds_write2_b64 v202, v[144:145], v[146:147] offset0:32 offset1:33
	ds_write2_b64 v202, v[140:141], v[142:143] offset0:34 offset1:35
	ds_write2_b64 v202, v[136:137], v[138:139] offset0:36 offset1:37
	ds_write2_b64 v202, v[132:133], v[134:135] offset0:38 offset1:39
	ds_write2_b64 v202, v[128:129], v[130:131] offset0:40 offset1:41
	ds_write2_b64 v202, v[124:125], v[126:127] offset0:42 offset1:43
	ds_write2_b64 v202, v[120:121], v[122:123] offset0:44 offset1:45
	ds_write2_b64 v202, v[116:117], v[118:119] offset0:46 offset1:47
	ds_write2_b64 v202, v[112:113], v[114:115] offset0:48 offset1:49
	ds_write2_b64 v202, v[108:109], v[110:111] offset0:50 offset1:51
	ds_write2_b64 v202, v[104:105], v[106:107] offset0:52 offset1:53
	ds_write2_b64 v202, v[100:101], v[102:103] offset0:54 offset1:55
	ds_write2_b64 v202, v[96:97], v[98:99] offset0:56 offset1:57
	ds_write2_b64 v202, v[92:93], v[94:95] offset0:58 offset1:59
	ds_write2_b64 v202, v[88:89], v[90:91] offset0:60 offset1:61
	ds_write2_b64 v202, v[84:85], v[86:87] offset0:62 offset1:63
	ds_write2_b64 v202, v[80:81], v[82:83] offset0:64 offset1:65
	ds_write2_b64 v202, v[76:77], v[78:79] offset0:66 offset1:67
	ds_write2_b64 v202, v[72:73], v[74:75] offset0:68 offset1:69
	ds_write2_b64 v202, v[68:69], v[70:71] offset0:70 offset1:71
	ds_write2_b64 v202, v[64:65], v[66:67] offset0:72 offset1:73
	ds_write2_b64 v202, v[60:61], v[62:63] offset0:74 offset1:75
	ds_write2_b64 v202, v[56:57], v[58:59] offset0:76 offset1:77
	ds_write2_b64 v202, v[52:53], v[54:55] offset0:78 offset1:79
	ds_write2_b64 v202, v[48:49], v[50:51] offset0:80 offset1:81
	ds_write2_b64 v202, v[44:45], v[46:47] offset0:82 offset1:83
	ds_write2_b64 v202, v[40:41], v[42:43] offset0:84 offset1:85
	ds_write2_b64 v202, v[36:37], v[38:39] offset0:86 offset1:87
	ds_write2_b64 v202, v[32:33], v[34:35] offset0:88 offset1:89
	ds_write2_b64 v202, v[28:29], v[30:31] offset0:90 offset1:91
	ds_write2_b64 v202, v[24:25], v[26:27] offset0:92 offset1:93
	ds_write2_b64 v202, v[20:21], v[22:23] offset0:94 offset1:95
	ds_write2_b64 v202, v[16:17], v[18:19] offset0:96 offset1:97
	ds_write2_b64 v202, v[12:13], v[14:15] offset0:98 offset1:99
	ds_write2_b64 v202, v[8:9], v[10:11] offset0:100 offset1:101
	ds_write2_b64 v202, v[4:5], v[6:7] offset0:102 offset1:103
	ds_write2_b64 v202, v[0:1], v[2:3] offset0:104 offset1:105
	ds_write2_b64 v202, v[212:213], v[214:215] offset0:106 offset1:107
	ds_read2_b64 v[208:211], v201 offset1:1
	s_waitcnt lgkmcnt(0)
	v_cmp_neq_f64_e32 vcc, 0, v[208:209]
	v_cmp_neq_f64_e64 s[2:3], 0, v[210:211]
	s_or_b64 s[2:3], vcc, s[2:3]
	s_and_b64 exec, exec, s[2:3]
	s_cbranch_execz .LBB107_35
; %bb.30:
	v_cmp_ngt_f64_e64 s[2:3], |v[208:209]|, |v[210:211]|
                                        ; implicit-def: $vgpr204_vgpr205
	s_and_saveexec_b64 s[10:11], s[2:3]
	s_xor_b64 s[2:3], exec, s[10:11]
                                        ; implicit-def: $vgpr206_vgpr207
	s_cbranch_execz .LBB107_32
; %bb.31:
	v_div_scale_f64 v[204:205], s[10:11], v[210:211], v[210:211], v[208:209]
	v_rcp_f64_e32 v[206:207], v[204:205]
	v_div_scale_f64 v[216:217], vcc, v[208:209], v[210:211], v[208:209]
	v_fma_f64 v[218:219], -v[204:205], v[206:207], 1.0
	v_fmac_f64_e32 v[206:207], v[206:207], v[218:219]
	v_fma_f64 v[218:219], -v[204:205], v[206:207], 1.0
	v_fmac_f64_e32 v[206:207], v[206:207], v[218:219]
	v_mul_f64 v[218:219], v[216:217], v[206:207]
	v_fma_f64 v[204:205], -v[204:205], v[218:219], v[216:217]
	v_div_fmas_f64 v[204:205], v[204:205], v[206:207], v[218:219]
	v_div_fixup_f64 v[204:205], v[204:205], v[210:211], v[208:209]
	v_fmac_f64_e32 v[210:211], v[208:209], v[204:205]
	v_div_scale_f64 v[206:207], s[10:11], v[210:211], v[210:211], 1.0
	v_rcp_f64_e32 v[208:209], v[206:207]
	s_nop 0
	v_fma_f64 v[216:217], -v[206:207], v[208:209], 1.0
	v_fmac_f64_e32 v[208:209], v[208:209], v[216:217]
	v_fma_f64 v[216:217], -v[206:207], v[208:209], 1.0
	v_fmac_f64_e32 v[208:209], v[208:209], v[216:217]
	v_div_scale_f64 v[216:217], vcc, 1.0, v[210:211], 1.0
	v_mul_f64 v[218:219], v[216:217], v[208:209]
	v_fma_f64 v[206:207], -v[206:207], v[218:219], v[216:217]
	s_nop 1
	v_div_fmas_f64 v[206:207], v[206:207], v[208:209], v[218:219]
	v_div_fixup_f64 v[206:207], v[206:207], v[210:211], 1.0
	v_mul_f64 v[204:205], v[204:205], v[206:207]
	v_xor_b32_e32 v207, 0x80000000, v207
                                        ; implicit-def: $vgpr208_vgpr209
.LBB107_32:
	s_andn2_saveexec_b64 s[2:3], s[2:3]
	s_cbranch_execz .LBB107_34
; %bb.33:
	v_div_scale_f64 v[204:205], s[10:11], v[208:209], v[208:209], v[210:211]
	v_rcp_f64_e32 v[206:207], v[204:205]
	v_div_scale_f64 v[216:217], vcc, v[210:211], v[208:209], v[210:211]
	v_fma_f64 v[218:219], -v[204:205], v[206:207], 1.0
	v_fmac_f64_e32 v[206:207], v[206:207], v[218:219]
	v_fma_f64 v[218:219], -v[204:205], v[206:207], 1.0
	v_fmac_f64_e32 v[206:207], v[206:207], v[218:219]
	v_mul_f64 v[218:219], v[216:217], v[206:207]
	v_fma_f64 v[204:205], -v[204:205], v[218:219], v[216:217]
	v_div_fmas_f64 v[204:205], v[204:205], v[206:207], v[218:219]
	v_div_fixup_f64 v[206:207], v[204:205], v[208:209], v[210:211]
	v_fmac_f64_e32 v[208:209], v[210:211], v[206:207]
	v_div_scale_f64 v[204:205], s[10:11], v[208:209], v[208:209], 1.0
	v_rcp_f64_e32 v[210:211], v[204:205]
	s_nop 0
	v_fma_f64 v[216:217], -v[204:205], v[210:211], 1.0
	v_fmac_f64_e32 v[210:211], v[210:211], v[216:217]
	v_fma_f64 v[216:217], -v[204:205], v[210:211], 1.0
	v_fmac_f64_e32 v[210:211], v[210:211], v[216:217]
	v_div_scale_f64 v[216:217], vcc, 1.0, v[208:209], 1.0
	v_mul_f64 v[218:219], v[216:217], v[210:211]
	v_fma_f64 v[204:205], -v[204:205], v[218:219], v[216:217]
	s_nop 1
	v_div_fmas_f64 v[204:205], v[204:205], v[210:211], v[218:219]
	v_div_fixup_f64 v[204:205], v[204:205], v[208:209], 1.0
	v_mul_f64 v[206:207], v[206:207], -v[204:205]
.LBB107_34:
	s_or_b64 exec, exec, s[2:3]
	ds_write2_b64 v201, v[204:205], v[206:207] offset1:1
.LBB107_35:
	s_or_b64 exec, exec, s[4:5]
	s_waitcnt lgkmcnt(0)
	s_barrier
	ds_read2_b64 v[192:195], v201 offset1:1
	v_cmp_lt_u32_e32 vcc, 3, v200
	s_waitcnt lgkmcnt(0)
	scratch_store_dwordx4 off, v[192:195], off offset:544 ; 16-byte Folded Spill
	s_and_saveexec_b64 s[2:3], vcc
	s_cbranch_execz .LBB107_37
; %bb.36:
	scratch_load_dwordx4 v[192:195], off, off offset:544 ; 16-byte Folded Reload
	s_waitcnt vmcnt(0)
	v_mul_f64 v[204:205], v[194:195], v[198:199]
	v_mul_f64 v[198:199], v[192:193], v[198:199]
	v_fma_f64 v[208:209], v[192:193], v[196:197], -v[204:205]
	v_fmac_f64_e32 v[198:199], v[194:195], v[196:197]
	scratch_load_dwordx4 v[192:195], off, off ; 16-byte Folded Reload
	ds_read2_b64 v[204:207], v202 offset0:8 offset1:9
	s_waitcnt lgkmcnt(0)
	v_mul_f64 v[196:197], v[206:207], v[198:199]
	v_fma_f64 v[196:197], v[204:205], v[208:209], -v[196:197]
	v_mul_f64 v[204:205], v[204:205], v[198:199]
	v_fmac_f64_e32 v[204:205], v[206:207], v[208:209]
	s_waitcnt vmcnt(0)
	v_add_f64 v[194:195], v[194:195], -v[204:205]
	ds_read2_b64 v[204:207], v202 offset0:10 offset1:11
	v_add_f64 v[192:193], v[192:193], -v[196:197]
	scratch_store_dwordx4 off, v[192:195], off ; 16-byte Folded Spill
	s_waitcnt lgkmcnt(0)
	v_mul_f64 v[196:197], v[206:207], v[198:199]
	v_fma_f64 v[196:197], v[204:205], v[208:209], -v[196:197]
	v_mul_f64 v[204:205], v[204:205], v[198:199]
	v_fmac_f64_e32 v[204:205], v[206:207], v[208:209]
	v_add_f64 v[190:191], v[190:191], -v[204:205]
	ds_read2_b64 v[204:207], v202 offset0:12 offset1:13
	v_add_f64 v[188:189], v[188:189], -v[196:197]
	s_waitcnt lgkmcnt(0)
	v_mul_f64 v[196:197], v[206:207], v[198:199]
	v_fma_f64 v[196:197], v[204:205], v[208:209], -v[196:197]
	v_mul_f64 v[204:205], v[204:205], v[198:199]
	v_fmac_f64_e32 v[204:205], v[206:207], v[208:209]
	v_add_f64 v[186:187], v[186:187], -v[204:205]
	ds_read2_b64 v[204:207], v202 offset0:14 offset1:15
	v_add_f64 v[184:185], v[184:185], -v[196:197]
	;; [unrolled: 8-line block ×48, first 2 shown]
	s_waitcnt lgkmcnt(0)
	v_mul_f64 v[196:197], v[206:207], v[198:199]
	v_fma_f64 v[196:197], v[204:205], v[208:209], -v[196:197]
	v_mul_f64 v[204:205], v[204:205], v[198:199]
	v_fmac_f64_e32 v[204:205], v[206:207], v[208:209]
	v_add_f64 v[212:213], v[212:213], -v[196:197]
	v_add_f64 v[214:215], v[214:215], -v[204:205]
	v_mov_b64_e32 v[196:197], v[208:209]
.LBB107_37:
	s_or_b64 exec, exec, s[2:3]
	v_cmp_eq_u32_e32 vcc, 4, v200
	s_waitcnt vmcnt(63) expcnt(7) lgkmcnt(15)
	s_barrier
	s_and_saveexec_b64 s[4:5], vcc
	s_cbranch_execz .LBB107_44
; %bb.38:
	scratch_load_dwordx4 v[192:195], off, off ; 16-byte Folded Reload
	s_waitcnt vmcnt(0)
	ds_write2_b64 v201, v[192:193], v[194:195] offset1:1
	ds_write2_b64 v202, v[188:189], v[190:191] offset0:10 offset1:11
	ds_write2_b64 v202, v[184:185], v[186:187] offset0:12 offset1:13
	ds_write2_b64 v202, v[180:181], v[182:183] offset0:14 offset1:15
	ds_write2_b64 v202, v[176:177], v[178:179] offset0:16 offset1:17
	ds_write2_b64 v202, v[172:173], v[174:175] offset0:18 offset1:19
	ds_write2_b64 v202, v[168:169], v[170:171] offset0:20 offset1:21
	ds_write2_b64 v202, v[164:165], v[166:167] offset0:22 offset1:23
	ds_write2_b64 v202, v[160:161], v[162:163] offset0:24 offset1:25
	ds_write2_b64 v202, v[156:157], v[158:159] offset0:26 offset1:27
	ds_write2_b64 v202, v[152:153], v[154:155] offset0:28 offset1:29
	ds_write2_b64 v202, v[148:149], v[150:151] offset0:30 offset1:31
	ds_write2_b64 v202, v[144:145], v[146:147] offset0:32 offset1:33
	ds_write2_b64 v202, v[140:141], v[142:143] offset0:34 offset1:35
	ds_write2_b64 v202, v[136:137], v[138:139] offset0:36 offset1:37
	ds_write2_b64 v202, v[132:133], v[134:135] offset0:38 offset1:39
	ds_write2_b64 v202, v[128:129], v[130:131] offset0:40 offset1:41
	ds_write2_b64 v202, v[124:125], v[126:127] offset0:42 offset1:43
	ds_write2_b64 v202, v[120:121], v[122:123] offset0:44 offset1:45
	ds_write2_b64 v202, v[116:117], v[118:119] offset0:46 offset1:47
	ds_write2_b64 v202, v[112:113], v[114:115] offset0:48 offset1:49
	ds_write2_b64 v202, v[108:109], v[110:111] offset0:50 offset1:51
	ds_write2_b64 v202, v[104:105], v[106:107] offset0:52 offset1:53
	ds_write2_b64 v202, v[100:101], v[102:103] offset0:54 offset1:55
	ds_write2_b64 v202, v[96:97], v[98:99] offset0:56 offset1:57
	ds_write2_b64 v202, v[92:93], v[94:95] offset0:58 offset1:59
	ds_write2_b64 v202, v[88:89], v[90:91] offset0:60 offset1:61
	ds_write2_b64 v202, v[84:85], v[86:87] offset0:62 offset1:63
	ds_write2_b64 v202, v[80:81], v[82:83] offset0:64 offset1:65
	ds_write2_b64 v202, v[76:77], v[78:79] offset0:66 offset1:67
	ds_write2_b64 v202, v[72:73], v[74:75] offset0:68 offset1:69
	ds_write2_b64 v202, v[68:69], v[70:71] offset0:70 offset1:71
	ds_write2_b64 v202, v[64:65], v[66:67] offset0:72 offset1:73
	ds_write2_b64 v202, v[60:61], v[62:63] offset0:74 offset1:75
	ds_write2_b64 v202, v[56:57], v[58:59] offset0:76 offset1:77
	ds_write2_b64 v202, v[52:53], v[54:55] offset0:78 offset1:79
	ds_write2_b64 v202, v[48:49], v[50:51] offset0:80 offset1:81
	ds_write2_b64 v202, v[44:45], v[46:47] offset0:82 offset1:83
	ds_write2_b64 v202, v[40:41], v[42:43] offset0:84 offset1:85
	ds_write2_b64 v202, v[36:37], v[38:39] offset0:86 offset1:87
	ds_write2_b64 v202, v[32:33], v[34:35] offset0:88 offset1:89
	ds_write2_b64 v202, v[28:29], v[30:31] offset0:90 offset1:91
	ds_write2_b64 v202, v[24:25], v[26:27] offset0:92 offset1:93
	ds_write2_b64 v202, v[20:21], v[22:23] offset0:94 offset1:95
	ds_write2_b64 v202, v[16:17], v[18:19] offset0:96 offset1:97
	ds_write2_b64 v202, v[12:13], v[14:15] offset0:98 offset1:99
	ds_write2_b64 v202, v[8:9], v[10:11] offset0:100 offset1:101
	ds_write2_b64 v202, v[4:5], v[6:7] offset0:102 offset1:103
	ds_write2_b64 v202, v[0:1], v[2:3] offset0:104 offset1:105
	ds_write2_b64 v202, v[212:213], v[214:215] offset0:106 offset1:107
	ds_read2_b64 v[208:211], v201 offset1:1
	s_waitcnt lgkmcnt(0)
	v_cmp_neq_f64_e32 vcc, 0, v[208:209]
	v_cmp_neq_f64_e64 s[2:3], 0, v[210:211]
	s_or_b64 s[2:3], vcc, s[2:3]
	s_and_b64 exec, exec, s[2:3]
	s_cbranch_execz .LBB107_44
; %bb.39:
	v_cmp_ngt_f64_e64 s[2:3], |v[208:209]|, |v[210:211]|
                                        ; implicit-def: $vgpr204_vgpr205
	s_and_saveexec_b64 s[10:11], s[2:3]
	s_xor_b64 s[2:3], exec, s[10:11]
                                        ; implicit-def: $vgpr206_vgpr207
	s_cbranch_execz .LBB107_41
; %bb.40:
	v_div_scale_f64 v[204:205], s[10:11], v[210:211], v[210:211], v[208:209]
	v_rcp_f64_e32 v[206:207], v[204:205]
	v_div_scale_f64 v[216:217], vcc, v[208:209], v[210:211], v[208:209]
	v_fma_f64 v[218:219], -v[204:205], v[206:207], 1.0
	v_fmac_f64_e32 v[206:207], v[206:207], v[218:219]
	v_fma_f64 v[218:219], -v[204:205], v[206:207], 1.0
	v_fmac_f64_e32 v[206:207], v[206:207], v[218:219]
	v_mul_f64 v[218:219], v[216:217], v[206:207]
	v_fma_f64 v[204:205], -v[204:205], v[218:219], v[216:217]
	v_div_fmas_f64 v[204:205], v[204:205], v[206:207], v[218:219]
	v_div_fixup_f64 v[204:205], v[204:205], v[210:211], v[208:209]
	v_fmac_f64_e32 v[210:211], v[208:209], v[204:205]
	v_div_scale_f64 v[206:207], s[10:11], v[210:211], v[210:211], 1.0
	v_rcp_f64_e32 v[208:209], v[206:207]
	s_nop 0
	v_fma_f64 v[216:217], -v[206:207], v[208:209], 1.0
	v_fmac_f64_e32 v[208:209], v[208:209], v[216:217]
	v_fma_f64 v[216:217], -v[206:207], v[208:209], 1.0
	v_fmac_f64_e32 v[208:209], v[208:209], v[216:217]
	v_div_scale_f64 v[216:217], vcc, 1.0, v[210:211], 1.0
	v_mul_f64 v[218:219], v[216:217], v[208:209]
	v_fma_f64 v[206:207], -v[206:207], v[218:219], v[216:217]
	s_nop 1
	v_div_fmas_f64 v[206:207], v[206:207], v[208:209], v[218:219]
	v_div_fixup_f64 v[206:207], v[206:207], v[210:211], 1.0
	v_mul_f64 v[204:205], v[204:205], v[206:207]
	v_xor_b32_e32 v207, 0x80000000, v207
                                        ; implicit-def: $vgpr208_vgpr209
.LBB107_41:
	s_andn2_saveexec_b64 s[2:3], s[2:3]
	s_cbranch_execz .LBB107_43
; %bb.42:
	v_div_scale_f64 v[204:205], s[10:11], v[208:209], v[208:209], v[210:211]
	v_rcp_f64_e32 v[206:207], v[204:205]
	v_div_scale_f64 v[216:217], vcc, v[210:211], v[208:209], v[210:211]
	v_fma_f64 v[218:219], -v[204:205], v[206:207], 1.0
	v_fmac_f64_e32 v[206:207], v[206:207], v[218:219]
	v_fma_f64 v[218:219], -v[204:205], v[206:207], 1.0
	v_fmac_f64_e32 v[206:207], v[206:207], v[218:219]
	v_mul_f64 v[218:219], v[216:217], v[206:207]
	v_fma_f64 v[204:205], -v[204:205], v[218:219], v[216:217]
	v_div_fmas_f64 v[204:205], v[204:205], v[206:207], v[218:219]
	v_div_fixup_f64 v[206:207], v[204:205], v[208:209], v[210:211]
	v_fmac_f64_e32 v[208:209], v[210:211], v[206:207]
	v_div_scale_f64 v[204:205], s[10:11], v[208:209], v[208:209], 1.0
	v_rcp_f64_e32 v[210:211], v[204:205]
	s_nop 0
	v_fma_f64 v[216:217], -v[204:205], v[210:211], 1.0
	v_fmac_f64_e32 v[210:211], v[210:211], v[216:217]
	v_fma_f64 v[216:217], -v[204:205], v[210:211], 1.0
	v_fmac_f64_e32 v[210:211], v[210:211], v[216:217]
	v_div_scale_f64 v[216:217], vcc, 1.0, v[208:209], 1.0
	v_mul_f64 v[218:219], v[216:217], v[210:211]
	v_fma_f64 v[204:205], -v[204:205], v[218:219], v[216:217]
	s_nop 1
	v_div_fmas_f64 v[204:205], v[204:205], v[210:211], v[218:219]
	v_div_fixup_f64 v[204:205], v[204:205], v[208:209], 1.0
	v_mul_f64 v[206:207], v[206:207], -v[204:205]
.LBB107_43:
	s_or_b64 exec, exec, s[2:3]
	ds_write2_b64 v201, v[204:205], v[206:207] offset1:1
.LBB107_44:
	s_or_b64 exec, exec, s[4:5]
	s_waitcnt lgkmcnt(0)
	s_barrier
	ds_read2_b64 v[192:195], v201 offset1:1
	v_cmp_lt_u32_e32 vcc, 4, v200
	s_waitcnt lgkmcnt(0)
	scratch_store_dwordx4 off, v[192:195], off offset:560 ; 16-byte Folded Spill
	s_and_saveexec_b64 s[2:3], vcc
	s_cbranch_execz .LBB107_46
; %bb.45:
	scratch_load_dwordx4 v[192:195], off, off ; 16-byte Folded Reload
	scratch_load_dwordx4 v[216:219], off, off offset:560 ; 16-byte Folded Reload
	s_waitcnt vmcnt(0)
	v_mul_f64 v[204:205], v[218:219], v[194:195]
	v_fma_f64 v[208:209], v[216:217], v[192:193], -v[204:205]
	ds_read2_b64 v[204:207], v202 offset0:10 offset1:11
	v_mul_f64 v[194:195], v[216:217], v[194:195]
	v_fmac_f64_e32 v[194:195], v[218:219], v[192:193]
	s_waitcnt lgkmcnt(0)
	v_mul_f64 v[192:193], v[206:207], v[194:195]
	v_fma_f64 v[192:193], v[204:205], v[208:209], -v[192:193]
	v_mul_f64 v[204:205], v[204:205], v[194:195]
	v_fmac_f64_e32 v[204:205], v[206:207], v[208:209]
	v_add_f64 v[190:191], v[190:191], -v[204:205]
	ds_read2_b64 v[204:207], v202 offset0:12 offset1:13
	v_add_f64 v[188:189], v[188:189], -v[192:193]
	s_waitcnt lgkmcnt(0)
	v_mul_f64 v[192:193], v[206:207], v[194:195]
	v_fma_f64 v[192:193], v[204:205], v[208:209], -v[192:193]
	v_mul_f64 v[204:205], v[204:205], v[194:195]
	v_fmac_f64_e32 v[204:205], v[206:207], v[208:209]
	v_add_f64 v[186:187], v[186:187], -v[204:205]
	ds_read2_b64 v[204:207], v202 offset0:14 offset1:15
	v_add_f64 v[184:185], v[184:185], -v[192:193]
	;; [unrolled: 8-line block ×48, first 2 shown]
	s_waitcnt lgkmcnt(0)
	v_mul_f64 v[192:193], v[206:207], v[194:195]
	v_fma_f64 v[192:193], v[204:205], v[208:209], -v[192:193]
	v_mul_f64 v[204:205], v[204:205], v[194:195]
	v_fmac_f64_e32 v[204:205], v[206:207], v[208:209]
	v_add_f64 v[212:213], v[212:213], -v[192:193]
	v_add_f64 v[214:215], v[214:215], -v[204:205]
	v_mov_b64_e32 v[192:193], v[208:209]
	scratch_store_dwordx4 off, v[192:195], off ; 16-byte Folded Spill
.LBB107_46:
	s_or_b64 exec, exec, s[2:3]
	v_cmp_eq_u32_e32 vcc, 5, v200
	s_waitcnt vmcnt(63) expcnt(7) lgkmcnt(15)
	s_barrier
	s_and_saveexec_b64 s[4:5], vcc
	s_cbranch_execz .LBB107_53
; %bb.47:
	ds_write2_b64 v201, v[188:189], v[190:191] offset1:1
	ds_write2_b64 v202, v[184:185], v[186:187] offset0:12 offset1:13
	ds_write2_b64 v202, v[180:181], v[182:183] offset0:14 offset1:15
	;; [unrolled: 1-line block ×29, first 2 shown]
	s_waitcnt vmcnt(62)
	ds_write2_b64 v202, v[68:69], v[70:71] offset0:70 offset1:71
	s_waitcnt vmcnt(61)
	ds_write2_b64 v202, v[64:65], v[66:67] offset0:72 offset1:73
	;; [unrolled: 2-line block ×14, first 2 shown]
	ds_write2_b64 v202, v[12:13], v[14:15] offset0:98 offset1:99
	ds_write2_b64 v202, v[8:9], v[10:11] offset0:100 offset1:101
	;; [unrolled: 1-line block ×3, first 2 shown]
	s_waitcnt vmcnt(23)
	ds_write2_b64 v202, v[0:1], v[2:3] offset0:104 offset1:105
	s_waitcnt vmcnt(20)
	ds_write2_b64 v202, v[212:213], v[214:215] offset0:106 offset1:107
	ds_read2_b64 v[208:211], v201 offset1:1
	s_waitcnt lgkmcnt(0)
	v_cmp_neq_f64_e32 vcc, 0, v[208:209]
	v_cmp_neq_f64_e64 s[2:3], 0, v[210:211]
	s_or_b64 s[2:3], vcc, s[2:3]
	s_and_b64 exec, exec, s[2:3]
	s_cbranch_execz .LBB107_53
; %bb.48:
	v_cmp_ngt_f64_e64 s[2:3], |v[208:209]|, |v[210:211]|
                                        ; implicit-def: $vgpr204_vgpr205
	s_and_saveexec_b64 s[10:11], s[2:3]
	s_xor_b64 s[2:3], exec, s[10:11]
                                        ; implicit-def: $vgpr206_vgpr207
	s_cbranch_execz .LBB107_50
; %bb.49:
	v_div_scale_f64 v[204:205], s[10:11], v[210:211], v[210:211], v[208:209]
	v_rcp_f64_e32 v[206:207], v[204:205]
	v_div_scale_f64 v[216:217], vcc, v[208:209], v[210:211], v[208:209]
	v_fma_f64 v[218:219], -v[204:205], v[206:207], 1.0
	v_fmac_f64_e32 v[206:207], v[206:207], v[218:219]
	v_fma_f64 v[218:219], -v[204:205], v[206:207], 1.0
	v_fmac_f64_e32 v[206:207], v[206:207], v[218:219]
	v_mul_f64 v[218:219], v[216:217], v[206:207]
	v_fma_f64 v[204:205], -v[204:205], v[218:219], v[216:217]
	v_div_fmas_f64 v[204:205], v[204:205], v[206:207], v[218:219]
	v_div_fixup_f64 v[204:205], v[204:205], v[210:211], v[208:209]
	v_fmac_f64_e32 v[210:211], v[208:209], v[204:205]
	v_div_scale_f64 v[206:207], s[10:11], v[210:211], v[210:211], 1.0
	v_rcp_f64_e32 v[208:209], v[206:207]
	s_nop 0
	v_fma_f64 v[216:217], -v[206:207], v[208:209], 1.0
	v_fmac_f64_e32 v[208:209], v[208:209], v[216:217]
	v_fma_f64 v[216:217], -v[206:207], v[208:209], 1.0
	v_fmac_f64_e32 v[208:209], v[208:209], v[216:217]
	v_div_scale_f64 v[216:217], vcc, 1.0, v[210:211], 1.0
	v_mul_f64 v[218:219], v[216:217], v[208:209]
	v_fma_f64 v[206:207], -v[206:207], v[218:219], v[216:217]
	s_nop 1
	v_div_fmas_f64 v[206:207], v[206:207], v[208:209], v[218:219]
	v_div_fixup_f64 v[206:207], v[206:207], v[210:211], 1.0
	v_mul_f64 v[204:205], v[204:205], v[206:207]
	v_xor_b32_e32 v207, 0x80000000, v207
                                        ; implicit-def: $vgpr208_vgpr209
.LBB107_50:
	s_andn2_saveexec_b64 s[2:3], s[2:3]
	s_cbranch_execz .LBB107_52
; %bb.51:
	v_div_scale_f64 v[204:205], s[10:11], v[208:209], v[208:209], v[210:211]
	v_rcp_f64_e32 v[206:207], v[204:205]
	v_div_scale_f64 v[216:217], vcc, v[210:211], v[208:209], v[210:211]
	v_fma_f64 v[218:219], -v[204:205], v[206:207], 1.0
	v_fmac_f64_e32 v[206:207], v[206:207], v[218:219]
	v_fma_f64 v[218:219], -v[204:205], v[206:207], 1.0
	v_fmac_f64_e32 v[206:207], v[206:207], v[218:219]
	v_mul_f64 v[218:219], v[216:217], v[206:207]
	v_fma_f64 v[204:205], -v[204:205], v[218:219], v[216:217]
	v_div_fmas_f64 v[204:205], v[204:205], v[206:207], v[218:219]
	v_div_fixup_f64 v[206:207], v[204:205], v[208:209], v[210:211]
	v_fmac_f64_e32 v[208:209], v[210:211], v[206:207]
	v_div_scale_f64 v[204:205], s[10:11], v[208:209], v[208:209], 1.0
	v_rcp_f64_e32 v[210:211], v[204:205]
	s_nop 0
	v_fma_f64 v[216:217], -v[204:205], v[210:211], 1.0
	v_fmac_f64_e32 v[210:211], v[210:211], v[216:217]
	v_fma_f64 v[216:217], -v[204:205], v[210:211], 1.0
	v_fmac_f64_e32 v[210:211], v[210:211], v[216:217]
	v_div_scale_f64 v[216:217], vcc, 1.0, v[208:209], 1.0
	v_mul_f64 v[218:219], v[216:217], v[210:211]
	v_fma_f64 v[204:205], -v[204:205], v[218:219], v[216:217]
	s_nop 1
	v_div_fmas_f64 v[204:205], v[204:205], v[210:211], v[218:219]
	v_div_fixup_f64 v[204:205], v[204:205], v[208:209], 1.0
	v_mul_f64 v[206:207], v[206:207], -v[204:205]
.LBB107_52:
	s_or_b64 exec, exec, s[2:3]
	ds_write2_b64 v201, v[204:205], v[206:207] offset1:1
.LBB107_53:
	s_or_b64 exec, exec, s[4:5]
	s_waitcnt lgkmcnt(0)
	s_barrier
	ds_read2_b64 v[192:195], v201 offset1:1
	v_cmp_lt_u32_e32 vcc, 5, v200
	s_waitcnt lgkmcnt(0)
	scratch_store_dwordx4 off, v[192:195], off offset:576 ; 16-byte Folded Spill
	s_and_saveexec_b64 s[2:3], vcc
	s_cbranch_execz .LBB107_55
; %bb.54:
	scratch_load_dwordx4 v[192:195], off, off offset:576 ; 16-byte Folded Reload
	s_waitcnt vmcnt(0)
	v_mul_f64 v[204:205], v[194:195], v[190:191]
	v_fma_f64 v[208:209], v[192:193], v[188:189], -v[204:205]
	ds_read2_b64 v[204:207], v202 offset0:12 offset1:13
	v_mul_f64 v[190:191], v[192:193], v[190:191]
	v_fmac_f64_e32 v[190:191], v[194:195], v[188:189]
	s_waitcnt lgkmcnt(0)
	v_mul_f64 v[188:189], v[206:207], v[190:191]
	v_fma_f64 v[188:189], v[204:205], v[208:209], -v[188:189]
	v_mul_f64 v[204:205], v[204:205], v[190:191]
	v_fmac_f64_e32 v[204:205], v[206:207], v[208:209]
	v_add_f64 v[186:187], v[186:187], -v[204:205]
	ds_read2_b64 v[204:207], v202 offset0:14 offset1:15
	v_add_f64 v[184:185], v[184:185], -v[188:189]
	s_waitcnt lgkmcnt(0)
	v_mul_f64 v[188:189], v[206:207], v[190:191]
	v_fma_f64 v[188:189], v[204:205], v[208:209], -v[188:189]
	v_mul_f64 v[204:205], v[204:205], v[190:191]
	v_fmac_f64_e32 v[204:205], v[206:207], v[208:209]
	v_add_f64 v[182:183], v[182:183], -v[204:205]
	ds_read2_b64 v[204:207], v202 offset0:16 offset1:17
	v_add_f64 v[180:181], v[180:181], -v[188:189]
	;; [unrolled: 8-line block ×47, first 2 shown]
	s_waitcnt lgkmcnt(0)
	v_mul_f64 v[188:189], v[206:207], v[190:191]
	v_fma_f64 v[188:189], v[204:205], v[208:209], -v[188:189]
	v_mul_f64 v[204:205], v[204:205], v[190:191]
	v_fmac_f64_e32 v[204:205], v[206:207], v[208:209]
	v_add_f64 v[212:213], v[212:213], -v[188:189]
	v_add_f64 v[214:215], v[214:215], -v[204:205]
	v_mov_b64_e32 v[188:189], v[208:209]
.LBB107_55:
	s_or_b64 exec, exec, s[2:3]
	v_cmp_eq_u32_e32 vcc, 6, v200
	s_waitcnt vmcnt(63) expcnt(7) lgkmcnt(15)
	s_barrier
	s_and_saveexec_b64 s[4:5], vcc
	s_cbranch_execz .LBB107_62
; %bb.56:
	ds_write2_b64 v201, v[184:185], v[186:187] offset1:1
	ds_write2_b64 v202, v[180:181], v[182:183] offset0:14 offset1:15
	ds_write2_b64 v202, v[176:177], v[178:179] offset0:16 offset1:17
	;; [unrolled: 1-line block ×29, first 2 shown]
	s_waitcnt vmcnt(62)
	ds_write2_b64 v202, v[64:65], v[66:67] offset0:72 offset1:73
	s_waitcnt vmcnt(36)
	ds_write2_b64 v202, v[60:61], v[62:63] offset0:74 offset1:75
	;; [unrolled: 2-line block ×13, first 2 shown]
	ds_write2_b64 v202, v[12:13], v[14:15] offset0:98 offset1:99
	ds_write2_b64 v202, v[8:9], v[10:11] offset0:100 offset1:101
	;; [unrolled: 1-line block ×3, first 2 shown]
	s_waitcnt vmcnt(24)
	ds_write2_b64 v202, v[0:1], v[2:3] offset0:104 offset1:105
	s_waitcnt vmcnt(21)
	ds_write2_b64 v202, v[212:213], v[214:215] offset0:106 offset1:107
	ds_read2_b64 v[208:211], v201 offset1:1
	s_waitcnt lgkmcnt(0)
	v_cmp_neq_f64_e32 vcc, 0, v[208:209]
	v_cmp_neq_f64_e64 s[2:3], 0, v[210:211]
	s_or_b64 s[2:3], vcc, s[2:3]
	s_and_b64 exec, exec, s[2:3]
	s_cbranch_execz .LBB107_62
; %bb.57:
	v_cmp_ngt_f64_e64 s[2:3], |v[208:209]|, |v[210:211]|
                                        ; implicit-def: $vgpr204_vgpr205
	s_and_saveexec_b64 s[10:11], s[2:3]
	s_xor_b64 s[2:3], exec, s[10:11]
                                        ; implicit-def: $vgpr206_vgpr207
	s_cbranch_execz .LBB107_59
; %bb.58:
	v_div_scale_f64 v[204:205], s[10:11], v[210:211], v[210:211], v[208:209]
	v_rcp_f64_e32 v[206:207], v[204:205]
	v_div_scale_f64 v[216:217], vcc, v[208:209], v[210:211], v[208:209]
	v_fma_f64 v[218:219], -v[204:205], v[206:207], 1.0
	v_fmac_f64_e32 v[206:207], v[206:207], v[218:219]
	v_fma_f64 v[218:219], -v[204:205], v[206:207], 1.0
	v_fmac_f64_e32 v[206:207], v[206:207], v[218:219]
	v_mul_f64 v[218:219], v[216:217], v[206:207]
	v_fma_f64 v[204:205], -v[204:205], v[218:219], v[216:217]
	v_div_fmas_f64 v[204:205], v[204:205], v[206:207], v[218:219]
	v_div_fixup_f64 v[204:205], v[204:205], v[210:211], v[208:209]
	v_fmac_f64_e32 v[210:211], v[208:209], v[204:205]
	v_div_scale_f64 v[206:207], s[10:11], v[210:211], v[210:211], 1.0
	v_rcp_f64_e32 v[208:209], v[206:207]
	s_nop 0
	v_fma_f64 v[216:217], -v[206:207], v[208:209], 1.0
	v_fmac_f64_e32 v[208:209], v[208:209], v[216:217]
	v_fma_f64 v[216:217], -v[206:207], v[208:209], 1.0
	v_fmac_f64_e32 v[208:209], v[208:209], v[216:217]
	v_div_scale_f64 v[216:217], vcc, 1.0, v[210:211], 1.0
	v_mul_f64 v[218:219], v[216:217], v[208:209]
	v_fma_f64 v[206:207], -v[206:207], v[218:219], v[216:217]
	s_nop 1
	v_div_fmas_f64 v[206:207], v[206:207], v[208:209], v[218:219]
	v_div_fixup_f64 v[206:207], v[206:207], v[210:211], 1.0
	v_mul_f64 v[204:205], v[204:205], v[206:207]
	v_xor_b32_e32 v207, 0x80000000, v207
                                        ; implicit-def: $vgpr208_vgpr209
.LBB107_59:
	s_andn2_saveexec_b64 s[2:3], s[2:3]
	s_cbranch_execz .LBB107_61
; %bb.60:
	v_div_scale_f64 v[204:205], s[10:11], v[208:209], v[208:209], v[210:211]
	v_rcp_f64_e32 v[206:207], v[204:205]
	v_div_scale_f64 v[216:217], vcc, v[210:211], v[208:209], v[210:211]
	v_fma_f64 v[218:219], -v[204:205], v[206:207], 1.0
	v_fmac_f64_e32 v[206:207], v[206:207], v[218:219]
	v_fma_f64 v[218:219], -v[204:205], v[206:207], 1.0
	v_fmac_f64_e32 v[206:207], v[206:207], v[218:219]
	v_mul_f64 v[218:219], v[216:217], v[206:207]
	v_fma_f64 v[204:205], -v[204:205], v[218:219], v[216:217]
	v_div_fmas_f64 v[204:205], v[204:205], v[206:207], v[218:219]
	v_div_fixup_f64 v[206:207], v[204:205], v[208:209], v[210:211]
	v_fmac_f64_e32 v[208:209], v[210:211], v[206:207]
	v_div_scale_f64 v[204:205], s[10:11], v[208:209], v[208:209], 1.0
	v_rcp_f64_e32 v[210:211], v[204:205]
	s_nop 0
	v_fma_f64 v[216:217], -v[204:205], v[210:211], 1.0
	v_fmac_f64_e32 v[210:211], v[210:211], v[216:217]
	v_fma_f64 v[216:217], -v[204:205], v[210:211], 1.0
	v_fmac_f64_e32 v[210:211], v[210:211], v[216:217]
	v_div_scale_f64 v[216:217], vcc, 1.0, v[208:209], 1.0
	v_mul_f64 v[218:219], v[216:217], v[210:211]
	v_fma_f64 v[204:205], -v[204:205], v[218:219], v[216:217]
	s_nop 1
	v_div_fmas_f64 v[204:205], v[204:205], v[210:211], v[218:219]
	v_div_fixup_f64 v[204:205], v[204:205], v[208:209], 1.0
	v_mul_f64 v[206:207], v[206:207], -v[204:205]
.LBB107_61:
	s_or_b64 exec, exec, s[2:3]
	ds_write2_b64 v201, v[204:205], v[206:207] offset1:1
.LBB107_62:
	s_or_b64 exec, exec, s[4:5]
	s_waitcnt lgkmcnt(0)
	s_barrier
	ds_read2_b64 v[192:195], v201 offset1:1
	v_cmp_lt_u32_e32 vcc, 6, v200
	s_waitcnt lgkmcnt(0)
	scratch_store_dwordx4 off, v[192:195], off offset:592 ; 16-byte Folded Spill
	s_and_saveexec_b64 s[2:3], vcc
	s_cbranch_execz .LBB107_64
; %bb.63:
	scratch_load_dwordx4 v[192:195], off, off offset:592 ; 16-byte Folded Reload
	s_waitcnt vmcnt(0)
	v_mul_f64 v[204:205], v[194:195], v[186:187]
	v_fma_f64 v[208:209], v[192:193], v[184:185], -v[204:205]
	ds_read2_b64 v[204:207], v202 offset0:14 offset1:15
	v_mul_f64 v[186:187], v[192:193], v[186:187]
	v_fmac_f64_e32 v[186:187], v[194:195], v[184:185]
	s_waitcnt lgkmcnt(0)
	v_mul_f64 v[184:185], v[206:207], v[186:187]
	v_fma_f64 v[184:185], v[204:205], v[208:209], -v[184:185]
	v_mul_f64 v[204:205], v[204:205], v[186:187]
	v_fmac_f64_e32 v[204:205], v[206:207], v[208:209]
	v_add_f64 v[182:183], v[182:183], -v[204:205]
	ds_read2_b64 v[204:207], v202 offset0:16 offset1:17
	v_add_f64 v[180:181], v[180:181], -v[184:185]
	s_waitcnt lgkmcnt(0)
	v_mul_f64 v[184:185], v[206:207], v[186:187]
	v_fma_f64 v[184:185], v[204:205], v[208:209], -v[184:185]
	v_mul_f64 v[204:205], v[204:205], v[186:187]
	v_fmac_f64_e32 v[204:205], v[206:207], v[208:209]
	v_add_f64 v[178:179], v[178:179], -v[204:205]
	ds_read2_b64 v[204:207], v202 offset0:18 offset1:19
	v_add_f64 v[176:177], v[176:177], -v[184:185]
	;; [unrolled: 8-line block ×46, first 2 shown]
	s_waitcnt lgkmcnt(0)
	v_mul_f64 v[184:185], v[206:207], v[186:187]
	v_fma_f64 v[184:185], v[204:205], v[208:209], -v[184:185]
	v_mul_f64 v[204:205], v[204:205], v[186:187]
	v_fmac_f64_e32 v[204:205], v[206:207], v[208:209]
	v_add_f64 v[212:213], v[212:213], -v[184:185]
	v_add_f64 v[214:215], v[214:215], -v[204:205]
	v_mov_b64_e32 v[184:185], v[208:209]
.LBB107_64:
	s_or_b64 exec, exec, s[2:3]
	v_cmp_eq_u32_e32 vcc, 7, v200
	s_waitcnt vmcnt(63) expcnt(7) lgkmcnt(15)
	s_barrier
	s_and_saveexec_b64 s[4:5], vcc
	s_cbranch_execz .LBB107_71
; %bb.65:
	ds_write2_b64 v201, v[180:181], v[182:183] offset1:1
	ds_write2_b64 v202, v[176:177], v[178:179] offset0:16 offset1:17
	ds_write2_b64 v202, v[172:173], v[174:175] offset0:18 offset1:19
	ds_write2_b64 v202, v[168:169], v[170:171] offset0:20 offset1:21
	ds_write2_b64 v202, v[164:165], v[166:167] offset0:22 offset1:23
	ds_write2_b64 v202, v[160:161], v[162:163] offset0:24 offset1:25
	ds_write2_b64 v202, v[156:157], v[158:159] offset0:26 offset1:27
	ds_write2_b64 v202, v[152:153], v[154:155] offset0:28 offset1:29
	ds_write2_b64 v202, v[148:149], v[150:151] offset0:30 offset1:31
	ds_write2_b64 v202, v[144:145], v[146:147] offset0:32 offset1:33
	ds_write2_b64 v202, v[140:141], v[142:143] offset0:34 offset1:35
	ds_write2_b64 v202, v[136:137], v[138:139] offset0:36 offset1:37
	ds_write2_b64 v202, v[132:133], v[134:135] offset0:38 offset1:39
	ds_write2_b64 v202, v[128:129], v[130:131] offset0:40 offset1:41
	ds_write2_b64 v202, v[124:125], v[126:127] offset0:42 offset1:43
	ds_write2_b64 v202, v[120:121], v[122:123] offset0:44 offset1:45
	ds_write2_b64 v202, v[116:117], v[118:119] offset0:46 offset1:47
	ds_write2_b64 v202, v[112:113], v[114:115] offset0:48 offset1:49
	ds_write2_b64 v202, v[108:109], v[110:111] offset0:50 offset1:51
	ds_write2_b64 v202, v[104:105], v[106:107] offset0:52 offset1:53
	ds_write2_b64 v202, v[100:101], v[102:103] offset0:54 offset1:55
	ds_write2_b64 v202, v[96:97], v[98:99] offset0:56 offset1:57
	ds_write2_b64 v202, v[92:93], v[94:95] offset0:58 offset1:59
	ds_write2_b64 v202, v[88:89], v[90:91] offset0:60 offset1:61
	ds_write2_b64 v202, v[84:85], v[86:87] offset0:62 offset1:63
	ds_write2_b64 v202, v[80:81], v[82:83] offset0:64 offset1:65
	ds_write2_b64 v202, v[76:77], v[78:79] offset0:66 offset1:67
	ds_write2_b64 v202, v[72:73], v[74:75] offset0:68 offset1:69
	ds_write2_b64 v202, v[68:69], v[70:71] offset0:70 offset1:71
	ds_write2_b64 v202, v[64:65], v[66:67] offset0:72 offset1:73
	s_waitcnt vmcnt(37)
	ds_write2_b64 v202, v[60:61], v[62:63] offset0:74 offset1:75
	s_waitcnt vmcnt(36)
	ds_write2_b64 v202, v[56:57], v[58:59] offset0:76 offset1:77
	;; [unrolled: 2-line block ×12, first 2 shown]
	ds_write2_b64 v202, v[12:13], v[14:15] offset0:98 offset1:99
	ds_write2_b64 v202, v[8:9], v[10:11] offset0:100 offset1:101
	ds_write2_b64 v202, v[4:5], v[6:7] offset0:102 offset1:103
	s_waitcnt vmcnt(25)
	ds_write2_b64 v202, v[0:1], v[2:3] offset0:104 offset1:105
	s_waitcnt vmcnt(22)
	ds_write2_b64 v202, v[212:213], v[214:215] offset0:106 offset1:107
	ds_read2_b64 v[208:211], v201 offset1:1
	s_waitcnt lgkmcnt(0)
	v_cmp_neq_f64_e32 vcc, 0, v[208:209]
	v_cmp_neq_f64_e64 s[2:3], 0, v[210:211]
	s_or_b64 s[2:3], vcc, s[2:3]
	s_and_b64 exec, exec, s[2:3]
	s_cbranch_execz .LBB107_71
; %bb.66:
	v_cmp_ngt_f64_e64 s[2:3], |v[208:209]|, |v[210:211]|
                                        ; implicit-def: $vgpr204_vgpr205
	s_and_saveexec_b64 s[10:11], s[2:3]
	s_xor_b64 s[2:3], exec, s[10:11]
                                        ; implicit-def: $vgpr206_vgpr207
	s_cbranch_execz .LBB107_68
; %bb.67:
	v_div_scale_f64 v[204:205], s[10:11], v[210:211], v[210:211], v[208:209]
	v_rcp_f64_e32 v[206:207], v[204:205]
	v_div_scale_f64 v[216:217], vcc, v[208:209], v[210:211], v[208:209]
	v_fma_f64 v[218:219], -v[204:205], v[206:207], 1.0
	v_fmac_f64_e32 v[206:207], v[206:207], v[218:219]
	v_fma_f64 v[218:219], -v[204:205], v[206:207], 1.0
	v_fmac_f64_e32 v[206:207], v[206:207], v[218:219]
	v_mul_f64 v[218:219], v[216:217], v[206:207]
	v_fma_f64 v[204:205], -v[204:205], v[218:219], v[216:217]
	v_div_fmas_f64 v[204:205], v[204:205], v[206:207], v[218:219]
	v_div_fixup_f64 v[204:205], v[204:205], v[210:211], v[208:209]
	v_fmac_f64_e32 v[210:211], v[208:209], v[204:205]
	v_div_scale_f64 v[206:207], s[10:11], v[210:211], v[210:211], 1.0
	v_rcp_f64_e32 v[208:209], v[206:207]
	s_nop 0
	v_fma_f64 v[216:217], -v[206:207], v[208:209], 1.0
	v_fmac_f64_e32 v[208:209], v[208:209], v[216:217]
	v_fma_f64 v[216:217], -v[206:207], v[208:209], 1.0
	v_fmac_f64_e32 v[208:209], v[208:209], v[216:217]
	v_div_scale_f64 v[216:217], vcc, 1.0, v[210:211], 1.0
	v_mul_f64 v[218:219], v[216:217], v[208:209]
	v_fma_f64 v[206:207], -v[206:207], v[218:219], v[216:217]
	s_nop 1
	v_div_fmas_f64 v[206:207], v[206:207], v[208:209], v[218:219]
	v_div_fixup_f64 v[206:207], v[206:207], v[210:211], 1.0
	v_mul_f64 v[204:205], v[204:205], v[206:207]
	v_xor_b32_e32 v207, 0x80000000, v207
                                        ; implicit-def: $vgpr208_vgpr209
.LBB107_68:
	s_andn2_saveexec_b64 s[2:3], s[2:3]
	s_cbranch_execz .LBB107_70
; %bb.69:
	v_div_scale_f64 v[204:205], s[10:11], v[208:209], v[208:209], v[210:211]
	v_rcp_f64_e32 v[206:207], v[204:205]
	v_div_scale_f64 v[216:217], vcc, v[210:211], v[208:209], v[210:211]
	v_fma_f64 v[218:219], -v[204:205], v[206:207], 1.0
	v_fmac_f64_e32 v[206:207], v[206:207], v[218:219]
	v_fma_f64 v[218:219], -v[204:205], v[206:207], 1.0
	v_fmac_f64_e32 v[206:207], v[206:207], v[218:219]
	v_mul_f64 v[218:219], v[216:217], v[206:207]
	v_fma_f64 v[204:205], -v[204:205], v[218:219], v[216:217]
	v_div_fmas_f64 v[204:205], v[204:205], v[206:207], v[218:219]
	v_div_fixup_f64 v[206:207], v[204:205], v[208:209], v[210:211]
	v_fmac_f64_e32 v[208:209], v[210:211], v[206:207]
	v_div_scale_f64 v[204:205], s[10:11], v[208:209], v[208:209], 1.0
	v_rcp_f64_e32 v[210:211], v[204:205]
	s_nop 0
	v_fma_f64 v[216:217], -v[204:205], v[210:211], 1.0
	v_fmac_f64_e32 v[210:211], v[210:211], v[216:217]
	v_fma_f64 v[216:217], -v[204:205], v[210:211], 1.0
	v_fmac_f64_e32 v[210:211], v[210:211], v[216:217]
	v_div_scale_f64 v[216:217], vcc, 1.0, v[208:209], 1.0
	v_mul_f64 v[218:219], v[216:217], v[210:211]
	v_fma_f64 v[204:205], -v[204:205], v[218:219], v[216:217]
	s_nop 1
	v_div_fmas_f64 v[204:205], v[204:205], v[210:211], v[218:219]
	v_div_fixup_f64 v[204:205], v[204:205], v[208:209], 1.0
	v_mul_f64 v[206:207], v[206:207], -v[204:205]
.LBB107_70:
	s_or_b64 exec, exec, s[2:3]
	ds_write2_b64 v201, v[204:205], v[206:207] offset1:1
.LBB107_71:
	s_or_b64 exec, exec, s[4:5]
	s_waitcnt lgkmcnt(0)
	s_barrier
	ds_read2_b64 v[192:195], v201 offset1:1
	v_cmp_lt_u32_e32 vcc, 7, v200
	s_waitcnt lgkmcnt(0)
	scratch_store_dwordx4 off, v[192:195], off offset:608 ; 16-byte Folded Spill
	s_and_saveexec_b64 s[2:3], vcc
	s_cbranch_execz .LBB107_73
; %bb.72:
	scratch_load_dwordx4 v[192:195], off, off offset:608 ; 16-byte Folded Reload
	s_waitcnt vmcnt(0)
	v_mul_f64 v[204:205], v[194:195], v[182:183]
	v_fma_f64 v[208:209], v[192:193], v[180:181], -v[204:205]
	ds_read2_b64 v[204:207], v202 offset0:16 offset1:17
	v_mul_f64 v[182:183], v[192:193], v[182:183]
	v_fmac_f64_e32 v[182:183], v[194:195], v[180:181]
	s_waitcnt lgkmcnt(0)
	v_mul_f64 v[180:181], v[206:207], v[182:183]
	v_fma_f64 v[180:181], v[204:205], v[208:209], -v[180:181]
	v_mul_f64 v[204:205], v[204:205], v[182:183]
	v_fmac_f64_e32 v[204:205], v[206:207], v[208:209]
	v_add_f64 v[178:179], v[178:179], -v[204:205]
	ds_read2_b64 v[204:207], v202 offset0:18 offset1:19
	v_add_f64 v[176:177], v[176:177], -v[180:181]
	s_waitcnt lgkmcnt(0)
	v_mul_f64 v[180:181], v[206:207], v[182:183]
	v_fma_f64 v[180:181], v[204:205], v[208:209], -v[180:181]
	v_mul_f64 v[204:205], v[204:205], v[182:183]
	v_fmac_f64_e32 v[204:205], v[206:207], v[208:209]
	v_add_f64 v[174:175], v[174:175], -v[204:205]
	ds_read2_b64 v[204:207], v202 offset0:20 offset1:21
	v_add_f64 v[172:173], v[172:173], -v[180:181]
	;; [unrolled: 8-line block ×45, first 2 shown]
	s_waitcnt lgkmcnt(0)
	v_mul_f64 v[180:181], v[206:207], v[182:183]
	v_fma_f64 v[180:181], v[204:205], v[208:209], -v[180:181]
	v_mul_f64 v[204:205], v[204:205], v[182:183]
	v_fmac_f64_e32 v[204:205], v[206:207], v[208:209]
	v_add_f64 v[212:213], v[212:213], -v[180:181]
	v_add_f64 v[214:215], v[214:215], -v[204:205]
	v_mov_b64_e32 v[180:181], v[208:209]
.LBB107_73:
	s_or_b64 exec, exec, s[2:3]
	v_cmp_eq_u32_e32 vcc, 8, v200
	s_waitcnt vmcnt(63) expcnt(7) lgkmcnt(15)
	s_barrier
	s_and_saveexec_b64 s[4:5], vcc
	s_cbranch_execz .LBB107_80
; %bb.74:
	ds_write2_b64 v201, v[176:177], v[178:179] offset1:1
	ds_write2_b64 v202, v[172:173], v[174:175] offset0:18 offset1:19
	ds_write2_b64 v202, v[168:169], v[170:171] offset0:20 offset1:21
	;; [unrolled: 1-line block ×28, first 2 shown]
	s_waitcnt vmcnt(38)
	ds_write2_b64 v202, v[60:61], v[62:63] offset0:74 offset1:75
	s_waitcnt vmcnt(37)
	ds_write2_b64 v202, v[56:57], v[58:59] offset0:76 offset1:77
	;; [unrolled: 2-line block ×12, first 2 shown]
	ds_write2_b64 v202, v[12:13], v[14:15] offset0:98 offset1:99
	ds_write2_b64 v202, v[8:9], v[10:11] offset0:100 offset1:101
	;; [unrolled: 1-line block ×3, first 2 shown]
	s_waitcnt vmcnt(26)
	ds_write2_b64 v202, v[0:1], v[2:3] offset0:104 offset1:105
	s_waitcnt vmcnt(23)
	ds_write2_b64 v202, v[212:213], v[214:215] offset0:106 offset1:107
	ds_read2_b64 v[208:211], v201 offset1:1
	s_waitcnt lgkmcnt(0)
	v_cmp_neq_f64_e32 vcc, 0, v[208:209]
	v_cmp_neq_f64_e64 s[2:3], 0, v[210:211]
	s_or_b64 s[2:3], vcc, s[2:3]
	s_and_b64 exec, exec, s[2:3]
	s_cbranch_execz .LBB107_80
; %bb.75:
	v_cmp_ngt_f64_e64 s[2:3], |v[208:209]|, |v[210:211]|
                                        ; implicit-def: $vgpr204_vgpr205
	s_and_saveexec_b64 s[10:11], s[2:3]
	s_xor_b64 s[2:3], exec, s[10:11]
                                        ; implicit-def: $vgpr206_vgpr207
	s_cbranch_execz .LBB107_77
; %bb.76:
	v_div_scale_f64 v[204:205], s[10:11], v[210:211], v[210:211], v[208:209]
	v_rcp_f64_e32 v[206:207], v[204:205]
	v_div_scale_f64 v[216:217], vcc, v[208:209], v[210:211], v[208:209]
	v_fma_f64 v[218:219], -v[204:205], v[206:207], 1.0
	v_fmac_f64_e32 v[206:207], v[206:207], v[218:219]
	v_fma_f64 v[218:219], -v[204:205], v[206:207], 1.0
	v_fmac_f64_e32 v[206:207], v[206:207], v[218:219]
	v_mul_f64 v[218:219], v[216:217], v[206:207]
	v_fma_f64 v[204:205], -v[204:205], v[218:219], v[216:217]
	v_div_fmas_f64 v[204:205], v[204:205], v[206:207], v[218:219]
	v_div_fixup_f64 v[204:205], v[204:205], v[210:211], v[208:209]
	v_fmac_f64_e32 v[210:211], v[208:209], v[204:205]
	v_div_scale_f64 v[206:207], s[10:11], v[210:211], v[210:211], 1.0
	v_rcp_f64_e32 v[208:209], v[206:207]
	s_nop 0
	v_fma_f64 v[216:217], -v[206:207], v[208:209], 1.0
	v_fmac_f64_e32 v[208:209], v[208:209], v[216:217]
	v_fma_f64 v[216:217], -v[206:207], v[208:209], 1.0
	v_fmac_f64_e32 v[208:209], v[208:209], v[216:217]
	v_div_scale_f64 v[216:217], vcc, 1.0, v[210:211], 1.0
	v_mul_f64 v[218:219], v[216:217], v[208:209]
	v_fma_f64 v[206:207], -v[206:207], v[218:219], v[216:217]
	s_nop 1
	v_div_fmas_f64 v[206:207], v[206:207], v[208:209], v[218:219]
	v_div_fixup_f64 v[206:207], v[206:207], v[210:211], 1.0
	v_mul_f64 v[204:205], v[204:205], v[206:207]
	v_xor_b32_e32 v207, 0x80000000, v207
                                        ; implicit-def: $vgpr208_vgpr209
.LBB107_77:
	s_andn2_saveexec_b64 s[2:3], s[2:3]
	s_cbranch_execz .LBB107_79
; %bb.78:
	v_div_scale_f64 v[204:205], s[10:11], v[208:209], v[208:209], v[210:211]
	v_rcp_f64_e32 v[206:207], v[204:205]
	v_div_scale_f64 v[216:217], vcc, v[210:211], v[208:209], v[210:211]
	v_fma_f64 v[218:219], -v[204:205], v[206:207], 1.0
	v_fmac_f64_e32 v[206:207], v[206:207], v[218:219]
	v_fma_f64 v[218:219], -v[204:205], v[206:207], 1.0
	v_fmac_f64_e32 v[206:207], v[206:207], v[218:219]
	v_mul_f64 v[218:219], v[216:217], v[206:207]
	v_fma_f64 v[204:205], -v[204:205], v[218:219], v[216:217]
	v_div_fmas_f64 v[204:205], v[204:205], v[206:207], v[218:219]
	v_div_fixup_f64 v[206:207], v[204:205], v[208:209], v[210:211]
	v_fmac_f64_e32 v[208:209], v[210:211], v[206:207]
	v_div_scale_f64 v[204:205], s[10:11], v[208:209], v[208:209], 1.0
	v_rcp_f64_e32 v[210:211], v[204:205]
	s_nop 0
	v_fma_f64 v[216:217], -v[204:205], v[210:211], 1.0
	v_fmac_f64_e32 v[210:211], v[210:211], v[216:217]
	v_fma_f64 v[216:217], -v[204:205], v[210:211], 1.0
	v_fmac_f64_e32 v[210:211], v[210:211], v[216:217]
	v_div_scale_f64 v[216:217], vcc, 1.0, v[208:209], 1.0
	v_mul_f64 v[218:219], v[216:217], v[210:211]
	v_fma_f64 v[204:205], -v[204:205], v[218:219], v[216:217]
	s_nop 1
	v_div_fmas_f64 v[204:205], v[204:205], v[210:211], v[218:219]
	v_div_fixup_f64 v[204:205], v[204:205], v[208:209], 1.0
	v_mul_f64 v[206:207], v[206:207], -v[204:205]
.LBB107_79:
	s_or_b64 exec, exec, s[2:3]
	ds_write2_b64 v201, v[204:205], v[206:207] offset1:1
.LBB107_80:
	s_or_b64 exec, exec, s[4:5]
	s_waitcnt lgkmcnt(0)
	s_barrier
	ds_read2_b64 v[192:195], v201 offset1:1
	v_cmp_lt_u32_e32 vcc, 8, v200
	s_waitcnt lgkmcnt(0)
	scratch_store_dwordx4 off, v[192:195], off offset:624 ; 16-byte Folded Spill
	s_and_saveexec_b64 s[2:3], vcc
	s_cbranch_execz .LBB107_82
; %bb.81:
	scratch_load_dwordx4 v[192:195], off, off offset:624 ; 16-byte Folded Reload
	s_waitcnt vmcnt(0)
	v_mul_f64 v[204:205], v[194:195], v[178:179]
	v_fma_f64 v[208:209], v[192:193], v[176:177], -v[204:205]
	ds_read2_b64 v[204:207], v202 offset0:18 offset1:19
	v_mul_f64 v[178:179], v[192:193], v[178:179]
	v_fmac_f64_e32 v[178:179], v[194:195], v[176:177]
	s_waitcnt lgkmcnt(0)
	v_mul_f64 v[176:177], v[206:207], v[178:179]
	v_fma_f64 v[176:177], v[204:205], v[208:209], -v[176:177]
	v_mul_f64 v[204:205], v[204:205], v[178:179]
	v_fmac_f64_e32 v[204:205], v[206:207], v[208:209]
	v_add_f64 v[174:175], v[174:175], -v[204:205]
	ds_read2_b64 v[204:207], v202 offset0:20 offset1:21
	v_add_f64 v[172:173], v[172:173], -v[176:177]
	s_waitcnt lgkmcnt(0)
	v_mul_f64 v[176:177], v[206:207], v[178:179]
	v_fma_f64 v[176:177], v[204:205], v[208:209], -v[176:177]
	v_mul_f64 v[204:205], v[204:205], v[178:179]
	v_fmac_f64_e32 v[204:205], v[206:207], v[208:209]
	v_add_f64 v[170:171], v[170:171], -v[204:205]
	ds_read2_b64 v[204:207], v202 offset0:22 offset1:23
	v_add_f64 v[168:169], v[168:169], -v[176:177]
	;; [unrolled: 8-line block ×44, first 2 shown]
	s_waitcnt lgkmcnt(0)
	v_mul_f64 v[176:177], v[206:207], v[178:179]
	v_fma_f64 v[176:177], v[204:205], v[208:209], -v[176:177]
	v_mul_f64 v[204:205], v[204:205], v[178:179]
	v_fmac_f64_e32 v[204:205], v[206:207], v[208:209]
	v_add_f64 v[212:213], v[212:213], -v[176:177]
	v_add_f64 v[214:215], v[214:215], -v[204:205]
	v_mov_b64_e32 v[176:177], v[208:209]
.LBB107_82:
	s_or_b64 exec, exec, s[2:3]
	v_cmp_eq_u32_e32 vcc, 9, v200
	s_waitcnt vmcnt(63) expcnt(7) lgkmcnt(15)
	s_barrier
	s_and_saveexec_b64 s[4:5], vcc
	s_cbranch_execz .LBB107_89
; %bb.83:
	ds_write2_b64 v201, v[172:173], v[174:175] offset1:1
	ds_write2_b64 v202, v[168:169], v[170:171] offset0:20 offset1:21
	ds_write2_b64 v202, v[164:165], v[166:167] offset0:22 offset1:23
	;; [unrolled: 1-line block ×27, first 2 shown]
	s_waitcnt vmcnt(39)
	ds_write2_b64 v202, v[60:61], v[62:63] offset0:74 offset1:75
	s_waitcnt vmcnt(38)
	ds_write2_b64 v202, v[56:57], v[58:59] offset0:76 offset1:77
	;; [unrolled: 2-line block ×12, first 2 shown]
	ds_write2_b64 v202, v[12:13], v[14:15] offset0:98 offset1:99
	ds_write2_b64 v202, v[8:9], v[10:11] offset0:100 offset1:101
	;; [unrolled: 1-line block ×3, first 2 shown]
	s_waitcnt vmcnt(27)
	ds_write2_b64 v202, v[0:1], v[2:3] offset0:104 offset1:105
	s_waitcnt vmcnt(24)
	ds_write2_b64 v202, v[212:213], v[214:215] offset0:106 offset1:107
	ds_read2_b64 v[208:211], v201 offset1:1
	s_waitcnt lgkmcnt(0)
	v_cmp_neq_f64_e32 vcc, 0, v[208:209]
	v_cmp_neq_f64_e64 s[2:3], 0, v[210:211]
	s_or_b64 s[2:3], vcc, s[2:3]
	s_and_b64 exec, exec, s[2:3]
	s_cbranch_execz .LBB107_89
; %bb.84:
	v_cmp_ngt_f64_e64 s[2:3], |v[208:209]|, |v[210:211]|
                                        ; implicit-def: $vgpr204_vgpr205
	s_and_saveexec_b64 s[10:11], s[2:3]
	s_xor_b64 s[2:3], exec, s[10:11]
                                        ; implicit-def: $vgpr206_vgpr207
	s_cbranch_execz .LBB107_86
; %bb.85:
	v_div_scale_f64 v[204:205], s[10:11], v[210:211], v[210:211], v[208:209]
	v_rcp_f64_e32 v[206:207], v[204:205]
	v_div_scale_f64 v[216:217], vcc, v[208:209], v[210:211], v[208:209]
	v_fma_f64 v[218:219], -v[204:205], v[206:207], 1.0
	v_fmac_f64_e32 v[206:207], v[206:207], v[218:219]
	v_fma_f64 v[218:219], -v[204:205], v[206:207], 1.0
	v_fmac_f64_e32 v[206:207], v[206:207], v[218:219]
	v_mul_f64 v[218:219], v[216:217], v[206:207]
	v_fma_f64 v[204:205], -v[204:205], v[218:219], v[216:217]
	v_div_fmas_f64 v[204:205], v[204:205], v[206:207], v[218:219]
	v_div_fixup_f64 v[204:205], v[204:205], v[210:211], v[208:209]
	v_fmac_f64_e32 v[210:211], v[208:209], v[204:205]
	v_div_scale_f64 v[206:207], s[10:11], v[210:211], v[210:211], 1.0
	v_rcp_f64_e32 v[208:209], v[206:207]
	s_nop 0
	v_fma_f64 v[216:217], -v[206:207], v[208:209], 1.0
	v_fmac_f64_e32 v[208:209], v[208:209], v[216:217]
	v_fma_f64 v[216:217], -v[206:207], v[208:209], 1.0
	v_fmac_f64_e32 v[208:209], v[208:209], v[216:217]
	v_div_scale_f64 v[216:217], vcc, 1.0, v[210:211], 1.0
	v_mul_f64 v[218:219], v[216:217], v[208:209]
	v_fma_f64 v[206:207], -v[206:207], v[218:219], v[216:217]
	s_nop 1
	v_div_fmas_f64 v[206:207], v[206:207], v[208:209], v[218:219]
	v_div_fixup_f64 v[206:207], v[206:207], v[210:211], 1.0
	v_mul_f64 v[204:205], v[204:205], v[206:207]
	v_xor_b32_e32 v207, 0x80000000, v207
                                        ; implicit-def: $vgpr208_vgpr209
.LBB107_86:
	s_andn2_saveexec_b64 s[2:3], s[2:3]
	s_cbranch_execz .LBB107_88
; %bb.87:
	v_div_scale_f64 v[204:205], s[10:11], v[208:209], v[208:209], v[210:211]
	v_rcp_f64_e32 v[206:207], v[204:205]
	v_div_scale_f64 v[216:217], vcc, v[210:211], v[208:209], v[210:211]
	v_fma_f64 v[218:219], -v[204:205], v[206:207], 1.0
	v_fmac_f64_e32 v[206:207], v[206:207], v[218:219]
	v_fma_f64 v[218:219], -v[204:205], v[206:207], 1.0
	v_fmac_f64_e32 v[206:207], v[206:207], v[218:219]
	v_mul_f64 v[218:219], v[216:217], v[206:207]
	v_fma_f64 v[204:205], -v[204:205], v[218:219], v[216:217]
	v_div_fmas_f64 v[204:205], v[204:205], v[206:207], v[218:219]
	v_div_fixup_f64 v[206:207], v[204:205], v[208:209], v[210:211]
	v_fmac_f64_e32 v[208:209], v[210:211], v[206:207]
	v_div_scale_f64 v[204:205], s[10:11], v[208:209], v[208:209], 1.0
	v_rcp_f64_e32 v[210:211], v[204:205]
	s_nop 0
	v_fma_f64 v[216:217], -v[204:205], v[210:211], 1.0
	v_fmac_f64_e32 v[210:211], v[210:211], v[216:217]
	v_fma_f64 v[216:217], -v[204:205], v[210:211], 1.0
	v_fmac_f64_e32 v[210:211], v[210:211], v[216:217]
	v_div_scale_f64 v[216:217], vcc, 1.0, v[208:209], 1.0
	v_mul_f64 v[218:219], v[216:217], v[210:211]
	v_fma_f64 v[204:205], -v[204:205], v[218:219], v[216:217]
	s_nop 1
	v_div_fmas_f64 v[204:205], v[204:205], v[210:211], v[218:219]
	v_div_fixup_f64 v[204:205], v[204:205], v[208:209], 1.0
	v_mul_f64 v[206:207], v[206:207], -v[204:205]
.LBB107_88:
	s_or_b64 exec, exec, s[2:3]
	ds_write2_b64 v201, v[204:205], v[206:207] offset1:1
.LBB107_89:
	s_or_b64 exec, exec, s[4:5]
	s_waitcnt lgkmcnt(0)
	s_barrier
	ds_read2_b64 v[192:195], v201 offset1:1
	v_cmp_lt_u32_e32 vcc, 9, v200
	s_waitcnt lgkmcnt(0)
	scratch_store_dwordx4 off, v[192:195], off offset:640 ; 16-byte Folded Spill
	s_and_saveexec_b64 s[2:3], vcc
	s_cbranch_execz .LBB107_91
; %bb.90:
	scratch_load_dwordx4 v[192:195], off, off offset:640 ; 16-byte Folded Reload
	s_waitcnt vmcnt(0)
	v_mul_f64 v[204:205], v[194:195], v[174:175]
	v_fma_f64 v[208:209], v[192:193], v[172:173], -v[204:205]
	ds_read2_b64 v[204:207], v202 offset0:20 offset1:21
	v_mul_f64 v[174:175], v[192:193], v[174:175]
	v_fmac_f64_e32 v[174:175], v[194:195], v[172:173]
	s_waitcnt lgkmcnt(0)
	v_mul_f64 v[172:173], v[206:207], v[174:175]
	v_fma_f64 v[172:173], v[204:205], v[208:209], -v[172:173]
	v_mul_f64 v[204:205], v[204:205], v[174:175]
	v_fmac_f64_e32 v[204:205], v[206:207], v[208:209]
	v_add_f64 v[170:171], v[170:171], -v[204:205]
	ds_read2_b64 v[204:207], v202 offset0:22 offset1:23
	v_add_f64 v[168:169], v[168:169], -v[172:173]
	s_waitcnt lgkmcnt(0)
	v_mul_f64 v[172:173], v[206:207], v[174:175]
	v_fma_f64 v[172:173], v[204:205], v[208:209], -v[172:173]
	v_mul_f64 v[204:205], v[204:205], v[174:175]
	v_fmac_f64_e32 v[204:205], v[206:207], v[208:209]
	v_add_f64 v[166:167], v[166:167], -v[204:205]
	ds_read2_b64 v[204:207], v202 offset0:24 offset1:25
	v_add_f64 v[164:165], v[164:165], -v[172:173]
	;; [unrolled: 8-line block ×43, first 2 shown]
	s_waitcnt lgkmcnt(0)
	v_mul_f64 v[172:173], v[206:207], v[174:175]
	v_fma_f64 v[172:173], v[204:205], v[208:209], -v[172:173]
	v_mul_f64 v[204:205], v[204:205], v[174:175]
	v_fmac_f64_e32 v[204:205], v[206:207], v[208:209]
	v_add_f64 v[212:213], v[212:213], -v[172:173]
	v_add_f64 v[214:215], v[214:215], -v[204:205]
	v_mov_b64_e32 v[172:173], v[208:209]
.LBB107_91:
	s_or_b64 exec, exec, s[2:3]
	v_cmp_eq_u32_e32 vcc, 10, v200
	s_waitcnt vmcnt(63) expcnt(7) lgkmcnt(15)
	s_barrier
	s_and_saveexec_b64 s[4:5], vcc
	s_cbranch_execz .LBB107_98
; %bb.92:
	ds_write2_b64 v201, v[168:169], v[170:171] offset1:1
	ds_write2_b64 v202, v[164:165], v[166:167] offset0:22 offset1:23
	ds_write2_b64 v202, v[160:161], v[162:163] offset0:24 offset1:25
	;; [unrolled: 1-line block ×26, first 2 shown]
	s_waitcnt vmcnt(40)
	ds_write2_b64 v202, v[60:61], v[62:63] offset0:74 offset1:75
	s_waitcnt vmcnt(39)
	ds_write2_b64 v202, v[56:57], v[58:59] offset0:76 offset1:77
	;; [unrolled: 2-line block ×12, first 2 shown]
	ds_write2_b64 v202, v[12:13], v[14:15] offset0:98 offset1:99
	ds_write2_b64 v202, v[8:9], v[10:11] offset0:100 offset1:101
	;; [unrolled: 1-line block ×3, first 2 shown]
	s_waitcnt vmcnt(28)
	ds_write2_b64 v202, v[0:1], v[2:3] offset0:104 offset1:105
	s_waitcnt vmcnt(25)
	ds_write2_b64 v202, v[212:213], v[214:215] offset0:106 offset1:107
	ds_read2_b64 v[208:211], v201 offset1:1
	s_waitcnt lgkmcnt(0)
	v_cmp_neq_f64_e32 vcc, 0, v[208:209]
	v_cmp_neq_f64_e64 s[2:3], 0, v[210:211]
	s_or_b64 s[2:3], vcc, s[2:3]
	s_and_b64 exec, exec, s[2:3]
	s_cbranch_execz .LBB107_98
; %bb.93:
	v_cmp_ngt_f64_e64 s[2:3], |v[208:209]|, |v[210:211]|
                                        ; implicit-def: $vgpr204_vgpr205
	s_and_saveexec_b64 s[10:11], s[2:3]
	s_xor_b64 s[2:3], exec, s[10:11]
                                        ; implicit-def: $vgpr206_vgpr207
	s_cbranch_execz .LBB107_95
; %bb.94:
	v_div_scale_f64 v[204:205], s[10:11], v[210:211], v[210:211], v[208:209]
	v_rcp_f64_e32 v[206:207], v[204:205]
	v_div_scale_f64 v[216:217], vcc, v[208:209], v[210:211], v[208:209]
	v_fma_f64 v[218:219], -v[204:205], v[206:207], 1.0
	v_fmac_f64_e32 v[206:207], v[206:207], v[218:219]
	v_fma_f64 v[218:219], -v[204:205], v[206:207], 1.0
	v_fmac_f64_e32 v[206:207], v[206:207], v[218:219]
	v_mul_f64 v[218:219], v[216:217], v[206:207]
	v_fma_f64 v[204:205], -v[204:205], v[218:219], v[216:217]
	v_div_fmas_f64 v[204:205], v[204:205], v[206:207], v[218:219]
	v_div_fixup_f64 v[204:205], v[204:205], v[210:211], v[208:209]
	v_fmac_f64_e32 v[210:211], v[208:209], v[204:205]
	v_div_scale_f64 v[206:207], s[10:11], v[210:211], v[210:211], 1.0
	v_rcp_f64_e32 v[208:209], v[206:207]
	s_nop 0
	v_fma_f64 v[216:217], -v[206:207], v[208:209], 1.0
	v_fmac_f64_e32 v[208:209], v[208:209], v[216:217]
	v_fma_f64 v[216:217], -v[206:207], v[208:209], 1.0
	v_fmac_f64_e32 v[208:209], v[208:209], v[216:217]
	v_div_scale_f64 v[216:217], vcc, 1.0, v[210:211], 1.0
	v_mul_f64 v[218:219], v[216:217], v[208:209]
	v_fma_f64 v[206:207], -v[206:207], v[218:219], v[216:217]
	s_nop 1
	v_div_fmas_f64 v[206:207], v[206:207], v[208:209], v[218:219]
	v_div_fixup_f64 v[206:207], v[206:207], v[210:211], 1.0
	v_mul_f64 v[204:205], v[204:205], v[206:207]
	v_xor_b32_e32 v207, 0x80000000, v207
                                        ; implicit-def: $vgpr208_vgpr209
.LBB107_95:
	s_andn2_saveexec_b64 s[2:3], s[2:3]
	s_cbranch_execz .LBB107_97
; %bb.96:
	v_div_scale_f64 v[204:205], s[10:11], v[208:209], v[208:209], v[210:211]
	v_rcp_f64_e32 v[206:207], v[204:205]
	v_div_scale_f64 v[216:217], vcc, v[210:211], v[208:209], v[210:211]
	v_fma_f64 v[218:219], -v[204:205], v[206:207], 1.0
	v_fmac_f64_e32 v[206:207], v[206:207], v[218:219]
	v_fma_f64 v[218:219], -v[204:205], v[206:207], 1.0
	v_fmac_f64_e32 v[206:207], v[206:207], v[218:219]
	v_mul_f64 v[218:219], v[216:217], v[206:207]
	v_fma_f64 v[204:205], -v[204:205], v[218:219], v[216:217]
	v_div_fmas_f64 v[204:205], v[204:205], v[206:207], v[218:219]
	v_div_fixup_f64 v[206:207], v[204:205], v[208:209], v[210:211]
	v_fmac_f64_e32 v[208:209], v[210:211], v[206:207]
	v_div_scale_f64 v[204:205], s[10:11], v[208:209], v[208:209], 1.0
	v_rcp_f64_e32 v[210:211], v[204:205]
	s_nop 0
	v_fma_f64 v[216:217], -v[204:205], v[210:211], 1.0
	v_fmac_f64_e32 v[210:211], v[210:211], v[216:217]
	v_fma_f64 v[216:217], -v[204:205], v[210:211], 1.0
	v_fmac_f64_e32 v[210:211], v[210:211], v[216:217]
	v_div_scale_f64 v[216:217], vcc, 1.0, v[208:209], 1.0
	v_mul_f64 v[218:219], v[216:217], v[210:211]
	v_fma_f64 v[204:205], -v[204:205], v[218:219], v[216:217]
	s_nop 1
	v_div_fmas_f64 v[204:205], v[204:205], v[210:211], v[218:219]
	v_div_fixup_f64 v[204:205], v[204:205], v[208:209], 1.0
	v_mul_f64 v[206:207], v[206:207], -v[204:205]
.LBB107_97:
	s_or_b64 exec, exec, s[2:3]
	ds_write2_b64 v201, v[204:205], v[206:207] offset1:1
.LBB107_98:
	s_or_b64 exec, exec, s[4:5]
	s_waitcnt lgkmcnt(0)
	s_barrier
	ds_read2_b64 v[192:195], v201 offset1:1
	v_cmp_lt_u32_e32 vcc, 10, v200
	s_waitcnt lgkmcnt(0)
	scratch_store_dwordx4 off, v[192:195], off offset:656 ; 16-byte Folded Spill
	s_and_saveexec_b64 s[2:3], vcc
	s_cbranch_execz .LBB107_100
; %bb.99:
	scratch_load_dwordx4 v[192:195], off, off offset:656 ; 16-byte Folded Reload
	s_waitcnt vmcnt(0)
	v_mul_f64 v[204:205], v[194:195], v[170:171]
	v_fma_f64 v[208:209], v[192:193], v[168:169], -v[204:205]
	ds_read2_b64 v[204:207], v202 offset0:22 offset1:23
	v_mul_f64 v[170:171], v[192:193], v[170:171]
	v_fmac_f64_e32 v[170:171], v[194:195], v[168:169]
	s_waitcnt lgkmcnt(0)
	v_mul_f64 v[168:169], v[206:207], v[170:171]
	v_fma_f64 v[168:169], v[204:205], v[208:209], -v[168:169]
	v_mul_f64 v[204:205], v[204:205], v[170:171]
	v_fmac_f64_e32 v[204:205], v[206:207], v[208:209]
	v_add_f64 v[166:167], v[166:167], -v[204:205]
	ds_read2_b64 v[204:207], v202 offset0:24 offset1:25
	v_add_f64 v[164:165], v[164:165], -v[168:169]
	s_waitcnt lgkmcnt(0)
	v_mul_f64 v[168:169], v[206:207], v[170:171]
	v_fma_f64 v[168:169], v[204:205], v[208:209], -v[168:169]
	v_mul_f64 v[204:205], v[204:205], v[170:171]
	v_fmac_f64_e32 v[204:205], v[206:207], v[208:209]
	v_add_f64 v[162:163], v[162:163], -v[204:205]
	ds_read2_b64 v[204:207], v202 offset0:26 offset1:27
	v_add_f64 v[160:161], v[160:161], -v[168:169]
	;; [unrolled: 8-line block ×42, first 2 shown]
	s_waitcnt lgkmcnt(0)
	v_mul_f64 v[168:169], v[206:207], v[170:171]
	v_fma_f64 v[168:169], v[204:205], v[208:209], -v[168:169]
	v_mul_f64 v[204:205], v[204:205], v[170:171]
	v_fmac_f64_e32 v[204:205], v[206:207], v[208:209]
	v_add_f64 v[212:213], v[212:213], -v[168:169]
	v_add_f64 v[214:215], v[214:215], -v[204:205]
	v_mov_b64_e32 v[168:169], v[208:209]
.LBB107_100:
	s_or_b64 exec, exec, s[2:3]
	v_cmp_eq_u32_e32 vcc, 11, v200
	s_waitcnt vmcnt(63) expcnt(7) lgkmcnt(15)
	s_barrier
	s_and_saveexec_b64 s[4:5], vcc
	s_cbranch_execz .LBB107_107
; %bb.101:
	ds_write2_b64 v201, v[164:165], v[166:167] offset1:1
	ds_write2_b64 v202, v[160:161], v[162:163] offset0:24 offset1:25
	ds_write2_b64 v202, v[156:157], v[158:159] offset0:26 offset1:27
	;; [unrolled: 1-line block ×25, first 2 shown]
	s_waitcnt vmcnt(41)
	ds_write2_b64 v202, v[60:61], v[62:63] offset0:74 offset1:75
	s_waitcnt vmcnt(40)
	ds_write2_b64 v202, v[56:57], v[58:59] offset0:76 offset1:77
	;; [unrolled: 2-line block ×12, first 2 shown]
	ds_write2_b64 v202, v[12:13], v[14:15] offset0:98 offset1:99
	ds_write2_b64 v202, v[8:9], v[10:11] offset0:100 offset1:101
	;; [unrolled: 1-line block ×3, first 2 shown]
	s_waitcnt vmcnt(29)
	ds_write2_b64 v202, v[0:1], v[2:3] offset0:104 offset1:105
	s_waitcnt vmcnt(26)
	ds_write2_b64 v202, v[212:213], v[214:215] offset0:106 offset1:107
	ds_read2_b64 v[208:211], v201 offset1:1
	s_waitcnt lgkmcnt(0)
	v_cmp_neq_f64_e32 vcc, 0, v[208:209]
	v_cmp_neq_f64_e64 s[2:3], 0, v[210:211]
	s_or_b64 s[2:3], vcc, s[2:3]
	s_and_b64 exec, exec, s[2:3]
	s_cbranch_execz .LBB107_107
; %bb.102:
	v_cmp_ngt_f64_e64 s[2:3], |v[208:209]|, |v[210:211]|
                                        ; implicit-def: $vgpr204_vgpr205
	s_and_saveexec_b64 s[10:11], s[2:3]
	s_xor_b64 s[2:3], exec, s[10:11]
                                        ; implicit-def: $vgpr206_vgpr207
	s_cbranch_execz .LBB107_104
; %bb.103:
	v_div_scale_f64 v[204:205], s[10:11], v[210:211], v[210:211], v[208:209]
	v_rcp_f64_e32 v[206:207], v[204:205]
	v_div_scale_f64 v[216:217], vcc, v[208:209], v[210:211], v[208:209]
	v_fma_f64 v[218:219], -v[204:205], v[206:207], 1.0
	v_fmac_f64_e32 v[206:207], v[206:207], v[218:219]
	v_fma_f64 v[218:219], -v[204:205], v[206:207], 1.0
	v_fmac_f64_e32 v[206:207], v[206:207], v[218:219]
	v_mul_f64 v[218:219], v[216:217], v[206:207]
	v_fma_f64 v[204:205], -v[204:205], v[218:219], v[216:217]
	v_div_fmas_f64 v[204:205], v[204:205], v[206:207], v[218:219]
	v_div_fixup_f64 v[204:205], v[204:205], v[210:211], v[208:209]
	v_fmac_f64_e32 v[210:211], v[208:209], v[204:205]
	v_div_scale_f64 v[206:207], s[10:11], v[210:211], v[210:211], 1.0
	v_rcp_f64_e32 v[208:209], v[206:207]
	s_nop 0
	v_fma_f64 v[216:217], -v[206:207], v[208:209], 1.0
	v_fmac_f64_e32 v[208:209], v[208:209], v[216:217]
	v_fma_f64 v[216:217], -v[206:207], v[208:209], 1.0
	v_fmac_f64_e32 v[208:209], v[208:209], v[216:217]
	v_div_scale_f64 v[216:217], vcc, 1.0, v[210:211], 1.0
	v_mul_f64 v[218:219], v[216:217], v[208:209]
	v_fma_f64 v[206:207], -v[206:207], v[218:219], v[216:217]
	s_nop 1
	v_div_fmas_f64 v[206:207], v[206:207], v[208:209], v[218:219]
	v_div_fixup_f64 v[206:207], v[206:207], v[210:211], 1.0
	v_mul_f64 v[204:205], v[204:205], v[206:207]
	v_xor_b32_e32 v207, 0x80000000, v207
                                        ; implicit-def: $vgpr208_vgpr209
.LBB107_104:
	s_andn2_saveexec_b64 s[2:3], s[2:3]
	s_cbranch_execz .LBB107_106
; %bb.105:
	v_div_scale_f64 v[204:205], s[10:11], v[208:209], v[208:209], v[210:211]
	v_rcp_f64_e32 v[206:207], v[204:205]
	v_div_scale_f64 v[216:217], vcc, v[210:211], v[208:209], v[210:211]
	v_fma_f64 v[218:219], -v[204:205], v[206:207], 1.0
	v_fmac_f64_e32 v[206:207], v[206:207], v[218:219]
	v_fma_f64 v[218:219], -v[204:205], v[206:207], 1.0
	v_fmac_f64_e32 v[206:207], v[206:207], v[218:219]
	v_mul_f64 v[218:219], v[216:217], v[206:207]
	v_fma_f64 v[204:205], -v[204:205], v[218:219], v[216:217]
	v_div_fmas_f64 v[204:205], v[204:205], v[206:207], v[218:219]
	v_div_fixup_f64 v[206:207], v[204:205], v[208:209], v[210:211]
	v_fmac_f64_e32 v[208:209], v[210:211], v[206:207]
	v_div_scale_f64 v[204:205], s[10:11], v[208:209], v[208:209], 1.0
	v_rcp_f64_e32 v[210:211], v[204:205]
	s_nop 0
	v_fma_f64 v[216:217], -v[204:205], v[210:211], 1.0
	v_fmac_f64_e32 v[210:211], v[210:211], v[216:217]
	v_fma_f64 v[216:217], -v[204:205], v[210:211], 1.0
	v_fmac_f64_e32 v[210:211], v[210:211], v[216:217]
	v_div_scale_f64 v[216:217], vcc, 1.0, v[208:209], 1.0
	v_mul_f64 v[218:219], v[216:217], v[210:211]
	v_fma_f64 v[204:205], -v[204:205], v[218:219], v[216:217]
	s_nop 1
	v_div_fmas_f64 v[204:205], v[204:205], v[210:211], v[218:219]
	v_div_fixup_f64 v[204:205], v[204:205], v[208:209], 1.0
	v_mul_f64 v[206:207], v[206:207], -v[204:205]
.LBB107_106:
	s_or_b64 exec, exec, s[2:3]
	ds_write2_b64 v201, v[204:205], v[206:207] offset1:1
.LBB107_107:
	s_or_b64 exec, exec, s[4:5]
	s_waitcnt lgkmcnt(0)
	s_barrier
	ds_read2_b64 v[192:195], v201 offset1:1
	v_cmp_lt_u32_e32 vcc, 11, v200
	s_waitcnt lgkmcnt(0)
	scratch_store_dwordx4 off, v[192:195], off offset:672 ; 16-byte Folded Spill
	s_and_saveexec_b64 s[2:3], vcc
	s_cbranch_execz .LBB107_109
; %bb.108:
	scratch_load_dwordx4 v[192:195], off, off offset:672 ; 16-byte Folded Reload
	s_waitcnt vmcnt(0)
	v_mul_f64 v[204:205], v[194:195], v[166:167]
	v_fma_f64 v[208:209], v[192:193], v[164:165], -v[204:205]
	ds_read2_b64 v[204:207], v202 offset0:24 offset1:25
	v_mul_f64 v[166:167], v[192:193], v[166:167]
	v_fmac_f64_e32 v[166:167], v[194:195], v[164:165]
	s_waitcnt lgkmcnt(0)
	v_mul_f64 v[164:165], v[206:207], v[166:167]
	v_fma_f64 v[164:165], v[204:205], v[208:209], -v[164:165]
	v_mul_f64 v[204:205], v[204:205], v[166:167]
	v_fmac_f64_e32 v[204:205], v[206:207], v[208:209]
	v_add_f64 v[162:163], v[162:163], -v[204:205]
	ds_read2_b64 v[204:207], v202 offset0:26 offset1:27
	v_add_f64 v[160:161], v[160:161], -v[164:165]
	s_waitcnt lgkmcnt(0)
	v_mul_f64 v[164:165], v[206:207], v[166:167]
	v_fma_f64 v[164:165], v[204:205], v[208:209], -v[164:165]
	v_mul_f64 v[204:205], v[204:205], v[166:167]
	v_fmac_f64_e32 v[204:205], v[206:207], v[208:209]
	v_add_f64 v[158:159], v[158:159], -v[204:205]
	ds_read2_b64 v[204:207], v202 offset0:28 offset1:29
	v_add_f64 v[156:157], v[156:157], -v[164:165]
	s_waitcnt lgkmcnt(0)
	v_mul_f64 v[164:165], v[206:207], v[166:167]
	v_fma_f64 v[164:165], v[204:205], v[208:209], -v[164:165]
	v_mul_f64 v[204:205], v[204:205], v[166:167]
	v_fmac_f64_e32 v[204:205], v[206:207], v[208:209]
	v_add_f64 v[154:155], v[154:155], -v[204:205]
	ds_read2_b64 v[204:207], v202 offset0:30 offset1:31
	v_add_f64 v[152:153], v[152:153], -v[164:165]
	s_waitcnt lgkmcnt(0)
	v_mul_f64 v[164:165], v[206:207], v[166:167]
	v_fma_f64 v[164:165], v[204:205], v[208:209], -v[164:165]
	v_mul_f64 v[204:205], v[204:205], v[166:167]
	v_fmac_f64_e32 v[204:205], v[206:207], v[208:209]
	v_add_f64 v[150:151], v[150:151], -v[204:205]
	ds_read2_b64 v[204:207], v202 offset0:32 offset1:33
	v_add_f64 v[148:149], v[148:149], -v[164:165]
	s_waitcnt lgkmcnt(0)
	v_mul_f64 v[164:165], v[206:207], v[166:167]
	v_fma_f64 v[164:165], v[204:205], v[208:209], -v[164:165]
	v_mul_f64 v[204:205], v[204:205], v[166:167]
	v_fmac_f64_e32 v[204:205], v[206:207], v[208:209]
	v_add_f64 v[146:147], v[146:147], -v[204:205]
	ds_read2_b64 v[204:207], v202 offset0:34 offset1:35
	v_add_f64 v[144:145], v[144:145], -v[164:165]
	s_waitcnt lgkmcnt(0)
	v_mul_f64 v[164:165], v[206:207], v[166:167]
	v_fma_f64 v[164:165], v[204:205], v[208:209], -v[164:165]
	v_mul_f64 v[204:205], v[204:205], v[166:167]
	v_fmac_f64_e32 v[204:205], v[206:207], v[208:209]
	v_add_f64 v[142:143], v[142:143], -v[204:205]
	ds_read2_b64 v[204:207], v202 offset0:36 offset1:37
	v_add_f64 v[140:141], v[140:141], -v[164:165]
	s_waitcnt lgkmcnt(0)
	v_mul_f64 v[164:165], v[206:207], v[166:167]
	v_fma_f64 v[164:165], v[204:205], v[208:209], -v[164:165]
	v_mul_f64 v[204:205], v[204:205], v[166:167]
	v_fmac_f64_e32 v[204:205], v[206:207], v[208:209]
	v_add_f64 v[138:139], v[138:139], -v[204:205]
	ds_read2_b64 v[204:207], v202 offset0:38 offset1:39
	v_add_f64 v[136:137], v[136:137], -v[164:165]
	s_waitcnt lgkmcnt(0)
	v_mul_f64 v[164:165], v[206:207], v[166:167]
	v_fma_f64 v[164:165], v[204:205], v[208:209], -v[164:165]
	v_mul_f64 v[204:205], v[204:205], v[166:167]
	v_fmac_f64_e32 v[204:205], v[206:207], v[208:209]
	v_add_f64 v[134:135], v[134:135], -v[204:205]
	ds_read2_b64 v[204:207], v202 offset0:40 offset1:41
	v_add_f64 v[132:133], v[132:133], -v[164:165]
	s_waitcnt lgkmcnt(0)
	v_mul_f64 v[164:165], v[206:207], v[166:167]
	v_fma_f64 v[164:165], v[204:205], v[208:209], -v[164:165]
	v_mul_f64 v[204:205], v[204:205], v[166:167]
	v_fmac_f64_e32 v[204:205], v[206:207], v[208:209]
	v_add_f64 v[130:131], v[130:131], -v[204:205]
	ds_read2_b64 v[204:207], v202 offset0:42 offset1:43
	v_add_f64 v[128:129], v[128:129], -v[164:165]
	s_waitcnt lgkmcnt(0)
	v_mul_f64 v[164:165], v[206:207], v[166:167]
	v_fma_f64 v[164:165], v[204:205], v[208:209], -v[164:165]
	v_mul_f64 v[204:205], v[204:205], v[166:167]
	v_fmac_f64_e32 v[204:205], v[206:207], v[208:209]
	v_add_f64 v[126:127], v[126:127], -v[204:205]
	ds_read2_b64 v[204:207], v202 offset0:44 offset1:45
	v_add_f64 v[124:125], v[124:125], -v[164:165]
	s_waitcnt lgkmcnt(0)
	v_mul_f64 v[164:165], v[206:207], v[166:167]
	v_fma_f64 v[164:165], v[204:205], v[208:209], -v[164:165]
	v_mul_f64 v[204:205], v[204:205], v[166:167]
	v_fmac_f64_e32 v[204:205], v[206:207], v[208:209]
	v_add_f64 v[122:123], v[122:123], -v[204:205]
	ds_read2_b64 v[204:207], v202 offset0:46 offset1:47
	v_add_f64 v[120:121], v[120:121], -v[164:165]
	s_waitcnt lgkmcnt(0)
	v_mul_f64 v[164:165], v[206:207], v[166:167]
	v_fma_f64 v[164:165], v[204:205], v[208:209], -v[164:165]
	v_mul_f64 v[204:205], v[204:205], v[166:167]
	v_fmac_f64_e32 v[204:205], v[206:207], v[208:209]
	v_add_f64 v[118:119], v[118:119], -v[204:205]
	ds_read2_b64 v[204:207], v202 offset0:48 offset1:49
	v_add_f64 v[116:117], v[116:117], -v[164:165]
	s_waitcnt lgkmcnt(0)
	v_mul_f64 v[164:165], v[206:207], v[166:167]
	v_fma_f64 v[164:165], v[204:205], v[208:209], -v[164:165]
	v_mul_f64 v[204:205], v[204:205], v[166:167]
	v_fmac_f64_e32 v[204:205], v[206:207], v[208:209]
	v_add_f64 v[114:115], v[114:115], -v[204:205]
	ds_read2_b64 v[204:207], v202 offset0:50 offset1:51
	v_add_f64 v[112:113], v[112:113], -v[164:165]
	s_waitcnt lgkmcnt(0)
	v_mul_f64 v[164:165], v[206:207], v[166:167]
	v_fma_f64 v[164:165], v[204:205], v[208:209], -v[164:165]
	v_mul_f64 v[204:205], v[204:205], v[166:167]
	v_fmac_f64_e32 v[204:205], v[206:207], v[208:209]
	v_add_f64 v[110:111], v[110:111], -v[204:205]
	ds_read2_b64 v[204:207], v202 offset0:52 offset1:53
	v_add_f64 v[108:109], v[108:109], -v[164:165]
	s_waitcnt lgkmcnt(0)
	v_mul_f64 v[164:165], v[206:207], v[166:167]
	v_fma_f64 v[164:165], v[204:205], v[208:209], -v[164:165]
	v_mul_f64 v[204:205], v[204:205], v[166:167]
	v_fmac_f64_e32 v[204:205], v[206:207], v[208:209]
	v_add_f64 v[106:107], v[106:107], -v[204:205]
	ds_read2_b64 v[204:207], v202 offset0:54 offset1:55
	v_add_f64 v[104:105], v[104:105], -v[164:165]
	s_waitcnt lgkmcnt(0)
	v_mul_f64 v[164:165], v[206:207], v[166:167]
	v_fma_f64 v[164:165], v[204:205], v[208:209], -v[164:165]
	v_mul_f64 v[204:205], v[204:205], v[166:167]
	v_fmac_f64_e32 v[204:205], v[206:207], v[208:209]
	v_add_f64 v[102:103], v[102:103], -v[204:205]
	ds_read2_b64 v[204:207], v202 offset0:56 offset1:57
	v_add_f64 v[100:101], v[100:101], -v[164:165]
	s_waitcnt lgkmcnt(0)
	v_mul_f64 v[164:165], v[206:207], v[166:167]
	v_fma_f64 v[164:165], v[204:205], v[208:209], -v[164:165]
	v_mul_f64 v[204:205], v[204:205], v[166:167]
	v_fmac_f64_e32 v[204:205], v[206:207], v[208:209]
	v_add_f64 v[98:99], v[98:99], -v[204:205]
	ds_read2_b64 v[204:207], v202 offset0:58 offset1:59
	v_add_f64 v[96:97], v[96:97], -v[164:165]
	s_waitcnt lgkmcnt(0)
	v_mul_f64 v[164:165], v[206:207], v[166:167]
	v_fma_f64 v[164:165], v[204:205], v[208:209], -v[164:165]
	v_mul_f64 v[204:205], v[204:205], v[166:167]
	v_fmac_f64_e32 v[204:205], v[206:207], v[208:209]
	v_add_f64 v[94:95], v[94:95], -v[204:205]
	ds_read2_b64 v[204:207], v202 offset0:60 offset1:61
	v_add_f64 v[92:93], v[92:93], -v[164:165]
	s_waitcnt lgkmcnt(0)
	v_mul_f64 v[164:165], v[206:207], v[166:167]
	v_fma_f64 v[164:165], v[204:205], v[208:209], -v[164:165]
	v_mul_f64 v[204:205], v[204:205], v[166:167]
	v_fmac_f64_e32 v[204:205], v[206:207], v[208:209]
	v_add_f64 v[90:91], v[90:91], -v[204:205]
	ds_read2_b64 v[204:207], v202 offset0:62 offset1:63
	v_add_f64 v[88:89], v[88:89], -v[164:165]
	s_waitcnt lgkmcnt(0)
	v_mul_f64 v[164:165], v[206:207], v[166:167]
	v_fma_f64 v[164:165], v[204:205], v[208:209], -v[164:165]
	v_mul_f64 v[204:205], v[204:205], v[166:167]
	v_fmac_f64_e32 v[204:205], v[206:207], v[208:209]
	v_add_f64 v[86:87], v[86:87], -v[204:205]
	ds_read2_b64 v[204:207], v202 offset0:64 offset1:65
	v_add_f64 v[84:85], v[84:85], -v[164:165]
	s_waitcnt lgkmcnt(0)
	v_mul_f64 v[164:165], v[206:207], v[166:167]
	v_fma_f64 v[164:165], v[204:205], v[208:209], -v[164:165]
	v_mul_f64 v[204:205], v[204:205], v[166:167]
	v_fmac_f64_e32 v[204:205], v[206:207], v[208:209]
	v_add_f64 v[82:83], v[82:83], -v[204:205]
	ds_read2_b64 v[204:207], v202 offset0:66 offset1:67
	v_add_f64 v[80:81], v[80:81], -v[164:165]
	s_waitcnt lgkmcnt(0)
	v_mul_f64 v[164:165], v[206:207], v[166:167]
	v_fma_f64 v[164:165], v[204:205], v[208:209], -v[164:165]
	v_mul_f64 v[204:205], v[204:205], v[166:167]
	v_fmac_f64_e32 v[204:205], v[206:207], v[208:209]
	v_add_f64 v[78:79], v[78:79], -v[204:205]
	ds_read2_b64 v[204:207], v202 offset0:68 offset1:69
	v_add_f64 v[76:77], v[76:77], -v[164:165]
	s_waitcnt lgkmcnt(0)
	v_mul_f64 v[164:165], v[206:207], v[166:167]
	v_fma_f64 v[164:165], v[204:205], v[208:209], -v[164:165]
	v_mul_f64 v[204:205], v[204:205], v[166:167]
	v_fmac_f64_e32 v[204:205], v[206:207], v[208:209]
	v_add_f64 v[74:75], v[74:75], -v[204:205]
	ds_read2_b64 v[204:207], v202 offset0:70 offset1:71
	v_add_f64 v[72:73], v[72:73], -v[164:165]
	s_waitcnt lgkmcnt(0)
	v_mul_f64 v[164:165], v[206:207], v[166:167]
	v_fma_f64 v[164:165], v[204:205], v[208:209], -v[164:165]
	v_mul_f64 v[204:205], v[204:205], v[166:167]
	v_fmac_f64_e32 v[204:205], v[206:207], v[208:209]
	v_add_f64 v[70:71], v[70:71], -v[204:205]
	ds_read2_b64 v[204:207], v202 offset0:72 offset1:73
	v_add_f64 v[68:69], v[68:69], -v[164:165]
	s_waitcnt lgkmcnt(0)
	v_mul_f64 v[164:165], v[206:207], v[166:167]
	v_fma_f64 v[164:165], v[204:205], v[208:209], -v[164:165]
	v_mul_f64 v[204:205], v[204:205], v[166:167]
	v_fmac_f64_e32 v[204:205], v[206:207], v[208:209]
	v_add_f64 v[66:67], v[66:67], -v[204:205]
	ds_read2_b64 v[204:207], v202 offset0:74 offset1:75
	v_add_f64 v[64:65], v[64:65], -v[164:165]
	s_waitcnt lgkmcnt(0)
	v_mul_f64 v[164:165], v[206:207], v[166:167]
	v_fma_f64 v[164:165], v[204:205], v[208:209], -v[164:165]
	v_mul_f64 v[204:205], v[204:205], v[166:167]
	v_fmac_f64_e32 v[204:205], v[206:207], v[208:209]
	v_add_f64 v[62:63], v[62:63], -v[204:205]
	ds_read2_b64 v[204:207], v202 offset0:76 offset1:77
	v_add_f64 v[60:61], v[60:61], -v[164:165]
	s_waitcnt lgkmcnt(0)
	v_mul_f64 v[164:165], v[206:207], v[166:167]
	v_fma_f64 v[164:165], v[204:205], v[208:209], -v[164:165]
	v_mul_f64 v[204:205], v[204:205], v[166:167]
	v_fmac_f64_e32 v[204:205], v[206:207], v[208:209]
	v_add_f64 v[58:59], v[58:59], -v[204:205]
	ds_read2_b64 v[204:207], v202 offset0:78 offset1:79
	v_add_f64 v[56:57], v[56:57], -v[164:165]
	s_waitcnt lgkmcnt(0)
	v_mul_f64 v[164:165], v[206:207], v[166:167]
	v_fma_f64 v[164:165], v[204:205], v[208:209], -v[164:165]
	v_mul_f64 v[204:205], v[204:205], v[166:167]
	v_fmac_f64_e32 v[204:205], v[206:207], v[208:209]
	v_add_f64 v[54:55], v[54:55], -v[204:205]
	ds_read2_b64 v[204:207], v202 offset0:80 offset1:81
	v_add_f64 v[52:53], v[52:53], -v[164:165]
	s_waitcnt lgkmcnt(0)
	v_mul_f64 v[164:165], v[206:207], v[166:167]
	v_fma_f64 v[164:165], v[204:205], v[208:209], -v[164:165]
	v_mul_f64 v[204:205], v[204:205], v[166:167]
	v_fmac_f64_e32 v[204:205], v[206:207], v[208:209]
	v_add_f64 v[50:51], v[50:51], -v[204:205]
	ds_read2_b64 v[204:207], v202 offset0:82 offset1:83
	v_add_f64 v[48:49], v[48:49], -v[164:165]
	s_waitcnt lgkmcnt(0)
	v_mul_f64 v[164:165], v[206:207], v[166:167]
	v_fma_f64 v[164:165], v[204:205], v[208:209], -v[164:165]
	v_mul_f64 v[204:205], v[204:205], v[166:167]
	v_fmac_f64_e32 v[204:205], v[206:207], v[208:209]
	v_add_f64 v[46:47], v[46:47], -v[204:205]
	ds_read2_b64 v[204:207], v202 offset0:84 offset1:85
	v_add_f64 v[44:45], v[44:45], -v[164:165]
	s_waitcnt lgkmcnt(0)
	v_mul_f64 v[164:165], v[206:207], v[166:167]
	v_fma_f64 v[164:165], v[204:205], v[208:209], -v[164:165]
	v_mul_f64 v[204:205], v[204:205], v[166:167]
	v_fmac_f64_e32 v[204:205], v[206:207], v[208:209]
	v_add_f64 v[42:43], v[42:43], -v[204:205]
	ds_read2_b64 v[204:207], v202 offset0:86 offset1:87
	v_add_f64 v[40:41], v[40:41], -v[164:165]
	s_waitcnt lgkmcnt(0)
	v_mul_f64 v[164:165], v[206:207], v[166:167]
	v_fma_f64 v[164:165], v[204:205], v[208:209], -v[164:165]
	v_mul_f64 v[204:205], v[204:205], v[166:167]
	v_fmac_f64_e32 v[204:205], v[206:207], v[208:209]
	v_add_f64 v[38:39], v[38:39], -v[204:205]
	ds_read2_b64 v[204:207], v202 offset0:88 offset1:89
	v_add_f64 v[36:37], v[36:37], -v[164:165]
	s_waitcnt lgkmcnt(0)
	v_mul_f64 v[164:165], v[206:207], v[166:167]
	v_fma_f64 v[164:165], v[204:205], v[208:209], -v[164:165]
	v_mul_f64 v[204:205], v[204:205], v[166:167]
	v_fmac_f64_e32 v[204:205], v[206:207], v[208:209]
	v_add_f64 v[34:35], v[34:35], -v[204:205]
	ds_read2_b64 v[204:207], v202 offset0:90 offset1:91
	v_add_f64 v[32:33], v[32:33], -v[164:165]
	s_waitcnt lgkmcnt(0)
	v_mul_f64 v[164:165], v[206:207], v[166:167]
	v_fma_f64 v[164:165], v[204:205], v[208:209], -v[164:165]
	v_mul_f64 v[204:205], v[204:205], v[166:167]
	v_fmac_f64_e32 v[204:205], v[206:207], v[208:209]
	v_add_f64 v[30:31], v[30:31], -v[204:205]
	ds_read2_b64 v[204:207], v202 offset0:92 offset1:93
	v_add_f64 v[28:29], v[28:29], -v[164:165]
	s_waitcnt lgkmcnt(0)
	v_mul_f64 v[164:165], v[206:207], v[166:167]
	v_fma_f64 v[164:165], v[204:205], v[208:209], -v[164:165]
	v_mul_f64 v[204:205], v[204:205], v[166:167]
	v_fmac_f64_e32 v[204:205], v[206:207], v[208:209]
	v_add_f64 v[26:27], v[26:27], -v[204:205]
	ds_read2_b64 v[204:207], v202 offset0:94 offset1:95
	v_add_f64 v[24:25], v[24:25], -v[164:165]
	s_waitcnt lgkmcnt(0)
	v_mul_f64 v[164:165], v[206:207], v[166:167]
	v_fma_f64 v[164:165], v[204:205], v[208:209], -v[164:165]
	v_mul_f64 v[204:205], v[204:205], v[166:167]
	v_fmac_f64_e32 v[204:205], v[206:207], v[208:209]
	v_add_f64 v[22:23], v[22:23], -v[204:205]
	ds_read2_b64 v[204:207], v202 offset0:96 offset1:97
	v_add_f64 v[20:21], v[20:21], -v[164:165]
	s_waitcnt lgkmcnt(0)
	v_mul_f64 v[164:165], v[206:207], v[166:167]
	v_fma_f64 v[164:165], v[204:205], v[208:209], -v[164:165]
	v_mul_f64 v[204:205], v[204:205], v[166:167]
	v_fmac_f64_e32 v[204:205], v[206:207], v[208:209]
	v_add_f64 v[18:19], v[18:19], -v[204:205]
	ds_read2_b64 v[204:207], v202 offset0:98 offset1:99
	v_add_f64 v[16:17], v[16:17], -v[164:165]
	s_waitcnt lgkmcnt(0)
	v_mul_f64 v[164:165], v[206:207], v[166:167]
	v_fma_f64 v[164:165], v[204:205], v[208:209], -v[164:165]
	v_mul_f64 v[204:205], v[204:205], v[166:167]
	v_fmac_f64_e32 v[204:205], v[206:207], v[208:209]
	v_add_f64 v[14:15], v[14:15], -v[204:205]
	ds_read2_b64 v[204:207], v202 offset0:100 offset1:101
	v_add_f64 v[12:13], v[12:13], -v[164:165]
	s_waitcnt lgkmcnt(0)
	v_mul_f64 v[164:165], v[206:207], v[166:167]
	v_fma_f64 v[164:165], v[204:205], v[208:209], -v[164:165]
	v_mul_f64 v[204:205], v[204:205], v[166:167]
	v_fmac_f64_e32 v[204:205], v[206:207], v[208:209]
	v_add_f64 v[10:11], v[10:11], -v[204:205]
	ds_read2_b64 v[204:207], v202 offset0:102 offset1:103
	v_add_f64 v[8:9], v[8:9], -v[164:165]
	s_waitcnt lgkmcnt(0)
	v_mul_f64 v[164:165], v[206:207], v[166:167]
	v_fma_f64 v[164:165], v[204:205], v[208:209], -v[164:165]
	v_mul_f64 v[204:205], v[204:205], v[166:167]
	v_fmac_f64_e32 v[204:205], v[206:207], v[208:209]
	v_add_f64 v[6:7], v[6:7], -v[204:205]
	ds_read2_b64 v[204:207], v202 offset0:104 offset1:105
	v_add_f64 v[4:5], v[4:5], -v[164:165]
	s_waitcnt lgkmcnt(0)
	v_mul_f64 v[164:165], v[206:207], v[166:167]
	v_fma_f64 v[164:165], v[204:205], v[208:209], -v[164:165]
	v_mul_f64 v[204:205], v[204:205], v[166:167]
	v_fmac_f64_e32 v[204:205], v[206:207], v[208:209]
	v_add_f64 v[2:3], v[2:3], -v[204:205]
	ds_read2_b64 v[204:207], v202 offset0:106 offset1:107
	v_add_f64 v[0:1], v[0:1], -v[164:165]
	s_waitcnt lgkmcnt(0)
	v_mul_f64 v[164:165], v[206:207], v[166:167]
	v_fma_f64 v[164:165], v[204:205], v[208:209], -v[164:165]
	v_mul_f64 v[204:205], v[204:205], v[166:167]
	v_fmac_f64_e32 v[204:205], v[206:207], v[208:209]
	v_add_f64 v[212:213], v[212:213], -v[164:165]
	v_add_f64 v[214:215], v[214:215], -v[204:205]
	v_mov_b64_e32 v[164:165], v[208:209]
.LBB107_109:
	s_or_b64 exec, exec, s[2:3]
	v_cmp_eq_u32_e32 vcc, 12, v200
	s_waitcnt vmcnt(63) expcnt(7) lgkmcnt(15)
	s_barrier
	s_and_saveexec_b64 s[4:5], vcc
	s_cbranch_execz .LBB107_116
; %bb.110:
	ds_write2_b64 v201, v[160:161], v[162:163] offset1:1
	ds_write2_b64 v202, v[156:157], v[158:159] offset0:26 offset1:27
	ds_write2_b64 v202, v[152:153], v[154:155] offset0:28 offset1:29
	;; [unrolled: 1-line block ×24, first 2 shown]
	s_waitcnt vmcnt(42)
	ds_write2_b64 v202, v[60:61], v[62:63] offset0:74 offset1:75
	s_waitcnt vmcnt(41)
	ds_write2_b64 v202, v[56:57], v[58:59] offset0:76 offset1:77
	s_waitcnt vmcnt(40)
	ds_write2_b64 v202, v[52:53], v[54:55] offset0:78 offset1:79
	s_waitcnt vmcnt(39)
	ds_write2_b64 v202, v[48:49], v[50:51] offset0:80 offset1:81
	s_waitcnt vmcnt(38)
	ds_write2_b64 v202, v[44:45], v[46:47] offset0:82 offset1:83
	s_waitcnt vmcnt(37)
	ds_write2_b64 v202, v[40:41], v[42:43] offset0:84 offset1:85
	s_waitcnt vmcnt(36)
	ds_write2_b64 v202, v[36:37], v[38:39] offset0:86 offset1:87
	s_waitcnt vmcnt(35)
	ds_write2_b64 v202, v[32:33], v[34:35] offset0:88 offset1:89
	s_waitcnt vmcnt(34)
	ds_write2_b64 v202, v[28:29], v[30:31] offset0:90 offset1:91
	s_waitcnt vmcnt(33)
	ds_write2_b64 v202, v[24:25], v[26:27] offset0:92 offset1:93
	s_waitcnt vmcnt(32)
	ds_write2_b64 v202, v[20:21], v[22:23] offset0:94 offset1:95
	s_waitcnt vmcnt(31)
	ds_write2_b64 v202, v[16:17], v[18:19] offset0:96 offset1:97
	ds_write2_b64 v202, v[12:13], v[14:15] offset0:98 offset1:99
	ds_write2_b64 v202, v[8:9], v[10:11] offset0:100 offset1:101
	;; [unrolled: 1-line block ×3, first 2 shown]
	s_waitcnt vmcnt(30)
	ds_write2_b64 v202, v[0:1], v[2:3] offset0:104 offset1:105
	s_waitcnt vmcnt(27)
	ds_write2_b64 v202, v[212:213], v[214:215] offset0:106 offset1:107
	ds_read2_b64 v[208:211], v201 offset1:1
	s_waitcnt lgkmcnt(0)
	v_cmp_neq_f64_e32 vcc, 0, v[208:209]
	v_cmp_neq_f64_e64 s[2:3], 0, v[210:211]
	s_or_b64 s[2:3], vcc, s[2:3]
	s_and_b64 exec, exec, s[2:3]
	s_cbranch_execz .LBB107_116
; %bb.111:
	v_cmp_ngt_f64_e64 s[2:3], |v[208:209]|, |v[210:211]|
                                        ; implicit-def: $vgpr204_vgpr205
	s_and_saveexec_b64 s[10:11], s[2:3]
	s_xor_b64 s[2:3], exec, s[10:11]
                                        ; implicit-def: $vgpr206_vgpr207
	s_cbranch_execz .LBB107_113
; %bb.112:
	v_div_scale_f64 v[204:205], s[10:11], v[210:211], v[210:211], v[208:209]
	v_rcp_f64_e32 v[206:207], v[204:205]
	v_div_scale_f64 v[216:217], vcc, v[208:209], v[210:211], v[208:209]
	v_fma_f64 v[218:219], -v[204:205], v[206:207], 1.0
	v_fmac_f64_e32 v[206:207], v[206:207], v[218:219]
	v_fma_f64 v[218:219], -v[204:205], v[206:207], 1.0
	v_fmac_f64_e32 v[206:207], v[206:207], v[218:219]
	v_mul_f64 v[218:219], v[216:217], v[206:207]
	v_fma_f64 v[204:205], -v[204:205], v[218:219], v[216:217]
	v_div_fmas_f64 v[204:205], v[204:205], v[206:207], v[218:219]
	v_div_fixup_f64 v[204:205], v[204:205], v[210:211], v[208:209]
	v_fmac_f64_e32 v[210:211], v[208:209], v[204:205]
	v_div_scale_f64 v[206:207], s[10:11], v[210:211], v[210:211], 1.0
	v_rcp_f64_e32 v[208:209], v[206:207]
	s_nop 0
	v_fma_f64 v[216:217], -v[206:207], v[208:209], 1.0
	v_fmac_f64_e32 v[208:209], v[208:209], v[216:217]
	v_fma_f64 v[216:217], -v[206:207], v[208:209], 1.0
	v_fmac_f64_e32 v[208:209], v[208:209], v[216:217]
	v_div_scale_f64 v[216:217], vcc, 1.0, v[210:211], 1.0
	v_mul_f64 v[218:219], v[216:217], v[208:209]
	v_fma_f64 v[206:207], -v[206:207], v[218:219], v[216:217]
	s_nop 1
	v_div_fmas_f64 v[206:207], v[206:207], v[208:209], v[218:219]
	v_div_fixup_f64 v[206:207], v[206:207], v[210:211], 1.0
	v_mul_f64 v[204:205], v[204:205], v[206:207]
	v_xor_b32_e32 v207, 0x80000000, v207
                                        ; implicit-def: $vgpr208_vgpr209
.LBB107_113:
	s_andn2_saveexec_b64 s[2:3], s[2:3]
	s_cbranch_execz .LBB107_115
; %bb.114:
	v_div_scale_f64 v[204:205], s[10:11], v[208:209], v[208:209], v[210:211]
	v_rcp_f64_e32 v[206:207], v[204:205]
	v_div_scale_f64 v[216:217], vcc, v[210:211], v[208:209], v[210:211]
	v_fma_f64 v[218:219], -v[204:205], v[206:207], 1.0
	v_fmac_f64_e32 v[206:207], v[206:207], v[218:219]
	v_fma_f64 v[218:219], -v[204:205], v[206:207], 1.0
	v_fmac_f64_e32 v[206:207], v[206:207], v[218:219]
	v_mul_f64 v[218:219], v[216:217], v[206:207]
	v_fma_f64 v[204:205], -v[204:205], v[218:219], v[216:217]
	v_div_fmas_f64 v[204:205], v[204:205], v[206:207], v[218:219]
	v_div_fixup_f64 v[206:207], v[204:205], v[208:209], v[210:211]
	v_fmac_f64_e32 v[208:209], v[210:211], v[206:207]
	v_div_scale_f64 v[204:205], s[10:11], v[208:209], v[208:209], 1.0
	v_rcp_f64_e32 v[210:211], v[204:205]
	s_nop 0
	v_fma_f64 v[216:217], -v[204:205], v[210:211], 1.0
	v_fmac_f64_e32 v[210:211], v[210:211], v[216:217]
	v_fma_f64 v[216:217], -v[204:205], v[210:211], 1.0
	v_fmac_f64_e32 v[210:211], v[210:211], v[216:217]
	v_div_scale_f64 v[216:217], vcc, 1.0, v[208:209], 1.0
	v_mul_f64 v[218:219], v[216:217], v[210:211]
	v_fma_f64 v[204:205], -v[204:205], v[218:219], v[216:217]
	s_nop 1
	v_div_fmas_f64 v[204:205], v[204:205], v[210:211], v[218:219]
	v_div_fixup_f64 v[204:205], v[204:205], v[208:209], 1.0
	v_mul_f64 v[206:207], v[206:207], -v[204:205]
.LBB107_115:
	s_or_b64 exec, exec, s[2:3]
	ds_write2_b64 v201, v[204:205], v[206:207] offset1:1
.LBB107_116:
	s_or_b64 exec, exec, s[4:5]
	s_waitcnt lgkmcnt(0)
	s_barrier
	ds_read2_b64 v[192:195], v201 offset1:1
	v_cmp_lt_u32_e32 vcc, 12, v200
	s_waitcnt lgkmcnt(0)
	scratch_store_dwordx4 off, v[192:195], off offset:688 ; 16-byte Folded Spill
	s_and_saveexec_b64 s[2:3], vcc
	s_cbranch_execz .LBB107_118
; %bb.117:
	scratch_load_dwordx4 v[192:195], off, off offset:688 ; 16-byte Folded Reload
	s_waitcnt vmcnt(0)
	v_mul_f64 v[204:205], v[194:195], v[162:163]
	v_fma_f64 v[208:209], v[192:193], v[160:161], -v[204:205]
	ds_read2_b64 v[204:207], v202 offset0:26 offset1:27
	v_mul_f64 v[162:163], v[192:193], v[162:163]
	v_fmac_f64_e32 v[162:163], v[194:195], v[160:161]
	s_waitcnt lgkmcnt(0)
	v_mul_f64 v[160:161], v[206:207], v[162:163]
	v_fma_f64 v[160:161], v[204:205], v[208:209], -v[160:161]
	v_mul_f64 v[204:205], v[204:205], v[162:163]
	v_fmac_f64_e32 v[204:205], v[206:207], v[208:209]
	v_add_f64 v[158:159], v[158:159], -v[204:205]
	ds_read2_b64 v[204:207], v202 offset0:28 offset1:29
	v_add_f64 v[156:157], v[156:157], -v[160:161]
	s_waitcnt lgkmcnt(0)
	v_mul_f64 v[160:161], v[206:207], v[162:163]
	v_fma_f64 v[160:161], v[204:205], v[208:209], -v[160:161]
	v_mul_f64 v[204:205], v[204:205], v[162:163]
	v_fmac_f64_e32 v[204:205], v[206:207], v[208:209]
	v_add_f64 v[154:155], v[154:155], -v[204:205]
	ds_read2_b64 v[204:207], v202 offset0:30 offset1:31
	v_add_f64 v[152:153], v[152:153], -v[160:161]
	;; [unrolled: 8-line block ×40, first 2 shown]
	s_waitcnt lgkmcnt(0)
	v_mul_f64 v[160:161], v[206:207], v[162:163]
	v_fma_f64 v[160:161], v[204:205], v[208:209], -v[160:161]
	v_mul_f64 v[204:205], v[204:205], v[162:163]
	v_fmac_f64_e32 v[204:205], v[206:207], v[208:209]
	v_add_f64 v[212:213], v[212:213], -v[160:161]
	v_add_f64 v[214:215], v[214:215], -v[204:205]
	v_mov_b64_e32 v[160:161], v[208:209]
.LBB107_118:
	s_or_b64 exec, exec, s[2:3]
	v_cmp_eq_u32_e32 vcc, 13, v200
	s_waitcnt vmcnt(63) expcnt(7) lgkmcnt(15)
	s_barrier
	s_and_saveexec_b64 s[4:5], vcc
	s_cbranch_execz .LBB107_125
; %bb.119:
	ds_write2_b64 v201, v[156:157], v[158:159] offset1:1
	ds_write2_b64 v202, v[152:153], v[154:155] offset0:28 offset1:29
	ds_write2_b64 v202, v[148:149], v[150:151] offset0:30 offset1:31
	;; [unrolled: 1-line block ×23, first 2 shown]
	s_waitcnt vmcnt(43)
	ds_write2_b64 v202, v[60:61], v[62:63] offset0:74 offset1:75
	s_waitcnt vmcnt(42)
	ds_write2_b64 v202, v[56:57], v[58:59] offset0:76 offset1:77
	;; [unrolled: 2-line block ×12, first 2 shown]
	ds_write2_b64 v202, v[12:13], v[14:15] offset0:98 offset1:99
	ds_write2_b64 v202, v[8:9], v[10:11] offset0:100 offset1:101
	;; [unrolled: 1-line block ×3, first 2 shown]
	s_waitcnt vmcnt(31)
	ds_write2_b64 v202, v[0:1], v[2:3] offset0:104 offset1:105
	s_waitcnt vmcnt(28)
	ds_write2_b64 v202, v[212:213], v[214:215] offset0:106 offset1:107
	ds_read2_b64 v[208:211], v201 offset1:1
	s_waitcnt lgkmcnt(0)
	v_cmp_neq_f64_e32 vcc, 0, v[208:209]
	v_cmp_neq_f64_e64 s[2:3], 0, v[210:211]
	s_or_b64 s[2:3], vcc, s[2:3]
	s_and_b64 exec, exec, s[2:3]
	s_cbranch_execz .LBB107_125
; %bb.120:
	v_cmp_ngt_f64_e64 s[2:3], |v[208:209]|, |v[210:211]|
                                        ; implicit-def: $vgpr204_vgpr205
	s_and_saveexec_b64 s[10:11], s[2:3]
	s_xor_b64 s[2:3], exec, s[10:11]
                                        ; implicit-def: $vgpr206_vgpr207
	s_cbranch_execz .LBB107_122
; %bb.121:
	v_div_scale_f64 v[204:205], s[10:11], v[210:211], v[210:211], v[208:209]
	v_rcp_f64_e32 v[206:207], v[204:205]
	v_div_scale_f64 v[216:217], vcc, v[208:209], v[210:211], v[208:209]
	v_fma_f64 v[218:219], -v[204:205], v[206:207], 1.0
	v_fmac_f64_e32 v[206:207], v[206:207], v[218:219]
	v_fma_f64 v[218:219], -v[204:205], v[206:207], 1.0
	v_fmac_f64_e32 v[206:207], v[206:207], v[218:219]
	v_mul_f64 v[218:219], v[216:217], v[206:207]
	v_fma_f64 v[204:205], -v[204:205], v[218:219], v[216:217]
	v_div_fmas_f64 v[204:205], v[204:205], v[206:207], v[218:219]
	v_div_fixup_f64 v[204:205], v[204:205], v[210:211], v[208:209]
	v_fmac_f64_e32 v[210:211], v[208:209], v[204:205]
	v_div_scale_f64 v[206:207], s[10:11], v[210:211], v[210:211], 1.0
	v_rcp_f64_e32 v[208:209], v[206:207]
	s_nop 0
	v_fma_f64 v[216:217], -v[206:207], v[208:209], 1.0
	v_fmac_f64_e32 v[208:209], v[208:209], v[216:217]
	v_fma_f64 v[216:217], -v[206:207], v[208:209], 1.0
	v_fmac_f64_e32 v[208:209], v[208:209], v[216:217]
	v_div_scale_f64 v[216:217], vcc, 1.0, v[210:211], 1.0
	v_mul_f64 v[218:219], v[216:217], v[208:209]
	v_fma_f64 v[206:207], -v[206:207], v[218:219], v[216:217]
	s_nop 1
	v_div_fmas_f64 v[206:207], v[206:207], v[208:209], v[218:219]
	v_div_fixup_f64 v[206:207], v[206:207], v[210:211], 1.0
	v_mul_f64 v[204:205], v[204:205], v[206:207]
	v_xor_b32_e32 v207, 0x80000000, v207
                                        ; implicit-def: $vgpr208_vgpr209
.LBB107_122:
	s_andn2_saveexec_b64 s[2:3], s[2:3]
	s_cbranch_execz .LBB107_124
; %bb.123:
	v_div_scale_f64 v[204:205], s[10:11], v[208:209], v[208:209], v[210:211]
	v_rcp_f64_e32 v[206:207], v[204:205]
	v_div_scale_f64 v[216:217], vcc, v[210:211], v[208:209], v[210:211]
	v_fma_f64 v[218:219], -v[204:205], v[206:207], 1.0
	v_fmac_f64_e32 v[206:207], v[206:207], v[218:219]
	v_fma_f64 v[218:219], -v[204:205], v[206:207], 1.0
	v_fmac_f64_e32 v[206:207], v[206:207], v[218:219]
	v_mul_f64 v[218:219], v[216:217], v[206:207]
	v_fma_f64 v[204:205], -v[204:205], v[218:219], v[216:217]
	v_div_fmas_f64 v[204:205], v[204:205], v[206:207], v[218:219]
	v_div_fixup_f64 v[206:207], v[204:205], v[208:209], v[210:211]
	v_fmac_f64_e32 v[208:209], v[210:211], v[206:207]
	v_div_scale_f64 v[204:205], s[10:11], v[208:209], v[208:209], 1.0
	v_rcp_f64_e32 v[210:211], v[204:205]
	s_nop 0
	v_fma_f64 v[216:217], -v[204:205], v[210:211], 1.0
	v_fmac_f64_e32 v[210:211], v[210:211], v[216:217]
	v_fma_f64 v[216:217], -v[204:205], v[210:211], 1.0
	v_fmac_f64_e32 v[210:211], v[210:211], v[216:217]
	v_div_scale_f64 v[216:217], vcc, 1.0, v[208:209], 1.0
	v_mul_f64 v[218:219], v[216:217], v[210:211]
	v_fma_f64 v[204:205], -v[204:205], v[218:219], v[216:217]
	s_nop 1
	v_div_fmas_f64 v[204:205], v[204:205], v[210:211], v[218:219]
	v_div_fixup_f64 v[204:205], v[204:205], v[208:209], 1.0
	v_mul_f64 v[206:207], v[206:207], -v[204:205]
.LBB107_124:
	s_or_b64 exec, exec, s[2:3]
	ds_write2_b64 v201, v[204:205], v[206:207] offset1:1
.LBB107_125:
	s_or_b64 exec, exec, s[4:5]
	s_waitcnt lgkmcnt(0)
	s_barrier
	ds_read2_b64 v[192:195], v201 offset1:1
	v_cmp_lt_u32_e32 vcc, 13, v200
	s_waitcnt lgkmcnt(0)
	scratch_store_dwordx4 off, v[192:195], off offset:704 ; 16-byte Folded Spill
	s_and_saveexec_b64 s[2:3], vcc
	s_cbranch_execz .LBB107_127
; %bb.126:
	scratch_load_dwordx4 v[192:195], off, off offset:704 ; 16-byte Folded Reload
	s_waitcnt vmcnt(0)
	v_mul_f64 v[204:205], v[194:195], v[158:159]
	v_fma_f64 v[208:209], v[192:193], v[156:157], -v[204:205]
	ds_read2_b64 v[204:207], v202 offset0:28 offset1:29
	v_mul_f64 v[158:159], v[192:193], v[158:159]
	v_fmac_f64_e32 v[158:159], v[194:195], v[156:157]
	s_waitcnt lgkmcnt(0)
	v_mul_f64 v[156:157], v[206:207], v[158:159]
	v_fma_f64 v[156:157], v[204:205], v[208:209], -v[156:157]
	v_mul_f64 v[204:205], v[204:205], v[158:159]
	v_fmac_f64_e32 v[204:205], v[206:207], v[208:209]
	v_add_f64 v[154:155], v[154:155], -v[204:205]
	ds_read2_b64 v[204:207], v202 offset0:30 offset1:31
	v_add_f64 v[152:153], v[152:153], -v[156:157]
	s_waitcnt lgkmcnt(0)
	v_mul_f64 v[156:157], v[206:207], v[158:159]
	v_fma_f64 v[156:157], v[204:205], v[208:209], -v[156:157]
	v_mul_f64 v[204:205], v[204:205], v[158:159]
	v_fmac_f64_e32 v[204:205], v[206:207], v[208:209]
	v_add_f64 v[150:151], v[150:151], -v[204:205]
	ds_read2_b64 v[204:207], v202 offset0:32 offset1:33
	v_add_f64 v[148:149], v[148:149], -v[156:157]
	;; [unrolled: 8-line block ×39, first 2 shown]
	s_waitcnt lgkmcnt(0)
	v_mul_f64 v[156:157], v[206:207], v[158:159]
	v_fma_f64 v[156:157], v[204:205], v[208:209], -v[156:157]
	v_mul_f64 v[204:205], v[204:205], v[158:159]
	v_fmac_f64_e32 v[204:205], v[206:207], v[208:209]
	v_add_f64 v[212:213], v[212:213], -v[156:157]
	v_add_f64 v[214:215], v[214:215], -v[204:205]
	v_mov_b64_e32 v[156:157], v[208:209]
.LBB107_127:
	s_or_b64 exec, exec, s[2:3]
	v_cmp_eq_u32_e32 vcc, 14, v200
	s_waitcnt vmcnt(63) expcnt(7) lgkmcnt(15)
	s_barrier
	s_and_saveexec_b64 s[4:5], vcc
	s_cbranch_execz .LBB107_134
; %bb.128:
	ds_write2_b64 v201, v[152:153], v[154:155] offset1:1
	ds_write2_b64 v202, v[148:149], v[150:151] offset0:30 offset1:31
	ds_write2_b64 v202, v[144:145], v[146:147] offset0:32 offset1:33
	;; [unrolled: 1-line block ×22, first 2 shown]
	s_waitcnt vmcnt(44)
	ds_write2_b64 v202, v[60:61], v[62:63] offset0:74 offset1:75
	s_waitcnt vmcnt(43)
	ds_write2_b64 v202, v[56:57], v[58:59] offset0:76 offset1:77
	;; [unrolled: 2-line block ×12, first 2 shown]
	ds_write2_b64 v202, v[12:13], v[14:15] offset0:98 offset1:99
	ds_write2_b64 v202, v[8:9], v[10:11] offset0:100 offset1:101
	;; [unrolled: 1-line block ×3, first 2 shown]
	s_waitcnt vmcnt(32)
	ds_write2_b64 v202, v[0:1], v[2:3] offset0:104 offset1:105
	s_waitcnt vmcnt(29)
	ds_write2_b64 v202, v[212:213], v[214:215] offset0:106 offset1:107
	ds_read2_b64 v[208:211], v201 offset1:1
	s_waitcnt lgkmcnt(0)
	v_cmp_neq_f64_e32 vcc, 0, v[208:209]
	v_cmp_neq_f64_e64 s[2:3], 0, v[210:211]
	s_or_b64 s[2:3], vcc, s[2:3]
	s_and_b64 exec, exec, s[2:3]
	s_cbranch_execz .LBB107_134
; %bb.129:
	v_cmp_ngt_f64_e64 s[2:3], |v[208:209]|, |v[210:211]|
                                        ; implicit-def: $vgpr204_vgpr205
	s_and_saveexec_b64 s[10:11], s[2:3]
	s_xor_b64 s[2:3], exec, s[10:11]
                                        ; implicit-def: $vgpr206_vgpr207
	s_cbranch_execz .LBB107_131
; %bb.130:
	v_div_scale_f64 v[204:205], s[10:11], v[210:211], v[210:211], v[208:209]
	v_rcp_f64_e32 v[206:207], v[204:205]
	v_div_scale_f64 v[216:217], vcc, v[208:209], v[210:211], v[208:209]
	v_fma_f64 v[218:219], -v[204:205], v[206:207], 1.0
	v_fmac_f64_e32 v[206:207], v[206:207], v[218:219]
	v_fma_f64 v[218:219], -v[204:205], v[206:207], 1.0
	v_fmac_f64_e32 v[206:207], v[206:207], v[218:219]
	v_mul_f64 v[218:219], v[216:217], v[206:207]
	v_fma_f64 v[204:205], -v[204:205], v[218:219], v[216:217]
	v_div_fmas_f64 v[204:205], v[204:205], v[206:207], v[218:219]
	v_div_fixup_f64 v[204:205], v[204:205], v[210:211], v[208:209]
	v_fmac_f64_e32 v[210:211], v[208:209], v[204:205]
	v_div_scale_f64 v[206:207], s[10:11], v[210:211], v[210:211], 1.0
	v_rcp_f64_e32 v[208:209], v[206:207]
	s_nop 0
	v_fma_f64 v[216:217], -v[206:207], v[208:209], 1.0
	v_fmac_f64_e32 v[208:209], v[208:209], v[216:217]
	v_fma_f64 v[216:217], -v[206:207], v[208:209], 1.0
	v_fmac_f64_e32 v[208:209], v[208:209], v[216:217]
	v_div_scale_f64 v[216:217], vcc, 1.0, v[210:211], 1.0
	v_mul_f64 v[218:219], v[216:217], v[208:209]
	v_fma_f64 v[206:207], -v[206:207], v[218:219], v[216:217]
	s_nop 1
	v_div_fmas_f64 v[206:207], v[206:207], v[208:209], v[218:219]
	v_div_fixup_f64 v[206:207], v[206:207], v[210:211], 1.0
	v_mul_f64 v[204:205], v[204:205], v[206:207]
	v_xor_b32_e32 v207, 0x80000000, v207
                                        ; implicit-def: $vgpr208_vgpr209
.LBB107_131:
	s_andn2_saveexec_b64 s[2:3], s[2:3]
	s_cbranch_execz .LBB107_133
; %bb.132:
	v_div_scale_f64 v[204:205], s[10:11], v[208:209], v[208:209], v[210:211]
	v_rcp_f64_e32 v[206:207], v[204:205]
	v_div_scale_f64 v[216:217], vcc, v[210:211], v[208:209], v[210:211]
	v_fma_f64 v[218:219], -v[204:205], v[206:207], 1.0
	v_fmac_f64_e32 v[206:207], v[206:207], v[218:219]
	v_fma_f64 v[218:219], -v[204:205], v[206:207], 1.0
	v_fmac_f64_e32 v[206:207], v[206:207], v[218:219]
	v_mul_f64 v[218:219], v[216:217], v[206:207]
	v_fma_f64 v[204:205], -v[204:205], v[218:219], v[216:217]
	v_div_fmas_f64 v[204:205], v[204:205], v[206:207], v[218:219]
	v_div_fixup_f64 v[206:207], v[204:205], v[208:209], v[210:211]
	v_fmac_f64_e32 v[208:209], v[210:211], v[206:207]
	v_div_scale_f64 v[204:205], s[10:11], v[208:209], v[208:209], 1.0
	v_rcp_f64_e32 v[210:211], v[204:205]
	s_nop 0
	v_fma_f64 v[216:217], -v[204:205], v[210:211], 1.0
	v_fmac_f64_e32 v[210:211], v[210:211], v[216:217]
	v_fma_f64 v[216:217], -v[204:205], v[210:211], 1.0
	v_fmac_f64_e32 v[210:211], v[210:211], v[216:217]
	v_div_scale_f64 v[216:217], vcc, 1.0, v[208:209], 1.0
	v_mul_f64 v[218:219], v[216:217], v[210:211]
	v_fma_f64 v[204:205], -v[204:205], v[218:219], v[216:217]
	s_nop 1
	v_div_fmas_f64 v[204:205], v[204:205], v[210:211], v[218:219]
	v_div_fixup_f64 v[204:205], v[204:205], v[208:209], 1.0
	v_mul_f64 v[206:207], v[206:207], -v[204:205]
.LBB107_133:
	s_or_b64 exec, exec, s[2:3]
	ds_write2_b64 v201, v[204:205], v[206:207] offset1:1
.LBB107_134:
	s_or_b64 exec, exec, s[4:5]
	s_waitcnt lgkmcnt(0)
	s_barrier
	ds_read2_b64 v[192:195], v201 offset1:1
	v_cmp_lt_u32_e32 vcc, 14, v200
	s_waitcnt lgkmcnt(0)
	scratch_store_dwordx4 off, v[192:195], off offset:720 ; 16-byte Folded Spill
	s_and_saveexec_b64 s[2:3], vcc
	s_cbranch_execz .LBB107_136
; %bb.135:
	scratch_load_dwordx4 v[192:195], off, off offset:720 ; 16-byte Folded Reload
	s_waitcnt vmcnt(0)
	v_mul_f64 v[204:205], v[194:195], v[154:155]
	v_fma_f64 v[208:209], v[192:193], v[152:153], -v[204:205]
	ds_read2_b64 v[204:207], v202 offset0:30 offset1:31
	v_mul_f64 v[154:155], v[192:193], v[154:155]
	v_fmac_f64_e32 v[154:155], v[194:195], v[152:153]
	s_waitcnt lgkmcnt(0)
	v_mul_f64 v[152:153], v[206:207], v[154:155]
	v_fma_f64 v[152:153], v[204:205], v[208:209], -v[152:153]
	v_mul_f64 v[204:205], v[204:205], v[154:155]
	v_fmac_f64_e32 v[204:205], v[206:207], v[208:209]
	v_add_f64 v[150:151], v[150:151], -v[204:205]
	ds_read2_b64 v[204:207], v202 offset0:32 offset1:33
	v_add_f64 v[148:149], v[148:149], -v[152:153]
	s_waitcnt lgkmcnt(0)
	v_mul_f64 v[152:153], v[206:207], v[154:155]
	v_fma_f64 v[152:153], v[204:205], v[208:209], -v[152:153]
	v_mul_f64 v[204:205], v[204:205], v[154:155]
	v_fmac_f64_e32 v[204:205], v[206:207], v[208:209]
	v_add_f64 v[146:147], v[146:147], -v[204:205]
	ds_read2_b64 v[204:207], v202 offset0:34 offset1:35
	v_add_f64 v[144:145], v[144:145], -v[152:153]
	;; [unrolled: 8-line block ×38, first 2 shown]
	s_waitcnt lgkmcnt(0)
	v_mul_f64 v[152:153], v[206:207], v[154:155]
	v_fma_f64 v[152:153], v[204:205], v[208:209], -v[152:153]
	v_mul_f64 v[204:205], v[204:205], v[154:155]
	v_fmac_f64_e32 v[204:205], v[206:207], v[208:209]
	v_add_f64 v[212:213], v[212:213], -v[152:153]
	v_add_f64 v[214:215], v[214:215], -v[204:205]
	v_mov_b64_e32 v[152:153], v[208:209]
.LBB107_136:
	s_or_b64 exec, exec, s[2:3]
	v_cmp_eq_u32_e32 vcc, 15, v200
	s_waitcnt vmcnt(63) expcnt(7) lgkmcnt(15)
	s_barrier
	s_and_saveexec_b64 s[4:5], vcc
	s_cbranch_execz .LBB107_143
; %bb.137:
	ds_write2_b64 v201, v[148:149], v[150:151] offset1:1
	ds_write2_b64 v202, v[144:145], v[146:147] offset0:32 offset1:33
	ds_write2_b64 v202, v[140:141], v[142:143] offset0:34 offset1:35
	;; [unrolled: 1-line block ×21, first 2 shown]
	s_waitcnt vmcnt(45)
	ds_write2_b64 v202, v[60:61], v[62:63] offset0:74 offset1:75
	s_waitcnt vmcnt(44)
	ds_write2_b64 v202, v[56:57], v[58:59] offset0:76 offset1:77
	;; [unrolled: 2-line block ×12, first 2 shown]
	ds_write2_b64 v202, v[12:13], v[14:15] offset0:98 offset1:99
	ds_write2_b64 v202, v[8:9], v[10:11] offset0:100 offset1:101
	;; [unrolled: 1-line block ×3, first 2 shown]
	s_waitcnt vmcnt(33)
	ds_write2_b64 v202, v[0:1], v[2:3] offset0:104 offset1:105
	s_waitcnt vmcnt(30)
	ds_write2_b64 v202, v[212:213], v[214:215] offset0:106 offset1:107
	ds_read2_b64 v[208:211], v201 offset1:1
	s_waitcnt lgkmcnt(0)
	v_cmp_neq_f64_e32 vcc, 0, v[208:209]
	v_cmp_neq_f64_e64 s[2:3], 0, v[210:211]
	s_or_b64 s[2:3], vcc, s[2:3]
	s_and_b64 exec, exec, s[2:3]
	s_cbranch_execz .LBB107_143
; %bb.138:
	v_cmp_ngt_f64_e64 s[2:3], |v[208:209]|, |v[210:211]|
                                        ; implicit-def: $vgpr204_vgpr205
	s_and_saveexec_b64 s[10:11], s[2:3]
	s_xor_b64 s[2:3], exec, s[10:11]
                                        ; implicit-def: $vgpr206_vgpr207
	s_cbranch_execz .LBB107_140
; %bb.139:
	v_div_scale_f64 v[204:205], s[10:11], v[210:211], v[210:211], v[208:209]
	v_rcp_f64_e32 v[206:207], v[204:205]
	v_div_scale_f64 v[216:217], vcc, v[208:209], v[210:211], v[208:209]
	v_fma_f64 v[218:219], -v[204:205], v[206:207], 1.0
	v_fmac_f64_e32 v[206:207], v[206:207], v[218:219]
	v_fma_f64 v[218:219], -v[204:205], v[206:207], 1.0
	v_fmac_f64_e32 v[206:207], v[206:207], v[218:219]
	v_mul_f64 v[218:219], v[216:217], v[206:207]
	v_fma_f64 v[204:205], -v[204:205], v[218:219], v[216:217]
	v_div_fmas_f64 v[204:205], v[204:205], v[206:207], v[218:219]
	v_div_fixup_f64 v[204:205], v[204:205], v[210:211], v[208:209]
	v_fmac_f64_e32 v[210:211], v[208:209], v[204:205]
	v_div_scale_f64 v[206:207], s[10:11], v[210:211], v[210:211], 1.0
	v_rcp_f64_e32 v[208:209], v[206:207]
	s_nop 0
	v_fma_f64 v[216:217], -v[206:207], v[208:209], 1.0
	v_fmac_f64_e32 v[208:209], v[208:209], v[216:217]
	v_fma_f64 v[216:217], -v[206:207], v[208:209], 1.0
	v_fmac_f64_e32 v[208:209], v[208:209], v[216:217]
	v_div_scale_f64 v[216:217], vcc, 1.0, v[210:211], 1.0
	v_mul_f64 v[218:219], v[216:217], v[208:209]
	v_fma_f64 v[206:207], -v[206:207], v[218:219], v[216:217]
	s_nop 1
	v_div_fmas_f64 v[206:207], v[206:207], v[208:209], v[218:219]
	v_div_fixup_f64 v[206:207], v[206:207], v[210:211], 1.0
	v_mul_f64 v[204:205], v[204:205], v[206:207]
	v_xor_b32_e32 v207, 0x80000000, v207
                                        ; implicit-def: $vgpr208_vgpr209
.LBB107_140:
	s_andn2_saveexec_b64 s[2:3], s[2:3]
	s_cbranch_execz .LBB107_142
; %bb.141:
	v_div_scale_f64 v[204:205], s[10:11], v[208:209], v[208:209], v[210:211]
	v_rcp_f64_e32 v[206:207], v[204:205]
	v_div_scale_f64 v[216:217], vcc, v[210:211], v[208:209], v[210:211]
	v_fma_f64 v[218:219], -v[204:205], v[206:207], 1.0
	v_fmac_f64_e32 v[206:207], v[206:207], v[218:219]
	v_fma_f64 v[218:219], -v[204:205], v[206:207], 1.0
	v_fmac_f64_e32 v[206:207], v[206:207], v[218:219]
	v_mul_f64 v[218:219], v[216:217], v[206:207]
	v_fma_f64 v[204:205], -v[204:205], v[218:219], v[216:217]
	v_div_fmas_f64 v[204:205], v[204:205], v[206:207], v[218:219]
	v_div_fixup_f64 v[206:207], v[204:205], v[208:209], v[210:211]
	v_fmac_f64_e32 v[208:209], v[210:211], v[206:207]
	v_div_scale_f64 v[204:205], s[10:11], v[208:209], v[208:209], 1.0
	v_rcp_f64_e32 v[210:211], v[204:205]
	s_nop 0
	v_fma_f64 v[216:217], -v[204:205], v[210:211], 1.0
	v_fmac_f64_e32 v[210:211], v[210:211], v[216:217]
	v_fma_f64 v[216:217], -v[204:205], v[210:211], 1.0
	v_fmac_f64_e32 v[210:211], v[210:211], v[216:217]
	v_div_scale_f64 v[216:217], vcc, 1.0, v[208:209], 1.0
	v_mul_f64 v[218:219], v[216:217], v[210:211]
	v_fma_f64 v[204:205], -v[204:205], v[218:219], v[216:217]
	s_nop 1
	v_div_fmas_f64 v[204:205], v[204:205], v[210:211], v[218:219]
	v_div_fixup_f64 v[204:205], v[204:205], v[208:209], 1.0
	v_mul_f64 v[206:207], v[206:207], -v[204:205]
.LBB107_142:
	s_or_b64 exec, exec, s[2:3]
	ds_write2_b64 v201, v[204:205], v[206:207] offset1:1
.LBB107_143:
	s_or_b64 exec, exec, s[4:5]
	s_waitcnt lgkmcnt(0)
	s_barrier
	ds_read2_b64 v[192:195], v201 offset1:1
	v_cmp_lt_u32_e32 vcc, 15, v200
	s_waitcnt lgkmcnt(0)
	scratch_store_dwordx4 off, v[192:195], off offset:736 ; 16-byte Folded Spill
	s_and_saveexec_b64 s[2:3], vcc
	s_cbranch_execz .LBB107_145
; %bb.144:
	scratch_load_dwordx4 v[192:195], off, off offset:736 ; 16-byte Folded Reload
	s_waitcnt vmcnt(0)
	v_mul_f64 v[204:205], v[194:195], v[150:151]
	v_fma_f64 v[208:209], v[192:193], v[148:149], -v[204:205]
	ds_read2_b64 v[204:207], v202 offset0:32 offset1:33
	v_mul_f64 v[150:151], v[192:193], v[150:151]
	v_fmac_f64_e32 v[150:151], v[194:195], v[148:149]
	s_waitcnt lgkmcnt(0)
	v_mul_f64 v[148:149], v[206:207], v[150:151]
	v_fma_f64 v[148:149], v[204:205], v[208:209], -v[148:149]
	v_mul_f64 v[204:205], v[204:205], v[150:151]
	v_fmac_f64_e32 v[204:205], v[206:207], v[208:209]
	v_add_f64 v[146:147], v[146:147], -v[204:205]
	ds_read2_b64 v[204:207], v202 offset0:34 offset1:35
	v_add_f64 v[144:145], v[144:145], -v[148:149]
	s_waitcnt lgkmcnt(0)
	v_mul_f64 v[148:149], v[206:207], v[150:151]
	v_fma_f64 v[148:149], v[204:205], v[208:209], -v[148:149]
	v_mul_f64 v[204:205], v[204:205], v[150:151]
	v_fmac_f64_e32 v[204:205], v[206:207], v[208:209]
	v_add_f64 v[142:143], v[142:143], -v[204:205]
	ds_read2_b64 v[204:207], v202 offset0:36 offset1:37
	v_add_f64 v[140:141], v[140:141], -v[148:149]
	;; [unrolled: 8-line block ×37, first 2 shown]
	s_waitcnt lgkmcnt(0)
	v_mul_f64 v[148:149], v[206:207], v[150:151]
	v_fma_f64 v[148:149], v[204:205], v[208:209], -v[148:149]
	v_mul_f64 v[204:205], v[204:205], v[150:151]
	v_fmac_f64_e32 v[204:205], v[206:207], v[208:209]
	v_add_f64 v[212:213], v[212:213], -v[148:149]
	v_add_f64 v[214:215], v[214:215], -v[204:205]
	v_mov_b64_e32 v[148:149], v[208:209]
.LBB107_145:
	s_or_b64 exec, exec, s[2:3]
	v_cmp_eq_u32_e32 vcc, 16, v200
	s_waitcnt vmcnt(63) expcnt(7) lgkmcnt(15)
	s_barrier
	s_and_saveexec_b64 s[4:5], vcc
	s_cbranch_execz .LBB107_152
; %bb.146:
	ds_write2_b64 v201, v[144:145], v[146:147] offset1:1
	ds_write2_b64 v202, v[140:141], v[142:143] offset0:34 offset1:35
	ds_write2_b64 v202, v[136:137], v[138:139] offset0:36 offset1:37
	;; [unrolled: 1-line block ×20, first 2 shown]
	s_waitcnt vmcnt(46)
	ds_write2_b64 v202, v[60:61], v[62:63] offset0:74 offset1:75
	s_waitcnt vmcnt(45)
	ds_write2_b64 v202, v[56:57], v[58:59] offset0:76 offset1:77
	;; [unrolled: 2-line block ×12, first 2 shown]
	ds_write2_b64 v202, v[12:13], v[14:15] offset0:98 offset1:99
	ds_write2_b64 v202, v[8:9], v[10:11] offset0:100 offset1:101
	;; [unrolled: 1-line block ×3, first 2 shown]
	s_waitcnt vmcnt(34)
	ds_write2_b64 v202, v[0:1], v[2:3] offset0:104 offset1:105
	s_waitcnt vmcnt(31)
	ds_write2_b64 v202, v[212:213], v[214:215] offset0:106 offset1:107
	ds_read2_b64 v[208:211], v201 offset1:1
	s_waitcnt lgkmcnt(0)
	v_cmp_neq_f64_e32 vcc, 0, v[208:209]
	v_cmp_neq_f64_e64 s[2:3], 0, v[210:211]
	s_or_b64 s[2:3], vcc, s[2:3]
	s_and_b64 exec, exec, s[2:3]
	s_cbranch_execz .LBB107_152
; %bb.147:
	v_cmp_ngt_f64_e64 s[2:3], |v[208:209]|, |v[210:211]|
                                        ; implicit-def: $vgpr204_vgpr205
	s_and_saveexec_b64 s[10:11], s[2:3]
	s_xor_b64 s[2:3], exec, s[10:11]
                                        ; implicit-def: $vgpr206_vgpr207
	s_cbranch_execz .LBB107_149
; %bb.148:
	v_div_scale_f64 v[204:205], s[10:11], v[210:211], v[210:211], v[208:209]
	v_rcp_f64_e32 v[206:207], v[204:205]
	v_div_scale_f64 v[216:217], vcc, v[208:209], v[210:211], v[208:209]
	v_fma_f64 v[218:219], -v[204:205], v[206:207], 1.0
	v_fmac_f64_e32 v[206:207], v[206:207], v[218:219]
	v_fma_f64 v[218:219], -v[204:205], v[206:207], 1.0
	v_fmac_f64_e32 v[206:207], v[206:207], v[218:219]
	v_mul_f64 v[218:219], v[216:217], v[206:207]
	v_fma_f64 v[204:205], -v[204:205], v[218:219], v[216:217]
	v_div_fmas_f64 v[204:205], v[204:205], v[206:207], v[218:219]
	v_div_fixup_f64 v[204:205], v[204:205], v[210:211], v[208:209]
	v_fmac_f64_e32 v[210:211], v[208:209], v[204:205]
	v_div_scale_f64 v[206:207], s[10:11], v[210:211], v[210:211], 1.0
	v_rcp_f64_e32 v[208:209], v[206:207]
	s_nop 0
	v_fma_f64 v[216:217], -v[206:207], v[208:209], 1.0
	v_fmac_f64_e32 v[208:209], v[208:209], v[216:217]
	v_fma_f64 v[216:217], -v[206:207], v[208:209], 1.0
	v_fmac_f64_e32 v[208:209], v[208:209], v[216:217]
	v_div_scale_f64 v[216:217], vcc, 1.0, v[210:211], 1.0
	v_mul_f64 v[218:219], v[216:217], v[208:209]
	v_fma_f64 v[206:207], -v[206:207], v[218:219], v[216:217]
	s_nop 1
	v_div_fmas_f64 v[206:207], v[206:207], v[208:209], v[218:219]
	v_div_fixup_f64 v[206:207], v[206:207], v[210:211], 1.0
	v_mul_f64 v[204:205], v[204:205], v[206:207]
	v_xor_b32_e32 v207, 0x80000000, v207
                                        ; implicit-def: $vgpr208_vgpr209
.LBB107_149:
	s_andn2_saveexec_b64 s[2:3], s[2:3]
	s_cbranch_execz .LBB107_151
; %bb.150:
	v_div_scale_f64 v[204:205], s[10:11], v[208:209], v[208:209], v[210:211]
	v_rcp_f64_e32 v[206:207], v[204:205]
	v_div_scale_f64 v[216:217], vcc, v[210:211], v[208:209], v[210:211]
	v_fma_f64 v[218:219], -v[204:205], v[206:207], 1.0
	v_fmac_f64_e32 v[206:207], v[206:207], v[218:219]
	v_fma_f64 v[218:219], -v[204:205], v[206:207], 1.0
	v_fmac_f64_e32 v[206:207], v[206:207], v[218:219]
	v_mul_f64 v[218:219], v[216:217], v[206:207]
	v_fma_f64 v[204:205], -v[204:205], v[218:219], v[216:217]
	v_div_fmas_f64 v[204:205], v[204:205], v[206:207], v[218:219]
	v_div_fixup_f64 v[206:207], v[204:205], v[208:209], v[210:211]
	v_fmac_f64_e32 v[208:209], v[210:211], v[206:207]
	v_div_scale_f64 v[204:205], s[10:11], v[208:209], v[208:209], 1.0
	v_rcp_f64_e32 v[210:211], v[204:205]
	s_nop 0
	v_fma_f64 v[216:217], -v[204:205], v[210:211], 1.0
	v_fmac_f64_e32 v[210:211], v[210:211], v[216:217]
	v_fma_f64 v[216:217], -v[204:205], v[210:211], 1.0
	v_fmac_f64_e32 v[210:211], v[210:211], v[216:217]
	v_div_scale_f64 v[216:217], vcc, 1.0, v[208:209], 1.0
	v_mul_f64 v[218:219], v[216:217], v[210:211]
	v_fma_f64 v[204:205], -v[204:205], v[218:219], v[216:217]
	s_nop 1
	v_div_fmas_f64 v[204:205], v[204:205], v[210:211], v[218:219]
	v_div_fixup_f64 v[204:205], v[204:205], v[208:209], 1.0
	v_mul_f64 v[206:207], v[206:207], -v[204:205]
.LBB107_151:
	s_or_b64 exec, exec, s[2:3]
	ds_write2_b64 v201, v[204:205], v[206:207] offset1:1
.LBB107_152:
	s_or_b64 exec, exec, s[4:5]
	s_waitcnt lgkmcnt(0)
	s_barrier
	ds_read2_b64 v[192:195], v201 offset1:1
	v_cmp_lt_u32_e32 vcc, 16, v200
	s_waitcnt lgkmcnt(0)
	scratch_store_dwordx4 off, v[192:195], off offset:752 ; 16-byte Folded Spill
	s_and_saveexec_b64 s[2:3], vcc
	s_cbranch_execz .LBB107_154
; %bb.153:
	scratch_load_dwordx4 v[192:195], off, off offset:752 ; 16-byte Folded Reload
	s_waitcnt vmcnt(0)
	v_mul_f64 v[204:205], v[194:195], v[146:147]
	v_fma_f64 v[208:209], v[192:193], v[144:145], -v[204:205]
	ds_read2_b64 v[204:207], v202 offset0:34 offset1:35
	v_mul_f64 v[146:147], v[192:193], v[146:147]
	v_fmac_f64_e32 v[146:147], v[194:195], v[144:145]
	s_waitcnt lgkmcnt(0)
	v_mul_f64 v[144:145], v[206:207], v[146:147]
	v_fma_f64 v[144:145], v[204:205], v[208:209], -v[144:145]
	v_mul_f64 v[204:205], v[204:205], v[146:147]
	v_fmac_f64_e32 v[204:205], v[206:207], v[208:209]
	v_add_f64 v[142:143], v[142:143], -v[204:205]
	ds_read2_b64 v[204:207], v202 offset0:36 offset1:37
	v_add_f64 v[140:141], v[140:141], -v[144:145]
	s_waitcnt lgkmcnt(0)
	v_mul_f64 v[144:145], v[206:207], v[146:147]
	v_fma_f64 v[144:145], v[204:205], v[208:209], -v[144:145]
	v_mul_f64 v[204:205], v[204:205], v[146:147]
	v_fmac_f64_e32 v[204:205], v[206:207], v[208:209]
	v_add_f64 v[138:139], v[138:139], -v[204:205]
	ds_read2_b64 v[204:207], v202 offset0:38 offset1:39
	v_add_f64 v[136:137], v[136:137], -v[144:145]
	;; [unrolled: 8-line block ×36, first 2 shown]
	s_waitcnt lgkmcnt(0)
	v_mul_f64 v[144:145], v[206:207], v[146:147]
	v_fma_f64 v[144:145], v[204:205], v[208:209], -v[144:145]
	v_mul_f64 v[204:205], v[204:205], v[146:147]
	v_fmac_f64_e32 v[204:205], v[206:207], v[208:209]
	v_add_f64 v[212:213], v[212:213], -v[144:145]
	v_add_f64 v[214:215], v[214:215], -v[204:205]
	v_mov_b64_e32 v[144:145], v[208:209]
.LBB107_154:
	s_or_b64 exec, exec, s[2:3]
	v_cmp_eq_u32_e32 vcc, 17, v200
	s_waitcnt vmcnt(63) expcnt(7) lgkmcnt(15)
	s_barrier
	s_and_saveexec_b64 s[4:5], vcc
	s_cbranch_execz .LBB107_161
; %bb.155:
	ds_write2_b64 v201, v[140:141], v[142:143] offset1:1
	ds_write2_b64 v202, v[136:137], v[138:139] offset0:36 offset1:37
	ds_write2_b64 v202, v[132:133], v[134:135] offset0:38 offset1:39
	;; [unrolled: 1-line block ×19, first 2 shown]
	s_waitcnt vmcnt(47)
	ds_write2_b64 v202, v[60:61], v[62:63] offset0:74 offset1:75
	s_waitcnt vmcnt(46)
	ds_write2_b64 v202, v[56:57], v[58:59] offset0:76 offset1:77
	;; [unrolled: 2-line block ×12, first 2 shown]
	ds_write2_b64 v202, v[12:13], v[14:15] offset0:98 offset1:99
	ds_write2_b64 v202, v[8:9], v[10:11] offset0:100 offset1:101
	;; [unrolled: 1-line block ×3, first 2 shown]
	s_waitcnt vmcnt(35)
	ds_write2_b64 v202, v[0:1], v[2:3] offset0:104 offset1:105
	s_waitcnt vmcnt(32)
	ds_write2_b64 v202, v[212:213], v[214:215] offset0:106 offset1:107
	ds_read2_b64 v[208:211], v201 offset1:1
	s_waitcnt lgkmcnt(0)
	v_cmp_neq_f64_e32 vcc, 0, v[208:209]
	v_cmp_neq_f64_e64 s[2:3], 0, v[210:211]
	s_or_b64 s[2:3], vcc, s[2:3]
	s_and_b64 exec, exec, s[2:3]
	s_cbranch_execz .LBB107_161
; %bb.156:
	v_cmp_ngt_f64_e64 s[2:3], |v[208:209]|, |v[210:211]|
                                        ; implicit-def: $vgpr204_vgpr205
	s_and_saveexec_b64 s[10:11], s[2:3]
	s_xor_b64 s[2:3], exec, s[10:11]
                                        ; implicit-def: $vgpr206_vgpr207
	s_cbranch_execz .LBB107_158
; %bb.157:
	v_div_scale_f64 v[204:205], s[10:11], v[210:211], v[210:211], v[208:209]
	v_rcp_f64_e32 v[206:207], v[204:205]
	v_div_scale_f64 v[216:217], vcc, v[208:209], v[210:211], v[208:209]
	v_fma_f64 v[218:219], -v[204:205], v[206:207], 1.0
	v_fmac_f64_e32 v[206:207], v[206:207], v[218:219]
	v_fma_f64 v[218:219], -v[204:205], v[206:207], 1.0
	v_fmac_f64_e32 v[206:207], v[206:207], v[218:219]
	v_mul_f64 v[218:219], v[216:217], v[206:207]
	v_fma_f64 v[204:205], -v[204:205], v[218:219], v[216:217]
	v_div_fmas_f64 v[204:205], v[204:205], v[206:207], v[218:219]
	v_div_fixup_f64 v[204:205], v[204:205], v[210:211], v[208:209]
	v_fmac_f64_e32 v[210:211], v[208:209], v[204:205]
	v_div_scale_f64 v[206:207], s[10:11], v[210:211], v[210:211], 1.0
	v_rcp_f64_e32 v[208:209], v[206:207]
	s_nop 0
	v_fma_f64 v[216:217], -v[206:207], v[208:209], 1.0
	v_fmac_f64_e32 v[208:209], v[208:209], v[216:217]
	v_fma_f64 v[216:217], -v[206:207], v[208:209], 1.0
	v_fmac_f64_e32 v[208:209], v[208:209], v[216:217]
	v_div_scale_f64 v[216:217], vcc, 1.0, v[210:211], 1.0
	v_mul_f64 v[218:219], v[216:217], v[208:209]
	v_fma_f64 v[206:207], -v[206:207], v[218:219], v[216:217]
	s_nop 1
	v_div_fmas_f64 v[206:207], v[206:207], v[208:209], v[218:219]
	v_div_fixup_f64 v[206:207], v[206:207], v[210:211], 1.0
	v_mul_f64 v[204:205], v[204:205], v[206:207]
	v_xor_b32_e32 v207, 0x80000000, v207
                                        ; implicit-def: $vgpr208_vgpr209
.LBB107_158:
	s_andn2_saveexec_b64 s[2:3], s[2:3]
	s_cbranch_execz .LBB107_160
; %bb.159:
	v_div_scale_f64 v[204:205], s[10:11], v[208:209], v[208:209], v[210:211]
	v_rcp_f64_e32 v[206:207], v[204:205]
	v_div_scale_f64 v[216:217], vcc, v[210:211], v[208:209], v[210:211]
	v_fma_f64 v[218:219], -v[204:205], v[206:207], 1.0
	v_fmac_f64_e32 v[206:207], v[206:207], v[218:219]
	v_fma_f64 v[218:219], -v[204:205], v[206:207], 1.0
	v_fmac_f64_e32 v[206:207], v[206:207], v[218:219]
	v_mul_f64 v[218:219], v[216:217], v[206:207]
	v_fma_f64 v[204:205], -v[204:205], v[218:219], v[216:217]
	v_div_fmas_f64 v[204:205], v[204:205], v[206:207], v[218:219]
	v_div_fixup_f64 v[206:207], v[204:205], v[208:209], v[210:211]
	v_fmac_f64_e32 v[208:209], v[210:211], v[206:207]
	v_div_scale_f64 v[204:205], s[10:11], v[208:209], v[208:209], 1.0
	v_rcp_f64_e32 v[210:211], v[204:205]
	s_nop 0
	v_fma_f64 v[216:217], -v[204:205], v[210:211], 1.0
	v_fmac_f64_e32 v[210:211], v[210:211], v[216:217]
	v_fma_f64 v[216:217], -v[204:205], v[210:211], 1.0
	v_fmac_f64_e32 v[210:211], v[210:211], v[216:217]
	v_div_scale_f64 v[216:217], vcc, 1.0, v[208:209], 1.0
	v_mul_f64 v[218:219], v[216:217], v[210:211]
	v_fma_f64 v[204:205], -v[204:205], v[218:219], v[216:217]
	s_nop 1
	v_div_fmas_f64 v[204:205], v[204:205], v[210:211], v[218:219]
	v_div_fixup_f64 v[204:205], v[204:205], v[208:209], 1.0
	v_mul_f64 v[206:207], v[206:207], -v[204:205]
.LBB107_160:
	s_or_b64 exec, exec, s[2:3]
	ds_write2_b64 v201, v[204:205], v[206:207] offset1:1
.LBB107_161:
	s_or_b64 exec, exec, s[4:5]
	s_waitcnt lgkmcnt(0)
	s_barrier
	ds_read2_b64 v[192:195], v201 offset1:1
	v_cmp_lt_u32_e32 vcc, 17, v200
	s_waitcnt lgkmcnt(0)
	scratch_store_dwordx4 off, v[192:195], off offset:768 ; 16-byte Folded Spill
	s_and_saveexec_b64 s[2:3], vcc
	s_cbranch_execz .LBB107_163
; %bb.162:
	scratch_load_dwordx4 v[192:195], off, off offset:768 ; 16-byte Folded Reload
	s_waitcnt vmcnt(0)
	v_mul_f64 v[204:205], v[194:195], v[142:143]
	v_fma_f64 v[208:209], v[192:193], v[140:141], -v[204:205]
	ds_read2_b64 v[204:207], v202 offset0:36 offset1:37
	v_mul_f64 v[142:143], v[192:193], v[142:143]
	v_fmac_f64_e32 v[142:143], v[194:195], v[140:141]
	s_waitcnt lgkmcnt(0)
	v_mul_f64 v[140:141], v[206:207], v[142:143]
	v_fma_f64 v[140:141], v[204:205], v[208:209], -v[140:141]
	v_mul_f64 v[204:205], v[204:205], v[142:143]
	v_fmac_f64_e32 v[204:205], v[206:207], v[208:209]
	v_add_f64 v[138:139], v[138:139], -v[204:205]
	ds_read2_b64 v[204:207], v202 offset0:38 offset1:39
	v_add_f64 v[136:137], v[136:137], -v[140:141]
	s_waitcnt lgkmcnt(0)
	v_mul_f64 v[140:141], v[206:207], v[142:143]
	v_fma_f64 v[140:141], v[204:205], v[208:209], -v[140:141]
	v_mul_f64 v[204:205], v[204:205], v[142:143]
	v_fmac_f64_e32 v[204:205], v[206:207], v[208:209]
	v_add_f64 v[134:135], v[134:135], -v[204:205]
	ds_read2_b64 v[204:207], v202 offset0:40 offset1:41
	v_add_f64 v[132:133], v[132:133], -v[140:141]
	;; [unrolled: 8-line block ×35, first 2 shown]
	s_waitcnt lgkmcnt(0)
	v_mul_f64 v[140:141], v[206:207], v[142:143]
	v_fma_f64 v[140:141], v[204:205], v[208:209], -v[140:141]
	v_mul_f64 v[204:205], v[204:205], v[142:143]
	v_fmac_f64_e32 v[204:205], v[206:207], v[208:209]
	v_add_f64 v[212:213], v[212:213], -v[140:141]
	v_add_f64 v[214:215], v[214:215], -v[204:205]
	v_mov_b64_e32 v[140:141], v[208:209]
.LBB107_163:
	s_or_b64 exec, exec, s[2:3]
	v_cmp_eq_u32_e32 vcc, 18, v200
	s_waitcnt vmcnt(63) expcnt(7) lgkmcnt(15)
	s_barrier
	s_and_saveexec_b64 s[4:5], vcc
	s_cbranch_execz .LBB107_170
; %bb.164:
	ds_write2_b64 v201, v[136:137], v[138:139] offset1:1
	ds_write2_b64 v202, v[132:133], v[134:135] offset0:38 offset1:39
	ds_write2_b64 v202, v[128:129], v[130:131] offset0:40 offset1:41
	;; [unrolled: 1-line block ×18, first 2 shown]
	s_waitcnt vmcnt(48)
	ds_write2_b64 v202, v[60:61], v[62:63] offset0:74 offset1:75
	s_waitcnt vmcnt(47)
	ds_write2_b64 v202, v[56:57], v[58:59] offset0:76 offset1:77
	;; [unrolled: 2-line block ×12, first 2 shown]
	ds_write2_b64 v202, v[12:13], v[14:15] offset0:98 offset1:99
	ds_write2_b64 v202, v[8:9], v[10:11] offset0:100 offset1:101
	;; [unrolled: 1-line block ×3, first 2 shown]
	s_waitcnt vmcnt(36)
	ds_write2_b64 v202, v[0:1], v[2:3] offset0:104 offset1:105
	s_waitcnt vmcnt(33)
	ds_write2_b64 v202, v[212:213], v[214:215] offset0:106 offset1:107
	ds_read2_b64 v[208:211], v201 offset1:1
	s_waitcnt lgkmcnt(0)
	v_cmp_neq_f64_e32 vcc, 0, v[208:209]
	v_cmp_neq_f64_e64 s[2:3], 0, v[210:211]
	s_or_b64 s[2:3], vcc, s[2:3]
	s_and_b64 exec, exec, s[2:3]
	s_cbranch_execz .LBB107_170
; %bb.165:
	v_cmp_ngt_f64_e64 s[2:3], |v[208:209]|, |v[210:211]|
                                        ; implicit-def: $vgpr204_vgpr205
	s_and_saveexec_b64 s[10:11], s[2:3]
	s_xor_b64 s[2:3], exec, s[10:11]
                                        ; implicit-def: $vgpr206_vgpr207
	s_cbranch_execz .LBB107_167
; %bb.166:
	v_div_scale_f64 v[204:205], s[10:11], v[210:211], v[210:211], v[208:209]
	v_rcp_f64_e32 v[206:207], v[204:205]
	v_div_scale_f64 v[216:217], vcc, v[208:209], v[210:211], v[208:209]
	v_fma_f64 v[218:219], -v[204:205], v[206:207], 1.0
	v_fmac_f64_e32 v[206:207], v[206:207], v[218:219]
	v_fma_f64 v[218:219], -v[204:205], v[206:207], 1.0
	v_fmac_f64_e32 v[206:207], v[206:207], v[218:219]
	v_mul_f64 v[218:219], v[216:217], v[206:207]
	v_fma_f64 v[204:205], -v[204:205], v[218:219], v[216:217]
	v_div_fmas_f64 v[204:205], v[204:205], v[206:207], v[218:219]
	v_div_fixup_f64 v[204:205], v[204:205], v[210:211], v[208:209]
	v_fmac_f64_e32 v[210:211], v[208:209], v[204:205]
	v_div_scale_f64 v[206:207], s[10:11], v[210:211], v[210:211], 1.0
	v_rcp_f64_e32 v[208:209], v[206:207]
	s_nop 0
	v_fma_f64 v[216:217], -v[206:207], v[208:209], 1.0
	v_fmac_f64_e32 v[208:209], v[208:209], v[216:217]
	v_fma_f64 v[216:217], -v[206:207], v[208:209], 1.0
	v_fmac_f64_e32 v[208:209], v[208:209], v[216:217]
	v_div_scale_f64 v[216:217], vcc, 1.0, v[210:211], 1.0
	v_mul_f64 v[218:219], v[216:217], v[208:209]
	v_fma_f64 v[206:207], -v[206:207], v[218:219], v[216:217]
	s_nop 1
	v_div_fmas_f64 v[206:207], v[206:207], v[208:209], v[218:219]
	v_div_fixup_f64 v[206:207], v[206:207], v[210:211], 1.0
	v_mul_f64 v[204:205], v[204:205], v[206:207]
	v_xor_b32_e32 v207, 0x80000000, v207
                                        ; implicit-def: $vgpr208_vgpr209
.LBB107_167:
	s_andn2_saveexec_b64 s[2:3], s[2:3]
	s_cbranch_execz .LBB107_169
; %bb.168:
	v_div_scale_f64 v[204:205], s[10:11], v[208:209], v[208:209], v[210:211]
	v_rcp_f64_e32 v[206:207], v[204:205]
	v_div_scale_f64 v[216:217], vcc, v[210:211], v[208:209], v[210:211]
	v_fma_f64 v[218:219], -v[204:205], v[206:207], 1.0
	v_fmac_f64_e32 v[206:207], v[206:207], v[218:219]
	v_fma_f64 v[218:219], -v[204:205], v[206:207], 1.0
	v_fmac_f64_e32 v[206:207], v[206:207], v[218:219]
	v_mul_f64 v[218:219], v[216:217], v[206:207]
	v_fma_f64 v[204:205], -v[204:205], v[218:219], v[216:217]
	v_div_fmas_f64 v[204:205], v[204:205], v[206:207], v[218:219]
	v_div_fixup_f64 v[206:207], v[204:205], v[208:209], v[210:211]
	v_fmac_f64_e32 v[208:209], v[210:211], v[206:207]
	v_div_scale_f64 v[204:205], s[10:11], v[208:209], v[208:209], 1.0
	v_rcp_f64_e32 v[210:211], v[204:205]
	s_nop 0
	v_fma_f64 v[216:217], -v[204:205], v[210:211], 1.0
	v_fmac_f64_e32 v[210:211], v[210:211], v[216:217]
	v_fma_f64 v[216:217], -v[204:205], v[210:211], 1.0
	v_fmac_f64_e32 v[210:211], v[210:211], v[216:217]
	v_div_scale_f64 v[216:217], vcc, 1.0, v[208:209], 1.0
	v_mul_f64 v[218:219], v[216:217], v[210:211]
	v_fma_f64 v[204:205], -v[204:205], v[218:219], v[216:217]
	s_nop 1
	v_div_fmas_f64 v[204:205], v[204:205], v[210:211], v[218:219]
	v_div_fixup_f64 v[204:205], v[204:205], v[208:209], 1.0
	v_mul_f64 v[206:207], v[206:207], -v[204:205]
.LBB107_169:
	s_or_b64 exec, exec, s[2:3]
	ds_write2_b64 v201, v[204:205], v[206:207] offset1:1
.LBB107_170:
	s_or_b64 exec, exec, s[4:5]
	s_waitcnt lgkmcnt(0)
	s_barrier
	ds_read2_b64 v[192:195], v201 offset1:1
	v_cmp_lt_u32_e32 vcc, 18, v200
	s_waitcnt lgkmcnt(0)
	scratch_store_dwordx4 off, v[192:195], off offset:784 ; 16-byte Folded Spill
	s_and_saveexec_b64 s[2:3], vcc
	s_cbranch_execz .LBB107_172
; %bb.171:
	scratch_load_dwordx4 v[192:195], off, off offset:784 ; 16-byte Folded Reload
	s_waitcnt vmcnt(0)
	v_mul_f64 v[204:205], v[194:195], v[138:139]
	v_fma_f64 v[208:209], v[192:193], v[136:137], -v[204:205]
	ds_read2_b64 v[204:207], v202 offset0:38 offset1:39
	v_mul_f64 v[138:139], v[192:193], v[138:139]
	v_fmac_f64_e32 v[138:139], v[194:195], v[136:137]
	s_waitcnt lgkmcnt(0)
	v_mul_f64 v[136:137], v[206:207], v[138:139]
	v_fma_f64 v[136:137], v[204:205], v[208:209], -v[136:137]
	v_mul_f64 v[204:205], v[204:205], v[138:139]
	v_fmac_f64_e32 v[204:205], v[206:207], v[208:209]
	v_add_f64 v[134:135], v[134:135], -v[204:205]
	ds_read2_b64 v[204:207], v202 offset0:40 offset1:41
	v_add_f64 v[132:133], v[132:133], -v[136:137]
	s_waitcnt lgkmcnt(0)
	v_mul_f64 v[136:137], v[206:207], v[138:139]
	v_fma_f64 v[136:137], v[204:205], v[208:209], -v[136:137]
	v_mul_f64 v[204:205], v[204:205], v[138:139]
	v_fmac_f64_e32 v[204:205], v[206:207], v[208:209]
	v_add_f64 v[130:131], v[130:131], -v[204:205]
	ds_read2_b64 v[204:207], v202 offset0:42 offset1:43
	v_add_f64 v[128:129], v[128:129], -v[136:137]
	;; [unrolled: 8-line block ×34, first 2 shown]
	s_waitcnt lgkmcnt(0)
	v_mul_f64 v[136:137], v[206:207], v[138:139]
	v_fma_f64 v[136:137], v[204:205], v[208:209], -v[136:137]
	v_mul_f64 v[204:205], v[204:205], v[138:139]
	v_fmac_f64_e32 v[204:205], v[206:207], v[208:209]
	v_add_f64 v[212:213], v[212:213], -v[136:137]
	v_add_f64 v[214:215], v[214:215], -v[204:205]
	v_mov_b64_e32 v[136:137], v[208:209]
.LBB107_172:
	s_or_b64 exec, exec, s[2:3]
	v_cmp_eq_u32_e32 vcc, 19, v200
	s_waitcnt vmcnt(63) expcnt(7) lgkmcnt(15)
	s_barrier
	s_and_saveexec_b64 s[4:5], vcc
	s_cbranch_execz .LBB107_179
; %bb.173:
	ds_write2_b64 v201, v[132:133], v[134:135] offset1:1
	ds_write2_b64 v202, v[128:129], v[130:131] offset0:40 offset1:41
	ds_write2_b64 v202, v[124:125], v[126:127] offset0:42 offset1:43
	;; [unrolled: 1-line block ×17, first 2 shown]
	s_waitcnt vmcnt(49)
	ds_write2_b64 v202, v[60:61], v[62:63] offset0:74 offset1:75
	s_waitcnt vmcnt(48)
	ds_write2_b64 v202, v[56:57], v[58:59] offset0:76 offset1:77
	;; [unrolled: 2-line block ×12, first 2 shown]
	ds_write2_b64 v202, v[12:13], v[14:15] offset0:98 offset1:99
	ds_write2_b64 v202, v[8:9], v[10:11] offset0:100 offset1:101
	;; [unrolled: 1-line block ×3, first 2 shown]
	s_waitcnt vmcnt(37)
	ds_write2_b64 v202, v[0:1], v[2:3] offset0:104 offset1:105
	s_waitcnt vmcnt(34)
	ds_write2_b64 v202, v[212:213], v[214:215] offset0:106 offset1:107
	ds_read2_b64 v[208:211], v201 offset1:1
	s_waitcnt lgkmcnt(0)
	v_cmp_neq_f64_e32 vcc, 0, v[208:209]
	v_cmp_neq_f64_e64 s[2:3], 0, v[210:211]
	s_or_b64 s[2:3], vcc, s[2:3]
	s_and_b64 exec, exec, s[2:3]
	s_cbranch_execz .LBB107_179
; %bb.174:
	v_cmp_ngt_f64_e64 s[2:3], |v[208:209]|, |v[210:211]|
                                        ; implicit-def: $vgpr204_vgpr205
	s_and_saveexec_b64 s[10:11], s[2:3]
	s_xor_b64 s[2:3], exec, s[10:11]
                                        ; implicit-def: $vgpr206_vgpr207
	s_cbranch_execz .LBB107_176
; %bb.175:
	v_div_scale_f64 v[204:205], s[10:11], v[210:211], v[210:211], v[208:209]
	v_rcp_f64_e32 v[206:207], v[204:205]
	v_div_scale_f64 v[216:217], vcc, v[208:209], v[210:211], v[208:209]
	v_fma_f64 v[218:219], -v[204:205], v[206:207], 1.0
	v_fmac_f64_e32 v[206:207], v[206:207], v[218:219]
	v_fma_f64 v[218:219], -v[204:205], v[206:207], 1.0
	v_fmac_f64_e32 v[206:207], v[206:207], v[218:219]
	v_mul_f64 v[218:219], v[216:217], v[206:207]
	v_fma_f64 v[204:205], -v[204:205], v[218:219], v[216:217]
	v_div_fmas_f64 v[204:205], v[204:205], v[206:207], v[218:219]
	v_div_fixup_f64 v[204:205], v[204:205], v[210:211], v[208:209]
	v_fmac_f64_e32 v[210:211], v[208:209], v[204:205]
	v_div_scale_f64 v[206:207], s[10:11], v[210:211], v[210:211], 1.0
	v_rcp_f64_e32 v[208:209], v[206:207]
	s_nop 0
	v_fma_f64 v[216:217], -v[206:207], v[208:209], 1.0
	v_fmac_f64_e32 v[208:209], v[208:209], v[216:217]
	v_fma_f64 v[216:217], -v[206:207], v[208:209], 1.0
	v_fmac_f64_e32 v[208:209], v[208:209], v[216:217]
	v_div_scale_f64 v[216:217], vcc, 1.0, v[210:211], 1.0
	v_mul_f64 v[218:219], v[216:217], v[208:209]
	v_fma_f64 v[206:207], -v[206:207], v[218:219], v[216:217]
	s_nop 1
	v_div_fmas_f64 v[206:207], v[206:207], v[208:209], v[218:219]
	v_div_fixup_f64 v[206:207], v[206:207], v[210:211], 1.0
	v_mul_f64 v[204:205], v[204:205], v[206:207]
	v_xor_b32_e32 v207, 0x80000000, v207
                                        ; implicit-def: $vgpr208_vgpr209
.LBB107_176:
	s_andn2_saveexec_b64 s[2:3], s[2:3]
	s_cbranch_execz .LBB107_178
; %bb.177:
	v_div_scale_f64 v[204:205], s[10:11], v[208:209], v[208:209], v[210:211]
	v_rcp_f64_e32 v[206:207], v[204:205]
	v_div_scale_f64 v[216:217], vcc, v[210:211], v[208:209], v[210:211]
	v_fma_f64 v[218:219], -v[204:205], v[206:207], 1.0
	v_fmac_f64_e32 v[206:207], v[206:207], v[218:219]
	v_fma_f64 v[218:219], -v[204:205], v[206:207], 1.0
	v_fmac_f64_e32 v[206:207], v[206:207], v[218:219]
	v_mul_f64 v[218:219], v[216:217], v[206:207]
	v_fma_f64 v[204:205], -v[204:205], v[218:219], v[216:217]
	v_div_fmas_f64 v[204:205], v[204:205], v[206:207], v[218:219]
	v_div_fixup_f64 v[206:207], v[204:205], v[208:209], v[210:211]
	v_fmac_f64_e32 v[208:209], v[210:211], v[206:207]
	v_div_scale_f64 v[204:205], s[10:11], v[208:209], v[208:209], 1.0
	v_rcp_f64_e32 v[210:211], v[204:205]
	s_nop 0
	v_fma_f64 v[216:217], -v[204:205], v[210:211], 1.0
	v_fmac_f64_e32 v[210:211], v[210:211], v[216:217]
	v_fma_f64 v[216:217], -v[204:205], v[210:211], 1.0
	v_fmac_f64_e32 v[210:211], v[210:211], v[216:217]
	v_div_scale_f64 v[216:217], vcc, 1.0, v[208:209], 1.0
	v_mul_f64 v[218:219], v[216:217], v[210:211]
	v_fma_f64 v[204:205], -v[204:205], v[218:219], v[216:217]
	s_nop 1
	v_div_fmas_f64 v[204:205], v[204:205], v[210:211], v[218:219]
	v_div_fixup_f64 v[204:205], v[204:205], v[208:209], 1.0
	v_mul_f64 v[206:207], v[206:207], -v[204:205]
.LBB107_178:
	s_or_b64 exec, exec, s[2:3]
	ds_write2_b64 v201, v[204:205], v[206:207] offset1:1
.LBB107_179:
	s_or_b64 exec, exec, s[4:5]
	s_waitcnt lgkmcnt(0)
	s_barrier
	ds_read2_b64 v[192:195], v201 offset1:1
	v_cmp_lt_u32_e32 vcc, 19, v200
	s_waitcnt lgkmcnt(0)
	scratch_store_dwordx4 off, v[192:195], off offset:800 ; 16-byte Folded Spill
	s_and_saveexec_b64 s[2:3], vcc
	s_cbranch_execz .LBB107_181
; %bb.180:
	scratch_load_dwordx4 v[192:195], off, off offset:800 ; 16-byte Folded Reload
	s_waitcnt vmcnt(0)
	v_mul_f64 v[204:205], v[194:195], v[134:135]
	v_fma_f64 v[208:209], v[192:193], v[132:133], -v[204:205]
	ds_read2_b64 v[204:207], v202 offset0:40 offset1:41
	v_mul_f64 v[134:135], v[192:193], v[134:135]
	v_fmac_f64_e32 v[134:135], v[194:195], v[132:133]
	s_waitcnt lgkmcnt(0)
	v_mul_f64 v[132:133], v[206:207], v[134:135]
	v_fma_f64 v[132:133], v[204:205], v[208:209], -v[132:133]
	v_mul_f64 v[204:205], v[204:205], v[134:135]
	v_fmac_f64_e32 v[204:205], v[206:207], v[208:209]
	v_add_f64 v[130:131], v[130:131], -v[204:205]
	ds_read2_b64 v[204:207], v202 offset0:42 offset1:43
	v_add_f64 v[128:129], v[128:129], -v[132:133]
	s_waitcnt lgkmcnt(0)
	v_mul_f64 v[132:133], v[206:207], v[134:135]
	v_fma_f64 v[132:133], v[204:205], v[208:209], -v[132:133]
	v_mul_f64 v[204:205], v[204:205], v[134:135]
	v_fmac_f64_e32 v[204:205], v[206:207], v[208:209]
	v_add_f64 v[126:127], v[126:127], -v[204:205]
	ds_read2_b64 v[204:207], v202 offset0:44 offset1:45
	v_add_f64 v[124:125], v[124:125], -v[132:133]
	;; [unrolled: 8-line block ×33, first 2 shown]
	s_waitcnt lgkmcnt(0)
	v_mul_f64 v[132:133], v[206:207], v[134:135]
	v_fma_f64 v[132:133], v[204:205], v[208:209], -v[132:133]
	v_mul_f64 v[204:205], v[204:205], v[134:135]
	v_fmac_f64_e32 v[204:205], v[206:207], v[208:209]
	v_add_f64 v[212:213], v[212:213], -v[132:133]
	v_add_f64 v[214:215], v[214:215], -v[204:205]
	v_mov_b64_e32 v[132:133], v[208:209]
.LBB107_181:
	s_or_b64 exec, exec, s[2:3]
	v_cmp_eq_u32_e32 vcc, 20, v200
	s_waitcnt vmcnt(63) expcnt(7) lgkmcnt(15)
	s_barrier
	s_and_saveexec_b64 s[4:5], vcc
	s_cbranch_execz .LBB107_188
; %bb.182:
	ds_write2_b64 v201, v[128:129], v[130:131] offset1:1
	ds_write2_b64 v202, v[124:125], v[126:127] offset0:42 offset1:43
	ds_write2_b64 v202, v[120:121], v[122:123] offset0:44 offset1:45
	;; [unrolled: 1-line block ×16, first 2 shown]
	s_waitcnt vmcnt(50)
	ds_write2_b64 v202, v[60:61], v[62:63] offset0:74 offset1:75
	s_waitcnt vmcnt(49)
	ds_write2_b64 v202, v[56:57], v[58:59] offset0:76 offset1:77
	;; [unrolled: 2-line block ×12, first 2 shown]
	ds_write2_b64 v202, v[12:13], v[14:15] offset0:98 offset1:99
	ds_write2_b64 v202, v[8:9], v[10:11] offset0:100 offset1:101
	;; [unrolled: 1-line block ×3, first 2 shown]
	s_waitcnt vmcnt(38)
	ds_write2_b64 v202, v[0:1], v[2:3] offset0:104 offset1:105
	s_waitcnt vmcnt(35)
	ds_write2_b64 v202, v[212:213], v[214:215] offset0:106 offset1:107
	ds_read2_b64 v[208:211], v201 offset1:1
	s_waitcnt lgkmcnt(0)
	v_cmp_neq_f64_e32 vcc, 0, v[208:209]
	v_cmp_neq_f64_e64 s[2:3], 0, v[210:211]
	s_or_b64 s[2:3], vcc, s[2:3]
	s_and_b64 exec, exec, s[2:3]
	s_cbranch_execz .LBB107_188
; %bb.183:
	v_cmp_ngt_f64_e64 s[2:3], |v[208:209]|, |v[210:211]|
                                        ; implicit-def: $vgpr204_vgpr205
	s_and_saveexec_b64 s[10:11], s[2:3]
	s_xor_b64 s[2:3], exec, s[10:11]
                                        ; implicit-def: $vgpr206_vgpr207
	s_cbranch_execz .LBB107_185
; %bb.184:
	v_div_scale_f64 v[204:205], s[10:11], v[210:211], v[210:211], v[208:209]
	v_rcp_f64_e32 v[206:207], v[204:205]
	v_div_scale_f64 v[216:217], vcc, v[208:209], v[210:211], v[208:209]
	v_fma_f64 v[218:219], -v[204:205], v[206:207], 1.0
	v_fmac_f64_e32 v[206:207], v[206:207], v[218:219]
	v_fma_f64 v[218:219], -v[204:205], v[206:207], 1.0
	v_fmac_f64_e32 v[206:207], v[206:207], v[218:219]
	v_mul_f64 v[218:219], v[216:217], v[206:207]
	v_fma_f64 v[204:205], -v[204:205], v[218:219], v[216:217]
	v_div_fmas_f64 v[204:205], v[204:205], v[206:207], v[218:219]
	v_div_fixup_f64 v[204:205], v[204:205], v[210:211], v[208:209]
	v_fmac_f64_e32 v[210:211], v[208:209], v[204:205]
	v_div_scale_f64 v[206:207], s[10:11], v[210:211], v[210:211], 1.0
	v_rcp_f64_e32 v[208:209], v[206:207]
	s_nop 0
	v_fma_f64 v[216:217], -v[206:207], v[208:209], 1.0
	v_fmac_f64_e32 v[208:209], v[208:209], v[216:217]
	v_fma_f64 v[216:217], -v[206:207], v[208:209], 1.0
	v_fmac_f64_e32 v[208:209], v[208:209], v[216:217]
	v_div_scale_f64 v[216:217], vcc, 1.0, v[210:211], 1.0
	v_mul_f64 v[218:219], v[216:217], v[208:209]
	v_fma_f64 v[206:207], -v[206:207], v[218:219], v[216:217]
	s_nop 1
	v_div_fmas_f64 v[206:207], v[206:207], v[208:209], v[218:219]
	v_div_fixup_f64 v[206:207], v[206:207], v[210:211], 1.0
	v_mul_f64 v[204:205], v[204:205], v[206:207]
	v_xor_b32_e32 v207, 0x80000000, v207
                                        ; implicit-def: $vgpr208_vgpr209
.LBB107_185:
	s_andn2_saveexec_b64 s[2:3], s[2:3]
	s_cbranch_execz .LBB107_187
; %bb.186:
	v_div_scale_f64 v[204:205], s[10:11], v[208:209], v[208:209], v[210:211]
	v_rcp_f64_e32 v[206:207], v[204:205]
	v_div_scale_f64 v[216:217], vcc, v[210:211], v[208:209], v[210:211]
	v_fma_f64 v[218:219], -v[204:205], v[206:207], 1.0
	v_fmac_f64_e32 v[206:207], v[206:207], v[218:219]
	v_fma_f64 v[218:219], -v[204:205], v[206:207], 1.0
	v_fmac_f64_e32 v[206:207], v[206:207], v[218:219]
	v_mul_f64 v[218:219], v[216:217], v[206:207]
	v_fma_f64 v[204:205], -v[204:205], v[218:219], v[216:217]
	v_div_fmas_f64 v[204:205], v[204:205], v[206:207], v[218:219]
	v_div_fixup_f64 v[206:207], v[204:205], v[208:209], v[210:211]
	v_fmac_f64_e32 v[208:209], v[210:211], v[206:207]
	v_div_scale_f64 v[204:205], s[10:11], v[208:209], v[208:209], 1.0
	v_rcp_f64_e32 v[210:211], v[204:205]
	s_nop 0
	v_fma_f64 v[216:217], -v[204:205], v[210:211], 1.0
	v_fmac_f64_e32 v[210:211], v[210:211], v[216:217]
	v_fma_f64 v[216:217], -v[204:205], v[210:211], 1.0
	v_fmac_f64_e32 v[210:211], v[210:211], v[216:217]
	v_div_scale_f64 v[216:217], vcc, 1.0, v[208:209], 1.0
	v_mul_f64 v[218:219], v[216:217], v[210:211]
	v_fma_f64 v[204:205], -v[204:205], v[218:219], v[216:217]
	s_nop 1
	v_div_fmas_f64 v[204:205], v[204:205], v[210:211], v[218:219]
	v_div_fixup_f64 v[204:205], v[204:205], v[208:209], 1.0
	v_mul_f64 v[206:207], v[206:207], -v[204:205]
.LBB107_187:
	s_or_b64 exec, exec, s[2:3]
	ds_write2_b64 v201, v[204:205], v[206:207] offset1:1
.LBB107_188:
	s_or_b64 exec, exec, s[4:5]
	s_waitcnt lgkmcnt(0)
	s_barrier
	ds_read2_b64 v[192:195], v201 offset1:1
	v_cmp_lt_u32_e32 vcc, 20, v200
	s_waitcnt lgkmcnt(0)
	scratch_store_dwordx4 off, v[192:195], off offset:816 ; 16-byte Folded Spill
	s_and_saveexec_b64 s[2:3], vcc
	s_cbranch_execz .LBB107_190
; %bb.189:
	scratch_load_dwordx4 v[192:195], off, off offset:816 ; 16-byte Folded Reload
	s_waitcnt vmcnt(0)
	v_mul_f64 v[204:205], v[194:195], v[130:131]
	v_fma_f64 v[208:209], v[192:193], v[128:129], -v[204:205]
	ds_read2_b64 v[204:207], v202 offset0:42 offset1:43
	v_mul_f64 v[130:131], v[192:193], v[130:131]
	v_fmac_f64_e32 v[130:131], v[194:195], v[128:129]
	s_waitcnt lgkmcnt(0)
	v_mul_f64 v[128:129], v[206:207], v[130:131]
	v_fma_f64 v[128:129], v[204:205], v[208:209], -v[128:129]
	v_mul_f64 v[204:205], v[204:205], v[130:131]
	v_fmac_f64_e32 v[204:205], v[206:207], v[208:209]
	v_add_f64 v[126:127], v[126:127], -v[204:205]
	ds_read2_b64 v[204:207], v202 offset0:44 offset1:45
	v_add_f64 v[124:125], v[124:125], -v[128:129]
	s_waitcnt lgkmcnt(0)
	v_mul_f64 v[128:129], v[206:207], v[130:131]
	v_fma_f64 v[128:129], v[204:205], v[208:209], -v[128:129]
	v_mul_f64 v[204:205], v[204:205], v[130:131]
	v_fmac_f64_e32 v[204:205], v[206:207], v[208:209]
	v_add_f64 v[122:123], v[122:123], -v[204:205]
	ds_read2_b64 v[204:207], v202 offset0:46 offset1:47
	v_add_f64 v[120:121], v[120:121], -v[128:129]
	;; [unrolled: 8-line block ×32, first 2 shown]
	s_waitcnt lgkmcnt(0)
	v_mul_f64 v[128:129], v[206:207], v[130:131]
	v_fma_f64 v[128:129], v[204:205], v[208:209], -v[128:129]
	v_mul_f64 v[204:205], v[204:205], v[130:131]
	v_fmac_f64_e32 v[204:205], v[206:207], v[208:209]
	v_add_f64 v[212:213], v[212:213], -v[128:129]
	v_add_f64 v[214:215], v[214:215], -v[204:205]
	v_mov_b64_e32 v[128:129], v[208:209]
.LBB107_190:
	s_or_b64 exec, exec, s[2:3]
	v_cmp_eq_u32_e32 vcc, 21, v200
	s_waitcnt vmcnt(63) expcnt(7) lgkmcnt(15)
	s_barrier
	s_and_saveexec_b64 s[4:5], vcc
	s_cbranch_execz .LBB107_197
; %bb.191:
	ds_write2_b64 v201, v[124:125], v[126:127] offset1:1
	ds_write2_b64 v202, v[120:121], v[122:123] offset0:44 offset1:45
	ds_write2_b64 v202, v[116:117], v[118:119] offset0:46 offset1:47
	;; [unrolled: 1-line block ×15, first 2 shown]
	s_waitcnt vmcnt(51)
	ds_write2_b64 v202, v[60:61], v[62:63] offset0:74 offset1:75
	s_waitcnt vmcnt(50)
	ds_write2_b64 v202, v[56:57], v[58:59] offset0:76 offset1:77
	;; [unrolled: 2-line block ×12, first 2 shown]
	ds_write2_b64 v202, v[12:13], v[14:15] offset0:98 offset1:99
	ds_write2_b64 v202, v[8:9], v[10:11] offset0:100 offset1:101
	;; [unrolled: 1-line block ×3, first 2 shown]
	s_waitcnt vmcnt(39)
	ds_write2_b64 v202, v[0:1], v[2:3] offset0:104 offset1:105
	s_waitcnt vmcnt(36)
	ds_write2_b64 v202, v[212:213], v[214:215] offset0:106 offset1:107
	ds_read2_b64 v[208:211], v201 offset1:1
	s_waitcnt lgkmcnt(0)
	v_cmp_neq_f64_e32 vcc, 0, v[208:209]
	v_cmp_neq_f64_e64 s[2:3], 0, v[210:211]
	s_or_b64 s[2:3], vcc, s[2:3]
	s_and_b64 exec, exec, s[2:3]
	s_cbranch_execz .LBB107_197
; %bb.192:
	v_cmp_ngt_f64_e64 s[2:3], |v[208:209]|, |v[210:211]|
                                        ; implicit-def: $vgpr204_vgpr205
	s_and_saveexec_b64 s[10:11], s[2:3]
	s_xor_b64 s[2:3], exec, s[10:11]
                                        ; implicit-def: $vgpr206_vgpr207
	s_cbranch_execz .LBB107_194
; %bb.193:
	v_div_scale_f64 v[204:205], s[10:11], v[210:211], v[210:211], v[208:209]
	v_rcp_f64_e32 v[206:207], v[204:205]
	v_div_scale_f64 v[216:217], vcc, v[208:209], v[210:211], v[208:209]
	v_fma_f64 v[218:219], -v[204:205], v[206:207], 1.0
	v_fmac_f64_e32 v[206:207], v[206:207], v[218:219]
	v_fma_f64 v[218:219], -v[204:205], v[206:207], 1.0
	v_fmac_f64_e32 v[206:207], v[206:207], v[218:219]
	v_mul_f64 v[218:219], v[216:217], v[206:207]
	v_fma_f64 v[204:205], -v[204:205], v[218:219], v[216:217]
	v_div_fmas_f64 v[204:205], v[204:205], v[206:207], v[218:219]
	v_div_fixup_f64 v[204:205], v[204:205], v[210:211], v[208:209]
	v_fmac_f64_e32 v[210:211], v[208:209], v[204:205]
	v_div_scale_f64 v[206:207], s[10:11], v[210:211], v[210:211], 1.0
	v_rcp_f64_e32 v[208:209], v[206:207]
	s_nop 0
	v_fma_f64 v[216:217], -v[206:207], v[208:209], 1.0
	v_fmac_f64_e32 v[208:209], v[208:209], v[216:217]
	v_fma_f64 v[216:217], -v[206:207], v[208:209], 1.0
	v_fmac_f64_e32 v[208:209], v[208:209], v[216:217]
	v_div_scale_f64 v[216:217], vcc, 1.0, v[210:211], 1.0
	v_mul_f64 v[218:219], v[216:217], v[208:209]
	v_fma_f64 v[206:207], -v[206:207], v[218:219], v[216:217]
	s_nop 1
	v_div_fmas_f64 v[206:207], v[206:207], v[208:209], v[218:219]
	v_div_fixup_f64 v[206:207], v[206:207], v[210:211], 1.0
	v_mul_f64 v[204:205], v[204:205], v[206:207]
	v_xor_b32_e32 v207, 0x80000000, v207
                                        ; implicit-def: $vgpr208_vgpr209
.LBB107_194:
	s_andn2_saveexec_b64 s[2:3], s[2:3]
	s_cbranch_execz .LBB107_196
; %bb.195:
	v_div_scale_f64 v[204:205], s[10:11], v[208:209], v[208:209], v[210:211]
	v_rcp_f64_e32 v[206:207], v[204:205]
	v_div_scale_f64 v[216:217], vcc, v[210:211], v[208:209], v[210:211]
	v_fma_f64 v[218:219], -v[204:205], v[206:207], 1.0
	v_fmac_f64_e32 v[206:207], v[206:207], v[218:219]
	v_fma_f64 v[218:219], -v[204:205], v[206:207], 1.0
	v_fmac_f64_e32 v[206:207], v[206:207], v[218:219]
	v_mul_f64 v[218:219], v[216:217], v[206:207]
	v_fma_f64 v[204:205], -v[204:205], v[218:219], v[216:217]
	v_div_fmas_f64 v[204:205], v[204:205], v[206:207], v[218:219]
	v_div_fixup_f64 v[206:207], v[204:205], v[208:209], v[210:211]
	v_fmac_f64_e32 v[208:209], v[210:211], v[206:207]
	v_div_scale_f64 v[204:205], s[10:11], v[208:209], v[208:209], 1.0
	v_rcp_f64_e32 v[210:211], v[204:205]
	s_nop 0
	v_fma_f64 v[216:217], -v[204:205], v[210:211], 1.0
	v_fmac_f64_e32 v[210:211], v[210:211], v[216:217]
	v_fma_f64 v[216:217], -v[204:205], v[210:211], 1.0
	v_fmac_f64_e32 v[210:211], v[210:211], v[216:217]
	v_div_scale_f64 v[216:217], vcc, 1.0, v[208:209], 1.0
	v_mul_f64 v[218:219], v[216:217], v[210:211]
	v_fma_f64 v[204:205], -v[204:205], v[218:219], v[216:217]
	s_nop 1
	v_div_fmas_f64 v[204:205], v[204:205], v[210:211], v[218:219]
	v_div_fixup_f64 v[204:205], v[204:205], v[208:209], 1.0
	v_mul_f64 v[206:207], v[206:207], -v[204:205]
.LBB107_196:
	s_or_b64 exec, exec, s[2:3]
	ds_write2_b64 v201, v[204:205], v[206:207] offset1:1
.LBB107_197:
	s_or_b64 exec, exec, s[4:5]
	s_waitcnt lgkmcnt(0)
	s_barrier
	ds_read2_b64 v[192:195], v201 offset1:1
	v_cmp_lt_u32_e32 vcc, 21, v200
	s_waitcnt lgkmcnt(0)
	scratch_store_dwordx4 off, v[192:195], off offset:832 ; 16-byte Folded Spill
	s_and_saveexec_b64 s[2:3], vcc
	s_cbranch_execz .LBB107_199
; %bb.198:
	scratch_load_dwordx4 v[192:195], off, off offset:832 ; 16-byte Folded Reload
	s_waitcnt vmcnt(0)
	v_mul_f64 v[204:205], v[194:195], v[126:127]
	v_fma_f64 v[208:209], v[192:193], v[124:125], -v[204:205]
	ds_read2_b64 v[204:207], v202 offset0:44 offset1:45
	v_mul_f64 v[126:127], v[192:193], v[126:127]
	v_fmac_f64_e32 v[126:127], v[194:195], v[124:125]
	s_waitcnt lgkmcnt(0)
	v_mul_f64 v[124:125], v[206:207], v[126:127]
	v_fma_f64 v[124:125], v[204:205], v[208:209], -v[124:125]
	v_mul_f64 v[204:205], v[204:205], v[126:127]
	v_fmac_f64_e32 v[204:205], v[206:207], v[208:209]
	v_add_f64 v[122:123], v[122:123], -v[204:205]
	ds_read2_b64 v[204:207], v202 offset0:46 offset1:47
	v_add_f64 v[120:121], v[120:121], -v[124:125]
	s_waitcnt lgkmcnt(0)
	v_mul_f64 v[124:125], v[206:207], v[126:127]
	v_fma_f64 v[124:125], v[204:205], v[208:209], -v[124:125]
	v_mul_f64 v[204:205], v[204:205], v[126:127]
	v_fmac_f64_e32 v[204:205], v[206:207], v[208:209]
	v_add_f64 v[118:119], v[118:119], -v[204:205]
	ds_read2_b64 v[204:207], v202 offset0:48 offset1:49
	v_add_f64 v[116:117], v[116:117], -v[124:125]
	;; [unrolled: 8-line block ×31, first 2 shown]
	s_waitcnt lgkmcnt(0)
	v_mul_f64 v[124:125], v[206:207], v[126:127]
	v_fma_f64 v[124:125], v[204:205], v[208:209], -v[124:125]
	v_mul_f64 v[204:205], v[204:205], v[126:127]
	v_fmac_f64_e32 v[204:205], v[206:207], v[208:209]
	v_add_f64 v[212:213], v[212:213], -v[124:125]
	v_add_f64 v[214:215], v[214:215], -v[204:205]
	v_mov_b64_e32 v[124:125], v[208:209]
.LBB107_199:
	s_or_b64 exec, exec, s[2:3]
	v_cmp_eq_u32_e32 vcc, 22, v200
	s_waitcnt vmcnt(63) expcnt(7) lgkmcnt(15)
	s_barrier
	s_and_saveexec_b64 s[4:5], vcc
	s_cbranch_execz .LBB107_206
; %bb.200:
	ds_write2_b64 v201, v[120:121], v[122:123] offset1:1
	ds_write2_b64 v202, v[116:117], v[118:119] offset0:46 offset1:47
	ds_write2_b64 v202, v[112:113], v[114:115] offset0:48 offset1:49
	;; [unrolled: 1-line block ×14, first 2 shown]
	s_waitcnt vmcnt(52)
	ds_write2_b64 v202, v[60:61], v[62:63] offset0:74 offset1:75
	s_waitcnt vmcnt(51)
	ds_write2_b64 v202, v[56:57], v[58:59] offset0:76 offset1:77
	;; [unrolled: 2-line block ×12, first 2 shown]
	ds_write2_b64 v202, v[12:13], v[14:15] offset0:98 offset1:99
	ds_write2_b64 v202, v[8:9], v[10:11] offset0:100 offset1:101
	;; [unrolled: 1-line block ×3, first 2 shown]
	s_waitcnt vmcnt(40)
	ds_write2_b64 v202, v[0:1], v[2:3] offset0:104 offset1:105
	s_waitcnt vmcnt(37)
	ds_write2_b64 v202, v[212:213], v[214:215] offset0:106 offset1:107
	ds_read2_b64 v[208:211], v201 offset1:1
	s_waitcnt lgkmcnt(0)
	v_cmp_neq_f64_e32 vcc, 0, v[208:209]
	v_cmp_neq_f64_e64 s[2:3], 0, v[210:211]
	s_or_b64 s[2:3], vcc, s[2:3]
	s_and_b64 exec, exec, s[2:3]
	s_cbranch_execz .LBB107_206
; %bb.201:
	v_cmp_ngt_f64_e64 s[2:3], |v[208:209]|, |v[210:211]|
                                        ; implicit-def: $vgpr204_vgpr205
	s_and_saveexec_b64 s[10:11], s[2:3]
	s_xor_b64 s[2:3], exec, s[10:11]
                                        ; implicit-def: $vgpr206_vgpr207
	s_cbranch_execz .LBB107_203
; %bb.202:
	v_div_scale_f64 v[204:205], s[10:11], v[210:211], v[210:211], v[208:209]
	v_rcp_f64_e32 v[206:207], v[204:205]
	v_div_scale_f64 v[216:217], vcc, v[208:209], v[210:211], v[208:209]
	v_fma_f64 v[218:219], -v[204:205], v[206:207], 1.0
	v_fmac_f64_e32 v[206:207], v[206:207], v[218:219]
	v_fma_f64 v[218:219], -v[204:205], v[206:207], 1.0
	v_fmac_f64_e32 v[206:207], v[206:207], v[218:219]
	v_mul_f64 v[218:219], v[216:217], v[206:207]
	v_fma_f64 v[204:205], -v[204:205], v[218:219], v[216:217]
	v_div_fmas_f64 v[204:205], v[204:205], v[206:207], v[218:219]
	v_div_fixup_f64 v[204:205], v[204:205], v[210:211], v[208:209]
	v_fmac_f64_e32 v[210:211], v[208:209], v[204:205]
	v_div_scale_f64 v[206:207], s[10:11], v[210:211], v[210:211], 1.0
	v_rcp_f64_e32 v[208:209], v[206:207]
	s_nop 0
	v_fma_f64 v[216:217], -v[206:207], v[208:209], 1.0
	v_fmac_f64_e32 v[208:209], v[208:209], v[216:217]
	v_fma_f64 v[216:217], -v[206:207], v[208:209], 1.0
	v_fmac_f64_e32 v[208:209], v[208:209], v[216:217]
	v_div_scale_f64 v[216:217], vcc, 1.0, v[210:211], 1.0
	v_mul_f64 v[218:219], v[216:217], v[208:209]
	v_fma_f64 v[206:207], -v[206:207], v[218:219], v[216:217]
	s_nop 1
	v_div_fmas_f64 v[206:207], v[206:207], v[208:209], v[218:219]
	v_div_fixup_f64 v[206:207], v[206:207], v[210:211], 1.0
	v_mul_f64 v[204:205], v[204:205], v[206:207]
	v_xor_b32_e32 v207, 0x80000000, v207
                                        ; implicit-def: $vgpr208_vgpr209
.LBB107_203:
	s_andn2_saveexec_b64 s[2:3], s[2:3]
	s_cbranch_execz .LBB107_205
; %bb.204:
	v_div_scale_f64 v[204:205], s[10:11], v[208:209], v[208:209], v[210:211]
	v_rcp_f64_e32 v[206:207], v[204:205]
	v_div_scale_f64 v[216:217], vcc, v[210:211], v[208:209], v[210:211]
	v_fma_f64 v[218:219], -v[204:205], v[206:207], 1.0
	v_fmac_f64_e32 v[206:207], v[206:207], v[218:219]
	v_fma_f64 v[218:219], -v[204:205], v[206:207], 1.0
	v_fmac_f64_e32 v[206:207], v[206:207], v[218:219]
	v_mul_f64 v[218:219], v[216:217], v[206:207]
	v_fma_f64 v[204:205], -v[204:205], v[218:219], v[216:217]
	v_div_fmas_f64 v[204:205], v[204:205], v[206:207], v[218:219]
	v_div_fixup_f64 v[206:207], v[204:205], v[208:209], v[210:211]
	v_fmac_f64_e32 v[208:209], v[210:211], v[206:207]
	v_div_scale_f64 v[204:205], s[10:11], v[208:209], v[208:209], 1.0
	v_rcp_f64_e32 v[210:211], v[204:205]
	s_nop 0
	v_fma_f64 v[216:217], -v[204:205], v[210:211], 1.0
	v_fmac_f64_e32 v[210:211], v[210:211], v[216:217]
	v_fma_f64 v[216:217], -v[204:205], v[210:211], 1.0
	v_fmac_f64_e32 v[210:211], v[210:211], v[216:217]
	v_div_scale_f64 v[216:217], vcc, 1.0, v[208:209], 1.0
	v_mul_f64 v[218:219], v[216:217], v[210:211]
	v_fma_f64 v[204:205], -v[204:205], v[218:219], v[216:217]
	s_nop 1
	v_div_fmas_f64 v[204:205], v[204:205], v[210:211], v[218:219]
	v_div_fixup_f64 v[204:205], v[204:205], v[208:209], 1.0
	v_mul_f64 v[206:207], v[206:207], -v[204:205]
.LBB107_205:
	s_or_b64 exec, exec, s[2:3]
	ds_write2_b64 v201, v[204:205], v[206:207] offset1:1
.LBB107_206:
	s_or_b64 exec, exec, s[4:5]
	s_waitcnt lgkmcnt(0)
	s_barrier
	ds_read2_b64 v[192:195], v201 offset1:1
	v_cmp_lt_u32_e32 vcc, 22, v200
	s_waitcnt lgkmcnt(0)
	scratch_store_dwordx4 off, v[192:195], off offset:848 ; 16-byte Folded Spill
	s_and_saveexec_b64 s[2:3], vcc
	s_cbranch_execz .LBB107_208
; %bb.207:
	scratch_load_dwordx4 v[192:195], off, off offset:848 ; 16-byte Folded Reload
	s_waitcnt vmcnt(0)
	v_mul_f64 v[204:205], v[194:195], v[122:123]
	v_fma_f64 v[208:209], v[192:193], v[120:121], -v[204:205]
	ds_read2_b64 v[204:207], v202 offset0:46 offset1:47
	v_mul_f64 v[122:123], v[192:193], v[122:123]
	v_fmac_f64_e32 v[122:123], v[194:195], v[120:121]
	s_waitcnt lgkmcnt(0)
	v_mul_f64 v[120:121], v[206:207], v[122:123]
	v_fma_f64 v[120:121], v[204:205], v[208:209], -v[120:121]
	v_mul_f64 v[204:205], v[204:205], v[122:123]
	v_fmac_f64_e32 v[204:205], v[206:207], v[208:209]
	v_add_f64 v[118:119], v[118:119], -v[204:205]
	ds_read2_b64 v[204:207], v202 offset0:48 offset1:49
	v_add_f64 v[116:117], v[116:117], -v[120:121]
	s_waitcnt lgkmcnt(0)
	v_mul_f64 v[120:121], v[206:207], v[122:123]
	v_fma_f64 v[120:121], v[204:205], v[208:209], -v[120:121]
	v_mul_f64 v[204:205], v[204:205], v[122:123]
	v_fmac_f64_e32 v[204:205], v[206:207], v[208:209]
	v_add_f64 v[114:115], v[114:115], -v[204:205]
	ds_read2_b64 v[204:207], v202 offset0:50 offset1:51
	v_add_f64 v[112:113], v[112:113], -v[120:121]
	;; [unrolled: 8-line block ×30, first 2 shown]
	s_waitcnt lgkmcnt(0)
	v_mul_f64 v[120:121], v[206:207], v[122:123]
	v_fma_f64 v[120:121], v[204:205], v[208:209], -v[120:121]
	v_mul_f64 v[204:205], v[204:205], v[122:123]
	v_fmac_f64_e32 v[204:205], v[206:207], v[208:209]
	v_add_f64 v[212:213], v[212:213], -v[120:121]
	v_add_f64 v[214:215], v[214:215], -v[204:205]
	v_mov_b64_e32 v[120:121], v[208:209]
.LBB107_208:
	s_or_b64 exec, exec, s[2:3]
	v_cmp_eq_u32_e32 vcc, 23, v200
	s_waitcnt vmcnt(63) expcnt(7) lgkmcnt(15)
	s_barrier
	s_and_saveexec_b64 s[4:5], vcc
	s_cbranch_execz .LBB107_215
; %bb.209:
	ds_write2_b64 v201, v[116:117], v[118:119] offset1:1
	ds_write2_b64 v202, v[112:113], v[114:115] offset0:48 offset1:49
	ds_write2_b64 v202, v[108:109], v[110:111] offset0:50 offset1:51
	;; [unrolled: 1-line block ×13, first 2 shown]
	s_waitcnt vmcnt(53)
	ds_write2_b64 v202, v[60:61], v[62:63] offset0:74 offset1:75
	s_waitcnt vmcnt(52)
	ds_write2_b64 v202, v[56:57], v[58:59] offset0:76 offset1:77
	s_waitcnt vmcnt(51)
	ds_write2_b64 v202, v[52:53], v[54:55] offset0:78 offset1:79
	s_waitcnt vmcnt(50)
	ds_write2_b64 v202, v[48:49], v[50:51] offset0:80 offset1:81
	s_waitcnt vmcnt(49)
	ds_write2_b64 v202, v[44:45], v[46:47] offset0:82 offset1:83
	s_waitcnt vmcnt(48)
	ds_write2_b64 v202, v[40:41], v[42:43] offset0:84 offset1:85
	s_waitcnt vmcnt(47)
	ds_write2_b64 v202, v[36:37], v[38:39] offset0:86 offset1:87
	s_waitcnt vmcnt(46)
	ds_write2_b64 v202, v[32:33], v[34:35] offset0:88 offset1:89
	s_waitcnt vmcnt(45)
	ds_write2_b64 v202, v[28:29], v[30:31] offset0:90 offset1:91
	s_waitcnt vmcnt(44)
	ds_write2_b64 v202, v[24:25], v[26:27] offset0:92 offset1:93
	s_waitcnt vmcnt(43)
	ds_write2_b64 v202, v[20:21], v[22:23] offset0:94 offset1:95
	s_waitcnt vmcnt(42)
	ds_write2_b64 v202, v[16:17], v[18:19] offset0:96 offset1:97
	ds_write2_b64 v202, v[12:13], v[14:15] offset0:98 offset1:99
	ds_write2_b64 v202, v[8:9], v[10:11] offset0:100 offset1:101
	;; [unrolled: 1-line block ×3, first 2 shown]
	s_waitcnt vmcnt(41)
	ds_write2_b64 v202, v[0:1], v[2:3] offset0:104 offset1:105
	s_waitcnt vmcnt(38)
	ds_write2_b64 v202, v[212:213], v[214:215] offset0:106 offset1:107
	ds_read2_b64 v[208:211], v201 offset1:1
	s_waitcnt lgkmcnt(0)
	v_cmp_neq_f64_e32 vcc, 0, v[208:209]
	v_cmp_neq_f64_e64 s[2:3], 0, v[210:211]
	s_or_b64 s[2:3], vcc, s[2:3]
	s_and_b64 exec, exec, s[2:3]
	s_cbranch_execz .LBB107_215
; %bb.210:
	v_cmp_ngt_f64_e64 s[2:3], |v[208:209]|, |v[210:211]|
                                        ; implicit-def: $vgpr204_vgpr205
	s_and_saveexec_b64 s[10:11], s[2:3]
	s_xor_b64 s[2:3], exec, s[10:11]
                                        ; implicit-def: $vgpr206_vgpr207
	s_cbranch_execz .LBB107_212
; %bb.211:
	v_div_scale_f64 v[204:205], s[10:11], v[210:211], v[210:211], v[208:209]
	v_rcp_f64_e32 v[206:207], v[204:205]
	v_div_scale_f64 v[216:217], vcc, v[208:209], v[210:211], v[208:209]
	v_fma_f64 v[218:219], -v[204:205], v[206:207], 1.0
	v_fmac_f64_e32 v[206:207], v[206:207], v[218:219]
	v_fma_f64 v[218:219], -v[204:205], v[206:207], 1.0
	v_fmac_f64_e32 v[206:207], v[206:207], v[218:219]
	v_mul_f64 v[218:219], v[216:217], v[206:207]
	v_fma_f64 v[204:205], -v[204:205], v[218:219], v[216:217]
	v_div_fmas_f64 v[204:205], v[204:205], v[206:207], v[218:219]
	v_div_fixup_f64 v[204:205], v[204:205], v[210:211], v[208:209]
	v_fmac_f64_e32 v[210:211], v[208:209], v[204:205]
	v_div_scale_f64 v[206:207], s[10:11], v[210:211], v[210:211], 1.0
	v_rcp_f64_e32 v[208:209], v[206:207]
	s_nop 0
	v_fma_f64 v[216:217], -v[206:207], v[208:209], 1.0
	v_fmac_f64_e32 v[208:209], v[208:209], v[216:217]
	v_fma_f64 v[216:217], -v[206:207], v[208:209], 1.0
	v_fmac_f64_e32 v[208:209], v[208:209], v[216:217]
	v_div_scale_f64 v[216:217], vcc, 1.0, v[210:211], 1.0
	v_mul_f64 v[218:219], v[216:217], v[208:209]
	v_fma_f64 v[206:207], -v[206:207], v[218:219], v[216:217]
	s_nop 1
	v_div_fmas_f64 v[206:207], v[206:207], v[208:209], v[218:219]
	v_div_fixup_f64 v[206:207], v[206:207], v[210:211], 1.0
	v_mul_f64 v[204:205], v[204:205], v[206:207]
	v_xor_b32_e32 v207, 0x80000000, v207
                                        ; implicit-def: $vgpr208_vgpr209
.LBB107_212:
	s_andn2_saveexec_b64 s[2:3], s[2:3]
	s_cbranch_execz .LBB107_214
; %bb.213:
	v_div_scale_f64 v[204:205], s[10:11], v[208:209], v[208:209], v[210:211]
	v_rcp_f64_e32 v[206:207], v[204:205]
	v_div_scale_f64 v[216:217], vcc, v[210:211], v[208:209], v[210:211]
	v_fma_f64 v[218:219], -v[204:205], v[206:207], 1.0
	v_fmac_f64_e32 v[206:207], v[206:207], v[218:219]
	v_fma_f64 v[218:219], -v[204:205], v[206:207], 1.0
	v_fmac_f64_e32 v[206:207], v[206:207], v[218:219]
	v_mul_f64 v[218:219], v[216:217], v[206:207]
	v_fma_f64 v[204:205], -v[204:205], v[218:219], v[216:217]
	v_div_fmas_f64 v[204:205], v[204:205], v[206:207], v[218:219]
	v_div_fixup_f64 v[206:207], v[204:205], v[208:209], v[210:211]
	v_fmac_f64_e32 v[208:209], v[210:211], v[206:207]
	v_div_scale_f64 v[204:205], s[10:11], v[208:209], v[208:209], 1.0
	v_rcp_f64_e32 v[210:211], v[204:205]
	s_nop 0
	v_fma_f64 v[216:217], -v[204:205], v[210:211], 1.0
	v_fmac_f64_e32 v[210:211], v[210:211], v[216:217]
	v_fma_f64 v[216:217], -v[204:205], v[210:211], 1.0
	v_fmac_f64_e32 v[210:211], v[210:211], v[216:217]
	v_div_scale_f64 v[216:217], vcc, 1.0, v[208:209], 1.0
	v_mul_f64 v[218:219], v[216:217], v[210:211]
	v_fma_f64 v[204:205], -v[204:205], v[218:219], v[216:217]
	s_nop 1
	v_div_fmas_f64 v[204:205], v[204:205], v[210:211], v[218:219]
	v_div_fixup_f64 v[204:205], v[204:205], v[208:209], 1.0
	v_mul_f64 v[206:207], v[206:207], -v[204:205]
.LBB107_214:
	s_or_b64 exec, exec, s[2:3]
	ds_write2_b64 v201, v[204:205], v[206:207] offset1:1
.LBB107_215:
	s_or_b64 exec, exec, s[4:5]
	s_waitcnt lgkmcnt(0)
	s_barrier
	ds_read2_b64 v[192:195], v201 offset1:1
	v_cmp_lt_u32_e32 vcc, 23, v200
	s_waitcnt lgkmcnt(0)
	scratch_store_dwordx4 off, v[192:195], off offset:864 ; 16-byte Folded Spill
	s_and_saveexec_b64 s[2:3], vcc
	s_cbranch_execz .LBB107_217
; %bb.216:
	scratch_load_dwordx4 v[192:195], off, off offset:864 ; 16-byte Folded Reload
	s_waitcnt vmcnt(0)
	v_mul_f64 v[204:205], v[194:195], v[118:119]
	v_fma_f64 v[208:209], v[192:193], v[116:117], -v[204:205]
	ds_read2_b64 v[204:207], v202 offset0:48 offset1:49
	v_mul_f64 v[118:119], v[192:193], v[118:119]
	v_fmac_f64_e32 v[118:119], v[194:195], v[116:117]
	s_waitcnt lgkmcnt(0)
	v_mul_f64 v[116:117], v[206:207], v[118:119]
	v_fma_f64 v[116:117], v[204:205], v[208:209], -v[116:117]
	v_mul_f64 v[204:205], v[204:205], v[118:119]
	v_fmac_f64_e32 v[204:205], v[206:207], v[208:209]
	v_add_f64 v[114:115], v[114:115], -v[204:205]
	ds_read2_b64 v[204:207], v202 offset0:50 offset1:51
	v_add_f64 v[112:113], v[112:113], -v[116:117]
	s_waitcnt lgkmcnt(0)
	v_mul_f64 v[116:117], v[206:207], v[118:119]
	v_fma_f64 v[116:117], v[204:205], v[208:209], -v[116:117]
	v_mul_f64 v[204:205], v[204:205], v[118:119]
	v_fmac_f64_e32 v[204:205], v[206:207], v[208:209]
	v_add_f64 v[110:111], v[110:111], -v[204:205]
	ds_read2_b64 v[204:207], v202 offset0:52 offset1:53
	v_add_f64 v[108:109], v[108:109], -v[116:117]
	;; [unrolled: 8-line block ×29, first 2 shown]
	s_waitcnt lgkmcnt(0)
	v_mul_f64 v[116:117], v[206:207], v[118:119]
	v_fma_f64 v[116:117], v[204:205], v[208:209], -v[116:117]
	v_mul_f64 v[204:205], v[204:205], v[118:119]
	v_fmac_f64_e32 v[204:205], v[206:207], v[208:209]
	v_add_f64 v[212:213], v[212:213], -v[116:117]
	v_add_f64 v[214:215], v[214:215], -v[204:205]
	v_mov_b64_e32 v[116:117], v[208:209]
.LBB107_217:
	s_or_b64 exec, exec, s[2:3]
	v_cmp_eq_u32_e32 vcc, 24, v200
	s_waitcnt vmcnt(63) expcnt(7) lgkmcnt(15)
	s_barrier
	s_and_saveexec_b64 s[4:5], vcc
	s_cbranch_execz .LBB107_224
; %bb.218:
	ds_write2_b64 v201, v[112:113], v[114:115] offset1:1
	ds_write2_b64 v202, v[108:109], v[110:111] offset0:50 offset1:51
	ds_write2_b64 v202, v[104:105], v[106:107] offset0:52 offset1:53
	;; [unrolled: 1-line block ×12, first 2 shown]
	s_waitcnt vmcnt(54)
	ds_write2_b64 v202, v[60:61], v[62:63] offset0:74 offset1:75
	s_waitcnt vmcnt(53)
	ds_write2_b64 v202, v[56:57], v[58:59] offset0:76 offset1:77
	;; [unrolled: 2-line block ×12, first 2 shown]
	ds_write2_b64 v202, v[12:13], v[14:15] offset0:98 offset1:99
	ds_write2_b64 v202, v[8:9], v[10:11] offset0:100 offset1:101
	;; [unrolled: 1-line block ×3, first 2 shown]
	s_waitcnt vmcnt(42)
	ds_write2_b64 v202, v[0:1], v[2:3] offset0:104 offset1:105
	s_waitcnt vmcnt(39)
	ds_write2_b64 v202, v[212:213], v[214:215] offset0:106 offset1:107
	ds_read2_b64 v[208:211], v201 offset1:1
	s_waitcnt lgkmcnt(0)
	v_cmp_neq_f64_e32 vcc, 0, v[208:209]
	v_cmp_neq_f64_e64 s[2:3], 0, v[210:211]
	s_or_b64 s[2:3], vcc, s[2:3]
	s_and_b64 exec, exec, s[2:3]
	s_cbranch_execz .LBB107_224
; %bb.219:
	v_cmp_ngt_f64_e64 s[2:3], |v[208:209]|, |v[210:211]|
                                        ; implicit-def: $vgpr204_vgpr205
	s_and_saveexec_b64 s[10:11], s[2:3]
	s_xor_b64 s[2:3], exec, s[10:11]
                                        ; implicit-def: $vgpr206_vgpr207
	s_cbranch_execz .LBB107_221
; %bb.220:
	v_div_scale_f64 v[204:205], s[10:11], v[210:211], v[210:211], v[208:209]
	v_rcp_f64_e32 v[206:207], v[204:205]
	v_div_scale_f64 v[216:217], vcc, v[208:209], v[210:211], v[208:209]
	v_fma_f64 v[218:219], -v[204:205], v[206:207], 1.0
	v_fmac_f64_e32 v[206:207], v[206:207], v[218:219]
	v_fma_f64 v[218:219], -v[204:205], v[206:207], 1.0
	v_fmac_f64_e32 v[206:207], v[206:207], v[218:219]
	v_mul_f64 v[218:219], v[216:217], v[206:207]
	v_fma_f64 v[204:205], -v[204:205], v[218:219], v[216:217]
	v_div_fmas_f64 v[204:205], v[204:205], v[206:207], v[218:219]
	v_div_fixup_f64 v[204:205], v[204:205], v[210:211], v[208:209]
	v_fmac_f64_e32 v[210:211], v[208:209], v[204:205]
	v_div_scale_f64 v[206:207], s[10:11], v[210:211], v[210:211], 1.0
	v_rcp_f64_e32 v[208:209], v[206:207]
	s_nop 0
	v_fma_f64 v[216:217], -v[206:207], v[208:209], 1.0
	v_fmac_f64_e32 v[208:209], v[208:209], v[216:217]
	v_fma_f64 v[216:217], -v[206:207], v[208:209], 1.0
	v_fmac_f64_e32 v[208:209], v[208:209], v[216:217]
	v_div_scale_f64 v[216:217], vcc, 1.0, v[210:211], 1.0
	v_mul_f64 v[218:219], v[216:217], v[208:209]
	v_fma_f64 v[206:207], -v[206:207], v[218:219], v[216:217]
	s_nop 1
	v_div_fmas_f64 v[206:207], v[206:207], v[208:209], v[218:219]
	v_div_fixup_f64 v[206:207], v[206:207], v[210:211], 1.0
	v_mul_f64 v[204:205], v[204:205], v[206:207]
	v_xor_b32_e32 v207, 0x80000000, v207
                                        ; implicit-def: $vgpr208_vgpr209
.LBB107_221:
	s_andn2_saveexec_b64 s[2:3], s[2:3]
	s_cbranch_execz .LBB107_223
; %bb.222:
	v_div_scale_f64 v[204:205], s[10:11], v[208:209], v[208:209], v[210:211]
	v_rcp_f64_e32 v[206:207], v[204:205]
	v_div_scale_f64 v[216:217], vcc, v[210:211], v[208:209], v[210:211]
	v_fma_f64 v[218:219], -v[204:205], v[206:207], 1.0
	v_fmac_f64_e32 v[206:207], v[206:207], v[218:219]
	v_fma_f64 v[218:219], -v[204:205], v[206:207], 1.0
	v_fmac_f64_e32 v[206:207], v[206:207], v[218:219]
	v_mul_f64 v[218:219], v[216:217], v[206:207]
	v_fma_f64 v[204:205], -v[204:205], v[218:219], v[216:217]
	v_div_fmas_f64 v[204:205], v[204:205], v[206:207], v[218:219]
	v_div_fixup_f64 v[206:207], v[204:205], v[208:209], v[210:211]
	v_fmac_f64_e32 v[208:209], v[210:211], v[206:207]
	v_div_scale_f64 v[204:205], s[10:11], v[208:209], v[208:209], 1.0
	v_rcp_f64_e32 v[210:211], v[204:205]
	s_nop 0
	v_fma_f64 v[216:217], -v[204:205], v[210:211], 1.0
	v_fmac_f64_e32 v[210:211], v[210:211], v[216:217]
	v_fma_f64 v[216:217], -v[204:205], v[210:211], 1.0
	v_fmac_f64_e32 v[210:211], v[210:211], v[216:217]
	v_div_scale_f64 v[216:217], vcc, 1.0, v[208:209], 1.0
	v_mul_f64 v[218:219], v[216:217], v[210:211]
	v_fma_f64 v[204:205], -v[204:205], v[218:219], v[216:217]
	s_nop 1
	v_div_fmas_f64 v[204:205], v[204:205], v[210:211], v[218:219]
	v_div_fixup_f64 v[204:205], v[204:205], v[208:209], 1.0
	v_mul_f64 v[206:207], v[206:207], -v[204:205]
.LBB107_223:
	s_or_b64 exec, exec, s[2:3]
	ds_write2_b64 v201, v[204:205], v[206:207] offset1:1
.LBB107_224:
	s_or_b64 exec, exec, s[4:5]
	s_waitcnt lgkmcnt(0)
	s_barrier
	ds_read2_b64 v[192:195], v201 offset1:1
	v_cmp_lt_u32_e32 vcc, 24, v200
	s_waitcnt lgkmcnt(0)
	scratch_store_dwordx4 off, v[192:195], off offset:880 ; 16-byte Folded Spill
	s_and_saveexec_b64 s[2:3], vcc
	s_cbranch_execz .LBB107_226
; %bb.225:
	scratch_load_dwordx4 v[192:195], off, off offset:880 ; 16-byte Folded Reload
	s_waitcnt vmcnt(0)
	v_mul_f64 v[204:205], v[194:195], v[114:115]
	v_fma_f64 v[208:209], v[192:193], v[112:113], -v[204:205]
	ds_read2_b64 v[204:207], v202 offset0:50 offset1:51
	v_mul_f64 v[114:115], v[192:193], v[114:115]
	v_fmac_f64_e32 v[114:115], v[194:195], v[112:113]
	s_waitcnt lgkmcnt(0)
	v_mul_f64 v[112:113], v[206:207], v[114:115]
	v_fma_f64 v[112:113], v[204:205], v[208:209], -v[112:113]
	v_mul_f64 v[204:205], v[204:205], v[114:115]
	v_fmac_f64_e32 v[204:205], v[206:207], v[208:209]
	v_add_f64 v[110:111], v[110:111], -v[204:205]
	ds_read2_b64 v[204:207], v202 offset0:52 offset1:53
	v_add_f64 v[108:109], v[108:109], -v[112:113]
	s_waitcnt lgkmcnt(0)
	v_mul_f64 v[112:113], v[206:207], v[114:115]
	v_fma_f64 v[112:113], v[204:205], v[208:209], -v[112:113]
	v_mul_f64 v[204:205], v[204:205], v[114:115]
	v_fmac_f64_e32 v[204:205], v[206:207], v[208:209]
	v_add_f64 v[106:107], v[106:107], -v[204:205]
	ds_read2_b64 v[204:207], v202 offset0:54 offset1:55
	v_add_f64 v[104:105], v[104:105], -v[112:113]
	;; [unrolled: 8-line block ×28, first 2 shown]
	s_waitcnt lgkmcnt(0)
	v_mul_f64 v[112:113], v[206:207], v[114:115]
	v_fma_f64 v[112:113], v[204:205], v[208:209], -v[112:113]
	v_mul_f64 v[204:205], v[204:205], v[114:115]
	v_fmac_f64_e32 v[204:205], v[206:207], v[208:209]
	v_add_f64 v[212:213], v[212:213], -v[112:113]
	v_add_f64 v[214:215], v[214:215], -v[204:205]
	v_mov_b64_e32 v[112:113], v[208:209]
.LBB107_226:
	s_or_b64 exec, exec, s[2:3]
	v_cmp_eq_u32_e32 vcc, 25, v200
	s_waitcnt vmcnt(63) expcnt(7) lgkmcnt(15)
	s_barrier
	s_and_saveexec_b64 s[4:5], vcc
	s_cbranch_execz .LBB107_233
; %bb.227:
	ds_write2_b64 v201, v[108:109], v[110:111] offset1:1
	ds_write2_b64 v202, v[104:105], v[106:107] offset0:52 offset1:53
	ds_write2_b64 v202, v[100:101], v[102:103] offset0:54 offset1:55
	;; [unrolled: 1-line block ×11, first 2 shown]
	s_waitcnt vmcnt(55)
	ds_write2_b64 v202, v[60:61], v[62:63] offset0:74 offset1:75
	s_waitcnt vmcnt(54)
	ds_write2_b64 v202, v[56:57], v[58:59] offset0:76 offset1:77
	;; [unrolled: 2-line block ×12, first 2 shown]
	ds_write2_b64 v202, v[12:13], v[14:15] offset0:98 offset1:99
	ds_write2_b64 v202, v[8:9], v[10:11] offset0:100 offset1:101
	;; [unrolled: 1-line block ×3, first 2 shown]
	s_waitcnt vmcnt(43)
	ds_write2_b64 v202, v[0:1], v[2:3] offset0:104 offset1:105
	s_waitcnt vmcnt(40)
	ds_write2_b64 v202, v[212:213], v[214:215] offset0:106 offset1:107
	ds_read2_b64 v[208:211], v201 offset1:1
	s_waitcnt lgkmcnt(0)
	v_cmp_neq_f64_e32 vcc, 0, v[208:209]
	v_cmp_neq_f64_e64 s[2:3], 0, v[210:211]
	s_or_b64 s[2:3], vcc, s[2:3]
	s_and_b64 exec, exec, s[2:3]
	s_cbranch_execz .LBB107_233
; %bb.228:
	v_cmp_ngt_f64_e64 s[2:3], |v[208:209]|, |v[210:211]|
                                        ; implicit-def: $vgpr204_vgpr205
	s_and_saveexec_b64 s[10:11], s[2:3]
	s_xor_b64 s[2:3], exec, s[10:11]
                                        ; implicit-def: $vgpr206_vgpr207
	s_cbranch_execz .LBB107_230
; %bb.229:
	v_div_scale_f64 v[204:205], s[10:11], v[210:211], v[210:211], v[208:209]
	v_rcp_f64_e32 v[206:207], v[204:205]
	v_div_scale_f64 v[216:217], vcc, v[208:209], v[210:211], v[208:209]
	v_fma_f64 v[218:219], -v[204:205], v[206:207], 1.0
	v_fmac_f64_e32 v[206:207], v[206:207], v[218:219]
	v_fma_f64 v[218:219], -v[204:205], v[206:207], 1.0
	v_fmac_f64_e32 v[206:207], v[206:207], v[218:219]
	v_mul_f64 v[218:219], v[216:217], v[206:207]
	v_fma_f64 v[204:205], -v[204:205], v[218:219], v[216:217]
	v_div_fmas_f64 v[204:205], v[204:205], v[206:207], v[218:219]
	v_div_fixup_f64 v[204:205], v[204:205], v[210:211], v[208:209]
	v_fmac_f64_e32 v[210:211], v[208:209], v[204:205]
	v_div_scale_f64 v[206:207], s[10:11], v[210:211], v[210:211], 1.0
	v_rcp_f64_e32 v[208:209], v[206:207]
	s_nop 0
	v_fma_f64 v[216:217], -v[206:207], v[208:209], 1.0
	v_fmac_f64_e32 v[208:209], v[208:209], v[216:217]
	v_fma_f64 v[216:217], -v[206:207], v[208:209], 1.0
	v_fmac_f64_e32 v[208:209], v[208:209], v[216:217]
	v_div_scale_f64 v[216:217], vcc, 1.0, v[210:211], 1.0
	v_mul_f64 v[218:219], v[216:217], v[208:209]
	v_fma_f64 v[206:207], -v[206:207], v[218:219], v[216:217]
	s_nop 1
	v_div_fmas_f64 v[206:207], v[206:207], v[208:209], v[218:219]
	v_div_fixup_f64 v[206:207], v[206:207], v[210:211], 1.0
	v_mul_f64 v[204:205], v[204:205], v[206:207]
	v_xor_b32_e32 v207, 0x80000000, v207
                                        ; implicit-def: $vgpr208_vgpr209
.LBB107_230:
	s_andn2_saveexec_b64 s[2:3], s[2:3]
	s_cbranch_execz .LBB107_232
; %bb.231:
	v_div_scale_f64 v[204:205], s[10:11], v[208:209], v[208:209], v[210:211]
	v_rcp_f64_e32 v[206:207], v[204:205]
	v_div_scale_f64 v[216:217], vcc, v[210:211], v[208:209], v[210:211]
	v_fma_f64 v[218:219], -v[204:205], v[206:207], 1.0
	v_fmac_f64_e32 v[206:207], v[206:207], v[218:219]
	v_fma_f64 v[218:219], -v[204:205], v[206:207], 1.0
	v_fmac_f64_e32 v[206:207], v[206:207], v[218:219]
	v_mul_f64 v[218:219], v[216:217], v[206:207]
	v_fma_f64 v[204:205], -v[204:205], v[218:219], v[216:217]
	v_div_fmas_f64 v[204:205], v[204:205], v[206:207], v[218:219]
	v_div_fixup_f64 v[206:207], v[204:205], v[208:209], v[210:211]
	v_fmac_f64_e32 v[208:209], v[210:211], v[206:207]
	v_div_scale_f64 v[204:205], s[10:11], v[208:209], v[208:209], 1.0
	v_rcp_f64_e32 v[210:211], v[204:205]
	s_nop 0
	v_fma_f64 v[216:217], -v[204:205], v[210:211], 1.0
	v_fmac_f64_e32 v[210:211], v[210:211], v[216:217]
	v_fma_f64 v[216:217], -v[204:205], v[210:211], 1.0
	v_fmac_f64_e32 v[210:211], v[210:211], v[216:217]
	v_div_scale_f64 v[216:217], vcc, 1.0, v[208:209], 1.0
	v_mul_f64 v[218:219], v[216:217], v[210:211]
	v_fma_f64 v[204:205], -v[204:205], v[218:219], v[216:217]
	s_nop 1
	v_div_fmas_f64 v[204:205], v[204:205], v[210:211], v[218:219]
	v_div_fixup_f64 v[204:205], v[204:205], v[208:209], 1.0
	v_mul_f64 v[206:207], v[206:207], -v[204:205]
.LBB107_232:
	s_or_b64 exec, exec, s[2:3]
	ds_write2_b64 v201, v[204:205], v[206:207] offset1:1
.LBB107_233:
	s_or_b64 exec, exec, s[4:5]
	s_waitcnt lgkmcnt(0)
	s_barrier
	ds_read2_b64 v[192:195], v201 offset1:1
	v_cmp_lt_u32_e32 vcc, 25, v200
	s_waitcnt lgkmcnt(0)
	scratch_store_dwordx4 off, v[192:195], off offset:896 ; 16-byte Folded Spill
	s_and_saveexec_b64 s[2:3], vcc
	s_cbranch_execz .LBB107_235
; %bb.234:
	scratch_load_dwordx4 v[192:195], off, off offset:896 ; 16-byte Folded Reload
	s_waitcnt vmcnt(0)
	v_mul_f64 v[204:205], v[194:195], v[110:111]
	v_fma_f64 v[208:209], v[192:193], v[108:109], -v[204:205]
	ds_read2_b64 v[204:207], v202 offset0:52 offset1:53
	v_mul_f64 v[110:111], v[192:193], v[110:111]
	v_fmac_f64_e32 v[110:111], v[194:195], v[108:109]
	s_waitcnt lgkmcnt(0)
	v_mul_f64 v[108:109], v[206:207], v[110:111]
	v_fma_f64 v[108:109], v[204:205], v[208:209], -v[108:109]
	v_mul_f64 v[204:205], v[204:205], v[110:111]
	v_fmac_f64_e32 v[204:205], v[206:207], v[208:209]
	v_add_f64 v[106:107], v[106:107], -v[204:205]
	ds_read2_b64 v[204:207], v202 offset0:54 offset1:55
	v_add_f64 v[104:105], v[104:105], -v[108:109]
	s_waitcnt lgkmcnt(0)
	v_mul_f64 v[108:109], v[206:207], v[110:111]
	v_fma_f64 v[108:109], v[204:205], v[208:209], -v[108:109]
	v_mul_f64 v[204:205], v[204:205], v[110:111]
	v_fmac_f64_e32 v[204:205], v[206:207], v[208:209]
	v_add_f64 v[102:103], v[102:103], -v[204:205]
	ds_read2_b64 v[204:207], v202 offset0:56 offset1:57
	v_add_f64 v[100:101], v[100:101], -v[108:109]
	;; [unrolled: 8-line block ×27, first 2 shown]
	s_waitcnt lgkmcnt(0)
	v_mul_f64 v[108:109], v[206:207], v[110:111]
	v_fma_f64 v[108:109], v[204:205], v[208:209], -v[108:109]
	v_mul_f64 v[204:205], v[204:205], v[110:111]
	v_fmac_f64_e32 v[204:205], v[206:207], v[208:209]
	v_add_f64 v[212:213], v[212:213], -v[108:109]
	v_add_f64 v[214:215], v[214:215], -v[204:205]
	v_mov_b64_e32 v[108:109], v[208:209]
.LBB107_235:
	s_or_b64 exec, exec, s[2:3]
	v_cmp_eq_u32_e32 vcc, 26, v200
	s_waitcnt vmcnt(63) expcnt(7) lgkmcnt(15)
	s_barrier
	s_and_saveexec_b64 s[4:5], vcc
	s_cbranch_execz .LBB107_242
; %bb.236:
	ds_write2_b64 v201, v[104:105], v[106:107] offset1:1
	ds_write2_b64 v202, v[100:101], v[102:103] offset0:54 offset1:55
	ds_write2_b64 v202, v[96:97], v[98:99] offset0:56 offset1:57
	;; [unrolled: 1-line block ×10, first 2 shown]
	s_waitcnt vmcnt(56)
	ds_write2_b64 v202, v[60:61], v[62:63] offset0:74 offset1:75
	s_waitcnt vmcnt(55)
	ds_write2_b64 v202, v[56:57], v[58:59] offset0:76 offset1:77
	;; [unrolled: 2-line block ×12, first 2 shown]
	ds_write2_b64 v202, v[12:13], v[14:15] offset0:98 offset1:99
	ds_write2_b64 v202, v[8:9], v[10:11] offset0:100 offset1:101
	;; [unrolled: 1-line block ×3, first 2 shown]
	s_waitcnt vmcnt(44)
	ds_write2_b64 v202, v[0:1], v[2:3] offset0:104 offset1:105
	s_waitcnt vmcnt(41)
	ds_write2_b64 v202, v[212:213], v[214:215] offset0:106 offset1:107
	ds_read2_b64 v[208:211], v201 offset1:1
	s_waitcnt lgkmcnt(0)
	v_cmp_neq_f64_e32 vcc, 0, v[208:209]
	v_cmp_neq_f64_e64 s[2:3], 0, v[210:211]
	s_or_b64 s[2:3], vcc, s[2:3]
	s_and_b64 exec, exec, s[2:3]
	s_cbranch_execz .LBB107_242
; %bb.237:
	v_cmp_ngt_f64_e64 s[2:3], |v[208:209]|, |v[210:211]|
                                        ; implicit-def: $vgpr204_vgpr205
	s_and_saveexec_b64 s[10:11], s[2:3]
	s_xor_b64 s[2:3], exec, s[10:11]
                                        ; implicit-def: $vgpr206_vgpr207
	s_cbranch_execz .LBB107_239
; %bb.238:
	v_div_scale_f64 v[204:205], s[10:11], v[210:211], v[210:211], v[208:209]
	v_rcp_f64_e32 v[206:207], v[204:205]
	v_div_scale_f64 v[216:217], vcc, v[208:209], v[210:211], v[208:209]
	v_fma_f64 v[218:219], -v[204:205], v[206:207], 1.0
	v_fmac_f64_e32 v[206:207], v[206:207], v[218:219]
	v_fma_f64 v[218:219], -v[204:205], v[206:207], 1.0
	v_fmac_f64_e32 v[206:207], v[206:207], v[218:219]
	v_mul_f64 v[218:219], v[216:217], v[206:207]
	v_fma_f64 v[204:205], -v[204:205], v[218:219], v[216:217]
	v_div_fmas_f64 v[204:205], v[204:205], v[206:207], v[218:219]
	v_div_fixup_f64 v[204:205], v[204:205], v[210:211], v[208:209]
	v_fmac_f64_e32 v[210:211], v[208:209], v[204:205]
	v_div_scale_f64 v[206:207], s[10:11], v[210:211], v[210:211], 1.0
	v_rcp_f64_e32 v[208:209], v[206:207]
	s_nop 0
	v_fma_f64 v[216:217], -v[206:207], v[208:209], 1.0
	v_fmac_f64_e32 v[208:209], v[208:209], v[216:217]
	v_fma_f64 v[216:217], -v[206:207], v[208:209], 1.0
	v_fmac_f64_e32 v[208:209], v[208:209], v[216:217]
	v_div_scale_f64 v[216:217], vcc, 1.0, v[210:211], 1.0
	v_mul_f64 v[218:219], v[216:217], v[208:209]
	v_fma_f64 v[206:207], -v[206:207], v[218:219], v[216:217]
	s_nop 1
	v_div_fmas_f64 v[206:207], v[206:207], v[208:209], v[218:219]
	v_div_fixup_f64 v[206:207], v[206:207], v[210:211], 1.0
	v_mul_f64 v[204:205], v[204:205], v[206:207]
	v_xor_b32_e32 v207, 0x80000000, v207
                                        ; implicit-def: $vgpr208_vgpr209
.LBB107_239:
	s_andn2_saveexec_b64 s[2:3], s[2:3]
	s_cbranch_execz .LBB107_241
; %bb.240:
	v_div_scale_f64 v[204:205], s[10:11], v[208:209], v[208:209], v[210:211]
	v_rcp_f64_e32 v[206:207], v[204:205]
	v_div_scale_f64 v[216:217], vcc, v[210:211], v[208:209], v[210:211]
	v_fma_f64 v[218:219], -v[204:205], v[206:207], 1.0
	v_fmac_f64_e32 v[206:207], v[206:207], v[218:219]
	v_fma_f64 v[218:219], -v[204:205], v[206:207], 1.0
	v_fmac_f64_e32 v[206:207], v[206:207], v[218:219]
	v_mul_f64 v[218:219], v[216:217], v[206:207]
	v_fma_f64 v[204:205], -v[204:205], v[218:219], v[216:217]
	v_div_fmas_f64 v[204:205], v[204:205], v[206:207], v[218:219]
	v_div_fixup_f64 v[206:207], v[204:205], v[208:209], v[210:211]
	v_fmac_f64_e32 v[208:209], v[210:211], v[206:207]
	v_div_scale_f64 v[204:205], s[10:11], v[208:209], v[208:209], 1.0
	v_rcp_f64_e32 v[210:211], v[204:205]
	s_nop 0
	v_fma_f64 v[216:217], -v[204:205], v[210:211], 1.0
	v_fmac_f64_e32 v[210:211], v[210:211], v[216:217]
	v_fma_f64 v[216:217], -v[204:205], v[210:211], 1.0
	v_fmac_f64_e32 v[210:211], v[210:211], v[216:217]
	v_div_scale_f64 v[216:217], vcc, 1.0, v[208:209], 1.0
	v_mul_f64 v[218:219], v[216:217], v[210:211]
	v_fma_f64 v[204:205], -v[204:205], v[218:219], v[216:217]
	s_nop 1
	v_div_fmas_f64 v[204:205], v[204:205], v[210:211], v[218:219]
	v_div_fixup_f64 v[204:205], v[204:205], v[208:209], 1.0
	v_mul_f64 v[206:207], v[206:207], -v[204:205]
.LBB107_241:
	s_or_b64 exec, exec, s[2:3]
	ds_write2_b64 v201, v[204:205], v[206:207] offset1:1
.LBB107_242:
	s_or_b64 exec, exec, s[4:5]
	s_waitcnt lgkmcnt(0)
	s_barrier
	ds_read2_b64 v[192:195], v201 offset1:1
	v_cmp_lt_u32_e32 vcc, 26, v200
	s_waitcnt lgkmcnt(0)
	scratch_store_dwordx4 off, v[192:195], off offset:912 ; 16-byte Folded Spill
	s_and_saveexec_b64 s[2:3], vcc
	s_cbranch_execz .LBB107_244
; %bb.243:
	scratch_load_dwordx4 v[192:195], off, off offset:912 ; 16-byte Folded Reload
	s_waitcnt vmcnt(0)
	v_mul_f64 v[204:205], v[194:195], v[106:107]
	v_fma_f64 v[208:209], v[192:193], v[104:105], -v[204:205]
	ds_read2_b64 v[204:207], v202 offset0:54 offset1:55
	v_mul_f64 v[106:107], v[192:193], v[106:107]
	v_fmac_f64_e32 v[106:107], v[194:195], v[104:105]
	s_waitcnt lgkmcnt(0)
	v_mul_f64 v[104:105], v[206:207], v[106:107]
	v_fma_f64 v[104:105], v[204:205], v[208:209], -v[104:105]
	v_mul_f64 v[204:205], v[204:205], v[106:107]
	v_fmac_f64_e32 v[204:205], v[206:207], v[208:209]
	v_add_f64 v[102:103], v[102:103], -v[204:205]
	ds_read2_b64 v[204:207], v202 offset0:56 offset1:57
	v_add_f64 v[100:101], v[100:101], -v[104:105]
	s_waitcnt lgkmcnt(0)
	v_mul_f64 v[104:105], v[206:207], v[106:107]
	v_fma_f64 v[104:105], v[204:205], v[208:209], -v[104:105]
	v_mul_f64 v[204:205], v[204:205], v[106:107]
	v_fmac_f64_e32 v[204:205], v[206:207], v[208:209]
	v_add_f64 v[98:99], v[98:99], -v[204:205]
	ds_read2_b64 v[204:207], v202 offset0:58 offset1:59
	v_add_f64 v[96:97], v[96:97], -v[104:105]
	;; [unrolled: 8-line block ×26, first 2 shown]
	s_waitcnt lgkmcnt(0)
	v_mul_f64 v[104:105], v[206:207], v[106:107]
	v_fma_f64 v[104:105], v[204:205], v[208:209], -v[104:105]
	v_mul_f64 v[204:205], v[204:205], v[106:107]
	v_fmac_f64_e32 v[204:205], v[206:207], v[208:209]
	v_add_f64 v[212:213], v[212:213], -v[104:105]
	v_add_f64 v[214:215], v[214:215], -v[204:205]
	v_mov_b64_e32 v[104:105], v[208:209]
.LBB107_244:
	s_or_b64 exec, exec, s[2:3]
	v_cmp_eq_u32_e32 vcc, 27, v200
	s_waitcnt vmcnt(63) expcnt(7) lgkmcnt(15)
	s_barrier
	s_and_saveexec_b64 s[4:5], vcc
	s_cbranch_execz .LBB107_251
; %bb.245:
	ds_write2_b64 v201, v[100:101], v[102:103] offset1:1
	ds_write2_b64 v202, v[96:97], v[98:99] offset0:56 offset1:57
	ds_write2_b64 v202, v[92:93], v[94:95] offset0:58 offset1:59
	;; [unrolled: 1-line block ×9, first 2 shown]
	s_waitcnt vmcnt(57)
	ds_write2_b64 v202, v[60:61], v[62:63] offset0:74 offset1:75
	s_waitcnt vmcnt(56)
	ds_write2_b64 v202, v[56:57], v[58:59] offset0:76 offset1:77
	;; [unrolled: 2-line block ×12, first 2 shown]
	ds_write2_b64 v202, v[12:13], v[14:15] offset0:98 offset1:99
	ds_write2_b64 v202, v[8:9], v[10:11] offset0:100 offset1:101
	;; [unrolled: 1-line block ×3, first 2 shown]
	s_waitcnt vmcnt(45)
	ds_write2_b64 v202, v[0:1], v[2:3] offset0:104 offset1:105
	s_waitcnt vmcnt(42)
	ds_write2_b64 v202, v[212:213], v[214:215] offset0:106 offset1:107
	ds_read2_b64 v[208:211], v201 offset1:1
	s_waitcnt lgkmcnt(0)
	v_cmp_neq_f64_e32 vcc, 0, v[208:209]
	v_cmp_neq_f64_e64 s[2:3], 0, v[210:211]
	s_or_b64 s[2:3], vcc, s[2:3]
	s_and_b64 exec, exec, s[2:3]
	s_cbranch_execz .LBB107_251
; %bb.246:
	v_cmp_ngt_f64_e64 s[2:3], |v[208:209]|, |v[210:211]|
                                        ; implicit-def: $vgpr204_vgpr205
	s_and_saveexec_b64 s[10:11], s[2:3]
	s_xor_b64 s[2:3], exec, s[10:11]
                                        ; implicit-def: $vgpr206_vgpr207
	s_cbranch_execz .LBB107_248
; %bb.247:
	v_div_scale_f64 v[204:205], s[10:11], v[210:211], v[210:211], v[208:209]
	v_rcp_f64_e32 v[206:207], v[204:205]
	v_div_scale_f64 v[216:217], vcc, v[208:209], v[210:211], v[208:209]
	v_fma_f64 v[218:219], -v[204:205], v[206:207], 1.0
	v_fmac_f64_e32 v[206:207], v[206:207], v[218:219]
	v_fma_f64 v[218:219], -v[204:205], v[206:207], 1.0
	v_fmac_f64_e32 v[206:207], v[206:207], v[218:219]
	v_mul_f64 v[218:219], v[216:217], v[206:207]
	v_fma_f64 v[204:205], -v[204:205], v[218:219], v[216:217]
	v_div_fmas_f64 v[204:205], v[204:205], v[206:207], v[218:219]
	v_div_fixup_f64 v[204:205], v[204:205], v[210:211], v[208:209]
	v_fmac_f64_e32 v[210:211], v[208:209], v[204:205]
	v_div_scale_f64 v[206:207], s[10:11], v[210:211], v[210:211], 1.0
	v_rcp_f64_e32 v[208:209], v[206:207]
	s_nop 0
	v_fma_f64 v[216:217], -v[206:207], v[208:209], 1.0
	v_fmac_f64_e32 v[208:209], v[208:209], v[216:217]
	v_fma_f64 v[216:217], -v[206:207], v[208:209], 1.0
	v_fmac_f64_e32 v[208:209], v[208:209], v[216:217]
	v_div_scale_f64 v[216:217], vcc, 1.0, v[210:211], 1.0
	v_mul_f64 v[218:219], v[216:217], v[208:209]
	v_fma_f64 v[206:207], -v[206:207], v[218:219], v[216:217]
	s_nop 1
	v_div_fmas_f64 v[206:207], v[206:207], v[208:209], v[218:219]
	v_div_fixup_f64 v[206:207], v[206:207], v[210:211], 1.0
	v_mul_f64 v[204:205], v[204:205], v[206:207]
	v_xor_b32_e32 v207, 0x80000000, v207
                                        ; implicit-def: $vgpr208_vgpr209
.LBB107_248:
	s_andn2_saveexec_b64 s[2:3], s[2:3]
	s_cbranch_execz .LBB107_250
; %bb.249:
	v_div_scale_f64 v[204:205], s[10:11], v[208:209], v[208:209], v[210:211]
	v_rcp_f64_e32 v[206:207], v[204:205]
	v_div_scale_f64 v[216:217], vcc, v[210:211], v[208:209], v[210:211]
	v_fma_f64 v[218:219], -v[204:205], v[206:207], 1.0
	v_fmac_f64_e32 v[206:207], v[206:207], v[218:219]
	v_fma_f64 v[218:219], -v[204:205], v[206:207], 1.0
	v_fmac_f64_e32 v[206:207], v[206:207], v[218:219]
	v_mul_f64 v[218:219], v[216:217], v[206:207]
	v_fma_f64 v[204:205], -v[204:205], v[218:219], v[216:217]
	v_div_fmas_f64 v[204:205], v[204:205], v[206:207], v[218:219]
	v_div_fixup_f64 v[206:207], v[204:205], v[208:209], v[210:211]
	v_fmac_f64_e32 v[208:209], v[210:211], v[206:207]
	v_div_scale_f64 v[204:205], s[10:11], v[208:209], v[208:209], 1.0
	v_rcp_f64_e32 v[210:211], v[204:205]
	s_nop 0
	v_fma_f64 v[216:217], -v[204:205], v[210:211], 1.0
	v_fmac_f64_e32 v[210:211], v[210:211], v[216:217]
	v_fma_f64 v[216:217], -v[204:205], v[210:211], 1.0
	v_fmac_f64_e32 v[210:211], v[210:211], v[216:217]
	v_div_scale_f64 v[216:217], vcc, 1.0, v[208:209], 1.0
	v_mul_f64 v[218:219], v[216:217], v[210:211]
	v_fma_f64 v[204:205], -v[204:205], v[218:219], v[216:217]
	s_nop 1
	v_div_fmas_f64 v[204:205], v[204:205], v[210:211], v[218:219]
	v_div_fixup_f64 v[204:205], v[204:205], v[208:209], 1.0
	v_mul_f64 v[206:207], v[206:207], -v[204:205]
.LBB107_250:
	s_or_b64 exec, exec, s[2:3]
	ds_write2_b64 v201, v[204:205], v[206:207] offset1:1
.LBB107_251:
	s_or_b64 exec, exec, s[4:5]
	s_waitcnt lgkmcnt(0)
	s_barrier
	ds_read2_b64 v[192:195], v201 offset1:1
	v_cmp_lt_u32_e32 vcc, 27, v200
	s_waitcnt lgkmcnt(0)
	scratch_store_dwordx4 off, v[192:195], off offset:928 ; 16-byte Folded Spill
	s_and_saveexec_b64 s[2:3], vcc
	s_cbranch_execz .LBB107_253
; %bb.252:
	scratch_load_dwordx4 v[192:195], off, off offset:928 ; 16-byte Folded Reload
	s_waitcnt vmcnt(0)
	v_mul_f64 v[204:205], v[194:195], v[102:103]
	v_fma_f64 v[208:209], v[192:193], v[100:101], -v[204:205]
	ds_read2_b64 v[204:207], v202 offset0:56 offset1:57
	v_mul_f64 v[102:103], v[192:193], v[102:103]
	v_fmac_f64_e32 v[102:103], v[194:195], v[100:101]
	s_waitcnt lgkmcnt(0)
	v_mul_f64 v[100:101], v[206:207], v[102:103]
	v_fma_f64 v[100:101], v[204:205], v[208:209], -v[100:101]
	v_mul_f64 v[204:205], v[204:205], v[102:103]
	v_fmac_f64_e32 v[204:205], v[206:207], v[208:209]
	v_add_f64 v[98:99], v[98:99], -v[204:205]
	ds_read2_b64 v[204:207], v202 offset0:58 offset1:59
	v_add_f64 v[96:97], v[96:97], -v[100:101]
	s_waitcnt lgkmcnt(0)
	v_mul_f64 v[100:101], v[206:207], v[102:103]
	v_fma_f64 v[100:101], v[204:205], v[208:209], -v[100:101]
	v_mul_f64 v[204:205], v[204:205], v[102:103]
	v_fmac_f64_e32 v[204:205], v[206:207], v[208:209]
	v_add_f64 v[94:95], v[94:95], -v[204:205]
	ds_read2_b64 v[204:207], v202 offset0:60 offset1:61
	v_add_f64 v[92:93], v[92:93], -v[100:101]
	;; [unrolled: 8-line block ×25, first 2 shown]
	s_waitcnt lgkmcnt(0)
	v_mul_f64 v[100:101], v[206:207], v[102:103]
	v_fma_f64 v[100:101], v[204:205], v[208:209], -v[100:101]
	v_mul_f64 v[204:205], v[204:205], v[102:103]
	v_fmac_f64_e32 v[204:205], v[206:207], v[208:209]
	v_add_f64 v[212:213], v[212:213], -v[100:101]
	v_add_f64 v[214:215], v[214:215], -v[204:205]
	v_mov_b64_e32 v[100:101], v[208:209]
.LBB107_253:
	s_or_b64 exec, exec, s[2:3]
	v_cmp_eq_u32_e32 vcc, 28, v200
	s_waitcnt vmcnt(63) expcnt(7) lgkmcnt(15)
	s_barrier
	s_and_saveexec_b64 s[4:5], vcc
	s_cbranch_execz .LBB107_260
; %bb.254:
	ds_write2_b64 v201, v[96:97], v[98:99] offset1:1
	ds_write2_b64 v202, v[92:93], v[94:95] offset0:58 offset1:59
	ds_write2_b64 v202, v[88:89], v[90:91] offset0:60 offset1:61
	;; [unrolled: 1-line block ×8, first 2 shown]
	s_waitcnt vmcnt(58)
	ds_write2_b64 v202, v[60:61], v[62:63] offset0:74 offset1:75
	s_waitcnt vmcnt(57)
	ds_write2_b64 v202, v[56:57], v[58:59] offset0:76 offset1:77
	;; [unrolled: 2-line block ×12, first 2 shown]
	ds_write2_b64 v202, v[12:13], v[14:15] offset0:98 offset1:99
	ds_write2_b64 v202, v[8:9], v[10:11] offset0:100 offset1:101
	;; [unrolled: 1-line block ×3, first 2 shown]
	s_waitcnt vmcnt(46)
	ds_write2_b64 v202, v[0:1], v[2:3] offset0:104 offset1:105
	s_waitcnt vmcnt(43)
	ds_write2_b64 v202, v[212:213], v[214:215] offset0:106 offset1:107
	ds_read2_b64 v[208:211], v201 offset1:1
	s_waitcnt lgkmcnt(0)
	v_cmp_neq_f64_e32 vcc, 0, v[208:209]
	v_cmp_neq_f64_e64 s[2:3], 0, v[210:211]
	s_or_b64 s[2:3], vcc, s[2:3]
	s_and_b64 exec, exec, s[2:3]
	s_cbranch_execz .LBB107_260
; %bb.255:
	v_cmp_ngt_f64_e64 s[2:3], |v[208:209]|, |v[210:211]|
                                        ; implicit-def: $vgpr204_vgpr205
	s_and_saveexec_b64 s[10:11], s[2:3]
	s_xor_b64 s[2:3], exec, s[10:11]
                                        ; implicit-def: $vgpr206_vgpr207
	s_cbranch_execz .LBB107_257
; %bb.256:
	v_div_scale_f64 v[204:205], s[10:11], v[210:211], v[210:211], v[208:209]
	v_rcp_f64_e32 v[206:207], v[204:205]
	v_div_scale_f64 v[216:217], vcc, v[208:209], v[210:211], v[208:209]
	v_fma_f64 v[218:219], -v[204:205], v[206:207], 1.0
	v_fmac_f64_e32 v[206:207], v[206:207], v[218:219]
	v_fma_f64 v[218:219], -v[204:205], v[206:207], 1.0
	v_fmac_f64_e32 v[206:207], v[206:207], v[218:219]
	v_mul_f64 v[218:219], v[216:217], v[206:207]
	v_fma_f64 v[204:205], -v[204:205], v[218:219], v[216:217]
	v_div_fmas_f64 v[204:205], v[204:205], v[206:207], v[218:219]
	v_div_fixup_f64 v[204:205], v[204:205], v[210:211], v[208:209]
	v_fmac_f64_e32 v[210:211], v[208:209], v[204:205]
	v_div_scale_f64 v[206:207], s[10:11], v[210:211], v[210:211], 1.0
	v_rcp_f64_e32 v[208:209], v[206:207]
	s_nop 0
	v_fma_f64 v[216:217], -v[206:207], v[208:209], 1.0
	v_fmac_f64_e32 v[208:209], v[208:209], v[216:217]
	v_fma_f64 v[216:217], -v[206:207], v[208:209], 1.0
	v_fmac_f64_e32 v[208:209], v[208:209], v[216:217]
	v_div_scale_f64 v[216:217], vcc, 1.0, v[210:211], 1.0
	v_mul_f64 v[218:219], v[216:217], v[208:209]
	v_fma_f64 v[206:207], -v[206:207], v[218:219], v[216:217]
	s_nop 1
	v_div_fmas_f64 v[206:207], v[206:207], v[208:209], v[218:219]
	v_div_fixup_f64 v[206:207], v[206:207], v[210:211], 1.0
	v_mul_f64 v[204:205], v[204:205], v[206:207]
	v_xor_b32_e32 v207, 0x80000000, v207
                                        ; implicit-def: $vgpr208_vgpr209
.LBB107_257:
	s_andn2_saveexec_b64 s[2:3], s[2:3]
	s_cbranch_execz .LBB107_259
; %bb.258:
	v_div_scale_f64 v[204:205], s[10:11], v[208:209], v[208:209], v[210:211]
	v_rcp_f64_e32 v[206:207], v[204:205]
	v_div_scale_f64 v[216:217], vcc, v[210:211], v[208:209], v[210:211]
	v_fma_f64 v[218:219], -v[204:205], v[206:207], 1.0
	v_fmac_f64_e32 v[206:207], v[206:207], v[218:219]
	v_fma_f64 v[218:219], -v[204:205], v[206:207], 1.0
	v_fmac_f64_e32 v[206:207], v[206:207], v[218:219]
	v_mul_f64 v[218:219], v[216:217], v[206:207]
	v_fma_f64 v[204:205], -v[204:205], v[218:219], v[216:217]
	v_div_fmas_f64 v[204:205], v[204:205], v[206:207], v[218:219]
	v_div_fixup_f64 v[206:207], v[204:205], v[208:209], v[210:211]
	v_fmac_f64_e32 v[208:209], v[210:211], v[206:207]
	v_div_scale_f64 v[204:205], s[10:11], v[208:209], v[208:209], 1.0
	v_rcp_f64_e32 v[210:211], v[204:205]
	s_nop 0
	v_fma_f64 v[216:217], -v[204:205], v[210:211], 1.0
	v_fmac_f64_e32 v[210:211], v[210:211], v[216:217]
	v_fma_f64 v[216:217], -v[204:205], v[210:211], 1.0
	v_fmac_f64_e32 v[210:211], v[210:211], v[216:217]
	v_div_scale_f64 v[216:217], vcc, 1.0, v[208:209], 1.0
	v_mul_f64 v[218:219], v[216:217], v[210:211]
	v_fma_f64 v[204:205], -v[204:205], v[218:219], v[216:217]
	s_nop 1
	v_div_fmas_f64 v[204:205], v[204:205], v[210:211], v[218:219]
	v_div_fixup_f64 v[204:205], v[204:205], v[208:209], 1.0
	v_mul_f64 v[206:207], v[206:207], -v[204:205]
.LBB107_259:
	s_or_b64 exec, exec, s[2:3]
	ds_write2_b64 v201, v[204:205], v[206:207] offset1:1
.LBB107_260:
	s_or_b64 exec, exec, s[4:5]
	s_waitcnt lgkmcnt(0)
	s_barrier
	ds_read2_b64 v[192:195], v201 offset1:1
	v_cmp_lt_u32_e32 vcc, 28, v200
	s_waitcnt lgkmcnt(0)
	scratch_store_dwordx4 off, v[192:195], off offset:944 ; 16-byte Folded Spill
	s_and_saveexec_b64 s[2:3], vcc
	s_cbranch_execz .LBB107_262
; %bb.261:
	scratch_load_dwordx4 v[192:195], off, off offset:944 ; 16-byte Folded Reload
	s_waitcnt vmcnt(0)
	v_mul_f64 v[204:205], v[194:195], v[98:99]
	v_fma_f64 v[208:209], v[192:193], v[96:97], -v[204:205]
	ds_read2_b64 v[204:207], v202 offset0:58 offset1:59
	v_mul_f64 v[98:99], v[192:193], v[98:99]
	v_fmac_f64_e32 v[98:99], v[194:195], v[96:97]
	s_waitcnt lgkmcnt(0)
	v_mul_f64 v[96:97], v[206:207], v[98:99]
	v_fma_f64 v[96:97], v[204:205], v[208:209], -v[96:97]
	v_mul_f64 v[204:205], v[204:205], v[98:99]
	v_fmac_f64_e32 v[204:205], v[206:207], v[208:209]
	v_add_f64 v[94:95], v[94:95], -v[204:205]
	ds_read2_b64 v[204:207], v202 offset0:60 offset1:61
	v_add_f64 v[92:93], v[92:93], -v[96:97]
	s_waitcnt lgkmcnt(0)
	v_mul_f64 v[96:97], v[206:207], v[98:99]
	v_fma_f64 v[96:97], v[204:205], v[208:209], -v[96:97]
	v_mul_f64 v[204:205], v[204:205], v[98:99]
	v_fmac_f64_e32 v[204:205], v[206:207], v[208:209]
	v_add_f64 v[90:91], v[90:91], -v[204:205]
	ds_read2_b64 v[204:207], v202 offset0:62 offset1:63
	v_add_f64 v[88:89], v[88:89], -v[96:97]
	;; [unrolled: 8-line block ×24, first 2 shown]
	s_waitcnt lgkmcnt(0)
	v_mul_f64 v[96:97], v[206:207], v[98:99]
	v_fma_f64 v[96:97], v[204:205], v[208:209], -v[96:97]
	v_mul_f64 v[204:205], v[204:205], v[98:99]
	v_fmac_f64_e32 v[204:205], v[206:207], v[208:209]
	v_add_f64 v[212:213], v[212:213], -v[96:97]
	v_add_f64 v[214:215], v[214:215], -v[204:205]
	v_mov_b64_e32 v[96:97], v[208:209]
.LBB107_262:
	s_or_b64 exec, exec, s[2:3]
	v_cmp_eq_u32_e32 vcc, 29, v200
	s_waitcnt vmcnt(63) expcnt(7) lgkmcnt(15)
	s_barrier
	s_and_saveexec_b64 s[4:5], vcc
	s_cbranch_execz .LBB107_269
; %bb.263:
	ds_write2_b64 v201, v[92:93], v[94:95] offset1:1
	ds_write2_b64 v202, v[88:89], v[90:91] offset0:60 offset1:61
	ds_write2_b64 v202, v[84:85], v[86:87] offset0:62 offset1:63
	;; [unrolled: 1-line block ×7, first 2 shown]
	s_waitcnt vmcnt(59)
	ds_write2_b64 v202, v[60:61], v[62:63] offset0:74 offset1:75
	s_waitcnt vmcnt(58)
	ds_write2_b64 v202, v[56:57], v[58:59] offset0:76 offset1:77
	;; [unrolled: 2-line block ×12, first 2 shown]
	ds_write2_b64 v202, v[12:13], v[14:15] offset0:98 offset1:99
	ds_write2_b64 v202, v[8:9], v[10:11] offset0:100 offset1:101
	;; [unrolled: 1-line block ×3, first 2 shown]
	s_waitcnt vmcnt(47)
	ds_write2_b64 v202, v[0:1], v[2:3] offset0:104 offset1:105
	s_waitcnt vmcnt(44)
	ds_write2_b64 v202, v[212:213], v[214:215] offset0:106 offset1:107
	ds_read2_b64 v[208:211], v201 offset1:1
	s_waitcnt lgkmcnt(0)
	v_cmp_neq_f64_e32 vcc, 0, v[208:209]
	v_cmp_neq_f64_e64 s[2:3], 0, v[210:211]
	s_or_b64 s[2:3], vcc, s[2:3]
	s_and_b64 exec, exec, s[2:3]
	s_cbranch_execz .LBB107_269
; %bb.264:
	v_cmp_ngt_f64_e64 s[2:3], |v[208:209]|, |v[210:211]|
                                        ; implicit-def: $vgpr204_vgpr205
	s_and_saveexec_b64 s[10:11], s[2:3]
	s_xor_b64 s[2:3], exec, s[10:11]
                                        ; implicit-def: $vgpr206_vgpr207
	s_cbranch_execz .LBB107_266
; %bb.265:
	v_div_scale_f64 v[204:205], s[10:11], v[210:211], v[210:211], v[208:209]
	v_rcp_f64_e32 v[206:207], v[204:205]
	v_div_scale_f64 v[216:217], vcc, v[208:209], v[210:211], v[208:209]
	v_fma_f64 v[218:219], -v[204:205], v[206:207], 1.0
	v_fmac_f64_e32 v[206:207], v[206:207], v[218:219]
	v_fma_f64 v[218:219], -v[204:205], v[206:207], 1.0
	v_fmac_f64_e32 v[206:207], v[206:207], v[218:219]
	v_mul_f64 v[218:219], v[216:217], v[206:207]
	v_fma_f64 v[204:205], -v[204:205], v[218:219], v[216:217]
	v_div_fmas_f64 v[204:205], v[204:205], v[206:207], v[218:219]
	v_div_fixup_f64 v[204:205], v[204:205], v[210:211], v[208:209]
	v_fmac_f64_e32 v[210:211], v[208:209], v[204:205]
	v_div_scale_f64 v[206:207], s[10:11], v[210:211], v[210:211], 1.0
	v_rcp_f64_e32 v[208:209], v[206:207]
	s_nop 0
	v_fma_f64 v[216:217], -v[206:207], v[208:209], 1.0
	v_fmac_f64_e32 v[208:209], v[208:209], v[216:217]
	v_fma_f64 v[216:217], -v[206:207], v[208:209], 1.0
	v_fmac_f64_e32 v[208:209], v[208:209], v[216:217]
	v_div_scale_f64 v[216:217], vcc, 1.0, v[210:211], 1.0
	v_mul_f64 v[218:219], v[216:217], v[208:209]
	v_fma_f64 v[206:207], -v[206:207], v[218:219], v[216:217]
	s_nop 1
	v_div_fmas_f64 v[206:207], v[206:207], v[208:209], v[218:219]
	v_div_fixup_f64 v[206:207], v[206:207], v[210:211], 1.0
	v_mul_f64 v[204:205], v[204:205], v[206:207]
	v_xor_b32_e32 v207, 0x80000000, v207
                                        ; implicit-def: $vgpr208_vgpr209
.LBB107_266:
	s_andn2_saveexec_b64 s[2:3], s[2:3]
	s_cbranch_execz .LBB107_268
; %bb.267:
	v_div_scale_f64 v[204:205], s[10:11], v[208:209], v[208:209], v[210:211]
	v_rcp_f64_e32 v[206:207], v[204:205]
	v_div_scale_f64 v[216:217], vcc, v[210:211], v[208:209], v[210:211]
	v_fma_f64 v[218:219], -v[204:205], v[206:207], 1.0
	v_fmac_f64_e32 v[206:207], v[206:207], v[218:219]
	v_fma_f64 v[218:219], -v[204:205], v[206:207], 1.0
	v_fmac_f64_e32 v[206:207], v[206:207], v[218:219]
	v_mul_f64 v[218:219], v[216:217], v[206:207]
	v_fma_f64 v[204:205], -v[204:205], v[218:219], v[216:217]
	v_div_fmas_f64 v[204:205], v[204:205], v[206:207], v[218:219]
	v_div_fixup_f64 v[206:207], v[204:205], v[208:209], v[210:211]
	v_fmac_f64_e32 v[208:209], v[210:211], v[206:207]
	v_div_scale_f64 v[204:205], s[10:11], v[208:209], v[208:209], 1.0
	v_rcp_f64_e32 v[210:211], v[204:205]
	s_nop 0
	v_fma_f64 v[216:217], -v[204:205], v[210:211], 1.0
	v_fmac_f64_e32 v[210:211], v[210:211], v[216:217]
	v_fma_f64 v[216:217], -v[204:205], v[210:211], 1.0
	v_fmac_f64_e32 v[210:211], v[210:211], v[216:217]
	v_div_scale_f64 v[216:217], vcc, 1.0, v[208:209], 1.0
	v_mul_f64 v[218:219], v[216:217], v[210:211]
	v_fma_f64 v[204:205], -v[204:205], v[218:219], v[216:217]
	s_nop 1
	v_div_fmas_f64 v[204:205], v[204:205], v[210:211], v[218:219]
	v_div_fixup_f64 v[204:205], v[204:205], v[208:209], 1.0
	v_mul_f64 v[206:207], v[206:207], -v[204:205]
.LBB107_268:
	s_or_b64 exec, exec, s[2:3]
	ds_write2_b64 v201, v[204:205], v[206:207] offset1:1
.LBB107_269:
	s_or_b64 exec, exec, s[4:5]
	s_waitcnt lgkmcnt(0)
	s_barrier
	ds_read2_b64 v[192:195], v201 offset1:1
	v_cmp_lt_u32_e32 vcc, 29, v200
	s_waitcnt lgkmcnt(0)
	scratch_store_dwordx4 off, v[192:195], off offset:960 ; 16-byte Folded Spill
	s_and_saveexec_b64 s[2:3], vcc
	s_cbranch_execz .LBB107_271
; %bb.270:
	scratch_load_dwordx4 v[192:195], off, off offset:960 ; 16-byte Folded Reload
	s_waitcnt vmcnt(0)
	v_mul_f64 v[204:205], v[194:195], v[94:95]
	v_fma_f64 v[208:209], v[192:193], v[92:93], -v[204:205]
	ds_read2_b64 v[204:207], v202 offset0:60 offset1:61
	v_mul_f64 v[94:95], v[192:193], v[94:95]
	v_fmac_f64_e32 v[94:95], v[194:195], v[92:93]
	s_waitcnt lgkmcnt(0)
	v_mul_f64 v[92:93], v[206:207], v[94:95]
	v_fma_f64 v[92:93], v[204:205], v[208:209], -v[92:93]
	v_mul_f64 v[204:205], v[204:205], v[94:95]
	v_fmac_f64_e32 v[204:205], v[206:207], v[208:209]
	v_add_f64 v[90:91], v[90:91], -v[204:205]
	ds_read2_b64 v[204:207], v202 offset0:62 offset1:63
	v_add_f64 v[88:89], v[88:89], -v[92:93]
	s_waitcnt lgkmcnt(0)
	v_mul_f64 v[92:93], v[206:207], v[94:95]
	v_fma_f64 v[92:93], v[204:205], v[208:209], -v[92:93]
	v_mul_f64 v[204:205], v[204:205], v[94:95]
	v_fmac_f64_e32 v[204:205], v[206:207], v[208:209]
	v_add_f64 v[86:87], v[86:87], -v[204:205]
	ds_read2_b64 v[204:207], v202 offset0:64 offset1:65
	v_add_f64 v[84:85], v[84:85], -v[92:93]
	;; [unrolled: 8-line block ×23, first 2 shown]
	s_waitcnt lgkmcnt(0)
	v_mul_f64 v[92:93], v[206:207], v[94:95]
	v_fma_f64 v[92:93], v[204:205], v[208:209], -v[92:93]
	v_mul_f64 v[204:205], v[204:205], v[94:95]
	v_fmac_f64_e32 v[204:205], v[206:207], v[208:209]
	v_add_f64 v[212:213], v[212:213], -v[92:93]
	v_add_f64 v[214:215], v[214:215], -v[204:205]
	v_mov_b64_e32 v[92:93], v[208:209]
.LBB107_271:
	s_or_b64 exec, exec, s[2:3]
	v_cmp_eq_u32_e32 vcc, 30, v200
	s_waitcnt vmcnt(63) expcnt(7) lgkmcnt(15)
	s_barrier
	s_and_saveexec_b64 s[4:5], vcc
	s_cbranch_execz .LBB107_278
; %bb.272:
	ds_write2_b64 v201, v[88:89], v[90:91] offset1:1
	ds_write2_b64 v202, v[84:85], v[86:87] offset0:62 offset1:63
	ds_write2_b64 v202, v[80:81], v[82:83] offset0:64 offset1:65
	;; [unrolled: 1-line block ×6, first 2 shown]
	s_waitcnt vmcnt(60)
	ds_write2_b64 v202, v[60:61], v[62:63] offset0:74 offset1:75
	s_waitcnt vmcnt(59)
	ds_write2_b64 v202, v[56:57], v[58:59] offset0:76 offset1:77
	;; [unrolled: 2-line block ×12, first 2 shown]
	ds_write2_b64 v202, v[12:13], v[14:15] offset0:98 offset1:99
	ds_write2_b64 v202, v[8:9], v[10:11] offset0:100 offset1:101
	;; [unrolled: 1-line block ×3, first 2 shown]
	s_waitcnt vmcnt(48)
	ds_write2_b64 v202, v[0:1], v[2:3] offset0:104 offset1:105
	s_waitcnt vmcnt(45)
	ds_write2_b64 v202, v[212:213], v[214:215] offset0:106 offset1:107
	ds_read2_b64 v[208:211], v201 offset1:1
	s_waitcnt lgkmcnt(0)
	v_cmp_neq_f64_e32 vcc, 0, v[208:209]
	v_cmp_neq_f64_e64 s[2:3], 0, v[210:211]
	s_or_b64 s[2:3], vcc, s[2:3]
	s_and_b64 exec, exec, s[2:3]
	s_cbranch_execz .LBB107_278
; %bb.273:
	v_cmp_ngt_f64_e64 s[2:3], |v[208:209]|, |v[210:211]|
                                        ; implicit-def: $vgpr204_vgpr205
	s_and_saveexec_b64 s[10:11], s[2:3]
	s_xor_b64 s[2:3], exec, s[10:11]
                                        ; implicit-def: $vgpr206_vgpr207
	s_cbranch_execz .LBB107_275
; %bb.274:
	v_div_scale_f64 v[204:205], s[10:11], v[210:211], v[210:211], v[208:209]
	v_rcp_f64_e32 v[206:207], v[204:205]
	v_div_scale_f64 v[216:217], vcc, v[208:209], v[210:211], v[208:209]
	v_fma_f64 v[218:219], -v[204:205], v[206:207], 1.0
	v_fmac_f64_e32 v[206:207], v[206:207], v[218:219]
	v_fma_f64 v[218:219], -v[204:205], v[206:207], 1.0
	v_fmac_f64_e32 v[206:207], v[206:207], v[218:219]
	v_mul_f64 v[218:219], v[216:217], v[206:207]
	v_fma_f64 v[204:205], -v[204:205], v[218:219], v[216:217]
	v_div_fmas_f64 v[204:205], v[204:205], v[206:207], v[218:219]
	v_div_fixup_f64 v[204:205], v[204:205], v[210:211], v[208:209]
	v_fmac_f64_e32 v[210:211], v[208:209], v[204:205]
	v_div_scale_f64 v[206:207], s[10:11], v[210:211], v[210:211], 1.0
	v_rcp_f64_e32 v[208:209], v[206:207]
	s_nop 0
	v_fma_f64 v[216:217], -v[206:207], v[208:209], 1.0
	v_fmac_f64_e32 v[208:209], v[208:209], v[216:217]
	v_fma_f64 v[216:217], -v[206:207], v[208:209], 1.0
	v_fmac_f64_e32 v[208:209], v[208:209], v[216:217]
	v_div_scale_f64 v[216:217], vcc, 1.0, v[210:211], 1.0
	v_mul_f64 v[218:219], v[216:217], v[208:209]
	v_fma_f64 v[206:207], -v[206:207], v[218:219], v[216:217]
	s_nop 1
	v_div_fmas_f64 v[206:207], v[206:207], v[208:209], v[218:219]
	v_div_fixup_f64 v[206:207], v[206:207], v[210:211], 1.0
	v_mul_f64 v[204:205], v[204:205], v[206:207]
	v_xor_b32_e32 v207, 0x80000000, v207
                                        ; implicit-def: $vgpr208_vgpr209
.LBB107_275:
	s_andn2_saveexec_b64 s[2:3], s[2:3]
	s_cbranch_execz .LBB107_277
; %bb.276:
	v_div_scale_f64 v[204:205], s[10:11], v[208:209], v[208:209], v[210:211]
	v_rcp_f64_e32 v[206:207], v[204:205]
	v_div_scale_f64 v[216:217], vcc, v[210:211], v[208:209], v[210:211]
	v_fma_f64 v[218:219], -v[204:205], v[206:207], 1.0
	v_fmac_f64_e32 v[206:207], v[206:207], v[218:219]
	v_fma_f64 v[218:219], -v[204:205], v[206:207], 1.0
	v_fmac_f64_e32 v[206:207], v[206:207], v[218:219]
	v_mul_f64 v[218:219], v[216:217], v[206:207]
	v_fma_f64 v[204:205], -v[204:205], v[218:219], v[216:217]
	v_div_fmas_f64 v[204:205], v[204:205], v[206:207], v[218:219]
	v_div_fixup_f64 v[206:207], v[204:205], v[208:209], v[210:211]
	v_fmac_f64_e32 v[208:209], v[210:211], v[206:207]
	v_div_scale_f64 v[204:205], s[10:11], v[208:209], v[208:209], 1.0
	v_rcp_f64_e32 v[210:211], v[204:205]
	s_nop 0
	v_fma_f64 v[216:217], -v[204:205], v[210:211], 1.0
	v_fmac_f64_e32 v[210:211], v[210:211], v[216:217]
	v_fma_f64 v[216:217], -v[204:205], v[210:211], 1.0
	v_fmac_f64_e32 v[210:211], v[210:211], v[216:217]
	v_div_scale_f64 v[216:217], vcc, 1.0, v[208:209], 1.0
	v_mul_f64 v[218:219], v[216:217], v[210:211]
	v_fma_f64 v[204:205], -v[204:205], v[218:219], v[216:217]
	s_nop 1
	v_div_fmas_f64 v[204:205], v[204:205], v[210:211], v[218:219]
	v_div_fixup_f64 v[204:205], v[204:205], v[208:209], 1.0
	v_mul_f64 v[206:207], v[206:207], -v[204:205]
.LBB107_277:
	s_or_b64 exec, exec, s[2:3]
	ds_write2_b64 v201, v[204:205], v[206:207] offset1:1
.LBB107_278:
	s_or_b64 exec, exec, s[4:5]
	s_waitcnt lgkmcnt(0)
	s_barrier
	ds_read2_b64 v[192:195], v201 offset1:1
	v_cmp_lt_u32_e32 vcc, 30, v200
	s_waitcnt lgkmcnt(0)
	scratch_store_dwordx4 off, v[192:195], off offset:976 ; 16-byte Folded Spill
	s_and_saveexec_b64 s[2:3], vcc
	s_cbranch_execz .LBB107_280
; %bb.279:
	scratch_load_dwordx4 v[192:195], off, off offset:976 ; 16-byte Folded Reload
	s_waitcnt vmcnt(0)
	v_mul_f64 v[204:205], v[194:195], v[90:91]
	v_fma_f64 v[208:209], v[192:193], v[88:89], -v[204:205]
	ds_read2_b64 v[204:207], v202 offset0:62 offset1:63
	v_mul_f64 v[90:91], v[192:193], v[90:91]
	v_fmac_f64_e32 v[90:91], v[194:195], v[88:89]
	s_waitcnt lgkmcnt(0)
	v_mul_f64 v[88:89], v[206:207], v[90:91]
	v_fma_f64 v[88:89], v[204:205], v[208:209], -v[88:89]
	v_mul_f64 v[204:205], v[204:205], v[90:91]
	v_fmac_f64_e32 v[204:205], v[206:207], v[208:209]
	v_add_f64 v[86:87], v[86:87], -v[204:205]
	ds_read2_b64 v[204:207], v202 offset0:64 offset1:65
	v_add_f64 v[84:85], v[84:85], -v[88:89]
	s_waitcnt lgkmcnt(0)
	v_mul_f64 v[88:89], v[206:207], v[90:91]
	v_fma_f64 v[88:89], v[204:205], v[208:209], -v[88:89]
	v_mul_f64 v[204:205], v[204:205], v[90:91]
	v_fmac_f64_e32 v[204:205], v[206:207], v[208:209]
	v_add_f64 v[82:83], v[82:83], -v[204:205]
	ds_read2_b64 v[204:207], v202 offset0:66 offset1:67
	v_add_f64 v[80:81], v[80:81], -v[88:89]
	;; [unrolled: 8-line block ×22, first 2 shown]
	s_waitcnt lgkmcnt(0)
	v_mul_f64 v[88:89], v[206:207], v[90:91]
	v_fma_f64 v[88:89], v[204:205], v[208:209], -v[88:89]
	v_mul_f64 v[204:205], v[204:205], v[90:91]
	v_fmac_f64_e32 v[204:205], v[206:207], v[208:209]
	v_add_f64 v[212:213], v[212:213], -v[88:89]
	v_add_f64 v[214:215], v[214:215], -v[204:205]
	v_mov_b64_e32 v[88:89], v[208:209]
.LBB107_280:
	s_or_b64 exec, exec, s[2:3]
	v_cmp_eq_u32_e32 vcc, 31, v200
	s_waitcnt vmcnt(63) expcnt(7) lgkmcnt(15)
	s_barrier
	s_and_saveexec_b64 s[4:5], vcc
	s_cbranch_execz .LBB107_287
; %bb.281:
	ds_write2_b64 v201, v[84:85], v[86:87] offset1:1
	ds_write2_b64 v202, v[80:81], v[82:83] offset0:64 offset1:65
	ds_write2_b64 v202, v[76:77], v[78:79] offset0:66 offset1:67
	;; [unrolled: 1-line block ×5, first 2 shown]
	s_waitcnt vmcnt(61)
	ds_write2_b64 v202, v[60:61], v[62:63] offset0:74 offset1:75
	s_waitcnt vmcnt(60)
	ds_write2_b64 v202, v[56:57], v[58:59] offset0:76 offset1:77
	;; [unrolled: 2-line block ×12, first 2 shown]
	ds_write2_b64 v202, v[12:13], v[14:15] offset0:98 offset1:99
	ds_write2_b64 v202, v[8:9], v[10:11] offset0:100 offset1:101
	;; [unrolled: 1-line block ×3, first 2 shown]
	s_waitcnt vmcnt(49)
	ds_write2_b64 v202, v[0:1], v[2:3] offset0:104 offset1:105
	s_waitcnt vmcnt(46)
	ds_write2_b64 v202, v[212:213], v[214:215] offset0:106 offset1:107
	ds_read2_b64 v[208:211], v201 offset1:1
	s_waitcnt lgkmcnt(0)
	v_cmp_neq_f64_e32 vcc, 0, v[208:209]
	v_cmp_neq_f64_e64 s[2:3], 0, v[210:211]
	s_or_b64 s[2:3], vcc, s[2:3]
	s_and_b64 exec, exec, s[2:3]
	s_cbranch_execz .LBB107_287
; %bb.282:
	v_cmp_ngt_f64_e64 s[2:3], |v[208:209]|, |v[210:211]|
                                        ; implicit-def: $vgpr204_vgpr205
	s_and_saveexec_b64 s[10:11], s[2:3]
	s_xor_b64 s[2:3], exec, s[10:11]
                                        ; implicit-def: $vgpr206_vgpr207
	s_cbranch_execz .LBB107_284
; %bb.283:
	v_div_scale_f64 v[204:205], s[10:11], v[210:211], v[210:211], v[208:209]
	v_rcp_f64_e32 v[206:207], v[204:205]
	v_div_scale_f64 v[216:217], vcc, v[208:209], v[210:211], v[208:209]
	v_fma_f64 v[218:219], -v[204:205], v[206:207], 1.0
	v_fmac_f64_e32 v[206:207], v[206:207], v[218:219]
	v_fma_f64 v[218:219], -v[204:205], v[206:207], 1.0
	v_fmac_f64_e32 v[206:207], v[206:207], v[218:219]
	v_mul_f64 v[218:219], v[216:217], v[206:207]
	v_fma_f64 v[204:205], -v[204:205], v[218:219], v[216:217]
	v_div_fmas_f64 v[204:205], v[204:205], v[206:207], v[218:219]
	v_div_fixup_f64 v[204:205], v[204:205], v[210:211], v[208:209]
	v_fmac_f64_e32 v[210:211], v[208:209], v[204:205]
	v_div_scale_f64 v[206:207], s[10:11], v[210:211], v[210:211], 1.0
	v_rcp_f64_e32 v[208:209], v[206:207]
	s_nop 0
	v_fma_f64 v[216:217], -v[206:207], v[208:209], 1.0
	v_fmac_f64_e32 v[208:209], v[208:209], v[216:217]
	v_fma_f64 v[216:217], -v[206:207], v[208:209], 1.0
	v_fmac_f64_e32 v[208:209], v[208:209], v[216:217]
	v_div_scale_f64 v[216:217], vcc, 1.0, v[210:211], 1.0
	v_mul_f64 v[218:219], v[216:217], v[208:209]
	v_fma_f64 v[206:207], -v[206:207], v[218:219], v[216:217]
	s_nop 1
	v_div_fmas_f64 v[206:207], v[206:207], v[208:209], v[218:219]
	v_div_fixup_f64 v[206:207], v[206:207], v[210:211], 1.0
	v_mul_f64 v[204:205], v[204:205], v[206:207]
	v_xor_b32_e32 v207, 0x80000000, v207
                                        ; implicit-def: $vgpr208_vgpr209
.LBB107_284:
	s_andn2_saveexec_b64 s[2:3], s[2:3]
	s_cbranch_execz .LBB107_286
; %bb.285:
	v_div_scale_f64 v[204:205], s[10:11], v[208:209], v[208:209], v[210:211]
	v_rcp_f64_e32 v[206:207], v[204:205]
	v_div_scale_f64 v[216:217], vcc, v[210:211], v[208:209], v[210:211]
	v_fma_f64 v[218:219], -v[204:205], v[206:207], 1.0
	v_fmac_f64_e32 v[206:207], v[206:207], v[218:219]
	v_fma_f64 v[218:219], -v[204:205], v[206:207], 1.0
	v_fmac_f64_e32 v[206:207], v[206:207], v[218:219]
	v_mul_f64 v[218:219], v[216:217], v[206:207]
	v_fma_f64 v[204:205], -v[204:205], v[218:219], v[216:217]
	v_div_fmas_f64 v[204:205], v[204:205], v[206:207], v[218:219]
	v_div_fixup_f64 v[206:207], v[204:205], v[208:209], v[210:211]
	v_fmac_f64_e32 v[208:209], v[210:211], v[206:207]
	v_div_scale_f64 v[204:205], s[10:11], v[208:209], v[208:209], 1.0
	v_rcp_f64_e32 v[210:211], v[204:205]
	s_nop 0
	v_fma_f64 v[216:217], -v[204:205], v[210:211], 1.0
	v_fmac_f64_e32 v[210:211], v[210:211], v[216:217]
	v_fma_f64 v[216:217], -v[204:205], v[210:211], 1.0
	v_fmac_f64_e32 v[210:211], v[210:211], v[216:217]
	v_div_scale_f64 v[216:217], vcc, 1.0, v[208:209], 1.0
	v_mul_f64 v[218:219], v[216:217], v[210:211]
	v_fma_f64 v[204:205], -v[204:205], v[218:219], v[216:217]
	s_nop 1
	v_div_fmas_f64 v[204:205], v[204:205], v[210:211], v[218:219]
	v_div_fixup_f64 v[204:205], v[204:205], v[208:209], 1.0
	v_mul_f64 v[206:207], v[206:207], -v[204:205]
.LBB107_286:
	s_or_b64 exec, exec, s[2:3]
	ds_write2_b64 v201, v[204:205], v[206:207] offset1:1
.LBB107_287:
	s_or_b64 exec, exec, s[4:5]
	s_waitcnt lgkmcnt(0)
	s_barrier
	ds_read2_b64 v[192:195], v201 offset1:1
	v_cmp_lt_u32_e32 vcc, 31, v200
	s_waitcnt lgkmcnt(0)
	scratch_store_dwordx4 off, v[192:195], off offset:992 ; 16-byte Folded Spill
	s_and_saveexec_b64 s[2:3], vcc
	s_cbranch_execz .LBB107_289
; %bb.288:
	scratch_load_dwordx4 v[192:195], off, off offset:992 ; 16-byte Folded Reload
	s_waitcnt vmcnt(0)
	v_mul_f64 v[204:205], v[194:195], v[86:87]
	v_fma_f64 v[208:209], v[192:193], v[84:85], -v[204:205]
	ds_read2_b64 v[204:207], v202 offset0:64 offset1:65
	v_mul_f64 v[86:87], v[192:193], v[86:87]
	v_fmac_f64_e32 v[86:87], v[194:195], v[84:85]
	s_waitcnt lgkmcnt(0)
	v_mul_f64 v[84:85], v[206:207], v[86:87]
	v_fma_f64 v[84:85], v[204:205], v[208:209], -v[84:85]
	v_mul_f64 v[204:205], v[204:205], v[86:87]
	v_fmac_f64_e32 v[204:205], v[206:207], v[208:209]
	v_add_f64 v[82:83], v[82:83], -v[204:205]
	ds_read2_b64 v[204:207], v202 offset0:66 offset1:67
	v_add_f64 v[80:81], v[80:81], -v[84:85]
	s_waitcnt lgkmcnt(0)
	v_mul_f64 v[84:85], v[206:207], v[86:87]
	v_fma_f64 v[84:85], v[204:205], v[208:209], -v[84:85]
	v_mul_f64 v[204:205], v[204:205], v[86:87]
	v_fmac_f64_e32 v[204:205], v[206:207], v[208:209]
	v_add_f64 v[78:79], v[78:79], -v[204:205]
	ds_read2_b64 v[204:207], v202 offset0:68 offset1:69
	v_add_f64 v[76:77], v[76:77], -v[84:85]
	s_waitcnt lgkmcnt(0)
	v_mul_f64 v[84:85], v[206:207], v[86:87]
	v_fma_f64 v[84:85], v[204:205], v[208:209], -v[84:85]
	v_mul_f64 v[204:205], v[204:205], v[86:87]
	v_fmac_f64_e32 v[204:205], v[206:207], v[208:209]
	v_add_f64 v[74:75], v[74:75], -v[204:205]
	ds_read2_b64 v[204:207], v202 offset0:70 offset1:71
	v_add_f64 v[72:73], v[72:73], -v[84:85]
	s_waitcnt lgkmcnt(0)
	v_mul_f64 v[84:85], v[206:207], v[86:87]
	v_fma_f64 v[84:85], v[204:205], v[208:209], -v[84:85]
	v_mul_f64 v[204:205], v[204:205], v[86:87]
	v_fmac_f64_e32 v[204:205], v[206:207], v[208:209]
	v_add_f64 v[70:71], v[70:71], -v[204:205]
	ds_read2_b64 v[204:207], v202 offset0:72 offset1:73
	v_add_f64 v[68:69], v[68:69], -v[84:85]
	s_waitcnt lgkmcnt(0)
	v_mul_f64 v[84:85], v[206:207], v[86:87]
	v_fma_f64 v[84:85], v[204:205], v[208:209], -v[84:85]
	v_mul_f64 v[204:205], v[204:205], v[86:87]
	v_fmac_f64_e32 v[204:205], v[206:207], v[208:209]
	v_add_f64 v[66:67], v[66:67], -v[204:205]
	ds_read2_b64 v[204:207], v202 offset0:74 offset1:75
	v_add_f64 v[64:65], v[64:65], -v[84:85]
	s_waitcnt lgkmcnt(0)
	v_mul_f64 v[84:85], v[206:207], v[86:87]
	v_fma_f64 v[84:85], v[204:205], v[208:209], -v[84:85]
	v_mul_f64 v[204:205], v[204:205], v[86:87]
	v_fmac_f64_e32 v[204:205], v[206:207], v[208:209]
	v_add_f64 v[62:63], v[62:63], -v[204:205]
	ds_read2_b64 v[204:207], v202 offset0:76 offset1:77
	v_add_f64 v[60:61], v[60:61], -v[84:85]
	s_waitcnt lgkmcnt(0)
	v_mul_f64 v[84:85], v[206:207], v[86:87]
	v_fma_f64 v[84:85], v[204:205], v[208:209], -v[84:85]
	v_mul_f64 v[204:205], v[204:205], v[86:87]
	v_fmac_f64_e32 v[204:205], v[206:207], v[208:209]
	v_add_f64 v[58:59], v[58:59], -v[204:205]
	ds_read2_b64 v[204:207], v202 offset0:78 offset1:79
	v_add_f64 v[56:57], v[56:57], -v[84:85]
	s_waitcnt lgkmcnt(0)
	v_mul_f64 v[84:85], v[206:207], v[86:87]
	v_fma_f64 v[84:85], v[204:205], v[208:209], -v[84:85]
	v_mul_f64 v[204:205], v[204:205], v[86:87]
	v_fmac_f64_e32 v[204:205], v[206:207], v[208:209]
	v_add_f64 v[54:55], v[54:55], -v[204:205]
	ds_read2_b64 v[204:207], v202 offset0:80 offset1:81
	v_add_f64 v[52:53], v[52:53], -v[84:85]
	s_waitcnt lgkmcnt(0)
	v_mul_f64 v[84:85], v[206:207], v[86:87]
	v_fma_f64 v[84:85], v[204:205], v[208:209], -v[84:85]
	v_mul_f64 v[204:205], v[204:205], v[86:87]
	v_fmac_f64_e32 v[204:205], v[206:207], v[208:209]
	v_add_f64 v[50:51], v[50:51], -v[204:205]
	ds_read2_b64 v[204:207], v202 offset0:82 offset1:83
	v_add_f64 v[48:49], v[48:49], -v[84:85]
	s_waitcnt lgkmcnt(0)
	v_mul_f64 v[84:85], v[206:207], v[86:87]
	v_fma_f64 v[84:85], v[204:205], v[208:209], -v[84:85]
	v_mul_f64 v[204:205], v[204:205], v[86:87]
	v_fmac_f64_e32 v[204:205], v[206:207], v[208:209]
	v_add_f64 v[46:47], v[46:47], -v[204:205]
	ds_read2_b64 v[204:207], v202 offset0:84 offset1:85
	v_add_f64 v[44:45], v[44:45], -v[84:85]
	s_waitcnt lgkmcnt(0)
	v_mul_f64 v[84:85], v[206:207], v[86:87]
	v_fma_f64 v[84:85], v[204:205], v[208:209], -v[84:85]
	v_mul_f64 v[204:205], v[204:205], v[86:87]
	v_fmac_f64_e32 v[204:205], v[206:207], v[208:209]
	v_add_f64 v[42:43], v[42:43], -v[204:205]
	ds_read2_b64 v[204:207], v202 offset0:86 offset1:87
	v_add_f64 v[40:41], v[40:41], -v[84:85]
	s_waitcnt lgkmcnt(0)
	v_mul_f64 v[84:85], v[206:207], v[86:87]
	v_fma_f64 v[84:85], v[204:205], v[208:209], -v[84:85]
	v_mul_f64 v[204:205], v[204:205], v[86:87]
	v_fmac_f64_e32 v[204:205], v[206:207], v[208:209]
	v_add_f64 v[38:39], v[38:39], -v[204:205]
	ds_read2_b64 v[204:207], v202 offset0:88 offset1:89
	v_add_f64 v[36:37], v[36:37], -v[84:85]
	s_waitcnt lgkmcnt(0)
	v_mul_f64 v[84:85], v[206:207], v[86:87]
	v_fma_f64 v[84:85], v[204:205], v[208:209], -v[84:85]
	v_mul_f64 v[204:205], v[204:205], v[86:87]
	v_fmac_f64_e32 v[204:205], v[206:207], v[208:209]
	v_add_f64 v[34:35], v[34:35], -v[204:205]
	ds_read2_b64 v[204:207], v202 offset0:90 offset1:91
	v_add_f64 v[32:33], v[32:33], -v[84:85]
	s_waitcnt lgkmcnt(0)
	v_mul_f64 v[84:85], v[206:207], v[86:87]
	v_fma_f64 v[84:85], v[204:205], v[208:209], -v[84:85]
	v_mul_f64 v[204:205], v[204:205], v[86:87]
	v_fmac_f64_e32 v[204:205], v[206:207], v[208:209]
	v_add_f64 v[30:31], v[30:31], -v[204:205]
	ds_read2_b64 v[204:207], v202 offset0:92 offset1:93
	v_add_f64 v[28:29], v[28:29], -v[84:85]
	s_waitcnt lgkmcnt(0)
	v_mul_f64 v[84:85], v[206:207], v[86:87]
	v_fma_f64 v[84:85], v[204:205], v[208:209], -v[84:85]
	v_mul_f64 v[204:205], v[204:205], v[86:87]
	v_fmac_f64_e32 v[204:205], v[206:207], v[208:209]
	v_add_f64 v[26:27], v[26:27], -v[204:205]
	ds_read2_b64 v[204:207], v202 offset0:94 offset1:95
	v_add_f64 v[24:25], v[24:25], -v[84:85]
	s_waitcnt lgkmcnt(0)
	v_mul_f64 v[84:85], v[206:207], v[86:87]
	v_fma_f64 v[84:85], v[204:205], v[208:209], -v[84:85]
	v_mul_f64 v[204:205], v[204:205], v[86:87]
	v_fmac_f64_e32 v[204:205], v[206:207], v[208:209]
	v_add_f64 v[22:23], v[22:23], -v[204:205]
	ds_read2_b64 v[204:207], v202 offset0:96 offset1:97
	v_add_f64 v[20:21], v[20:21], -v[84:85]
	s_waitcnt lgkmcnt(0)
	v_mul_f64 v[84:85], v[206:207], v[86:87]
	v_fma_f64 v[84:85], v[204:205], v[208:209], -v[84:85]
	v_mul_f64 v[204:205], v[204:205], v[86:87]
	v_fmac_f64_e32 v[204:205], v[206:207], v[208:209]
	v_add_f64 v[18:19], v[18:19], -v[204:205]
	ds_read2_b64 v[204:207], v202 offset0:98 offset1:99
	v_add_f64 v[16:17], v[16:17], -v[84:85]
	s_waitcnt lgkmcnt(0)
	v_mul_f64 v[84:85], v[206:207], v[86:87]
	v_fma_f64 v[84:85], v[204:205], v[208:209], -v[84:85]
	v_mul_f64 v[204:205], v[204:205], v[86:87]
	v_fmac_f64_e32 v[204:205], v[206:207], v[208:209]
	v_add_f64 v[14:15], v[14:15], -v[204:205]
	ds_read2_b64 v[204:207], v202 offset0:100 offset1:101
	v_add_f64 v[12:13], v[12:13], -v[84:85]
	s_waitcnt lgkmcnt(0)
	v_mul_f64 v[84:85], v[206:207], v[86:87]
	v_fma_f64 v[84:85], v[204:205], v[208:209], -v[84:85]
	v_mul_f64 v[204:205], v[204:205], v[86:87]
	v_fmac_f64_e32 v[204:205], v[206:207], v[208:209]
	v_add_f64 v[10:11], v[10:11], -v[204:205]
	ds_read2_b64 v[204:207], v202 offset0:102 offset1:103
	v_add_f64 v[8:9], v[8:9], -v[84:85]
	s_waitcnt lgkmcnt(0)
	v_mul_f64 v[84:85], v[206:207], v[86:87]
	v_fma_f64 v[84:85], v[204:205], v[208:209], -v[84:85]
	v_mul_f64 v[204:205], v[204:205], v[86:87]
	v_fmac_f64_e32 v[204:205], v[206:207], v[208:209]
	v_add_f64 v[6:7], v[6:7], -v[204:205]
	ds_read2_b64 v[204:207], v202 offset0:104 offset1:105
	v_add_f64 v[4:5], v[4:5], -v[84:85]
	s_waitcnt lgkmcnt(0)
	v_mul_f64 v[84:85], v[206:207], v[86:87]
	v_fma_f64 v[84:85], v[204:205], v[208:209], -v[84:85]
	v_mul_f64 v[204:205], v[204:205], v[86:87]
	v_fmac_f64_e32 v[204:205], v[206:207], v[208:209]
	v_add_f64 v[2:3], v[2:3], -v[204:205]
	ds_read2_b64 v[204:207], v202 offset0:106 offset1:107
	v_add_f64 v[0:1], v[0:1], -v[84:85]
	s_waitcnt lgkmcnt(0)
	v_mul_f64 v[84:85], v[206:207], v[86:87]
	v_fma_f64 v[84:85], v[204:205], v[208:209], -v[84:85]
	v_mul_f64 v[204:205], v[204:205], v[86:87]
	v_fmac_f64_e32 v[204:205], v[206:207], v[208:209]
	v_add_f64 v[212:213], v[212:213], -v[84:85]
	v_add_f64 v[214:215], v[214:215], -v[204:205]
	v_mov_b64_e32 v[84:85], v[208:209]
.LBB107_289:
	s_or_b64 exec, exec, s[2:3]
	v_cmp_eq_u32_e32 vcc, 32, v200
	s_waitcnt vmcnt(63) expcnt(7) lgkmcnt(15)
	s_barrier
	s_and_saveexec_b64 s[4:5], vcc
	s_cbranch_execz .LBB107_296
; %bb.290:
	ds_write2_b64 v201, v[80:81], v[82:83] offset1:1
	ds_write2_b64 v202, v[76:77], v[78:79] offset0:66 offset1:67
	ds_write2_b64 v202, v[72:73], v[74:75] offset0:68 offset1:69
	;; [unrolled: 1-line block ×4, first 2 shown]
	s_waitcnt vmcnt(62)
	ds_write2_b64 v202, v[60:61], v[62:63] offset0:74 offset1:75
	s_waitcnt vmcnt(61)
	ds_write2_b64 v202, v[56:57], v[58:59] offset0:76 offset1:77
	;; [unrolled: 2-line block ×12, first 2 shown]
	ds_write2_b64 v202, v[12:13], v[14:15] offset0:98 offset1:99
	ds_write2_b64 v202, v[8:9], v[10:11] offset0:100 offset1:101
	;; [unrolled: 1-line block ×3, first 2 shown]
	s_waitcnt vmcnt(50)
	ds_write2_b64 v202, v[0:1], v[2:3] offset0:104 offset1:105
	s_waitcnt vmcnt(47)
	ds_write2_b64 v202, v[212:213], v[214:215] offset0:106 offset1:107
	ds_read2_b64 v[208:211], v201 offset1:1
	s_waitcnt lgkmcnt(0)
	v_cmp_neq_f64_e32 vcc, 0, v[208:209]
	v_cmp_neq_f64_e64 s[2:3], 0, v[210:211]
	s_or_b64 s[2:3], vcc, s[2:3]
	s_and_b64 exec, exec, s[2:3]
	s_cbranch_execz .LBB107_296
; %bb.291:
	v_cmp_ngt_f64_e64 s[2:3], |v[208:209]|, |v[210:211]|
                                        ; implicit-def: $vgpr204_vgpr205
	s_and_saveexec_b64 s[10:11], s[2:3]
	s_xor_b64 s[2:3], exec, s[10:11]
                                        ; implicit-def: $vgpr206_vgpr207
	s_cbranch_execz .LBB107_293
; %bb.292:
	v_div_scale_f64 v[204:205], s[10:11], v[210:211], v[210:211], v[208:209]
	v_rcp_f64_e32 v[206:207], v[204:205]
	v_div_scale_f64 v[216:217], vcc, v[208:209], v[210:211], v[208:209]
	v_fma_f64 v[218:219], -v[204:205], v[206:207], 1.0
	v_fmac_f64_e32 v[206:207], v[206:207], v[218:219]
	v_fma_f64 v[218:219], -v[204:205], v[206:207], 1.0
	v_fmac_f64_e32 v[206:207], v[206:207], v[218:219]
	v_mul_f64 v[218:219], v[216:217], v[206:207]
	v_fma_f64 v[204:205], -v[204:205], v[218:219], v[216:217]
	v_div_fmas_f64 v[204:205], v[204:205], v[206:207], v[218:219]
	v_div_fixup_f64 v[204:205], v[204:205], v[210:211], v[208:209]
	v_fmac_f64_e32 v[210:211], v[208:209], v[204:205]
	v_div_scale_f64 v[206:207], s[10:11], v[210:211], v[210:211], 1.0
	v_rcp_f64_e32 v[208:209], v[206:207]
	s_nop 0
	v_fma_f64 v[216:217], -v[206:207], v[208:209], 1.0
	v_fmac_f64_e32 v[208:209], v[208:209], v[216:217]
	v_fma_f64 v[216:217], -v[206:207], v[208:209], 1.0
	v_fmac_f64_e32 v[208:209], v[208:209], v[216:217]
	v_div_scale_f64 v[216:217], vcc, 1.0, v[210:211], 1.0
	v_mul_f64 v[218:219], v[216:217], v[208:209]
	v_fma_f64 v[206:207], -v[206:207], v[218:219], v[216:217]
	s_nop 1
	v_div_fmas_f64 v[206:207], v[206:207], v[208:209], v[218:219]
	v_div_fixup_f64 v[206:207], v[206:207], v[210:211], 1.0
	v_mul_f64 v[204:205], v[204:205], v[206:207]
	v_xor_b32_e32 v207, 0x80000000, v207
                                        ; implicit-def: $vgpr208_vgpr209
.LBB107_293:
	s_andn2_saveexec_b64 s[2:3], s[2:3]
	s_cbranch_execz .LBB107_295
; %bb.294:
	v_div_scale_f64 v[204:205], s[10:11], v[208:209], v[208:209], v[210:211]
	v_rcp_f64_e32 v[206:207], v[204:205]
	v_div_scale_f64 v[216:217], vcc, v[210:211], v[208:209], v[210:211]
	v_fma_f64 v[218:219], -v[204:205], v[206:207], 1.0
	v_fmac_f64_e32 v[206:207], v[206:207], v[218:219]
	v_fma_f64 v[218:219], -v[204:205], v[206:207], 1.0
	v_fmac_f64_e32 v[206:207], v[206:207], v[218:219]
	v_mul_f64 v[218:219], v[216:217], v[206:207]
	v_fma_f64 v[204:205], -v[204:205], v[218:219], v[216:217]
	v_div_fmas_f64 v[204:205], v[204:205], v[206:207], v[218:219]
	v_div_fixup_f64 v[206:207], v[204:205], v[208:209], v[210:211]
	v_fmac_f64_e32 v[208:209], v[210:211], v[206:207]
	v_div_scale_f64 v[204:205], s[10:11], v[208:209], v[208:209], 1.0
	v_rcp_f64_e32 v[210:211], v[204:205]
	s_nop 0
	v_fma_f64 v[216:217], -v[204:205], v[210:211], 1.0
	v_fmac_f64_e32 v[210:211], v[210:211], v[216:217]
	v_fma_f64 v[216:217], -v[204:205], v[210:211], 1.0
	v_fmac_f64_e32 v[210:211], v[210:211], v[216:217]
	v_div_scale_f64 v[216:217], vcc, 1.0, v[208:209], 1.0
	v_mul_f64 v[218:219], v[216:217], v[210:211]
	v_fma_f64 v[204:205], -v[204:205], v[218:219], v[216:217]
	s_nop 1
	v_div_fmas_f64 v[204:205], v[204:205], v[210:211], v[218:219]
	v_div_fixup_f64 v[204:205], v[204:205], v[208:209], 1.0
	v_mul_f64 v[206:207], v[206:207], -v[204:205]
.LBB107_295:
	s_or_b64 exec, exec, s[2:3]
	ds_write2_b64 v201, v[204:205], v[206:207] offset1:1
.LBB107_296:
	s_or_b64 exec, exec, s[4:5]
	s_waitcnt lgkmcnt(0)
	s_barrier
	ds_read2_b64 v[192:195], v201 offset1:1
	v_cmp_lt_u32_e32 vcc, 32, v200
	s_waitcnt lgkmcnt(0)
	scratch_store_dwordx4 off, v[192:195], off offset:1008 ; 16-byte Folded Spill
	s_and_saveexec_b64 s[2:3], vcc
	s_cbranch_execz .LBB107_298
; %bb.297:
	scratch_load_dwordx4 v[192:195], off, off offset:1008 ; 16-byte Folded Reload
	s_waitcnt vmcnt(0)
	v_mul_f64 v[204:205], v[194:195], v[82:83]
	v_fma_f64 v[208:209], v[192:193], v[80:81], -v[204:205]
	ds_read2_b64 v[204:207], v202 offset0:66 offset1:67
	v_mul_f64 v[82:83], v[192:193], v[82:83]
	v_fmac_f64_e32 v[82:83], v[194:195], v[80:81]
	s_waitcnt lgkmcnt(0)
	v_mul_f64 v[80:81], v[206:207], v[82:83]
	v_fma_f64 v[80:81], v[204:205], v[208:209], -v[80:81]
	v_mul_f64 v[204:205], v[204:205], v[82:83]
	v_fmac_f64_e32 v[204:205], v[206:207], v[208:209]
	v_add_f64 v[78:79], v[78:79], -v[204:205]
	ds_read2_b64 v[204:207], v202 offset0:68 offset1:69
	v_add_f64 v[76:77], v[76:77], -v[80:81]
	s_waitcnt lgkmcnt(0)
	v_mul_f64 v[80:81], v[206:207], v[82:83]
	v_fma_f64 v[80:81], v[204:205], v[208:209], -v[80:81]
	v_mul_f64 v[204:205], v[204:205], v[82:83]
	v_fmac_f64_e32 v[204:205], v[206:207], v[208:209]
	v_add_f64 v[74:75], v[74:75], -v[204:205]
	ds_read2_b64 v[204:207], v202 offset0:70 offset1:71
	v_add_f64 v[72:73], v[72:73], -v[80:81]
	;; [unrolled: 8-line block ×20, first 2 shown]
	s_waitcnt lgkmcnt(0)
	v_mul_f64 v[80:81], v[206:207], v[82:83]
	v_fma_f64 v[80:81], v[204:205], v[208:209], -v[80:81]
	v_mul_f64 v[204:205], v[204:205], v[82:83]
	v_fmac_f64_e32 v[204:205], v[206:207], v[208:209]
	v_add_f64 v[212:213], v[212:213], -v[80:81]
	v_add_f64 v[214:215], v[214:215], -v[204:205]
	v_mov_b64_e32 v[80:81], v[208:209]
.LBB107_298:
	s_or_b64 exec, exec, s[2:3]
	v_cmp_eq_u32_e32 vcc, 33, v200
	s_waitcnt vmcnt(63) expcnt(7) lgkmcnt(15)
	s_barrier
	s_and_saveexec_b64 s[4:5], vcc
	s_cbranch_execz .LBB107_305
; %bb.299:
	ds_write2_b64 v201, v[76:77], v[78:79] offset1:1
	ds_write2_b64 v202, v[72:73], v[74:75] offset0:68 offset1:69
	ds_write2_b64 v202, v[68:69], v[70:71] offset0:70 offset1:71
	;; [unrolled: 1-line block ×4, first 2 shown]
	s_waitcnt vmcnt(62)
	ds_write2_b64 v202, v[56:57], v[58:59] offset0:76 offset1:77
	s_waitcnt vmcnt(61)
	ds_write2_b64 v202, v[52:53], v[54:55] offset0:78 offset1:79
	;; [unrolled: 2-line block ×11, first 2 shown]
	ds_write2_b64 v202, v[12:13], v[14:15] offset0:98 offset1:99
	ds_write2_b64 v202, v[8:9], v[10:11] offset0:100 offset1:101
	;; [unrolled: 1-line block ×3, first 2 shown]
	s_waitcnt vmcnt(51)
	ds_write2_b64 v202, v[0:1], v[2:3] offset0:104 offset1:105
	s_waitcnt vmcnt(48)
	ds_write2_b64 v202, v[212:213], v[214:215] offset0:106 offset1:107
	ds_read2_b64 v[208:211], v201 offset1:1
	s_waitcnt lgkmcnt(0)
	v_cmp_neq_f64_e32 vcc, 0, v[208:209]
	v_cmp_neq_f64_e64 s[2:3], 0, v[210:211]
	s_or_b64 s[2:3], vcc, s[2:3]
	s_and_b64 exec, exec, s[2:3]
	s_cbranch_execz .LBB107_305
; %bb.300:
	v_cmp_ngt_f64_e64 s[2:3], |v[208:209]|, |v[210:211]|
                                        ; implicit-def: $vgpr204_vgpr205
	s_and_saveexec_b64 s[10:11], s[2:3]
	s_xor_b64 s[2:3], exec, s[10:11]
                                        ; implicit-def: $vgpr206_vgpr207
	s_cbranch_execz .LBB107_302
; %bb.301:
	v_div_scale_f64 v[204:205], s[10:11], v[210:211], v[210:211], v[208:209]
	v_rcp_f64_e32 v[206:207], v[204:205]
	v_div_scale_f64 v[216:217], vcc, v[208:209], v[210:211], v[208:209]
	v_fma_f64 v[218:219], -v[204:205], v[206:207], 1.0
	v_fmac_f64_e32 v[206:207], v[206:207], v[218:219]
	v_fma_f64 v[218:219], -v[204:205], v[206:207], 1.0
	v_fmac_f64_e32 v[206:207], v[206:207], v[218:219]
	v_mul_f64 v[218:219], v[216:217], v[206:207]
	v_fma_f64 v[204:205], -v[204:205], v[218:219], v[216:217]
	v_div_fmas_f64 v[204:205], v[204:205], v[206:207], v[218:219]
	v_div_fixup_f64 v[204:205], v[204:205], v[210:211], v[208:209]
	v_fmac_f64_e32 v[210:211], v[208:209], v[204:205]
	v_div_scale_f64 v[206:207], s[10:11], v[210:211], v[210:211], 1.0
	v_rcp_f64_e32 v[208:209], v[206:207]
	s_nop 0
	v_fma_f64 v[216:217], -v[206:207], v[208:209], 1.0
	v_fmac_f64_e32 v[208:209], v[208:209], v[216:217]
	v_fma_f64 v[216:217], -v[206:207], v[208:209], 1.0
	v_fmac_f64_e32 v[208:209], v[208:209], v[216:217]
	v_div_scale_f64 v[216:217], vcc, 1.0, v[210:211], 1.0
	v_mul_f64 v[218:219], v[216:217], v[208:209]
	v_fma_f64 v[206:207], -v[206:207], v[218:219], v[216:217]
	s_nop 1
	v_div_fmas_f64 v[206:207], v[206:207], v[208:209], v[218:219]
	v_div_fixup_f64 v[206:207], v[206:207], v[210:211], 1.0
	v_mul_f64 v[204:205], v[204:205], v[206:207]
	v_xor_b32_e32 v207, 0x80000000, v207
                                        ; implicit-def: $vgpr208_vgpr209
.LBB107_302:
	s_andn2_saveexec_b64 s[2:3], s[2:3]
	s_cbranch_execz .LBB107_304
; %bb.303:
	v_div_scale_f64 v[204:205], s[10:11], v[208:209], v[208:209], v[210:211]
	v_rcp_f64_e32 v[206:207], v[204:205]
	v_div_scale_f64 v[216:217], vcc, v[210:211], v[208:209], v[210:211]
	v_fma_f64 v[218:219], -v[204:205], v[206:207], 1.0
	v_fmac_f64_e32 v[206:207], v[206:207], v[218:219]
	v_fma_f64 v[218:219], -v[204:205], v[206:207], 1.0
	v_fmac_f64_e32 v[206:207], v[206:207], v[218:219]
	v_mul_f64 v[218:219], v[216:217], v[206:207]
	v_fma_f64 v[204:205], -v[204:205], v[218:219], v[216:217]
	v_div_fmas_f64 v[204:205], v[204:205], v[206:207], v[218:219]
	v_div_fixup_f64 v[206:207], v[204:205], v[208:209], v[210:211]
	v_fmac_f64_e32 v[208:209], v[210:211], v[206:207]
	v_div_scale_f64 v[204:205], s[10:11], v[208:209], v[208:209], 1.0
	v_rcp_f64_e32 v[210:211], v[204:205]
	s_nop 0
	v_fma_f64 v[216:217], -v[204:205], v[210:211], 1.0
	v_fmac_f64_e32 v[210:211], v[210:211], v[216:217]
	v_fma_f64 v[216:217], -v[204:205], v[210:211], 1.0
	v_fmac_f64_e32 v[210:211], v[210:211], v[216:217]
	v_div_scale_f64 v[216:217], vcc, 1.0, v[208:209], 1.0
	v_mul_f64 v[218:219], v[216:217], v[210:211]
	v_fma_f64 v[204:205], -v[204:205], v[218:219], v[216:217]
	s_nop 1
	v_div_fmas_f64 v[204:205], v[204:205], v[210:211], v[218:219]
	v_div_fixup_f64 v[204:205], v[204:205], v[208:209], 1.0
	v_mul_f64 v[206:207], v[206:207], -v[204:205]
.LBB107_304:
	s_or_b64 exec, exec, s[2:3]
	ds_write2_b64 v201, v[204:205], v[206:207] offset1:1
.LBB107_305:
	s_or_b64 exec, exec, s[4:5]
	s_waitcnt lgkmcnt(0)
	s_barrier
	ds_read2_b64 v[192:195], v201 offset1:1
	v_cmp_lt_u32_e32 vcc, 33, v200
	s_waitcnt lgkmcnt(0)
	scratch_store_dwordx4 off, v[192:195], off offset:1024 ; 16-byte Folded Spill
	s_and_saveexec_b64 s[2:3], vcc
	s_cbranch_execz .LBB107_307
; %bb.306:
	scratch_load_dwordx4 v[192:195], off, off offset:1024 ; 16-byte Folded Reload
	s_waitcnt vmcnt(0)
	v_mul_f64 v[204:205], v[194:195], v[78:79]
	v_fma_f64 v[208:209], v[192:193], v[76:77], -v[204:205]
	ds_read2_b64 v[204:207], v202 offset0:68 offset1:69
	v_mul_f64 v[78:79], v[192:193], v[78:79]
	v_fmac_f64_e32 v[78:79], v[194:195], v[76:77]
	s_waitcnt lgkmcnt(0)
	v_mul_f64 v[76:77], v[206:207], v[78:79]
	v_fma_f64 v[76:77], v[204:205], v[208:209], -v[76:77]
	v_mul_f64 v[204:205], v[204:205], v[78:79]
	v_fmac_f64_e32 v[204:205], v[206:207], v[208:209]
	v_add_f64 v[74:75], v[74:75], -v[204:205]
	ds_read2_b64 v[204:207], v202 offset0:70 offset1:71
	v_add_f64 v[72:73], v[72:73], -v[76:77]
	s_waitcnt lgkmcnt(0)
	v_mul_f64 v[76:77], v[206:207], v[78:79]
	v_fma_f64 v[76:77], v[204:205], v[208:209], -v[76:77]
	v_mul_f64 v[204:205], v[204:205], v[78:79]
	v_fmac_f64_e32 v[204:205], v[206:207], v[208:209]
	v_add_f64 v[70:71], v[70:71], -v[204:205]
	ds_read2_b64 v[204:207], v202 offset0:72 offset1:73
	v_add_f64 v[68:69], v[68:69], -v[76:77]
	;; [unrolled: 8-line block ×19, first 2 shown]
	s_waitcnt lgkmcnt(0)
	v_mul_f64 v[76:77], v[206:207], v[78:79]
	v_fma_f64 v[76:77], v[204:205], v[208:209], -v[76:77]
	v_mul_f64 v[204:205], v[204:205], v[78:79]
	v_fmac_f64_e32 v[204:205], v[206:207], v[208:209]
	v_add_f64 v[212:213], v[212:213], -v[76:77]
	v_add_f64 v[214:215], v[214:215], -v[204:205]
	v_mov_b64_e32 v[76:77], v[208:209]
.LBB107_307:
	s_or_b64 exec, exec, s[2:3]
	v_cmp_eq_u32_e32 vcc, 34, v200
	s_waitcnt vmcnt(63) expcnt(7) lgkmcnt(15)
	s_barrier
	s_and_saveexec_b64 s[4:5], vcc
	s_cbranch_execz .LBB107_314
; %bb.308:
	ds_write2_b64 v201, v[72:73], v[74:75] offset1:1
	ds_write2_b64 v202, v[68:69], v[70:71] offset0:70 offset1:71
	ds_write2_b64 v202, v[64:65], v[66:67] offset0:72 offset1:73
	;; [unrolled: 1-line block ×4, first 2 shown]
	s_waitcnt vmcnt(62)
	ds_write2_b64 v202, v[52:53], v[54:55] offset0:78 offset1:79
	s_waitcnt vmcnt(61)
	ds_write2_b64 v202, v[48:49], v[50:51] offset0:80 offset1:81
	s_waitcnt vmcnt(60)
	ds_write2_b64 v202, v[44:45], v[46:47] offset0:82 offset1:83
	s_waitcnt vmcnt(59)
	ds_write2_b64 v202, v[40:41], v[42:43] offset0:84 offset1:85
	s_waitcnt vmcnt(58)
	ds_write2_b64 v202, v[36:37], v[38:39] offset0:86 offset1:87
	s_waitcnt vmcnt(57)
	ds_write2_b64 v202, v[32:33], v[34:35] offset0:88 offset1:89
	s_waitcnt vmcnt(56)
	ds_write2_b64 v202, v[28:29], v[30:31] offset0:90 offset1:91
	s_waitcnt vmcnt(55)
	ds_write2_b64 v202, v[24:25], v[26:27] offset0:92 offset1:93
	s_waitcnt vmcnt(54)
	ds_write2_b64 v202, v[20:21], v[22:23] offset0:94 offset1:95
	s_waitcnt vmcnt(53)
	ds_write2_b64 v202, v[16:17], v[18:19] offset0:96 offset1:97
	ds_write2_b64 v202, v[12:13], v[14:15] offset0:98 offset1:99
	ds_write2_b64 v202, v[8:9], v[10:11] offset0:100 offset1:101
	;; [unrolled: 1-line block ×3, first 2 shown]
	s_waitcnt vmcnt(52)
	ds_write2_b64 v202, v[0:1], v[2:3] offset0:104 offset1:105
	s_waitcnt vmcnt(49)
	ds_write2_b64 v202, v[212:213], v[214:215] offset0:106 offset1:107
	ds_read2_b64 v[208:211], v201 offset1:1
	s_waitcnt lgkmcnt(0)
	v_cmp_neq_f64_e32 vcc, 0, v[208:209]
	v_cmp_neq_f64_e64 s[2:3], 0, v[210:211]
	s_or_b64 s[2:3], vcc, s[2:3]
	s_and_b64 exec, exec, s[2:3]
	s_cbranch_execz .LBB107_314
; %bb.309:
	v_cmp_ngt_f64_e64 s[2:3], |v[208:209]|, |v[210:211]|
                                        ; implicit-def: $vgpr204_vgpr205
	s_and_saveexec_b64 s[10:11], s[2:3]
	s_xor_b64 s[2:3], exec, s[10:11]
                                        ; implicit-def: $vgpr206_vgpr207
	s_cbranch_execz .LBB107_311
; %bb.310:
	v_div_scale_f64 v[204:205], s[10:11], v[210:211], v[210:211], v[208:209]
	v_rcp_f64_e32 v[206:207], v[204:205]
	v_div_scale_f64 v[216:217], vcc, v[208:209], v[210:211], v[208:209]
	v_fma_f64 v[218:219], -v[204:205], v[206:207], 1.0
	v_fmac_f64_e32 v[206:207], v[206:207], v[218:219]
	v_fma_f64 v[218:219], -v[204:205], v[206:207], 1.0
	v_fmac_f64_e32 v[206:207], v[206:207], v[218:219]
	v_mul_f64 v[218:219], v[216:217], v[206:207]
	v_fma_f64 v[204:205], -v[204:205], v[218:219], v[216:217]
	v_div_fmas_f64 v[204:205], v[204:205], v[206:207], v[218:219]
	v_div_fixup_f64 v[204:205], v[204:205], v[210:211], v[208:209]
	v_fmac_f64_e32 v[210:211], v[208:209], v[204:205]
	v_div_scale_f64 v[206:207], s[10:11], v[210:211], v[210:211], 1.0
	v_rcp_f64_e32 v[208:209], v[206:207]
	s_nop 0
	v_fma_f64 v[216:217], -v[206:207], v[208:209], 1.0
	v_fmac_f64_e32 v[208:209], v[208:209], v[216:217]
	v_fma_f64 v[216:217], -v[206:207], v[208:209], 1.0
	v_fmac_f64_e32 v[208:209], v[208:209], v[216:217]
	v_div_scale_f64 v[216:217], vcc, 1.0, v[210:211], 1.0
	v_mul_f64 v[218:219], v[216:217], v[208:209]
	v_fma_f64 v[206:207], -v[206:207], v[218:219], v[216:217]
	s_nop 1
	v_div_fmas_f64 v[206:207], v[206:207], v[208:209], v[218:219]
	v_div_fixup_f64 v[206:207], v[206:207], v[210:211], 1.0
	v_mul_f64 v[204:205], v[204:205], v[206:207]
	v_xor_b32_e32 v207, 0x80000000, v207
                                        ; implicit-def: $vgpr208_vgpr209
.LBB107_311:
	s_andn2_saveexec_b64 s[2:3], s[2:3]
	s_cbranch_execz .LBB107_313
; %bb.312:
	v_div_scale_f64 v[204:205], s[10:11], v[208:209], v[208:209], v[210:211]
	v_rcp_f64_e32 v[206:207], v[204:205]
	v_div_scale_f64 v[216:217], vcc, v[210:211], v[208:209], v[210:211]
	v_fma_f64 v[218:219], -v[204:205], v[206:207], 1.0
	v_fmac_f64_e32 v[206:207], v[206:207], v[218:219]
	v_fma_f64 v[218:219], -v[204:205], v[206:207], 1.0
	v_fmac_f64_e32 v[206:207], v[206:207], v[218:219]
	v_mul_f64 v[218:219], v[216:217], v[206:207]
	v_fma_f64 v[204:205], -v[204:205], v[218:219], v[216:217]
	v_div_fmas_f64 v[204:205], v[204:205], v[206:207], v[218:219]
	v_div_fixup_f64 v[206:207], v[204:205], v[208:209], v[210:211]
	v_fmac_f64_e32 v[208:209], v[210:211], v[206:207]
	v_div_scale_f64 v[204:205], s[10:11], v[208:209], v[208:209], 1.0
	v_rcp_f64_e32 v[210:211], v[204:205]
	s_nop 0
	v_fma_f64 v[216:217], -v[204:205], v[210:211], 1.0
	v_fmac_f64_e32 v[210:211], v[210:211], v[216:217]
	v_fma_f64 v[216:217], -v[204:205], v[210:211], 1.0
	v_fmac_f64_e32 v[210:211], v[210:211], v[216:217]
	v_div_scale_f64 v[216:217], vcc, 1.0, v[208:209], 1.0
	v_mul_f64 v[218:219], v[216:217], v[210:211]
	v_fma_f64 v[204:205], -v[204:205], v[218:219], v[216:217]
	s_nop 1
	v_div_fmas_f64 v[204:205], v[204:205], v[210:211], v[218:219]
	v_div_fixup_f64 v[204:205], v[204:205], v[208:209], 1.0
	v_mul_f64 v[206:207], v[206:207], -v[204:205]
.LBB107_313:
	s_or_b64 exec, exec, s[2:3]
	ds_write2_b64 v201, v[204:205], v[206:207] offset1:1
.LBB107_314:
	s_or_b64 exec, exec, s[4:5]
	s_waitcnt lgkmcnt(0)
	s_barrier
	ds_read2_b64 v[192:195], v201 offset1:1
	v_cmp_lt_u32_e32 vcc, 34, v200
	s_waitcnt lgkmcnt(0)
	scratch_store_dwordx4 off, v[192:195], off offset:1040 ; 16-byte Folded Spill
	s_and_saveexec_b64 s[2:3], vcc
	s_cbranch_execz .LBB107_316
; %bb.315:
	scratch_load_dwordx4 v[192:195], off, off offset:1040 ; 16-byte Folded Reload
	s_waitcnt vmcnt(0)
	v_mul_f64 v[204:205], v[194:195], v[74:75]
	v_fma_f64 v[208:209], v[192:193], v[72:73], -v[204:205]
	ds_read2_b64 v[204:207], v202 offset0:70 offset1:71
	v_mul_f64 v[74:75], v[192:193], v[74:75]
	v_fmac_f64_e32 v[74:75], v[194:195], v[72:73]
	s_waitcnt lgkmcnt(0)
	v_mul_f64 v[72:73], v[206:207], v[74:75]
	v_fma_f64 v[72:73], v[204:205], v[208:209], -v[72:73]
	v_mul_f64 v[204:205], v[204:205], v[74:75]
	v_fmac_f64_e32 v[204:205], v[206:207], v[208:209]
	v_add_f64 v[70:71], v[70:71], -v[204:205]
	ds_read2_b64 v[204:207], v202 offset0:72 offset1:73
	v_add_f64 v[68:69], v[68:69], -v[72:73]
	s_waitcnt lgkmcnt(0)
	v_mul_f64 v[72:73], v[206:207], v[74:75]
	v_fma_f64 v[72:73], v[204:205], v[208:209], -v[72:73]
	v_mul_f64 v[204:205], v[204:205], v[74:75]
	v_fmac_f64_e32 v[204:205], v[206:207], v[208:209]
	v_add_f64 v[66:67], v[66:67], -v[204:205]
	ds_read2_b64 v[204:207], v202 offset0:74 offset1:75
	v_add_f64 v[64:65], v[64:65], -v[72:73]
	;; [unrolled: 8-line block ×18, first 2 shown]
	s_waitcnt lgkmcnt(0)
	v_mul_f64 v[72:73], v[206:207], v[74:75]
	v_fma_f64 v[72:73], v[204:205], v[208:209], -v[72:73]
	v_mul_f64 v[204:205], v[204:205], v[74:75]
	v_fmac_f64_e32 v[204:205], v[206:207], v[208:209]
	v_add_f64 v[212:213], v[212:213], -v[72:73]
	v_add_f64 v[214:215], v[214:215], -v[204:205]
	v_mov_b64_e32 v[72:73], v[208:209]
.LBB107_316:
	s_or_b64 exec, exec, s[2:3]
	v_cmp_eq_u32_e32 vcc, 35, v200
	s_waitcnt vmcnt(63) expcnt(7) lgkmcnt(15)
	s_barrier
	s_and_saveexec_b64 s[4:5], vcc
	s_cbranch_execz .LBB107_323
; %bb.317:
	ds_write2_b64 v201, v[68:69], v[70:71] offset1:1
	ds_write2_b64 v202, v[64:65], v[66:67] offset0:72 offset1:73
	ds_write2_b64 v202, v[60:61], v[62:63] offset0:74 offset1:75
	;; [unrolled: 1-line block ×4, first 2 shown]
	s_waitcnt vmcnt(62)
	ds_write2_b64 v202, v[48:49], v[50:51] offset0:80 offset1:81
	s_waitcnt vmcnt(61)
	ds_write2_b64 v202, v[44:45], v[46:47] offset0:82 offset1:83
	;; [unrolled: 2-line block ×9, first 2 shown]
	ds_write2_b64 v202, v[12:13], v[14:15] offset0:98 offset1:99
	ds_write2_b64 v202, v[8:9], v[10:11] offset0:100 offset1:101
	;; [unrolled: 1-line block ×3, first 2 shown]
	s_waitcnt vmcnt(53)
	ds_write2_b64 v202, v[0:1], v[2:3] offset0:104 offset1:105
	s_waitcnt vmcnt(50)
	ds_write2_b64 v202, v[212:213], v[214:215] offset0:106 offset1:107
	ds_read2_b64 v[208:211], v201 offset1:1
	s_waitcnt lgkmcnt(0)
	v_cmp_neq_f64_e32 vcc, 0, v[208:209]
	v_cmp_neq_f64_e64 s[2:3], 0, v[210:211]
	s_or_b64 s[2:3], vcc, s[2:3]
	s_and_b64 exec, exec, s[2:3]
	s_cbranch_execz .LBB107_323
; %bb.318:
	v_cmp_ngt_f64_e64 s[2:3], |v[208:209]|, |v[210:211]|
                                        ; implicit-def: $vgpr204_vgpr205
	s_and_saveexec_b64 s[10:11], s[2:3]
	s_xor_b64 s[2:3], exec, s[10:11]
                                        ; implicit-def: $vgpr206_vgpr207
	s_cbranch_execz .LBB107_320
; %bb.319:
	v_div_scale_f64 v[204:205], s[10:11], v[210:211], v[210:211], v[208:209]
	v_rcp_f64_e32 v[206:207], v[204:205]
	v_div_scale_f64 v[216:217], vcc, v[208:209], v[210:211], v[208:209]
	v_fma_f64 v[218:219], -v[204:205], v[206:207], 1.0
	v_fmac_f64_e32 v[206:207], v[206:207], v[218:219]
	v_fma_f64 v[218:219], -v[204:205], v[206:207], 1.0
	v_fmac_f64_e32 v[206:207], v[206:207], v[218:219]
	v_mul_f64 v[218:219], v[216:217], v[206:207]
	v_fma_f64 v[204:205], -v[204:205], v[218:219], v[216:217]
	v_div_fmas_f64 v[204:205], v[204:205], v[206:207], v[218:219]
	v_div_fixup_f64 v[204:205], v[204:205], v[210:211], v[208:209]
	v_fmac_f64_e32 v[210:211], v[208:209], v[204:205]
	v_div_scale_f64 v[206:207], s[10:11], v[210:211], v[210:211], 1.0
	v_rcp_f64_e32 v[208:209], v[206:207]
	s_nop 0
	v_fma_f64 v[216:217], -v[206:207], v[208:209], 1.0
	v_fmac_f64_e32 v[208:209], v[208:209], v[216:217]
	v_fma_f64 v[216:217], -v[206:207], v[208:209], 1.0
	v_fmac_f64_e32 v[208:209], v[208:209], v[216:217]
	v_div_scale_f64 v[216:217], vcc, 1.0, v[210:211], 1.0
	v_mul_f64 v[218:219], v[216:217], v[208:209]
	v_fma_f64 v[206:207], -v[206:207], v[218:219], v[216:217]
	s_nop 1
	v_div_fmas_f64 v[206:207], v[206:207], v[208:209], v[218:219]
	v_div_fixup_f64 v[206:207], v[206:207], v[210:211], 1.0
	v_mul_f64 v[204:205], v[204:205], v[206:207]
	v_xor_b32_e32 v207, 0x80000000, v207
                                        ; implicit-def: $vgpr208_vgpr209
.LBB107_320:
	s_andn2_saveexec_b64 s[2:3], s[2:3]
	s_cbranch_execz .LBB107_322
; %bb.321:
	v_div_scale_f64 v[204:205], s[10:11], v[208:209], v[208:209], v[210:211]
	v_rcp_f64_e32 v[206:207], v[204:205]
	v_div_scale_f64 v[216:217], vcc, v[210:211], v[208:209], v[210:211]
	v_fma_f64 v[218:219], -v[204:205], v[206:207], 1.0
	v_fmac_f64_e32 v[206:207], v[206:207], v[218:219]
	v_fma_f64 v[218:219], -v[204:205], v[206:207], 1.0
	v_fmac_f64_e32 v[206:207], v[206:207], v[218:219]
	v_mul_f64 v[218:219], v[216:217], v[206:207]
	v_fma_f64 v[204:205], -v[204:205], v[218:219], v[216:217]
	v_div_fmas_f64 v[204:205], v[204:205], v[206:207], v[218:219]
	v_div_fixup_f64 v[206:207], v[204:205], v[208:209], v[210:211]
	v_fmac_f64_e32 v[208:209], v[210:211], v[206:207]
	v_div_scale_f64 v[204:205], s[10:11], v[208:209], v[208:209], 1.0
	v_rcp_f64_e32 v[210:211], v[204:205]
	s_nop 0
	v_fma_f64 v[216:217], -v[204:205], v[210:211], 1.0
	v_fmac_f64_e32 v[210:211], v[210:211], v[216:217]
	v_fma_f64 v[216:217], -v[204:205], v[210:211], 1.0
	v_fmac_f64_e32 v[210:211], v[210:211], v[216:217]
	v_div_scale_f64 v[216:217], vcc, 1.0, v[208:209], 1.0
	v_mul_f64 v[218:219], v[216:217], v[210:211]
	v_fma_f64 v[204:205], -v[204:205], v[218:219], v[216:217]
	s_nop 1
	v_div_fmas_f64 v[204:205], v[204:205], v[210:211], v[218:219]
	v_div_fixup_f64 v[204:205], v[204:205], v[208:209], 1.0
	v_mul_f64 v[206:207], v[206:207], -v[204:205]
.LBB107_322:
	s_or_b64 exec, exec, s[2:3]
	ds_write2_b64 v201, v[204:205], v[206:207] offset1:1
.LBB107_323:
	s_or_b64 exec, exec, s[4:5]
	s_waitcnt lgkmcnt(0)
	s_barrier
	ds_read2_b64 v[192:195], v201 offset1:1
	v_cmp_lt_u32_e32 vcc, 35, v200
	s_waitcnt lgkmcnt(0)
	scratch_store_dwordx4 off, v[192:195], off offset:1056 ; 16-byte Folded Spill
	s_and_saveexec_b64 s[2:3], vcc
	s_cbranch_execz .LBB107_325
; %bb.324:
	scratch_load_dwordx4 v[192:195], off, off offset:1056 ; 16-byte Folded Reload
	s_waitcnt vmcnt(0)
	v_mul_f64 v[204:205], v[194:195], v[70:71]
	v_fma_f64 v[208:209], v[192:193], v[68:69], -v[204:205]
	ds_read2_b64 v[204:207], v202 offset0:72 offset1:73
	v_mul_f64 v[70:71], v[192:193], v[70:71]
	v_fmac_f64_e32 v[70:71], v[194:195], v[68:69]
	s_waitcnt lgkmcnt(0)
	v_mul_f64 v[68:69], v[206:207], v[70:71]
	v_fma_f64 v[68:69], v[204:205], v[208:209], -v[68:69]
	v_mul_f64 v[204:205], v[204:205], v[70:71]
	v_fmac_f64_e32 v[204:205], v[206:207], v[208:209]
	v_add_f64 v[66:67], v[66:67], -v[204:205]
	ds_read2_b64 v[204:207], v202 offset0:74 offset1:75
	v_add_f64 v[64:65], v[64:65], -v[68:69]
	s_waitcnt lgkmcnt(0)
	v_mul_f64 v[68:69], v[206:207], v[70:71]
	v_fma_f64 v[68:69], v[204:205], v[208:209], -v[68:69]
	v_mul_f64 v[204:205], v[204:205], v[70:71]
	v_fmac_f64_e32 v[204:205], v[206:207], v[208:209]
	v_add_f64 v[62:63], v[62:63], -v[204:205]
	ds_read2_b64 v[204:207], v202 offset0:76 offset1:77
	v_add_f64 v[60:61], v[60:61], -v[68:69]
	;; [unrolled: 8-line block ×17, first 2 shown]
	s_waitcnt lgkmcnt(0)
	v_mul_f64 v[68:69], v[206:207], v[70:71]
	v_fma_f64 v[68:69], v[204:205], v[208:209], -v[68:69]
	v_mul_f64 v[204:205], v[204:205], v[70:71]
	v_fmac_f64_e32 v[204:205], v[206:207], v[208:209]
	v_add_f64 v[212:213], v[212:213], -v[68:69]
	v_add_f64 v[214:215], v[214:215], -v[204:205]
	v_mov_b64_e32 v[68:69], v[208:209]
.LBB107_325:
	s_or_b64 exec, exec, s[2:3]
	v_cmp_eq_u32_e32 vcc, 36, v200
	s_waitcnt vmcnt(63) expcnt(7) lgkmcnt(15)
	s_barrier
	s_and_saveexec_b64 s[4:5], vcc
	s_cbranch_execz .LBB107_332
; %bb.326:
	ds_write2_b64 v201, v[64:65], v[66:67] offset1:1
	ds_write2_b64 v202, v[60:61], v[62:63] offset0:74 offset1:75
	ds_write2_b64 v202, v[56:57], v[58:59] offset0:76 offset1:77
	;; [unrolled: 1-line block ×4, first 2 shown]
	s_waitcnt vmcnt(62)
	ds_write2_b64 v202, v[44:45], v[46:47] offset0:82 offset1:83
	s_waitcnt vmcnt(61)
	ds_write2_b64 v202, v[40:41], v[42:43] offset0:84 offset1:85
	;; [unrolled: 2-line block ×8, first 2 shown]
	ds_write2_b64 v202, v[12:13], v[14:15] offset0:98 offset1:99
	ds_write2_b64 v202, v[8:9], v[10:11] offset0:100 offset1:101
	;; [unrolled: 1-line block ×3, first 2 shown]
	s_waitcnt vmcnt(54)
	ds_write2_b64 v202, v[0:1], v[2:3] offset0:104 offset1:105
	s_waitcnt vmcnt(51)
	ds_write2_b64 v202, v[212:213], v[214:215] offset0:106 offset1:107
	ds_read2_b64 v[208:211], v201 offset1:1
	s_waitcnt lgkmcnt(0)
	v_cmp_neq_f64_e32 vcc, 0, v[208:209]
	v_cmp_neq_f64_e64 s[2:3], 0, v[210:211]
	s_or_b64 s[2:3], vcc, s[2:3]
	s_and_b64 exec, exec, s[2:3]
	s_cbranch_execz .LBB107_332
; %bb.327:
	v_cmp_ngt_f64_e64 s[2:3], |v[208:209]|, |v[210:211]|
                                        ; implicit-def: $vgpr204_vgpr205
	s_and_saveexec_b64 s[10:11], s[2:3]
	s_xor_b64 s[2:3], exec, s[10:11]
                                        ; implicit-def: $vgpr206_vgpr207
	s_cbranch_execz .LBB107_329
; %bb.328:
	v_div_scale_f64 v[204:205], s[10:11], v[210:211], v[210:211], v[208:209]
	v_rcp_f64_e32 v[206:207], v[204:205]
	v_div_scale_f64 v[216:217], vcc, v[208:209], v[210:211], v[208:209]
	v_fma_f64 v[218:219], -v[204:205], v[206:207], 1.0
	v_fmac_f64_e32 v[206:207], v[206:207], v[218:219]
	v_fma_f64 v[218:219], -v[204:205], v[206:207], 1.0
	v_fmac_f64_e32 v[206:207], v[206:207], v[218:219]
	v_mul_f64 v[218:219], v[216:217], v[206:207]
	v_fma_f64 v[204:205], -v[204:205], v[218:219], v[216:217]
	v_div_fmas_f64 v[204:205], v[204:205], v[206:207], v[218:219]
	v_div_fixup_f64 v[204:205], v[204:205], v[210:211], v[208:209]
	v_fmac_f64_e32 v[210:211], v[208:209], v[204:205]
	v_div_scale_f64 v[206:207], s[10:11], v[210:211], v[210:211], 1.0
	v_rcp_f64_e32 v[208:209], v[206:207]
	s_nop 0
	v_fma_f64 v[216:217], -v[206:207], v[208:209], 1.0
	v_fmac_f64_e32 v[208:209], v[208:209], v[216:217]
	v_fma_f64 v[216:217], -v[206:207], v[208:209], 1.0
	v_fmac_f64_e32 v[208:209], v[208:209], v[216:217]
	v_div_scale_f64 v[216:217], vcc, 1.0, v[210:211], 1.0
	v_mul_f64 v[218:219], v[216:217], v[208:209]
	v_fma_f64 v[206:207], -v[206:207], v[218:219], v[216:217]
	s_nop 1
	v_div_fmas_f64 v[206:207], v[206:207], v[208:209], v[218:219]
	v_div_fixup_f64 v[206:207], v[206:207], v[210:211], 1.0
	v_mul_f64 v[204:205], v[204:205], v[206:207]
	v_xor_b32_e32 v207, 0x80000000, v207
                                        ; implicit-def: $vgpr208_vgpr209
.LBB107_329:
	s_andn2_saveexec_b64 s[2:3], s[2:3]
	s_cbranch_execz .LBB107_331
; %bb.330:
	v_div_scale_f64 v[204:205], s[10:11], v[208:209], v[208:209], v[210:211]
	v_rcp_f64_e32 v[206:207], v[204:205]
	v_div_scale_f64 v[216:217], vcc, v[210:211], v[208:209], v[210:211]
	v_fma_f64 v[218:219], -v[204:205], v[206:207], 1.0
	v_fmac_f64_e32 v[206:207], v[206:207], v[218:219]
	v_fma_f64 v[218:219], -v[204:205], v[206:207], 1.0
	v_fmac_f64_e32 v[206:207], v[206:207], v[218:219]
	v_mul_f64 v[218:219], v[216:217], v[206:207]
	v_fma_f64 v[204:205], -v[204:205], v[218:219], v[216:217]
	v_div_fmas_f64 v[204:205], v[204:205], v[206:207], v[218:219]
	v_div_fixup_f64 v[206:207], v[204:205], v[208:209], v[210:211]
	v_fmac_f64_e32 v[208:209], v[210:211], v[206:207]
	v_div_scale_f64 v[204:205], s[10:11], v[208:209], v[208:209], 1.0
	v_rcp_f64_e32 v[210:211], v[204:205]
	s_nop 0
	v_fma_f64 v[216:217], -v[204:205], v[210:211], 1.0
	v_fmac_f64_e32 v[210:211], v[210:211], v[216:217]
	v_fma_f64 v[216:217], -v[204:205], v[210:211], 1.0
	v_fmac_f64_e32 v[210:211], v[210:211], v[216:217]
	v_div_scale_f64 v[216:217], vcc, 1.0, v[208:209], 1.0
	v_mul_f64 v[218:219], v[216:217], v[210:211]
	v_fma_f64 v[204:205], -v[204:205], v[218:219], v[216:217]
	s_nop 1
	v_div_fmas_f64 v[204:205], v[204:205], v[210:211], v[218:219]
	v_div_fixup_f64 v[204:205], v[204:205], v[208:209], 1.0
	v_mul_f64 v[206:207], v[206:207], -v[204:205]
.LBB107_331:
	s_or_b64 exec, exec, s[2:3]
	ds_write2_b64 v201, v[204:205], v[206:207] offset1:1
.LBB107_332:
	s_or_b64 exec, exec, s[4:5]
	s_waitcnt lgkmcnt(0)
	s_barrier
	ds_read2_b64 v[192:195], v201 offset1:1
	v_cmp_lt_u32_e32 vcc, 36, v200
	s_waitcnt lgkmcnt(0)
	scratch_store_dwordx4 off, v[192:195], off offset:1072 ; 16-byte Folded Spill
	s_and_saveexec_b64 s[2:3], vcc
	s_cbranch_execz .LBB107_334
; %bb.333:
	scratch_load_dwordx4 v[192:195], off, off offset:1072 ; 16-byte Folded Reload
	s_waitcnt vmcnt(0)
	v_mul_f64 v[204:205], v[194:195], v[66:67]
	v_fma_f64 v[208:209], v[192:193], v[64:65], -v[204:205]
	ds_read2_b64 v[204:207], v202 offset0:74 offset1:75
	v_mul_f64 v[66:67], v[192:193], v[66:67]
	v_fmac_f64_e32 v[66:67], v[194:195], v[64:65]
	s_waitcnt lgkmcnt(0)
	v_mul_f64 v[64:65], v[206:207], v[66:67]
	v_fma_f64 v[64:65], v[204:205], v[208:209], -v[64:65]
	v_mul_f64 v[204:205], v[204:205], v[66:67]
	v_fmac_f64_e32 v[204:205], v[206:207], v[208:209]
	v_add_f64 v[62:63], v[62:63], -v[204:205]
	ds_read2_b64 v[204:207], v202 offset0:76 offset1:77
	v_add_f64 v[60:61], v[60:61], -v[64:65]
	s_waitcnt lgkmcnt(0)
	v_mul_f64 v[64:65], v[206:207], v[66:67]
	v_fma_f64 v[64:65], v[204:205], v[208:209], -v[64:65]
	v_mul_f64 v[204:205], v[204:205], v[66:67]
	v_fmac_f64_e32 v[204:205], v[206:207], v[208:209]
	v_add_f64 v[58:59], v[58:59], -v[204:205]
	ds_read2_b64 v[204:207], v202 offset0:78 offset1:79
	v_add_f64 v[56:57], v[56:57], -v[64:65]
	;; [unrolled: 8-line block ×16, first 2 shown]
	s_waitcnt lgkmcnt(0)
	v_mul_f64 v[64:65], v[206:207], v[66:67]
	v_fma_f64 v[64:65], v[204:205], v[208:209], -v[64:65]
	v_mul_f64 v[204:205], v[204:205], v[66:67]
	v_fmac_f64_e32 v[204:205], v[206:207], v[208:209]
	v_add_f64 v[212:213], v[212:213], -v[64:65]
	v_add_f64 v[214:215], v[214:215], -v[204:205]
	v_mov_b64_e32 v[64:65], v[208:209]
.LBB107_334:
	s_or_b64 exec, exec, s[2:3]
	v_cmp_eq_u32_e32 vcc, 37, v200
	s_waitcnt vmcnt(63) expcnt(7) lgkmcnt(15)
	s_barrier
	s_and_saveexec_b64 s[4:5], vcc
	s_cbranch_execz .LBB107_341
; %bb.335:
	ds_write2_b64 v201, v[60:61], v[62:63] offset1:1
	ds_write2_b64 v202, v[56:57], v[58:59] offset0:76 offset1:77
	ds_write2_b64 v202, v[52:53], v[54:55] offset0:78 offset1:79
	;; [unrolled: 1-line block ×4, first 2 shown]
	s_waitcnt vmcnt(62)
	ds_write2_b64 v202, v[40:41], v[42:43] offset0:84 offset1:85
	s_waitcnt vmcnt(61)
	ds_write2_b64 v202, v[36:37], v[38:39] offset0:86 offset1:87
	;; [unrolled: 2-line block ×7, first 2 shown]
	ds_write2_b64 v202, v[12:13], v[14:15] offset0:98 offset1:99
	ds_write2_b64 v202, v[8:9], v[10:11] offset0:100 offset1:101
	;; [unrolled: 1-line block ×3, first 2 shown]
	s_waitcnt vmcnt(55)
	ds_write2_b64 v202, v[0:1], v[2:3] offset0:104 offset1:105
	s_waitcnt vmcnt(52)
	ds_write2_b64 v202, v[212:213], v[214:215] offset0:106 offset1:107
	ds_read2_b64 v[208:211], v201 offset1:1
	s_waitcnt lgkmcnt(0)
	v_cmp_neq_f64_e32 vcc, 0, v[208:209]
	v_cmp_neq_f64_e64 s[2:3], 0, v[210:211]
	s_or_b64 s[2:3], vcc, s[2:3]
	s_and_b64 exec, exec, s[2:3]
	s_cbranch_execz .LBB107_341
; %bb.336:
	v_cmp_ngt_f64_e64 s[2:3], |v[208:209]|, |v[210:211]|
                                        ; implicit-def: $vgpr204_vgpr205
	s_and_saveexec_b64 s[10:11], s[2:3]
	s_xor_b64 s[2:3], exec, s[10:11]
                                        ; implicit-def: $vgpr206_vgpr207
	s_cbranch_execz .LBB107_338
; %bb.337:
	v_div_scale_f64 v[204:205], s[10:11], v[210:211], v[210:211], v[208:209]
	v_rcp_f64_e32 v[206:207], v[204:205]
	v_div_scale_f64 v[216:217], vcc, v[208:209], v[210:211], v[208:209]
	v_fma_f64 v[218:219], -v[204:205], v[206:207], 1.0
	v_fmac_f64_e32 v[206:207], v[206:207], v[218:219]
	v_fma_f64 v[218:219], -v[204:205], v[206:207], 1.0
	v_fmac_f64_e32 v[206:207], v[206:207], v[218:219]
	v_mul_f64 v[218:219], v[216:217], v[206:207]
	v_fma_f64 v[204:205], -v[204:205], v[218:219], v[216:217]
	v_div_fmas_f64 v[204:205], v[204:205], v[206:207], v[218:219]
	v_div_fixup_f64 v[204:205], v[204:205], v[210:211], v[208:209]
	v_fmac_f64_e32 v[210:211], v[208:209], v[204:205]
	v_div_scale_f64 v[206:207], s[10:11], v[210:211], v[210:211], 1.0
	v_rcp_f64_e32 v[208:209], v[206:207]
	s_nop 0
	v_fma_f64 v[216:217], -v[206:207], v[208:209], 1.0
	v_fmac_f64_e32 v[208:209], v[208:209], v[216:217]
	v_fma_f64 v[216:217], -v[206:207], v[208:209], 1.0
	v_fmac_f64_e32 v[208:209], v[208:209], v[216:217]
	v_div_scale_f64 v[216:217], vcc, 1.0, v[210:211], 1.0
	v_mul_f64 v[218:219], v[216:217], v[208:209]
	v_fma_f64 v[206:207], -v[206:207], v[218:219], v[216:217]
	s_nop 1
	v_div_fmas_f64 v[206:207], v[206:207], v[208:209], v[218:219]
	v_div_fixup_f64 v[206:207], v[206:207], v[210:211], 1.0
	v_mul_f64 v[204:205], v[204:205], v[206:207]
	v_xor_b32_e32 v207, 0x80000000, v207
                                        ; implicit-def: $vgpr208_vgpr209
.LBB107_338:
	s_andn2_saveexec_b64 s[2:3], s[2:3]
	s_cbranch_execz .LBB107_340
; %bb.339:
	v_div_scale_f64 v[204:205], s[10:11], v[208:209], v[208:209], v[210:211]
	v_rcp_f64_e32 v[206:207], v[204:205]
	v_div_scale_f64 v[216:217], vcc, v[210:211], v[208:209], v[210:211]
	v_fma_f64 v[218:219], -v[204:205], v[206:207], 1.0
	v_fmac_f64_e32 v[206:207], v[206:207], v[218:219]
	v_fma_f64 v[218:219], -v[204:205], v[206:207], 1.0
	v_fmac_f64_e32 v[206:207], v[206:207], v[218:219]
	v_mul_f64 v[218:219], v[216:217], v[206:207]
	v_fma_f64 v[204:205], -v[204:205], v[218:219], v[216:217]
	v_div_fmas_f64 v[204:205], v[204:205], v[206:207], v[218:219]
	v_div_fixup_f64 v[206:207], v[204:205], v[208:209], v[210:211]
	v_fmac_f64_e32 v[208:209], v[210:211], v[206:207]
	v_div_scale_f64 v[204:205], s[10:11], v[208:209], v[208:209], 1.0
	v_rcp_f64_e32 v[210:211], v[204:205]
	s_nop 0
	v_fma_f64 v[216:217], -v[204:205], v[210:211], 1.0
	v_fmac_f64_e32 v[210:211], v[210:211], v[216:217]
	v_fma_f64 v[216:217], -v[204:205], v[210:211], 1.0
	v_fmac_f64_e32 v[210:211], v[210:211], v[216:217]
	v_div_scale_f64 v[216:217], vcc, 1.0, v[208:209], 1.0
	v_mul_f64 v[218:219], v[216:217], v[210:211]
	v_fma_f64 v[204:205], -v[204:205], v[218:219], v[216:217]
	s_nop 1
	v_div_fmas_f64 v[204:205], v[204:205], v[210:211], v[218:219]
	v_div_fixup_f64 v[204:205], v[204:205], v[208:209], 1.0
	v_mul_f64 v[206:207], v[206:207], -v[204:205]
.LBB107_340:
	s_or_b64 exec, exec, s[2:3]
	ds_write2_b64 v201, v[204:205], v[206:207] offset1:1
.LBB107_341:
	s_or_b64 exec, exec, s[4:5]
	s_waitcnt lgkmcnt(0)
	s_barrier
	ds_read2_b64 v[192:195], v201 offset1:1
	v_cmp_lt_u32_e32 vcc, 37, v200
	s_waitcnt lgkmcnt(0)
	scratch_store_dwordx4 off, v[192:195], off offset:1088 ; 16-byte Folded Spill
	s_and_saveexec_b64 s[2:3], vcc
	s_cbranch_execz .LBB107_343
; %bb.342:
	scratch_load_dwordx4 v[192:195], off, off offset:1088 ; 16-byte Folded Reload
	ds_read2_b64 v[204:207], v202 offset0:76 offset1:77
	s_waitcnt vmcnt(0)
	v_mul_f64 v[208:209], v[192:193], v[62:63]
	v_fmac_f64_e32 v[208:209], v[194:195], v[60:61]
	v_mul_f64 v[62:63], v[194:195], v[62:63]
	v_fma_f64 v[60:61], v[192:193], v[60:61], -v[62:63]
	s_waitcnt lgkmcnt(0)
	v_mul_f64 v[62:63], v[206:207], v[208:209]
	v_fma_f64 v[62:63], v[204:205], v[60:61], -v[62:63]
	v_mul_f64 v[204:205], v[204:205], v[208:209]
	v_fmac_f64_e32 v[204:205], v[206:207], v[60:61]
	v_add_f64 v[58:59], v[58:59], -v[204:205]
	ds_read2_b64 v[204:207], v202 offset0:78 offset1:79
	v_add_f64 v[56:57], v[56:57], -v[62:63]
	s_waitcnt lgkmcnt(0)
	v_mul_f64 v[62:63], v[206:207], v[208:209]
	v_fma_f64 v[62:63], v[204:205], v[60:61], -v[62:63]
	v_mul_f64 v[204:205], v[204:205], v[208:209]
	v_fmac_f64_e32 v[204:205], v[206:207], v[60:61]
	v_add_f64 v[54:55], v[54:55], -v[204:205]
	ds_read2_b64 v[204:207], v202 offset0:80 offset1:81
	v_add_f64 v[52:53], v[52:53], -v[62:63]
	;; [unrolled: 8-line block ×15, first 2 shown]
	s_waitcnt lgkmcnt(0)
	v_mul_f64 v[62:63], v[206:207], v[208:209]
	v_fma_f64 v[62:63], v[204:205], v[60:61], -v[62:63]
	v_mul_f64 v[204:205], v[204:205], v[208:209]
	v_fmac_f64_e32 v[204:205], v[206:207], v[60:61]
	v_add_f64 v[212:213], v[212:213], -v[62:63]
	v_add_f64 v[214:215], v[214:215], -v[204:205]
	v_mov_b64_e32 v[62:63], v[208:209]
.LBB107_343:
	s_or_b64 exec, exec, s[2:3]
	v_cmp_eq_u32_e32 vcc, 38, v200
	s_waitcnt vmcnt(63) expcnt(7) lgkmcnt(15)
	s_barrier
	s_and_saveexec_b64 s[4:5], vcc
	s_cbranch_execz .LBB107_350
; %bb.344:
	ds_write2_b64 v201, v[56:57], v[58:59] offset1:1
	ds_write2_b64 v202, v[52:53], v[54:55] offset0:78 offset1:79
	ds_write2_b64 v202, v[48:49], v[50:51] offset0:80 offset1:81
	;; [unrolled: 1-line block ×4, first 2 shown]
	s_waitcnt vmcnt(62)
	ds_write2_b64 v202, v[36:37], v[38:39] offset0:86 offset1:87
	s_waitcnt vmcnt(61)
	ds_write2_b64 v202, v[32:33], v[34:35] offset0:88 offset1:89
	;; [unrolled: 2-line block ×6, first 2 shown]
	ds_write2_b64 v202, v[12:13], v[14:15] offset0:98 offset1:99
	ds_write2_b64 v202, v[8:9], v[10:11] offset0:100 offset1:101
	;; [unrolled: 1-line block ×3, first 2 shown]
	s_waitcnt vmcnt(56)
	ds_write2_b64 v202, v[0:1], v[2:3] offset0:104 offset1:105
	s_waitcnt vmcnt(53)
	ds_write2_b64 v202, v[212:213], v[214:215] offset0:106 offset1:107
	ds_read2_b64 v[208:211], v201 offset1:1
	s_waitcnt lgkmcnt(0)
	v_cmp_neq_f64_e32 vcc, 0, v[208:209]
	v_cmp_neq_f64_e64 s[2:3], 0, v[210:211]
	s_or_b64 s[2:3], vcc, s[2:3]
	s_and_b64 exec, exec, s[2:3]
	s_cbranch_execz .LBB107_350
; %bb.345:
	v_cmp_ngt_f64_e64 s[2:3], |v[208:209]|, |v[210:211]|
                                        ; implicit-def: $vgpr204_vgpr205
	s_and_saveexec_b64 s[10:11], s[2:3]
	s_xor_b64 s[2:3], exec, s[10:11]
                                        ; implicit-def: $vgpr206_vgpr207
	s_cbranch_execz .LBB107_347
; %bb.346:
	v_div_scale_f64 v[204:205], s[10:11], v[210:211], v[210:211], v[208:209]
	v_rcp_f64_e32 v[206:207], v[204:205]
	v_div_scale_f64 v[216:217], vcc, v[208:209], v[210:211], v[208:209]
	v_fma_f64 v[218:219], -v[204:205], v[206:207], 1.0
	v_fmac_f64_e32 v[206:207], v[206:207], v[218:219]
	v_fma_f64 v[218:219], -v[204:205], v[206:207], 1.0
	v_fmac_f64_e32 v[206:207], v[206:207], v[218:219]
	v_mul_f64 v[218:219], v[216:217], v[206:207]
	v_fma_f64 v[204:205], -v[204:205], v[218:219], v[216:217]
	v_div_fmas_f64 v[204:205], v[204:205], v[206:207], v[218:219]
	v_div_fixup_f64 v[204:205], v[204:205], v[210:211], v[208:209]
	v_fmac_f64_e32 v[210:211], v[208:209], v[204:205]
	v_div_scale_f64 v[206:207], s[10:11], v[210:211], v[210:211], 1.0
	v_rcp_f64_e32 v[208:209], v[206:207]
	s_nop 0
	v_fma_f64 v[216:217], -v[206:207], v[208:209], 1.0
	v_fmac_f64_e32 v[208:209], v[208:209], v[216:217]
	v_fma_f64 v[216:217], -v[206:207], v[208:209], 1.0
	v_fmac_f64_e32 v[208:209], v[208:209], v[216:217]
	v_div_scale_f64 v[216:217], vcc, 1.0, v[210:211], 1.0
	v_mul_f64 v[218:219], v[216:217], v[208:209]
	v_fma_f64 v[206:207], -v[206:207], v[218:219], v[216:217]
	s_nop 1
	v_div_fmas_f64 v[206:207], v[206:207], v[208:209], v[218:219]
	v_div_fixup_f64 v[206:207], v[206:207], v[210:211], 1.0
	v_mul_f64 v[204:205], v[204:205], v[206:207]
	v_xor_b32_e32 v207, 0x80000000, v207
                                        ; implicit-def: $vgpr208_vgpr209
.LBB107_347:
	s_andn2_saveexec_b64 s[2:3], s[2:3]
	s_cbranch_execz .LBB107_349
; %bb.348:
	v_div_scale_f64 v[204:205], s[10:11], v[208:209], v[208:209], v[210:211]
	v_rcp_f64_e32 v[206:207], v[204:205]
	v_div_scale_f64 v[216:217], vcc, v[210:211], v[208:209], v[210:211]
	v_fma_f64 v[218:219], -v[204:205], v[206:207], 1.0
	v_fmac_f64_e32 v[206:207], v[206:207], v[218:219]
	v_fma_f64 v[218:219], -v[204:205], v[206:207], 1.0
	v_fmac_f64_e32 v[206:207], v[206:207], v[218:219]
	v_mul_f64 v[218:219], v[216:217], v[206:207]
	v_fma_f64 v[204:205], -v[204:205], v[218:219], v[216:217]
	v_div_fmas_f64 v[204:205], v[204:205], v[206:207], v[218:219]
	v_div_fixup_f64 v[206:207], v[204:205], v[208:209], v[210:211]
	v_fmac_f64_e32 v[208:209], v[210:211], v[206:207]
	v_div_scale_f64 v[204:205], s[10:11], v[208:209], v[208:209], 1.0
	v_rcp_f64_e32 v[210:211], v[204:205]
	s_nop 0
	v_fma_f64 v[216:217], -v[204:205], v[210:211], 1.0
	v_fmac_f64_e32 v[210:211], v[210:211], v[216:217]
	v_fma_f64 v[216:217], -v[204:205], v[210:211], 1.0
	v_fmac_f64_e32 v[210:211], v[210:211], v[216:217]
	v_div_scale_f64 v[216:217], vcc, 1.0, v[208:209], 1.0
	v_mul_f64 v[218:219], v[216:217], v[210:211]
	v_fma_f64 v[204:205], -v[204:205], v[218:219], v[216:217]
	s_nop 1
	v_div_fmas_f64 v[204:205], v[204:205], v[210:211], v[218:219]
	v_div_fixup_f64 v[204:205], v[204:205], v[208:209], 1.0
	v_mul_f64 v[206:207], v[206:207], -v[204:205]
.LBB107_349:
	s_or_b64 exec, exec, s[2:3]
	ds_write2_b64 v201, v[204:205], v[206:207] offset1:1
.LBB107_350:
	s_or_b64 exec, exec, s[4:5]
	s_waitcnt lgkmcnt(0)
	s_barrier
	ds_read2_b64 v[192:195], v201 offset1:1
	v_cmp_lt_u32_e32 vcc, 38, v200
	s_waitcnt lgkmcnt(0)
	scratch_store_dwordx4 off, v[192:195], off offset:1104 ; 16-byte Folded Spill
	s_and_saveexec_b64 s[2:3], vcc
	s_cbranch_execz .LBB107_352
; %bb.351:
	scratch_load_dwordx4 v[192:195], off, off offset:1104 ; 16-byte Folded Reload
	ds_read2_b64 v[204:207], v202 offset0:78 offset1:79
	s_waitcnt vmcnt(0)
	v_mul_f64 v[208:209], v[192:193], v[58:59]
	v_fmac_f64_e32 v[208:209], v[194:195], v[56:57]
	v_mul_f64 v[58:59], v[194:195], v[58:59]
	v_fma_f64 v[56:57], v[192:193], v[56:57], -v[58:59]
	s_waitcnt lgkmcnt(0)
	v_mul_f64 v[58:59], v[206:207], v[208:209]
	v_fma_f64 v[58:59], v[204:205], v[56:57], -v[58:59]
	v_mul_f64 v[204:205], v[204:205], v[208:209]
	v_fmac_f64_e32 v[204:205], v[206:207], v[56:57]
	v_add_f64 v[54:55], v[54:55], -v[204:205]
	ds_read2_b64 v[204:207], v202 offset0:80 offset1:81
	v_add_f64 v[52:53], v[52:53], -v[58:59]
	s_waitcnt lgkmcnt(0)
	v_mul_f64 v[58:59], v[206:207], v[208:209]
	v_fma_f64 v[58:59], v[204:205], v[56:57], -v[58:59]
	v_mul_f64 v[204:205], v[204:205], v[208:209]
	v_fmac_f64_e32 v[204:205], v[206:207], v[56:57]
	v_add_f64 v[50:51], v[50:51], -v[204:205]
	ds_read2_b64 v[204:207], v202 offset0:82 offset1:83
	v_add_f64 v[48:49], v[48:49], -v[58:59]
	;; [unrolled: 8-line block ×14, first 2 shown]
	s_waitcnt lgkmcnt(0)
	v_mul_f64 v[58:59], v[206:207], v[208:209]
	v_fma_f64 v[58:59], v[204:205], v[56:57], -v[58:59]
	v_mul_f64 v[204:205], v[204:205], v[208:209]
	v_fmac_f64_e32 v[204:205], v[206:207], v[56:57]
	v_add_f64 v[212:213], v[212:213], -v[58:59]
	v_add_f64 v[214:215], v[214:215], -v[204:205]
	v_mov_b64_e32 v[58:59], v[208:209]
.LBB107_352:
	s_or_b64 exec, exec, s[2:3]
	v_cmp_eq_u32_e32 vcc, 39, v200
	s_waitcnt vmcnt(63) expcnt(7) lgkmcnt(15)
	s_barrier
	s_and_saveexec_b64 s[4:5], vcc
	s_cbranch_execz .LBB107_359
; %bb.353:
	ds_write2_b64 v201, v[52:53], v[54:55] offset1:1
	ds_write2_b64 v202, v[48:49], v[50:51] offset0:80 offset1:81
	ds_write2_b64 v202, v[44:45], v[46:47] offset0:82 offset1:83
	;; [unrolled: 1-line block ×4, first 2 shown]
	s_waitcnt vmcnt(62)
	ds_write2_b64 v202, v[32:33], v[34:35] offset0:88 offset1:89
	s_waitcnt vmcnt(61)
	ds_write2_b64 v202, v[28:29], v[30:31] offset0:90 offset1:91
	;; [unrolled: 2-line block ×5, first 2 shown]
	ds_write2_b64 v202, v[12:13], v[14:15] offset0:98 offset1:99
	ds_write2_b64 v202, v[8:9], v[10:11] offset0:100 offset1:101
	;; [unrolled: 1-line block ×3, first 2 shown]
	s_waitcnt vmcnt(57)
	ds_write2_b64 v202, v[0:1], v[2:3] offset0:104 offset1:105
	s_waitcnt vmcnt(54)
	ds_write2_b64 v202, v[212:213], v[214:215] offset0:106 offset1:107
	ds_read2_b64 v[208:211], v201 offset1:1
	s_waitcnt lgkmcnt(0)
	v_cmp_neq_f64_e32 vcc, 0, v[208:209]
	v_cmp_neq_f64_e64 s[2:3], 0, v[210:211]
	s_or_b64 s[2:3], vcc, s[2:3]
	s_and_b64 exec, exec, s[2:3]
	s_cbranch_execz .LBB107_359
; %bb.354:
	v_cmp_ngt_f64_e64 s[2:3], |v[208:209]|, |v[210:211]|
                                        ; implicit-def: $vgpr204_vgpr205
	s_and_saveexec_b64 s[10:11], s[2:3]
	s_xor_b64 s[2:3], exec, s[10:11]
                                        ; implicit-def: $vgpr206_vgpr207
	s_cbranch_execz .LBB107_356
; %bb.355:
	v_div_scale_f64 v[204:205], s[10:11], v[210:211], v[210:211], v[208:209]
	v_rcp_f64_e32 v[206:207], v[204:205]
	v_div_scale_f64 v[216:217], vcc, v[208:209], v[210:211], v[208:209]
	v_fma_f64 v[218:219], -v[204:205], v[206:207], 1.0
	v_fmac_f64_e32 v[206:207], v[206:207], v[218:219]
	v_fma_f64 v[218:219], -v[204:205], v[206:207], 1.0
	v_fmac_f64_e32 v[206:207], v[206:207], v[218:219]
	v_mul_f64 v[218:219], v[216:217], v[206:207]
	v_fma_f64 v[204:205], -v[204:205], v[218:219], v[216:217]
	v_div_fmas_f64 v[204:205], v[204:205], v[206:207], v[218:219]
	v_div_fixup_f64 v[204:205], v[204:205], v[210:211], v[208:209]
	v_fmac_f64_e32 v[210:211], v[208:209], v[204:205]
	v_div_scale_f64 v[206:207], s[10:11], v[210:211], v[210:211], 1.0
	v_rcp_f64_e32 v[208:209], v[206:207]
	s_nop 0
	v_fma_f64 v[216:217], -v[206:207], v[208:209], 1.0
	v_fmac_f64_e32 v[208:209], v[208:209], v[216:217]
	v_fma_f64 v[216:217], -v[206:207], v[208:209], 1.0
	v_fmac_f64_e32 v[208:209], v[208:209], v[216:217]
	v_div_scale_f64 v[216:217], vcc, 1.0, v[210:211], 1.0
	v_mul_f64 v[218:219], v[216:217], v[208:209]
	v_fma_f64 v[206:207], -v[206:207], v[218:219], v[216:217]
	s_nop 1
	v_div_fmas_f64 v[206:207], v[206:207], v[208:209], v[218:219]
	v_div_fixup_f64 v[206:207], v[206:207], v[210:211], 1.0
	v_mul_f64 v[204:205], v[204:205], v[206:207]
	v_xor_b32_e32 v207, 0x80000000, v207
                                        ; implicit-def: $vgpr208_vgpr209
.LBB107_356:
	s_andn2_saveexec_b64 s[2:3], s[2:3]
	s_cbranch_execz .LBB107_358
; %bb.357:
	v_div_scale_f64 v[204:205], s[10:11], v[208:209], v[208:209], v[210:211]
	v_rcp_f64_e32 v[206:207], v[204:205]
	v_div_scale_f64 v[216:217], vcc, v[210:211], v[208:209], v[210:211]
	v_fma_f64 v[218:219], -v[204:205], v[206:207], 1.0
	v_fmac_f64_e32 v[206:207], v[206:207], v[218:219]
	v_fma_f64 v[218:219], -v[204:205], v[206:207], 1.0
	v_fmac_f64_e32 v[206:207], v[206:207], v[218:219]
	v_mul_f64 v[218:219], v[216:217], v[206:207]
	v_fma_f64 v[204:205], -v[204:205], v[218:219], v[216:217]
	v_div_fmas_f64 v[204:205], v[204:205], v[206:207], v[218:219]
	v_div_fixup_f64 v[206:207], v[204:205], v[208:209], v[210:211]
	v_fmac_f64_e32 v[208:209], v[210:211], v[206:207]
	v_div_scale_f64 v[204:205], s[10:11], v[208:209], v[208:209], 1.0
	v_rcp_f64_e32 v[210:211], v[204:205]
	s_nop 0
	v_fma_f64 v[216:217], -v[204:205], v[210:211], 1.0
	v_fmac_f64_e32 v[210:211], v[210:211], v[216:217]
	v_fma_f64 v[216:217], -v[204:205], v[210:211], 1.0
	v_fmac_f64_e32 v[210:211], v[210:211], v[216:217]
	v_div_scale_f64 v[216:217], vcc, 1.0, v[208:209], 1.0
	v_mul_f64 v[218:219], v[216:217], v[210:211]
	v_fma_f64 v[204:205], -v[204:205], v[218:219], v[216:217]
	s_nop 1
	v_div_fmas_f64 v[204:205], v[204:205], v[210:211], v[218:219]
	v_div_fixup_f64 v[204:205], v[204:205], v[208:209], 1.0
	v_mul_f64 v[206:207], v[206:207], -v[204:205]
.LBB107_358:
	s_or_b64 exec, exec, s[2:3]
	ds_write2_b64 v201, v[204:205], v[206:207] offset1:1
.LBB107_359:
	s_or_b64 exec, exec, s[4:5]
	s_waitcnt lgkmcnt(0)
	s_barrier
	ds_read2_b64 v[192:195], v201 offset1:1
	v_cmp_lt_u32_e32 vcc, 39, v200
	s_waitcnt lgkmcnt(0)
	scratch_store_dwordx4 off, v[192:195], off offset:1120 ; 16-byte Folded Spill
	s_and_saveexec_b64 s[2:3], vcc
	s_cbranch_execz .LBB107_361
; %bb.360:
	scratch_load_dwordx4 v[192:195], off, off offset:1120 ; 16-byte Folded Reload
	ds_read2_b64 v[204:207], v202 offset0:80 offset1:81
	s_waitcnt vmcnt(0)
	v_mul_f64 v[208:209], v[192:193], v[54:55]
	v_fmac_f64_e32 v[208:209], v[194:195], v[52:53]
	v_mul_f64 v[54:55], v[194:195], v[54:55]
	v_fma_f64 v[52:53], v[192:193], v[52:53], -v[54:55]
	s_waitcnt lgkmcnt(0)
	v_mul_f64 v[54:55], v[206:207], v[208:209]
	v_fma_f64 v[54:55], v[204:205], v[52:53], -v[54:55]
	v_mul_f64 v[204:205], v[204:205], v[208:209]
	v_fmac_f64_e32 v[204:205], v[206:207], v[52:53]
	v_add_f64 v[50:51], v[50:51], -v[204:205]
	ds_read2_b64 v[204:207], v202 offset0:82 offset1:83
	v_add_f64 v[48:49], v[48:49], -v[54:55]
	s_waitcnt lgkmcnt(0)
	v_mul_f64 v[54:55], v[206:207], v[208:209]
	v_fma_f64 v[54:55], v[204:205], v[52:53], -v[54:55]
	v_mul_f64 v[204:205], v[204:205], v[208:209]
	v_fmac_f64_e32 v[204:205], v[206:207], v[52:53]
	v_add_f64 v[46:47], v[46:47], -v[204:205]
	ds_read2_b64 v[204:207], v202 offset0:84 offset1:85
	v_add_f64 v[44:45], v[44:45], -v[54:55]
	;; [unrolled: 8-line block ×13, first 2 shown]
	s_waitcnt lgkmcnt(0)
	v_mul_f64 v[54:55], v[206:207], v[208:209]
	v_fma_f64 v[54:55], v[204:205], v[52:53], -v[54:55]
	v_mul_f64 v[204:205], v[204:205], v[208:209]
	v_fmac_f64_e32 v[204:205], v[206:207], v[52:53]
	v_add_f64 v[212:213], v[212:213], -v[54:55]
	v_add_f64 v[214:215], v[214:215], -v[204:205]
	v_mov_b64_e32 v[54:55], v[208:209]
.LBB107_361:
	s_or_b64 exec, exec, s[2:3]
	v_cmp_eq_u32_e32 vcc, 40, v200
	s_waitcnt vmcnt(63) expcnt(7) lgkmcnt(15)
	s_barrier
	s_and_saveexec_b64 s[4:5], vcc
	s_cbranch_execz .LBB107_368
; %bb.362:
	ds_write2_b64 v201, v[48:49], v[50:51] offset1:1
	ds_write2_b64 v202, v[44:45], v[46:47] offset0:82 offset1:83
	ds_write2_b64 v202, v[40:41], v[42:43] offset0:84 offset1:85
	;; [unrolled: 1-line block ×4, first 2 shown]
	s_waitcnt vmcnt(62)
	ds_write2_b64 v202, v[28:29], v[30:31] offset0:90 offset1:91
	s_waitcnt vmcnt(61)
	ds_write2_b64 v202, v[24:25], v[26:27] offset0:92 offset1:93
	;; [unrolled: 2-line block ×4, first 2 shown]
	ds_write2_b64 v202, v[12:13], v[14:15] offset0:98 offset1:99
	ds_write2_b64 v202, v[8:9], v[10:11] offset0:100 offset1:101
	;; [unrolled: 1-line block ×3, first 2 shown]
	s_waitcnt vmcnt(58)
	ds_write2_b64 v202, v[0:1], v[2:3] offset0:104 offset1:105
	s_waitcnt vmcnt(55)
	ds_write2_b64 v202, v[212:213], v[214:215] offset0:106 offset1:107
	ds_read2_b64 v[208:211], v201 offset1:1
	s_waitcnt lgkmcnt(0)
	v_cmp_neq_f64_e32 vcc, 0, v[208:209]
	v_cmp_neq_f64_e64 s[2:3], 0, v[210:211]
	s_or_b64 s[2:3], vcc, s[2:3]
	s_and_b64 exec, exec, s[2:3]
	s_cbranch_execz .LBB107_368
; %bb.363:
	v_cmp_ngt_f64_e64 s[2:3], |v[208:209]|, |v[210:211]|
                                        ; implicit-def: $vgpr204_vgpr205
	s_and_saveexec_b64 s[10:11], s[2:3]
	s_xor_b64 s[2:3], exec, s[10:11]
                                        ; implicit-def: $vgpr206_vgpr207
	s_cbranch_execz .LBB107_365
; %bb.364:
	v_div_scale_f64 v[204:205], s[10:11], v[210:211], v[210:211], v[208:209]
	v_rcp_f64_e32 v[206:207], v[204:205]
	v_div_scale_f64 v[216:217], vcc, v[208:209], v[210:211], v[208:209]
	v_fma_f64 v[218:219], -v[204:205], v[206:207], 1.0
	v_fmac_f64_e32 v[206:207], v[206:207], v[218:219]
	v_fma_f64 v[218:219], -v[204:205], v[206:207], 1.0
	v_fmac_f64_e32 v[206:207], v[206:207], v[218:219]
	v_mul_f64 v[218:219], v[216:217], v[206:207]
	v_fma_f64 v[204:205], -v[204:205], v[218:219], v[216:217]
	v_div_fmas_f64 v[204:205], v[204:205], v[206:207], v[218:219]
	v_div_fixup_f64 v[204:205], v[204:205], v[210:211], v[208:209]
	v_fmac_f64_e32 v[210:211], v[208:209], v[204:205]
	v_div_scale_f64 v[206:207], s[10:11], v[210:211], v[210:211], 1.0
	v_rcp_f64_e32 v[208:209], v[206:207]
	s_nop 0
	v_fma_f64 v[216:217], -v[206:207], v[208:209], 1.0
	v_fmac_f64_e32 v[208:209], v[208:209], v[216:217]
	v_fma_f64 v[216:217], -v[206:207], v[208:209], 1.0
	v_fmac_f64_e32 v[208:209], v[208:209], v[216:217]
	v_div_scale_f64 v[216:217], vcc, 1.0, v[210:211], 1.0
	v_mul_f64 v[218:219], v[216:217], v[208:209]
	v_fma_f64 v[206:207], -v[206:207], v[218:219], v[216:217]
	s_nop 1
	v_div_fmas_f64 v[206:207], v[206:207], v[208:209], v[218:219]
	v_div_fixup_f64 v[206:207], v[206:207], v[210:211], 1.0
	v_mul_f64 v[204:205], v[204:205], v[206:207]
	v_xor_b32_e32 v207, 0x80000000, v207
                                        ; implicit-def: $vgpr208_vgpr209
.LBB107_365:
	s_andn2_saveexec_b64 s[2:3], s[2:3]
	s_cbranch_execz .LBB107_367
; %bb.366:
	v_div_scale_f64 v[204:205], s[10:11], v[208:209], v[208:209], v[210:211]
	v_rcp_f64_e32 v[206:207], v[204:205]
	v_div_scale_f64 v[216:217], vcc, v[210:211], v[208:209], v[210:211]
	v_fma_f64 v[218:219], -v[204:205], v[206:207], 1.0
	v_fmac_f64_e32 v[206:207], v[206:207], v[218:219]
	v_fma_f64 v[218:219], -v[204:205], v[206:207], 1.0
	v_fmac_f64_e32 v[206:207], v[206:207], v[218:219]
	v_mul_f64 v[218:219], v[216:217], v[206:207]
	v_fma_f64 v[204:205], -v[204:205], v[218:219], v[216:217]
	v_div_fmas_f64 v[204:205], v[204:205], v[206:207], v[218:219]
	v_div_fixup_f64 v[206:207], v[204:205], v[208:209], v[210:211]
	v_fmac_f64_e32 v[208:209], v[210:211], v[206:207]
	v_div_scale_f64 v[204:205], s[10:11], v[208:209], v[208:209], 1.0
	v_rcp_f64_e32 v[210:211], v[204:205]
	s_nop 0
	v_fma_f64 v[216:217], -v[204:205], v[210:211], 1.0
	v_fmac_f64_e32 v[210:211], v[210:211], v[216:217]
	v_fma_f64 v[216:217], -v[204:205], v[210:211], 1.0
	v_fmac_f64_e32 v[210:211], v[210:211], v[216:217]
	v_div_scale_f64 v[216:217], vcc, 1.0, v[208:209], 1.0
	v_mul_f64 v[218:219], v[216:217], v[210:211]
	v_fma_f64 v[204:205], -v[204:205], v[218:219], v[216:217]
	s_nop 1
	v_div_fmas_f64 v[204:205], v[204:205], v[210:211], v[218:219]
	v_div_fixup_f64 v[204:205], v[204:205], v[208:209], 1.0
	v_mul_f64 v[206:207], v[206:207], -v[204:205]
.LBB107_367:
	s_or_b64 exec, exec, s[2:3]
	ds_write2_b64 v201, v[204:205], v[206:207] offset1:1
.LBB107_368:
	s_or_b64 exec, exec, s[4:5]
	s_waitcnt lgkmcnt(0)
	s_barrier
	ds_read2_b64 v[192:195], v201 offset1:1
	v_cmp_lt_u32_e32 vcc, 40, v200
	s_waitcnt lgkmcnt(0)
	scratch_store_dwordx4 off, v[192:195], off offset:1136 ; 16-byte Folded Spill
	s_and_saveexec_b64 s[2:3], vcc
	s_cbranch_execz .LBB107_370
; %bb.369:
	scratch_load_dwordx4 v[192:195], off, off offset:1136 ; 16-byte Folded Reload
	ds_read2_b64 v[204:207], v202 offset0:82 offset1:83
	s_waitcnt vmcnt(0)
	v_mul_f64 v[208:209], v[192:193], v[50:51]
	v_fmac_f64_e32 v[208:209], v[194:195], v[48:49]
	v_mul_f64 v[50:51], v[194:195], v[50:51]
	v_fma_f64 v[48:49], v[192:193], v[48:49], -v[50:51]
	s_waitcnt lgkmcnt(0)
	v_mul_f64 v[50:51], v[206:207], v[208:209]
	v_fma_f64 v[50:51], v[204:205], v[48:49], -v[50:51]
	v_mul_f64 v[204:205], v[204:205], v[208:209]
	v_fmac_f64_e32 v[204:205], v[206:207], v[48:49]
	v_add_f64 v[46:47], v[46:47], -v[204:205]
	ds_read2_b64 v[204:207], v202 offset0:84 offset1:85
	v_add_f64 v[44:45], v[44:45], -v[50:51]
	s_waitcnt lgkmcnt(0)
	v_mul_f64 v[50:51], v[206:207], v[208:209]
	v_fma_f64 v[50:51], v[204:205], v[48:49], -v[50:51]
	v_mul_f64 v[204:205], v[204:205], v[208:209]
	v_fmac_f64_e32 v[204:205], v[206:207], v[48:49]
	v_add_f64 v[42:43], v[42:43], -v[204:205]
	ds_read2_b64 v[204:207], v202 offset0:86 offset1:87
	v_add_f64 v[40:41], v[40:41], -v[50:51]
	;; [unrolled: 8-line block ×12, first 2 shown]
	s_waitcnt lgkmcnt(0)
	v_mul_f64 v[50:51], v[206:207], v[208:209]
	v_fma_f64 v[50:51], v[204:205], v[48:49], -v[50:51]
	v_mul_f64 v[204:205], v[204:205], v[208:209]
	v_fmac_f64_e32 v[204:205], v[206:207], v[48:49]
	v_add_f64 v[212:213], v[212:213], -v[50:51]
	v_add_f64 v[214:215], v[214:215], -v[204:205]
	v_mov_b64_e32 v[50:51], v[208:209]
.LBB107_370:
	s_or_b64 exec, exec, s[2:3]
	v_cmp_eq_u32_e32 vcc, 41, v200
	s_waitcnt vmcnt(63) expcnt(7) lgkmcnt(15)
	s_barrier
	s_and_saveexec_b64 s[4:5], vcc
	s_cbranch_execz .LBB107_377
; %bb.371:
	ds_write2_b64 v201, v[44:45], v[46:47] offset1:1
	ds_write2_b64 v202, v[40:41], v[42:43] offset0:84 offset1:85
	ds_write2_b64 v202, v[36:37], v[38:39] offset0:86 offset1:87
	;; [unrolled: 1-line block ×4, first 2 shown]
	s_waitcnt vmcnt(62)
	ds_write2_b64 v202, v[24:25], v[26:27] offset0:92 offset1:93
	s_waitcnt vmcnt(61)
	ds_write2_b64 v202, v[20:21], v[22:23] offset0:94 offset1:95
	;; [unrolled: 2-line block ×3, first 2 shown]
	ds_write2_b64 v202, v[12:13], v[14:15] offset0:98 offset1:99
	ds_write2_b64 v202, v[8:9], v[10:11] offset0:100 offset1:101
	;; [unrolled: 1-line block ×3, first 2 shown]
	s_waitcnt vmcnt(59)
	ds_write2_b64 v202, v[0:1], v[2:3] offset0:104 offset1:105
	s_waitcnt vmcnt(56)
	ds_write2_b64 v202, v[212:213], v[214:215] offset0:106 offset1:107
	ds_read2_b64 v[208:211], v201 offset1:1
	s_waitcnt lgkmcnt(0)
	v_cmp_neq_f64_e32 vcc, 0, v[208:209]
	v_cmp_neq_f64_e64 s[2:3], 0, v[210:211]
	s_or_b64 s[2:3], vcc, s[2:3]
	s_and_b64 exec, exec, s[2:3]
	s_cbranch_execz .LBB107_377
; %bb.372:
	v_cmp_ngt_f64_e64 s[2:3], |v[208:209]|, |v[210:211]|
                                        ; implicit-def: $vgpr204_vgpr205
	s_and_saveexec_b64 s[10:11], s[2:3]
	s_xor_b64 s[2:3], exec, s[10:11]
                                        ; implicit-def: $vgpr206_vgpr207
	s_cbranch_execz .LBB107_374
; %bb.373:
	v_div_scale_f64 v[204:205], s[10:11], v[210:211], v[210:211], v[208:209]
	v_rcp_f64_e32 v[206:207], v[204:205]
	v_div_scale_f64 v[216:217], vcc, v[208:209], v[210:211], v[208:209]
	v_fma_f64 v[218:219], -v[204:205], v[206:207], 1.0
	v_fmac_f64_e32 v[206:207], v[206:207], v[218:219]
	v_fma_f64 v[218:219], -v[204:205], v[206:207], 1.0
	v_fmac_f64_e32 v[206:207], v[206:207], v[218:219]
	v_mul_f64 v[218:219], v[216:217], v[206:207]
	v_fma_f64 v[204:205], -v[204:205], v[218:219], v[216:217]
	v_div_fmas_f64 v[204:205], v[204:205], v[206:207], v[218:219]
	v_div_fixup_f64 v[204:205], v[204:205], v[210:211], v[208:209]
	v_fmac_f64_e32 v[210:211], v[208:209], v[204:205]
	v_div_scale_f64 v[206:207], s[10:11], v[210:211], v[210:211], 1.0
	v_rcp_f64_e32 v[208:209], v[206:207]
	s_nop 0
	v_fma_f64 v[216:217], -v[206:207], v[208:209], 1.0
	v_fmac_f64_e32 v[208:209], v[208:209], v[216:217]
	v_fma_f64 v[216:217], -v[206:207], v[208:209], 1.0
	v_fmac_f64_e32 v[208:209], v[208:209], v[216:217]
	v_div_scale_f64 v[216:217], vcc, 1.0, v[210:211], 1.0
	v_mul_f64 v[218:219], v[216:217], v[208:209]
	v_fma_f64 v[206:207], -v[206:207], v[218:219], v[216:217]
	s_nop 1
	v_div_fmas_f64 v[206:207], v[206:207], v[208:209], v[218:219]
	v_div_fixup_f64 v[206:207], v[206:207], v[210:211], 1.0
	v_mul_f64 v[204:205], v[204:205], v[206:207]
	v_xor_b32_e32 v207, 0x80000000, v207
                                        ; implicit-def: $vgpr208_vgpr209
.LBB107_374:
	s_andn2_saveexec_b64 s[2:3], s[2:3]
	s_cbranch_execz .LBB107_376
; %bb.375:
	v_div_scale_f64 v[204:205], s[10:11], v[208:209], v[208:209], v[210:211]
	v_rcp_f64_e32 v[206:207], v[204:205]
	v_div_scale_f64 v[216:217], vcc, v[210:211], v[208:209], v[210:211]
	v_fma_f64 v[218:219], -v[204:205], v[206:207], 1.0
	v_fmac_f64_e32 v[206:207], v[206:207], v[218:219]
	v_fma_f64 v[218:219], -v[204:205], v[206:207], 1.0
	v_fmac_f64_e32 v[206:207], v[206:207], v[218:219]
	v_mul_f64 v[218:219], v[216:217], v[206:207]
	v_fma_f64 v[204:205], -v[204:205], v[218:219], v[216:217]
	v_div_fmas_f64 v[204:205], v[204:205], v[206:207], v[218:219]
	v_div_fixup_f64 v[206:207], v[204:205], v[208:209], v[210:211]
	v_fmac_f64_e32 v[208:209], v[210:211], v[206:207]
	v_div_scale_f64 v[204:205], s[10:11], v[208:209], v[208:209], 1.0
	v_rcp_f64_e32 v[210:211], v[204:205]
	s_nop 0
	v_fma_f64 v[216:217], -v[204:205], v[210:211], 1.0
	v_fmac_f64_e32 v[210:211], v[210:211], v[216:217]
	v_fma_f64 v[216:217], -v[204:205], v[210:211], 1.0
	v_fmac_f64_e32 v[210:211], v[210:211], v[216:217]
	v_div_scale_f64 v[216:217], vcc, 1.0, v[208:209], 1.0
	v_mul_f64 v[218:219], v[216:217], v[210:211]
	v_fma_f64 v[204:205], -v[204:205], v[218:219], v[216:217]
	s_nop 1
	v_div_fmas_f64 v[204:205], v[204:205], v[210:211], v[218:219]
	v_div_fixup_f64 v[204:205], v[204:205], v[208:209], 1.0
	v_mul_f64 v[206:207], v[206:207], -v[204:205]
.LBB107_376:
	s_or_b64 exec, exec, s[2:3]
	ds_write2_b64 v201, v[204:205], v[206:207] offset1:1
.LBB107_377:
	s_or_b64 exec, exec, s[4:5]
	s_waitcnt lgkmcnt(0)
	s_barrier
	ds_read2_b64 v[192:195], v201 offset1:1
	v_cmp_lt_u32_e32 vcc, 41, v200
	s_waitcnt lgkmcnt(0)
	scratch_store_dwordx4 off, v[192:195], off offset:1152 ; 16-byte Folded Spill
	s_and_saveexec_b64 s[2:3], vcc
	s_cbranch_execz .LBB107_379
; %bb.378:
	scratch_load_dwordx4 v[192:195], off, off offset:1152 ; 16-byte Folded Reload
	ds_read2_b64 v[204:207], v202 offset0:84 offset1:85
	s_waitcnt vmcnt(0)
	v_mul_f64 v[208:209], v[192:193], v[46:47]
	v_fmac_f64_e32 v[208:209], v[194:195], v[44:45]
	v_mul_f64 v[46:47], v[194:195], v[46:47]
	v_fma_f64 v[44:45], v[192:193], v[44:45], -v[46:47]
	s_waitcnt lgkmcnt(0)
	v_mul_f64 v[46:47], v[206:207], v[208:209]
	v_fma_f64 v[46:47], v[204:205], v[44:45], -v[46:47]
	v_mul_f64 v[204:205], v[204:205], v[208:209]
	v_fmac_f64_e32 v[204:205], v[206:207], v[44:45]
	v_add_f64 v[42:43], v[42:43], -v[204:205]
	ds_read2_b64 v[204:207], v202 offset0:86 offset1:87
	v_add_f64 v[40:41], v[40:41], -v[46:47]
	s_waitcnt lgkmcnt(0)
	v_mul_f64 v[46:47], v[206:207], v[208:209]
	v_fma_f64 v[46:47], v[204:205], v[44:45], -v[46:47]
	v_mul_f64 v[204:205], v[204:205], v[208:209]
	v_fmac_f64_e32 v[204:205], v[206:207], v[44:45]
	v_add_f64 v[38:39], v[38:39], -v[204:205]
	ds_read2_b64 v[204:207], v202 offset0:88 offset1:89
	v_add_f64 v[36:37], v[36:37], -v[46:47]
	s_waitcnt lgkmcnt(0)
	v_mul_f64 v[46:47], v[206:207], v[208:209]
	v_fma_f64 v[46:47], v[204:205], v[44:45], -v[46:47]
	v_mul_f64 v[204:205], v[204:205], v[208:209]
	v_fmac_f64_e32 v[204:205], v[206:207], v[44:45]
	v_add_f64 v[34:35], v[34:35], -v[204:205]
	ds_read2_b64 v[204:207], v202 offset0:90 offset1:91
	v_add_f64 v[32:33], v[32:33], -v[46:47]
	s_waitcnt lgkmcnt(0)
	v_mul_f64 v[46:47], v[206:207], v[208:209]
	v_fma_f64 v[46:47], v[204:205], v[44:45], -v[46:47]
	v_mul_f64 v[204:205], v[204:205], v[208:209]
	v_fmac_f64_e32 v[204:205], v[206:207], v[44:45]
	v_add_f64 v[30:31], v[30:31], -v[204:205]
	ds_read2_b64 v[204:207], v202 offset0:92 offset1:93
	v_add_f64 v[28:29], v[28:29], -v[46:47]
	s_waitcnt lgkmcnt(0)
	v_mul_f64 v[46:47], v[206:207], v[208:209]
	v_fma_f64 v[46:47], v[204:205], v[44:45], -v[46:47]
	v_mul_f64 v[204:205], v[204:205], v[208:209]
	v_fmac_f64_e32 v[204:205], v[206:207], v[44:45]
	v_add_f64 v[26:27], v[26:27], -v[204:205]
	ds_read2_b64 v[204:207], v202 offset0:94 offset1:95
	v_add_f64 v[24:25], v[24:25], -v[46:47]
	s_waitcnt lgkmcnt(0)
	v_mul_f64 v[46:47], v[206:207], v[208:209]
	v_fma_f64 v[46:47], v[204:205], v[44:45], -v[46:47]
	v_mul_f64 v[204:205], v[204:205], v[208:209]
	v_fmac_f64_e32 v[204:205], v[206:207], v[44:45]
	v_add_f64 v[22:23], v[22:23], -v[204:205]
	ds_read2_b64 v[204:207], v202 offset0:96 offset1:97
	v_add_f64 v[20:21], v[20:21], -v[46:47]
	s_waitcnt lgkmcnt(0)
	v_mul_f64 v[46:47], v[206:207], v[208:209]
	v_fma_f64 v[46:47], v[204:205], v[44:45], -v[46:47]
	v_mul_f64 v[204:205], v[204:205], v[208:209]
	v_fmac_f64_e32 v[204:205], v[206:207], v[44:45]
	v_add_f64 v[18:19], v[18:19], -v[204:205]
	ds_read2_b64 v[204:207], v202 offset0:98 offset1:99
	v_add_f64 v[16:17], v[16:17], -v[46:47]
	s_waitcnt lgkmcnt(0)
	v_mul_f64 v[46:47], v[206:207], v[208:209]
	v_fma_f64 v[46:47], v[204:205], v[44:45], -v[46:47]
	v_mul_f64 v[204:205], v[204:205], v[208:209]
	v_fmac_f64_e32 v[204:205], v[206:207], v[44:45]
	v_add_f64 v[14:15], v[14:15], -v[204:205]
	ds_read2_b64 v[204:207], v202 offset0:100 offset1:101
	v_add_f64 v[12:13], v[12:13], -v[46:47]
	s_waitcnt lgkmcnt(0)
	v_mul_f64 v[46:47], v[206:207], v[208:209]
	v_fma_f64 v[46:47], v[204:205], v[44:45], -v[46:47]
	v_mul_f64 v[204:205], v[204:205], v[208:209]
	v_fmac_f64_e32 v[204:205], v[206:207], v[44:45]
	v_add_f64 v[10:11], v[10:11], -v[204:205]
	ds_read2_b64 v[204:207], v202 offset0:102 offset1:103
	v_add_f64 v[8:9], v[8:9], -v[46:47]
	s_waitcnt lgkmcnt(0)
	v_mul_f64 v[46:47], v[206:207], v[208:209]
	v_fma_f64 v[46:47], v[204:205], v[44:45], -v[46:47]
	v_mul_f64 v[204:205], v[204:205], v[208:209]
	v_fmac_f64_e32 v[204:205], v[206:207], v[44:45]
	v_add_f64 v[6:7], v[6:7], -v[204:205]
	ds_read2_b64 v[204:207], v202 offset0:104 offset1:105
	v_add_f64 v[4:5], v[4:5], -v[46:47]
	s_waitcnt lgkmcnt(0)
	v_mul_f64 v[46:47], v[206:207], v[208:209]
	v_fma_f64 v[46:47], v[204:205], v[44:45], -v[46:47]
	v_mul_f64 v[204:205], v[204:205], v[208:209]
	v_fmac_f64_e32 v[204:205], v[206:207], v[44:45]
	v_add_f64 v[2:3], v[2:3], -v[204:205]
	ds_read2_b64 v[204:207], v202 offset0:106 offset1:107
	v_add_f64 v[0:1], v[0:1], -v[46:47]
	s_waitcnt lgkmcnt(0)
	v_mul_f64 v[46:47], v[206:207], v[208:209]
	v_fma_f64 v[46:47], v[204:205], v[44:45], -v[46:47]
	v_mul_f64 v[204:205], v[204:205], v[208:209]
	v_fmac_f64_e32 v[204:205], v[206:207], v[44:45]
	v_add_f64 v[212:213], v[212:213], -v[46:47]
	v_add_f64 v[214:215], v[214:215], -v[204:205]
	v_mov_b64_e32 v[46:47], v[208:209]
.LBB107_379:
	s_or_b64 exec, exec, s[2:3]
	v_cmp_eq_u32_e32 vcc, 42, v200
	s_waitcnt vmcnt(63) expcnt(7) lgkmcnt(15)
	s_barrier
	s_and_saveexec_b64 s[4:5], vcc
	s_cbranch_execz .LBB107_386
; %bb.380:
	ds_write2_b64 v201, v[40:41], v[42:43] offset1:1
	ds_write2_b64 v202, v[36:37], v[38:39] offset0:86 offset1:87
	ds_write2_b64 v202, v[32:33], v[34:35] offset0:88 offset1:89
	;; [unrolled: 1-line block ×4, first 2 shown]
	s_waitcnt vmcnt(62)
	ds_write2_b64 v202, v[20:21], v[22:23] offset0:94 offset1:95
	s_waitcnt vmcnt(61)
	ds_write2_b64 v202, v[16:17], v[18:19] offset0:96 offset1:97
	ds_write2_b64 v202, v[12:13], v[14:15] offset0:98 offset1:99
	;; [unrolled: 1-line block ×4, first 2 shown]
	s_waitcnt vmcnt(60)
	ds_write2_b64 v202, v[0:1], v[2:3] offset0:104 offset1:105
	s_waitcnt vmcnt(57)
	ds_write2_b64 v202, v[212:213], v[214:215] offset0:106 offset1:107
	ds_read2_b64 v[208:211], v201 offset1:1
	s_waitcnt lgkmcnt(0)
	v_cmp_neq_f64_e32 vcc, 0, v[208:209]
	v_cmp_neq_f64_e64 s[2:3], 0, v[210:211]
	s_or_b64 s[2:3], vcc, s[2:3]
	s_and_b64 exec, exec, s[2:3]
	s_cbranch_execz .LBB107_386
; %bb.381:
	v_cmp_ngt_f64_e64 s[2:3], |v[208:209]|, |v[210:211]|
                                        ; implicit-def: $vgpr204_vgpr205
	s_and_saveexec_b64 s[10:11], s[2:3]
	s_xor_b64 s[2:3], exec, s[10:11]
                                        ; implicit-def: $vgpr206_vgpr207
	s_cbranch_execz .LBB107_383
; %bb.382:
	v_div_scale_f64 v[204:205], s[10:11], v[210:211], v[210:211], v[208:209]
	v_rcp_f64_e32 v[206:207], v[204:205]
	v_div_scale_f64 v[216:217], vcc, v[208:209], v[210:211], v[208:209]
	v_fma_f64 v[218:219], -v[204:205], v[206:207], 1.0
	v_fmac_f64_e32 v[206:207], v[206:207], v[218:219]
	v_fma_f64 v[218:219], -v[204:205], v[206:207], 1.0
	v_fmac_f64_e32 v[206:207], v[206:207], v[218:219]
	v_mul_f64 v[218:219], v[216:217], v[206:207]
	v_fma_f64 v[204:205], -v[204:205], v[218:219], v[216:217]
	v_div_fmas_f64 v[204:205], v[204:205], v[206:207], v[218:219]
	v_div_fixup_f64 v[204:205], v[204:205], v[210:211], v[208:209]
	v_fmac_f64_e32 v[210:211], v[208:209], v[204:205]
	v_div_scale_f64 v[206:207], s[10:11], v[210:211], v[210:211], 1.0
	v_rcp_f64_e32 v[208:209], v[206:207]
	s_nop 0
	v_fma_f64 v[216:217], -v[206:207], v[208:209], 1.0
	v_fmac_f64_e32 v[208:209], v[208:209], v[216:217]
	v_fma_f64 v[216:217], -v[206:207], v[208:209], 1.0
	v_fmac_f64_e32 v[208:209], v[208:209], v[216:217]
	v_div_scale_f64 v[216:217], vcc, 1.0, v[210:211], 1.0
	v_mul_f64 v[218:219], v[216:217], v[208:209]
	v_fma_f64 v[206:207], -v[206:207], v[218:219], v[216:217]
	s_nop 1
	v_div_fmas_f64 v[206:207], v[206:207], v[208:209], v[218:219]
	v_div_fixup_f64 v[206:207], v[206:207], v[210:211], 1.0
	v_mul_f64 v[204:205], v[204:205], v[206:207]
	v_xor_b32_e32 v207, 0x80000000, v207
                                        ; implicit-def: $vgpr208_vgpr209
.LBB107_383:
	s_andn2_saveexec_b64 s[2:3], s[2:3]
	s_cbranch_execz .LBB107_385
; %bb.384:
	v_div_scale_f64 v[204:205], s[10:11], v[208:209], v[208:209], v[210:211]
	v_rcp_f64_e32 v[206:207], v[204:205]
	v_div_scale_f64 v[216:217], vcc, v[210:211], v[208:209], v[210:211]
	v_fma_f64 v[218:219], -v[204:205], v[206:207], 1.0
	v_fmac_f64_e32 v[206:207], v[206:207], v[218:219]
	v_fma_f64 v[218:219], -v[204:205], v[206:207], 1.0
	v_fmac_f64_e32 v[206:207], v[206:207], v[218:219]
	v_mul_f64 v[218:219], v[216:217], v[206:207]
	v_fma_f64 v[204:205], -v[204:205], v[218:219], v[216:217]
	v_div_fmas_f64 v[204:205], v[204:205], v[206:207], v[218:219]
	v_div_fixup_f64 v[206:207], v[204:205], v[208:209], v[210:211]
	v_fmac_f64_e32 v[208:209], v[210:211], v[206:207]
	v_div_scale_f64 v[204:205], s[10:11], v[208:209], v[208:209], 1.0
	v_rcp_f64_e32 v[210:211], v[204:205]
	s_nop 0
	v_fma_f64 v[216:217], -v[204:205], v[210:211], 1.0
	v_fmac_f64_e32 v[210:211], v[210:211], v[216:217]
	v_fma_f64 v[216:217], -v[204:205], v[210:211], 1.0
	v_fmac_f64_e32 v[210:211], v[210:211], v[216:217]
	v_div_scale_f64 v[216:217], vcc, 1.0, v[208:209], 1.0
	v_mul_f64 v[218:219], v[216:217], v[210:211]
	v_fma_f64 v[204:205], -v[204:205], v[218:219], v[216:217]
	s_nop 1
	v_div_fmas_f64 v[204:205], v[204:205], v[210:211], v[218:219]
	v_div_fixup_f64 v[204:205], v[204:205], v[208:209], 1.0
	v_mul_f64 v[206:207], v[206:207], -v[204:205]
.LBB107_385:
	s_or_b64 exec, exec, s[2:3]
	ds_write2_b64 v201, v[204:205], v[206:207] offset1:1
.LBB107_386:
	s_or_b64 exec, exec, s[4:5]
	s_waitcnt lgkmcnt(0)
	s_barrier
	ds_read2_b64 v[228:231], v201 offset1:1
	v_cmp_lt_u32_e32 vcc, 42, v200
	s_and_saveexec_b64 s[2:3], vcc
	s_cbranch_execz .LBB107_388
; %bb.387:
	ds_read2_b64 v[204:207], v202 offset0:86 offset1:87
	s_waitcnt lgkmcnt(1)
	v_mul_f64 v[208:209], v[228:229], v[42:43]
	v_fmac_f64_e32 v[208:209], v[230:231], v[40:41]
	v_mul_f64 v[42:43], v[230:231], v[42:43]
	v_fma_f64 v[40:41], v[228:229], v[40:41], -v[42:43]
	s_waitcnt lgkmcnt(0)
	v_mul_f64 v[42:43], v[206:207], v[208:209]
	v_fma_f64 v[42:43], v[204:205], v[40:41], -v[42:43]
	v_mul_f64 v[204:205], v[204:205], v[208:209]
	v_fmac_f64_e32 v[204:205], v[206:207], v[40:41]
	v_add_f64 v[38:39], v[38:39], -v[204:205]
	ds_read2_b64 v[204:207], v202 offset0:88 offset1:89
	v_add_f64 v[36:37], v[36:37], -v[42:43]
	s_waitcnt lgkmcnt(0)
	v_mul_f64 v[42:43], v[206:207], v[208:209]
	v_fma_f64 v[42:43], v[204:205], v[40:41], -v[42:43]
	v_mul_f64 v[204:205], v[204:205], v[208:209]
	v_fmac_f64_e32 v[204:205], v[206:207], v[40:41]
	v_add_f64 v[34:35], v[34:35], -v[204:205]
	ds_read2_b64 v[204:207], v202 offset0:90 offset1:91
	v_add_f64 v[32:33], v[32:33], -v[42:43]
	;; [unrolled: 8-line block ×4, first 2 shown]
	s_waitcnt lgkmcnt(0)
	v_mul_f64 v[42:43], v[206:207], v[208:209]
	v_fma_f64 v[42:43], v[204:205], v[40:41], -v[42:43]
	v_mul_f64 v[204:205], v[204:205], v[208:209]
	v_fmac_f64_e32 v[204:205], v[206:207], v[40:41]
	s_waitcnt vmcnt(62)
	v_add_f64 v[22:23], v[22:23], -v[204:205]
	ds_read2_b64 v[204:207], v202 offset0:96 offset1:97
	v_add_f64 v[20:21], v[20:21], -v[42:43]
	s_waitcnt lgkmcnt(0)
	v_mul_f64 v[42:43], v[206:207], v[208:209]
	v_fma_f64 v[42:43], v[204:205], v[40:41], -v[42:43]
	v_mul_f64 v[204:205], v[204:205], v[208:209]
	v_fmac_f64_e32 v[204:205], v[206:207], v[40:41]
	s_waitcnt vmcnt(61)
	v_add_f64 v[18:19], v[18:19], -v[204:205]
	ds_read2_b64 v[204:207], v202 offset0:98 offset1:99
	v_add_f64 v[16:17], v[16:17], -v[42:43]
	s_waitcnt lgkmcnt(0)
	v_mul_f64 v[42:43], v[206:207], v[208:209]
	v_fma_f64 v[42:43], v[204:205], v[40:41], -v[42:43]
	v_mul_f64 v[204:205], v[204:205], v[208:209]
	v_fmac_f64_e32 v[204:205], v[206:207], v[40:41]
	v_add_f64 v[14:15], v[14:15], -v[204:205]
	ds_read2_b64 v[204:207], v202 offset0:100 offset1:101
	v_add_f64 v[12:13], v[12:13], -v[42:43]
	s_waitcnt lgkmcnt(0)
	v_mul_f64 v[42:43], v[206:207], v[208:209]
	v_fma_f64 v[42:43], v[204:205], v[40:41], -v[42:43]
	v_mul_f64 v[204:205], v[204:205], v[208:209]
	v_fmac_f64_e32 v[204:205], v[206:207], v[40:41]
	;; [unrolled: 8-line block ×4, first 2 shown]
	s_waitcnt vmcnt(60)
	v_add_f64 v[2:3], v[2:3], -v[204:205]
	ds_read2_b64 v[204:207], v202 offset0:106 offset1:107
	v_add_f64 v[0:1], v[0:1], -v[42:43]
	s_waitcnt lgkmcnt(0)
	v_mul_f64 v[42:43], v[206:207], v[208:209]
	v_fma_f64 v[42:43], v[204:205], v[40:41], -v[42:43]
	v_mul_f64 v[204:205], v[204:205], v[208:209]
	v_fmac_f64_e32 v[204:205], v[206:207], v[40:41]
	s_waitcnt vmcnt(57)
	v_add_f64 v[212:213], v[212:213], -v[42:43]
	v_add_f64 v[214:215], v[214:215], -v[204:205]
	v_mov_b64_e32 v[42:43], v[208:209]
.LBB107_388:
	s_or_b64 exec, exec, s[2:3]
	v_cmp_eq_u32_e32 vcc, 43, v200
	s_waitcnt lgkmcnt(0)
	s_barrier
	s_and_saveexec_b64 s[4:5], vcc
	s_cbranch_execz .LBB107_395
; %bb.389:
	ds_write2_b64 v201, v[36:37], v[38:39] offset1:1
	ds_write2_b64 v202, v[32:33], v[34:35] offset0:88 offset1:89
	ds_write2_b64 v202, v[28:29], v[30:31] offset0:90 offset1:91
	;; [unrolled: 1-line block ×3, first 2 shown]
	s_waitcnt vmcnt(62)
	ds_write2_b64 v202, v[20:21], v[22:23] offset0:94 offset1:95
	s_waitcnt vmcnt(61)
	ds_write2_b64 v202, v[16:17], v[18:19] offset0:96 offset1:97
	ds_write2_b64 v202, v[12:13], v[14:15] offset0:98 offset1:99
	;; [unrolled: 1-line block ×4, first 2 shown]
	s_waitcnt vmcnt(60)
	ds_write2_b64 v202, v[0:1], v[2:3] offset0:104 offset1:105
	s_waitcnt vmcnt(57)
	ds_write2_b64 v202, v[212:213], v[214:215] offset0:106 offset1:107
	ds_read2_b64 v[208:211], v201 offset1:1
	s_waitcnt lgkmcnt(0)
	v_cmp_neq_f64_e32 vcc, 0, v[208:209]
	v_cmp_neq_f64_e64 s[2:3], 0, v[210:211]
	s_or_b64 s[2:3], vcc, s[2:3]
	s_and_b64 exec, exec, s[2:3]
	s_cbranch_execz .LBB107_395
; %bb.390:
	v_cmp_ngt_f64_e64 s[2:3], |v[208:209]|, |v[210:211]|
                                        ; implicit-def: $vgpr204_vgpr205
	s_and_saveexec_b64 s[10:11], s[2:3]
	s_xor_b64 s[2:3], exec, s[10:11]
                                        ; implicit-def: $vgpr206_vgpr207
	s_cbranch_execz .LBB107_392
; %bb.391:
	v_div_scale_f64 v[204:205], s[10:11], v[210:211], v[210:211], v[208:209]
	v_rcp_f64_e32 v[206:207], v[204:205]
	v_div_scale_f64 v[216:217], vcc, v[208:209], v[210:211], v[208:209]
	v_fma_f64 v[218:219], -v[204:205], v[206:207], 1.0
	v_fmac_f64_e32 v[206:207], v[206:207], v[218:219]
	v_fma_f64 v[218:219], -v[204:205], v[206:207], 1.0
	v_fmac_f64_e32 v[206:207], v[206:207], v[218:219]
	v_mul_f64 v[218:219], v[216:217], v[206:207]
	v_fma_f64 v[204:205], -v[204:205], v[218:219], v[216:217]
	v_div_fmas_f64 v[204:205], v[204:205], v[206:207], v[218:219]
	v_div_fixup_f64 v[204:205], v[204:205], v[210:211], v[208:209]
	v_fmac_f64_e32 v[210:211], v[208:209], v[204:205]
	v_div_scale_f64 v[206:207], s[10:11], v[210:211], v[210:211], 1.0
	v_rcp_f64_e32 v[208:209], v[206:207]
	s_nop 0
	v_fma_f64 v[216:217], -v[206:207], v[208:209], 1.0
	v_fmac_f64_e32 v[208:209], v[208:209], v[216:217]
	v_fma_f64 v[216:217], -v[206:207], v[208:209], 1.0
	v_fmac_f64_e32 v[208:209], v[208:209], v[216:217]
	v_div_scale_f64 v[216:217], vcc, 1.0, v[210:211], 1.0
	v_mul_f64 v[218:219], v[216:217], v[208:209]
	v_fma_f64 v[206:207], -v[206:207], v[218:219], v[216:217]
	s_nop 1
	v_div_fmas_f64 v[206:207], v[206:207], v[208:209], v[218:219]
	v_div_fixup_f64 v[206:207], v[206:207], v[210:211], 1.0
	v_mul_f64 v[204:205], v[204:205], v[206:207]
	v_xor_b32_e32 v207, 0x80000000, v207
                                        ; implicit-def: $vgpr208_vgpr209
.LBB107_392:
	s_andn2_saveexec_b64 s[2:3], s[2:3]
	s_cbranch_execz .LBB107_394
; %bb.393:
	v_div_scale_f64 v[204:205], s[10:11], v[208:209], v[208:209], v[210:211]
	v_rcp_f64_e32 v[206:207], v[204:205]
	v_div_scale_f64 v[216:217], vcc, v[210:211], v[208:209], v[210:211]
	v_fma_f64 v[218:219], -v[204:205], v[206:207], 1.0
	v_fmac_f64_e32 v[206:207], v[206:207], v[218:219]
	v_fma_f64 v[218:219], -v[204:205], v[206:207], 1.0
	v_fmac_f64_e32 v[206:207], v[206:207], v[218:219]
	v_mul_f64 v[218:219], v[216:217], v[206:207]
	v_fma_f64 v[204:205], -v[204:205], v[218:219], v[216:217]
	v_div_fmas_f64 v[204:205], v[204:205], v[206:207], v[218:219]
	v_div_fixup_f64 v[206:207], v[204:205], v[208:209], v[210:211]
	v_fmac_f64_e32 v[208:209], v[210:211], v[206:207]
	v_div_scale_f64 v[204:205], s[10:11], v[208:209], v[208:209], 1.0
	v_rcp_f64_e32 v[210:211], v[204:205]
	s_nop 0
	v_fma_f64 v[216:217], -v[204:205], v[210:211], 1.0
	v_fmac_f64_e32 v[210:211], v[210:211], v[216:217]
	v_fma_f64 v[216:217], -v[204:205], v[210:211], 1.0
	v_fmac_f64_e32 v[210:211], v[210:211], v[216:217]
	v_div_scale_f64 v[216:217], vcc, 1.0, v[208:209], 1.0
	v_mul_f64 v[218:219], v[216:217], v[210:211]
	v_fma_f64 v[204:205], -v[204:205], v[218:219], v[216:217]
	s_nop 1
	v_div_fmas_f64 v[204:205], v[204:205], v[210:211], v[218:219]
	v_div_fixup_f64 v[204:205], v[204:205], v[208:209], 1.0
	v_mul_f64 v[206:207], v[206:207], -v[204:205]
.LBB107_394:
	s_or_b64 exec, exec, s[2:3]
	ds_write2_b64 v201, v[204:205], v[206:207] offset1:1
.LBB107_395:
	s_or_b64 exec, exec, s[4:5]
	s_waitcnt lgkmcnt(0)
	s_barrier
	ds_read2_b64 v[232:235], v201 offset1:1
	v_cmp_lt_u32_e32 vcc, 43, v200
	s_and_saveexec_b64 s[2:3], vcc
	s_cbranch_execz .LBB107_397
; %bb.396:
	ds_read2_b64 v[204:207], v202 offset0:88 offset1:89
	s_waitcnt lgkmcnt(1)
	v_mul_f64 v[208:209], v[232:233], v[38:39]
	v_fmac_f64_e32 v[208:209], v[234:235], v[36:37]
	v_mul_f64 v[38:39], v[234:235], v[38:39]
	v_fma_f64 v[36:37], v[232:233], v[36:37], -v[38:39]
	s_waitcnt lgkmcnt(0)
	v_mul_f64 v[38:39], v[206:207], v[208:209]
	v_fma_f64 v[38:39], v[204:205], v[36:37], -v[38:39]
	v_mul_f64 v[204:205], v[204:205], v[208:209]
	v_fmac_f64_e32 v[204:205], v[206:207], v[36:37]
	v_add_f64 v[34:35], v[34:35], -v[204:205]
	ds_read2_b64 v[204:207], v202 offset0:90 offset1:91
	v_add_f64 v[32:33], v[32:33], -v[38:39]
	s_waitcnt lgkmcnt(0)
	v_mul_f64 v[38:39], v[206:207], v[208:209]
	v_fma_f64 v[38:39], v[204:205], v[36:37], -v[38:39]
	v_mul_f64 v[204:205], v[204:205], v[208:209]
	v_fmac_f64_e32 v[204:205], v[206:207], v[36:37]
	v_add_f64 v[30:31], v[30:31], -v[204:205]
	ds_read2_b64 v[204:207], v202 offset0:92 offset1:93
	v_add_f64 v[28:29], v[28:29], -v[38:39]
	;; [unrolled: 8-line block ×3, first 2 shown]
	s_waitcnt lgkmcnt(0)
	v_mul_f64 v[38:39], v[206:207], v[208:209]
	v_fma_f64 v[38:39], v[204:205], v[36:37], -v[38:39]
	v_mul_f64 v[204:205], v[204:205], v[208:209]
	v_fmac_f64_e32 v[204:205], v[206:207], v[36:37]
	s_waitcnt vmcnt(62)
	v_add_f64 v[22:23], v[22:23], -v[204:205]
	ds_read2_b64 v[204:207], v202 offset0:96 offset1:97
	v_add_f64 v[20:21], v[20:21], -v[38:39]
	s_waitcnt lgkmcnt(0)
	v_mul_f64 v[38:39], v[206:207], v[208:209]
	v_fma_f64 v[38:39], v[204:205], v[36:37], -v[38:39]
	v_mul_f64 v[204:205], v[204:205], v[208:209]
	v_fmac_f64_e32 v[204:205], v[206:207], v[36:37]
	s_waitcnt vmcnt(61)
	v_add_f64 v[18:19], v[18:19], -v[204:205]
	ds_read2_b64 v[204:207], v202 offset0:98 offset1:99
	v_add_f64 v[16:17], v[16:17], -v[38:39]
	s_waitcnt lgkmcnt(0)
	v_mul_f64 v[38:39], v[206:207], v[208:209]
	v_fma_f64 v[38:39], v[204:205], v[36:37], -v[38:39]
	v_mul_f64 v[204:205], v[204:205], v[208:209]
	v_fmac_f64_e32 v[204:205], v[206:207], v[36:37]
	v_add_f64 v[14:15], v[14:15], -v[204:205]
	ds_read2_b64 v[204:207], v202 offset0:100 offset1:101
	v_add_f64 v[12:13], v[12:13], -v[38:39]
	s_waitcnt lgkmcnt(0)
	v_mul_f64 v[38:39], v[206:207], v[208:209]
	v_fma_f64 v[38:39], v[204:205], v[36:37], -v[38:39]
	v_mul_f64 v[204:205], v[204:205], v[208:209]
	v_fmac_f64_e32 v[204:205], v[206:207], v[36:37]
	;; [unrolled: 8-line block ×4, first 2 shown]
	s_waitcnt vmcnt(60)
	v_add_f64 v[2:3], v[2:3], -v[204:205]
	ds_read2_b64 v[204:207], v202 offset0:106 offset1:107
	v_add_f64 v[0:1], v[0:1], -v[38:39]
	s_waitcnt lgkmcnt(0)
	v_mul_f64 v[38:39], v[206:207], v[208:209]
	v_fma_f64 v[38:39], v[204:205], v[36:37], -v[38:39]
	v_mul_f64 v[204:205], v[204:205], v[208:209]
	v_fmac_f64_e32 v[204:205], v[206:207], v[36:37]
	s_waitcnt vmcnt(57)
	v_add_f64 v[212:213], v[212:213], -v[38:39]
	v_add_f64 v[214:215], v[214:215], -v[204:205]
	v_mov_b64_e32 v[38:39], v[208:209]
.LBB107_397:
	s_or_b64 exec, exec, s[2:3]
	v_cmp_eq_u32_e32 vcc, 44, v200
	s_waitcnt lgkmcnt(0)
	s_barrier
	s_and_saveexec_b64 s[4:5], vcc
	s_cbranch_execz .LBB107_404
; %bb.398:
	ds_write2_b64 v201, v[32:33], v[34:35] offset1:1
	ds_write2_b64 v202, v[28:29], v[30:31] offset0:90 offset1:91
	ds_write2_b64 v202, v[24:25], v[26:27] offset0:92 offset1:93
	s_waitcnt vmcnt(62)
	ds_write2_b64 v202, v[20:21], v[22:23] offset0:94 offset1:95
	s_waitcnt vmcnt(61)
	ds_write2_b64 v202, v[16:17], v[18:19] offset0:96 offset1:97
	ds_write2_b64 v202, v[12:13], v[14:15] offset0:98 offset1:99
	;; [unrolled: 1-line block ×4, first 2 shown]
	s_waitcnt vmcnt(60)
	ds_write2_b64 v202, v[0:1], v[2:3] offset0:104 offset1:105
	s_waitcnt vmcnt(57)
	ds_write2_b64 v202, v[212:213], v[214:215] offset0:106 offset1:107
	ds_read2_b64 v[208:211], v201 offset1:1
	s_waitcnt lgkmcnt(0)
	v_cmp_neq_f64_e32 vcc, 0, v[208:209]
	v_cmp_neq_f64_e64 s[2:3], 0, v[210:211]
	s_or_b64 s[2:3], vcc, s[2:3]
	s_and_b64 exec, exec, s[2:3]
	s_cbranch_execz .LBB107_404
; %bb.399:
	v_cmp_ngt_f64_e64 s[2:3], |v[208:209]|, |v[210:211]|
                                        ; implicit-def: $vgpr204_vgpr205
	s_and_saveexec_b64 s[10:11], s[2:3]
	s_xor_b64 s[2:3], exec, s[10:11]
                                        ; implicit-def: $vgpr206_vgpr207
	s_cbranch_execz .LBB107_401
; %bb.400:
	v_div_scale_f64 v[204:205], s[10:11], v[210:211], v[210:211], v[208:209]
	v_rcp_f64_e32 v[206:207], v[204:205]
	v_div_scale_f64 v[216:217], vcc, v[208:209], v[210:211], v[208:209]
	v_fma_f64 v[218:219], -v[204:205], v[206:207], 1.0
	v_fmac_f64_e32 v[206:207], v[206:207], v[218:219]
	v_fma_f64 v[218:219], -v[204:205], v[206:207], 1.0
	v_fmac_f64_e32 v[206:207], v[206:207], v[218:219]
	v_mul_f64 v[218:219], v[216:217], v[206:207]
	v_fma_f64 v[204:205], -v[204:205], v[218:219], v[216:217]
	v_div_fmas_f64 v[204:205], v[204:205], v[206:207], v[218:219]
	v_div_fixup_f64 v[204:205], v[204:205], v[210:211], v[208:209]
	v_fmac_f64_e32 v[210:211], v[208:209], v[204:205]
	v_div_scale_f64 v[206:207], s[10:11], v[210:211], v[210:211], 1.0
	v_rcp_f64_e32 v[208:209], v[206:207]
	s_nop 0
	v_fma_f64 v[216:217], -v[206:207], v[208:209], 1.0
	v_fmac_f64_e32 v[208:209], v[208:209], v[216:217]
	v_fma_f64 v[216:217], -v[206:207], v[208:209], 1.0
	v_fmac_f64_e32 v[208:209], v[208:209], v[216:217]
	v_div_scale_f64 v[216:217], vcc, 1.0, v[210:211], 1.0
	v_mul_f64 v[218:219], v[216:217], v[208:209]
	v_fma_f64 v[206:207], -v[206:207], v[218:219], v[216:217]
	s_nop 1
	v_div_fmas_f64 v[206:207], v[206:207], v[208:209], v[218:219]
	v_div_fixup_f64 v[206:207], v[206:207], v[210:211], 1.0
	v_mul_f64 v[204:205], v[204:205], v[206:207]
	v_xor_b32_e32 v207, 0x80000000, v207
                                        ; implicit-def: $vgpr208_vgpr209
.LBB107_401:
	s_andn2_saveexec_b64 s[2:3], s[2:3]
	s_cbranch_execz .LBB107_403
; %bb.402:
	v_div_scale_f64 v[204:205], s[10:11], v[208:209], v[208:209], v[210:211]
	v_rcp_f64_e32 v[206:207], v[204:205]
	v_div_scale_f64 v[216:217], vcc, v[210:211], v[208:209], v[210:211]
	v_fma_f64 v[218:219], -v[204:205], v[206:207], 1.0
	v_fmac_f64_e32 v[206:207], v[206:207], v[218:219]
	v_fma_f64 v[218:219], -v[204:205], v[206:207], 1.0
	v_fmac_f64_e32 v[206:207], v[206:207], v[218:219]
	v_mul_f64 v[218:219], v[216:217], v[206:207]
	v_fma_f64 v[204:205], -v[204:205], v[218:219], v[216:217]
	v_div_fmas_f64 v[204:205], v[204:205], v[206:207], v[218:219]
	v_div_fixup_f64 v[206:207], v[204:205], v[208:209], v[210:211]
	v_fmac_f64_e32 v[208:209], v[210:211], v[206:207]
	v_div_scale_f64 v[204:205], s[10:11], v[208:209], v[208:209], 1.0
	v_rcp_f64_e32 v[210:211], v[204:205]
	s_nop 0
	v_fma_f64 v[216:217], -v[204:205], v[210:211], 1.0
	v_fmac_f64_e32 v[210:211], v[210:211], v[216:217]
	v_fma_f64 v[216:217], -v[204:205], v[210:211], 1.0
	v_fmac_f64_e32 v[210:211], v[210:211], v[216:217]
	v_div_scale_f64 v[216:217], vcc, 1.0, v[208:209], 1.0
	v_mul_f64 v[218:219], v[216:217], v[210:211]
	v_fma_f64 v[204:205], -v[204:205], v[218:219], v[216:217]
	s_nop 1
	v_div_fmas_f64 v[204:205], v[204:205], v[210:211], v[218:219]
	v_div_fixup_f64 v[204:205], v[204:205], v[208:209], 1.0
	v_mul_f64 v[206:207], v[206:207], -v[204:205]
.LBB107_403:
	s_or_b64 exec, exec, s[2:3]
	ds_write2_b64 v201, v[204:205], v[206:207] offset1:1
.LBB107_404:
	s_or_b64 exec, exec, s[4:5]
	s_waitcnt lgkmcnt(0)
	s_barrier
	ds_read2_b64 v[236:239], v201 offset1:1
	v_cmp_lt_u32_e32 vcc, 44, v200
	s_and_saveexec_b64 s[2:3], vcc
	s_cbranch_execz .LBB107_406
; %bb.405:
	ds_read2_b64 v[204:207], v202 offset0:90 offset1:91
	s_waitcnt lgkmcnt(1)
	v_mul_f64 v[208:209], v[236:237], v[34:35]
	v_fmac_f64_e32 v[208:209], v[238:239], v[32:33]
	v_mul_f64 v[34:35], v[238:239], v[34:35]
	v_fma_f64 v[32:33], v[236:237], v[32:33], -v[34:35]
	s_waitcnt lgkmcnt(0)
	v_mul_f64 v[34:35], v[206:207], v[208:209]
	v_fma_f64 v[34:35], v[204:205], v[32:33], -v[34:35]
	v_mul_f64 v[204:205], v[204:205], v[208:209]
	v_fmac_f64_e32 v[204:205], v[206:207], v[32:33]
	v_add_f64 v[30:31], v[30:31], -v[204:205]
	ds_read2_b64 v[204:207], v202 offset0:92 offset1:93
	v_add_f64 v[28:29], v[28:29], -v[34:35]
	s_waitcnt lgkmcnt(0)
	v_mul_f64 v[34:35], v[206:207], v[208:209]
	v_fma_f64 v[34:35], v[204:205], v[32:33], -v[34:35]
	v_mul_f64 v[204:205], v[204:205], v[208:209]
	v_fmac_f64_e32 v[204:205], v[206:207], v[32:33]
	v_add_f64 v[26:27], v[26:27], -v[204:205]
	ds_read2_b64 v[204:207], v202 offset0:94 offset1:95
	v_add_f64 v[24:25], v[24:25], -v[34:35]
	s_waitcnt lgkmcnt(0)
	v_mul_f64 v[34:35], v[206:207], v[208:209]
	v_fma_f64 v[34:35], v[204:205], v[32:33], -v[34:35]
	v_mul_f64 v[204:205], v[204:205], v[208:209]
	v_fmac_f64_e32 v[204:205], v[206:207], v[32:33]
	s_waitcnt vmcnt(62)
	v_add_f64 v[22:23], v[22:23], -v[204:205]
	ds_read2_b64 v[204:207], v202 offset0:96 offset1:97
	v_add_f64 v[20:21], v[20:21], -v[34:35]
	s_waitcnt lgkmcnt(0)
	v_mul_f64 v[34:35], v[206:207], v[208:209]
	v_fma_f64 v[34:35], v[204:205], v[32:33], -v[34:35]
	v_mul_f64 v[204:205], v[204:205], v[208:209]
	v_fmac_f64_e32 v[204:205], v[206:207], v[32:33]
	s_waitcnt vmcnt(61)
	v_add_f64 v[18:19], v[18:19], -v[204:205]
	ds_read2_b64 v[204:207], v202 offset0:98 offset1:99
	v_add_f64 v[16:17], v[16:17], -v[34:35]
	s_waitcnt lgkmcnt(0)
	v_mul_f64 v[34:35], v[206:207], v[208:209]
	v_fma_f64 v[34:35], v[204:205], v[32:33], -v[34:35]
	v_mul_f64 v[204:205], v[204:205], v[208:209]
	v_fmac_f64_e32 v[204:205], v[206:207], v[32:33]
	v_add_f64 v[14:15], v[14:15], -v[204:205]
	ds_read2_b64 v[204:207], v202 offset0:100 offset1:101
	v_add_f64 v[12:13], v[12:13], -v[34:35]
	s_waitcnt lgkmcnt(0)
	v_mul_f64 v[34:35], v[206:207], v[208:209]
	v_fma_f64 v[34:35], v[204:205], v[32:33], -v[34:35]
	v_mul_f64 v[204:205], v[204:205], v[208:209]
	v_fmac_f64_e32 v[204:205], v[206:207], v[32:33]
	;; [unrolled: 8-line block ×4, first 2 shown]
	s_waitcnt vmcnt(60)
	v_add_f64 v[2:3], v[2:3], -v[204:205]
	ds_read2_b64 v[204:207], v202 offset0:106 offset1:107
	v_add_f64 v[0:1], v[0:1], -v[34:35]
	s_waitcnt lgkmcnt(0)
	v_mul_f64 v[34:35], v[206:207], v[208:209]
	v_fma_f64 v[34:35], v[204:205], v[32:33], -v[34:35]
	v_mul_f64 v[204:205], v[204:205], v[208:209]
	v_fmac_f64_e32 v[204:205], v[206:207], v[32:33]
	s_waitcnt vmcnt(57)
	v_add_f64 v[212:213], v[212:213], -v[34:35]
	v_add_f64 v[214:215], v[214:215], -v[204:205]
	v_mov_b64_e32 v[34:35], v[208:209]
.LBB107_406:
	s_or_b64 exec, exec, s[2:3]
	v_cmp_eq_u32_e32 vcc, 45, v200
	s_waitcnt lgkmcnt(0)
	s_barrier
	s_and_saveexec_b64 s[4:5], vcc
	s_cbranch_execz .LBB107_413
; %bb.407:
	ds_write2_b64 v201, v[28:29], v[30:31] offset1:1
	ds_write2_b64 v202, v[24:25], v[26:27] offset0:92 offset1:93
	s_waitcnt vmcnt(62)
	ds_write2_b64 v202, v[20:21], v[22:23] offset0:94 offset1:95
	s_waitcnt vmcnt(61)
	ds_write2_b64 v202, v[16:17], v[18:19] offset0:96 offset1:97
	ds_write2_b64 v202, v[12:13], v[14:15] offset0:98 offset1:99
	;; [unrolled: 1-line block ×4, first 2 shown]
	s_waitcnt vmcnt(60)
	ds_write2_b64 v202, v[0:1], v[2:3] offset0:104 offset1:105
	s_waitcnt vmcnt(57)
	ds_write2_b64 v202, v[212:213], v[214:215] offset0:106 offset1:107
	ds_read2_b64 v[208:211], v201 offset1:1
	s_waitcnt lgkmcnt(0)
	v_cmp_neq_f64_e32 vcc, 0, v[208:209]
	v_cmp_neq_f64_e64 s[2:3], 0, v[210:211]
	s_or_b64 s[2:3], vcc, s[2:3]
	s_and_b64 exec, exec, s[2:3]
	s_cbranch_execz .LBB107_413
; %bb.408:
	v_cmp_ngt_f64_e64 s[2:3], |v[208:209]|, |v[210:211]|
                                        ; implicit-def: $vgpr204_vgpr205
	s_and_saveexec_b64 s[10:11], s[2:3]
	s_xor_b64 s[2:3], exec, s[10:11]
                                        ; implicit-def: $vgpr206_vgpr207
	s_cbranch_execz .LBB107_410
; %bb.409:
	v_div_scale_f64 v[204:205], s[10:11], v[210:211], v[210:211], v[208:209]
	v_rcp_f64_e32 v[206:207], v[204:205]
	v_div_scale_f64 v[216:217], vcc, v[208:209], v[210:211], v[208:209]
	v_fma_f64 v[218:219], -v[204:205], v[206:207], 1.0
	v_fmac_f64_e32 v[206:207], v[206:207], v[218:219]
	v_fma_f64 v[218:219], -v[204:205], v[206:207], 1.0
	v_fmac_f64_e32 v[206:207], v[206:207], v[218:219]
	v_mul_f64 v[218:219], v[216:217], v[206:207]
	v_fma_f64 v[204:205], -v[204:205], v[218:219], v[216:217]
	v_div_fmas_f64 v[204:205], v[204:205], v[206:207], v[218:219]
	v_div_fixup_f64 v[204:205], v[204:205], v[210:211], v[208:209]
	v_fmac_f64_e32 v[210:211], v[208:209], v[204:205]
	v_div_scale_f64 v[206:207], s[10:11], v[210:211], v[210:211], 1.0
	v_rcp_f64_e32 v[208:209], v[206:207]
	s_nop 0
	v_fma_f64 v[216:217], -v[206:207], v[208:209], 1.0
	v_fmac_f64_e32 v[208:209], v[208:209], v[216:217]
	v_fma_f64 v[216:217], -v[206:207], v[208:209], 1.0
	v_fmac_f64_e32 v[208:209], v[208:209], v[216:217]
	v_div_scale_f64 v[216:217], vcc, 1.0, v[210:211], 1.0
	v_mul_f64 v[218:219], v[216:217], v[208:209]
	v_fma_f64 v[206:207], -v[206:207], v[218:219], v[216:217]
	s_nop 1
	v_div_fmas_f64 v[206:207], v[206:207], v[208:209], v[218:219]
	v_div_fixup_f64 v[206:207], v[206:207], v[210:211], 1.0
	v_mul_f64 v[204:205], v[204:205], v[206:207]
	v_xor_b32_e32 v207, 0x80000000, v207
                                        ; implicit-def: $vgpr208_vgpr209
.LBB107_410:
	s_andn2_saveexec_b64 s[2:3], s[2:3]
	s_cbranch_execz .LBB107_412
; %bb.411:
	v_div_scale_f64 v[204:205], s[10:11], v[208:209], v[208:209], v[210:211]
	v_rcp_f64_e32 v[206:207], v[204:205]
	v_div_scale_f64 v[216:217], vcc, v[210:211], v[208:209], v[210:211]
	v_fma_f64 v[218:219], -v[204:205], v[206:207], 1.0
	v_fmac_f64_e32 v[206:207], v[206:207], v[218:219]
	v_fma_f64 v[218:219], -v[204:205], v[206:207], 1.0
	v_fmac_f64_e32 v[206:207], v[206:207], v[218:219]
	v_mul_f64 v[218:219], v[216:217], v[206:207]
	v_fma_f64 v[204:205], -v[204:205], v[218:219], v[216:217]
	v_div_fmas_f64 v[204:205], v[204:205], v[206:207], v[218:219]
	v_div_fixup_f64 v[206:207], v[204:205], v[208:209], v[210:211]
	v_fmac_f64_e32 v[208:209], v[210:211], v[206:207]
	v_div_scale_f64 v[204:205], s[10:11], v[208:209], v[208:209], 1.0
	v_rcp_f64_e32 v[210:211], v[204:205]
	s_nop 0
	v_fma_f64 v[216:217], -v[204:205], v[210:211], 1.0
	v_fmac_f64_e32 v[210:211], v[210:211], v[216:217]
	v_fma_f64 v[216:217], -v[204:205], v[210:211], 1.0
	v_fmac_f64_e32 v[210:211], v[210:211], v[216:217]
	v_div_scale_f64 v[216:217], vcc, 1.0, v[208:209], 1.0
	v_mul_f64 v[218:219], v[216:217], v[210:211]
	v_fma_f64 v[204:205], -v[204:205], v[218:219], v[216:217]
	s_nop 1
	v_div_fmas_f64 v[204:205], v[204:205], v[210:211], v[218:219]
	v_div_fixup_f64 v[204:205], v[204:205], v[208:209], 1.0
	v_mul_f64 v[206:207], v[206:207], -v[204:205]
.LBB107_412:
	s_or_b64 exec, exec, s[2:3]
	ds_write2_b64 v201, v[204:205], v[206:207] offset1:1
.LBB107_413:
	s_or_b64 exec, exec, s[4:5]
	s_waitcnt lgkmcnt(0)
	s_barrier
	ds_read2_b64 v[240:243], v201 offset1:1
	v_cmp_lt_u32_e32 vcc, 45, v200
	s_and_saveexec_b64 s[2:3], vcc
	s_cbranch_execz .LBB107_415
; %bb.414:
	ds_read2_b64 v[204:207], v202 offset0:92 offset1:93
	s_waitcnt lgkmcnt(1)
	v_mul_f64 v[208:209], v[240:241], v[30:31]
	v_fmac_f64_e32 v[208:209], v[242:243], v[28:29]
	v_mul_f64 v[30:31], v[242:243], v[30:31]
	v_fma_f64 v[28:29], v[240:241], v[28:29], -v[30:31]
	s_waitcnt lgkmcnt(0)
	v_mul_f64 v[30:31], v[206:207], v[208:209]
	v_fma_f64 v[30:31], v[204:205], v[28:29], -v[30:31]
	v_mul_f64 v[204:205], v[204:205], v[208:209]
	v_fmac_f64_e32 v[204:205], v[206:207], v[28:29]
	v_add_f64 v[26:27], v[26:27], -v[204:205]
	ds_read2_b64 v[204:207], v202 offset0:94 offset1:95
	v_add_f64 v[24:25], v[24:25], -v[30:31]
	s_waitcnt lgkmcnt(0)
	v_mul_f64 v[30:31], v[206:207], v[208:209]
	v_fma_f64 v[30:31], v[204:205], v[28:29], -v[30:31]
	v_mul_f64 v[204:205], v[204:205], v[208:209]
	v_fmac_f64_e32 v[204:205], v[206:207], v[28:29]
	s_waitcnt vmcnt(62)
	v_add_f64 v[22:23], v[22:23], -v[204:205]
	ds_read2_b64 v[204:207], v202 offset0:96 offset1:97
	v_add_f64 v[20:21], v[20:21], -v[30:31]
	s_waitcnt lgkmcnt(0)
	v_mul_f64 v[30:31], v[206:207], v[208:209]
	v_fma_f64 v[30:31], v[204:205], v[28:29], -v[30:31]
	v_mul_f64 v[204:205], v[204:205], v[208:209]
	v_fmac_f64_e32 v[204:205], v[206:207], v[28:29]
	s_waitcnt vmcnt(61)
	v_add_f64 v[18:19], v[18:19], -v[204:205]
	ds_read2_b64 v[204:207], v202 offset0:98 offset1:99
	v_add_f64 v[16:17], v[16:17], -v[30:31]
	s_waitcnt lgkmcnt(0)
	v_mul_f64 v[30:31], v[206:207], v[208:209]
	v_fma_f64 v[30:31], v[204:205], v[28:29], -v[30:31]
	v_mul_f64 v[204:205], v[204:205], v[208:209]
	v_fmac_f64_e32 v[204:205], v[206:207], v[28:29]
	v_add_f64 v[14:15], v[14:15], -v[204:205]
	ds_read2_b64 v[204:207], v202 offset0:100 offset1:101
	v_add_f64 v[12:13], v[12:13], -v[30:31]
	s_waitcnt lgkmcnt(0)
	v_mul_f64 v[30:31], v[206:207], v[208:209]
	v_fma_f64 v[30:31], v[204:205], v[28:29], -v[30:31]
	v_mul_f64 v[204:205], v[204:205], v[208:209]
	v_fmac_f64_e32 v[204:205], v[206:207], v[28:29]
	v_add_f64 v[10:11], v[10:11], -v[204:205]
	ds_read2_b64 v[204:207], v202 offset0:102 offset1:103
	v_add_f64 v[8:9], v[8:9], -v[30:31]
	s_waitcnt lgkmcnt(0)
	v_mul_f64 v[30:31], v[206:207], v[208:209]
	v_fma_f64 v[30:31], v[204:205], v[28:29], -v[30:31]
	v_mul_f64 v[204:205], v[204:205], v[208:209]
	v_fmac_f64_e32 v[204:205], v[206:207], v[28:29]
	v_add_f64 v[6:7], v[6:7], -v[204:205]
	ds_read2_b64 v[204:207], v202 offset0:104 offset1:105
	v_add_f64 v[4:5], v[4:5], -v[30:31]
	s_waitcnt lgkmcnt(0)
	v_mul_f64 v[30:31], v[206:207], v[208:209]
	v_fma_f64 v[30:31], v[204:205], v[28:29], -v[30:31]
	v_mul_f64 v[204:205], v[204:205], v[208:209]
	v_fmac_f64_e32 v[204:205], v[206:207], v[28:29]
	s_waitcnt vmcnt(60)
	v_add_f64 v[2:3], v[2:3], -v[204:205]
	ds_read2_b64 v[204:207], v202 offset0:106 offset1:107
	v_add_f64 v[0:1], v[0:1], -v[30:31]
	s_waitcnt lgkmcnt(0)
	v_mul_f64 v[30:31], v[206:207], v[208:209]
	v_fma_f64 v[30:31], v[204:205], v[28:29], -v[30:31]
	v_mul_f64 v[204:205], v[204:205], v[208:209]
	v_fmac_f64_e32 v[204:205], v[206:207], v[28:29]
	s_waitcnt vmcnt(57)
	v_add_f64 v[212:213], v[212:213], -v[30:31]
	v_add_f64 v[214:215], v[214:215], -v[204:205]
	v_mov_b64_e32 v[30:31], v[208:209]
.LBB107_415:
	s_or_b64 exec, exec, s[2:3]
	v_cmp_eq_u32_e32 vcc, 46, v200
	s_waitcnt lgkmcnt(0)
	s_barrier
	s_and_saveexec_b64 s[4:5], vcc
	s_cbranch_execz .LBB107_422
; %bb.416:
	ds_write2_b64 v201, v[24:25], v[26:27] offset1:1
	s_waitcnt vmcnt(62)
	ds_write2_b64 v202, v[20:21], v[22:23] offset0:94 offset1:95
	s_waitcnt vmcnt(61)
	ds_write2_b64 v202, v[16:17], v[18:19] offset0:96 offset1:97
	ds_write2_b64 v202, v[12:13], v[14:15] offset0:98 offset1:99
	;; [unrolled: 1-line block ×4, first 2 shown]
	s_waitcnt vmcnt(60)
	ds_write2_b64 v202, v[0:1], v[2:3] offset0:104 offset1:105
	s_waitcnt vmcnt(57)
	ds_write2_b64 v202, v[212:213], v[214:215] offset0:106 offset1:107
	ds_read2_b64 v[208:211], v201 offset1:1
	s_waitcnt lgkmcnt(0)
	v_cmp_neq_f64_e32 vcc, 0, v[208:209]
	v_cmp_neq_f64_e64 s[2:3], 0, v[210:211]
	s_or_b64 s[2:3], vcc, s[2:3]
	s_and_b64 exec, exec, s[2:3]
	s_cbranch_execz .LBB107_422
; %bb.417:
	v_cmp_ngt_f64_e64 s[2:3], |v[208:209]|, |v[210:211]|
                                        ; implicit-def: $vgpr204_vgpr205
	s_and_saveexec_b64 s[10:11], s[2:3]
	s_xor_b64 s[2:3], exec, s[10:11]
                                        ; implicit-def: $vgpr206_vgpr207
	s_cbranch_execz .LBB107_419
; %bb.418:
	v_div_scale_f64 v[204:205], s[10:11], v[210:211], v[210:211], v[208:209]
	v_rcp_f64_e32 v[206:207], v[204:205]
	v_div_scale_f64 v[216:217], vcc, v[208:209], v[210:211], v[208:209]
	v_fma_f64 v[218:219], -v[204:205], v[206:207], 1.0
	v_fmac_f64_e32 v[206:207], v[206:207], v[218:219]
	v_fma_f64 v[218:219], -v[204:205], v[206:207], 1.0
	v_fmac_f64_e32 v[206:207], v[206:207], v[218:219]
	v_mul_f64 v[218:219], v[216:217], v[206:207]
	v_fma_f64 v[204:205], -v[204:205], v[218:219], v[216:217]
	v_div_fmas_f64 v[204:205], v[204:205], v[206:207], v[218:219]
	v_div_fixup_f64 v[204:205], v[204:205], v[210:211], v[208:209]
	v_fmac_f64_e32 v[210:211], v[208:209], v[204:205]
	v_div_scale_f64 v[206:207], s[10:11], v[210:211], v[210:211], 1.0
	v_rcp_f64_e32 v[208:209], v[206:207]
	s_nop 0
	v_fma_f64 v[216:217], -v[206:207], v[208:209], 1.0
	v_fmac_f64_e32 v[208:209], v[208:209], v[216:217]
	v_fma_f64 v[216:217], -v[206:207], v[208:209], 1.0
	v_fmac_f64_e32 v[208:209], v[208:209], v[216:217]
	v_div_scale_f64 v[216:217], vcc, 1.0, v[210:211], 1.0
	v_mul_f64 v[218:219], v[216:217], v[208:209]
	v_fma_f64 v[206:207], -v[206:207], v[218:219], v[216:217]
	s_nop 1
	v_div_fmas_f64 v[206:207], v[206:207], v[208:209], v[218:219]
	v_div_fixup_f64 v[206:207], v[206:207], v[210:211], 1.0
	v_mul_f64 v[204:205], v[204:205], v[206:207]
	v_xor_b32_e32 v207, 0x80000000, v207
                                        ; implicit-def: $vgpr208_vgpr209
.LBB107_419:
	s_andn2_saveexec_b64 s[2:3], s[2:3]
	s_cbranch_execz .LBB107_421
; %bb.420:
	v_div_scale_f64 v[204:205], s[10:11], v[208:209], v[208:209], v[210:211]
	v_rcp_f64_e32 v[206:207], v[204:205]
	v_div_scale_f64 v[216:217], vcc, v[210:211], v[208:209], v[210:211]
	v_fma_f64 v[218:219], -v[204:205], v[206:207], 1.0
	v_fmac_f64_e32 v[206:207], v[206:207], v[218:219]
	v_fma_f64 v[218:219], -v[204:205], v[206:207], 1.0
	v_fmac_f64_e32 v[206:207], v[206:207], v[218:219]
	v_mul_f64 v[218:219], v[216:217], v[206:207]
	v_fma_f64 v[204:205], -v[204:205], v[218:219], v[216:217]
	v_div_fmas_f64 v[204:205], v[204:205], v[206:207], v[218:219]
	v_div_fixup_f64 v[206:207], v[204:205], v[208:209], v[210:211]
	v_fmac_f64_e32 v[208:209], v[210:211], v[206:207]
	v_div_scale_f64 v[204:205], s[10:11], v[208:209], v[208:209], 1.0
	v_rcp_f64_e32 v[210:211], v[204:205]
	s_nop 0
	v_fma_f64 v[216:217], -v[204:205], v[210:211], 1.0
	v_fmac_f64_e32 v[210:211], v[210:211], v[216:217]
	v_fma_f64 v[216:217], -v[204:205], v[210:211], 1.0
	v_fmac_f64_e32 v[210:211], v[210:211], v[216:217]
	v_div_scale_f64 v[216:217], vcc, 1.0, v[208:209], 1.0
	v_mul_f64 v[218:219], v[216:217], v[210:211]
	v_fma_f64 v[204:205], -v[204:205], v[218:219], v[216:217]
	s_nop 1
	v_div_fmas_f64 v[204:205], v[204:205], v[210:211], v[218:219]
	v_div_fixup_f64 v[204:205], v[204:205], v[208:209], 1.0
	v_mul_f64 v[206:207], v[206:207], -v[204:205]
.LBB107_421:
	s_or_b64 exec, exec, s[2:3]
	ds_write2_b64 v201, v[204:205], v[206:207] offset1:1
.LBB107_422:
	s_or_b64 exec, exec, s[4:5]
	s_waitcnt lgkmcnt(0)
	s_barrier
	ds_read2_b64 v[192:195], v201 offset1:1
	v_cmp_lt_u32_e32 vcc, 46, v200
	s_waitcnt lgkmcnt(0)
	scratch_store_dwordx4 off, v[192:195], off offset:1168 ; 16-byte Folded Spill
	s_and_saveexec_b64 s[2:3], vcc
	s_cbranch_execz .LBB107_424
; %bb.423:
	scratch_load_dwordx4 v[192:195], off, off offset:1168 ; 16-byte Folded Reload
	ds_read2_b64 v[204:207], v202 offset0:94 offset1:95
	s_waitcnt vmcnt(0)
	v_mul_f64 v[208:209], v[192:193], v[26:27]
	v_fmac_f64_e32 v[208:209], v[194:195], v[24:25]
	v_mul_f64 v[26:27], v[194:195], v[26:27]
	v_fma_f64 v[24:25], v[192:193], v[24:25], -v[26:27]
	s_waitcnt lgkmcnt(0)
	v_mul_f64 v[26:27], v[206:207], v[208:209]
	v_fma_f64 v[26:27], v[204:205], v[24:25], -v[26:27]
	v_mul_f64 v[204:205], v[204:205], v[208:209]
	v_fmac_f64_e32 v[204:205], v[206:207], v[24:25]
	v_add_f64 v[22:23], v[22:23], -v[204:205]
	ds_read2_b64 v[204:207], v202 offset0:96 offset1:97
	v_add_f64 v[20:21], v[20:21], -v[26:27]
	s_waitcnt lgkmcnt(0)
	v_mul_f64 v[26:27], v[206:207], v[208:209]
	v_fma_f64 v[26:27], v[204:205], v[24:25], -v[26:27]
	v_mul_f64 v[204:205], v[204:205], v[208:209]
	v_fmac_f64_e32 v[204:205], v[206:207], v[24:25]
	v_add_f64 v[18:19], v[18:19], -v[204:205]
	ds_read2_b64 v[204:207], v202 offset0:98 offset1:99
	v_add_f64 v[16:17], v[16:17], -v[26:27]
	;; [unrolled: 8-line block ×6, first 2 shown]
	s_waitcnt lgkmcnt(0)
	v_mul_f64 v[26:27], v[206:207], v[208:209]
	v_fma_f64 v[26:27], v[204:205], v[24:25], -v[26:27]
	v_mul_f64 v[204:205], v[204:205], v[208:209]
	v_fmac_f64_e32 v[204:205], v[206:207], v[24:25]
	v_add_f64 v[212:213], v[212:213], -v[26:27]
	v_add_f64 v[214:215], v[214:215], -v[204:205]
	v_mov_b64_e32 v[26:27], v[208:209]
.LBB107_424:
	s_or_b64 exec, exec, s[2:3]
	v_cmp_eq_u32_e32 vcc, 47, v200
	s_waitcnt vmcnt(63) expcnt(7) lgkmcnt(15)
	s_barrier
	s_and_saveexec_b64 s[4:5], vcc
	s_cbranch_execz .LBB107_431
; %bb.425:
	ds_write2_b64 v201, v[20:21], v[22:23] offset1:1
	s_waitcnt vmcnt(62)
	ds_write2_b64 v202, v[16:17], v[18:19] offset0:96 offset1:97
	ds_write2_b64 v202, v[12:13], v[14:15] offset0:98 offset1:99
	;; [unrolled: 1-line block ×4, first 2 shown]
	s_waitcnt vmcnt(61)
	ds_write2_b64 v202, v[0:1], v[2:3] offset0:104 offset1:105
	s_waitcnt vmcnt(58)
	ds_write2_b64 v202, v[212:213], v[214:215] offset0:106 offset1:107
	ds_read2_b64 v[208:211], v201 offset1:1
	s_waitcnt lgkmcnt(0)
	v_cmp_neq_f64_e32 vcc, 0, v[208:209]
	v_cmp_neq_f64_e64 s[2:3], 0, v[210:211]
	s_or_b64 s[2:3], vcc, s[2:3]
	s_and_b64 exec, exec, s[2:3]
	s_cbranch_execz .LBB107_431
; %bb.426:
	v_cmp_ngt_f64_e64 s[2:3], |v[208:209]|, |v[210:211]|
                                        ; implicit-def: $vgpr204_vgpr205
	s_and_saveexec_b64 s[10:11], s[2:3]
	s_xor_b64 s[2:3], exec, s[10:11]
                                        ; implicit-def: $vgpr206_vgpr207
	s_cbranch_execz .LBB107_428
; %bb.427:
	v_div_scale_f64 v[204:205], s[10:11], v[210:211], v[210:211], v[208:209]
	v_rcp_f64_e32 v[206:207], v[204:205]
	v_div_scale_f64 v[216:217], vcc, v[208:209], v[210:211], v[208:209]
	v_fma_f64 v[218:219], -v[204:205], v[206:207], 1.0
	v_fmac_f64_e32 v[206:207], v[206:207], v[218:219]
	v_fma_f64 v[218:219], -v[204:205], v[206:207], 1.0
	v_fmac_f64_e32 v[206:207], v[206:207], v[218:219]
	v_mul_f64 v[218:219], v[216:217], v[206:207]
	v_fma_f64 v[204:205], -v[204:205], v[218:219], v[216:217]
	v_div_fmas_f64 v[204:205], v[204:205], v[206:207], v[218:219]
	v_div_fixup_f64 v[204:205], v[204:205], v[210:211], v[208:209]
	v_fmac_f64_e32 v[210:211], v[208:209], v[204:205]
	v_div_scale_f64 v[206:207], s[10:11], v[210:211], v[210:211], 1.0
	v_rcp_f64_e32 v[208:209], v[206:207]
	s_nop 0
	v_fma_f64 v[216:217], -v[206:207], v[208:209], 1.0
	v_fmac_f64_e32 v[208:209], v[208:209], v[216:217]
	v_fma_f64 v[216:217], -v[206:207], v[208:209], 1.0
	v_fmac_f64_e32 v[208:209], v[208:209], v[216:217]
	v_div_scale_f64 v[216:217], vcc, 1.0, v[210:211], 1.0
	v_mul_f64 v[218:219], v[216:217], v[208:209]
	v_fma_f64 v[206:207], -v[206:207], v[218:219], v[216:217]
	s_nop 1
	v_div_fmas_f64 v[206:207], v[206:207], v[208:209], v[218:219]
	v_div_fixup_f64 v[206:207], v[206:207], v[210:211], 1.0
	v_mul_f64 v[204:205], v[204:205], v[206:207]
	v_xor_b32_e32 v207, 0x80000000, v207
                                        ; implicit-def: $vgpr208_vgpr209
.LBB107_428:
	s_andn2_saveexec_b64 s[2:3], s[2:3]
	s_cbranch_execz .LBB107_430
; %bb.429:
	v_div_scale_f64 v[204:205], s[10:11], v[208:209], v[208:209], v[210:211]
	v_rcp_f64_e32 v[206:207], v[204:205]
	v_div_scale_f64 v[216:217], vcc, v[210:211], v[208:209], v[210:211]
	v_fma_f64 v[218:219], -v[204:205], v[206:207], 1.0
	v_fmac_f64_e32 v[206:207], v[206:207], v[218:219]
	v_fma_f64 v[218:219], -v[204:205], v[206:207], 1.0
	v_fmac_f64_e32 v[206:207], v[206:207], v[218:219]
	v_mul_f64 v[218:219], v[216:217], v[206:207]
	v_fma_f64 v[204:205], -v[204:205], v[218:219], v[216:217]
	v_div_fmas_f64 v[204:205], v[204:205], v[206:207], v[218:219]
	v_div_fixup_f64 v[206:207], v[204:205], v[208:209], v[210:211]
	v_fmac_f64_e32 v[208:209], v[210:211], v[206:207]
	v_div_scale_f64 v[204:205], s[10:11], v[208:209], v[208:209], 1.0
	v_rcp_f64_e32 v[210:211], v[204:205]
	s_nop 0
	v_fma_f64 v[216:217], -v[204:205], v[210:211], 1.0
	v_fmac_f64_e32 v[210:211], v[210:211], v[216:217]
	v_fma_f64 v[216:217], -v[204:205], v[210:211], 1.0
	v_fmac_f64_e32 v[210:211], v[210:211], v[216:217]
	v_div_scale_f64 v[216:217], vcc, 1.0, v[208:209], 1.0
	v_mul_f64 v[218:219], v[216:217], v[210:211]
	v_fma_f64 v[204:205], -v[204:205], v[218:219], v[216:217]
	s_nop 1
	v_div_fmas_f64 v[204:205], v[204:205], v[210:211], v[218:219]
	v_div_fixup_f64 v[204:205], v[204:205], v[208:209], 1.0
	v_mul_f64 v[206:207], v[206:207], -v[204:205]
.LBB107_430:
	s_or_b64 exec, exec, s[2:3]
	ds_write2_b64 v201, v[204:205], v[206:207] offset1:1
.LBB107_431:
	s_or_b64 exec, exec, s[4:5]
	s_waitcnt lgkmcnt(0)
	s_barrier
	ds_read2_b64 v[244:247], v201 offset1:1
	v_cmp_lt_u32_e32 vcc, 47, v200
	s_and_saveexec_b64 s[2:3], vcc
	s_cbranch_execz .LBB107_433
; %bb.432:
	ds_read2_b64 v[204:207], v202 offset0:96 offset1:97
	s_waitcnt lgkmcnt(1)
	v_mul_f64 v[208:209], v[244:245], v[22:23]
	v_fmac_f64_e32 v[208:209], v[246:247], v[20:21]
	v_mul_f64 v[22:23], v[246:247], v[22:23]
	v_fma_f64 v[20:21], v[244:245], v[20:21], -v[22:23]
	s_waitcnt lgkmcnt(0)
	v_mul_f64 v[22:23], v[206:207], v[208:209]
	v_fma_f64 v[22:23], v[204:205], v[20:21], -v[22:23]
	v_mul_f64 v[204:205], v[204:205], v[208:209]
	v_fmac_f64_e32 v[204:205], v[206:207], v[20:21]
	s_waitcnt vmcnt(62)
	v_add_f64 v[18:19], v[18:19], -v[204:205]
	ds_read2_b64 v[204:207], v202 offset0:98 offset1:99
	v_add_f64 v[16:17], v[16:17], -v[22:23]
	s_waitcnt lgkmcnt(0)
	v_mul_f64 v[22:23], v[206:207], v[208:209]
	v_fma_f64 v[22:23], v[204:205], v[20:21], -v[22:23]
	v_mul_f64 v[204:205], v[204:205], v[208:209]
	v_fmac_f64_e32 v[204:205], v[206:207], v[20:21]
	v_add_f64 v[14:15], v[14:15], -v[204:205]
	ds_read2_b64 v[204:207], v202 offset0:100 offset1:101
	v_add_f64 v[12:13], v[12:13], -v[22:23]
	s_waitcnt lgkmcnt(0)
	v_mul_f64 v[22:23], v[206:207], v[208:209]
	v_fma_f64 v[22:23], v[204:205], v[20:21], -v[22:23]
	v_mul_f64 v[204:205], v[204:205], v[208:209]
	v_fmac_f64_e32 v[204:205], v[206:207], v[20:21]
	v_add_f64 v[10:11], v[10:11], -v[204:205]
	ds_read2_b64 v[204:207], v202 offset0:102 offset1:103
	v_add_f64 v[8:9], v[8:9], -v[22:23]
	s_waitcnt lgkmcnt(0)
	v_mul_f64 v[22:23], v[206:207], v[208:209]
	v_fma_f64 v[22:23], v[204:205], v[20:21], -v[22:23]
	v_mul_f64 v[204:205], v[204:205], v[208:209]
	v_fmac_f64_e32 v[204:205], v[206:207], v[20:21]
	v_add_f64 v[6:7], v[6:7], -v[204:205]
	ds_read2_b64 v[204:207], v202 offset0:104 offset1:105
	v_add_f64 v[4:5], v[4:5], -v[22:23]
	s_waitcnt lgkmcnt(0)
	v_mul_f64 v[22:23], v[206:207], v[208:209]
	v_fma_f64 v[22:23], v[204:205], v[20:21], -v[22:23]
	v_mul_f64 v[204:205], v[204:205], v[208:209]
	v_fmac_f64_e32 v[204:205], v[206:207], v[20:21]
	s_waitcnt vmcnt(61)
	v_add_f64 v[2:3], v[2:3], -v[204:205]
	ds_read2_b64 v[204:207], v202 offset0:106 offset1:107
	v_add_f64 v[0:1], v[0:1], -v[22:23]
	s_waitcnt lgkmcnt(0)
	v_mul_f64 v[22:23], v[206:207], v[208:209]
	v_fma_f64 v[22:23], v[204:205], v[20:21], -v[22:23]
	v_mul_f64 v[204:205], v[204:205], v[208:209]
	v_fmac_f64_e32 v[204:205], v[206:207], v[20:21]
	s_waitcnt vmcnt(58)
	v_add_f64 v[212:213], v[212:213], -v[22:23]
	v_add_f64 v[214:215], v[214:215], -v[204:205]
	v_mov_b64_e32 v[22:23], v[208:209]
.LBB107_433:
	s_or_b64 exec, exec, s[2:3]
	v_cmp_eq_u32_e32 vcc, 48, v200
	s_waitcnt lgkmcnt(0)
	s_barrier
	s_and_saveexec_b64 s[4:5], vcc
	s_cbranch_execz .LBB107_440
; %bb.434:
	s_waitcnt vmcnt(62)
	ds_write2_b64 v201, v[16:17], v[18:19] offset1:1
	ds_write2_b64 v202, v[12:13], v[14:15] offset0:98 offset1:99
	ds_write2_b64 v202, v[8:9], v[10:11] offset0:100 offset1:101
	;; [unrolled: 1-line block ×3, first 2 shown]
	s_waitcnt vmcnt(61)
	ds_write2_b64 v202, v[0:1], v[2:3] offset0:104 offset1:105
	s_waitcnt vmcnt(58)
	ds_write2_b64 v202, v[212:213], v[214:215] offset0:106 offset1:107
	ds_read2_b64 v[208:211], v201 offset1:1
	s_waitcnt lgkmcnt(0)
	v_cmp_neq_f64_e32 vcc, 0, v[208:209]
	v_cmp_neq_f64_e64 s[2:3], 0, v[210:211]
	s_or_b64 s[2:3], vcc, s[2:3]
	s_and_b64 exec, exec, s[2:3]
	s_cbranch_execz .LBB107_440
; %bb.435:
	v_cmp_ngt_f64_e64 s[2:3], |v[208:209]|, |v[210:211]|
                                        ; implicit-def: $vgpr204_vgpr205
	s_and_saveexec_b64 s[10:11], s[2:3]
	s_xor_b64 s[2:3], exec, s[10:11]
                                        ; implicit-def: $vgpr206_vgpr207
	s_cbranch_execz .LBB107_437
; %bb.436:
	v_div_scale_f64 v[204:205], s[10:11], v[210:211], v[210:211], v[208:209]
	v_rcp_f64_e32 v[206:207], v[204:205]
	v_div_scale_f64 v[216:217], vcc, v[208:209], v[210:211], v[208:209]
	v_fma_f64 v[218:219], -v[204:205], v[206:207], 1.0
	v_fmac_f64_e32 v[206:207], v[206:207], v[218:219]
	v_fma_f64 v[218:219], -v[204:205], v[206:207], 1.0
	v_fmac_f64_e32 v[206:207], v[206:207], v[218:219]
	v_mul_f64 v[218:219], v[216:217], v[206:207]
	v_fma_f64 v[204:205], -v[204:205], v[218:219], v[216:217]
	v_div_fmas_f64 v[204:205], v[204:205], v[206:207], v[218:219]
	v_div_fixup_f64 v[204:205], v[204:205], v[210:211], v[208:209]
	v_fmac_f64_e32 v[210:211], v[208:209], v[204:205]
	v_div_scale_f64 v[206:207], s[10:11], v[210:211], v[210:211], 1.0
	v_rcp_f64_e32 v[208:209], v[206:207]
	s_nop 0
	v_fma_f64 v[216:217], -v[206:207], v[208:209], 1.0
	v_fmac_f64_e32 v[208:209], v[208:209], v[216:217]
	v_fma_f64 v[216:217], -v[206:207], v[208:209], 1.0
	v_fmac_f64_e32 v[208:209], v[208:209], v[216:217]
	v_div_scale_f64 v[216:217], vcc, 1.0, v[210:211], 1.0
	v_mul_f64 v[218:219], v[216:217], v[208:209]
	v_fma_f64 v[206:207], -v[206:207], v[218:219], v[216:217]
	s_nop 1
	v_div_fmas_f64 v[206:207], v[206:207], v[208:209], v[218:219]
	v_div_fixup_f64 v[206:207], v[206:207], v[210:211], 1.0
	v_mul_f64 v[204:205], v[204:205], v[206:207]
	v_xor_b32_e32 v207, 0x80000000, v207
                                        ; implicit-def: $vgpr208_vgpr209
.LBB107_437:
	s_andn2_saveexec_b64 s[2:3], s[2:3]
	s_cbranch_execz .LBB107_439
; %bb.438:
	v_div_scale_f64 v[204:205], s[10:11], v[208:209], v[208:209], v[210:211]
	v_rcp_f64_e32 v[206:207], v[204:205]
	v_div_scale_f64 v[216:217], vcc, v[210:211], v[208:209], v[210:211]
	v_fma_f64 v[218:219], -v[204:205], v[206:207], 1.0
	v_fmac_f64_e32 v[206:207], v[206:207], v[218:219]
	v_fma_f64 v[218:219], -v[204:205], v[206:207], 1.0
	v_fmac_f64_e32 v[206:207], v[206:207], v[218:219]
	v_mul_f64 v[218:219], v[216:217], v[206:207]
	v_fma_f64 v[204:205], -v[204:205], v[218:219], v[216:217]
	v_div_fmas_f64 v[204:205], v[204:205], v[206:207], v[218:219]
	v_div_fixup_f64 v[206:207], v[204:205], v[208:209], v[210:211]
	v_fmac_f64_e32 v[208:209], v[210:211], v[206:207]
	v_div_scale_f64 v[204:205], s[10:11], v[208:209], v[208:209], 1.0
	v_rcp_f64_e32 v[210:211], v[204:205]
	s_nop 0
	v_fma_f64 v[216:217], -v[204:205], v[210:211], 1.0
	v_fmac_f64_e32 v[210:211], v[210:211], v[216:217]
	v_fma_f64 v[216:217], -v[204:205], v[210:211], 1.0
	v_fmac_f64_e32 v[210:211], v[210:211], v[216:217]
	v_div_scale_f64 v[216:217], vcc, 1.0, v[208:209], 1.0
	v_mul_f64 v[218:219], v[216:217], v[210:211]
	v_fma_f64 v[204:205], -v[204:205], v[218:219], v[216:217]
	s_nop 1
	v_div_fmas_f64 v[204:205], v[204:205], v[210:211], v[218:219]
	v_div_fixup_f64 v[204:205], v[204:205], v[208:209], 1.0
	v_mul_f64 v[206:207], v[206:207], -v[204:205]
.LBB107_439:
	s_or_b64 exec, exec, s[2:3]
	ds_write2_b64 v201, v[204:205], v[206:207] offset1:1
.LBB107_440:
	s_or_b64 exec, exec, s[4:5]
	s_waitcnt lgkmcnt(0)
	s_barrier
	ds_read2_b64 v[248:251], v201 offset1:1
	v_cmp_lt_u32_e32 vcc, 48, v200
	s_and_saveexec_b64 s[2:3], vcc
	s_cbranch_execz .LBB107_442
; %bb.441:
	ds_read2_b64 v[204:207], v202 offset0:98 offset1:99
	s_waitcnt vmcnt(62) lgkmcnt(1)
	v_mul_f64 v[208:209], v[248:249], v[18:19]
	v_fmac_f64_e32 v[208:209], v[250:251], v[16:17]
	v_mul_f64 v[18:19], v[250:251], v[18:19]
	v_fma_f64 v[16:17], v[248:249], v[16:17], -v[18:19]
	s_waitcnt lgkmcnt(0)
	v_mul_f64 v[18:19], v[206:207], v[208:209]
	v_fma_f64 v[18:19], v[204:205], v[16:17], -v[18:19]
	v_mul_f64 v[204:205], v[204:205], v[208:209]
	v_fmac_f64_e32 v[204:205], v[206:207], v[16:17]
	v_add_f64 v[14:15], v[14:15], -v[204:205]
	ds_read2_b64 v[204:207], v202 offset0:100 offset1:101
	v_add_f64 v[12:13], v[12:13], -v[18:19]
	s_waitcnt lgkmcnt(0)
	v_mul_f64 v[18:19], v[206:207], v[208:209]
	v_fma_f64 v[18:19], v[204:205], v[16:17], -v[18:19]
	v_mul_f64 v[204:205], v[204:205], v[208:209]
	v_fmac_f64_e32 v[204:205], v[206:207], v[16:17]
	v_add_f64 v[10:11], v[10:11], -v[204:205]
	ds_read2_b64 v[204:207], v202 offset0:102 offset1:103
	v_add_f64 v[8:9], v[8:9], -v[18:19]
	s_waitcnt lgkmcnt(0)
	v_mul_f64 v[18:19], v[206:207], v[208:209]
	v_fma_f64 v[18:19], v[204:205], v[16:17], -v[18:19]
	v_mul_f64 v[204:205], v[204:205], v[208:209]
	v_fmac_f64_e32 v[204:205], v[206:207], v[16:17]
	v_add_f64 v[6:7], v[6:7], -v[204:205]
	ds_read2_b64 v[204:207], v202 offset0:104 offset1:105
	v_add_f64 v[4:5], v[4:5], -v[18:19]
	s_waitcnt lgkmcnt(0)
	v_mul_f64 v[18:19], v[206:207], v[208:209]
	v_fma_f64 v[18:19], v[204:205], v[16:17], -v[18:19]
	v_mul_f64 v[204:205], v[204:205], v[208:209]
	v_fmac_f64_e32 v[204:205], v[206:207], v[16:17]
	s_waitcnt vmcnt(61)
	v_add_f64 v[2:3], v[2:3], -v[204:205]
	ds_read2_b64 v[204:207], v202 offset0:106 offset1:107
	v_add_f64 v[0:1], v[0:1], -v[18:19]
	s_waitcnt lgkmcnt(0)
	v_mul_f64 v[18:19], v[206:207], v[208:209]
	v_fma_f64 v[18:19], v[204:205], v[16:17], -v[18:19]
	v_mul_f64 v[204:205], v[204:205], v[208:209]
	v_fmac_f64_e32 v[204:205], v[206:207], v[16:17]
	s_waitcnt vmcnt(58)
	v_add_f64 v[212:213], v[212:213], -v[18:19]
	v_add_f64 v[214:215], v[214:215], -v[204:205]
	v_mov_b64_e32 v[18:19], v[208:209]
.LBB107_442:
	s_or_b64 exec, exec, s[2:3]
	v_cmp_eq_u32_e32 vcc, 49, v200
	s_waitcnt lgkmcnt(0)
	s_barrier
	s_and_saveexec_b64 s[4:5], vcc
	s_cbranch_execz .LBB107_449
; %bb.443:
	ds_write2_b64 v201, v[12:13], v[14:15] offset1:1
	ds_write2_b64 v202, v[8:9], v[10:11] offset0:100 offset1:101
	ds_write2_b64 v202, v[4:5], v[6:7] offset0:102 offset1:103
	s_waitcnt vmcnt(61)
	ds_write2_b64 v202, v[0:1], v[2:3] offset0:104 offset1:105
	s_waitcnt vmcnt(58)
	ds_write2_b64 v202, v[212:213], v[214:215] offset0:106 offset1:107
	ds_read2_b64 v[208:211], v201 offset1:1
	s_waitcnt lgkmcnt(0)
	v_cmp_neq_f64_e32 vcc, 0, v[208:209]
	v_cmp_neq_f64_e64 s[2:3], 0, v[210:211]
	s_or_b64 s[2:3], vcc, s[2:3]
	s_and_b64 exec, exec, s[2:3]
	s_cbranch_execz .LBB107_449
; %bb.444:
	v_cmp_ngt_f64_e64 s[2:3], |v[208:209]|, |v[210:211]|
                                        ; implicit-def: $vgpr204_vgpr205
	s_and_saveexec_b64 s[10:11], s[2:3]
	s_xor_b64 s[2:3], exec, s[10:11]
                                        ; implicit-def: $vgpr206_vgpr207
	s_cbranch_execz .LBB107_446
; %bb.445:
	v_div_scale_f64 v[204:205], s[10:11], v[210:211], v[210:211], v[208:209]
	v_rcp_f64_e32 v[206:207], v[204:205]
	v_div_scale_f64 v[216:217], vcc, v[208:209], v[210:211], v[208:209]
	v_fma_f64 v[218:219], -v[204:205], v[206:207], 1.0
	v_fmac_f64_e32 v[206:207], v[206:207], v[218:219]
	v_fma_f64 v[218:219], -v[204:205], v[206:207], 1.0
	v_fmac_f64_e32 v[206:207], v[206:207], v[218:219]
	v_mul_f64 v[218:219], v[216:217], v[206:207]
	v_fma_f64 v[204:205], -v[204:205], v[218:219], v[216:217]
	v_div_fmas_f64 v[204:205], v[204:205], v[206:207], v[218:219]
	v_div_fixup_f64 v[204:205], v[204:205], v[210:211], v[208:209]
	v_fmac_f64_e32 v[210:211], v[208:209], v[204:205]
	v_div_scale_f64 v[206:207], s[10:11], v[210:211], v[210:211], 1.0
	v_rcp_f64_e32 v[208:209], v[206:207]
	s_nop 0
	v_fma_f64 v[216:217], -v[206:207], v[208:209], 1.0
	v_fmac_f64_e32 v[208:209], v[208:209], v[216:217]
	v_fma_f64 v[216:217], -v[206:207], v[208:209], 1.0
	v_fmac_f64_e32 v[208:209], v[208:209], v[216:217]
	v_div_scale_f64 v[216:217], vcc, 1.0, v[210:211], 1.0
	v_mul_f64 v[218:219], v[216:217], v[208:209]
	v_fma_f64 v[206:207], -v[206:207], v[218:219], v[216:217]
	s_nop 1
	v_div_fmas_f64 v[206:207], v[206:207], v[208:209], v[218:219]
	v_div_fixup_f64 v[206:207], v[206:207], v[210:211], 1.0
	v_mul_f64 v[204:205], v[204:205], v[206:207]
	v_xor_b32_e32 v207, 0x80000000, v207
                                        ; implicit-def: $vgpr208_vgpr209
.LBB107_446:
	s_andn2_saveexec_b64 s[2:3], s[2:3]
	s_cbranch_execz .LBB107_448
; %bb.447:
	v_div_scale_f64 v[204:205], s[10:11], v[208:209], v[208:209], v[210:211]
	v_rcp_f64_e32 v[206:207], v[204:205]
	v_div_scale_f64 v[216:217], vcc, v[210:211], v[208:209], v[210:211]
	v_fma_f64 v[218:219], -v[204:205], v[206:207], 1.0
	v_fmac_f64_e32 v[206:207], v[206:207], v[218:219]
	v_fma_f64 v[218:219], -v[204:205], v[206:207], 1.0
	v_fmac_f64_e32 v[206:207], v[206:207], v[218:219]
	v_mul_f64 v[218:219], v[216:217], v[206:207]
	v_fma_f64 v[204:205], -v[204:205], v[218:219], v[216:217]
	v_div_fmas_f64 v[204:205], v[204:205], v[206:207], v[218:219]
	v_div_fixup_f64 v[206:207], v[204:205], v[208:209], v[210:211]
	v_fmac_f64_e32 v[208:209], v[210:211], v[206:207]
	v_div_scale_f64 v[204:205], s[10:11], v[208:209], v[208:209], 1.0
	v_rcp_f64_e32 v[210:211], v[204:205]
	s_nop 0
	v_fma_f64 v[216:217], -v[204:205], v[210:211], 1.0
	v_fmac_f64_e32 v[210:211], v[210:211], v[216:217]
	v_fma_f64 v[216:217], -v[204:205], v[210:211], 1.0
	v_fmac_f64_e32 v[210:211], v[210:211], v[216:217]
	v_div_scale_f64 v[216:217], vcc, 1.0, v[208:209], 1.0
	v_mul_f64 v[218:219], v[216:217], v[210:211]
	v_fma_f64 v[204:205], -v[204:205], v[218:219], v[216:217]
	s_nop 1
	v_div_fmas_f64 v[204:205], v[204:205], v[210:211], v[218:219]
	v_div_fixup_f64 v[204:205], v[204:205], v[208:209], 1.0
	v_mul_f64 v[206:207], v[206:207], -v[204:205]
.LBB107_448:
	s_or_b64 exec, exec, s[2:3]
	ds_write2_b64 v201, v[204:205], v[206:207] offset1:1
.LBB107_449:
	s_or_b64 exec, exec, s[4:5]
	s_waitcnt lgkmcnt(0)
	s_barrier
	ds_read2_b64 v[252:255], v201 offset1:1
	v_cmp_lt_u32_e32 vcc, 49, v200
	s_and_saveexec_b64 s[2:3], vcc
	s_cbranch_execz .LBB107_451
; %bb.450:
	ds_read2_b64 v[204:207], v202 offset0:100 offset1:101
	s_waitcnt lgkmcnt(1)
	v_mul_f64 v[208:209], v[252:253], v[14:15]
	v_fmac_f64_e32 v[208:209], v[254:255], v[12:13]
	v_mul_f64 v[14:15], v[254:255], v[14:15]
	v_fma_f64 v[12:13], v[252:253], v[12:13], -v[14:15]
	s_waitcnt lgkmcnt(0)
	v_mul_f64 v[14:15], v[206:207], v[208:209]
	v_fma_f64 v[14:15], v[204:205], v[12:13], -v[14:15]
	v_mul_f64 v[204:205], v[204:205], v[208:209]
	v_fmac_f64_e32 v[204:205], v[206:207], v[12:13]
	v_add_f64 v[10:11], v[10:11], -v[204:205]
	ds_read2_b64 v[204:207], v202 offset0:102 offset1:103
	v_add_f64 v[8:9], v[8:9], -v[14:15]
	s_waitcnt lgkmcnt(0)
	v_mul_f64 v[14:15], v[206:207], v[208:209]
	v_fma_f64 v[14:15], v[204:205], v[12:13], -v[14:15]
	v_mul_f64 v[204:205], v[204:205], v[208:209]
	v_fmac_f64_e32 v[204:205], v[206:207], v[12:13]
	v_add_f64 v[6:7], v[6:7], -v[204:205]
	ds_read2_b64 v[204:207], v202 offset0:104 offset1:105
	v_add_f64 v[4:5], v[4:5], -v[14:15]
	s_waitcnt lgkmcnt(0)
	v_mul_f64 v[14:15], v[206:207], v[208:209]
	v_fma_f64 v[14:15], v[204:205], v[12:13], -v[14:15]
	v_mul_f64 v[204:205], v[204:205], v[208:209]
	v_fmac_f64_e32 v[204:205], v[206:207], v[12:13]
	s_waitcnt vmcnt(61)
	v_add_f64 v[2:3], v[2:3], -v[204:205]
	ds_read2_b64 v[204:207], v202 offset0:106 offset1:107
	v_add_f64 v[0:1], v[0:1], -v[14:15]
	s_waitcnt lgkmcnt(0)
	v_mul_f64 v[14:15], v[206:207], v[208:209]
	v_fma_f64 v[14:15], v[204:205], v[12:13], -v[14:15]
	v_mul_f64 v[204:205], v[204:205], v[208:209]
	v_fmac_f64_e32 v[204:205], v[206:207], v[12:13]
	s_waitcnt vmcnt(58)
	v_add_f64 v[212:213], v[212:213], -v[14:15]
	v_add_f64 v[214:215], v[214:215], -v[204:205]
	v_mov_b64_e32 v[14:15], v[208:209]
.LBB107_451:
	s_or_b64 exec, exec, s[2:3]
	v_cmp_eq_u32_e32 vcc, 50, v200
	s_waitcnt lgkmcnt(0)
	s_barrier
	s_and_saveexec_b64 s[4:5], vcc
	s_cbranch_execz .LBB107_458
; %bb.452:
	ds_write2_b64 v201, v[8:9], v[10:11] offset1:1
	ds_write2_b64 v202, v[4:5], v[6:7] offset0:102 offset1:103
	s_waitcnt vmcnt(61)
	ds_write2_b64 v202, v[0:1], v[2:3] offset0:104 offset1:105
	s_waitcnt vmcnt(58)
	ds_write2_b64 v202, v[212:213], v[214:215] offset0:106 offset1:107
	ds_read2_b64 v[208:211], v201 offset1:1
	s_waitcnt lgkmcnt(0)
	v_cmp_neq_f64_e32 vcc, 0, v[208:209]
	v_cmp_neq_f64_e64 s[2:3], 0, v[210:211]
	s_or_b64 s[2:3], vcc, s[2:3]
	s_and_b64 exec, exec, s[2:3]
	s_cbranch_execz .LBB107_458
; %bb.453:
	v_cmp_ngt_f64_e64 s[2:3], |v[208:209]|, |v[210:211]|
                                        ; implicit-def: $vgpr204_vgpr205
	s_and_saveexec_b64 s[10:11], s[2:3]
	s_xor_b64 s[2:3], exec, s[10:11]
                                        ; implicit-def: $vgpr206_vgpr207
	s_cbranch_execz .LBB107_455
; %bb.454:
	v_div_scale_f64 v[204:205], s[10:11], v[210:211], v[210:211], v[208:209]
	v_rcp_f64_e32 v[206:207], v[204:205]
	v_div_scale_f64 v[216:217], vcc, v[208:209], v[210:211], v[208:209]
	v_fma_f64 v[218:219], -v[204:205], v[206:207], 1.0
	v_fmac_f64_e32 v[206:207], v[206:207], v[218:219]
	v_fma_f64 v[218:219], -v[204:205], v[206:207], 1.0
	v_fmac_f64_e32 v[206:207], v[206:207], v[218:219]
	v_mul_f64 v[218:219], v[216:217], v[206:207]
	v_fma_f64 v[204:205], -v[204:205], v[218:219], v[216:217]
	v_div_fmas_f64 v[204:205], v[204:205], v[206:207], v[218:219]
	v_div_fixup_f64 v[204:205], v[204:205], v[210:211], v[208:209]
	v_fmac_f64_e32 v[210:211], v[208:209], v[204:205]
	v_div_scale_f64 v[206:207], s[10:11], v[210:211], v[210:211], 1.0
	v_rcp_f64_e32 v[208:209], v[206:207]
	s_nop 0
	v_fma_f64 v[216:217], -v[206:207], v[208:209], 1.0
	v_fmac_f64_e32 v[208:209], v[208:209], v[216:217]
	v_fma_f64 v[216:217], -v[206:207], v[208:209], 1.0
	v_fmac_f64_e32 v[208:209], v[208:209], v[216:217]
	v_div_scale_f64 v[216:217], vcc, 1.0, v[210:211], 1.0
	v_mul_f64 v[218:219], v[216:217], v[208:209]
	v_fma_f64 v[206:207], -v[206:207], v[218:219], v[216:217]
	s_nop 1
	v_div_fmas_f64 v[206:207], v[206:207], v[208:209], v[218:219]
	v_div_fixup_f64 v[206:207], v[206:207], v[210:211], 1.0
	v_mul_f64 v[204:205], v[204:205], v[206:207]
	v_xor_b32_e32 v207, 0x80000000, v207
                                        ; implicit-def: $vgpr208_vgpr209
.LBB107_455:
	s_andn2_saveexec_b64 s[2:3], s[2:3]
	s_cbranch_execz .LBB107_457
; %bb.456:
	v_div_scale_f64 v[204:205], s[10:11], v[208:209], v[208:209], v[210:211]
	v_rcp_f64_e32 v[206:207], v[204:205]
	v_div_scale_f64 v[216:217], vcc, v[210:211], v[208:209], v[210:211]
	v_fma_f64 v[218:219], -v[204:205], v[206:207], 1.0
	v_fmac_f64_e32 v[206:207], v[206:207], v[218:219]
	v_fma_f64 v[218:219], -v[204:205], v[206:207], 1.0
	v_fmac_f64_e32 v[206:207], v[206:207], v[218:219]
	v_mul_f64 v[218:219], v[216:217], v[206:207]
	v_fma_f64 v[204:205], -v[204:205], v[218:219], v[216:217]
	v_div_fmas_f64 v[204:205], v[204:205], v[206:207], v[218:219]
	v_div_fixup_f64 v[206:207], v[204:205], v[208:209], v[210:211]
	v_fmac_f64_e32 v[208:209], v[210:211], v[206:207]
	v_div_scale_f64 v[204:205], s[10:11], v[208:209], v[208:209], 1.0
	v_rcp_f64_e32 v[210:211], v[204:205]
	s_nop 0
	v_fma_f64 v[216:217], -v[204:205], v[210:211], 1.0
	v_fmac_f64_e32 v[210:211], v[210:211], v[216:217]
	v_fma_f64 v[216:217], -v[204:205], v[210:211], 1.0
	v_fmac_f64_e32 v[210:211], v[210:211], v[216:217]
	v_div_scale_f64 v[216:217], vcc, 1.0, v[208:209], 1.0
	v_mul_f64 v[218:219], v[216:217], v[210:211]
	v_fma_f64 v[204:205], -v[204:205], v[218:219], v[216:217]
	s_nop 1
	v_div_fmas_f64 v[204:205], v[204:205], v[210:211], v[218:219]
	v_div_fixup_f64 v[204:205], v[204:205], v[208:209], 1.0
	v_mul_f64 v[206:207], v[206:207], -v[204:205]
.LBB107_457:
	s_or_b64 exec, exec, s[2:3]
	ds_write2_b64 v201, v[204:205], v[206:207] offset1:1
.LBB107_458:
	s_or_b64 exec, exec, s[4:5]
	s_waitcnt lgkmcnt(0)
	s_barrier
	ds_read2_b64 v[216:219], v201 offset1:1
	v_cmp_lt_u32_e32 vcc, 50, v200
	s_and_saveexec_b64 s[2:3], vcc
	s_cbranch_execz .LBB107_460
; %bb.459:
	ds_read2_b64 v[204:207], v202 offset0:102 offset1:103
	s_waitcnt lgkmcnt(1)
	v_mul_f64 v[208:209], v[216:217], v[10:11]
	v_fmac_f64_e32 v[208:209], v[218:219], v[8:9]
	v_mul_f64 v[10:11], v[218:219], v[10:11]
	v_fma_f64 v[8:9], v[216:217], v[8:9], -v[10:11]
	s_waitcnt lgkmcnt(0)
	v_mul_f64 v[10:11], v[206:207], v[208:209]
	v_fma_f64 v[10:11], v[204:205], v[8:9], -v[10:11]
	v_mul_f64 v[204:205], v[204:205], v[208:209]
	v_fmac_f64_e32 v[204:205], v[206:207], v[8:9]
	v_add_f64 v[6:7], v[6:7], -v[204:205]
	ds_read2_b64 v[204:207], v202 offset0:104 offset1:105
	v_add_f64 v[4:5], v[4:5], -v[10:11]
	s_waitcnt lgkmcnt(0)
	v_mul_f64 v[10:11], v[206:207], v[208:209]
	v_fma_f64 v[10:11], v[204:205], v[8:9], -v[10:11]
	v_mul_f64 v[204:205], v[204:205], v[208:209]
	v_fmac_f64_e32 v[204:205], v[206:207], v[8:9]
	s_waitcnt vmcnt(61)
	v_add_f64 v[2:3], v[2:3], -v[204:205]
	ds_read2_b64 v[204:207], v202 offset0:106 offset1:107
	v_add_f64 v[0:1], v[0:1], -v[10:11]
	s_waitcnt lgkmcnt(0)
	v_mul_f64 v[10:11], v[206:207], v[208:209]
	v_fma_f64 v[10:11], v[204:205], v[8:9], -v[10:11]
	v_mul_f64 v[204:205], v[204:205], v[208:209]
	v_fmac_f64_e32 v[204:205], v[206:207], v[8:9]
	s_waitcnt vmcnt(58)
	v_add_f64 v[212:213], v[212:213], -v[10:11]
	v_add_f64 v[214:215], v[214:215], -v[204:205]
	v_mov_b64_e32 v[10:11], v[208:209]
.LBB107_460:
	s_or_b64 exec, exec, s[2:3]
	v_cmp_eq_u32_e32 vcc, 51, v200
	s_waitcnt lgkmcnt(0)
	s_barrier
	s_and_saveexec_b64 s[4:5], vcc
	s_cbranch_execz .LBB107_467
; %bb.461:
	ds_write2_b64 v201, v[4:5], v[6:7] offset1:1
	s_waitcnt vmcnt(61)
	ds_write2_b64 v202, v[0:1], v[2:3] offset0:104 offset1:105
	s_waitcnt vmcnt(58)
	ds_write2_b64 v202, v[212:213], v[214:215] offset0:106 offset1:107
	ds_read2_b64 v[208:211], v201 offset1:1
	s_waitcnt lgkmcnt(0)
	v_cmp_neq_f64_e32 vcc, 0, v[208:209]
	v_cmp_neq_f64_e64 s[2:3], 0, v[210:211]
	s_or_b64 s[2:3], vcc, s[2:3]
	s_and_b64 exec, exec, s[2:3]
	s_cbranch_execz .LBB107_467
; %bb.462:
	v_cmp_ngt_f64_e64 s[2:3], |v[208:209]|, |v[210:211]|
                                        ; implicit-def: $vgpr204_vgpr205
	s_and_saveexec_b64 s[10:11], s[2:3]
	s_xor_b64 s[2:3], exec, s[10:11]
                                        ; implicit-def: $vgpr206_vgpr207
	s_cbranch_execz .LBB107_464
; %bb.463:
	v_div_scale_f64 v[204:205], s[10:11], v[210:211], v[210:211], v[208:209]
	v_rcp_f64_e32 v[206:207], v[204:205]
	v_div_scale_f64 v[220:221], vcc, v[208:209], v[210:211], v[208:209]
	v_fma_f64 v[222:223], -v[204:205], v[206:207], 1.0
	v_fmac_f64_e32 v[206:207], v[206:207], v[222:223]
	v_fma_f64 v[222:223], -v[204:205], v[206:207], 1.0
	v_fmac_f64_e32 v[206:207], v[206:207], v[222:223]
	v_mul_f64 v[222:223], v[220:221], v[206:207]
	v_fma_f64 v[204:205], -v[204:205], v[222:223], v[220:221]
	v_div_fmas_f64 v[204:205], v[204:205], v[206:207], v[222:223]
	v_div_fixup_f64 v[204:205], v[204:205], v[210:211], v[208:209]
	v_fmac_f64_e32 v[210:211], v[208:209], v[204:205]
	v_div_scale_f64 v[206:207], s[10:11], v[210:211], v[210:211], 1.0
	v_rcp_f64_e32 v[208:209], v[206:207]
	s_nop 0
	v_fma_f64 v[220:221], -v[206:207], v[208:209], 1.0
	v_fmac_f64_e32 v[208:209], v[208:209], v[220:221]
	v_fma_f64 v[220:221], -v[206:207], v[208:209], 1.0
	v_fmac_f64_e32 v[208:209], v[208:209], v[220:221]
	v_div_scale_f64 v[220:221], vcc, 1.0, v[210:211], 1.0
	v_mul_f64 v[222:223], v[220:221], v[208:209]
	v_fma_f64 v[206:207], -v[206:207], v[222:223], v[220:221]
	s_nop 1
	v_div_fmas_f64 v[206:207], v[206:207], v[208:209], v[222:223]
	v_div_fixup_f64 v[206:207], v[206:207], v[210:211], 1.0
	v_mul_f64 v[204:205], v[204:205], v[206:207]
	v_xor_b32_e32 v207, 0x80000000, v207
                                        ; implicit-def: $vgpr208_vgpr209
.LBB107_464:
	s_andn2_saveexec_b64 s[2:3], s[2:3]
	s_cbranch_execz .LBB107_466
; %bb.465:
	v_div_scale_f64 v[204:205], s[10:11], v[208:209], v[208:209], v[210:211]
	v_rcp_f64_e32 v[206:207], v[204:205]
	v_div_scale_f64 v[220:221], vcc, v[210:211], v[208:209], v[210:211]
	v_fma_f64 v[222:223], -v[204:205], v[206:207], 1.0
	v_fmac_f64_e32 v[206:207], v[206:207], v[222:223]
	v_fma_f64 v[222:223], -v[204:205], v[206:207], 1.0
	v_fmac_f64_e32 v[206:207], v[206:207], v[222:223]
	v_mul_f64 v[222:223], v[220:221], v[206:207]
	v_fma_f64 v[204:205], -v[204:205], v[222:223], v[220:221]
	v_div_fmas_f64 v[204:205], v[204:205], v[206:207], v[222:223]
	v_div_fixup_f64 v[206:207], v[204:205], v[208:209], v[210:211]
	v_fmac_f64_e32 v[208:209], v[210:211], v[206:207]
	v_div_scale_f64 v[204:205], s[10:11], v[208:209], v[208:209], 1.0
	v_rcp_f64_e32 v[210:211], v[204:205]
	s_nop 0
	v_fma_f64 v[220:221], -v[204:205], v[210:211], 1.0
	v_fmac_f64_e32 v[210:211], v[210:211], v[220:221]
	v_fma_f64 v[220:221], -v[204:205], v[210:211], 1.0
	v_fmac_f64_e32 v[210:211], v[210:211], v[220:221]
	v_div_scale_f64 v[220:221], vcc, 1.0, v[208:209], 1.0
	v_mul_f64 v[222:223], v[220:221], v[210:211]
	v_fma_f64 v[204:205], -v[204:205], v[222:223], v[220:221]
	s_nop 1
	v_div_fmas_f64 v[204:205], v[204:205], v[210:211], v[222:223]
	v_div_fixup_f64 v[204:205], v[204:205], v[208:209], 1.0
	v_mul_f64 v[206:207], v[206:207], -v[204:205]
.LBB107_466:
	s_or_b64 exec, exec, s[2:3]
	ds_write2_b64 v201, v[204:205], v[206:207] offset1:1
.LBB107_467:
	s_or_b64 exec, exec, s[4:5]
	s_waitcnt lgkmcnt(0)
	s_barrier
	ds_read2_b64 v[220:223], v201 offset1:1
	v_cmp_lt_u32_e32 vcc, 51, v200
	s_and_saveexec_b64 s[2:3], vcc
	s_cbranch_execz .LBB107_469
; %bb.468:
	ds_read2_b64 v[204:207], v202 offset0:104 offset1:105
	s_waitcnt lgkmcnt(1)
	v_mul_f64 v[208:209], v[220:221], v[6:7]
	v_fmac_f64_e32 v[208:209], v[222:223], v[4:5]
	v_mul_f64 v[6:7], v[222:223], v[6:7]
	v_fma_f64 v[4:5], v[220:221], v[4:5], -v[6:7]
	s_waitcnt lgkmcnt(0)
	v_mul_f64 v[6:7], v[206:207], v[208:209]
	v_fma_f64 v[6:7], v[204:205], v[4:5], -v[6:7]
	v_mul_f64 v[204:205], v[204:205], v[208:209]
	v_fmac_f64_e32 v[204:205], v[206:207], v[4:5]
	s_waitcnt vmcnt(61)
	v_add_f64 v[2:3], v[2:3], -v[204:205]
	ds_read2_b64 v[204:207], v202 offset0:106 offset1:107
	v_add_f64 v[0:1], v[0:1], -v[6:7]
	s_waitcnt lgkmcnt(0)
	v_mul_f64 v[6:7], v[206:207], v[208:209]
	v_fma_f64 v[6:7], v[204:205], v[4:5], -v[6:7]
	v_mul_f64 v[204:205], v[204:205], v[208:209]
	v_fmac_f64_e32 v[204:205], v[206:207], v[4:5]
	s_waitcnt vmcnt(58)
	v_add_f64 v[212:213], v[212:213], -v[6:7]
	v_add_f64 v[214:215], v[214:215], -v[204:205]
	v_mov_b64_e32 v[6:7], v[208:209]
.LBB107_469:
	s_or_b64 exec, exec, s[2:3]
	v_cmp_eq_u32_e32 vcc, 52, v200
	s_waitcnt lgkmcnt(0)
	s_barrier
	s_and_saveexec_b64 s[4:5], vcc
	s_cbranch_execz .LBB107_476
; %bb.470:
	s_waitcnt vmcnt(61)
	ds_write2_b64 v201, v[0:1], v[2:3] offset1:1
	s_waitcnt vmcnt(58)
	ds_write2_b64 v202, v[212:213], v[214:215] offset0:106 offset1:107
	ds_read2_b64 v[208:211], v201 offset1:1
	s_waitcnt lgkmcnt(0)
	v_cmp_neq_f64_e32 vcc, 0, v[208:209]
	v_cmp_neq_f64_e64 s[2:3], 0, v[210:211]
	s_or_b64 s[2:3], vcc, s[2:3]
	s_and_b64 exec, exec, s[2:3]
	s_cbranch_execz .LBB107_476
; %bb.471:
	v_cmp_ngt_f64_e64 s[2:3], |v[208:209]|, |v[210:211]|
                                        ; implicit-def: $vgpr204_vgpr205
	s_and_saveexec_b64 s[10:11], s[2:3]
	s_xor_b64 s[2:3], exec, s[10:11]
                                        ; implicit-def: $vgpr206_vgpr207
	s_cbranch_execz .LBB107_473
; %bb.472:
	v_div_scale_f64 v[204:205], s[10:11], v[210:211], v[210:211], v[208:209]
	v_rcp_f64_e32 v[206:207], v[204:205]
	v_div_scale_f64 v[224:225], vcc, v[208:209], v[210:211], v[208:209]
	v_fma_f64 v[226:227], -v[204:205], v[206:207], 1.0
	v_fmac_f64_e32 v[206:207], v[206:207], v[226:227]
	v_fma_f64 v[226:227], -v[204:205], v[206:207], 1.0
	v_fmac_f64_e32 v[206:207], v[206:207], v[226:227]
	v_mul_f64 v[226:227], v[224:225], v[206:207]
	v_fma_f64 v[204:205], -v[204:205], v[226:227], v[224:225]
	v_div_fmas_f64 v[204:205], v[204:205], v[206:207], v[226:227]
	v_div_fixup_f64 v[204:205], v[204:205], v[210:211], v[208:209]
	v_fmac_f64_e32 v[210:211], v[208:209], v[204:205]
	v_div_scale_f64 v[206:207], s[10:11], v[210:211], v[210:211], 1.0
	v_rcp_f64_e32 v[208:209], v[206:207]
	s_nop 0
	v_fma_f64 v[224:225], -v[206:207], v[208:209], 1.0
	v_fmac_f64_e32 v[208:209], v[208:209], v[224:225]
	v_fma_f64 v[224:225], -v[206:207], v[208:209], 1.0
	v_fmac_f64_e32 v[208:209], v[208:209], v[224:225]
	v_div_scale_f64 v[224:225], vcc, 1.0, v[210:211], 1.0
	v_mul_f64 v[226:227], v[224:225], v[208:209]
	v_fma_f64 v[206:207], -v[206:207], v[226:227], v[224:225]
	s_nop 1
	v_div_fmas_f64 v[206:207], v[206:207], v[208:209], v[226:227]
	v_div_fixup_f64 v[206:207], v[206:207], v[210:211], 1.0
	v_mul_f64 v[204:205], v[204:205], v[206:207]
	v_xor_b32_e32 v207, 0x80000000, v207
                                        ; implicit-def: $vgpr208_vgpr209
.LBB107_473:
	s_andn2_saveexec_b64 s[2:3], s[2:3]
	s_cbranch_execz .LBB107_475
; %bb.474:
	v_div_scale_f64 v[204:205], s[10:11], v[208:209], v[208:209], v[210:211]
	v_rcp_f64_e32 v[206:207], v[204:205]
	v_div_scale_f64 v[224:225], vcc, v[210:211], v[208:209], v[210:211]
	v_fma_f64 v[226:227], -v[204:205], v[206:207], 1.0
	v_fmac_f64_e32 v[206:207], v[206:207], v[226:227]
	v_fma_f64 v[226:227], -v[204:205], v[206:207], 1.0
	v_fmac_f64_e32 v[206:207], v[206:207], v[226:227]
	v_mul_f64 v[226:227], v[224:225], v[206:207]
	v_fma_f64 v[204:205], -v[204:205], v[226:227], v[224:225]
	v_div_fmas_f64 v[204:205], v[204:205], v[206:207], v[226:227]
	v_div_fixup_f64 v[206:207], v[204:205], v[208:209], v[210:211]
	v_fmac_f64_e32 v[208:209], v[210:211], v[206:207]
	v_div_scale_f64 v[204:205], s[10:11], v[208:209], v[208:209], 1.0
	v_rcp_f64_e32 v[210:211], v[204:205]
	s_nop 0
	v_fma_f64 v[224:225], -v[204:205], v[210:211], 1.0
	v_fmac_f64_e32 v[210:211], v[210:211], v[224:225]
	v_fma_f64 v[224:225], -v[204:205], v[210:211], 1.0
	v_fmac_f64_e32 v[210:211], v[210:211], v[224:225]
	v_div_scale_f64 v[224:225], vcc, 1.0, v[208:209], 1.0
	v_mul_f64 v[226:227], v[224:225], v[210:211]
	v_fma_f64 v[204:205], -v[204:205], v[226:227], v[224:225]
	s_nop 1
	v_div_fmas_f64 v[204:205], v[204:205], v[210:211], v[226:227]
	v_div_fixup_f64 v[204:205], v[204:205], v[208:209], 1.0
	v_mul_f64 v[206:207], v[206:207], -v[204:205]
.LBB107_475:
	s_or_b64 exec, exec, s[2:3]
	ds_write2_b64 v201, v[204:205], v[206:207] offset1:1
.LBB107_476:
	s_or_b64 exec, exec, s[4:5]
	s_waitcnt lgkmcnt(0)
	s_barrier
	ds_read2_b64 v[224:227], v201 offset1:1
	v_cmp_lt_u32_e32 vcc, 52, v200
	s_and_saveexec_b64 s[2:3], vcc
	s_cbranch_execz .LBB107_478
; %bb.477:
	ds_read2_b64 v[202:205], v202 offset0:106 offset1:107
	s_waitcnt vmcnt(61) lgkmcnt(1)
	v_mul_f64 v[206:207], v[224:225], v[2:3]
	v_mul_f64 v[2:3], v[226:227], v[2:3]
	v_fmac_f64_e32 v[206:207], v[226:227], v[0:1]
	v_fma_f64 v[0:1], v[224:225], v[0:1], -v[2:3]
	s_waitcnt lgkmcnt(0)
	v_mul_f64 v[2:3], v[204:205], v[206:207]
	v_fma_f64 v[2:3], v[202:203], v[0:1], -v[2:3]
	v_mul_f64 v[202:203], v[202:203], v[206:207]
	v_fmac_f64_e32 v[202:203], v[204:205], v[0:1]
	s_waitcnt vmcnt(58)
	v_add_f64 v[212:213], v[212:213], -v[2:3]
	v_add_f64 v[214:215], v[214:215], -v[202:203]
	v_mov_b64_e32 v[2:3], v[206:207]
.LBB107_478:
	s_or_b64 exec, exec, s[2:3]
	v_cmp_eq_u32_e32 vcc, 53, v200
	s_waitcnt lgkmcnt(0)
	s_barrier
	s_and_saveexec_b64 s[4:5], vcc
	s_cbranch_execz .LBB107_485
; %bb.479:
	s_waitcnt vmcnt(58)
	v_cmp_neq_f64_e32 vcc, 0, v[212:213]
	v_cmp_neq_f64_e64 s[2:3], 0, v[214:215]
	s_or_b64 s[2:3], vcc, s[2:3]
	ds_write2_b64 v201, v[212:213], v[214:215] offset1:1
	s_and_b64 exec, exec, s[2:3]
	s_cbranch_execz .LBB107_485
; %bb.480:
	v_cmp_ngt_f64_e64 s[2:3], |v[212:213]|, |v[214:215]|
                                        ; implicit-def: $vgpr204_vgpr205
	s_and_saveexec_b64 s[10:11], s[2:3]
	s_xor_b64 s[2:3], exec, s[10:11]
                                        ; implicit-def: $vgpr206_vgpr207
	s_cbranch_execz .LBB107_482
; %bb.481:
	v_div_scale_f64 v[202:203], s[10:11], v[214:215], v[214:215], v[212:213]
	v_rcp_f64_e32 v[204:205], v[202:203]
	v_div_scale_f64 v[206:207], vcc, v[212:213], v[214:215], v[212:213]
	v_mov_b64_e32 v[192:193], v[196:197]
	v_fma_f64 v[208:209], -v[202:203], v[204:205], 1.0
	v_fmac_f64_e32 v[204:205], v[204:205], v[208:209]
	v_fma_f64 v[208:209], -v[202:203], v[204:205], 1.0
	v_fmac_f64_e32 v[204:205], v[204:205], v[208:209]
	v_mul_f64 v[208:209], v[206:207], v[204:205]
	v_fma_f64 v[202:203], -v[202:203], v[208:209], v[206:207]
	v_div_fmas_f64 v[202:203], v[202:203], v[204:205], v[208:209]
	v_div_fixup_f64 v[202:203], v[202:203], v[214:215], v[212:213]
	v_fma_f64 v[204:205], v[212:213], v[202:203], v[214:215]
	v_div_scale_f64 v[206:207], s[10:11], v[204:205], v[204:205], 1.0
	v_rcp_f64_e32 v[208:209], v[206:207]
	v_mov_b64_e32 v[194:195], v[198:199]
	v_fma_f64 v[210:211], -v[206:207], v[208:209], 1.0
	v_fmac_f64_e32 v[208:209], v[208:209], v[210:211]
	v_fma_f64 v[210:211], -v[206:207], v[208:209], 1.0
	v_fmac_f64_e32 v[208:209], v[208:209], v[210:211]
	v_div_scale_f64 v[210:211], vcc, 1.0, v[204:205], 1.0
	v_mul_f64 v[196:197], v[210:211], v[208:209]
	v_fma_f64 v[198:199], -v[206:207], v[196:197], v[210:211]
	s_nop 1
	v_div_fmas_f64 v[196:197], v[198:199], v[208:209], v[196:197]
	v_div_fixup_f64 v[206:207], v[196:197], v[204:205], 1.0
	v_mov_b64_e32 v[198:199], v[194:195]
	v_mov_b64_e32 v[196:197], v[192:193]
	v_mul_f64 v[204:205], v[202:203], v[206:207]
	v_xor_b32_e32 v207, 0x80000000, v207
.LBB107_482:
	s_andn2_saveexec_b64 s[2:3], s[2:3]
	s_cbranch_execz .LBB107_484
; %bb.483:
	v_mov_b64_e32 v[192:193], v[196:197]
	v_mov_b64_e32 v[194:195], v[198:199]
	v_div_scale_f64 v[196:197], s[10:11], v[212:213], v[212:213], v[214:215]
	v_rcp_f64_e32 v[198:199], v[196:197]
	v_div_scale_f64 v[202:203], vcc, v[214:215], v[212:213], v[214:215]
	v_fma_f64 v[204:205], -v[196:197], v[198:199], 1.0
	v_fmac_f64_e32 v[198:199], v[198:199], v[204:205]
	v_fma_f64 v[204:205], -v[196:197], v[198:199], 1.0
	v_fmac_f64_e32 v[198:199], v[198:199], v[204:205]
	v_mul_f64 v[204:205], v[202:203], v[198:199]
	v_fma_f64 v[196:197], -v[196:197], v[204:205], v[202:203]
	v_div_fmas_f64 v[196:197], v[196:197], v[198:199], v[204:205]
	v_div_fixup_f64 v[196:197], v[196:197], v[212:213], v[214:215]
	v_fma_f64 v[198:199], v[214:215], v[196:197], v[212:213]
	v_div_scale_f64 v[202:203], s[10:11], v[198:199], v[198:199], 1.0
	v_rcp_f64_e32 v[204:205], v[202:203]
	s_nop 0
	v_fma_f64 v[206:207], -v[202:203], v[204:205], 1.0
	v_fmac_f64_e32 v[204:205], v[204:205], v[206:207]
	v_fma_f64 v[206:207], -v[202:203], v[204:205], 1.0
	v_fmac_f64_e32 v[204:205], v[204:205], v[206:207]
	v_div_scale_f64 v[206:207], vcc, 1.0, v[198:199], 1.0
	v_mul_f64 v[208:209], v[206:207], v[204:205]
	v_fma_f64 v[202:203], -v[202:203], v[208:209], v[206:207]
	s_nop 1
	v_div_fmas_f64 v[202:203], v[202:203], v[204:205], v[208:209]
	v_div_fixup_f64 v[204:205], v[202:203], v[198:199], 1.0
	v_mul_f64 v[206:207], v[196:197], -v[204:205]
	v_mov_b64_e32 v[198:199], v[194:195]
	v_mov_b64_e32 v[196:197], v[192:193]
.LBB107_484:
	s_or_b64 exec, exec, s[2:3]
	ds_write2_b64 v201, v[204:205], v[206:207] offset1:1
.LBB107_485:
	s_or_b64 exec, exec, s[4:5]
	s_waitcnt lgkmcnt(0)
	s_barrier
	ds_read2_b64 v[208:211], v201 offset1:1
	v_mov_b64_e32 v[192:193], v[196:197]
	v_mov_b64_e32 v[194:195], v[198:199]
	s_waitcnt lgkmcnt(0)
	s_barrier
	s_and_saveexec_b64 s[2:3], s[0:1]
	s_cbranch_execz .LBB107_488
; %bb.486:
	scratch_load_dwordx4 v[196:199], off, off offset:496 ; 16-byte Folded Reload
	scratch_load_dwordx4 v[202:205], off, off offset:512 ; 16-byte Folded Reload
	s_waitcnt vmcnt(1)
	v_cmp_eq_f64_e32 vcc, 0, v[196:197]
	v_cmp_eq_f64_e64 s[0:1], 0, v[198:199]
	s_and_b64 s[4:5], vcc, s[0:1]
	s_waitcnt vmcnt(0)
	v_cmp_neq_f64_e32 vcc, 0, v[202:203]
	v_cmp_neq_f64_e64 s[0:1], 0, v[204:205]
	scratch_load_dwordx4 v[202:205], off, off offset:528 ; 16-byte Folded Reload
	s_or_b64 s[0:1], vcc, s[0:1]
	v_cndmask_b32_e64 v196, 0, 1, s[4:5]
	s_or_b64 vcc, s[0:1], s[4:5]
	v_cndmask_b32_e32 v196, 2, v196, vcc
	v_mov_b32_e32 v197, s7
	s_waitcnt vmcnt(0)
	v_cmp_eq_f64_e32 vcc, 0, v[202:203]
	v_cmp_eq_f64_e64 s[0:1], 0, v[204:205]
	scratch_load_dwordx4 v[202:205], off, off offset:544 ; 16-byte Folded Reload
	s_and_b64 s[0:1], vcc, s[0:1]
	v_cmp_eq_u32_e32 vcc, 0, v196
	s_and_b64 s[0:1], s[0:1], vcc
	v_cndmask_b32_e64 v196, v196, 3, s[0:1]
	s_waitcnt vmcnt(0)
	v_cmp_eq_f64_e32 vcc, 0, v[202:203]
	v_cmp_eq_f64_e64 s[0:1], 0, v[204:205]
	scratch_load_dwordx4 v[202:205], off, off offset:560 ; 16-byte Folded Reload
	s_and_b64 s[0:1], vcc, s[0:1]
	v_cmp_eq_u32_e32 vcc, 0, v196
	s_and_b64 s[0:1], s[0:1], vcc
	v_cndmask_b32_e64 v196, v196, 4, s[0:1]
	s_waitcnt vmcnt(0)
	v_cmp_eq_f64_e32 vcc, 0, v[202:203]
	v_cmp_eq_f64_e64 s[0:1], 0, v[204:205]
	scratch_load_dwordx4 v[202:205], off, off offset:576 ; 16-byte Folded Reload
	s_and_b64 s[0:1], vcc, s[0:1]
	v_cmp_eq_u32_e32 vcc, 0, v196
	s_and_b64 s[0:1], s[0:1], vcc
	v_cndmask_b32_e64 v196, v196, 5, s[0:1]
	s_waitcnt vmcnt(0)
	v_cmp_eq_f64_e32 vcc, 0, v[202:203]
	v_cmp_eq_f64_e64 s[0:1], 0, v[204:205]
	scratch_load_dwordx4 v[202:205], off, off offset:592 ; 16-byte Folded Reload
	s_and_b64 s[0:1], vcc, s[0:1]
	v_cmp_eq_u32_e32 vcc, 0, v196
	s_and_b64 s[0:1], s[0:1], vcc
	v_cndmask_b32_e64 v196, v196, 6, s[0:1]
	s_waitcnt vmcnt(0)
	v_cmp_eq_f64_e32 vcc, 0, v[202:203]
	v_cmp_eq_f64_e64 s[0:1], 0, v[204:205]
	scratch_load_dwordx4 v[202:205], off, off offset:608 ; 16-byte Folded Reload
	s_and_b64 s[0:1], vcc, s[0:1]
	v_cmp_eq_u32_e32 vcc, 0, v196
	s_and_b64 s[0:1], s[0:1], vcc
	v_cndmask_b32_e64 v196, v196, 7, s[0:1]
	s_waitcnt vmcnt(0)
	v_cmp_eq_f64_e32 vcc, 0, v[202:203]
	v_cmp_eq_f64_e64 s[0:1], 0, v[204:205]
	scratch_load_dwordx4 v[202:205], off, off offset:624 ; 16-byte Folded Reload
	s_and_b64 s[0:1], vcc, s[0:1]
	v_cmp_eq_u32_e32 vcc, 0, v196
	s_and_b64 s[0:1], s[0:1], vcc
	v_cndmask_b32_e64 v196, v196, 8, s[0:1]
	s_waitcnt vmcnt(0)
	v_cmp_eq_f64_e32 vcc, 0, v[202:203]
	v_cmp_eq_f64_e64 s[0:1], 0, v[204:205]
	scratch_load_dwordx4 v[202:205], off, off offset:640 ; 16-byte Folded Reload
	s_and_b64 s[0:1], vcc, s[0:1]
	v_cmp_eq_u32_e32 vcc, 0, v196
	s_and_b64 s[0:1], s[0:1], vcc
	v_cndmask_b32_e64 v196, v196, 9, s[0:1]
	s_waitcnt vmcnt(0)
	v_cmp_eq_f64_e32 vcc, 0, v[202:203]
	v_cmp_eq_f64_e64 s[0:1], 0, v[204:205]
	scratch_load_dwordx4 v[202:205], off, off offset:656 ; 16-byte Folded Reload
	s_and_b64 s[0:1], vcc, s[0:1]
	v_cmp_eq_u32_e32 vcc, 0, v196
	s_and_b64 s[0:1], s[0:1], vcc
	v_cndmask_b32_e64 v196, v196, 10, s[0:1]
	s_waitcnt vmcnt(0)
	v_cmp_eq_f64_e32 vcc, 0, v[202:203]
	v_cmp_eq_f64_e64 s[0:1], 0, v[204:205]
	scratch_load_dwordx4 v[202:205], off, off offset:672 ; 16-byte Folded Reload
	s_and_b64 s[0:1], vcc, s[0:1]
	v_cmp_eq_u32_e32 vcc, 0, v196
	s_and_b64 s[0:1], s[0:1], vcc
	v_cndmask_b32_e64 v196, v196, 11, s[0:1]
	s_waitcnt vmcnt(0)
	v_cmp_eq_f64_e32 vcc, 0, v[202:203]
	v_cmp_eq_f64_e64 s[0:1], 0, v[204:205]
	scratch_load_dwordx4 v[202:205], off, off offset:688 ; 16-byte Folded Reload
	s_and_b64 s[0:1], vcc, s[0:1]
	v_cmp_eq_u32_e32 vcc, 0, v196
	s_and_b64 s[0:1], s[0:1], vcc
	v_cndmask_b32_e64 v196, v196, 12, s[0:1]
	s_waitcnt vmcnt(0)
	v_cmp_eq_f64_e32 vcc, 0, v[202:203]
	v_cmp_eq_f64_e64 s[0:1], 0, v[204:205]
	scratch_load_dwordx4 v[202:205], off, off offset:704 ; 16-byte Folded Reload
	s_and_b64 s[0:1], vcc, s[0:1]
	v_cmp_eq_u32_e32 vcc, 0, v196
	s_and_b64 s[0:1], s[0:1], vcc
	v_cndmask_b32_e64 v196, v196, 13, s[0:1]
	s_waitcnt vmcnt(0)
	v_cmp_eq_f64_e32 vcc, 0, v[202:203]
	v_cmp_eq_f64_e64 s[0:1], 0, v[204:205]
	scratch_load_dwordx4 v[202:205], off, off offset:720 ; 16-byte Folded Reload
	s_and_b64 s[0:1], vcc, s[0:1]
	v_cmp_eq_u32_e32 vcc, 0, v196
	s_and_b64 s[0:1], s[0:1], vcc
	v_cndmask_b32_e64 v196, v196, 14, s[0:1]
	s_waitcnt vmcnt(0)
	v_cmp_eq_f64_e32 vcc, 0, v[202:203]
	v_cmp_eq_f64_e64 s[0:1], 0, v[204:205]
	scratch_load_dwordx4 v[202:205], off, off offset:736 ; 16-byte Folded Reload
	s_and_b64 s[0:1], vcc, s[0:1]
	v_cmp_eq_u32_e32 vcc, 0, v196
	s_and_b64 s[0:1], s[0:1], vcc
	v_cndmask_b32_e64 v196, v196, 15, s[0:1]
	s_waitcnt vmcnt(0)
	v_cmp_eq_f64_e32 vcc, 0, v[202:203]
	v_cmp_eq_f64_e64 s[0:1], 0, v[204:205]
	scratch_load_dwordx4 v[202:205], off, off offset:752 ; 16-byte Folded Reload
	s_and_b64 s[0:1], vcc, s[0:1]
	v_cmp_eq_u32_e32 vcc, 0, v196
	s_and_b64 s[0:1], s[0:1], vcc
	v_cndmask_b32_e64 v196, v196, 16, s[0:1]
	s_waitcnt vmcnt(0)
	v_cmp_eq_f64_e32 vcc, 0, v[202:203]
	v_cmp_eq_f64_e64 s[0:1], 0, v[204:205]
	scratch_load_dwordx4 v[202:205], off, off offset:768 ; 16-byte Folded Reload
	s_and_b64 s[0:1], vcc, s[0:1]
	v_cmp_eq_u32_e32 vcc, 0, v196
	s_and_b64 s[0:1], s[0:1], vcc
	v_cndmask_b32_e64 v196, v196, 17, s[0:1]
	s_waitcnt vmcnt(0)
	v_cmp_eq_f64_e32 vcc, 0, v[202:203]
	v_cmp_eq_f64_e64 s[0:1], 0, v[204:205]
	scratch_load_dwordx4 v[202:205], off, off offset:784 ; 16-byte Folded Reload
	s_and_b64 s[0:1], vcc, s[0:1]
	v_cmp_eq_u32_e32 vcc, 0, v196
	s_and_b64 s[0:1], s[0:1], vcc
	v_cndmask_b32_e64 v196, v196, 18, s[0:1]
	s_waitcnt vmcnt(0)
	v_cmp_eq_f64_e32 vcc, 0, v[202:203]
	v_cmp_eq_f64_e64 s[0:1], 0, v[204:205]
	scratch_load_dwordx4 v[202:205], off, off offset:800 ; 16-byte Folded Reload
	s_and_b64 s[0:1], vcc, s[0:1]
	v_cmp_eq_u32_e32 vcc, 0, v196
	s_and_b64 s[0:1], s[0:1], vcc
	v_cndmask_b32_e64 v196, v196, 19, s[0:1]
	s_waitcnt vmcnt(0)
	v_cmp_eq_f64_e32 vcc, 0, v[202:203]
	v_cmp_eq_f64_e64 s[0:1], 0, v[204:205]
	scratch_load_dwordx4 v[202:205], off, off offset:816 ; 16-byte Folded Reload
	s_and_b64 s[0:1], vcc, s[0:1]
	v_cmp_eq_u32_e32 vcc, 0, v196
	s_and_b64 s[0:1], s[0:1], vcc
	v_cndmask_b32_e64 v196, v196, 20, s[0:1]
	s_waitcnt vmcnt(0)
	v_cmp_eq_f64_e32 vcc, 0, v[202:203]
	v_cmp_eq_f64_e64 s[0:1], 0, v[204:205]
	scratch_load_dwordx4 v[202:205], off, off offset:832 ; 16-byte Folded Reload
	s_and_b64 s[0:1], vcc, s[0:1]
	v_cmp_eq_u32_e32 vcc, 0, v196
	s_and_b64 s[0:1], s[0:1], vcc
	v_cndmask_b32_e64 v196, v196, 21, s[0:1]
	s_waitcnt vmcnt(0)
	v_cmp_eq_f64_e32 vcc, 0, v[202:203]
	v_cmp_eq_f64_e64 s[0:1], 0, v[204:205]
	scratch_load_dwordx4 v[202:205], off, off offset:848 ; 16-byte Folded Reload
	s_and_b64 s[0:1], vcc, s[0:1]
	v_cmp_eq_u32_e32 vcc, 0, v196
	s_and_b64 s[0:1], s[0:1], vcc
	v_cndmask_b32_e64 v196, v196, 22, s[0:1]
	s_waitcnt vmcnt(0)
	v_cmp_eq_f64_e32 vcc, 0, v[202:203]
	v_cmp_eq_f64_e64 s[0:1], 0, v[204:205]
	scratch_load_dwordx4 v[202:205], off, off offset:864 ; 16-byte Folded Reload
	s_and_b64 s[0:1], vcc, s[0:1]
	v_cmp_eq_u32_e32 vcc, 0, v196
	s_and_b64 s[0:1], s[0:1], vcc
	v_cndmask_b32_e64 v196, v196, 23, s[0:1]
	s_waitcnt vmcnt(0)
	v_cmp_eq_f64_e32 vcc, 0, v[202:203]
	v_cmp_eq_f64_e64 s[0:1], 0, v[204:205]
	scratch_load_dwordx4 v[202:205], off, off offset:880 ; 16-byte Folded Reload
	s_and_b64 s[0:1], vcc, s[0:1]
	v_cmp_eq_u32_e32 vcc, 0, v196
	s_and_b64 s[0:1], s[0:1], vcc
	v_cndmask_b32_e64 v196, v196, 24, s[0:1]
	s_waitcnt vmcnt(0)
	v_cmp_eq_f64_e32 vcc, 0, v[202:203]
	v_cmp_eq_f64_e64 s[0:1], 0, v[204:205]
	scratch_load_dwordx4 v[202:205], off, off offset:896 ; 16-byte Folded Reload
	s_and_b64 s[0:1], vcc, s[0:1]
	v_cmp_eq_u32_e32 vcc, 0, v196
	s_and_b64 s[0:1], s[0:1], vcc
	v_cndmask_b32_e64 v196, v196, 25, s[0:1]
	s_waitcnt vmcnt(0)
	v_cmp_eq_f64_e32 vcc, 0, v[202:203]
	v_cmp_eq_f64_e64 s[0:1], 0, v[204:205]
	scratch_load_dwordx4 v[202:205], off, off offset:912 ; 16-byte Folded Reload
	s_and_b64 s[0:1], vcc, s[0:1]
	v_cmp_eq_u32_e32 vcc, 0, v196
	s_and_b64 s[0:1], s[0:1], vcc
	v_cndmask_b32_e64 v196, v196, 26, s[0:1]
	s_waitcnt vmcnt(0)
	v_cmp_eq_f64_e32 vcc, 0, v[202:203]
	v_cmp_eq_f64_e64 s[0:1], 0, v[204:205]
	scratch_load_dwordx4 v[202:205], off, off offset:928 ; 16-byte Folded Reload
	s_and_b64 s[0:1], vcc, s[0:1]
	v_cmp_eq_u32_e32 vcc, 0, v196
	s_and_b64 s[0:1], s[0:1], vcc
	v_cndmask_b32_e64 v196, v196, 27, s[0:1]
	s_waitcnt vmcnt(0)
	v_cmp_eq_f64_e32 vcc, 0, v[202:203]
	v_cmp_eq_f64_e64 s[0:1], 0, v[204:205]
	scratch_load_dwordx4 v[202:205], off, off offset:944 ; 16-byte Folded Reload
	s_and_b64 s[0:1], vcc, s[0:1]
	v_cmp_eq_u32_e32 vcc, 0, v196
	s_and_b64 s[0:1], s[0:1], vcc
	v_cndmask_b32_e64 v196, v196, 28, s[0:1]
	s_waitcnt vmcnt(0)
	v_cmp_eq_f64_e32 vcc, 0, v[202:203]
	v_cmp_eq_f64_e64 s[0:1], 0, v[204:205]
	scratch_load_dwordx4 v[202:205], off, off offset:960 ; 16-byte Folded Reload
	s_and_b64 s[0:1], vcc, s[0:1]
	v_cmp_eq_u32_e32 vcc, 0, v196
	s_and_b64 s[0:1], s[0:1], vcc
	v_cndmask_b32_e64 v196, v196, 29, s[0:1]
	s_waitcnt vmcnt(0)
	v_cmp_eq_f64_e32 vcc, 0, v[202:203]
	v_cmp_eq_f64_e64 s[0:1], 0, v[204:205]
	scratch_load_dwordx4 v[202:205], off, off offset:976 ; 16-byte Folded Reload
	s_and_b64 s[0:1], vcc, s[0:1]
	v_cmp_eq_u32_e32 vcc, 0, v196
	s_and_b64 s[0:1], s[0:1], vcc
	v_cndmask_b32_e64 v196, v196, 30, s[0:1]
	s_waitcnt vmcnt(0)
	v_cmp_eq_f64_e32 vcc, 0, v[202:203]
	v_cmp_eq_f64_e64 s[0:1], 0, v[204:205]
	scratch_load_dwordx4 v[202:205], off, off offset:992 ; 16-byte Folded Reload
	s_and_b64 s[0:1], vcc, s[0:1]
	v_cmp_eq_u32_e32 vcc, 0, v196
	s_and_b64 s[0:1], s[0:1], vcc
	v_cndmask_b32_e64 v196, v196, 31, s[0:1]
	s_waitcnt vmcnt(0)
	v_cmp_eq_f64_e32 vcc, 0, v[202:203]
	v_cmp_eq_f64_e64 s[0:1], 0, v[204:205]
	scratch_load_dwordx4 v[202:205], off, off offset:1008 ; 16-byte Folded Reload
	s_and_b64 s[0:1], vcc, s[0:1]
	v_cmp_eq_u32_e32 vcc, 0, v196
	s_and_b64 s[0:1], s[0:1], vcc
	v_cndmask_b32_e64 v196, v196, 32, s[0:1]
	s_waitcnt vmcnt(0)
	v_cmp_eq_f64_e32 vcc, 0, v[202:203]
	v_cmp_eq_f64_e64 s[0:1], 0, v[204:205]
	scratch_load_dwordx4 v[202:205], off, off offset:1024 ; 16-byte Folded Reload
	s_and_b64 s[0:1], vcc, s[0:1]
	v_cmp_eq_u32_e32 vcc, 0, v196
	s_and_b64 s[0:1], s[0:1], vcc
	v_cndmask_b32_e64 v196, v196, 33, s[0:1]
	s_waitcnt vmcnt(0)
	v_cmp_eq_f64_e32 vcc, 0, v[202:203]
	v_cmp_eq_f64_e64 s[0:1], 0, v[204:205]
	scratch_load_dwordx4 v[202:205], off, off offset:1040 ; 16-byte Folded Reload
	s_and_b64 s[0:1], vcc, s[0:1]
	v_cmp_eq_u32_e32 vcc, 0, v196
	s_and_b64 s[0:1], s[0:1], vcc
	v_cndmask_b32_e64 v196, v196, 34, s[0:1]
	s_waitcnt vmcnt(0)
	v_cmp_eq_f64_e32 vcc, 0, v[202:203]
	v_cmp_eq_f64_e64 s[0:1], 0, v[204:205]
	scratch_load_dwordx4 v[202:205], off, off offset:1056 ; 16-byte Folded Reload
	s_and_b64 s[0:1], vcc, s[0:1]
	v_cmp_eq_u32_e32 vcc, 0, v196
	s_and_b64 s[0:1], s[0:1], vcc
	v_cndmask_b32_e64 v196, v196, 35, s[0:1]
	s_waitcnt vmcnt(0)
	v_cmp_eq_f64_e32 vcc, 0, v[202:203]
	v_cmp_eq_f64_e64 s[0:1], 0, v[204:205]
	scratch_load_dwordx4 v[202:205], off, off offset:1072 ; 16-byte Folded Reload
	s_and_b64 s[0:1], vcc, s[0:1]
	v_cmp_eq_u32_e32 vcc, 0, v196
	s_and_b64 s[0:1], s[0:1], vcc
	v_cndmask_b32_e64 v196, v196, 36, s[0:1]
	s_waitcnt vmcnt(0)
	v_cmp_eq_f64_e32 vcc, 0, v[202:203]
	v_cmp_eq_f64_e64 s[0:1], 0, v[204:205]
	scratch_load_dwordx4 v[202:205], off, off offset:1088 ; 16-byte Folded Reload
	s_and_b64 s[0:1], vcc, s[0:1]
	v_cmp_eq_u32_e32 vcc, 0, v196
	s_and_b64 s[0:1], s[0:1], vcc
	v_cndmask_b32_e64 v196, v196, 37, s[0:1]
	s_waitcnt vmcnt(0)
	v_cmp_eq_f64_e32 vcc, 0, v[202:203]
	v_cmp_eq_f64_e64 s[0:1], 0, v[204:205]
	scratch_load_dwordx4 v[202:205], off, off offset:1104 ; 16-byte Folded Reload
	s_and_b64 s[0:1], vcc, s[0:1]
	v_cmp_eq_u32_e32 vcc, 0, v196
	s_and_b64 s[0:1], s[0:1], vcc
	v_cndmask_b32_e64 v196, v196, 38, s[0:1]
	s_waitcnt vmcnt(0)
	v_cmp_eq_f64_e32 vcc, 0, v[202:203]
	v_cmp_eq_f64_e64 s[0:1], 0, v[204:205]
	scratch_load_dwordx4 v[202:205], off, off offset:1120 ; 16-byte Folded Reload
	s_and_b64 s[0:1], vcc, s[0:1]
	v_cmp_eq_u32_e32 vcc, 0, v196
	s_and_b64 s[0:1], s[0:1], vcc
	v_cndmask_b32_e64 v196, v196, 39, s[0:1]
	s_waitcnt vmcnt(0)
	v_cmp_eq_f64_e32 vcc, 0, v[202:203]
	v_cmp_eq_f64_e64 s[0:1], 0, v[204:205]
	scratch_load_dwordx4 v[202:205], off, off offset:1136 ; 16-byte Folded Reload
	s_and_b64 s[0:1], vcc, s[0:1]
	v_cmp_eq_u32_e32 vcc, 0, v196
	s_and_b64 s[0:1], s[0:1], vcc
	v_cndmask_b32_e64 v198, v196, 40, s[0:1]
	v_mov_b32_e32 v196, s6
	s_waitcnt vmcnt(0)
	v_cmp_eq_f64_e32 vcc, 0, v[202:203]
	scratch_load_dwordx2 v[202:203], off, off offset:1184 ; 8-byte Folded Reload
	v_cmp_eq_f64_e64 s[0:1], 0, v[204:205]
	s_and_b64 s[0:1], vcc, s[0:1]
	v_cmp_eq_u32_e32 vcc, 0, v198
	s_and_b64 s[0:1], s[0:1], vcc
	s_waitcnt vmcnt(0)
	v_lshl_add_u64 v[204:205], v[202:203], 2, v[196:197]
	v_cndmask_b32_e64 v197, v198, 41, s[0:1]
	v_mov_b32_e32 v202, v200
	v_mov_b64_e32 v[200:201], v[78:79]
	v_mov_b64_e32 v[198:199], v[76:77]
	;; [unrolled: 1-line block ×58, first 2 shown]
	scratch_load_dwordx4 v[188:191], off, off offset:1152 ; 16-byte Folded Reload
	global_load_dword v196, v[204:205], off
	s_waitcnt vmcnt(1)
	v_cmp_eq_f64_e32 vcc, 0, v[188:189]
	v_cmp_eq_f64_e64 s[0:1], 0, v[190:191]
	s_and_b64 s[0:1], vcc, s[0:1]
	v_cmp_eq_u32_e32 vcc, 0, v197
	s_and_b64 s[0:1], s[0:1], vcc
	v_cndmask_b32_e64 v197, v197, 42, s[0:1]
	v_cmp_eq_f64_e32 vcc, 0, v[228:229]
	v_cmp_eq_f64_e64 s[0:1], 0, v[230:231]
	scratch_load_dwordx4 v[228:231], off, off offset:1168 ; 16-byte Folded Reload
	s_and_b64 s[0:1], vcc, s[0:1]
	v_cmp_eq_u32_e32 vcc, 0, v197
	s_and_b64 s[0:1], s[0:1], vcc
	v_cndmask_b32_e64 v197, v197, 43, s[0:1]
	v_cmp_eq_f64_e32 vcc, 0, v[232:233]
	v_cmp_eq_f64_e64 s[0:1], 0, v[234:235]
	s_and_b64 s[0:1], vcc, s[0:1]
	v_cmp_eq_u32_e32 vcc, 0, v197
	s_and_b64 s[0:1], s[0:1], vcc
	v_cndmask_b32_e64 v197, v197, 44, s[0:1]
	v_cmp_eq_f64_e32 vcc, 0, v[236:237]
	v_cmp_eq_f64_e64 s[0:1], 0, v[238:239]
	v_mov_b64_e32 v[190:191], v[186:187]
	s_and_b64 s[0:1], vcc, s[0:1]
	v_cmp_eq_u32_e32 vcc, 0, v197
	v_mov_b64_e32 v[188:189], v[184:185]
	v_mov_b64_e32 v[186:187], v[182:183]
	s_and_b64 s[0:1], s[0:1], vcc
	v_mov_b64_e32 v[184:185], v[180:181]
	v_mov_b64_e32 v[182:183], v[178:179]
	v_cndmask_b32_e64 v197, v197, 45, s[0:1]
	v_cmp_eq_f64_e32 vcc, 0, v[240:241]
	v_cmp_eq_f64_e64 s[0:1], 0, v[242:243]
	v_mov_b64_e32 v[180:181], v[176:177]
	v_mov_b64_e32 v[178:179], v[174:175]
	s_and_b64 s[0:1], vcc, s[0:1]
	v_cmp_eq_u32_e32 vcc, 0, v197
	v_mov_b64_e32 v[176:177], v[172:173]
	v_mov_b64_e32 v[174:175], v[170:171]
	s_and_b64 s[0:1], s[0:1], vcc
	v_mov_b64_e32 v[172:173], v[168:169]
	v_mov_b64_e32 v[170:171], v[166:167]
	v_cndmask_b32_e64 v197, v197, 46, s[0:1]
	v_mov_b64_e32 v[168:169], v[164:165]
	v_mov_b64_e32 v[166:167], v[162:163]
	;; [unrolled: 1-line block ×46, first 2 shown]
	s_waitcnt vmcnt(0)
	v_cmp_eq_f64_e32 vcc, 0, v[228:229]
	v_cmp_eq_f64_e64 s[0:1], 0, v[230:231]
	s_and_b64 s[0:1], vcc, s[0:1]
	v_cmp_eq_u32_e32 vcc, 0, v197
	s_and_b64 s[0:1], s[0:1], vcc
	v_cndmask_b32_e64 v197, v197, 47, s[0:1]
	v_cmp_eq_f64_e32 vcc, 0, v[244:245]
	v_cmp_eq_f64_e64 s[0:1], 0, v[246:247]
	s_and_b64 s[0:1], vcc, s[0:1]
	v_cmp_eq_u32_e32 vcc, 0, v197
	s_and_b64 s[0:1], s[0:1], vcc
	v_cndmask_b32_e64 v197, v197, 48, s[0:1]
	v_cmp_eq_f64_e32 vcc, 0, v[248:249]
	v_cmp_eq_f64_e64 s[0:1], 0, v[250:251]
	s_and_b64 s[0:1], vcc, s[0:1]
	v_cmp_eq_u32_e32 vcc, 0, v197
	s_and_b64 s[0:1], s[0:1], vcc
	v_cndmask_b32_e64 v197, v197, 49, s[0:1]
	v_cmp_eq_f64_e32 vcc, 0, v[252:253]
	v_cmp_eq_f64_e64 s[0:1], 0, v[254:255]
	s_and_b64 s[0:1], vcc, s[0:1]
	v_cmp_eq_u32_e32 vcc, 0, v197
	s_and_b64 s[0:1], s[0:1], vcc
	v_cndmask_b32_e64 v197, v197, 50, s[0:1]
	v_cmp_eq_f64_e32 vcc, 0, v[216:217]
	v_cmp_eq_f64_e64 s[0:1], 0, v[218:219]
	s_and_b64 s[0:1], vcc, s[0:1]
	v_cmp_eq_u32_e32 vcc, 0, v197
	s_and_b64 s[0:1], s[0:1], vcc
	v_cndmask_b32_e64 v197, v197, 51, s[0:1]
	v_cmp_eq_f64_e32 vcc, 0, v[220:221]
	v_cmp_eq_f64_e64 s[0:1], 0, v[222:223]
	s_and_b64 s[0:1], vcc, s[0:1]
	v_cmp_eq_u32_e32 vcc, 0, v197
	s_and_b64 s[0:1], s[0:1], vcc
	v_cndmask_b32_e64 v197, v197, 52, s[0:1]
	v_cmp_eq_f64_e32 vcc, 0, v[224:225]
	v_cmp_eq_f64_e64 s[0:1], 0, v[226:227]
	s_and_b64 s[0:1], vcc, s[0:1]
	v_cmp_eq_u32_e32 vcc, 0, v197
	s_and_b64 s[0:1], s[0:1], vcc
	v_cndmask_b32_e64 v197, v197, 53, s[0:1]
	v_cmp_eq_f64_e32 vcc, 0, v[208:209]
	v_cmp_eq_f64_e64 s[0:1], 0, v[210:211]
	s_and_b64 s[0:1], vcc, s[0:1]
	v_cmp_eq_u32_e32 vcc, 0, v197
	s_and_b64 s[0:1], s[0:1], vcc
	v_mov_b64_e32 v[78:79], v[200:201]
	v_cndmask_b32_e64 v201, v197, 54, s[0:1]
	v_cmp_eq_u32_e32 vcc, 0, v196
	v_cmp_ne_u32_e64 s[0:1], 0, v201
	v_mov_b32_e32 v200, v202
	s_and_b64 s[0:1], vcc, s[0:1]
	s_and_b64 exec, exec, s[0:1]
	s_cbranch_execz .LBB107_488
; %bb.487:
	v_add_u32_e32 v196, s9, v201
	global_store_dword v[204:205], v196, off
.LBB107_488:
	s_or_b64 exec, exec, s[2:3]
	s_waitcnt vmcnt(58)
	v_mul_f64 v[196:197], v[210:211], v[214:215]
	v_mul_f64 v[198:199], v[208:209], v[214:215]
	v_cmp_lt_u32_e32 vcc, 53, v200
	v_fma_f64 v[196:197], v[208:209], v[212:213], -v[196:197]
	v_fmac_f64_e32 v[198:199], v[210:211], v[212:213]
	v_cndmask_b32_e32 v211, v215, v199, vcc
	v_cndmask_b32_e32 v210, v214, v198, vcc
	;; [unrolled: 1-line block ×4, first 2 shown]
	scratch_load_dwordx2 v[196:197], off, off offset:64 ; 8-byte Folded Reload
	scratch_load_dwordx4 v[198:201], off, off offset:48 ; 16-byte Folded Reload
	s_waitcnt vmcnt(0)
	global_store_dwordx4 v[196:197], v[198:201], off
	scratch_load_dwordx2 v[196:197], off, off offset:488 ; 8-byte Folded Reload
	s_nop 0
	scratch_load_dwordx4 v[198:201], off, off offset:32 ; 16-byte Folded Reload
	s_waitcnt vmcnt(0)
	global_store_dwordx4 v[196:197], v[198:201], off
	scratch_load_dwordx2 v[196:197], off, off offset:72 ; 8-byte Folded Reload
	s_nop 0
	scratch_load_dwordx4 v[198:201], off, off offset:16 ; 16-byte Folded Reload
	s_waitcnt vmcnt(0)
	global_store_dwordx4 v[196:197], v[198:201], off
	scratch_load_dwordx2 v[196:197], off, off offset:80 ; 8-byte Folded Reload
	s_waitcnt vmcnt(0)
	global_store_dwordx4 v[196:197], v[192:195], off
	scratch_load_dwordx2 v[196:197], off, off offset:88 ; 8-byte Folded Reload
	s_nop 0
	scratch_load_dwordx4 v[192:195], off, off ; 16-byte Folded Reload
	s_waitcnt vmcnt(0)
	global_store_dwordx4 v[196:197], v[192:195], off
	scratch_load_dwordx2 v[192:193], off, off offset:96 ; 8-byte Folded Reload
	s_waitcnt vmcnt(0)
	global_store_dwordx4 v[192:193], v[188:191], off
	scratch_load_dwordx2 v[188:189], off, off offset:104 ; 8-byte Folded Reload
	;; [unrolled: 3-line block ×49, first 2 shown]
	s_waitcnt vmcnt(0)
	global_store_dwordx4 v[0:1], v[208:211], off
.LBB107_489:
	s_endpgm
	.section	.rodata,"a",@progbits
	.p2align	6, 0x0
	.amdhsa_kernel _ZN9rocsolver6v33100L23getf2_npvt_small_kernelILi54E19rocblas_complex_numIdEiiPS3_EEvT1_T3_lS5_lPT2_S5_S5_
		.amdhsa_group_segment_fixed_size 0
		.amdhsa_private_segment_fixed_size 1196
		.amdhsa_kernarg_size 312
		.amdhsa_user_sgpr_count 2
		.amdhsa_user_sgpr_dispatch_ptr 0
		.amdhsa_user_sgpr_queue_ptr 0
		.amdhsa_user_sgpr_kernarg_segment_ptr 1
		.amdhsa_user_sgpr_dispatch_id 0
		.amdhsa_user_sgpr_kernarg_preload_length 0
		.amdhsa_user_sgpr_kernarg_preload_offset 0
		.amdhsa_user_sgpr_private_segment_size 0
		.amdhsa_uses_dynamic_stack 0
		.amdhsa_enable_private_segment 1
		.amdhsa_system_sgpr_workgroup_id_x 1
		.amdhsa_system_sgpr_workgroup_id_y 1
		.amdhsa_system_sgpr_workgroup_id_z 0
		.amdhsa_system_sgpr_workgroup_info 0
		.amdhsa_system_vgpr_workitem_id 1
		.amdhsa_next_free_vgpr 256
		.amdhsa_next_free_sgpr 16
		.amdhsa_accum_offset 256
		.amdhsa_reserve_vcc 1
		.amdhsa_float_round_mode_32 0
		.amdhsa_float_round_mode_16_64 0
		.amdhsa_float_denorm_mode_32 3
		.amdhsa_float_denorm_mode_16_64 3
		.amdhsa_dx10_clamp 1
		.amdhsa_ieee_mode 1
		.amdhsa_fp16_overflow 0
		.amdhsa_tg_split 0
		.amdhsa_exception_fp_ieee_invalid_op 0
		.amdhsa_exception_fp_denorm_src 0
		.amdhsa_exception_fp_ieee_div_zero 0
		.amdhsa_exception_fp_ieee_overflow 0
		.amdhsa_exception_fp_ieee_underflow 0
		.amdhsa_exception_fp_ieee_inexact 0
		.amdhsa_exception_int_div_zero 0
	.end_amdhsa_kernel
	.section	.text._ZN9rocsolver6v33100L23getf2_npvt_small_kernelILi54E19rocblas_complex_numIdEiiPS3_EEvT1_T3_lS5_lPT2_S5_S5_,"axG",@progbits,_ZN9rocsolver6v33100L23getf2_npvt_small_kernelILi54E19rocblas_complex_numIdEiiPS3_EEvT1_T3_lS5_lPT2_S5_S5_,comdat
.Lfunc_end107:
	.size	_ZN9rocsolver6v33100L23getf2_npvt_small_kernelILi54E19rocblas_complex_numIdEiiPS3_EEvT1_T3_lS5_lPT2_S5_S5_, .Lfunc_end107-_ZN9rocsolver6v33100L23getf2_npvt_small_kernelILi54E19rocblas_complex_numIdEiiPS3_EEvT1_T3_lS5_lPT2_S5_S5_
                                        ; -- End function
	.set _ZN9rocsolver6v33100L23getf2_npvt_small_kernelILi54E19rocblas_complex_numIdEiiPS3_EEvT1_T3_lS5_lPT2_S5_S5_.num_vgpr, 256
	.set _ZN9rocsolver6v33100L23getf2_npvt_small_kernelILi54E19rocblas_complex_numIdEiiPS3_EEvT1_T3_lS5_lPT2_S5_S5_.num_agpr, 0
	.set _ZN9rocsolver6v33100L23getf2_npvt_small_kernelILi54E19rocblas_complex_numIdEiiPS3_EEvT1_T3_lS5_lPT2_S5_S5_.numbered_sgpr, 16
	.set _ZN9rocsolver6v33100L23getf2_npvt_small_kernelILi54E19rocblas_complex_numIdEiiPS3_EEvT1_T3_lS5_lPT2_S5_S5_.num_named_barrier, 0
	.set _ZN9rocsolver6v33100L23getf2_npvt_small_kernelILi54E19rocblas_complex_numIdEiiPS3_EEvT1_T3_lS5_lPT2_S5_S5_.private_seg_size, 1196
	.set _ZN9rocsolver6v33100L23getf2_npvt_small_kernelILi54E19rocblas_complex_numIdEiiPS3_EEvT1_T3_lS5_lPT2_S5_S5_.uses_vcc, 1
	.set _ZN9rocsolver6v33100L23getf2_npvt_small_kernelILi54E19rocblas_complex_numIdEiiPS3_EEvT1_T3_lS5_lPT2_S5_S5_.uses_flat_scratch, 0
	.set _ZN9rocsolver6v33100L23getf2_npvt_small_kernelILi54E19rocblas_complex_numIdEiiPS3_EEvT1_T3_lS5_lPT2_S5_S5_.has_dyn_sized_stack, 0
	.set _ZN9rocsolver6v33100L23getf2_npvt_small_kernelILi54E19rocblas_complex_numIdEiiPS3_EEvT1_T3_lS5_lPT2_S5_S5_.has_recursion, 0
	.set _ZN9rocsolver6v33100L23getf2_npvt_small_kernelILi54E19rocblas_complex_numIdEiiPS3_EEvT1_T3_lS5_lPT2_S5_S5_.has_indirect_call, 0
	.section	.AMDGPU.csdata,"",@progbits
; Kernel info:
; codeLenInByte = 129396
; TotalNumSgprs: 22
; NumVgprs: 256
; NumAgprs: 0
; TotalNumVgprs: 256
; ScratchSize: 1196
; MemoryBound: 1
; FloatMode: 240
; IeeeMode: 1
; LDSByteSize: 0 bytes/workgroup (compile time only)
; SGPRBlocks: 2
; VGPRBlocks: 31
; NumSGPRsForWavesPerEU: 22
; NumVGPRsForWavesPerEU: 256
; AccumOffset: 256
; Occupancy: 2
; WaveLimiterHint : 0
; COMPUTE_PGM_RSRC2:SCRATCH_EN: 1
; COMPUTE_PGM_RSRC2:USER_SGPR: 2
; COMPUTE_PGM_RSRC2:TRAP_HANDLER: 0
; COMPUTE_PGM_RSRC2:TGID_X_EN: 1
; COMPUTE_PGM_RSRC2:TGID_Y_EN: 1
; COMPUTE_PGM_RSRC2:TGID_Z_EN: 0
; COMPUTE_PGM_RSRC2:TIDIG_COMP_CNT: 1
; COMPUTE_PGM_RSRC3_GFX90A:ACCUM_OFFSET: 63
; COMPUTE_PGM_RSRC3_GFX90A:TG_SPLIT: 0
	.section	.text._ZN9rocsolver6v33100L18getf2_small_kernelILi55E19rocblas_complex_numIdEiiPS3_EEvT1_T3_lS5_lPS5_llPT2_S5_S5_S7_l,"axG",@progbits,_ZN9rocsolver6v33100L18getf2_small_kernelILi55E19rocblas_complex_numIdEiiPS3_EEvT1_T3_lS5_lPS5_llPT2_S5_S5_S7_l,comdat
	.globl	_ZN9rocsolver6v33100L18getf2_small_kernelILi55E19rocblas_complex_numIdEiiPS3_EEvT1_T3_lS5_lPS5_llPT2_S5_S5_S7_l ; -- Begin function _ZN9rocsolver6v33100L18getf2_small_kernelILi55E19rocblas_complex_numIdEiiPS3_EEvT1_T3_lS5_lPS5_llPT2_S5_S5_S7_l
	.p2align	8
	.type	_ZN9rocsolver6v33100L18getf2_small_kernelILi55E19rocblas_complex_numIdEiiPS3_EEvT1_T3_lS5_lPS5_llPT2_S5_S5_S7_l,@function
_ZN9rocsolver6v33100L18getf2_small_kernelILi55E19rocblas_complex_numIdEiiPS3_EEvT1_T3_lS5_lPS5_llPT2_S5_S5_S7_l: ; @_ZN9rocsolver6v33100L18getf2_small_kernelILi55E19rocblas_complex_numIdEiiPS3_EEvT1_T3_lS5_lPS5_llPT2_S5_S5_S7_l
; %bb.0:
	s_load_dword s2, s[0:1], 0x6c
	s_load_dwordx2 s[12:13], s[0:1], 0x48
	v_bfe_u32 v220, v0, 10, 10
	s_waitcnt lgkmcnt(0)
	s_lshr_b32 s2, s2, 16
	s_mul_i32 s3, s3, s2
	v_add_u32_e32 v8, s3, v220
	v_cmp_gt_i32_e32 vcc, s12, v8
	s_and_saveexec_b64 s[2:3], vcc
	s_cbranch_execnz .LBB108_1
; %bb.1157:
	s_getpc_b64 s[24:25]
.Lpost_getpc5:
	s_add_u32 s24, s24, (.LBB108_1156-.Lpost_getpc5)&4294967295
	s_addc_u32 s25, s25, (.LBB108_1156-.Lpost_getpc5)>>32
	s_setpc_b64 s[24:25]
.LBB108_1:
	s_load_dwordx4 s[4:7], s[0:1], 0x50
	v_ashrrev_i32_e32 v9, 31, v8
	v_mov_b64_e32 v[2:3], 0
	s_waitcnt lgkmcnt(0)
	s_cmp_eq_u64 s[4:5], 0
	s_cselect_b64 s[14:15], -1, 0
	s_and_b64 vcc, exec, s[14:15]
	s_cbranch_vccnz .LBB108_3
; %bb.2:
	v_mul_lo_u32 v1, s7, v8
	v_mul_lo_u32 v4, s6, v9
	v_mad_u64_u32 v[2:3], s[2:3], s6, v8, 0
	v_add3_u32 v3, v3, v4, v1
	v_lshl_add_u64 v[2:3], v[2:3], 2, s[4:5]
.LBB108_3:
	scratch_store_dwordx2 off, v[2:3], off offset:8 ; 8-byte Folded Spill
	s_load_dwordx4 s[16:19], s[0:1], 0x8
	s_load_dwordx8 s[4:11], s[0:1], 0x20
	s_load_dword s2, s[0:1], 0x18
	s_load_dword s20, s[0:1], 0x0
	v_mov_b32_e32 v231, 0
	s_waitcnt lgkmcnt(0)
	v_mov_b32_e32 v2, s16
	v_mul_lo_u32 v1, s5, v8
	v_mul_lo_u32 v6, s4, v9
	v_mad_u64_u32 v[4:5], s[4:5], s4, v8, 0
	v_mov_b32_e32 v3, s17
	v_add3_u32 v5, v5, v6, v1
	v_lshl_add_u64 v[2:3], v[4:5], 4, v[2:3]
	v_lshl_add_u64 v[72:73], s[18:19], 4, v[2:3]
	v_and_b32_e32 v2, 0x3ff, v0
	v_lshlrev_b32_e32 v230, 4, v2
	scratch_store_dwordx2 off, v[8:9], off offset:32 ; 8-byte Folded Spill
	v_lshl_add_u64 v[0:1], v[72:73], 0, v[230:231]
	s_ashr_i32 s3, s2, 31
	v_lshl_add_u64 v[10:11], s[2:3], 4, v[0:1]
	global_load_dwordx4 v[144:147], v[0:1], off
	global_load_dwordx4 v[14:17], v[10:11], off
	s_add_i32 s12, s2, s2
	v_mov_b32_e32 v224, v2
	v_add_u32_e32 v2, s12, v2
	v_add_u32_e32 v4, s2, v2
	;; [unrolled: 1-line block ×4, first 2 shown]
	v_ashrrev_i32_e32 v9, 31, v8
	v_add_u32_e32 v12, s2, v8
                                        ; kill: killed $vgpr0_vgpr1
	v_lshl_add_u64 v[0:1], v[8:9], 4, v[72:73]
	v_ashrrev_i32_e32 v13, 31, v12
	v_add_u32_e32 v8, s2, v12
                                        ; kill: killed $vgpr10_vgpr11
	v_lshl_add_u64 v[10:11], v[12:13], 4, v[72:73]
	v_add_u32_e32 v12, s2, v8
	v_ashrrev_i32_e32 v3, 31, v2
	v_ashrrev_i32_e32 v5, 31, v4
	v_lshl_add_u64 v[2:3], v[2:3], 4, v[72:73]
	v_ashrrev_i32_e32 v7, 31, v6
	v_ashrrev_i32_e32 v9, 31, v8
	;; [unrolled: 1-line block ×3, first 2 shown]
	scratch_store_dwordx2 off, v[72:73], off ; 8-byte Folded Spill
	v_lshl_add_u64 v[4:5], v[4:5], 4, v[72:73]
	v_lshl_add_u64 v[6:7], v[6:7], 4, v[72:73]
	v_lshl_add_u64 v[8:9], v[8:9], 4, v[72:73]
	s_load_dwordx2 s[4:5], s[0:1], 0x40
	s_max_i32 s0, s20, 55
	s_cmp_lt_i32 s20, 2
	s_waitcnt vmcnt(1)
	scratch_store_dwordx4 off, v[14:17], off offset:16 ; 16-byte Folded Spill
	s_nop 1
	v_add_u32_e32 v14, s2, v12
	v_add_u32_e32 v16, s2, v14
	;; [unrolled: 1-line block ×14, first 2 shown]
	v_ashrrev_i32_e32 v41, 31, v40
	v_lshl_add_u64 v[42:43], v[40:41], 4, v[72:73]
	v_add_u32_e32 v40, s2, v40
	v_ashrrev_i32_e32 v41, 31, v40
	v_lshl_add_u64 v[44:45], v[40:41], 4, v[72:73]
	v_add_u32_e32 v40, s2, v40
	;; [unrolled: 3-line block ×31, first 2 shown]
	v_ashrrev_i32_e32 v41, 31, v40
	v_ashrrev_i32_e32 v21, 31, v20
	;; [unrolled: 1-line block ×11, first 2 shown]
	v_lshl_add_u64 v[228:229], v[40:41], 4, v[72:73]
	v_add_u32_e32 v40, s2, v40
	v_ashrrev_i32_e32 v15, 31, v14
	v_ashrrev_i32_e32 v17, 31, v16
	;; [unrolled: 1-line block ×3, first 2 shown]
	v_lshl_add_u64 v[20:21], v[20:21], 4, v[72:73]
	v_lshl_add_u64 v[22:23], v[22:23], 4, v[72:73]
	;; [unrolled: 1-line block ×10, first 2 shown]
	v_ashrrev_i32_e32 v41, 31, v40
	v_lshl_add_u64 v[12:13], v[12:13], 4, v[72:73]
	v_lshl_add_u64 v[14:15], v[14:15], 4, v[72:73]
	;; [unrolled: 1-line block ×5, first 2 shown]
	global_load_dwordx4 v[212:215], v[2:3], off
	global_load_dwordx4 v[208:211], v[4:5], off
	;; [unrolled: 1-line block ×34, first 2 shown]
	s_nop 0
	global_load_dwordx4 v[68:71], v[70:71], off
	s_nop 0
	global_load_dwordx4 v[64:67], v[216:217], off
	global_load_dwordx4 v[60:63], v[218:219], off
	global_load_dwordx4 v[56:59], v[222:223], off
	global_load_dwordx4 v[52:55], v[232:233], off
	global_load_dwordx4 v[48:51], v[236:237], off
	global_load_dwordx4 v[44:47], v[238:239], off
	global_load_dwordx4 v[40:43], v[240:241], off
	global_load_dwordx4 v[36:39], v[242:243], off
	global_load_dwordx4 v[32:35], v[244:245], off
	global_load_dwordx4 v[28:31], v[246:247], off
	global_load_dwordx4 v[24:27], v[248:249], off
	global_load_dwordx4 v[20:23], v[250:251], off
	global_load_dwordx4 v[16:19], v[252:253], off
	global_load_dwordx4 v[12:15], v[254:255], off
	global_load_dwordx4 v[8:11], v[226:227], off
	global_load_dwordx4 v[4:7], v[234:235], off
	global_load_dwordx4 v[0:3], v[228:229], off
	global_load_dwordx4 v[216:219], v[148:149], off
	v_mul_lo_u32 v148, s0, v220
	v_mov_b64_e32 v[250:251], v[146:147]
	v_lshl_add_u32 v232, v148, 4, 0
	v_mov_b64_e32 v[248:249], v[144:145]
	v_add_u32_e32 v149, v232, v230
	ds_write2_b64 v149, v[248:249], v[250:251] offset1:1
	s_waitcnt lgkmcnt(0)
	s_barrier
	ds_read2_b64 v[220:223], v232 offset1:1
	v_lshlrev_b32_e32 v236, 4, v148
	s_cbranch_scc1 .LBB108_6
; %bb.4:
	v_add3_u32 v230, v236, 0, 16
	s_mov_b32 s16, 1
	v_mov_b32_e32 v231, 0
.LBB108_5:                              ; =>This Inner Loop Header: Depth=1
	ds_read2_b64 v[238:241], v230 offset1:1
	s_waitcnt lgkmcnt(1)
	v_xor_b32_e32 v149, 0x80000000, v221
	v_xor_b32_e32 v151, 0x80000000, v223
	v_cmp_gt_f64_e32 vcc, 0, v[222:223]
	v_cmp_gt_f64_e64 s[0:1], 0, v[220:221]
	v_mov_b32_e32 v148, v220
	v_mov_b32_e32 v150, v222
	v_cndmask_b32_e64 v149, v221, v149, s[0:1]
	v_cndmask_b32_e32 v151, v223, v151, vcc
	v_add_f64 v[148:149], v[148:149], v[150:151]
	s_waitcnt lgkmcnt(0)
	v_xor_b32_e32 v151, 0x80000000, v239
	v_xor_b32_e32 v227, 0x80000000, v241
	v_cmp_gt_f64_e32 vcc, 0, v[240:241]
	v_cmp_gt_f64_e64 s[0:1], 0, v[238:239]
	v_mov_b32_e32 v150, v238
	v_mov_b32_e32 v226, v240
	v_cndmask_b32_e64 v151, v239, v151, s[0:1]
	v_cndmask_b32_e32 v227, v241, v227, vcc
	v_add_f64 v[150:151], v[150:151], v[226:227]
	v_mov_b32_e32 v228, s16
	s_add_i32 s16, s16, 1
	v_cmp_lt_f64_e32 vcc, v[148:149], v[150:151]
	v_add_u32_e32 v230, 16, v230
	s_cmp_eq_u32 s20, s16
	v_cndmask_b32_e32 v221, v221, v239, vcc
	v_cndmask_b32_e32 v220, v220, v238, vcc
	;; [unrolled: 1-line block ×5, first 2 shown]
	s_cbranch_scc0 .LBB108_5
.LBB108_6:
	scratch_load_dwordx2 v[242:243], off, off offset:32 ; 8-byte Folded Reload
	scratch_load_dwordx4 v[244:247], off, off offset:16 ; 16-byte Folded Reload
	scratch_load_dwordx2 v[146:147], off, off offset:8 ; 8-byte Folded Reload
	s_waitcnt lgkmcnt(0)
	v_cmp_neq_f64_e32 vcc, 0, v[220:221]
	v_cmp_neq_f64_e64 s[0:1], 0, v[222:223]
	s_or_b64 s[16:17], vcc, s[0:1]
	v_mov_b32_e32 v234, 1
	v_mov_b32_e32 v237, 1
	s_and_saveexec_b64 s[0:1], s[16:17]
	s_cbranch_execz .LBB108_12
; %bb.7:
	v_cmp_ngt_f64_e64 s[16:17], |v[220:221]|, |v[222:223]|
	s_and_saveexec_b64 s[18:19], s[16:17]
	s_xor_b64 s[16:17], exec, s[18:19]
	s_cbranch_execz .LBB108_9
; %bb.8:
	v_div_scale_f64 v[148:149], s[18:19], v[222:223], v[222:223], v[220:221]
	v_rcp_f64_e32 v[150:151], v[148:149]
	v_div_scale_f64 v[226:227], vcc, v[220:221], v[222:223], v[220:221]
	v_fma_f64 v[228:229], -v[148:149], v[150:151], 1.0
	v_fmac_f64_e32 v[150:151], v[150:151], v[228:229]
	v_fma_f64 v[228:229], -v[148:149], v[150:151], 1.0
	v_fmac_f64_e32 v[150:151], v[150:151], v[228:229]
	v_mul_f64 v[228:229], v[226:227], v[150:151]
	v_fma_f64 v[148:149], -v[148:149], v[228:229], v[226:227]
	v_div_fmas_f64 v[148:149], v[148:149], v[150:151], v[228:229]
	v_div_fixup_f64 v[148:149], v[148:149], v[222:223], v[220:221]
	v_fmac_f64_e32 v[222:223], v[220:221], v[148:149]
	v_div_scale_f64 v[150:151], s[18:19], v[222:223], v[222:223], 1.0
	v_rcp_f64_e32 v[220:221], v[150:151]
	s_nop 0
	v_fma_f64 v[226:227], -v[150:151], v[220:221], 1.0
	v_fmac_f64_e32 v[220:221], v[220:221], v[226:227]
	v_fma_f64 v[226:227], -v[150:151], v[220:221], 1.0
	v_fmac_f64_e32 v[220:221], v[220:221], v[226:227]
	v_div_scale_f64 v[226:227], vcc, 1.0, v[222:223], 1.0
	v_mul_f64 v[228:229], v[226:227], v[220:221]
	v_fma_f64 v[150:151], -v[150:151], v[228:229], v[226:227]
	s_nop 1
	v_div_fmas_f64 v[150:151], v[150:151], v[220:221], v[228:229]
	v_div_fixup_f64 v[222:223], v[150:151], v[222:223], 1.0
	v_mul_f64 v[220:221], v[148:149], v[222:223]
	v_xor_b32_e32 v223, 0x80000000, v223
.LBB108_9:
	s_andn2_saveexec_b64 s[16:17], s[16:17]
	s_cbranch_execz .LBB108_11
; %bb.10:
	v_div_scale_f64 v[148:149], s[18:19], v[220:221], v[220:221], v[222:223]
	v_rcp_f64_e32 v[150:151], v[148:149]
	v_div_scale_f64 v[226:227], vcc, v[222:223], v[220:221], v[222:223]
	v_fma_f64 v[228:229], -v[148:149], v[150:151], 1.0
	v_fmac_f64_e32 v[150:151], v[150:151], v[228:229]
	v_fma_f64 v[228:229], -v[148:149], v[150:151], 1.0
	v_fmac_f64_e32 v[150:151], v[150:151], v[228:229]
	v_mul_f64 v[228:229], v[226:227], v[150:151]
	v_fma_f64 v[148:149], -v[148:149], v[228:229], v[226:227]
	v_div_fmas_f64 v[148:149], v[148:149], v[150:151], v[228:229]
	v_div_fixup_f64 v[148:149], v[148:149], v[220:221], v[222:223]
	v_fmac_f64_e32 v[220:221], v[222:223], v[148:149]
	v_div_scale_f64 v[150:151], s[18:19], v[220:221], v[220:221], 1.0
	v_rcp_f64_e32 v[222:223], v[150:151]
	s_nop 0
	v_fma_f64 v[226:227], -v[150:151], v[222:223], 1.0
	v_fmac_f64_e32 v[222:223], v[222:223], v[226:227]
	v_fma_f64 v[226:227], -v[150:151], v[222:223], 1.0
	v_fmac_f64_e32 v[222:223], v[222:223], v[226:227]
	v_div_scale_f64 v[226:227], vcc, 1.0, v[220:221], 1.0
	v_mul_f64 v[228:229], v[226:227], v[222:223]
	v_fma_f64 v[150:151], -v[150:151], v[228:229], v[226:227]
	s_nop 1
	v_div_fmas_f64 v[150:151], v[150:151], v[222:223], v[228:229]
	v_div_fixup_f64 v[220:221], v[150:151], v[220:221], 1.0
	v_mul_f64 v[222:223], v[148:149], -v[220:221]
.LBB108_11:
	s_or_b64 exec, exec, s[16:17]
	v_mov_b32_e32 v237, 0
	v_mov_b32_e32 v234, 2
.LBB108_12:
	s_or_b64 exec, exec, s[0:1]
	v_cmp_ne_u32_e32 vcc, v224, v231
	s_and_saveexec_b64 s[0:1], vcc
	s_xor_b64 s[0:1], exec, s[0:1]
	s_cbranch_execz .LBB108_18
; %bb.13:
	v_cmp_eq_u32_e32 vcc, 0, v224
	s_and_saveexec_b64 s[16:17], vcc
	s_cbranch_execz .LBB108_17
; %bb.14:
	v_cmp_ne_u32_e32 vcc, 0, v231
	s_xor_b64 s[18:19], s[14:15], -1
	s_and_b64 s[22:23], s[18:19], vcc
	s_and_saveexec_b64 s[18:19], s[22:23]
	s_cbranch_execz .LBB108_16
; %bb.15:
	v_ashrrev_i32_e32 v149, 31, v231
	v_mov_b32_e32 v148, v231
	s_waitcnt vmcnt(0)
	v_lshl_add_u64 v[148:149], v[148:149], 2, v[146:147]
	global_load_dword v150, v[148:149], off
	global_load_dword v151, v[146:147], off
	s_waitcnt vmcnt(1)
	global_store_dword v[146:147], v150, off
	s_waitcnt vmcnt(1)
	global_store_dword v[148:149], v151, off
.LBB108_16:
	s_or_b64 exec, exec, s[18:19]
	v_mov_b32_e32 v224, v231
.LBB108_17:
	s_or_b64 exec, exec, s[16:17]
.LBB108_18:
	s_or_saveexec_b64 s[0:1], s[0:1]
	v_mov_b32_e32 v233, v224
	s_xor_b64 exec, exec, s[0:1]
	s_cbranch_execz .LBB108_20
; %bb.19:
	v_mov_b32_e32 v233, 0
	s_waitcnt vmcnt(1)
	ds_write2_b64 v232, v[244:245], v[246:247] offset0:2 offset1:3
	ds_write2_b64 v232, v[212:213], v[214:215] offset0:4 offset1:5
	;; [unrolled: 1-line block ×54, first 2 shown]
.LBB108_20:
	s_or_b64 exec, exec, s[0:1]
	v_cmp_lt_i32_e32 vcc, 0, v233
	s_waitcnt lgkmcnt(0)
	s_barrier
	s_and_saveexec_b64 s[0:1], vcc
	s_cbranch_execz .LBB108_22
; %bb.21:
	ds_read2_b64 v[238:241], v232 offset0:2 offset1:3
	v_mul_f64 v[148:149], v[222:223], v[250:251]
	v_mul_f64 v[250:251], v[220:221], v[250:251]
	v_fma_f64 v[230:231], v[220:221], v[248:249], -v[148:149]
	v_fmac_f64_e32 v[250:251], v[222:223], v[248:249]
	ds_read2_b64 v[220:223], v232 offset0:4 offset1:5
	s_waitcnt lgkmcnt(1)
	v_mul_f64 v[148:149], v[240:241], v[250:251]
	v_mul_f64 v[150:151], v[238:239], v[250:251]
	v_fma_f64 v[148:149], v[238:239], v[230:231], -v[148:149]
	v_fmac_f64_e32 v[150:151], v[240:241], v[230:231]
	ds_read2_b64 v[238:241], v232 offset0:6 offset1:7
	s_waitcnt vmcnt(1)
	v_add_f64 v[244:245], v[244:245], -v[148:149]
	v_add_f64 v[246:247], v[246:247], -v[150:151]
	s_waitcnt lgkmcnt(1)
	v_mul_f64 v[148:149], v[222:223], v[250:251]
	v_mul_f64 v[150:151], v[220:221], v[250:251]
	v_fma_f64 v[148:149], v[220:221], v[230:231], -v[148:149]
	v_fmac_f64_e32 v[150:151], v[222:223], v[230:231]
	ds_read2_b64 v[220:223], v232 offset0:8 offset1:9
	v_add_f64 v[212:213], v[212:213], -v[148:149]
	v_add_f64 v[214:215], v[214:215], -v[150:151]
	s_waitcnt lgkmcnt(1)
	v_mul_f64 v[148:149], v[240:241], v[250:251]
	v_mul_f64 v[150:151], v[238:239], v[250:251]
	v_fma_f64 v[148:149], v[238:239], v[230:231], -v[148:149]
	v_fmac_f64_e32 v[150:151], v[240:241], v[230:231]
	ds_read2_b64 v[238:241], v232 offset0:10 offset1:11
	;; [unrolled: 8-line block ×51, first 2 shown]
	v_add_f64 v[4:5], v[4:5], -v[148:149]
	v_add_f64 v[6:7], v[6:7], -v[150:151]
	s_waitcnt lgkmcnt(1)
	v_mul_f64 v[148:149], v[240:241], v[250:251]
	v_mul_f64 v[150:151], v[238:239], v[250:251]
	v_fma_f64 v[148:149], v[238:239], v[230:231], -v[148:149]
	v_fmac_f64_e32 v[150:151], v[240:241], v[230:231]
	v_add_f64 v[0:1], v[0:1], -v[148:149]
	v_add_f64 v[2:3], v[2:3], -v[150:151]
	s_waitcnt lgkmcnt(0)
	v_mul_f64 v[148:149], v[222:223], v[250:251]
	v_mul_f64 v[150:151], v[220:221], v[250:251]
	v_fma_f64 v[148:149], v[220:221], v[230:231], -v[148:149]
	v_fmac_f64_e32 v[150:151], v[222:223], v[230:231]
	v_add_f64 v[216:217], v[216:217], -v[148:149]
	v_add_f64 v[218:219], v[218:219], -v[150:151]
	v_mov_b64_e32 v[248:249], v[230:231]
.LBB108_22:
	s_or_b64 exec, exec, s[0:1]
	v_lshl_add_u32 v148, v233, 4, v232
	s_barrier
	s_waitcnt vmcnt(1)
	ds_write2_b64 v148, v[244:245], v[246:247] offset1:1
	s_waitcnt lgkmcnt(0)
	s_barrier
	ds_read2_b64 v[220:223], v232 offset0:2 offset1:3
	s_cmp_lt_i32 s20, 3
	v_mov_b32_e32 v230, 1
	s_cbranch_scc1 .LBB108_25
; %bb.23:
	v_add3_u32 v231, v236, 0, 32
	s_mov_b32 s16, 2
	v_mov_b32_e32 v230, 1
.LBB108_24:                             ; =>This Inner Loop Header: Depth=1
	ds_read2_b64 v[238:241], v231 offset1:1
	s_waitcnt lgkmcnt(1)
	v_xor_b32_e32 v149, 0x80000000, v221
	v_xor_b32_e32 v151, 0x80000000, v223
	v_cmp_gt_f64_e32 vcc, 0, v[222:223]
	v_cmp_gt_f64_e64 s[0:1], 0, v[220:221]
	v_mov_b32_e32 v148, v220
	v_mov_b32_e32 v150, v222
	v_cndmask_b32_e64 v149, v221, v149, s[0:1]
	v_cndmask_b32_e32 v151, v223, v151, vcc
	v_add_f64 v[148:149], v[148:149], v[150:151]
	s_waitcnt lgkmcnt(0)
	v_xor_b32_e32 v151, 0x80000000, v239
	v_xor_b32_e32 v227, 0x80000000, v241
	v_cmp_gt_f64_e32 vcc, 0, v[240:241]
	v_cmp_gt_f64_e64 s[0:1], 0, v[238:239]
	v_mov_b32_e32 v150, v238
	v_mov_b32_e32 v226, v240
	v_cndmask_b32_e64 v151, v239, v151, s[0:1]
	v_cndmask_b32_e32 v227, v241, v227, vcc
	v_add_f64 v[150:151], v[150:151], v[226:227]
	v_mov_b32_e32 v228, s16
	s_add_i32 s16, s16, 1
	v_cmp_lt_f64_e32 vcc, v[148:149], v[150:151]
	v_add_u32_e32 v231, 16, v231
	s_cmp_lg_u32 s20, s16
	v_cndmask_b32_e32 v221, v221, v239, vcc
	v_cndmask_b32_e32 v220, v220, v238, vcc
	;; [unrolled: 1-line block ×5, first 2 shown]
	s_cbranch_scc1 .LBB108_24
.LBB108_25:
	s_waitcnt lgkmcnt(0)
	v_cmp_neq_f64_e32 vcc, 0, v[220:221]
	v_cmp_neq_f64_e64 s[0:1], 0, v[222:223]
	s_or_b64 s[16:17], vcc, s[0:1]
	s_and_saveexec_b64 s[0:1], s[16:17]
	s_cbranch_execz .LBB108_31
; %bb.26:
	v_cmp_ngt_f64_e64 s[16:17], |v[220:221]|, |v[222:223]|
	s_and_saveexec_b64 s[18:19], s[16:17]
	s_xor_b64 s[16:17], exec, s[18:19]
	s_cbranch_execz .LBB108_28
; %bb.27:
	v_div_scale_f64 v[148:149], s[18:19], v[222:223], v[222:223], v[220:221]
	v_rcp_f64_e32 v[150:151], v[148:149]
	v_div_scale_f64 v[226:227], vcc, v[220:221], v[222:223], v[220:221]
	v_fma_f64 v[228:229], -v[148:149], v[150:151], 1.0
	v_fmac_f64_e32 v[150:151], v[150:151], v[228:229]
	v_fma_f64 v[228:229], -v[148:149], v[150:151], 1.0
	v_fmac_f64_e32 v[150:151], v[150:151], v[228:229]
	v_mul_f64 v[228:229], v[226:227], v[150:151]
	v_fma_f64 v[148:149], -v[148:149], v[228:229], v[226:227]
	v_div_fmas_f64 v[148:149], v[148:149], v[150:151], v[228:229]
	v_div_fixup_f64 v[148:149], v[148:149], v[222:223], v[220:221]
	v_fmac_f64_e32 v[222:223], v[220:221], v[148:149]
	v_div_scale_f64 v[150:151], s[18:19], v[222:223], v[222:223], 1.0
	v_rcp_f64_e32 v[220:221], v[150:151]
	s_nop 0
	v_fma_f64 v[226:227], -v[150:151], v[220:221], 1.0
	v_fmac_f64_e32 v[220:221], v[220:221], v[226:227]
	v_fma_f64 v[226:227], -v[150:151], v[220:221], 1.0
	v_fmac_f64_e32 v[220:221], v[220:221], v[226:227]
	v_div_scale_f64 v[226:227], vcc, 1.0, v[222:223], 1.0
	v_mul_f64 v[228:229], v[226:227], v[220:221]
	v_fma_f64 v[150:151], -v[150:151], v[228:229], v[226:227]
	s_nop 1
	v_div_fmas_f64 v[150:151], v[150:151], v[220:221], v[228:229]
	v_div_fixup_f64 v[222:223], v[150:151], v[222:223], 1.0
	v_mul_f64 v[220:221], v[148:149], v[222:223]
	v_xor_b32_e32 v223, 0x80000000, v223
.LBB108_28:
	s_andn2_saveexec_b64 s[16:17], s[16:17]
	s_cbranch_execz .LBB108_30
; %bb.29:
	v_div_scale_f64 v[148:149], s[18:19], v[220:221], v[220:221], v[222:223]
	v_rcp_f64_e32 v[150:151], v[148:149]
	v_div_scale_f64 v[226:227], vcc, v[222:223], v[220:221], v[222:223]
	v_fma_f64 v[228:229], -v[148:149], v[150:151], 1.0
	v_fmac_f64_e32 v[150:151], v[150:151], v[228:229]
	v_fma_f64 v[228:229], -v[148:149], v[150:151], 1.0
	v_fmac_f64_e32 v[150:151], v[150:151], v[228:229]
	v_mul_f64 v[228:229], v[226:227], v[150:151]
	v_fma_f64 v[148:149], -v[148:149], v[228:229], v[226:227]
	v_div_fmas_f64 v[148:149], v[148:149], v[150:151], v[228:229]
	v_div_fixup_f64 v[148:149], v[148:149], v[220:221], v[222:223]
	v_fmac_f64_e32 v[220:221], v[222:223], v[148:149]
	v_div_scale_f64 v[150:151], s[18:19], v[220:221], v[220:221], 1.0
	v_rcp_f64_e32 v[222:223], v[150:151]
	s_nop 0
	v_fma_f64 v[226:227], -v[150:151], v[222:223], 1.0
	v_fmac_f64_e32 v[222:223], v[222:223], v[226:227]
	v_fma_f64 v[226:227], -v[150:151], v[222:223], 1.0
	v_fmac_f64_e32 v[222:223], v[222:223], v[226:227]
	v_div_scale_f64 v[226:227], vcc, 1.0, v[220:221], 1.0
	v_mul_f64 v[228:229], v[226:227], v[222:223]
	v_fma_f64 v[150:151], -v[150:151], v[228:229], v[226:227]
	s_nop 1
	v_div_fmas_f64 v[150:151], v[150:151], v[222:223], v[228:229]
	v_div_fixup_f64 v[220:221], v[150:151], v[220:221], 1.0
	v_mul_f64 v[222:223], v[148:149], -v[220:221]
.LBB108_30:
	s_or_b64 exec, exec, s[16:17]
	v_mov_b32_e32 v234, v237
.LBB108_31:
	s_or_b64 exec, exec, s[0:1]
	v_cmp_ne_u32_e32 vcc, v233, v230
	s_and_saveexec_b64 s[0:1], vcc
	s_xor_b64 s[0:1], exec, s[0:1]
	s_cbranch_execz .LBB108_37
; %bb.32:
	v_cmp_eq_u32_e32 vcc, 1, v233
	s_and_saveexec_b64 s[16:17], vcc
	s_cbranch_execz .LBB108_36
; %bb.33:
	v_cmp_ne_u32_e32 vcc, 1, v230
	s_xor_b64 s[18:19], s[14:15], -1
	s_and_b64 s[22:23], s[18:19], vcc
	s_and_saveexec_b64 s[18:19], s[22:23]
	s_cbranch_execz .LBB108_35
; %bb.34:
	v_ashrrev_i32_e32 v231, 31, v230
	s_waitcnt vmcnt(0)
	v_lshl_add_u64 v[148:149], v[230:231], 2, v[146:147]
	global_load_dword v150, v[148:149], off
	global_load_dword v151, v[146:147], off offset:4
	s_waitcnt vmcnt(1)
	global_store_dword v[146:147], v150, off offset:4
	s_waitcnt vmcnt(1)
	global_store_dword v[148:149], v151, off
.LBB108_35:
	s_or_b64 exec, exec, s[18:19]
	v_mov_b32_e32 v233, v230
	v_mov_b32_e32 v224, v230
.LBB108_36:
	s_or_b64 exec, exec, s[16:17]
.LBB108_37:
	s_andn2_saveexec_b64 s[0:1], s[0:1]
	s_cbranch_execz .LBB108_39
; %bb.38:
	v_mov_b32_e32 v233, 1
	ds_write2_b64 v232, v[212:213], v[214:215] offset0:4 offset1:5
	ds_write2_b64 v232, v[208:209], v[210:211] offset0:6 offset1:7
	;; [unrolled: 1-line block ×53, first 2 shown]
.LBB108_39:
	s_or_b64 exec, exec, s[0:1]
	v_cmp_lt_i32_e32 vcc, 1, v233
	s_waitcnt lgkmcnt(0)
	s_barrier
	s_and_saveexec_b64 s[0:1], vcc
	s_cbranch_execz .LBB108_41
; %bb.40:
	ds_read2_b64 v[238:241], v232 offset0:4 offset1:5
	v_mul_f64 v[148:149], v[222:223], v[246:247]
	v_mul_f64 v[246:247], v[220:221], v[246:247]
	v_fma_f64 v[230:231], v[220:221], v[244:245], -v[148:149]
	v_fmac_f64_e32 v[246:247], v[222:223], v[244:245]
	ds_read2_b64 v[220:223], v232 offset0:6 offset1:7
	s_waitcnt lgkmcnt(1)
	v_mul_f64 v[144:145], v[240:241], v[246:247]
	v_mul_f64 v[148:149], v[238:239], v[246:247]
	v_fma_f64 v[144:145], v[238:239], v[230:231], -v[144:145]
	v_fmac_f64_e32 v[148:149], v[240:241], v[230:231]
	ds_read2_b64 v[238:241], v232 offset0:8 offset1:9
	v_add_f64 v[212:213], v[212:213], -v[144:145]
	v_add_f64 v[214:215], v[214:215], -v[148:149]
	s_waitcnt lgkmcnt(1)
	v_mul_f64 v[144:145], v[222:223], v[246:247]
	v_mul_f64 v[148:149], v[220:221], v[246:247]
	v_fma_f64 v[144:145], v[220:221], v[230:231], -v[144:145]
	v_fmac_f64_e32 v[148:149], v[222:223], v[230:231]
	ds_read2_b64 v[220:223], v232 offset0:10 offset1:11
	v_add_f64 v[208:209], v[208:209], -v[144:145]
	v_add_f64 v[210:211], v[210:211], -v[148:149]
	s_waitcnt lgkmcnt(1)
	v_mul_f64 v[144:145], v[240:241], v[246:247]
	v_mul_f64 v[148:149], v[238:239], v[246:247]
	v_fma_f64 v[144:145], v[238:239], v[230:231], -v[144:145]
	v_fmac_f64_e32 v[148:149], v[240:241], v[230:231]
	ds_read2_b64 v[238:241], v232 offset0:12 offset1:13
	v_add_f64 v[204:205], v[204:205], -v[144:145]
	v_add_f64 v[206:207], v[206:207], -v[148:149]
	s_waitcnt lgkmcnt(1)
	v_mul_f64 v[144:145], v[222:223], v[246:247]
	v_mul_f64 v[148:149], v[220:221], v[246:247]
	v_fma_f64 v[144:145], v[220:221], v[230:231], -v[144:145]
	v_fmac_f64_e32 v[148:149], v[222:223], v[230:231]
	ds_read2_b64 v[220:223], v232 offset0:14 offset1:15
	v_add_f64 v[200:201], v[200:201], -v[144:145]
	v_add_f64 v[202:203], v[202:203], -v[148:149]
	s_waitcnt lgkmcnt(1)
	v_mul_f64 v[144:145], v[240:241], v[246:247]
	v_mul_f64 v[148:149], v[238:239], v[246:247]
	v_fma_f64 v[144:145], v[238:239], v[230:231], -v[144:145]
	v_fmac_f64_e32 v[148:149], v[240:241], v[230:231]
	ds_read2_b64 v[238:241], v232 offset0:16 offset1:17
	v_add_f64 v[196:197], v[196:197], -v[144:145]
	v_add_f64 v[198:199], v[198:199], -v[148:149]
	s_waitcnt lgkmcnt(1)
	v_mul_f64 v[144:145], v[222:223], v[246:247]
	v_mul_f64 v[148:149], v[220:221], v[246:247]
	v_fma_f64 v[144:145], v[220:221], v[230:231], -v[144:145]
	v_fmac_f64_e32 v[148:149], v[222:223], v[230:231]
	ds_read2_b64 v[220:223], v232 offset0:18 offset1:19
	v_add_f64 v[192:193], v[192:193], -v[144:145]
	v_add_f64 v[194:195], v[194:195], -v[148:149]
	s_waitcnt lgkmcnt(1)
	v_mul_f64 v[144:145], v[240:241], v[246:247]
	v_mul_f64 v[148:149], v[238:239], v[246:247]
	v_fma_f64 v[144:145], v[238:239], v[230:231], -v[144:145]
	v_fmac_f64_e32 v[148:149], v[240:241], v[230:231]
	ds_read2_b64 v[238:241], v232 offset0:20 offset1:21
	v_add_f64 v[188:189], v[188:189], -v[144:145]
	v_add_f64 v[190:191], v[190:191], -v[148:149]
	s_waitcnt lgkmcnt(1)
	v_mul_f64 v[144:145], v[222:223], v[246:247]
	v_mul_f64 v[148:149], v[220:221], v[246:247]
	v_fma_f64 v[144:145], v[220:221], v[230:231], -v[144:145]
	v_fmac_f64_e32 v[148:149], v[222:223], v[230:231]
	ds_read2_b64 v[220:223], v232 offset0:22 offset1:23
	v_add_f64 v[184:185], v[184:185], -v[144:145]
	v_add_f64 v[186:187], v[186:187], -v[148:149]
	s_waitcnt lgkmcnt(1)
	v_mul_f64 v[144:145], v[240:241], v[246:247]
	v_mul_f64 v[148:149], v[238:239], v[246:247]
	v_fma_f64 v[144:145], v[238:239], v[230:231], -v[144:145]
	v_fmac_f64_e32 v[148:149], v[240:241], v[230:231]
	ds_read2_b64 v[238:241], v232 offset0:24 offset1:25
	v_add_f64 v[180:181], v[180:181], -v[144:145]
	v_add_f64 v[182:183], v[182:183], -v[148:149]
	s_waitcnt lgkmcnt(1)
	v_mul_f64 v[144:145], v[222:223], v[246:247]
	v_mul_f64 v[148:149], v[220:221], v[246:247]
	v_fma_f64 v[144:145], v[220:221], v[230:231], -v[144:145]
	v_fmac_f64_e32 v[148:149], v[222:223], v[230:231]
	ds_read2_b64 v[220:223], v232 offset0:26 offset1:27
	v_add_f64 v[176:177], v[176:177], -v[144:145]
	v_add_f64 v[178:179], v[178:179], -v[148:149]
	s_waitcnt lgkmcnt(1)
	v_mul_f64 v[144:145], v[240:241], v[246:247]
	v_mul_f64 v[148:149], v[238:239], v[246:247]
	v_fma_f64 v[144:145], v[238:239], v[230:231], -v[144:145]
	v_fmac_f64_e32 v[148:149], v[240:241], v[230:231]
	ds_read2_b64 v[238:241], v232 offset0:28 offset1:29
	v_add_f64 v[172:173], v[172:173], -v[144:145]
	v_add_f64 v[174:175], v[174:175], -v[148:149]
	s_waitcnt lgkmcnt(1)
	v_mul_f64 v[144:145], v[222:223], v[246:247]
	v_mul_f64 v[148:149], v[220:221], v[246:247]
	v_fma_f64 v[144:145], v[220:221], v[230:231], -v[144:145]
	v_fmac_f64_e32 v[148:149], v[222:223], v[230:231]
	ds_read2_b64 v[220:223], v232 offset0:30 offset1:31
	v_add_f64 v[168:169], v[168:169], -v[144:145]
	v_add_f64 v[170:171], v[170:171], -v[148:149]
	s_waitcnt lgkmcnt(1)
	v_mul_f64 v[144:145], v[240:241], v[246:247]
	v_mul_f64 v[148:149], v[238:239], v[246:247]
	v_fma_f64 v[144:145], v[238:239], v[230:231], -v[144:145]
	v_fmac_f64_e32 v[148:149], v[240:241], v[230:231]
	ds_read2_b64 v[238:241], v232 offset0:32 offset1:33
	v_add_f64 v[164:165], v[164:165], -v[144:145]
	v_add_f64 v[166:167], v[166:167], -v[148:149]
	s_waitcnt lgkmcnt(1)
	v_mul_f64 v[144:145], v[222:223], v[246:247]
	v_mul_f64 v[148:149], v[220:221], v[246:247]
	v_fma_f64 v[144:145], v[220:221], v[230:231], -v[144:145]
	v_fmac_f64_e32 v[148:149], v[222:223], v[230:231]
	ds_read2_b64 v[220:223], v232 offset0:34 offset1:35
	v_add_f64 v[160:161], v[160:161], -v[144:145]
	v_add_f64 v[162:163], v[162:163], -v[148:149]
	s_waitcnt lgkmcnt(1)
	v_mul_f64 v[144:145], v[240:241], v[246:247]
	v_mul_f64 v[148:149], v[238:239], v[246:247]
	v_fma_f64 v[144:145], v[238:239], v[230:231], -v[144:145]
	v_fmac_f64_e32 v[148:149], v[240:241], v[230:231]
	ds_read2_b64 v[238:241], v232 offset0:36 offset1:37
	v_add_f64 v[156:157], v[156:157], -v[144:145]
	v_add_f64 v[158:159], v[158:159], -v[148:149]
	s_waitcnt lgkmcnt(1)
	v_mul_f64 v[144:145], v[222:223], v[246:247]
	v_mul_f64 v[148:149], v[220:221], v[246:247]
	v_fma_f64 v[144:145], v[220:221], v[230:231], -v[144:145]
	v_fmac_f64_e32 v[148:149], v[222:223], v[230:231]
	ds_read2_b64 v[220:223], v232 offset0:38 offset1:39
	v_add_f64 v[152:153], v[152:153], -v[144:145]
	v_add_f64 v[154:155], v[154:155], -v[148:149]
	s_waitcnt lgkmcnt(1)
	v_mul_f64 v[144:145], v[240:241], v[246:247]
	v_mul_f64 v[148:149], v[238:239], v[246:247]
	v_fma_f64 v[144:145], v[238:239], v[230:231], -v[144:145]
	v_fmac_f64_e32 v[148:149], v[240:241], v[230:231]
	ds_read2_b64 v[238:241], v232 offset0:40 offset1:41
	v_add_f64 v[140:141], v[140:141], -v[144:145]
	v_add_f64 v[142:143], v[142:143], -v[148:149]
	s_waitcnt lgkmcnt(1)
	v_mul_f64 v[144:145], v[222:223], v[246:247]
	v_mul_f64 v[148:149], v[220:221], v[246:247]
	v_fma_f64 v[144:145], v[220:221], v[230:231], -v[144:145]
	v_fmac_f64_e32 v[148:149], v[222:223], v[230:231]
	ds_read2_b64 v[220:223], v232 offset0:42 offset1:43
	v_add_f64 v[136:137], v[136:137], -v[144:145]
	v_add_f64 v[138:139], v[138:139], -v[148:149]
	s_waitcnt lgkmcnt(1)
	v_mul_f64 v[144:145], v[240:241], v[246:247]
	v_mul_f64 v[148:149], v[238:239], v[246:247]
	v_fma_f64 v[144:145], v[238:239], v[230:231], -v[144:145]
	v_fmac_f64_e32 v[148:149], v[240:241], v[230:231]
	ds_read2_b64 v[238:241], v232 offset0:44 offset1:45
	v_add_f64 v[132:133], v[132:133], -v[144:145]
	v_add_f64 v[134:135], v[134:135], -v[148:149]
	s_waitcnt lgkmcnt(1)
	v_mul_f64 v[144:145], v[222:223], v[246:247]
	v_mul_f64 v[148:149], v[220:221], v[246:247]
	v_fma_f64 v[144:145], v[220:221], v[230:231], -v[144:145]
	v_fmac_f64_e32 v[148:149], v[222:223], v[230:231]
	ds_read2_b64 v[220:223], v232 offset0:46 offset1:47
	v_add_f64 v[128:129], v[128:129], -v[144:145]
	v_add_f64 v[130:131], v[130:131], -v[148:149]
	s_waitcnt lgkmcnt(1)
	v_mul_f64 v[144:145], v[240:241], v[246:247]
	v_mul_f64 v[148:149], v[238:239], v[246:247]
	v_fma_f64 v[144:145], v[238:239], v[230:231], -v[144:145]
	v_fmac_f64_e32 v[148:149], v[240:241], v[230:231]
	ds_read2_b64 v[238:241], v232 offset0:48 offset1:49
	v_add_f64 v[124:125], v[124:125], -v[144:145]
	v_add_f64 v[126:127], v[126:127], -v[148:149]
	s_waitcnt lgkmcnt(1)
	v_mul_f64 v[144:145], v[222:223], v[246:247]
	v_mul_f64 v[148:149], v[220:221], v[246:247]
	v_fma_f64 v[144:145], v[220:221], v[230:231], -v[144:145]
	v_fmac_f64_e32 v[148:149], v[222:223], v[230:231]
	ds_read2_b64 v[220:223], v232 offset0:50 offset1:51
	v_add_f64 v[120:121], v[120:121], -v[144:145]
	v_add_f64 v[122:123], v[122:123], -v[148:149]
	s_waitcnt lgkmcnt(1)
	v_mul_f64 v[144:145], v[240:241], v[246:247]
	v_mul_f64 v[148:149], v[238:239], v[246:247]
	v_fma_f64 v[144:145], v[238:239], v[230:231], -v[144:145]
	v_fmac_f64_e32 v[148:149], v[240:241], v[230:231]
	ds_read2_b64 v[238:241], v232 offset0:52 offset1:53
	v_add_f64 v[116:117], v[116:117], -v[144:145]
	v_add_f64 v[118:119], v[118:119], -v[148:149]
	s_waitcnt lgkmcnt(1)
	v_mul_f64 v[144:145], v[222:223], v[246:247]
	v_mul_f64 v[148:149], v[220:221], v[246:247]
	v_fma_f64 v[144:145], v[220:221], v[230:231], -v[144:145]
	v_fmac_f64_e32 v[148:149], v[222:223], v[230:231]
	ds_read2_b64 v[220:223], v232 offset0:54 offset1:55
	v_add_f64 v[112:113], v[112:113], -v[144:145]
	v_add_f64 v[114:115], v[114:115], -v[148:149]
	s_waitcnt lgkmcnt(1)
	v_mul_f64 v[144:145], v[240:241], v[246:247]
	v_mul_f64 v[148:149], v[238:239], v[246:247]
	v_fma_f64 v[144:145], v[238:239], v[230:231], -v[144:145]
	v_fmac_f64_e32 v[148:149], v[240:241], v[230:231]
	ds_read2_b64 v[238:241], v232 offset0:56 offset1:57
	v_add_f64 v[108:109], v[108:109], -v[144:145]
	v_add_f64 v[110:111], v[110:111], -v[148:149]
	s_waitcnt lgkmcnt(1)
	v_mul_f64 v[144:145], v[222:223], v[246:247]
	v_mul_f64 v[148:149], v[220:221], v[246:247]
	v_fma_f64 v[144:145], v[220:221], v[230:231], -v[144:145]
	v_fmac_f64_e32 v[148:149], v[222:223], v[230:231]
	ds_read2_b64 v[220:223], v232 offset0:58 offset1:59
	v_add_f64 v[104:105], v[104:105], -v[144:145]
	v_add_f64 v[106:107], v[106:107], -v[148:149]
	s_waitcnt lgkmcnt(1)
	v_mul_f64 v[144:145], v[240:241], v[246:247]
	v_mul_f64 v[148:149], v[238:239], v[246:247]
	v_fma_f64 v[144:145], v[238:239], v[230:231], -v[144:145]
	v_fmac_f64_e32 v[148:149], v[240:241], v[230:231]
	ds_read2_b64 v[238:241], v232 offset0:60 offset1:61
	v_add_f64 v[100:101], v[100:101], -v[144:145]
	v_add_f64 v[102:103], v[102:103], -v[148:149]
	s_waitcnt lgkmcnt(1)
	v_mul_f64 v[144:145], v[222:223], v[246:247]
	v_mul_f64 v[148:149], v[220:221], v[246:247]
	v_fma_f64 v[144:145], v[220:221], v[230:231], -v[144:145]
	v_fmac_f64_e32 v[148:149], v[222:223], v[230:231]
	ds_read2_b64 v[220:223], v232 offset0:62 offset1:63
	v_add_f64 v[96:97], v[96:97], -v[144:145]
	v_add_f64 v[98:99], v[98:99], -v[148:149]
	s_waitcnt lgkmcnt(1)
	v_mul_f64 v[144:145], v[240:241], v[246:247]
	v_mul_f64 v[148:149], v[238:239], v[246:247]
	v_fma_f64 v[144:145], v[238:239], v[230:231], -v[144:145]
	v_fmac_f64_e32 v[148:149], v[240:241], v[230:231]
	ds_read2_b64 v[238:241], v232 offset0:64 offset1:65
	v_add_f64 v[92:93], v[92:93], -v[144:145]
	v_add_f64 v[94:95], v[94:95], -v[148:149]
	s_waitcnt lgkmcnt(1)
	v_mul_f64 v[144:145], v[222:223], v[246:247]
	v_mul_f64 v[148:149], v[220:221], v[246:247]
	v_fma_f64 v[144:145], v[220:221], v[230:231], -v[144:145]
	v_fmac_f64_e32 v[148:149], v[222:223], v[230:231]
	ds_read2_b64 v[220:223], v232 offset0:66 offset1:67
	v_add_f64 v[88:89], v[88:89], -v[144:145]
	v_add_f64 v[90:91], v[90:91], -v[148:149]
	s_waitcnt lgkmcnt(1)
	v_mul_f64 v[144:145], v[240:241], v[246:247]
	v_mul_f64 v[148:149], v[238:239], v[246:247]
	v_fma_f64 v[144:145], v[238:239], v[230:231], -v[144:145]
	v_fmac_f64_e32 v[148:149], v[240:241], v[230:231]
	ds_read2_b64 v[238:241], v232 offset0:68 offset1:69
	v_add_f64 v[84:85], v[84:85], -v[144:145]
	v_add_f64 v[86:87], v[86:87], -v[148:149]
	s_waitcnt lgkmcnt(1)
	v_mul_f64 v[144:145], v[222:223], v[246:247]
	v_mul_f64 v[148:149], v[220:221], v[246:247]
	v_fma_f64 v[144:145], v[220:221], v[230:231], -v[144:145]
	v_fmac_f64_e32 v[148:149], v[222:223], v[230:231]
	ds_read2_b64 v[220:223], v232 offset0:70 offset1:71
	v_add_f64 v[80:81], v[80:81], -v[144:145]
	v_add_f64 v[82:83], v[82:83], -v[148:149]
	s_waitcnt lgkmcnt(1)
	v_mul_f64 v[144:145], v[240:241], v[246:247]
	v_mul_f64 v[148:149], v[238:239], v[246:247]
	v_fma_f64 v[144:145], v[238:239], v[230:231], -v[144:145]
	v_fmac_f64_e32 v[148:149], v[240:241], v[230:231]
	ds_read2_b64 v[238:241], v232 offset0:72 offset1:73
	v_add_f64 v[76:77], v[76:77], -v[144:145]
	v_add_f64 v[78:79], v[78:79], -v[148:149]
	s_waitcnt lgkmcnt(1)
	v_mul_f64 v[144:145], v[222:223], v[246:247]
	v_mul_f64 v[148:149], v[220:221], v[246:247]
	v_fma_f64 v[144:145], v[220:221], v[230:231], -v[144:145]
	v_fmac_f64_e32 v[148:149], v[222:223], v[230:231]
	ds_read2_b64 v[220:223], v232 offset0:74 offset1:75
	v_add_f64 v[72:73], v[72:73], -v[144:145]
	v_add_f64 v[74:75], v[74:75], -v[148:149]
	s_waitcnt lgkmcnt(1)
	v_mul_f64 v[144:145], v[240:241], v[246:247]
	v_mul_f64 v[148:149], v[238:239], v[246:247]
	v_fma_f64 v[144:145], v[238:239], v[230:231], -v[144:145]
	v_fmac_f64_e32 v[148:149], v[240:241], v[230:231]
	ds_read2_b64 v[238:241], v232 offset0:76 offset1:77
	v_add_f64 v[68:69], v[68:69], -v[144:145]
	v_add_f64 v[70:71], v[70:71], -v[148:149]
	s_waitcnt lgkmcnt(1)
	v_mul_f64 v[144:145], v[222:223], v[246:247]
	v_mul_f64 v[148:149], v[220:221], v[246:247]
	v_fma_f64 v[144:145], v[220:221], v[230:231], -v[144:145]
	v_fmac_f64_e32 v[148:149], v[222:223], v[230:231]
	ds_read2_b64 v[220:223], v232 offset0:78 offset1:79
	v_add_f64 v[64:65], v[64:65], -v[144:145]
	v_add_f64 v[66:67], v[66:67], -v[148:149]
	s_waitcnt lgkmcnt(1)
	v_mul_f64 v[144:145], v[240:241], v[246:247]
	v_mul_f64 v[148:149], v[238:239], v[246:247]
	v_fma_f64 v[144:145], v[238:239], v[230:231], -v[144:145]
	v_fmac_f64_e32 v[148:149], v[240:241], v[230:231]
	ds_read2_b64 v[238:241], v232 offset0:80 offset1:81
	v_add_f64 v[60:61], v[60:61], -v[144:145]
	v_add_f64 v[62:63], v[62:63], -v[148:149]
	s_waitcnt lgkmcnt(1)
	v_mul_f64 v[144:145], v[222:223], v[246:247]
	v_mul_f64 v[148:149], v[220:221], v[246:247]
	v_fma_f64 v[144:145], v[220:221], v[230:231], -v[144:145]
	v_fmac_f64_e32 v[148:149], v[222:223], v[230:231]
	ds_read2_b64 v[220:223], v232 offset0:82 offset1:83
	v_add_f64 v[56:57], v[56:57], -v[144:145]
	v_add_f64 v[58:59], v[58:59], -v[148:149]
	s_waitcnt lgkmcnt(1)
	v_mul_f64 v[144:145], v[240:241], v[246:247]
	v_mul_f64 v[148:149], v[238:239], v[246:247]
	v_fma_f64 v[144:145], v[238:239], v[230:231], -v[144:145]
	v_fmac_f64_e32 v[148:149], v[240:241], v[230:231]
	ds_read2_b64 v[238:241], v232 offset0:84 offset1:85
	v_add_f64 v[52:53], v[52:53], -v[144:145]
	v_add_f64 v[54:55], v[54:55], -v[148:149]
	s_waitcnt lgkmcnt(1)
	v_mul_f64 v[144:145], v[222:223], v[246:247]
	v_mul_f64 v[148:149], v[220:221], v[246:247]
	v_fma_f64 v[144:145], v[220:221], v[230:231], -v[144:145]
	v_fmac_f64_e32 v[148:149], v[222:223], v[230:231]
	ds_read2_b64 v[220:223], v232 offset0:86 offset1:87
	v_add_f64 v[48:49], v[48:49], -v[144:145]
	v_add_f64 v[50:51], v[50:51], -v[148:149]
	s_waitcnt lgkmcnt(1)
	v_mul_f64 v[144:145], v[240:241], v[246:247]
	v_mul_f64 v[148:149], v[238:239], v[246:247]
	v_fma_f64 v[144:145], v[238:239], v[230:231], -v[144:145]
	v_fmac_f64_e32 v[148:149], v[240:241], v[230:231]
	ds_read2_b64 v[238:241], v232 offset0:88 offset1:89
	v_add_f64 v[44:45], v[44:45], -v[144:145]
	v_add_f64 v[46:47], v[46:47], -v[148:149]
	s_waitcnt lgkmcnt(1)
	v_mul_f64 v[144:145], v[222:223], v[246:247]
	v_mul_f64 v[148:149], v[220:221], v[246:247]
	v_fma_f64 v[144:145], v[220:221], v[230:231], -v[144:145]
	v_fmac_f64_e32 v[148:149], v[222:223], v[230:231]
	ds_read2_b64 v[220:223], v232 offset0:90 offset1:91
	v_add_f64 v[40:41], v[40:41], -v[144:145]
	v_add_f64 v[42:43], v[42:43], -v[148:149]
	s_waitcnt lgkmcnt(1)
	v_mul_f64 v[144:145], v[240:241], v[246:247]
	v_mul_f64 v[148:149], v[238:239], v[246:247]
	v_fma_f64 v[144:145], v[238:239], v[230:231], -v[144:145]
	v_fmac_f64_e32 v[148:149], v[240:241], v[230:231]
	ds_read2_b64 v[238:241], v232 offset0:92 offset1:93
	v_add_f64 v[36:37], v[36:37], -v[144:145]
	v_add_f64 v[38:39], v[38:39], -v[148:149]
	s_waitcnt lgkmcnt(1)
	v_mul_f64 v[144:145], v[222:223], v[246:247]
	v_mul_f64 v[148:149], v[220:221], v[246:247]
	v_fma_f64 v[144:145], v[220:221], v[230:231], -v[144:145]
	v_fmac_f64_e32 v[148:149], v[222:223], v[230:231]
	ds_read2_b64 v[220:223], v232 offset0:94 offset1:95
	v_add_f64 v[32:33], v[32:33], -v[144:145]
	v_add_f64 v[34:35], v[34:35], -v[148:149]
	s_waitcnt lgkmcnt(1)
	v_mul_f64 v[144:145], v[240:241], v[246:247]
	v_mul_f64 v[148:149], v[238:239], v[246:247]
	v_fma_f64 v[144:145], v[238:239], v[230:231], -v[144:145]
	v_fmac_f64_e32 v[148:149], v[240:241], v[230:231]
	ds_read2_b64 v[238:241], v232 offset0:96 offset1:97
	v_add_f64 v[28:29], v[28:29], -v[144:145]
	v_add_f64 v[30:31], v[30:31], -v[148:149]
	s_waitcnt lgkmcnt(1)
	v_mul_f64 v[144:145], v[222:223], v[246:247]
	v_mul_f64 v[148:149], v[220:221], v[246:247]
	v_fma_f64 v[144:145], v[220:221], v[230:231], -v[144:145]
	v_fmac_f64_e32 v[148:149], v[222:223], v[230:231]
	ds_read2_b64 v[220:223], v232 offset0:98 offset1:99
	v_add_f64 v[24:25], v[24:25], -v[144:145]
	v_add_f64 v[26:27], v[26:27], -v[148:149]
	s_waitcnt lgkmcnt(1)
	v_mul_f64 v[144:145], v[240:241], v[246:247]
	v_mul_f64 v[148:149], v[238:239], v[246:247]
	v_fma_f64 v[144:145], v[238:239], v[230:231], -v[144:145]
	v_fmac_f64_e32 v[148:149], v[240:241], v[230:231]
	ds_read2_b64 v[238:241], v232 offset0:100 offset1:101
	v_add_f64 v[20:21], v[20:21], -v[144:145]
	v_add_f64 v[22:23], v[22:23], -v[148:149]
	s_waitcnt lgkmcnt(1)
	v_mul_f64 v[144:145], v[222:223], v[246:247]
	v_mul_f64 v[148:149], v[220:221], v[246:247]
	v_fma_f64 v[144:145], v[220:221], v[230:231], -v[144:145]
	v_fmac_f64_e32 v[148:149], v[222:223], v[230:231]
	ds_read2_b64 v[220:223], v232 offset0:102 offset1:103
	v_add_f64 v[16:17], v[16:17], -v[144:145]
	v_add_f64 v[18:19], v[18:19], -v[148:149]
	s_waitcnt lgkmcnt(1)
	v_mul_f64 v[144:145], v[240:241], v[246:247]
	v_mul_f64 v[148:149], v[238:239], v[246:247]
	v_fma_f64 v[144:145], v[238:239], v[230:231], -v[144:145]
	v_fmac_f64_e32 v[148:149], v[240:241], v[230:231]
	ds_read2_b64 v[238:241], v232 offset0:104 offset1:105
	v_add_f64 v[12:13], v[12:13], -v[144:145]
	v_add_f64 v[14:15], v[14:15], -v[148:149]
	s_waitcnt lgkmcnt(1)
	v_mul_f64 v[144:145], v[222:223], v[246:247]
	v_mul_f64 v[148:149], v[220:221], v[246:247]
	v_fma_f64 v[144:145], v[220:221], v[230:231], -v[144:145]
	v_fmac_f64_e32 v[148:149], v[222:223], v[230:231]
	ds_read2_b64 v[220:223], v232 offset0:106 offset1:107
	v_add_f64 v[8:9], v[8:9], -v[144:145]
	v_add_f64 v[10:11], v[10:11], -v[148:149]
	s_waitcnt lgkmcnt(1)
	v_mul_f64 v[144:145], v[240:241], v[246:247]
	v_mul_f64 v[148:149], v[238:239], v[246:247]
	v_fma_f64 v[144:145], v[238:239], v[230:231], -v[144:145]
	v_fmac_f64_e32 v[148:149], v[240:241], v[230:231]
	ds_read2_b64 v[238:241], v232 offset0:108 offset1:109
	v_add_f64 v[4:5], v[4:5], -v[144:145]
	v_add_f64 v[6:7], v[6:7], -v[148:149]
	s_waitcnt lgkmcnt(1)
	v_mul_f64 v[144:145], v[222:223], v[246:247]
	v_mul_f64 v[148:149], v[220:221], v[246:247]
	v_fma_f64 v[144:145], v[220:221], v[230:231], -v[144:145]
	v_fmac_f64_e32 v[148:149], v[222:223], v[230:231]
	v_add_f64 v[0:1], v[0:1], -v[144:145]
	v_add_f64 v[2:3], v[2:3], -v[148:149]
	s_waitcnt lgkmcnt(0)
	v_mul_f64 v[144:145], v[240:241], v[246:247]
	v_mul_f64 v[148:149], v[238:239], v[246:247]
	v_fma_f64 v[144:145], v[238:239], v[230:231], -v[144:145]
	v_fmac_f64_e32 v[148:149], v[240:241], v[230:231]
	v_add_f64 v[216:217], v[216:217], -v[144:145]
	v_add_f64 v[218:219], v[218:219], -v[148:149]
	v_mov_b64_e32 v[244:245], v[230:231]
.LBB108_41:
	s_or_b64 exec, exec, s[0:1]
	v_lshl_add_u32 v148, v233, 4, v232
	s_barrier
	ds_write2_b64 v148, v[212:213], v[214:215] offset1:1
	s_waitcnt lgkmcnt(0)
	s_barrier
	ds_read2_b64 v[220:223], v232 offset0:4 offset1:5
	s_cmp_lt_i32 s20, 4
	v_mov_b32_e32 v230, 2
	s_cbranch_scc1 .LBB108_44
; %bb.42:
	v_add3_u32 v231, v236, 0, 48
	s_mov_b32 s16, 3
	v_mov_b32_e32 v230, 2
.LBB108_43:                             ; =>This Inner Loop Header: Depth=1
	ds_read2_b64 v[238:241], v231 offset1:1
	s_waitcnt lgkmcnt(1)
	v_xor_b32_e32 v149, 0x80000000, v221
	v_xor_b32_e32 v151, 0x80000000, v223
	v_cmp_gt_f64_e32 vcc, 0, v[222:223]
	v_cmp_gt_f64_e64 s[0:1], 0, v[220:221]
	v_mov_b32_e32 v148, v220
	v_mov_b32_e32 v150, v222
	v_cndmask_b32_e64 v149, v221, v149, s[0:1]
	v_cndmask_b32_e32 v151, v223, v151, vcc
	v_add_f64 v[148:149], v[148:149], v[150:151]
	s_waitcnt lgkmcnt(0)
	v_xor_b32_e32 v151, 0x80000000, v239
	v_xor_b32_e32 v227, 0x80000000, v241
	v_cmp_gt_f64_e32 vcc, 0, v[240:241]
	v_cmp_gt_f64_e64 s[0:1], 0, v[238:239]
	v_mov_b32_e32 v150, v238
	v_mov_b32_e32 v226, v240
	v_cndmask_b32_e64 v151, v239, v151, s[0:1]
	v_cndmask_b32_e32 v227, v241, v227, vcc
	v_add_f64 v[150:151], v[150:151], v[226:227]
	v_mov_b32_e32 v228, s16
	s_add_i32 s16, s16, 1
	v_cmp_lt_f64_e32 vcc, v[148:149], v[150:151]
	v_add_u32_e32 v231, 16, v231
	s_cmp_lg_u32 s20, s16
	v_cndmask_b32_e32 v221, v221, v239, vcc
	v_cndmask_b32_e32 v220, v220, v238, vcc
	;; [unrolled: 1-line block ×5, first 2 shown]
	s_cbranch_scc1 .LBB108_43
.LBB108_44:
	s_waitcnt lgkmcnt(0)
	v_cmp_eq_f64_e32 vcc, 0, v[220:221]
	v_cmp_eq_f64_e64 s[0:1], 0, v[222:223]
	s_and_b64 s[0:1], vcc, s[0:1]
	s_and_saveexec_b64 s[16:17], s[0:1]
	s_xor_b64 s[0:1], exec, s[16:17]
; %bb.45:
	v_cmp_ne_u32_e32 vcc, 0, v234
	s_nop 1
	v_cndmask_b32_e32 v234, 3, v234, vcc
; %bb.46:
	s_andn2_saveexec_b64 s[0:1], s[0:1]
	s_cbranch_execz .LBB108_52
; %bb.47:
	v_cmp_ngt_f64_e64 s[16:17], |v[220:221]|, |v[222:223]|
	s_and_saveexec_b64 s[18:19], s[16:17]
	s_xor_b64 s[16:17], exec, s[18:19]
	s_cbranch_execz .LBB108_49
; %bb.48:
	v_div_scale_f64 v[148:149], s[18:19], v[222:223], v[222:223], v[220:221]
	v_rcp_f64_e32 v[150:151], v[148:149]
	v_div_scale_f64 v[226:227], vcc, v[220:221], v[222:223], v[220:221]
	v_fma_f64 v[228:229], -v[148:149], v[150:151], 1.0
	v_fmac_f64_e32 v[150:151], v[150:151], v[228:229]
	v_fma_f64 v[228:229], -v[148:149], v[150:151], 1.0
	v_fmac_f64_e32 v[150:151], v[150:151], v[228:229]
	v_mul_f64 v[228:229], v[226:227], v[150:151]
	v_fma_f64 v[148:149], -v[148:149], v[228:229], v[226:227]
	v_div_fmas_f64 v[148:149], v[148:149], v[150:151], v[228:229]
	v_div_fixup_f64 v[148:149], v[148:149], v[222:223], v[220:221]
	v_fmac_f64_e32 v[222:223], v[220:221], v[148:149]
	v_div_scale_f64 v[150:151], s[18:19], v[222:223], v[222:223], 1.0
	v_rcp_f64_e32 v[220:221], v[150:151]
	s_nop 0
	v_fma_f64 v[226:227], -v[150:151], v[220:221], 1.0
	v_fmac_f64_e32 v[220:221], v[220:221], v[226:227]
	v_fma_f64 v[226:227], -v[150:151], v[220:221], 1.0
	v_fmac_f64_e32 v[220:221], v[220:221], v[226:227]
	v_div_scale_f64 v[226:227], vcc, 1.0, v[222:223], 1.0
	v_mul_f64 v[228:229], v[226:227], v[220:221]
	v_fma_f64 v[150:151], -v[150:151], v[228:229], v[226:227]
	s_nop 1
	v_div_fmas_f64 v[150:151], v[150:151], v[220:221], v[228:229]
	v_div_fixup_f64 v[222:223], v[150:151], v[222:223], 1.0
	v_mul_f64 v[220:221], v[148:149], v[222:223]
	v_xor_b32_e32 v223, 0x80000000, v223
.LBB108_49:
	s_andn2_saveexec_b64 s[16:17], s[16:17]
	s_cbranch_execz .LBB108_51
; %bb.50:
	v_div_scale_f64 v[148:149], s[18:19], v[220:221], v[220:221], v[222:223]
	v_rcp_f64_e32 v[150:151], v[148:149]
	v_div_scale_f64 v[226:227], vcc, v[222:223], v[220:221], v[222:223]
	v_fma_f64 v[228:229], -v[148:149], v[150:151], 1.0
	v_fmac_f64_e32 v[150:151], v[150:151], v[228:229]
	v_fma_f64 v[228:229], -v[148:149], v[150:151], 1.0
	v_fmac_f64_e32 v[150:151], v[150:151], v[228:229]
	v_mul_f64 v[228:229], v[226:227], v[150:151]
	v_fma_f64 v[148:149], -v[148:149], v[228:229], v[226:227]
	v_div_fmas_f64 v[148:149], v[148:149], v[150:151], v[228:229]
	v_div_fixup_f64 v[148:149], v[148:149], v[220:221], v[222:223]
	v_fmac_f64_e32 v[220:221], v[222:223], v[148:149]
	v_div_scale_f64 v[150:151], s[18:19], v[220:221], v[220:221], 1.0
	v_rcp_f64_e32 v[222:223], v[150:151]
	s_nop 0
	v_fma_f64 v[226:227], -v[150:151], v[222:223], 1.0
	v_fmac_f64_e32 v[222:223], v[222:223], v[226:227]
	v_fma_f64 v[226:227], -v[150:151], v[222:223], 1.0
	v_fmac_f64_e32 v[222:223], v[222:223], v[226:227]
	v_div_scale_f64 v[226:227], vcc, 1.0, v[220:221], 1.0
	v_mul_f64 v[228:229], v[226:227], v[222:223]
	v_fma_f64 v[150:151], -v[150:151], v[228:229], v[226:227]
	s_nop 1
	v_div_fmas_f64 v[150:151], v[150:151], v[222:223], v[228:229]
	v_div_fixup_f64 v[220:221], v[150:151], v[220:221], 1.0
	v_mul_f64 v[222:223], v[148:149], -v[220:221]
.LBB108_51:
	s_or_b64 exec, exec, s[16:17]
.LBB108_52:
	s_or_b64 exec, exec, s[0:1]
	v_cmp_ne_u32_e32 vcc, v233, v230
	s_and_saveexec_b64 s[0:1], vcc
	s_xor_b64 s[0:1], exec, s[0:1]
	s_cbranch_execz .LBB108_58
; %bb.53:
	v_cmp_eq_u32_e32 vcc, 2, v233
	s_and_saveexec_b64 s[16:17], vcc
	s_cbranch_execz .LBB108_57
; %bb.54:
	v_cmp_ne_u32_e32 vcc, 2, v230
	s_xor_b64 s[18:19], s[14:15], -1
	s_and_b64 s[22:23], s[18:19], vcc
	s_and_saveexec_b64 s[18:19], s[22:23]
	s_cbranch_execz .LBB108_56
; %bb.55:
	v_ashrrev_i32_e32 v231, 31, v230
	s_waitcnt vmcnt(0)
	v_lshl_add_u64 v[148:149], v[230:231], 2, v[146:147]
	global_load_dword v150, v[148:149], off
	global_load_dword v151, v[146:147], off offset:8
	s_waitcnt vmcnt(1)
	global_store_dword v[146:147], v150, off offset:8
	s_waitcnt vmcnt(1)
	global_store_dword v[148:149], v151, off
.LBB108_56:
	s_or_b64 exec, exec, s[18:19]
	v_mov_b32_e32 v233, v230
	v_mov_b32_e32 v224, v230
.LBB108_57:
	s_or_b64 exec, exec, s[16:17]
.LBB108_58:
	s_andn2_saveexec_b64 s[0:1], s[0:1]
	s_cbranch_execz .LBB108_60
; %bb.59:
	v_mov_b32_e32 v233, 2
	ds_write2_b64 v232, v[208:209], v[210:211] offset0:6 offset1:7
	ds_write2_b64 v232, v[204:205], v[206:207] offset0:8 offset1:9
	;; [unrolled: 1-line block ×52, first 2 shown]
.LBB108_60:
	s_or_b64 exec, exec, s[0:1]
	v_cmp_lt_i32_e32 vcc, 2, v233
	s_waitcnt lgkmcnt(0)
	s_barrier
	s_and_saveexec_b64 s[0:1], vcc
	s_cbranch_execz .LBB108_62
; %bb.61:
	ds_read2_b64 v[238:241], v232 offset0:6 offset1:7
	v_mul_f64 v[148:149], v[222:223], v[214:215]
	v_mul_f64 v[214:215], v[220:221], v[214:215]
	v_fma_f64 v[230:231], v[220:221], v[212:213], -v[148:149]
	v_fmac_f64_e32 v[214:215], v[222:223], v[212:213]
	ds_read2_b64 v[220:223], v232 offset0:8 offset1:9
	s_waitcnt lgkmcnt(1)
	v_mul_f64 v[148:149], v[240:241], v[214:215]
	v_mul_f64 v[150:151], v[238:239], v[214:215]
	v_fma_f64 v[148:149], v[238:239], v[230:231], -v[148:149]
	v_fmac_f64_e32 v[150:151], v[240:241], v[230:231]
	ds_read2_b64 v[238:241], v232 offset0:10 offset1:11
	v_add_f64 v[208:209], v[208:209], -v[148:149]
	v_add_f64 v[210:211], v[210:211], -v[150:151]
	s_waitcnt lgkmcnt(1)
	v_mul_f64 v[148:149], v[222:223], v[214:215]
	v_mul_f64 v[150:151], v[220:221], v[214:215]
	v_fma_f64 v[148:149], v[220:221], v[230:231], -v[148:149]
	v_fmac_f64_e32 v[150:151], v[222:223], v[230:231]
	ds_read2_b64 v[220:223], v232 offset0:12 offset1:13
	v_add_f64 v[204:205], v[204:205], -v[148:149]
	v_add_f64 v[206:207], v[206:207], -v[150:151]
	;; [unrolled: 8-line block ×50, first 2 shown]
	s_waitcnt lgkmcnt(1)
	v_mul_f64 v[148:149], v[240:241], v[214:215]
	v_mul_f64 v[150:151], v[238:239], v[214:215]
	v_fma_f64 v[148:149], v[238:239], v[230:231], -v[148:149]
	v_fmac_f64_e32 v[150:151], v[240:241], v[230:231]
	v_add_f64 v[0:1], v[0:1], -v[148:149]
	v_add_f64 v[2:3], v[2:3], -v[150:151]
	s_waitcnt lgkmcnt(0)
	v_mul_f64 v[148:149], v[222:223], v[214:215]
	v_mul_f64 v[150:151], v[220:221], v[214:215]
	v_fma_f64 v[148:149], v[220:221], v[230:231], -v[148:149]
	v_fmac_f64_e32 v[150:151], v[222:223], v[230:231]
	v_add_f64 v[216:217], v[216:217], -v[148:149]
	v_add_f64 v[218:219], v[218:219], -v[150:151]
	v_mov_b64_e32 v[212:213], v[230:231]
.LBB108_62:
	s_or_b64 exec, exec, s[0:1]
	v_lshl_add_u32 v148, v233, 4, v232
	s_barrier
	ds_write2_b64 v148, v[208:209], v[210:211] offset1:1
	s_waitcnt lgkmcnt(0)
	s_barrier
	ds_read2_b64 v[220:223], v232 offset0:6 offset1:7
	s_mov_b32 s16, 4
	s_cmp_lt_i32 s20, 5
	v_mov_b32_e32 v230, 3
	s_cbranch_scc1 .LBB108_65
; %bb.63:
	v_add3_u32 v231, v236, 0, 64
	v_mov_b32_e32 v230, 3
.LBB108_64:                             ; =>This Inner Loop Header: Depth=1
	ds_read2_b64 v[236:239], v231 offset1:1
	s_waitcnt lgkmcnt(1)
	v_xor_b32_e32 v149, 0x80000000, v221
	v_xor_b32_e32 v151, 0x80000000, v223
	v_cmp_gt_f64_e32 vcc, 0, v[222:223]
	v_cmp_gt_f64_e64 s[0:1], 0, v[220:221]
	v_mov_b32_e32 v148, v220
	v_mov_b32_e32 v150, v222
	v_cndmask_b32_e64 v149, v221, v149, s[0:1]
	v_cndmask_b32_e32 v151, v223, v151, vcc
	v_add_f64 v[148:149], v[148:149], v[150:151]
	s_waitcnt lgkmcnt(0)
	v_xor_b32_e32 v151, 0x80000000, v237
	v_xor_b32_e32 v227, 0x80000000, v239
	v_cmp_gt_f64_e32 vcc, 0, v[238:239]
	v_cmp_gt_f64_e64 s[0:1], 0, v[236:237]
	v_mov_b32_e32 v150, v236
	v_mov_b32_e32 v226, v238
	v_cndmask_b32_e64 v151, v237, v151, s[0:1]
	v_cndmask_b32_e32 v227, v239, v227, vcc
	v_add_f64 v[150:151], v[150:151], v[226:227]
	v_mov_b32_e32 v228, s16
	s_add_i32 s16, s16, 1
	v_cmp_lt_f64_e32 vcc, v[148:149], v[150:151]
	v_add_u32_e32 v231, 16, v231
	s_cmp_lg_u32 s20, s16
	v_cndmask_b32_e32 v221, v221, v237, vcc
	v_cndmask_b32_e32 v220, v220, v236, vcc
	;; [unrolled: 1-line block ×5, first 2 shown]
	s_cbranch_scc1 .LBB108_64
.LBB108_65:
	s_waitcnt lgkmcnt(0)
	v_cmp_eq_f64_e32 vcc, 0, v[220:221]
	v_cmp_eq_f64_e64 s[0:1], 0, v[222:223]
	s_and_b64 s[0:1], vcc, s[0:1]
	s_and_saveexec_b64 s[16:17], s[0:1]
	s_xor_b64 s[0:1], exec, s[16:17]
; %bb.66:
	v_cmp_ne_u32_e32 vcc, 0, v234
	s_nop 1
	v_cndmask_b32_e32 v234, 4, v234, vcc
; %bb.67:
	s_andn2_saveexec_b64 s[0:1], s[0:1]
	s_cbranch_execz .LBB108_73
; %bb.68:
	v_cmp_ngt_f64_e64 s[16:17], |v[220:221]|, |v[222:223]|
	s_and_saveexec_b64 s[18:19], s[16:17]
	s_xor_b64 s[16:17], exec, s[18:19]
	s_cbranch_execz .LBB108_70
; %bb.69:
	v_div_scale_f64 v[148:149], s[18:19], v[222:223], v[222:223], v[220:221]
	v_rcp_f64_e32 v[150:151], v[148:149]
	v_div_scale_f64 v[226:227], vcc, v[220:221], v[222:223], v[220:221]
	v_fma_f64 v[228:229], -v[148:149], v[150:151], 1.0
	v_fmac_f64_e32 v[150:151], v[150:151], v[228:229]
	v_fma_f64 v[228:229], -v[148:149], v[150:151], 1.0
	v_fmac_f64_e32 v[150:151], v[150:151], v[228:229]
	v_mul_f64 v[228:229], v[226:227], v[150:151]
	v_fma_f64 v[148:149], -v[148:149], v[228:229], v[226:227]
	v_div_fmas_f64 v[148:149], v[148:149], v[150:151], v[228:229]
	v_div_fixup_f64 v[148:149], v[148:149], v[222:223], v[220:221]
	v_fmac_f64_e32 v[222:223], v[220:221], v[148:149]
	v_div_scale_f64 v[150:151], s[18:19], v[222:223], v[222:223], 1.0
	v_rcp_f64_e32 v[220:221], v[150:151]
	s_nop 0
	v_fma_f64 v[226:227], -v[150:151], v[220:221], 1.0
	v_fmac_f64_e32 v[220:221], v[220:221], v[226:227]
	v_fma_f64 v[226:227], -v[150:151], v[220:221], 1.0
	v_fmac_f64_e32 v[220:221], v[220:221], v[226:227]
	v_div_scale_f64 v[226:227], vcc, 1.0, v[222:223], 1.0
	v_mul_f64 v[228:229], v[226:227], v[220:221]
	v_fma_f64 v[150:151], -v[150:151], v[228:229], v[226:227]
	s_nop 1
	v_div_fmas_f64 v[150:151], v[150:151], v[220:221], v[228:229]
	v_div_fixup_f64 v[222:223], v[150:151], v[222:223], 1.0
	v_mul_f64 v[220:221], v[148:149], v[222:223]
	v_xor_b32_e32 v223, 0x80000000, v223
.LBB108_70:
	s_andn2_saveexec_b64 s[16:17], s[16:17]
	s_cbranch_execz .LBB108_72
; %bb.71:
	v_div_scale_f64 v[148:149], s[18:19], v[220:221], v[220:221], v[222:223]
	v_rcp_f64_e32 v[150:151], v[148:149]
	v_div_scale_f64 v[226:227], vcc, v[222:223], v[220:221], v[222:223]
	v_fma_f64 v[228:229], -v[148:149], v[150:151], 1.0
	v_fmac_f64_e32 v[150:151], v[150:151], v[228:229]
	v_fma_f64 v[228:229], -v[148:149], v[150:151], 1.0
	v_fmac_f64_e32 v[150:151], v[150:151], v[228:229]
	v_mul_f64 v[228:229], v[226:227], v[150:151]
	v_fma_f64 v[148:149], -v[148:149], v[228:229], v[226:227]
	v_div_fmas_f64 v[148:149], v[148:149], v[150:151], v[228:229]
	v_div_fixup_f64 v[148:149], v[148:149], v[220:221], v[222:223]
	v_fmac_f64_e32 v[220:221], v[222:223], v[148:149]
	v_div_scale_f64 v[150:151], s[18:19], v[220:221], v[220:221], 1.0
	v_rcp_f64_e32 v[222:223], v[150:151]
	s_nop 0
	v_fma_f64 v[226:227], -v[150:151], v[222:223], 1.0
	v_fmac_f64_e32 v[222:223], v[222:223], v[226:227]
	v_fma_f64 v[226:227], -v[150:151], v[222:223], 1.0
	v_fmac_f64_e32 v[222:223], v[222:223], v[226:227]
	v_div_scale_f64 v[226:227], vcc, 1.0, v[220:221], 1.0
	v_mul_f64 v[228:229], v[226:227], v[222:223]
	v_fma_f64 v[150:151], -v[150:151], v[228:229], v[226:227]
	s_nop 1
	v_div_fmas_f64 v[150:151], v[150:151], v[222:223], v[228:229]
	v_div_fixup_f64 v[220:221], v[150:151], v[220:221], 1.0
	v_mul_f64 v[222:223], v[148:149], -v[220:221]
.LBB108_72:
	s_or_b64 exec, exec, s[16:17]
.LBB108_73:
	s_or_b64 exec, exec, s[0:1]
	v_cmp_ne_u32_e32 vcc, v233, v230
	s_and_saveexec_b64 s[0:1], vcc
	s_xor_b64 s[0:1], exec, s[0:1]
	s_cbranch_execz .LBB108_79
; %bb.74:
	v_cmp_eq_u32_e32 vcc, 3, v233
	s_and_saveexec_b64 s[16:17], vcc
	s_cbranch_execz .LBB108_78
; %bb.75:
	v_cmp_ne_u32_e32 vcc, 3, v230
	s_xor_b64 s[18:19], s[14:15], -1
	s_and_b64 s[22:23], s[18:19], vcc
	s_and_saveexec_b64 s[18:19], s[22:23]
	s_cbranch_execz .LBB108_77
; %bb.76:
	v_ashrrev_i32_e32 v231, 31, v230
	s_waitcnt vmcnt(0)
	v_lshl_add_u64 v[148:149], v[230:231], 2, v[146:147]
	global_load_dword v150, v[148:149], off
	global_load_dword v151, v[146:147], off offset:12
	s_waitcnt vmcnt(1)
	global_store_dword v[146:147], v150, off offset:12
	s_waitcnt vmcnt(1)
	global_store_dword v[148:149], v151, off
.LBB108_77:
	s_or_b64 exec, exec, s[18:19]
	v_mov_b32_e32 v233, v230
	v_mov_b32_e32 v224, v230
.LBB108_78:
	s_or_b64 exec, exec, s[16:17]
.LBB108_79:
	s_andn2_saveexec_b64 s[0:1], s[0:1]
	s_cbranch_execz .LBB108_81
; %bb.80:
	v_mov_b32_e32 v233, 3
	ds_write2_b64 v232, v[204:205], v[206:207] offset0:8 offset1:9
	ds_write2_b64 v232, v[200:201], v[202:203] offset0:10 offset1:11
	;; [unrolled: 1-line block ×51, first 2 shown]
.LBB108_81:
	s_or_b64 exec, exec, s[0:1]
	v_cmp_lt_i32_e32 vcc, 3, v233
	s_waitcnt lgkmcnt(0)
	s_barrier
	s_and_saveexec_b64 s[0:1], vcc
	s_cbranch_execz .LBB108_83
; %bb.82:
	ds_read2_b64 v[236:239], v232 offset0:8 offset1:9
	v_mul_f64 v[148:149], v[222:223], v[210:211]
	v_mul_f64 v[210:211], v[220:221], v[210:211]
	v_fma_f64 v[230:231], v[220:221], v[208:209], -v[148:149]
	v_fmac_f64_e32 v[210:211], v[222:223], v[208:209]
	ds_read2_b64 v[220:223], v232 offset0:10 offset1:11
	s_waitcnt lgkmcnt(1)
	v_mul_f64 v[148:149], v[238:239], v[210:211]
	v_mul_f64 v[150:151], v[236:237], v[210:211]
	v_fma_f64 v[148:149], v[236:237], v[230:231], -v[148:149]
	v_fmac_f64_e32 v[150:151], v[238:239], v[230:231]
	ds_read2_b64 v[236:239], v232 offset0:12 offset1:13
	v_add_f64 v[204:205], v[204:205], -v[148:149]
	v_add_f64 v[206:207], v[206:207], -v[150:151]
	s_waitcnt lgkmcnt(1)
	v_mul_f64 v[148:149], v[222:223], v[210:211]
	v_mul_f64 v[150:151], v[220:221], v[210:211]
	v_fma_f64 v[148:149], v[220:221], v[230:231], -v[148:149]
	v_fmac_f64_e32 v[150:151], v[222:223], v[230:231]
	ds_read2_b64 v[220:223], v232 offset0:14 offset1:15
	v_add_f64 v[200:201], v[200:201], -v[148:149]
	v_add_f64 v[202:203], v[202:203], -v[150:151]
	;; [unrolled: 8-line block ×49, first 2 shown]
	s_waitcnt lgkmcnt(1)
	v_mul_f64 v[148:149], v[222:223], v[210:211]
	v_mul_f64 v[150:151], v[220:221], v[210:211]
	v_fma_f64 v[148:149], v[220:221], v[230:231], -v[148:149]
	v_fmac_f64_e32 v[150:151], v[222:223], v[230:231]
	v_add_f64 v[0:1], v[0:1], -v[148:149]
	v_add_f64 v[2:3], v[2:3], -v[150:151]
	s_waitcnt lgkmcnt(0)
	v_mul_f64 v[148:149], v[238:239], v[210:211]
	v_mul_f64 v[150:151], v[236:237], v[210:211]
	v_fma_f64 v[148:149], v[236:237], v[230:231], -v[148:149]
	v_fmac_f64_e32 v[150:151], v[238:239], v[230:231]
	v_add_f64 v[216:217], v[216:217], -v[148:149]
	v_add_f64 v[218:219], v[218:219], -v[150:151]
	v_mov_b64_e32 v[208:209], v[230:231]
.LBB108_83:
	s_or_b64 exec, exec, s[0:1]
	v_lshl_add_u32 v148, v233, 4, v232
	s_barrier
	ds_write2_b64 v148, v[204:205], v[206:207] offset1:1
	s_waitcnt lgkmcnt(0)
	s_barrier
	ds_read2_b64 v[220:223], v232 offset0:8 offset1:9
	s_cmp_lt_i32 s20, 6
	v_mov_b32_e32 v230, 4
	s_cbranch_scc1 .LBB108_86
; %bb.84:
	v_mov_b32_e32 v230, 4
	v_add_u32_e32 v231, 0x50, v232
	s_mov_b32 s16, 5
.LBB108_85:                             ; =>This Inner Loop Header: Depth=1
	ds_read2_b64 v[236:239], v231 offset1:1
	s_waitcnt lgkmcnt(1)
	v_xor_b32_e32 v149, 0x80000000, v221
	v_xor_b32_e32 v151, 0x80000000, v223
	v_cmp_gt_f64_e32 vcc, 0, v[222:223]
	v_cmp_gt_f64_e64 s[0:1], 0, v[220:221]
	v_mov_b32_e32 v148, v220
	v_mov_b32_e32 v150, v222
	v_cndmask_b32_e64 v149, v221, v149, s[0:1]
	v_cndmask_b32_e32 v151, v223, v151, vcc
	v_add_f64 v[148:149], v[148:149], v[150:151]
	s_waitcnt lgkmcnt(0)
	v_xor_b32_e32 v151, 0x80000000, v237
	v_xor_b32_e32 v227, 0x80000000, v239
	v_cmp_gt_f64_e32 vcc, 0, v[238:239]
	v_cmp_gt_f64_e64 s[0:1], 0, v[236:237]
	v_mov_b32_e32 v150, v236
	v_mov_b32_e32 v226, v238
	v_cndmask_b32_e64 v151, v237, v151, s[0:1]
	v_cndmask_b32_e32 v227, v239, v227, vcc
	v_add_f64 v[150:151], v[150:151], v[226:227]
	v_mov_b32_e32 v228, s16
	s_add_i32 s16, s16, 1
	v_cmp_lt_f64_e32 vcc, v[148:149], v[150:151]
	v_add_u32_e32 v231, 16, v231
	s_cmp_lg_u32 s20, s16
	v_cndmask_b32_e32 v221, v221, v237, vcc
	v_cndmask_b32_e32 v220, v220, v236, vcc
	;; [unrolled: 1-line block ×5, first 2 shown]
	s_cbranch_scc1 .LBB108_85
.LBB108_86:
	s_waitcnt lgkmcnt(0)
	v_cmp_eq_f64_e32 vcc, 0, v[220:221]
	v_cmp_eq_f64_e64 s[0:1], 0, v[222:223]
	s_and_b64 s[0:1], vcc, s[0:1]
	s_and_saveexec_b64 s[16:17], s[0:1]
	s_xor_b64 s[0:1], exec, s[16:17]
; %bb.87:
	v_cmp_ne_u32_e32 vcc, 0, v234
	s_nop 1
	v_cndmask_b32_e32 v234, 5, v234, vcc
; %bb.88:
	s_andn2_saveexec_b64 s[0:1], s[0:1]
	s_cbranch_execz .LBB108_94
; %bb.89:
	v_cmp_ngt_f64_e64 s[16:17], |v[220:221]|, |v[222:223]|
	s_and_saveexec_b64 s[18:19], s[16:17]
	s_xor_b64 s[16:17], exec, s[18:19]
	s_cbranch_execz .LBB108_91
; %bb.90:
	v_div_scale_f64 v[148:149], s[18:19], v[222:223], v[222:223], v[220:221]
	v_rcp_f64_e32 v[150:151], v[148:149]
	v_div_scale_f64 v[226:227], vcc, v[220:221], v[222:223], v[220:221]
	v_fma_f64 v[228:229], -v[148:149], v[150:151], 1.0
	v_fmac_f64_e32 v[150:151], v[150:151], v[228:229]
	v_fma_f64 v[228:229], -v[148:149], v[150:151], 1.0
	v_fmac_f64_e32 v[150:151], v[150:151], v[228:229]
	v_mul_f64 v[228:229], v[226:227], v[150:151]
	v_fma_f64 v[148:149], -v[148:149], v[228:229], v[226:227]
	v_div_fmas_f64 v[148:149], v[148:149], v[150:151], v[228:229]
	v_div_fixup_f64 v[148:149], v[148:149], v[222:223], v[220:221]
	v_fmac_f64_e32 v[222:223], v[220:221], v[148:149]
	v_div_scale_f64 v[150:151], s[18:19], v[222:223], v[222:223], 1.0
	v_rcp_f64_e32 v[220:221], v[150:151]
	s_nop 0
	v_fma_f64 v[226:227], -v[150:151], v[220:221], 1.0
	v_fmac_f64_e32 v[220:221], v[220:221], v[226:227]
	v_fma_f64 v[226:227], -v[150:151], v[220:221], 1.0
	v_fmac_f64_e32 v[220:221], v[220:221], v[226:227]
	v_div_scale_f64 v[226:227], vcc, 1.0, v[222:223], 1.0
	v_mul_f64 v[228:229], v[226:227], v[220:221]
	v_fma_f64 v[150:151], -v[150:151], v[228:229], v[226:227]
	s_nop 1
	v_div_fmas_f64 v[150:151], v[150:151], v[220:221], v[228:229]
	v_div_fixup_f64 v[222:223], v[150:151], v[222:223], 1.0
	v_mul_f64 v[220:221], v[148:149], v[222:223]
	v_xor_b32_e32 v223, 0x80000000, v223
.LBB108_91:
	s_andn2_saveexec_b64 s[16:17], s[16:17]
	s_cbranch_execz .LBB108_93
; %bb.92:
	v_div_scale_f64 v[148:149], s[18:19], v[220:221], v[220:221], v[222:223]
	v_rcp_f64_e32 v[150:151], v[148:149]
	v_div_scale_f64 v[226:227], vcc, v[222:223], v[220:221], v[222:223]
	v_fma_f64 v[228:229], -v[148:149], v[150:151], 1.0
	v_fmac_f64_e32 v[150:151], v[150:151], v[228:229]
	v_fma_f64 v[228:229], -v[148:149], v[150:151], 1.0
	v_fmac_f64_e32 v[150:151], v[150:151], v[228:229]
	v_mul_f64 v[228:229], v[226:227], v[150:151]
	v_fma_f64 v[148:149], -v[148:149], v[228:229], v[226:227]
	v_div_fmas_f64 v[148:149], v[148:149], v[150:151], v[228:229]
	v_div_fixup_f64 v[148:149], v[148:149], v[220:221], v[222:223]
	v_fmac_f64_e32 v[220:221], v[222:223], v[148:149]
	v_div_scale_f64 v[150:151], s[18:19], v[220:221], v[220:221], 1.0
	v_rcp_f64_e32 v[222:223], v[150:151]
	s_nop 0
	v_fma_f64 v[226:227], -v[150:151], v[222:223], 1.0
	v_fmac_f64_e32 v[222:223], v[222:223], v[226:227]
	v_fma_f64 v[226:227], -v[150:151], v[222:223], 1.0
	v_fmac_f64_e32 v[222:223], v[222:223], v[226:227]
	v_div_scale_f64 v[226:227], vcc, 1.0, v[220:221], 1.0
	v_mul_f64 v[228:229], v[226:227], v[222:223]
	v_fma_f64 v[150:151], -v[150:151], v[228:229], v[226:227]
	s_nop 1
	v_div_fmas_f64 v[150:151], v[150:151], v[222:223], v[228:229]
	v_div_fixup_f64 v[220:221], v[150:151], v[220:221], 1.0
	v_mul_f64 v[222:223], v[148:149], -v[220:221]
.LBB108_93:
	s_or_b64 exec, exec, s[16:17]
.LBB108_94:
	s_or_b64 exec, exec, s[0:1]
	v_cmp_ne_u32_e32 vcc, v233, v230
	s_and_saveexec_b64 s[0:1], vcc
	s_xor_b64 s[0:1], exec, s[0:1]
	s_cbranch_execz .LBB108_100
; %bb.95:
	v_cmp_eq_u32_e32 vcc, 4, v233
	s_and_saveexec_b64 s[16:17], vcc
	s_cbranch_execz .LBB108_99
; %bb.96:
	v_cmp_ne_u32_e32 vcc, 4, v230
	s_xor_b64 s[18:19], s[14:15], -1
	s_and_b64 s[22:23], s[18:19], vcc
	s_and_saveexec_b64 s[18:19], s[22:23]
	s_cbranch_execz .LBB108_98
; %bb.97:
	v_ashrrev_i32_e32 v231, 31, v230
	s_waitcnt vmcnt(0)
	v_lshl_add_u64 v[148:149], v[230:231], 2, v[146:147]
	global_load_dword v150, v[148:149], off
	global_load_dword v151, v[146:147], off offset:16
	s_waitcnt vmcnt(1)
	global_store_dword v[146:147], v150, off offset:16
	s_waitcnt vmcnt(1)
	global_store_dword v[148:149], v151, off
.LBB108_98:
	s_or_b64 exec, exec, s[18:19]
	v_mov_b32_e32 v233, v230
	v_mov_b32_e32 v224, v230
.LBB108_99:
	s_or_b64 exec, exec, s[16:17]
.LBB108_100:
	s_andn2_saveexec_b64 s[0:1], s[0:1]
	s_cbranch_execz .LBB108_102
; %bb.101:
	v_mov_b32_e32 v233, 4
	ds_write2_b64 v232, v[200:201], v[202:203] offset0:10 offset1:11
	ds_write2_b64 v232, v[196:197], v[198:199] offset0:12 offset1:13
	;; [unrolled: 1-line block ×50, first 2 shown]
.LBB108_102:
	s_or_b64 exec, exec, s[0:1]
	v_cmp_lt_i32_e32 vcc, 4, v233
	s_waitcnt lgkmcnt(0)
	s_barrier
	s_and_saveexec_b64 s[0:1], vcc
	s_cbranch_execz .LBB108_104
; %bb.103:
	ds_read2_b64 v[236:239], v232 offset0:10 offset1:11
	v_mul_f64 v[148:149], v[222:223], v[206:207]
	v_mul_f64 v[206:207], v[220:221], v[206:207]
	v_fma_f64 v[230:231], v[220:221], v[204:205], -v[148:149]
	v_fmac_f64_e32 v[206:207], v[222:223], v[204:205]
	ds_read2_b64 v[220:223], v232 offset0:12 offset1:13
	s_waitcnt lgkmcnt(1)
	v_mul_f64 v[148:149], v[238:239], v[206:207]
	v_mul_f64 v[150:151], v[236:237], v[206:207]
	v_fma_f64 v[148:149], v[236:237], v[230:231], -v[148:149]
	v_fmac_f64_e32 v[150:151], v[238:239], v[230:231]
	ds_read2_b64 v[236:239], v232 offset0:14 offset1:15
	v_add_f64 v[200:201], v[200:201], -v[148:149]
	v_add_f64 v[202:203], v[202:203], -v[150:151]
	s_waitcnt lgkmcnt(1)
	v_mul_f64 v[148:149], v[222:223], v[206:207]
	v_mul_f64 v[150:151], v[220:221], v[206:207]
	v_fma_f64 v[148:149], v[220:221], v[230:231], -v[148:149]
	v_fmac_f64_e32 v[150:151], v[222:223], v[230:231]
	ds_read2_b64 v[220:223], v232 offset0:16 offset1:17
	v_add_f64 v[196:197], v[196:197], -v[148:149]
	v_add_f64 v[198:199], v[198:199], -v[150:151]
	;; [unrolled: 8-line block ×48, first 2 shown]
	s_waitcnt lgkmcnt(1)
	v_mul_f64 v[148:149], v[238:239], v[206:207]
	v_mul_f64 v[150:151], v[236:237], v[206:207]
	v_fma_f64 v[148:149], v[236:237], v[230:231], -v[148:149]
	v_fmac_f64_e32 v[150:151], v[238:239], v[230:231]
	v_add_f64 v[0:1], v[0:1], -v[148:149]
	v_add_f64 v[2:3], v[2:3], -v[150:151]
	s_waitcnt lgkmcnt(0)
	v_mul_f64 v[148:149], v[222:223], v[206:207]
	v_mul_f64 v[150:151], v[220:221], v[206:207]
	v_fma_f64 v[148:149], v[220:221], v[230:231], -v[148:149]
	v_fmac_f64_e32 v[150:151], v[222:223], v[230:231]
	v_add_f64 v[216:217], v[216:217], -v[148:149]
	v_add_f64 v[218:219], v[218:219], -v[150:151]
	v_mov_b64_e32 v[204:205], v[230:231]
.LBB108_104:
	s_or_b64 exec, exec, s[0:1]
	v_lshl_add_u32 v148, v233, 4, v232
	s_barrier
	ds_write2_b64 v148, v[200:201], v[202:203] offset1:1
	s_waitcnt lgkmcnt(0)
	s_barrier
	ds_read2_b64 v[220:223], v232 offset0:10 offset1:11
	s_cmp_lt_i32 s20, 7
	v_mov_b32_e32 v230, 5
	s_cbranch_scc1 .LBB108_107
; %bb.105:
	v_add_u32_e32 v231, 0x60, v232
	s_mov_b32 s16, 6
	v_mov_b32_e32 v230, 5
.LBB108_106:                            ; =>This Inner Loop Header: Depth=1
	ds_read2_b64 v[236:239], v231 offset1:1
	s_waitcnt lgkmcnt(1)
	v_xor_b32_e32 v149, 0x80000000, v221
	v_xor_b32_e32 v151, 0x80000000, v223
	v_cmp_gt_f64_e32 vcc, 0, v[222:223]
	v_cmp_gt_f64_e64 s[0:1], 0, v[220:221]
	v_mov_b32_e32 v148, v220
	v_mov_b32_e32 v150, v222
	v_cndmask_b32_e64 v149, v221, v149, s[0:1]
	v_cndmask_b32_e32 v151, v223, v151, vcc
	v_add_f64 v[148:149], v[148:149], v[150:151]
	s_waitcnt lgkmcnt(0)
	v_xor_b32_e32 v151, 0x80000000, v237
	v_xor_b32_e32 v227, 0x80000000, v239
	v_cmp_gt_f64_e32 vcc, 0, v[238:239]
	v_cmp_gt_f64_e64 s[0:1], 0, v[236:237]
	v_mov_b32_e32 v150, v236
	v_mov_b32_e32 v226, v238
	v_cndmask_b32_e64 v151, v237, v151, s[0:1]
	v_cndmask_b32_e32 v227, v239, v227, vcc
	v_add_f64 v[150:151], v[150:151], v[226:227]
	v_mov_b32_e32 v228, s16
	s_add_i32 s16, s16, 1
	v_cmp_lt_f64_e32 vcc, v[148:149], v[150:151]
	v_add_u32_e32 v231, 16, v231
	s_cmp_lg_u32 s20, s16
	v_cndmask_b32_e32 v221, v221, v237, vcc
	v_cndmask_b32_e32 v220, v220, v236, vcc
	;; [unrolled: 1-line block ×5, first 2 shown]
	s_cbranch_scc1 .LBB108_106
.LBB108_107:
	s_waitcnt lgkmcnt(0)
	v_cmp_eq_f64_e32 vcc, 0, v[220:221]
	v_cmp_eq_f64_e64 s[0:1], 0, v[222:223]
	s_and_b64 s[0:1], vcc, s[0:1]
	s_and_saveexec_b64 s[16:17], s[0:1]
	s_xor_b64 s[0:1], exec, s[16:17]
; %bb.108:
	v_cmp_ne_u32_e32 vcc, 0, v234
	s_nop 1
	v_cndmask_b32_e32 v234, 6, v234, vcc
; %bb.109:
	s_andn2_saveexec_b64 s[0:1], s[0:1]
	s_cbranch_execz .LBB108_115
; %bb.110:
	v_cmp_ngt_f64_e64 s[16:17], |v[220:221]|, |v[222:223]|
	s_and_saveexec_b64 s[18:19], s[16:17]
	s_xor_b64 s[16:17], exec, s[18:19]
	s_cbranch_execz .LBB108_112
; %bb.111:
	v_div_scale_f64 v[148:149], s[18:19], v[222:223], v[222:223], v[220:221]
	v_rcp_f64_e32 v[150:151], v[148:149]
	v_div_scale_f64 v[226:227], vcc, v[220:221], v[222:223], v[220:221]
	v_fma_f64 v[228:229], -v[148:149], v[150:151], 1.0
	v_fmac_f64_e32 v[150:151], v[150:151], v[228:229]
	v_fma_f64 v[228:229], -v[148:149], v[150:151], 1.0
	v_fmac_f64_e32 v[150:151], v[150:151], v[228:229]
	v_mul_f64 v[228:229], v[226:227], v[150:151]
	v_fma_f64 v[148:149], -v[148:149], v[228:229], v[226:227]
	v_div_fmas_f64 v[148:149], v[148:149], v[150:151], v[228:229]
	v_div_fixup_f64 v[148:149], v[148:149], v[222:223], v[220:221]
	v_fmac_f64_e32 v[222:223], v[220:221], v[148:149]
	v_div_scale_f64 v[150:151], s[18:19], v[222:223], v[222:223], 1.0
	v_rcp_f64_e32 v[220:221], v[150:151]
	s_nop 0
	v_fma_f64 v[226:227], -v[150:151], v[220:221], 1.0
	v_fmac_f64_e32 v[220:221], v[220:221], v[226:227]
	v_fma_f64 v[226:227], -v[150:151], v[220:221], 1.0
	v_fmac_f64_e32 v[220:221], v[220:221], v[226:227]
	v_div_scale_f64 v[226:227], vcc, 1.0, v[222:223], 1.0
	v_mul_f64 v[228:229], v[226:227], v[220:221]
	v_fma_f64 v[150:151], -v[150:151], v[228:229], v[226:227]
	s_nop 1
	v_div_fmas_f64 v[150:151], v[150:151], v[220:221], v[228:229]
	v_div_fixup_f64 v[222:223], v[150:151], v[222:223], 1.0
	v_mul_f64 v[220:221], v[148:149], v[222:223]
	v_xor_b32_e32 v223, 0x80000000, v223
.LBB108_112:
	s_andn2_saveexec_b64 s[16:17], s[16:17]
	s_cbranch_execz .LBB108_114
; %bb.113:
	v_div_scale_f64 v[148:149], s[18:19], v[220:221], v[220:221], v[222:223]
	v_rcp_f64_e32 v[150:151], v[148:149]
	v_div_scale_f64 v[226:227], vcc, v[222:223], v[220:221], v[222:223]
	v_fma_f64 v[228:229], -v[148:149], v[150:151], 1.0
	v_fmac_f64_e32 v[150:151], v[150:151], v[228:229]
	v_fma_f64 v[228:229], -v[148:149], v[150:151], 1.0
	v_fmac_f64_e32 v[150:151], v[150:151], v[228:229]
	v_mul_f64 v[228:229], v[226:227], v[150:151]
	v_fma_f64 v[148:149], -v[148:149], v[228:229], v[226:227]
	v_div_fmas_f64 v[148:149], v[148:149], v[150:151], v[228:229]
	v_div_fixup_f64 v[148:149], v[148:149], v[220:221], v[222:223]
	v_fmac_f64_e32 v[220:221], v[222:223], v[148:149]
	v_div_scale_f64 v[150:151], s[18:19], v[220:221], v[220:221], 1.0
	v_rcp_f64_e32 v[222:223], v[150:151]
	s_nop 0
	v_fma_f64 v[226:227], -v[150:151], v[222:223], 1.0
	v_fmac_f64_e32 v[222:223], v[222:223], v[226:227]
	v_fma_f64 v[226:227], -v[150:151], v[222:223], 1.0
	v_fmac_f64_e32 v[222:223], v[222:223], v[226:227]
	v_div_scale_f64 v[226:227], vcc, 1.0, v[220:221], 1.0
	v_mul_f64 v[228:229], v[226:227], v[222:223]
	v_fma_f64 v[150:151], -v[150:151], v[228:229], v[226:227]
	s_nop 1
	v_div_fmas_f64 v[150:151], v[150:151], v[222:223], v[228:229]
	v_div_fixup_f64 v[220:221], v[150:151], v[220:221], 1.0
	v_mul_f64 v[222:223], v[148:149], -v[220:221]
.LBB108_114:
	s_or_b64 exec, exec, s[16:17]
.LBB108_115:
	s_or_b64 exec, exec, s[0:1]
	v_cmp_ne_u32_e32 vcc, v233, v230
	s_and_saveexec_b64 s[0:1], vcc
	s_xor_b64 s[0:1], exec, s[0:1]
	s_cbranch_execz .LBB108_121
; %bb.116:
	v_cmp_eq_u32_e32 vcc, 5, v233
	s_and_saveexec_b64 s[16:17], vcc
	s_cbranch_execz .LBB108_120
; %bb.117:
	v_cmp_ne_u32_e32 vcc, 5, v230
	s_xor_b64 s[18:19], s[14:15], -1
	s_and_b64 s[22:23], s[18:19], vcc
	s_and_saveexec_b64 s[18:19], s[22:23]
	s_cbranch_execz .LBB108_119
; %bb.118:
	v_ashrrev_i32_e32 v231, 31, v230
	s_waitcnt vmcnt(0)
	v_lshl_add_u64 v[148:149], v[230:231], 2, v[146:147]
	global_load_dword v150, v[148:149], off
	global_load_dword v151, v[146:147], off offset:20
	s_waitcnt vmcnt(1)
	global_store_dword v[146:147], v150, off offset:20
	s_waitcnt vmcnt(1)
	global_store_dword v[148:149], v151, off
.LBB108_119:
	s_or_b64 exec, exec, s[18:19]
	v_mov_b32_e32 v233, v230
	v_mov_b32_e32 v224, v230
.LBB108_120:
	s_or_b64 exec, exec, s[16:17]
.LBB108_121:
	s_andn2_saveexec_b64 s[0:1], s[0:1]
	s_cbranch_execz .LBB108_123
; %bb.122:
	v_mov_b32_e32 v233, 5
	ds_write2_b64 v232, v[196:197], v[198:199] offset0:12 offset1:13
	ds_write2_b64 v232, v[192:193], v[194:195] offset0:14 offset1:15
	;; [unrolled: 1-line block ×49, first 2 shown]
.LBB108_123:
	s_or_b64 exec, exec, s[0:1]
	v_cmp_lt_i32_e32 vcc, 5, v233
	s_waitcnt lgkmcnt(0)
	s_barrier
	s_and_saveexec_b64 s[0:1], vcc
	s_cbranch_execz .LBB108_125
; %bb.124:
	ds_read2_b64 v[236:239], v232 offset0:12 offset1:13
	v_mul_f64 v[148:149], v[222:223], v[202:203]
	v_mul_f64 v[202:203], v[220:221], v[202:203]
	v_fma_f64 v[230:231], v[220:221], v[200:201], -v[148:149]
	v_fmac_f64_e32 v[202:203], v[222:223], v[200:201]
	ds_read2_b64 v[220:223], v232 offset0:14 offset1:15
	s_waitcnt lgkmcnt(1)
	v_mul_f64 v[148:149], v[238:239], v[202:203]
	v_mul_f64 v[150:151], v[236:237], v[202:203]
	v_fma_f64 v[148:149], v[236:237], v[230:231], -v[148:149]
	v_fmac_f64_e32 v[150:151], v[238:239], v[230:231]
	ds_read2_b64 v[236:239], v232 offset0:16 offset1:17
	v_add_f64 v[196:197], v[196:197], -v[148:149]
	v_add_f64 v[198:199], v[198:199], -v[150:151]
	s_waitcnt lgkmcnt(1)
	v_mul_f64 v[148:149], v[222:223], v[202:203]
	v_mul_f64 v[150:151], v[220:221], v[202:203]
	v_fma_f64 v[148:149], v[220:221], v[230:231], -v[148:149]
	v_fmac_f64_e32 v[150:151], v[222:223], v[230:231]
	ds_read2_b64 v[220:223], v232 offset0:18 offset1:19
	v_add_f64 v[192:193], v[192:193], -v[148:149]
	v_add_f64 v[194:195], v[194:195], -v[150:151]
	;; [unrolled: 8-line block ×47, first 2 shown]
	s_waitcnt lgkmcnt(1)
	v_mul_f64 v[148:149], v[222:223], v[202:203]
	v_mul_f64 v[150:151], v[220:221], v[202:203]
	v_fma_f64 v[148:149], v[220:221], v[230:231], -v[148:149]
	v_fmac_f64_e32 v[150:151], v[222:223], v[230:231]
	v_add_f64 v[0:1], v[0:1], -v[148:149]
	v_add_f64 v[2:3], v[2:3], -v[150:151]
	s_waitcnt lgkmcnt(0)
	v_mul_f64 v[148:149], v[238:239], v[202:203]
	v_mul_f64 v[150:151], v[236:237], v[202:203]
	v_fma_f64 v[148:149], v[236:237], v[230:231], -v[148:149]
	v_fmac_f64_e32 v[150:151], v[238:239], v[230:231]
	v_add_f64 v[216:217], v[216:217], -v[148:149]
	v_add_f64 v[218:219], v[218:219], -v[150:151]
	v_mov_b64_e32 v[200:201], v[230:231]
.LBB108_125:
	s_or_b64 exec, exec, s[0:1]
	v_lshl_add_u32 v148, v233, 4, v232
	s_barrier
	ds_write2_b64 v148, v[196:197], v[198:199] offset1:1
	s_waitcnt lgkmcnt(0)
	s_barrier
	ds_read2_b64 v[220:223], v232 offset0:12 offset1:13
	s_cmp_lt_i32 s20, 8
	v_mov_b32_e32 v230, 6
	s_cbranch_scc1 .LBB108_128
; %bb.126:
	v_add_u32_e32 v231, 0x70, v232
	s_mov_b32 s16, 7
	v_mov_b32_e32 v230, 6
.LBB108_127:                            ; =>This Inner Loop Header: Depth=1
	ds_read2_b64 v[236:239], v231 offset1:1
	s_waitcnt lgkmcnt(1)
	v_xor_b32_e32 v149, 0x80000000, v221
	v_xor_b32_e32 v151, 0x80000000, v223
	v_cmp_gt_f64_e32 vcc, 0, v[222:223]
	v_cmp_gt_f64_e64 s[0:1], 0, v[220:221]
	v_mov_b32_e32 v148, v220
	v_mov_b32_e32 v150, v222
	v_cndmask_b32_e64 v149, v221, v149, s[0:1]
	v_cndmask_b32_e32 v151, v223, v151, vcc
	v_add_f64 v[148:149], v[148:149], v[150:151]
	s_waitcnt lgkmcnt(0)
	v_xor_b32_e32 v151, 0x80000000, v237
	v_xor_b32_e32 v227, 0x80000000, v239
	v_cmp_gt_f64_e32 vcc, 0, v[238:239]
	v_cmp_gt_f64_e64 s[0:1], 0, v[236:237]
	v_mov_b32_e32 v150, v236
	v_mov_b32_e32 v226, v238
	v_cndmask_b32_e64 v151, v237, v151, s[0:1]
	v_cndmask_b32_e32 v227, v239, v227, vcc
	v_add_f64 v[150:151], v[150:151], v[226:227]
	v_mov_b32_e32 v228, s16
	s_add_i32 s16, s16, 1
	v_cmp_lt_f64_e32 vcc, v[148:149], v[150:151]
	v_add_u32_e32 v231, 16, v231
	s_cmp_lg_u32 s20, s16
	v_cndmask_b32_e32 v221, v221, v237, vcc
	v_cndmask_b32_e32 v220, v220, v236, vcc
	;; [unrolled: 1-line block ×5, first 2 shown]
	s_cbranch_scc1 .LBB108_127
.LBB108_128:
	s_waitcnt lgkmcnt(0)
	v_cmp_eq_f64_e32 vcc, 0, v[220:221]
	v_cmp_eq_f64_e64 s[0:1], 0, v[222:223]
	s_and_b64 s[0:1], vcc, s[0:1]
	s_and_saveexec_b64 s[16:17], s[0:1]
	s_xor_b64 s[0:1], exec, s[16:17]
; %bb.129:
	v_cmp_ne_u32_e32 vcc, 0, v234
	s_nop 1
	v_cndmask_b32_e32 v234, 7, v234, vcc
; %bb.130:
	s_andn2_saveexec_b64 s[0:1], s[0:1]
	s_cbranch_execz .LBB108_136
; %bb.131:
	v_cmp_ngt_f64_e64 s[16:17], |v[220:221]|, |v[222:223]|
	s_and_saveexec_b64 s[18:19], s[16:17]
	s_xor_b64 s[16:17], exec, s[18:19]
	s_cbranch_execz .LBB108_133
; %bb.132:
	v_div_scale_f64 v[148:149], s[18:19], v[222:223], v[222:223], v[220:221]
	v_rcp_f64_e32 v[150:151], v[148:149]
	v_div_scale_f64 v[226:227], vcc, v[220:221], v[222:223], v[220:221]
	v_fma_f64 v[228:229], -v[148:149], v[150:151], 1.0
	v_fmac_f64_e32 v[150:151], v[150:151], v[228:229]
	v_fma_f64 v[228:229], -v[148:149], v[150:151], 1.0
	v_fmac_f64_e32 v[150:151], v[150:151], v[228:229]
	v_mul_f64 v[228:229], v[226:227], v[150:151]
	v_fma_f64 v[148:149], -v[148:149], v[228:229], v[226:227]
	v_div_fmas_f64 v[148:149], v[148:149], v[150:151], v[228:229]
	v_div_fixup_f64 v[148:149], v[148:149], v[222:223], v[220:221]
	v_fmac_f64_e32 v[222:223], v[220:221], v[148:149]
	v_div_scale_f64 v[150:151], s[18:19], v[222:223], v[222:223], 1.0
	v_rcp_f64_e32 v[220:221], v[150:151]
	s_nop 0
	v_fma_f64 v[226:227], -v[150:151], v[220:221], 1.0
	v_fmac_f64_e32 v[220:221], v[220:221], v[226:227]
	v_fma_f64 v[226:227], -v[150:151], v[220:221], 1.0
	v_fmac_f64_e32 v[220:221], v[220:221], v[226:227]
	v_div_scale_f64 v[226:227], vcc, 1.0, v[222:223], 1.0
	v_mul_f64 v[228:229], v[226:227], v[220:221]
	v_fma_f64 v[150:151], -v[150:151], v[228:229], v[226:227]
	s_nop 1
	v_div_fmas_f64 v[150:151], v[150:151], v[220:221], v[228:229]
	v_div_fixup_f64 v[222:223], v[150:151], v[222:223], 1.0
	v_mul_f64 v[220:221], v[148:149], v[222:223]
	v_xor_b32_e32 v223, 0x80000000, v223
.LBB108_133:
	s_andn2_saveexec_b64 s[16:17], s[16:17]
	s_cbranch_execz .LBB108_135
; %bb.134:
	v_div_scale_f64 v[148:149], s[18:19], v[220:221], v[220:221], v[222:223]
	v_rcp_f64_e32 v[150:151], v[148:149]
	v_div_scale_f64 v[226:227], vcc, v[222:223], v[220:221], v[222:223]
	v_fma_f64 v[228:229], -v[148:149], v[150:151], 1.0
	v_fmac_f64_e32 v[150:151], v[150:151], v[228:229]
	v_fma_f64 v[228:229], -v[148:149], v[150:151], 1.0
	v_fmac_f64_e32 v[150:151], v[150:151], v[228:229]
	v_mul_f64 v[228:229], v[226:227], v[150:151]
	v_fma_f64 v[148:149], -v[148:149], v[228:229], v[226:227]
	v_div_fmas_f64 v[148:149], v[148:149], v[150:151], v[228:229]
	v_div_fixup_f64 v[148:149], v[148:149], v[220:221], v[222:223]
	v_fmac_f64_e32 v[220:221], v[222:223], v[148:149]
	v_div_scale_f64 v[150:151], s[18:19], v[220:221], v[220:221], 1.0
	v_rcp_f64_e32 v[222:223], v[150:151]
	s_nop 0
	v_fma_f64 v[226:227], -v[150:151], v[222:223], 1.0
	v_fmac_f64_e32 v[222:223], v[222:223], v[226:227]
	v_fma_f64 v[226:227], -v[150:151], v[222:223], 1.0
	v_fmac_f64_e32 v[222:223], v[222:223], v[226:227]
	v_div_scale_f64 v[226:227], vcc, 1.0, v[220:221], 1.0
	v_mul_f64 v[228:229], v[226:227], v[222:223]
	v_fma_f64 v[150:151], -v[150:151], v[228:229], v[226:227]
	s_nop 1
	v_div_fmas_f64 v[150:151], v[150:151], v[222:223], v[228:229]
	v_div_fixup_f64 v[220:221], v[150:151], v[220:221], 1.0
	v_mul_f64 v[222:223], v[148:149], -v[220:221]
.LBB108_135:
	s_or_b64 exec, exec, s[16:17]
.LBB108_136:
	s_or_b64 exec, exec, s[0:1]
	v_cmp_ne_u32_e32 vcc, v233, v230
	s_and_saveexec_b64 s[0:1], vcc
	s_xor_b64 s[0:1], exec, s[0:1]
	s_cbranch_execz .LBB108_142
; %bb.137:
	v_cmp_eq_u32_e32 vcc, 6, v233
	s_and_saveexec_b64 s[16:17], vcc
	s_cbranch_execz .LBB108_141
; %bb.138:
	v_cmp_ne_u32_e32 vcc, 6, v230
	s_xor_b64 s[18:19], s[14:15], -1
	s_and_b64 s[22:23], s[18:19], vcc
	s_and_saveexec_b64 s[18:19], s[22:23]
	s_cbranch_execz .LBB108_140
; %bb.139:
	v_ashrrev_i32_e32 v231, 31, v230
	s_waitcnt vmcnt(0)
	v_lshl_add_u64 v[148:149], v[230:231], 2, v[146:147]
	global_load_dword v150, v[148:149], off
	global_load_dword v151, v[146:147], off offset:24
	s_waitcnt vmcnt(1)
	global_store_dword v[146:147], v150, off offset:24
	s_waitcnt vmcnt(1)
	global_store_dword v[148:149], v151, off
.LBB108_140:
	s_or_b64 exec, exec, s[18:19]
	v_mov_b32_e32 v233, v230
	v_mov_b32_e32 v224, v230
.LBB108_141:
	s_or_b64 exec, exec, s[16:17]
.LBB108_142:
	s_andn2_saveexec_b64 s[0:1], s[0:1]
	s_cbranch_execz .LBB108_144
; %bb.143:
	v_mov_b32_e32 v233, 6
	ds_write2_b64 v232, v[192:193], v[194:195] offset0:14 offset1:15
	ds_write2_b64 v232, v[188:189], v[190:191] offset0:16 offset1:17
	;; [unrolled: 1-line block ×48, first 2 shown]
.LBB108_144:
	s_or_b64 exec, exec, s[0:1]
	v_cmp_lt_i32_e32 vcc, 6, v233
	s_waitcnt lgkmcnt(0)
	s_barrier
	s_and_saveexec_b64 s[0:1], vcc
	s_cbranch_execz .LBB108_146
; %bb.145:
	ds_read2_b64 v[236:239], v232 offset0:14 offset1:15
	v_mul_f64 v[148:149], v[222:223], v[198:199]
	v_mul_f64 v[198:199], v[220:221], v[198:199]
	v_fma_f64 v[230:231], v[220:221], v[196:197], -v[148:149]
	v_fmac_f64_e32 v[198:199], v[222:223], v[196:197]
	ds_read2_b64 v[220:223], v232 offset0:16 offset1:17
	s_waitcnt lgkmcnt(1)
	v_mul_f64 v[148:149], v[238:239], v[198:199]
	v_mul_f64 v[150:151], v[236:237], v[198:199]
	v_fma_f64 v[148:149], v[236:237], v[230:231], -v[148:149]
	v_fmac_f64_e32 v[150:151], v[238:239], v[230:231]
	ds_read2_b64 v[236:239], v232 offset0:18 offset1:19
	v_add_f64 v[192:193], v[192:193], -v[148:149]
	v_add_f64 v[194:195], v[194:195], -v[150:151]
	s_waitcnt lgkmcnt(1)
	v_mul_f64 v[148:149], v[222:223], v[198:199]
	v_mul_f64 v[150:151], v[220:221], v[198:199]
	v_fma_f64 v[148:149], v[220:221], v[230:231], -v[148:149]
	v_fmac_f64_e32 v[150:151], v[222:223], v[230:231]
	ds_read2_b64 v[220:223], v232 offset0:20 offset1:21
	v_add_f64 v[188:189], v[188:189], -v[148:149]
	v_add_f64 v[190:191], v[190:191], -v[150:151]
	;; [unrolled: 8-line block ×46, first 2 shown]
	s_waitcnt lgkmcnt(1)
	v_mul_f64 v[148:149], v[238:239], v[198:199]
	v_mul_f64 v[150:151], v[236:237], v[198:199]
	v_fma_f64 v[148:149], v[236:237], v[230:231], -v[148:149]
	v_fmac_f64_e32 v[150:151], v[238:239], v[230:231]
	v_add_f64 v[0:1], v[0:1], -v[148:149]
	v_add_f64 v[2:3], v[2:3], -v[150:151]
	s_waitcnt lgkmcnt(0)
	v_mul_f64 v[148:149], v[222:223], v[198:199]
	v_mul_f64 v[150:151], v[220:221], v[198:199]
	v_fma_f64 v[148:149], v[220:221], v[230:231], -v[148:149]
	v_fmac_f64_e32 v[150:151], v[222:223], v[230:231]
	v_add_f64 v[216:217], v[216:217], -v[148:149]
	v_add_f64 v[218:219], v[218:219], -v[150:151]
	v_mov_b64_e32 v[196:197], v[230:231]
.LBB108_146:
	s_or_b64 exec, exec, s[0:1]
	v_lshl_add_u32 v148, v233, 4, v232
	s_barrier
	ds_write2_b64 v148, v[192:193], v[194:195] offset1:1
	s_waitcnt lgkmcnt(0)
	s_barrier
	ds_read2_b64 v[220:223], v232 offset0:14 offset1:15
	s_cmp_lt_i32 s20, 9
	v_mov_b32_e32 v230, 7
	s_cbranch_scc1 .LBB108_149
; %bb.147:
	v_add_u32_e32 v231, 0x80, v232
	s_mov_b32 s16, 8
	v_mov_b32_e32 v230, 7
.LBB108_148:                            ; =>This Inner Loop Header: Depth=1
	ds_read2_b64 v[236:239], v231 offset1:1
	s_waitcnt lgkmcnt(1)
	v_xor_b32_e32 v149, 0x80000000, v221
	v_xor_b32_e32 v151, 0x80000000, v223
	v_cmp_gt_f64_e32 vcc, 0, v[222:223]
	v_cmp_gt_f64_e64 s[0:1], 0, v[220:221]
	v_mov_b32_e32 v148, v220
	v_mov_b32_e32 v150, v222
	v_cndmask_b32_e64 v149, v221, v149, s[0:1]
	v_cndmask_b32_e32 v151, v223, v151, vcc
	v_add_f64 v[148:149], v[148:149], v[150:151]
	s_waitcnt lgkmcnt(0)
	v_xor_b32_e32 v151, 0x80000000, v237
	v_xor_b32_e32 v227, 0x80000000, v239
	v_cmp_gt_f64_e32 vcc, 0, v[238:239]
	v_cmp_gt_f64_e64 s[0:1], 0, v[236:237]
	v_mov_b32_e32 v150, v236
	v_mov_b32_e32 v226, v238
	v_cndmask_b32_e64 v151, v237, v151, s[0:1]
	v_cndmask_b32_e32 v227, v239, v227, vcc
	v_add_f64 v[150:151], v[150:151], v[226:227]
	v_mov_b32_e32 v228, s16
	s_add_i32 s16, s16, 1
	v_cmp_lt_f64_e32 vcc, v[148:149], v[150:151]
	v_add_u32_e32 v231, 16, v231
	s_cmp_lg_u32 s20, s16
	v_cndmask_b32_e32 v221, v221, v237, vcc
	v_cndmask_b32_e32 v220, v220, v236, vcc
	;; [unrolled: 1-line block ×5, first 2 shown]
	s_cbranch_scc1 .LBB108_148
.LBB108_149:
	s_waitcnt lgkmcnt(0)
	v_cmp_eq_f64_e32 vcc, 0, v[220:221]
	v_cmp_eq_f64_e64 s[0:1], 0, v[222:223]
	s_and_b64 s[0:1], vcc, s[0:1]
	s_and_saveexec_b64 s[16:17], s[0:1]
	s_xor_b64 s[0:1], exec, s[16:17]
; %bb.150:
	v_cmp_ne_u32_e32 vcc, 0, v234
	s_nop 1
	v_cndmask_b32_e32 v234, 8, v234, vcc
; %bb.151:
	s_andn2_saveexec_b64 s[0:1], s[0:1]
	s_cbranch_execz .LBB108_157
; %bb.152:
	v_cmp_ngt_f64_e64 s[16:17], |v[220:221]|, |v[222:223]|
	s_and_saveexec_b64 s[18:19], s[16:17]
	s_xor_b64 s[16:17], exec, s[18:19]
	s_cbranch_execz .LBB108_154
; %bb.153:
	v_div_scale_f64 v[148:149], s[18:19], v[222:223], v[222:223], v[220:221]
	v_rcp_f64_e32 v[150:151], v[148:149]
	v_div_scale_f64 v[226:227], vcc, v[220:221], v[222:223], v[220:221]
	v_fma_f64 v[228:229], -v[148:149], v[150:151], 1.0
	v_fmac_f64_e32 v[150:151], v[150:151], v[228:229]
	v_fma_f64 v[228:229], -v[148:149], v[150:151], 1.0
	v_fmac_f64_e32 v[150:151], v[150:151], v[228:229]
	v_mul_f64 v[228:229], v[226:227], v[150:151]
	v_fma_f64 v[148:149], -v[148:149], v[228:229], v[226:227]
	v_div_fmas_f64 v[148:149], v[148:149], v[150:151], v[228:229]
	v_div_fixup_f64 v[148:149], v[148:149], v[222:223], v[220:221]
	v_fmac_f64_e32 v[222:223], v[220:221], v[148:149]
	v_div_scale_f64 v[150:151], s[18:19], v[222:223], v[222:223], 1.0
	v_rcp_f64_e32 v[220:221], v[150:151]
	s_nop 0
	v_fma_f64 v[226:227], -v[150:151], v[220:221], 1.0
	v_fmac_f64_e32 v[220:221], v[220:221], v[226:227]
	v_fma_f64 v[226:227], -v[150:151], v[220:221], 1.0
	v_fmac_f64_e32 v[220:221], v[220:221], v[226:227]
	v_div_scale_f64 v[226:227], vcc, 1.0, v[222:223], 1.0
	v_mul_f64 v[228:229], v[226:227], v[220:221]
	v_fma_f64 v[150:151], -v[150:151], v[228:229], v[226:227]
	s_nop 1
	v_div_fmas_f64 v[150:151], v[150:151], v[220:221], v[228:229]
	v_div_fixup_f64 v[222:223], v[150:151], v[222:223], 1.0
	v_mul_f64 v[220:221], v[148:149], v[222:223]
	v_xor_b32_e32 v223, 0x80000000, v223
.LBB108_154:
	s_andn2_saveexec_b64 s[16:17], s[16:17]
	s_cbranch_execz .LBB108_156
; %bb.155:
	v_div_scale_f64 v[148:149], s[18:19], v[220:221], v[220:221], v[222:223]
	v_rcp_f64_e32 v[150:151], v[148:149]
	v_div_scale_f64 v[226:227], vcc, v[222:223], v[220:221], v[222:223]
	v_fma_f64 v[228:229], -v[148:149], v[150:151], 1.0
	v_fmac_f64_e32 v[150:151], v[150:151], v[228:229]
	v_fma_f64 v[228:229], -v[148:149], v[150:151], 1.0
	v_fmac_f64_e32 v[150:151], v[150:151], v[228:229]
	v_mul_f64 v[228:229], v[226:227], v[150:151]
	v_fma_f64 v[148:149], -v[148:149], v[228:229], v[226:227]
	v_div_fmas_f64 v[148:149], v[148:149], v[150:151], v[228:229]
	v_div_fixup_f64 v[148:149], v[148:149], v[220:221], v[222:223]
	v_fmac_f64_e32 v[220:221], v[222:223], v[148:149]
	v_div_scale_f64 v[150:151], s[18:19], v[220:221], v[220:221], 1.0
	v_rcp_f64_e32 v[222:223], v[150:151]
	s_nop 0
	v_fma_f64 v[226:227], -v[150:151], v[222:223], 1.0
	v_fmac_f64_e32 v[222:223], v[222:223], v[226:227]
	v_fma_f64 v[226:227], -v[150:151], v[222:223], 1.0
	v_fmac_f64_e32 v[222:223], v[222:223], v[226:227]
	v_div_scale_f64 v[226:227], vcc, 1.0, v[220:221], 1.0
	v_mul_f64 v[228:229], v[226:227], v[222:223]
	v_fma_f64 v[150:151], -v[150:151], v[228:229], v[226:227]
	s_nop 1
	v_div_fmas_f64 v[150:151], v[150:151], v[222:223], v[228:229]
	v_div_fixup_f64 v[220:221], v[150:151], v[220:221], 1.0
	v_mul_f64 v[222:223], v[148:149], -v[220:221]
.LBB108_156:
	s_or_b64 exec, exec, s[16:17]
.LBB108_157:
	s_or_b64 exec, exec, s[0:1]
	v_cmp_ne_u32_e32 vcc, v233, v230
	s_and_saveexec_b64 s[0:1], vcc
	s_xor_b64 s[0:1], exec, s[0:1]
	s_cbranch_execz .LBB108_163
; %bb.158:
	v_cmp_eq_u32_e32 vcc, 7, v233
	s_and_saveexec_b64 s[16:17], vcc
	s_cbranch_execz .LBB108_162
; %bb.159:
	v_cmp_ne_u32_e32 vcc, 7, v230
	s_xor_b64 s[18:19], s[14:15], -1
	s_and_b64 s[22:23], s[18:19], vcc
	s_and_saveexec_b64 s[18:19], s[22:23]
	s_cbranch_execz .LBB108_161
; %bb.160:
	v_ashrrev_i32_e32 v231, 31, v230
	s_waitcnt vmcnt(0)
	v_lshl_add_u64 v[148:149], v[230:231], 2, v[146:147]
	global_load_dword v150, v[148:149], off
	global_load_dword v151, v[146:147], off offset:28
	s_waitcnt vmcnt(1)
	global_store_dword v[146:147], v150, off offset:28
	s_waitcnt vmcnt(1)
	global_store_dword v[148:149], v151, off
.LBB108_161:
	s_or_b64 exec, exec, s[18:19]
	v_mov_b32_e32 v233, v230
	v_mov_b32_e32 v224, v230
.LBB108_162:
	s_or_b64 exec, exec, s[16:17]
.LBB108_163:
	s_andn2_saveexec_b64 s[0:1], s[0:1]
	s_cbranch_execz .LBB108_165
; %bb.164:
	v_mov_b32_e32 v233, 7
	ds_write2_b64 v232, v[188:189], v[190:191] offset0:16 offset1:17
	ds_write2_b64 v232, v[184:185], v[186:187] offset0:18 offset1:19
	;; [unrolled: 1-line block ×47, first 2 shown]
.LBB108_165:
	s_or_b64 exec, exec, s[0:1]
	v_cmp_lt_i32_e32 vcc, 7, v233
	s_waitcnt lgkmcnt(0)
	s_barrier
	s_and_saveexec_b64 s[0:1], vcc
	s_cbranch_execz .LBB108_167
; %bb.166:
	ds_read2_b64 v[236:239], v232 offset0:16 offset1:17
	v_mul_f64 v[148:149], v[222:223], v[194:195]
	v_mul_f64 v[194:195], v[220:221], v[194:195]
	v_fma_f64 v[230:231], v[220:221], v[192:193], -v[148:149]
	v_fmac_f64_e32 v[194:195], v[222:223], v[192:193]
	ds_read2_b64 v[220:223], v232 offset0:18 offset1:19
	s_waitcnt lgkmcnt(1)
	v_mul_f64 v[148:149], v[238:239], v[194:195]
	v_mul_f64 v[150:151], v[236:237], v[194:195]
	v_fma_f64 v[148:149], v[236:237], v[230:231], -v[148:149]
	v_fmac_f64_e32 v[150:151], v[238:239], v[230:231]
	ds_read2_b64 v[236:239], v232 offset0:20 offset1:21
	v_add_f64 v[188:189], v[188:189], -v[148:149]
	v_add_f64 v[190:191], v[190:191], -v[150:151]
	s_waitcnt lgkmcnt(1)
	v_mul_f64 v[148:149], v[222:223], v[194:195]
	v_mul_f64 v[150:151], v[220:221], v[194:195]
	v_fma_f64 v[148:149], v[220:221], v[230:231], -v[148:149]
	v_fmac_f64_e32 v[150:151], v[222:223], v[230:231]
	ds_read2_b64 v[220:223], v232 offset0:22 offset1:23
	v_add_f64 v[184:185], v[184:185], -v[148:149]
	v_add_f64 v[186:187], v[186:187], -v[150:151]
	;; [unrolled: 8-line block ×45, first 2 shown]
	s_waitcnt lgkmcnt(1)
	v_mul_f64 v[148:149], v[222:223], v[194:195]
	v_mul_f64 v[150:151], v[220:221], v[194:195]
	v_fma_f64 v[148:149], v[220:221], v[230:231], -v[148:149]
	v_fmac_f64_e32 v[150:151], v[222:223], v[230:231]
	v_add_f64 v[0:1], v[0:1], -v[148:149]
	v_add_f64 v[2:3], v[2:3], -v[150:151]
	s_waitcnt lgkmcnt(0)
	v_mul_f64 v[148:149], v[238:239], v[194:195]
	v_mul_f64 v[150:151], v[236:237], v[194:195]
	v_fma_f64 v[148:149], v[236:237], v[230:231], -v[148:149]
	v_fmac_f64_e32 v[150:151], v[238:239], v[230:231]
	v_add_f64 v[216:217], v[216:217], -v[148:149]
	v_add_f64 v[218:219], v[218:219], -v[150:151]
	v_mov_b64_e32 v[192:193], v[230:231]
.LBB108_167:
	s_or_b64 exec, exec, s[0:1]
	v_lshl_add_u32 v148, v233, 4, v232
	s_barrier
	ds_write2_b64 v148, v[188:189], v[190:191] offset1:1
	s_waitcnt lgkmcnt(0)
	s_barrier
	ds_read2_b64 v[220:223], v232 offset0:16 offset1:17
	s_cmp_lt_i32 s20, 10
	v_mov_b32_e32 v230, 8
	s_cbranch_scc1 .LBB108_170
; %bb.168:
	v_add_u32_e32 v231, 0x90, v232
	s_mov_b32 s16, 9
	v_mov_b32_e32 v230, 8
.LBB108_169:                            ; =>This Inner Loop Header: Depth=1
	ds_read2_b64 v[236:239], v231 offset1:1
	s_waitcnt lgkmcnt(1)
	v_xor_b32_e32 v149, 0x80000000, v221
	v_xor_b32_e32 v151, 0x80000000, v223
	v_cmp_gt_f64_e32 vcc, 0, v[222:223]
	v_cmp_gt_f64_e64 s[0:1], 0, v[220:221]
	v_mov_b32_e32 v148, v220
	v_mov_b32_e32 v150, v222
	v_cndmask_b32_e64 v149, v221, v149, s[0:1]
	v_cndmask_b32_e32 v151, v223, v151, vcc
	v_add_f64 v[148:149], v[148:149], v[150:151]
	s_waitcnt lgkmcnt(0)
	v_xor_b32_e32 v151, 0x80000000, v237
	v_xor_b32_e32 v227, 0x80000000, v239
	v_cmp_gt_f64_e32 vcc, 0, v[238:239]
	v_cmp_gt_f64_e64 s[0:1], 0, v[236:237]
	v_mov_b32_e32 v150, v236
	v_mov_b32_e32 v226, v238
	v_cndmask_b32_e64 v151, v237, v151, s[0:1]
	v_cndmask_b32_e32 v227, v239, v227, vcc
	v_add_f64 v[150:151], v[150:151], v[226:227]
	v_mov_b32_e32 v228, s16
	s_add_i32 s16, s16, 1
	v_cmp_lt_f64_e32 vcc, v[148:149], v[150:151]
	v_add_u32_e32 v231, 16, v231
	s_cmp_lg_u32 s20, s16
	v_cndmask_b32_e32 v221, v221, v237, vcc
	v_cndmask_b32_e32 v220, v220, v236, vcc
	;; [unrolled: 1-line block ×5, first 2 shown]
	s_cbranch_scc1 .LBB108_169
.LBB108_170:
	s_waitcnt lgkmcnt(0)
	v_cmp_eq_f64_e32 vcc, 0, v[220:221]
	v_cmp_eq_f64_e64 s[0:1], 0, v[222:223]
	s_and_b64 s[0:1], vcc, s[0:1]
	s_and_saveexec_b64 s[16:17], s[0:1]
	s_xor_b64 s[0:1], exec, s[16:17]
; %bb.171:
	v_cmp_ne_u32_e32 vcc, 0, v234
	s_nop 1
	v_cndmask_b32_e32 v234, 9, v234, vcc
; %bb.172:
	s_andn2_saveexec_b64 s[0:1], s[0:1]
	s_cbranch_execz .LBB108_178
; %bb.173:
	v_cmp_ngt_f64_e64 s[16:17], |v[220:221]|, |v[222:223]|
	s_and_saveexec_b64 s[18:19], s[16:17]
	s_xor_b64 s[16:17], exec, s[18:19]
	s_cbranch_execz .LBB108_175
; %bb.174:
	v_div_scale_f64 v[148:149], s[18:19], v[222:223], v[222:223], v[220:221]
	v_rcp_f64_e32 v[150:151], v[148:149]
	v_div_scale_f64 v[226:227], vcc, v[220:221], v[222:223], v[220:221]
	v_fma_f64 v[228:229], -v[148:149], v[150:151], 1.0
	v_fmac_f64_e32 v[150:151], v[150:151], v[228:229]
	v_fma_f64 v[228:229], -v[148:149], v[150:151], 1.0
	v_fmac_f64_e32 v[150:151], v[150:151], v[228:229]
	v_mul_f64 v[228:229], v[226:227], v[150:151]
	v_fma_f64 v[148:149], -v[148:149], v[228:229], v[226:227]
	v_div_fmas_f64 v[148:149], v[148:149], v[150:151], v[228:229]
	v_div_fixup_f64 v[148:149], v[148:149], v[222:223], v[220:221]
	v_fmac_f64_e32 v[222:223], v[220:221], v[148:149]
	v_div_scale_f64 v[150:151], s[18:19], v[222:223], v[222:223], 1.0
	v_rcp_f64_e32 v[220:221], v[150:151]
	s_nop 0
	v_fma_f64 v[226:227], -v[150:151], v[220:221], 1.0
	v_fmac_f64_e32 v[220:221], v[220:221], v[226:227]
	v_fma_f64 v[226:227], -v[150:151], v[220:221], 1.0
	v_fmac_f64_e32 v[220:221], v[220:221], v[226:227]
	v_div_scale_f64 v[226:227], vcc, 1.0, v[222:223], 1.0
	v_mul_f64 v[228:229], v[226:227], v[220:221]
	v_fma_f64 v[150:151], -v[150:151], v[228:229], v[226:227]
	s_nop 1
	v_div_fmas_f64 v[150:151], v[150:151], v[220:221], v[228:229]
	v_div_fixup_f64 v[222:223], v[150:151], v[222:223], 1.0
	v_mul_f64 v[220:221], v[148:149], v[222:223]
	v_xor_b32_e32 v223, 0x80000000, v223
.LBB108_175:
	s_andn2_saveexec_b64 s[16:17], s[16:17]
	s_cbranch_execz .LBB108_177
; %bb.176:
	v_div_scale_f64 v[148:149], s[18:19], v[220:221], v[220:221], v[222:223]
	v_rcp_f64_e32 v[150:151], v[148:149]
	v_div_scale_f64 v[226:227], vcc, v[222:223], v[220:221], v[222:223]
	v_fma_f64 v[228:229], -v[148:149], v[150:151], 1.0
	v_fmac_f64_e32 v[150:151], v[150:151], v[228:229]
	v_fma_f64 v[228:229], -v[148:149], v[150:151], 1.0
	v_fmac_f64_e32 v[150:151], v[150:151], v[228:229]
	v_mul_f64 v[228:229], v[226:227], v[150:151]
	v_fma_f64 v[148:149], -v[148:149], v[228:229], v[226:227]
	v_div_fmas_f64 v[148:149], v[148:149], v[150:151], v[228:229]
	v_div_fixup_f64 v[148:149], v[148:149], v[220:221], v[222:223]
	v_fmac_f64_e32 v[220:221], v[222:223], v[148:149]
	v_div_scale_f64 v[150:151], s[18:19], v[220:221], v[220:221], 1.0
	v_rcp_f64_e32 v[222:223], v[150:151]
	s_nop 0
	v_fma_f64 v[226:227], -v[150:151], v[222:223], 1.0
	v_fmac_f64_e32 v[222:223], v[222:223], v[226:227]
	v_fma_f64 v[226:227], -v[150:151], v[222:223], 1.0
	v_fmac_f64_e32 v[222:223], v[222:223], v[226:227]
	v_div_scale_f64 v[226:227], vcc, 1.0, v[220:221], 1.0
	v_mul_f64 v[228:229], v[226:227], v[222:223]
	v_fma_f64 v[150:151], -v[150:151], v[228:229], v[226:227]
	s_nop 1
	v_div_fmas_f64 v[150:151], v[150:151], v[222:223], v[228:229]
	v_div_fixup_f64 v[220:221], v[150:151], v[220:221], 1.0
	v_mul_f64 v[222:223], v[148:149], -v[220:221]
.LBB108_177:
	s_or_b64 exec, exec, s[16:17]
.LBB108_178:
	s_or_b64 exec, exec, s[0:1]
	v_cmp_ne_u32_e32 vcc, v233, v230
	s_and_saveexec_b64 s[0:1], vcc
	s_xor_b64 s[0:1], exec, s[0:1]
	s_cbranch_execz .LBB108_184
; %bb.179:
	v_cmp_eq_u32_e32 vcc, 8, v233
	s_and_saveexec_b64 s[16:17], vcc
	s_cbranch_execz .LBB108_183
; %bb.180:
	v_cmp_ne_u32_e32 vcc, 8, v230
	s_xor_b64 s[18:19], s[14:15], -1
	s_and_b64 s[22:23], s[18:19], vcc
	s_and_saveexec_b64 s[18:19], s[22:23]
	s_cbranch_execz .LBB108_182
; %bb.181:
	v_ashrrev_i32_e32 v231, 31, v230
	s_waitcnt vmcnt(0)
	v_lshl_add_u64 v[148:149], v[230:231], 2, v[146:147]
	global_load_dword v150, v[148:149], off
	global_load_dword v151, v[146:147], off offset:32
	s_waitcnt vmcnt(1)
	global_store_dword v[146:147], v150, off offset:32
	s_waitcnt vmcnt(1)
	global_store_dword v[148:149], v151, off
.LBB108_182:
	s_or_b64 exec, exec, s[18:19]
	v_mov_b32_e32 v233, v230
	v_mov_b32_e32 v224, v230
.LBB108_183:
	s_or_b64 exec, exec, s[16:17]
.LBB108_184:
	s_andn2_saveexec_b64 s[0:1], s[0:1]
	s_cbranch_execz .LBB108_186
; %bb.185:
	v_mov_b32_e32 v233, 8
	ds_write2_b64 v232, v[184:185], v[186:187] offset0:18 offset1:19
	ds_write2_b64 v232, v[180:181], v[182:183] offset0:20 offset1:21
	;; [unrolled: 1-line block ×46, first 2 shown]
.LBB108_186:
	s_or_b64 exec, exec, s[0:1]
	v_cmp_lt_i32_e32 vcc, 8, v233
	s_waitcnt lgkmcnt(0)
	s_barrier
	s_and_saveexec_b64 s[0:1], vcc
	s_cbranch_execz .LBB108_188
; %bb.187:
	ds_read2_b64 v[236:239], v232 offset0:18 offset1:19
	v_mul_f64 v[148:149], v[222:223], v[190:191]
	v_mul_f64 v[190:191], v[220:221], v[190:191]
	v_fma_f64 v[230:231], v[220:221], v[188:189], -v[148:149]
	v_fmac_f64_e32 v[190:191], v[222:223], v[188:189]
	ds_read2_b64 v[220:223], v232 offset0:20 offset1:21
	s_waitcnt lgkmcnt(1)
	v_mul_f64 v[148:149], v[238:239], v[190:191]
	v_mul_f64 v[150:151], v[236:237], v[190:191]
	v_fma_f64 v[148:149], v[236:237], v[230:231], -v[148:149]
	v_fmac_f64_e32 v[150:151], v[238:239], v[230:231]
	ds_read2_b64 v[236:239], v232 offset0:22 offset1:23
	v_add_f64 v[184:185], v[184:185], -v[148:149]
	v_add_f64 v[186:187], v[186:187], -v[150:151]
	s_waitcnt lgkmcnt(1)
	v_mul_f64 v[148:149], v[222:223], v[190:191]
	v_mul_f64 v[150:151], v[220:221], v[190:191]
	v_fma_f64 v[148:149], v[220:221], v[230:231], -v[148:149]
	v_fmac_f64_e32 v[150:151], v[222:223], v[230:231]
	ds_read2_b64 v[220:223], v232 offset0:24 offset1:25
	v_add_f64 v[180:181], v[180:181], -v[148:149]
	v_add_f64 v[182:183], v[182:183], -v[150:151]
	;; [unrolled: 8-line block ×44, first 2 shown]
	s_waitcnt lgkmcnt(1)
	v_mul_f64 v[148:149], v[238:239], v[190:191]
	v_mul_f64 v[150:151], v[236:237], v[190:191]
	v_fma_f64 v[148:149], v[236:237], v[230:231], -v[148:149]
	v_fmac_f64_e32 v[150:151], v[238:239], v[230:231]
	v_add_f64 v[0:1], v[0:1], -v[148:149]
	v_add_f64 v[2:3], v[2:3], -v[150:151]
	s_waitcnt lgkmcnt(0)
	v_mul_f64 v[148:149], v[222:223], v[190:191]
	v_mul_f64 v[150:151], v[220:221], v[190:191]
	v_fma_f64 v[148:149], v[220:221], v[230:231], -v[148:149]
	v_fmac_f64_e32 v[150:151], v[222:223], v[230:231]
	v_add_f64 v[216:217], v[216:217], -v[148:149]
	v_add_f64 v[218:219], v[218:219], -v[150:151]
	v_mov_b64_e32 v[188:189], v[230:231]
.LBB108_188:
	s_or_b64 exec, exec, s[0:1]
	v_lshl_add_u32 v148, v233, 4, v232
	s_barrier
	ds_write2_b64 v148, v[184:185], v[186:187] offset1:1
	s_waitcnt lgkmcnt(0)
	s_barrier
	ds_read2_b64 v[220:223], v232 offset0:18 offset1:19
	s_cmp_lt_i32 s20, 11
	v_mov_b32_e32 v230, 9
	s_cbranch_scc1 .LBB108_191
; %bb.189:
	v_add_u32_e32 v231, 0xa0, v232
	s_mov_b32 s16, 10
	v_mov_b32_e32 v230, 9
.LBB108_190:                            ; =>This Inner Loop Header: Depth=1
	ds_read2_b64 v[236:239], v231 offset1:1
	s_waitcnt lgkmcnt(1)
	v_xor_b32_e32 v149, 0x80000000, v221
	v_xor_b32_e32 v151, 0x80000000, v223
	v_cmp_gt_f64_e32 vcc, 0, v[222:223]
	v_cmp_gt_f64_e64 s[0:1], 0, v[220:221]
	v_mov_b32_e32 v148, v220
	v_mov_b32_e32 v150, v222
	v_cndmask_b32_e64 v149, v221, v149, s[0:1]
	v_cndmask_b32_e32 v151, v223, v151, vcc
	v_add_f64 v[148:149], v[148:149], v[150:151]
	s_waitcnt lgkmcnt(0)
	v_xor_b32_e32 v151, 0x80000000, v237
	v_xor_b32_e32 v227, 0x80000000, v239
	v_cmp_gt_f64_e32 vcc, 0, v[238:239]
	v_cmp_gt_f64_e64 s[0:1], 0, v[236:237]
	v_mov_b32_e32 v150, v236
	v_mov_b32_e32 v226, v238
	v_cndmask_b32_e64 v151, v237, v151, s[0:1]
	v_cndmask_b32_e32 v227, v239, v227, vcc
	v_add_f64 v[150:151], v[150:151], v[226:227]
	v_mov_b32_e32 v228, s16
	s_add_i32 s16, s16, 1
	v_cmp_lt_f64_e32 vcc, v[148:149], v[150:151]
	v_add_u32_e32 v231, 16, v231
	s_cmp_lg_u32 s20, s16
	v_cndmask_b32_e32 v221, v221, v237, vcc
	v_cndmask_b32_e32 v220, v220, v236, vcc
	;; [unrolled: 1-line block ×5, first 2 shown]
	s_cbranch_scc1 .LBB108_190
.LBB108_191:
	s_waitcnt lgkmcnt(0)
	v_cmp_eq_f64_e32 vcc, 0, v[220:221]
	v_cmp_eq_f64_e64 s[0:1], 0, v[222:223]
	s_and_b64 s[0:1], vcc, s[0:1]
	s_and_saveexec_b64 s[16:17], s[0:1]
	s_xor_b64 s[0:1], exec, s[16:17]
; %bb.192:
	v_cmp_ne_u32_e32 vcc, 0, v234
	s_nop 1
	v_cndmask_b32_e32 v234, 10, v234, vcc
; %bb.193:
	s_andn2_saveexec_b64 s[0:1], s[0:1]
	s_cbranch_execz .LBB108_199
; %bb.194:
	v_cmp_ngt_f64_e64 s[16:17], |v[220:221]|, |v[222:223]|
	s_and_saveexec_b64 s[18:19], s[16:17]
	s_xor_b64 s[16:17], exec, s[18:19]
	s_cbranch_execz .LBB108_196
; %bb.195:
	v_div_scale_f64 v[148:149], s[18:19], v[222:223], v[222:223], v[220:221]
	v_rcp_f64_e32 v[150:151], v[148:149]
	v_div_scale_f64 v[226:227], vcc, v[220:221], v[222:223], v[220:221]
	v_fma_f64 v[228:229], -v[148:149], v[150:151], 1.0
	v_fmac_f64_e32 v[150:151], v[150:151], v[228:229]
	v_fma_f64 v[228:229], -v[148:149], v[150:151], 1.0
	v_fmac_f64_e32 v[150:151], v[150:151], v[228:229]
	v_mul_f64 v[228:229], v[226:227], v[150:151]
	v_fma_f64 v[148:149], -v[148:149], v[228:229], v[226:227]
	v_div_fmas_f64 v[148:149], v[148:149], v[150:151], v[228:229]
	v_div_fixup_f64 v[148:149], v[148:149], v[222:223], v[220:221]
	v_fmac_f64_e32 v[222:223], v[220:221], v[148:149]
	v_div_scale_f64 v[150:151], s[18:19], v[222:223], v[222:223], 1.0
	v_rcp_f64_e32 v[220:221], v[150:151]
	s_nop 0
	v_fma_f64 v[226:227], -v[150:151], v[220:221], 1.0
	v_fmac_f64_e32 v[220:221], v[220:221], v[226:227]
	v_fma_f64 v[226:227], -v[150:151], v[220:221], 1.0
	v_fmac_f64_e32 v[220:221], v[220:221], v[226:227]
	v_div_scale_f64 v[226:227], vcc, 1.0, v[222:223], 1.0
	v_mul_f64 v[228:229], v[226:227], v[220:221]
	v_fma_f64 v[150:151], -v[150:151], v[228:229], v[226:227]
	s_nop 1
	v_div_fmas_f64 v[150:151], v[150:151], v[220:221], v[228:229]
	v_div_fixup_f64 v[222:223], v[150:151], v[222:223], 1.0
	v_mul_f64 v[220:221], v[148:149], v[222:223]
	v_xor_b32_e32 v223, 0x80000000, v223
.LBB108_196:
	s_andn2_saveexec_b64 s[16:17], s[16:17]
	s_cbranch_execz .LBB108_198
; %bb.197:
	v_div_scale_f64 v[148:149], s[18:19], v[220:221], v[220:221], v[222:223]
	v_rcp_f64_e32 v[150:151], v[148:149]
	v_div_scale_f64 v[226:227], vcc, v[222:223], v[220:221], v[222:223]
	v_fma_f64 v[228:229], -v[148:149], v[150:151], 1.0
	v_fmac_f64_e32 v[150:151], v[150:151], v[228:229]
	v_fma_f64 v[228:229], -v[148:149], v[150:151], 1.0
	v_fmac_f64_e32 v[150:151], v[150:151], v[228:229]
	v_mul_f64 v[228:229], v[226:227], v[150:151]
	v_fma_f64 v[148:149], -v[148:149], v[228:229], v[226:227]
	v_div_fmas_f64 v[148:149], v[148:149], v[150:151], v[228:229]
	v_div_fixup_f64 v[148:149], v[148:149], v[220:221], v[222:223]
	v_fmac_f64_e32 v[220:221], v[222:223], v[148:149]
	v_div_scale_f64 v[150:151], s[18:19], v[220:221], v[220:221], 1.0
	v_rcp_f64_e32 v[222:223], v[150:151]
	s_nop 0
	v_fma_f64 v[226:227], -v[150:151], v[222:223], 1.0
	v_fmac_f64_e32 v[222:223], v[222:223], v[226:227]
	v_fma_f64 v[226:227], -v[150:151], v[222:223], 1.0
	v_fmac_f64_e32 v[222:223], v[222:223], v[226:227]
	v_div_scale_f64 v[226:227], vcc, 1.0, v[220:221], 1.0
	v_mul_f64 v[228:229], v[226:227], v[222:223]
	v_fma_f64 v[150:151], -v[150:151], v[228:229], v[226:227]
	s_nop 1
	v_div_fmas_f64 v[150:151], v[150:151], v[222:223], v[228:229]
	v_div_fixup_f64 v[220:221], v[150:151], v[220:221], 1.0
	v_mul_f64 v[222:223], v[148:149], -v[220:221]
.LBB108_198:
	s_or_b64 exec, exec, s[16:17]
.LBB108_199:
	s_or_b64 exec, exec, s[0:1]
	v_cmp_ne_u32_e32 vcc, v233, v230
	s_and_saveexec_b64 s[0:1], vcc
	s_xor_b64 s[0:1], exec, s[0:1]
	s_cbranch_execz .LBB108_205
; %bb.200:
	v_cmp_eq_u32_e32 vcc, 9, v233
	s_and_saveexec_b64 s[16:17], vcc
	s_cbranch_execz .LBB108_204
; %bb.201:
	v_cmp_ne_u32_e32 vcc, 9, v230
	s_xor_b64 s[18:19], s[14:15], -1
	s_and_b64 s[22:23], s[18:19], vcc
	s_and_saveexec_b64 s[18:19], s[22:23]
	s_cbranch_execz .LBB108_203
; %bb.202:
	v_ashrrev_i32_e32 v231, 31, v230
	s_waitcnt vmcnt(0)
	v_lshl_add_u64 v[148:149], v[230:231], 2, v[146:147]
	global_load_dword v150, v[148:149], off
	global_load_dword v151, v[146:147], off offset:36
	s_waitcnt vmcnt(1)
	global_store_dword v[146:147], v150, off offset:36
	s_waitcnt vmcnt(1)
	global_store_dword v[148:149], v151, off
.LBB108_203:
	s_or_b64 exec, exec, s[18:19]
	v_mov_b32_e32 v233, v230
	v_mov_b32_e32 v224, v230
.LBB108_204:
	s_or_b64 exec, exec, s[16:17]
.LBB108_205:
	s_andn2_saveexec_b64 s[0:1], s[0:1]
	s_cbranch_execz .LBB108_207
; %bb.206:
	v_mov_b32_e32 v233, 9
	ds_write2_b64 v232, v[180:181], v[182:183] offset0:20 offset1:21
	ds_write2_b64 v232, v[176:177], v[178:179] offset0:22 offset1:23
	;; [unrolled: 1-line block ×45, first 2 shown]
.LBB108_207:
	s_or_b64 exec, exec, s[0:1]
	v_cmp_lt_i32_e32 vcc, 9, v233
	s_waitcnt lgkmcnt(0)
	s_barrier
	s_and_saveexec_b64 s[0:1], vcc
	s_cbranch_execz .LBB108_209
; %bb.208:
	ds_read2_b64 v[236:239], v232 offset0:20 offset1:21
	v_mul_f64 v[148:149], v[222:223], v[186:187]
	v_mul_f64 v[186:187], v[220:221], v[186:187]
	v_fma_f64 v[230:231], v[220:221], v[184:185], -v[148:149]
	v_fmac_f64_e32 v[186:187], v[222:223], v[184:185]
	ds_read2_b64 v[220:223], v232 offset0:22 offset1:23
	s_waitcnt lgkmcnt(1)
	v_mul_f64 v[148:149], v[238:239], v[186:187]
	v_mul_f64 v[150:151], v[236:237], v[186:187]
	v_fma_f64 v[148:149], v[236:237], v[230:231], -v[148:149]
	v_fmac_f64_e32 v[150:151], v[238:239], v[230:231]
	ds_read2_b64 v[236:239], v232 offset0:24 offset1:25
	v_add_f64 v[180:181], v[180:181], -v[148:149]
	v_add_f64 v[182:183], v[182:183], -v[150:151]
	s_waitcnt lgkmcnt(1)
	v_mul_f64 v[148:149], v[222:223], v[186:187]
	v_mul_f64 v[150:151], v[220:221], v[186:187]
	v_fma_f64 v[148:149], v[220:221], v[230:231], -v[148:149]
	v_fmac_f64_e32 v[150:151], v[222:223], v[230:231]
	ds_read2_b64 v[220:223], v232 offset0:26 offset1:27
	v_add_f64 v[176:177], v[176:177], -v[148:149]
	v_add_f64 v[178:179], v[178:179], -v[150:151]
	;; [unrolled: 8-line block ×43, first 2 shown]
	s_waitcnt lgkmcnt(1)
	v_mul_f64 v[148:149], v[222:223], v[186:187]
	v_mul_f64 v[150:151], v[220:221], v[186:187]
	v_fma_f64 v[148:149], v[220:221], v[230:231], -v[148:149]
	v_fmac_f64_e32 v[150:151], v[222:223], v[230:231]
	v_add_f64 v[0:1], v[0:1], -v[148:149]
	v_add_f64 v[2:3], v[2:3], -v[150:151]
	s_waitcnt lgkmcnt(0)
	v_mul_f64 v[148:149], v[238:239], v[186:187]
	v_mul_f64 v[150:151], v[236:237], v[186:187]
	v_fma_f64 v[148:149], v[236:237], v[230:231], -v[148:149]
	v_fmac_f64_e32 v[150:151], v[238:239], v[230:231]
	v_add_f64 v[216:217], v[216:217], -v[148:149]
	v_add_f64 v[218:219], v[218:219], -v[150:151]
	v_mov_b64_e32 v[184:185], v[230:231]
.LBB108_209:
	s_or_b64 exec, exec, s[0:1]
	v_lshl_add_u32 v148, v233, 4, v232
	s_barrier
	ds_write2_b64 v148, v[180:181], v[182:183] offset1:1
	s_waitcnt lgkmcnt(0)
	s_barrier
	ds_read2_b64 v[220:223], v232 offset0:20 offset1:21
	s_cmp_lt_i32 s20, 12
	v_mov_b32_e32 v230, 10
	s_cbranch_scc1 .LBB108_212
; %bb.210:
	v_add_u32_e32 v231, 0xb0, v232
	s_mov_b32 s16, 11
	v_mov_b32_e32 v230, 10
.LBB108_211:                            ; =>This Inner Loop Header: Depth=1
	ds_read2_b64 v[236:239], v231 offset1:1
	s_waitcnt lgkmcnt(1)
	v_xor_b32_e32 v149, 0x80000000, v221
	v_xor_b32_e32 v151, 0x80000000, v223
	v_cmp_gt_f64_e32 vcc, 0, v[222:223]
	v_cmp_gt_f64_e64 s[0:1], 0, v[220:221]
	v_mov_b32_e32 v148, v220
	v_mov_b32_e32 v150, v222
	v_cndmask_b32_e64 v149, v221, v149, s[0:1]
	v_cndmask_b32_e32 v151, v223, v151, vcc
	v_add_f64 v[148:149], v[148:149], v[150:151]
	s_waitcnt lgkmcnt(0)
	v_xor_b32_e32 v151, 0x80000000, v237
	v_xor_b32_e32 v227, 0x80000000, v239
	v_cmp_gt_f64_e32 vcc, 0, v[238:239]
	v_cmp_gt_f64_e64 s[0:1], 0, v[236:237]
	v_mov_b32_e32 v150, v236
	v_mov_b32_e32 v226, v238
	v_cndmask_b32_e64 v151, v237, v151, s[0:1]
	v_cndmask_b32_e32 v227, v239, v227, vcc
	v_add_f64 v[150:151], v[150:151], v[226:227]
	v_mov_b32_e32 v228, s16
	s_add_i32 s16, s16, 1
	v_cmp_lt_f64_e32 vcc, v[148:149], v[150:151]
	v_add_u32_e32 v231, 16, v231
	s_cmp_lg_u32 s20, s16
	v_cndmask_b32_e32 v221, v221, v237, vcc
	v_cndmask_b32_e32 v220, v220, v236, vcc
	;; [unrolled: 1-line block ×5, first 2 shown]
	s_cbranch_scc1 .LBB108_211
.LBB108_212:
	s_waitcnt lgkmcnt(0)
	v_cmp_eq_f64_e32 vcc, 0, v[220:221]
	v_cmp_eq_f64_e64 s[0:1], 0, v[222:223]
	s_and_b64 s[0:1], vcc, s[0:1]
	s_and_saveexec_b64 s[16:17], s[0:1]
	s_xor_b64 s[0:1], exec, s[16:17]
; %bb.213:
	v_cmp_ne_u32_e32 vcc, 0, v234
	s_nop 1
	v_cndmask_b32_e32 v234, 11, v234, vcc
; %bb.214:
	s_andn2_saveexec_b64 s[0:1], s[0:1]
	s_cbranch_execz .LBB108_220
; %bb.215:
	v_cmp_ngt_f64_e64 s[16:17], |v[220:221]|, |v[222:223]|
	s_and_saveexec_b64 s[18:19], s[16:17]
	s_xor_b64 s[16:17], exec, s[18:19]
	s_cbranch_execz .LBB108_217
; %bb.216:
	v_div_scale_f64 v[148:149], s[18:19], v[222:223], v[222:223], v[220:221]
	v_rcp_f64_e32 v[150:151], v[148:149]
	v_div_scale_f64 v[226:227], vcc, v[220:221], v[222:223], v[220:221]
	v_fma_f64 v[228:229], -v[148:149], v[150:151], 1.0
	v_fmac_f64_e32 v[150:151], v[150:151], v[228:229]
	v_fma_f64 v[228:229], -v[148:149], v[150:151], 1.0
	v_fmac_f64_e32 v[150:151], v[150:151], v[228:229]
	v_mul_f64 v[228:229], v[226:227], v[150:151]
	v_fma_f64 v[148:149], -v[148:149], v[228:229], v[226:227]
	v_div_fmas_f64 v[148:149], v[148:149], v[150:151], v[228:229]
	v_div_fixup_f64 v[148:149], v[148:149], v[222:223], v[220:221]
	v_fmac_f64_e32 v[222:223], v[220:221], v[148:149]
	v_div_scale_f64 v[150:151], s[18:19], v[222:223], v[222:223], 1.0
	v_rcp_f64_e32 v[220:221], v[150:151]
	s_nop 0
	v_fma_f64 v[226:227], -v[150:151], v[220:221], 1.0
	v_fmac_f64_e32 v[220:221], v[220:221], v[226:227]
	v_fma_f64 v[226:227], -v[150:151], v[220:221], 1.0
	v_fmac_f64_e32 v[220:221], v[220:221], v[226:227]
	v_div_scale_f64 v[226:227], vcc, 1.0, v[222:223], 1.0
	v_mul_f64 v[228:229], v[226:227], v[220:221]
	v_fma_f64 v[150:151], -v[150:151], v[228:229], v[226:227]
	s_nop 1
	v_div_fmas_f64 v[150:151], v[150:151], v[220:221], v[228:229]
	v_div_fixup_f64 v[222:223], v[150:151], v[222:223], 1.0
	v_mul_f64 v[220:221], v[148:149], v[222:223]
	v_xor_b32_e32 v223, 0x80000000, v223
.LBB108_217:
	s_andn2_saveexec_b64 s[16:17], s[16:17]
	s_cbranch_execz .LBB108_219
; %bb.218:
	v_div_scale_f64 v[148:149], s[18:19], v[220:221], v[220:221], v[222:223]
	v_rcp_f64_e32 v[150:151], v[148:149]
	v_div_scale_f64 v[226:227], vcc, v[222:223], v[220:221], v[222:223]
	v_fma_f64 v[228:229], -v[148:149], v[150:151], 1.0
	v_fmac_f64_e32 v[150:151], v[150:151], v[228:229]
	v_fma_f64 v[228:229], -v[148:149], v[150:151], 1.0
	v_fmac_f64_e32 v[150:151], v[150:151], v[228:229]
	v_mul_f64 v[228:229], v[226:227], v[150:151]
	v_fma_f64 v[148:149], -v[148:149], v[228:229], v[226:227]
	v_div_fmas_f64 v[148:149], v[148:149], v[150:151], v[228:229]
	v_div_fixup_f64 v[148:149], v[148:149], v[220:221], v[222:223]
	v_fmac_f64_e32 v[220:221], v[222:223], v[148:149]
	v_div_scale_f64 v[150:151], s[18:19], v[220:221], v[220:221], 1.0
	v_rcp_f64_e32 v[222:223], v[150:151]
	s_nop 0
	v_fma_f64 v[226:227], -v[150:151], v[222:223], 1.0
	v_fmac_f64_e32 v[222:223], v[222:223], v[226:227]
	v_fma_f64 v[226:227], -v[150:151], v[222:223], 1.0
	v_fmac_f64_e32 v[222:223], v[222:223], v[226:227]
	v_div_scale_f64 v[226:227], vcc, 1.0, v[220:221], 1.0
	v_mul_f64 v[228:229], v[226:227], v[222:223]
	v_fma_f64 v[150:151], -v[150:151], v[228:229], v[226:227]
	s_nop 1
	v_div_fmas_f64 v[150:151], v[150:151], v[222:223], v[228:229]
	v_div_fixup_f64 v[220:221], v[150:151], v[220:221], 1.0
	v_mul_f64 v[222:223], v[148:149], -v[220:221]
.LBB108_219:
	s_or_b64 exec, exec, s[16:17]
.LBB108_220:
	s_or_b64 exec, exec, s[0:1]
	v_cmp_ne_u32_e32 vcc, v233, v230
	s_and_saveexec_b64 s[0:1], vcc
	s_xor_b64 s[0:1], exec, s[0:1]
	s_cbranch_execz .LBB108_226
; %bb.221:
	v_cmp_eq_u32_e32 vcc, 10, v233
	s_and_saveexec_b64 s[16:17], vcc
	s_cbranch_execz .LBB108_225
; %bb.222:
	v_cmp_ne_u32_e32 vcc, 10, v230
	s_xor_b64 s[18:19], s[14:15], -1
	s_and_b64 s[22:23], s[18:19], vcc
	s_and_saveexec_b64 s[18:19], s[22:23]
	s_cbranch_execz .LBB108_224
; %bb.223:
	v_ashrrev_i32_e32 v231, 31, v230
	s_waitcnt vmcnt(0)
	v_lshl_add_u64 v[148:149], v[230:231], 2, v[146:147]
	global_load_dword v150, v[148:149], off
	global_load_dword v151, v[146:147], off offset:40
	s_waitcnt vmcnt(1)
	global_store_dword v[146:147], v150, off offset:40
	s_waitcnt vmcnt(1)
	global_store_dword v[148:149], v151, off
.LBB108_224:
	s_or_b64 exec, exec, s[18:19]
	v_mov_b32_e32 v233, v230
	v_mov_b32_e32 v224, v230
.LBB108_225:
	s_or_b64 exec, exec, s[16:17]
.LBB108_226:
	s_andn2_saveexec_b64 s[0:1], s[0:1]
	s_cbranch_execz .LBB108_228
; %bb.227:
	v_mov_b32_e32 v233, 10
	ds_write2_b64 v232, v[176:177], v[178:179] offset0:22 offset1:23
	ds_write2_b64 v232, v[172:173], v[174:175] offset0:24 offset1:25
	;; [unrolled: 1-line block ×44, first 2 shown]
.LBB108_228:
	s_or_b64 exec, exec, s[0:1]
	v_cmp_lt_i32_e32 vcc, 10, v233
	s_waitcnt lgkmcnt(0)
	s_barrier
	s_and_saveexec_b64 s[0:1], vcc
	s_cbranch_execz .LBB108_230
; %bb.229:
	ds_read2_b64 v[236:239], v232 offset0:22 offset1:23
	v_mul_f64 v[148:149], v[222:223], v[182:183]
	v_mul_f64 v[182:183], v[220:221], v[182:183]
	v_fma_f64 v[230:231], v[220:221], v[180:181], -v[148:149]
	v_fmac_f64_e32 v[182:183], v[222:223], v[180:181]
	ds_read2_b64 v[220:223], v232 offset0:24 offset1:25
	s_waitcnt lgkmcnt(1)
	v_mul_f64 v[148:149], v[238:239], v[182:183]
	v_mul_f64 v[150:151], v[236:237], v[182:183]
	v_fma_f64 v[148:149], v[236:237], v[230:231], -v[148:149]
	v_fmac_f64_e32 v[150:151], v[238:239], v[230:231]
	ds_read2_b64 v[236:239], v232 offset0:26 offset1:27
	v_add_f64 v[176:177], v[176:177], -v[148:149]
	v_add_f64 v[178:179], v[178:179], -v[150:151]
	s_waitcnt lgkmcnt(1)
	v_mul_f64 v[148:149], v[222:223], v[182:183]
	v_mul_f64 v[150:151], v[220:221], v[182:183]
	v_fma_f64 v[148:149], v[220:221], v[230:231], -v[148:149]
	v_fmac_f64_e32 v[150:151], v[222:223], v[230:231]
	ds_read2_b64 v[220:223], v232 offset0:28 offset1:29
	v_add_f64 v[172:173], v[172:173], -v[148:149]
	v_add_f64 v[174:175], v[174:175], -v[150:151]
	;; [unrolled: 8-line block ×42, first 2 shown]
	s_waitcnt lgkmcnt(1)
	v_mul_f64 v[148:149], v[238:239], v[182:183]
	v_mul_f64 v[150:151], v[236:237], v[182:183]
	v_fma_f64 v[148:149], v[236:237], v[230:231], -v[148:149]
	v_fmac_f64_e32 v[150:151], v[238:239], v[230:231]
	v_add_f64 v[0:1], v[0:1], -v[148:149]
	v_add_f64 v[2:3], v[2:3], -v[150:151]
	s_waitcnt lgkmcnt(0)
	v_mul_f64 v[148:149], v[222:223], v[182:183]
	v_mul_f64 v[150:151], v[220:221], v[182:183]
	v_fma_f64 v[148:149], v[220:221], v[230:231], -v[148:149]
	v_fmac_f64_e32 v[150:151], v[222:223], v[230:231]
	v_add_f64 v[216:217], v[216:217], -v[148:149]
	v_add_f64 v[218:219], v[218:219], -v[150:151]
	v_mov_b64_e32 v[180:181], v[230:231]
.LBB108_230:
	s_or_b64 exec, exec, s[0:1]
	v_lshl_add_u32 v148, v233, 4, v232
	s_barrier
	ds_write2_b64 v148, v[176:177], v[178:179] offset1:1
	s_waitcnt lgkmcnt(0)
	s_barrier
	ds_read2_b64 v[220:223], v232 offset0:22 offset1:23
	s_cmp_lt_i32 s20, 13
	v_mov_b32_e32 v230, 11
	s_cbranch_scc1 .LBB108_233
; %bb.231:
	v_add_u32_e32 v231, 0xc0, v232
	s_mov_b32 s16, 12
	v_mov_b32_e32 v230, 11
.LBB108_232:                            ; =>This Inner Loop Header: Depth=1
	ds_read2_b64 v[236:239], v231 offset1:1
	s_waitcnt lgkmcnt(1)
	v_xor_b32_e32 v149, 0x80000000, v221
	v_xor_b32_e32 v151, 0x80000000, v223
	v_cmp_gt_f64_e32 vcc, 0, v[222:223]
	v_cmp_gt_f64_e64 s[0:1], 0, v[220:221]
	v_mov_b32_e32 v148, v220
	v_mov_b32_e32 v150, v222
	v_cndmask_b32_e64 v149, v221, v149, s[0:1]
	v_cndmask_b32_e32 v151, v223, v151, vcc
	v_add_f64 v[148:149], v[148:149], v[150:151]
	s_waitcnt lgkmcnt(0)
	v_xor_b32_e32 v151, 0x80000000, v237
	v_xor_b32_e32 v227, 0x80000000, v239
	v_cmp_gt_f64_e32 vcc, 0, v[238:239]
	v_cmp_gt_f64_e64 s[0:1], 0, v[236:237]
	v_mov_b32_e32 v150, v236
	v_mov_b32_e32 v226, v238
	v_cndmask_b32_e64 v151, v237, v151, s[0:1]
	v_cndmask_b32_e32 v227, v239, v227, vcc
	v_add_f64 v[150:151], v[150:151], v[226:227]
	v_mov_b32_e32 v228, s16
	s_add_i32 s16, s16, 1
	v_cmp_lt_f64_e32 vcc, v[148:149], v[150:151]
	v_add_u32_e32 v231, 16, v231
	s_cmp_lg_u32 s20, s16
	v_cndmask_b32_e32 v221, v221, v237, vcc
	v_cndmask_b32_e32 v220, v220, v236, vcc
	;; [unrolled: 1-line block ×5, first 2 shown]
	s_cbranch_scc1 .LBB108_232
.LBB108_233:
	s_waitcnt lgkmcnt(0)
	v_cmp_eq_f64_e32 vcc, 0, v[220:221]
	v_cmp_eq_f64_e64 s[0:1], 0, v[222:223]
	s_and_b64 s[0:1], vcc, s[0:1]
	s_and_saveexec_b64 s[16:17], s[0:1]
	s_xor_b64 s[0:1], exec, s[16:17]
; %bb.234:
	v_cmp_ne_u32_e32 vcc, 0, v234
	s_nop 1
	v_cndmask_b32_e32 v234, 12, v234, vcc
; %bb.235:
	s_andn2_saveexec_b64 s[0:1], s[0:1]
	s_cbranch_execz .LBB108_241
; %bb.236:
	v_cmp_ngt_f64_e64 s[16:17], |v[220:221]|, |v[222:223]|
	s_and_saveexec_b64 s[18:19], s[16:17]
	s_xor_b64 s[16:17], exec, s[18:19]
	s_cbranch_execz .LBB108_238
; %bb.237:
	v_div_scale_f64 v[148:149], s[18:19], v[222:223], v[222:223], v[220:221]
	v_rcp_f64_e32 v[150:151], v[148:149]
	v_div_scale_f64 v[226:227], vcc, v[220:221], v[222:223], v[220:221]
	v_fma_f64 v[228:229], -v[148:149], v[150:151], 1.0
	v_fmac_f64_e32 v[150:151], v[150:151], v[228:229]
	v_fma_f64 v[228:229], -v[148:149], v[150:151], 1.0
	v_fmac_f64_e32 v[150:151], v[150:151], v[228:229]
	v_mul_f64 v[228:229], v[226:227], v[150:151]
	v_fma_f64 v[148:149], -v[148:149], v[228:229], v[226:227]
	v_div_fmas_f64 v[148:149], v[148:149], v[150:151], v[228:229]
	v_div_fixup_f64 v[148:149], v[148:149], v[222:223], v[220:221]
	v_fmac_f64_e32 v[222:223], v[220:221], v[148:149]
	v_div_scale_f64 v[150:151], s[18:19], v[222:223], v[222:223], 1.0
	v_rcp_f64_e32 v[220:221], v[150:151]
	s_nop 0
	v_fma_f64 v[226:227], -v[150:151], v[220:221], 1.0
	v_fmac_f64_e32 v[220:221], v[220:221], v[226:227]
	v_fma_f64 v[226:227], -v[150:151], v[220:221], 1.0
	v_fmac_f64_e32 v[220:221], v[220:221], v[226:227]
	v_div_scale_f64 v[226:227], vcc, 1.0, v[222:223], 1.0
	v_mul_f64 v[228:229], v[226:227], v[220:221]
	v_fma_f64 v[150:151], -v[150:151], v[228:229], v[226:227]
	s_nop 1
	v_div_fmas_f64 v[150:151], v[150:151], v[220:221], v[228:229]
	v_div_fixup_f64 v[222:223], v[150:151], v[222:223], 1.0
	v_mul_f64 v[220:221], v[148:149], v[222:223]
	v_xor_b32_e32 v223, 0x80000000, v223
.LBB108_238:
	s_andn2_saveexec_b64 s[16:17], s[16:17]
	s_cbranch_execz .LBB108_240
; %bb.239:
	v_div_scale_f64 v[148:149], s[18:19], v[220:221], v[220:221], v[222:223]
	v_rcp_f64_e32 v[150:151], v[148:149]
	v_div_scale_f64 v[226:227], vcc, v[222:223], v[220:221], v[222:223]
	v_fma_f64 v[228:229], -v[148:149], v[150:151], 1.0
	v_fmac_f64_e32 v[150:151], v[150:151], v[228:229]
	v_fma_f64 v[228:229], -v[148:149], v[150:151], 1.0
	v_fmac_f64_e32 v[150:151], v[150:151], v[228:229]
	v_mul_f64 v[228:229], v[226:227], v[150:151]
	v_fma_f64 v[148:149], -v[148:149], v[228:229], v[226:227]
	v_div_fmas_f64 v[148:149], v[148:149], v[150:151], v[228:229]
	v_div_fixup_f64 v[148:149], v[148:149], v[220:221], v[222:223]
	v_fmac_f64_e32 v[220:221], v[222:223], v[148:149]
	v_div_scale_f64 v[150:151], s[18:19], v[220:221], v[220:221], 1.0
	v_rcp_f64_e32 v[222:223], v[150:151]
	s_nop 0
	v_fma_f64 v[226:227], -v[150:151], v[222:223], 1.0
	v_fmac_f64_e32 v[222:223], v[222:223], v[226:227]
	v_fma_f64 v[226:227], -v[150:151], v[222:223], 1.0
	v_fmac_f64_e32 v[222:223], v[222:223], v[226:227]
	v_div_scale_f64 v[226:227], vcc, 1.0, v[220:221], 1.0
	v_mul_f64 v[228:229], v[226:227], v[222:223]
	v_fma_f64 v[150:151], -v[150:151], v[228:229], v[226:227]
	s_nop 1
	v_div_fmas_f64 v[150:151], v[150:151], v[222:223], v[228:229]
	v_div_fixup_f64 v[220:221], v[150:151], v[220:221], 1.0
	v_mul_f64 v[222:223], v[148:149], -v[220:221]
.LBB108_240:
	s_or_b64 exec, exec, s[16:17]
.LBB108_241:
	s_or_b64 exec, exec, s[0:1]
	v_cmp_ne_u32_e32 vcc, v233, v230
	s_and_saveexec_b64 s[0:1], vcc
	s_xor_b64 s[0:1], exec, s[0:1]
	s_cbranch_execz .LBB108_247
; %bb.242:
	v_cmp_eq_u32_e32 vcc, 11, v233
	s_and_saveexec_b64 s[16:17], vcc
	s_cbranch_execz .LBB108_246
; %bb.243:
	v_cmp_ne_u32_e32 vcc, 11, v230
	s_xor_b64 s[18:19], s[14:15], -1
	s_and_b64 s[22:23], s[18:19], vcc
	s_and_saveexec_b64 s[18:19], s[22:23]
	s_cbranch_execz .LBB108_245
; %bb.244:
	v_ashrrev_i32_e32 v231, 31, v230
	s_waitcnt vmcnt(0)
	v_lshl_add_u64 v[148:149], v[230:231], 2, v[146:147]
	global_load_dword v150, v[148:149], off
	global_load_dword v151, v[146:147], off offset:44
	s_waitcnt vmcnt(1)
	global_store_dword v[146:147], v150, off offset:44
	s_waitcnt vmcnt(1)
	global_store_dword v[148:149], v151, off
.LBB108_245:
	s_or_b64 exec, exec, s[18:19]
	v_mov_b32_e32 v233, v230
	v_mov_b32_e32 v224, v230
.LBB108_246:
	s_or_b64 exec, exec, s[16:17]
.LBB108_247:
	s_andn2_saveexec_b64 s[0:1], s[0:1]
	s_cbranch_execz .LBB108_249
; %bb.248:
	v_mov_b32_e32 v233, 11
	ds_write2_b64 v232, v[172:173], v[174:175] offset0:24 offset1:25
	ds_write2_b64 v232, v[168:169], v[170:171] offset0:26 offset1:27
	;; [unrolled: 1-line block ×43, first 2 shown]
.LBB108_249:
	s_or_b64 exec, exec, s[0:1]
	v_cmp_lt_i32_e32 vcc, 11, v233
	s_waitcnt lgkmcnt(0)
	s_barrier
	s_and_saveexec_b64 s[0:1], vcc
	s_cbranch_execz .LBB108_251
; %bb.250:
	ds_read2_b64 v[236:239], v232 offset0:24 offset1:25
	v_mul_f64 v[148:149], v[222:223], v[178:179]
	v_mul_f64 v[178:179], v[220:221], v[178:179]
	v_fma_f64 v[230:231], v[220:221], v[176:177], -v[148:149]
	v_fmac_f64_e32 v[178:179], v[222:223], v[176:177]
	ds_read2_b64 v[220:223], v232 offset0:26 offset1:27
	s_waitcnt lgkmcnt(1)
	v_mul_f64 v[148:149], v[238:239], v[178:179]
	v_mul_f64 v[150:151], v[236:237], v[178:179]
	v_fma_f64 v[148:149], v[236:237], v[230:231], -v[148:149]
	v_fmac_f64_e32 v[150:151], v[238:239], v[230:231]
	ds_read2_b64 v[236:239], v232 offset0:28 offset1:29
	v_add_f64 v[172:173], v[172:173], -v[148:149]
	v_add_f64 v[174:175], v[174:175], -v[150:151]
	s_waitcnt lgkmcnt(1)
	v_mul_f64 v[148:149], v[222:223], v[178:179]
	v_mul_f64 v[150:151], v[220:221], v[178:179]
	v_fma_f64 v[148:149], v[220:221], v[230:231], -v[148:149]
	v_fmac_f64_e32 v[150:151], v[222:223], v[230:231]
	ds_read2_b64 v[220:223], v232 offset0:30 offset1:31
	v_add_f64 v[168:169], v[168:169], -v[148:149]
	v_add_f64 v[170:171], v[170:171], -v[150:151]
	;; [unrolled: 8-line block ×41, first 2 shown]
	s_waitcnt lgkmcnt(1)
	v_mul_f64 v[148:149], v[222:223], v[178:179]
	v_mul_f64 v[150:151], v[220:221], v[178:179]
	v_fma_f64 v[148:149], v[220:221], v[230:231], -v[148:149]
	v_fmac_f64_e32 v[150:151], v[222:223], v[230:231]
	v_add_f64 v[0:1], v[0:1], -v[148:149]
	v_add_f64 v[2:3], v[2:3], -v[150:151]
	s_waitcnt lgkmcnt(0)
	v_mul_f64 v[148:149], v[238:239], v[178:179]
	v_mul_f64 v[150:151], v[236:237], v[178:179]
	v_fma_f64 v[148:149], v[236:237], v[230:231], -v[148:149]
	v_fmac_f64_e32 v[150:151], v[238:239], v[230:231]
	v_add_f64 v[216:217], v[216:217], -v[148:149]
	v_add_f64 v[218:219], v[218:219], -v[150:151]
	v_mov_b64_e32 v[176:177], v[230:231]
.LBB108_251:
	s_or_b64 exec, exec, s[0:1]
	v_lshl_add_u32 v148, v233, 4, v232
	s_barrier
	ds_write2_b64 v148, v[172:173], v[174:175] offset1:1
	s_waitcnt lgkmcnt(0)
	s_barrier
	ds_read2_b64 v[220:223], v232 offset0:24 offset1:25
	s_cmp_lt_i32 s20, 14
	v_mov_b32_e32 v230, 12
	s_cbranch_scc1 .LBB108_254
; %bb.252:
	v_add_u32_e32 v231, 0xd0, v232
	s_mov_b32 s16, 13
	v_mov_b32_e32 v230, 12
.LBB108_253:                            ; =>This Inner Loop Header: Depth=1
	ds_read2_b64 v[236:239], v231 offset1:1
	s_waitcnt lgkmcnt(1)
	v_xor_b32_e32 v149, 0x80000000, v221
	v_xor_b32_e32 v151, 0x80000000, v223
	v_cmp_gt_f64_e32 vcc, 0, v[222:223]
	v_cmp_gt_f64_e64 s[0:1], 0, v[220:221]
	v_mov_b32_e32 v148, v220
	v_mov_b32_e32 v150, v222
	v_cndmask_b32_e64 v149, v221, v149, s[0:1]
	v_cndmask_b32_e32 v151, v223, v151, vcc
	v_add_f64 v[148:149], v[148:149], v[150:151]
	s_waitcnt lgkmcnt(0)
	v_xor_b32_e32 v151, 0x80000000, v237
	v_xor_b32_e32 v227, 0x80000000, v239
	v_cmp_gt_f64_e32 vcc, 0, v[238:239]
	v_cmp_gt_f64_e64 s[0:1], 0, v[236:237]
	v_mov_b32_e32 v150, v236
	v_mov_b32_e32 v226, v238
	v_cndmask_b32_e64 v151, v237, v151, s[0:1]
	v_cndmask_b32_e32 v227, v239, v227, vcc
	v_add_f64 v[150:151], v[150:151], v[226:227]
	v_mov_b32_e32 v228, s16
	s_add_i32 s16, s16, 1
	v_cmp_lt_f64_e32 vcc, v[148:149], v[150:151]
	v_add_u32_e32 v231, 16, v231
	s_cmp_lg_u32 s20, s16
	v_cndmask_b32_e32 v221, v221, v237, vcc
	v_cndmask_b32_e32 v220, v220, v236, vcc
	v_cndmask_b32_e32 v223, v223, v239, vcc
	v_cndmask_b32_e32 v222, v222, v238, vcc
	v_cndmask_b32_e32 v230, v230, v228, vcc
	s_cbranch_scc1 .LBB108_253
.LBB108_254:
	s_waitcnt lgkmcnt(0)
	v_cmp_eq_f64_e32 vcc, 0, v[220:221]
	v_cmp_eq_f64_e64 s[0:1], 0, v[222:223]
	s_and_b64 s[0:1], vcc, s[0:1]
	s_and_saveexec_b64 s[16:17], s[0:1]
	s_xor_b64 s[0:1], exec, s[16:17]
; %bb.255:
	v_cmp_ne_u32_e32 vcc, 0, v234
	s_nop 1
	v_cndmask_b32_e32 v234, 13, v234, vcc
; %bb.256:
	s_andn2_saveexec_b64 s[0:1], s[0:1]
	s_cbranch_execz .LBB108_262
; %bb.257:
	v_cmp_ngt_f64_e64 s[16:17], |v[220:221]|, |v[222:223]|
	s_and_saveexec_b64 s[18:19], s[16:17]
	s_xor_b64 s[16:17], exec, s[18:19]
	s_cbranch_execz .LBB108_259
; %bb.258:
	v_div_scale_f64 v[148:149], s[18:19], v[222:223], v[222:223], v[220:221]
	v_rcp_f64_e32 v[150:151], v[148:149]
	v_div_scale_f64 v[226:227], vcc, v[220:221], v[222:223], v[220:221]
	v_fma_f64 v[228:229], -v[148:149], v[150:151], 1.0
	v_fmac_f64_e32 v[150:151], v[150:151], v[228:229]
	v_fma_f64 v[228:229], -v[148:149], v[150:151], 1.0
	v_fmac_f64_e32 v[150:151], v[150:151], v[228:229]
	v_mul_f64 v[228:229], v[226:227], v[150:151]
	v_fma_f64 v[148:149], -v[148:149], v[228:229], v[226:227]
	v_div_fmas_f64 v[148:149], v[148:149], v[150:151], v[228:229]
	v_div_fixup_f64 v[148:149], v[148:149], v[222:223], v[220:221]
	v_fmac_f64_e32 v[222:223], v[220:221], v[148:149]
	v_div_scale_f64 v[150:151], s[18:19], v[222:223], v[222:223], 1.0
	v_rcp_f64_e32 v[220:221], v[150:151]
	s_nop 0
	v_fma_f64 v[226:227], -v[150:151], v[220:221], 1.0
	v_fmac_f64_e32 v[220:221], v[220:221], v[226:227]
	v_fma_f64 v[226:227], -v[150:151], v[220:221], 1.0
	v_fmac_f64_e32 v[220:221], v[220:221], v[226:227]
	v_div_scale_f64 v[226:227], vcc, 1.0, v[222:223], 1.0
	v_mul_f64 v[228:229], v[226:227], v[220:221]
	v_fma_f64 v[150:151], -v[150:151], v[228:229], v[226:227]
	s_nop 1
	v_div_fmas_f64 v[150:151], v[150:151], v[220:221], v[228:229]
	v_div_fixup_f64 v[222:223], v[150:151], v[222:223], 1.0
	v_mul_f64 v[220:221], v[148:149], v[222:223]
	v_xor_b32_e32 v223, 0x80000000, v223
.LBB108_259:
	s_andn2_saveexec_b64 s[16:17], s[16:17]
	s_cbranch_execz .LBB108_261
; %bb.260:
	v_div_scale_f64 v[148:149], s[18:19], v[220:221], v[220:221], v[222:223]
	v_rcp_f64_e32 v[150:151], v[148:149]
	v_div_scale_f64 v[226:227], vcc, v[222:223], v[220:221], v[222:223]
	v_fma_f64 v[228:229], -v[148:149], v[150:151], 1.0
	v_fmac_f64_e32 v[150:151], v[150:151], v[228:229]
	v_fma_f64 v[228:229], -v[148:149], v[150:151], 1.0
	v_fmac_f64_e32 v[150:151], v[150:151], v[228:229]
	v_mul_f64 v[228:229], v[226:227], v[150:151]
	v_fma_f64 v[148:149], -v[148:149], v[228:229], v[226:227]
	v_div_fmas_f64 v[148:149], v[148:149], v[150:151], v[228:229]
	v_div_fixup_f64 v[148:149], v[148:149], v[220:221], v[222:223]
	v_fmac_f64_e32 v[220:221], v[222:223], v[148:149]
	v_div_scale_f64 v[150:151], s[18:19], v[220:221], v[220:221], 1.0
	v_rcp_f64_e32 v[222:223], v[150:151]
	s_nop 0
	v_fma_f64 v[226:227], -v[150:151], v[222:223], 1.0
	v_fmac_f64_e32 v[222:223], v[222:223], v[226:227]
	v_fma_f64 v[226:227], -v[150:151], v[222:223], 1.0
	v_fmac_f64_e32 v[222:223], v[222:223], v[226:227]
	v_div_scale_f64 v[226:227], vcc, 1.0, v[220:221], 1.0
	v_mul_f64 v[228:229], v[226:227], v[222:223]
	v_fma_f64 v[150:151], -v[150:151], v[228:229], v[226:227]
	s_nop 1
	v_div_fmas_f64 v[150:151], v[150:151], v[222:223], v[228:229]
	v_div_fixup_f64 v[220:221], v[150:151], v[220:221], 1.0
	v_mul_f64 v[222:223], v[148:149], -v[220:221]
.LBB108_261:
	s_or_b64 exec, exec, s[16:17]
.LBB108_262:
	s_or_b64 exec, exec, s[0:1]
	v_cmp_ne_u32_e32 vcc, v233, v230
	s_and_saveexec_b64 s[0:1], vcc
	s_xor_b64 s[0:1], exec, s[0:1]
	s_cbranch_execz .LBB108_268
; %bb.263:
	v_cmp_eq_u32_e32 vcc, 12, v233
	s_and_saveexec_b64 s[16:17], vcc
	s_cbranch_execz .LBB108_267
; %bb.264:
	v_cmp_ne_u32_e32 vcc, 12, v230
	s_xor_b64 s[18:19], s[14:15], -1
	s_and_b64 s[22:23], s[18:19], vcc
	s_and_saveexec_b64 s[18:19], s[22:23]
	s_cbranch_execz .LBB108_266
; %bb.265:
	v_ashrrev_i32_e32 v231, 31, v230
	s_waitcnt vmcnt(0)
	v_lshl_add_u64 v[148:149], v[230:231], 2, v[146:147]
	global_load_dword v150, v[148:149], off
	global_load_dword v151, v[146:147], off offset:48
	s_waitcnt vmcnt(1)
	global_store_dword v[146:147], v150, off offset:48
	s_waitcnt vmcnt(1)
	global_store_dword v[148:149], v151, off
.LBB108_266:
	s_or_b64 exec, exec, s[18:19]
	v_mov_b32_e32 v233, v230
	v_mov_b32_e32 v224, v230
.LBB108_267:
	s_or_b64 exec, exec, s[16:17]
.LBB108_268:
	s_andn2_saveexec_b64 s[0:1], s[0:1]
	s_cbranch_execz .LBB108_270
; %bb.269:
	v_mov_b32_e32 v233, 12
	ds_write2_b64 v232, v[168:169], v[170:171] offset0:26 offset1:27
	ds_write2_b64 v232, v[164:165], v[166:167] offset0:28 offset1:29
	;; [unrolled: 1-line block ×42, first 2 shown]
.LBB108_270:
	s_or_b64 exec, exec, s[0:1]
	v_cmp_lt_i32_e32 vcc, 12, v233
	s_waitcnt lgkmcnt(0)
	s_barrier
	s_and_saveexec_b64 s[0:1], vcc
	s_cbranch_execz .LBB108_272
; %bb.271:
	ds_read2_b64 v[236:239], v232 offset0:26 offset1:27
	v_mul_f64 v[148:149], v[222:223], v[174:175]
	v_mul_f64 v[174:175], v[220:221], v[174:175]
	v_fma_f64 v[230:231], v[220:221], v[172:173], -v[148:149]
	v_fmac_f64_e32 v[174:175], v[222:223], v[172:173]
	ds_read2_b64 v[220:223], v232 offset0:28 offset1:29
	s_waitcnt lgkmcnt(1)
	v_mul_f64 v[148:149], v[238:239], v[174:175]
	v_mul_f64 v[150:151], v[236:237], v[174:175]
	v_fma_f64 v[148:149], v[236:237], v[230:231], -v[148:149]
	v_fmac_f64_e32 v[150:151], v[238:239], v[230:231]
	ds_read2_b64 v[236:239], v232 offset0:30 offset1:31
	v_add_f64 v[168:169], v[168:169], -v[148:149]
	v_add_f64 v[170:171], v[170:171], -v[150:151]
	s_waitcnt lgkmcnt(1)
	v_mul_f64 v[148:149], v[222:223], v[174:175]
	v_mul_f64 v[150:151], v[220:221], v[174:175]
	v_fma_f64 v[148:149], v[220:221], v[230:231], -v[148:149]
	v_fmac_f64_e32 v[150:151], v[222:223], v[230:231]
	ds_read2_b64 v[220:223], v232 offset0:32 offset1:33
	v_add_f64 v[164:165], v[164:165], -v[148:149]
	v_add_f64 v[166:167], v[166:167], -v[150:151]
	s_waitcnt lgkmcnt(1)
	v_mul_f64 v[148:149], v[238:239], v[174:175]
	v_mul_f64 v[150:151], v[236:237], v[174:175]
	v_fma_f64 v[148:149], v[236:237], v[230:231], -v[148:149]
	v_fmac_f64_e32 v[150:151], v[238:239], v[230:231]
	ds_read2_b64 v[236:239], v232 offset0:34 offset1:35
	v_add_f64 v[160:161], v[160:161], -v[148:149]
	v_add_f64 v[162:163], v[162:163], -v[150:151]
	s_waitcnt lgkmcnt(1)
	v_mul_f64 v[148:149], v[222:223], v[174:175]
	v_mul_f64 v[150:151], v[220:221], v[174:175]
	v_fma_f64 v[148:149], v[220:221], v[230:231], -v[148:149]
	v_fmac_f64_e32 v[150:151], v[222:223], v[230:231]
	ds_read2_b64 v[220:223], v232 offset0:36 offset1:37
	v_add_f64 v[156:157], v[156:157], -v[148:149]
	v_add_f64 v[158:159], v[158:159], -v[150:151]
	s_waitcnt lgkmcnt(1)
	v_mul_f64 v[148:149], v[238:239], v[174:175]
	v_mul_f64 v[150:151], v[236:237], v[174:175]
	v_fma_f64 v[148:149], v[236:237], v[230:231], -v[148:149]
	v_fmac_f64_e32 v[150:151], v[238:239], v[230:231]
	ds_read2_b64 v[236:239], v232 offset0:38 offset1:39
	v_add_f64 v[152:153], v[152:153], -v[148:149]
	v_add_f64 v[154:155], v[154:155], -v[150:151]
	s_waitcnt lgkmcnt(1)
	v_mul_f64 v[148:149], v[222:223], v[174:175]
	v_mul_f64 v[150:151], v[220:221], v[174:175]
	v_fma_f64 v[148:149], v[220:221], v[230:231], -v[148:149]
	v_fmac_f64_e32 v[150:151], v[222:223], v[230:231]
	ds_read2_b64 v[220:223], v232 offset0:40 offset1:41
	v_add_f64 v[140:141], v[140:141], -v[148:149]
	v_add_f64 v[142:143], v[142:143], -v[150:151]
	s_waitcnt lgkmcnt(1)
	v_mul_f64 v[148:149], v[238:239], v[174:175]
	v_mul_f64 v[150:151], v[236:237], v[174:175]
	v_fma_f64 v[148:149], v[236:237], v[230:231], -v[148:149]
	v_fmac_f64_e32 v[150:151], v[238:239], v[230:231]
	ds_read2_b64 v[236:239], v232 offset0:42 offset1:43
	v_add_f64 v[136:137], v[136:137], -v[148:149]
	v_add_f64 v[138:139], v[138:139], -v[150:151]
	s_waitcnt lgkmcnt(1)
	v_mul_f64 v[148:149], v[222:223], v[174:175]
	v_mul_f64 v[150:151], v[220:221], v[174:175]
	v_fma_f64 v[148:149], v[220:221], v[230:231], -v[148:149]
	v_fmac_f64_e32 v[150:151], v[222:223], v[230:231]
	ds_read2_b64 v[220:223], v232 offset0:44 offset1:45
	v_add_f64 v[132:133], v[132:133], -v[148:149]
	v_add_f64 v[134:135], v[134:135], -v[150:151]
	s_waitcnt lgkmcnt(1)
	v_mul_f64 v[148:149], v[238:239], v[174:175]
	v_mul_f64 v[150:151], v[236:237], v[174:175]
	v_fma_f64 v[148:149], v[236:237], v[230:231], -v[148:149]
	v_fmac_f64_e32 v[150:151], v[238:239], v[230:231]
	ds_read2_b64 v[236:239], v232 offset0:46 offset1:47
	v_add_f64 v[128:129], v[128:129], -v[148:149]
	v_add_f64 v[130:131], v[130:131], -v[150:151]
	s_waitcnt lgkmcnt(1)
	v_mul_f64 v[148:149], v[222:223], v[174:175]
	v_mul_f64 v[150:151], v[220:221], v[174:175]
	v_fma_f64 v[148:149], v[220:221], v[230:231], -v[148:149]
	v_fmac_f64_e32 v[150:151], v[222:223], v[230:231]
	ds_read2_b64 v[220:223], v232 offset0:48 offset1:49
	v_add_f64 v[124:125], v[124:125], -v[148:149]
	v_add_f64 v[126:127], v[126:127], -v[150:151]
	s_waitcnt lgkmcnt(1)
	v_mul_f64 v[148:149], v[238:239], v[174:175]
	v_mul_f64 v[150:151], v[236:237], v[174:175]
	v_fma_f64 v[148:149], v[236:237], v[230:231], -v[148:149]
	v_fmac_f64_e32 v[150:151], v[238:239], v[230:231]
	ds_read2_b64 v[236:239], v232 offset0:50 offset1:51
	v_add_f64 v[120:121], v[120:121], -v[148:149]
	v_add_f64 v[122:123], v[122:123], -v[150:151]
	s_waitcnt lgkmcnt(1)
	v_mul_f64 v[148:149], v[222:223], v[174:175]
	v_mul_f64 v[150:151], v[220:221], v[174:175]
	v_fma_f64 v[148:149], v[220:221], v[230:231], -v[148:149]
	v_fmac_f64_e32 v[150:151], v[222:223], v[230:231]
	ds_read2_b64 v[220:223], v232 offset0:52 offset1:53
	v_add_f64 v[116:117], v[116:117], -v[148:149]
	v_add_f64 v[118:119], v[118:119], -v[150:151]
	s_waitcnt lgkmcnt(1)
	v_mul_f64 v[148:149], v[238:239], v[174:175]
	v_mul_f64 v[150:151], v[236:237], v[174:175]
	v_fma_f64 v[148:149], v[236:237], v[230:231], -v[148:149]
	v_fmac_f64_e32 v[150:151], v[238:239], v[230:231]
	ds_read2_b64 v[236:239], v232 offset0:54 offset1:55
	v_add_f64 v[112:113], v[112:113], -v[148:149]
	v_add_f64 v[114:115], v[114:115], -v[150:151]
	s_waitcnt lgkmcnt(1)
	v_mul_f64 v[148:149], v[222:223], v[174:175]
	v_mul_f64 v[150:151], v[220:221], v[174:175]
	v_fma_f64 v[148:149], v[220:221], v[230:231], -v[148:149]
	v_fmac_f64_e32 v[150:151], v[222:223], v[230:231]
	ds_read2_b64 v[220:223], v232 offset0:56 offset1:57
	v_add_f64 v[108:109], v[108:109], -v[148:149]
	v_add_f64 v[110:111], v[110:111], -v[150:151]
	s_waitcnt lgkmcnt(1)
	v_mul_f64 v[148:149], v[238:239], v[174:175]
	v_mul_f64 v[150:151], v[236:237], v[174:175]
	v_fma_f64 v[148:149], v[236:237], v[230:231], -v[148:149]
	v_fmac_f64_e32 v[150:151], v[238:239], v[230:231]
	ds_read2_b64 v[236:239], v232 offset0:58 offset1:59
	v_add_f64 v[104:105], v[104:105], -v[148:149]
	v_add_f64 v[106:107], v[106:107], -v[150:151]
	s_waitcnt lgkmcnt(1)
	v_mul_f64 v[148:149], v[222:223], v[174:175]
	v_mul_f64 v[150:151], v[220:221], v[174:175]
	v_fma_f64 v[148:149], v[220:221], v[230:231], -v[148:149]
	v_fmac_f64_e32 v[150:151], v[222:223], v[230:231]
	ds_read2_b64 v[220:223], v232 offset0:60 offset1:61
	v_add_f64 v[100:101], v[100:101], -v[148:149]
	v_add_f64 v[102:103], v[102:103], -v[150:151]
	s_waitcnt lgkmcnt(1)
	v_mul_f64 v[148:149], v[238:239], v[174:175]
	v_mul_f64 v[150:151], v[236:237], v[174:175]
	v_fma_f64 v[148:149], v[236:237], v[230:231], -v[148:149]
	v_fmac_f64_e32 v[150:151], v[238:239], v[230:231]
	ds_read2_b64 v[236:239], v232 offset0:62 offset1:63
	v_add_f64 v[96:97], v[96:97], -v[148:149]
	v_add_f64 v[98:99], v[98:99], -v[150:151]
	s_waitcnt lgkmcnt(1)
	v_mul_f64 v[148:149], v[222:223], v[174:175]
	v_mul_f64 v[150:151], v[220:221], v[174:175]
	v_fma_f64 v[148:149], v[220:221], v[230:231], -v[148:149]
	v_fmac_f64_e32 v[150:151], v[222:223], v[230:231]
	ds_read2_b64 v[220:223], v232 offset0:64 offset1:65
	v_add_f64 v[92:93], v[92:93], -v[148:149]
	v_add_f64 v[94:95], v[94:95], -v[150:151]
	s_waitcnt lgkmcnt(1)
	v_mul_f64 v[148:149], v[238:239], v[174:175]
	v_mul_f64 v[150:151], v[236:237], v[174:175]
	v_fma_f64 v[148:149], v[236:237], v[230:231], -v[148:149]
	v_fmac_f64_e32 v[150:151], v[238:239], v[230:231]
	ds_read2_b64 v[236:239], v232 offset0:66 offset1:67
	v_add_f64 v[88:89], v[88:89], -v[148:149]
	v_add_f64 v[90:91], v[90:91], -v[150:151]
	s_waitcnt lgkmcnt(1)
	v_mul_f64 v[148:149], v[222:223], v[174:175]
	v_mul_f64 v[150:151], v[220:221], v[174:175]
	v_fma_f64 v[148:149], v[220:221], v[230:231], -v[148:149]
	v_fmac_f64_e32 v[150:151], v[222:223], v[230:231]
	ds_read2_b64 v[220:223], v232 offset0:68 offset1:69
	v_add_f64 v[84:85], v[84:85], -v[148:149]
	v_add_f64 v[86:87], v[86:87], -v[150:151]
	s_waitcnt lgkmcnt(1)
	v_mul_f64 v[148:149], v[238:239], v[174:175]
	v_mul_f64 v[150:151], v[236:237], v[174:175]
	v_fma_f64 v[148:149], v[236:237], v[230:231], -v[148:149]
	v_fmac_f64_e32 v[150:151], v[238:239], v[230:231]
	ds_read2_b64 v[236:239], v232 offset0:70 offset1:71
	v_add_f64 v[80:81], v[80:81], -v[148:149]
	v_add_f64 v[82:83], v[82:83], -v[150:151]
	s_waitcnt lgkmcnt(1)
	v_mul_f64 v[148:149], v[222:223], v[174:175]
	v_mul_f64 v[150:151], v[220:221], v[174:175]
	v_fma_f64 v[148:149], v[220:221], v[230:231], -v[148:149]
	v_fmac_f64_e32 v[150:151], v[222:223], v[230:231]
	ds_read2_b64 v[220:223], v232 offset0:72 offset1:73
	v_add_f64 v[76:77], v[76:77], -v[148:149]
	v_add_f64 v[78:79], v[78:79], -v[150:151]
	s_waitcnt lgkmcnt(1)
	v_mul_f64 v[148:149], v[238:239], v[174:175]
	v_mul_f64 v[150:151], v[236:237], v[174:175]
	v_fma_f64 v[148:149], v[236:237], v[230:231], -v[148:149]
	v_fmac_f64_e32 v[150:151], v[238:239], v[230:231]
	ds_read2_b64 v[236:239], v232 offset0:74 offset1:75
	v_add_f64 v[72:73], v[72:73], -v[148:149]
	v_add_f64 v[74:75], v[74:75], -v[150:151]
	s_waitcnt lgkmcnt(1)
	v_mul_f64 v[148:149], v[222:223], v[174:175]
	v_mul_f64 v[150:151], v[220:221], v[174:175]
	v_fma_f64 v[148:149], v[220:221], v[230:231], -v[148:149]
	v_fmac_f64_e32 v[150:151], v[222:223], v[230:231]
	ds_read2_b64 v[220:223], v232 offset0:76 offset1:77
	v_add_f64 v[68:69], v[68:69], -v[148:149]
	v_add_f64 v[70:71], v[70:71], -v[150:151]
	s_waitcnt lgkmcnt(1)
	v_mul_f64 v[148:149], v[238:239], v[174:175]
	v_mul_f64 v[150:151], v[236:237], v[174:175]
	v_fma_f64 v[148:149], v[236:237], v[230:231], -v[148:149]
	v_fmac_f64_e32 v[150:151], v[238:239], v[230:231]
	ds_read2_b64 v[236:239], v232 offset0:78 offset1:79
	v_add_f64 v[64:65], v[64:65], -v[148:149]
	v_add_f64 v[66:67], v[66:67], -v[150:151]
	s_waitcnt lgkmcnt(1)
	v_mul_f64 v[148:149], v[222:223], v[174:175]
	v_mul_f64 v[150:151], v[220:221], v[174:175]
	v_fma_f64 v[148:149], v[220:221], v[230:231], -v[148:149]
	v_fmac_f64_e32 v[150:151], v[222:223], v[230:231]
	ds_read2_b64 v[220:223], v232 offset0:80 offset1:81
	v_add_f64 v[60:61], v[60:61], -v[148:149]
	v_add_f64 v[62:63], v[62:63], -v[150:151]
	s_waitcnt lgkmcnt(1)
	v_mul_f64 v[148:149], v[238:239], v[174:175]
	v_mul_f64 v[150:151], v[236:237], v[174:175]
	v_fma_f64 v[148:149], v[236:237], v[230:231], -v[148:149]
	v_fmac_f64_e32 v[150:151], v[238:239], v[230:231]
	ds_read2_b64 v[236:239], v232 offset0:82 offset1:83
	v_add_f64 v[56:57], v[56:57], -v[148:149]
	v_add_f64 v[58:59], v[58:59], -v[150:151]
	s_waitcnt lgkmcnt(1)
	v_mul_f64 v[148:149], v[222:223], v[174:175]
	v_mul_f64 v[150:151], v[220:221], v[174:175]
	v_fma_f64 v[148:149], v[220:221], v[230:231], -v[148:149]
	v_fmac_f64_e32 v[150:151], v[222:223], v[230:231]
	ds_read2_b64 v[220:223], v232 offset0:84 offset1:85
	v_add_f64 v[52:53], v[52:53], -v[148:149]
	v_add_f64 v[54:55], v[54:55], -v[150:151]
	s_waitcnt lgkmcnt(1)
	v_mul_f64 v[148:149], v[238:239], v[174:175]
	v_mul_f64 v[150:151], v[236:237], v[174:175]
	v_fma_f64 v[148:149], v[236:237], v[230:231], -v[148:149]
	v_fmac_f64_e32 v[150:151], v[238:239], v[230:231]
	ds_read2_b64 v[236:239], v232 offset0:86 offset1:87
	v_add_f64 v[48:49], v[48:49], -v[148:149]
	v_add_f64 v[50:51], v[50:51], -v[150:151]
	s_waitcnt lgkmcnt(1)
	v_mul_f64 v[148:149], v[222:223], v[174:175]
	v_mul_f64 v[150:151], v[220:221], v[174:175]
	v_fma_f64 v[148:149], v[220:221], v[230:231], -v[148:149]
	v_fmac_f64_e32 v[150:151], v[222:223], v[230:231]
	ds_read2_b64 v[220:223], v232 offset0:88 offset1:89
	v_add_f64 v[44:45], v[44:45], -v[148:149]
	v_add_f64 v[46:47], v[46:47], -v[150:151]
	s_waitcnt lgkmcnt(1)
	v_mul_f64 v[148:149], v[238:239], v[174:175]
	v_mul_f64 v[150:151], v[236:237], v[174:175]
	v_fma_f64 v[148:149], v[236:237], v[230:231], -v[148:149]
	v_fmac_f64_e32 v[150:151], v[238:239], v[230:231]
	ds_read2_b64 v[236:239], v232 offset0:90 offset1:91
	v_add_f64 v[40:41], v[40:41], -v[148:149]
	v_add_f64 v[42:43], v[42:43], -v[150:151]
	s_waitcnt lgkmcnt(1)
	v_mul_f64 v[148:149], v[222:223], v[174:175]
	v_mul_f64 v[150:151], v[220:221], v[174:175]
	v_fma_f64 v[148:149], v[220:221], v[230:231], -v[148:149]
	v_fmac_f64_e32 v[150:151], v[222:223], v[230:231]
	ds_read2_b64 v[220:223], v232 offset0:92 offset1:93
	v_add_f64 v[36:37], v[36:37], -v[148:149]
	v_add_f64 v[38:39], v[38:39], -v[150:151]
	s_waitcnt lgkmcnt(1)
	v_mul_f64 v[148:149], v[238:239], v[174:175]
	v_mul_f64 v[150:151], v[236:237], v[174:175]
	v_fma_f64 v[148:149], v[236:237], v[230:231], -v[148:149]
	v_fmac_f64_e32 v[150:151], v[238:239], v[230:231]
	ds_read2_b64 v[236:239], v232 offset0:94 offset1:95
	v_add_f64 v[32:33], v[32:33], -v[148:149]
	v_add_f64 v[34:35], v[34:35], -v[150:151]
	s_waitcnt lgkmcnt(1)
	v_mul_f64 v[148:149], v[222:223], v[174:175]
	v_mul_f64 v[150:151], v[220:221], v[174:175]
	v_fma_f64 v[148:149], v[220:221], v[230:231], -v[148:149]
	v_fmac_f64_e32 v[150:151], v[222:223], v[230:231]
	ds_read2_b64 v[220:223], v232 offset0:96 offset1:97
	v_add_f64 v[28:29], v[28:29], -v[148:149]
	v_add_f64 v[30:31], v[30:31], -v[150:151]
	s_waitcnt lgkmcnt(1)
	v_mul_f64 v[148:149], v[238:239], v[174:175]
	v_mul_f64 v[150:151], v[236:237], v[174:175]
	v_fma_f64 v[148:149], v[236:237], v[230:231], -v[148:149]
	v_fmac_f64_e32 v[150:151], v[238:239], v[230:231]
	ds_read2_b64 v[236:239], v232 offset0:98 offset1:99
	v_add_f64 v[24:25], v[24:25], -v[148:149]
	v_add_f64 v[26:27], v[26:27], -v[150:151]
	s_waitcnt lgkmcnt(1)
	v_mul_f64 v[148:149], v[222:223], v[174:175]
	v_mul_f64 v[150:151], v[220:221], v[174:175]
	v_fma_f64 v[148:149], v[220:221], v[230:231], -v[148:149]
	v_fmac_f64_e32 v[150:151], v[222:223], v[230:231]
	ds_read2_b64 v[220:223], v232 offset0:100 offset1:101
	v_add_f64 v[20:21], v[20:21], -v[148:149]
	v_add_f64 v[22:23], v[22:23], -v[150:151]
	s_waitcnt lgkmcnt(1)
	v_mul_f64 v[148:149], v[238:239], v[174:175]
	v_mul_f64 v[150:151], v[236:237], v[174:175]
	v_fma_f64 v[148:149], v[236:237], v[230:231], -v[148:149]
	v_fmac_f64_e32 v[150:151], v[238:239], v[230:231]
	ds_read2_b64 v[236:239], v232 offset0:102 offset1:103
	v_add_f64 v[16:17], v[16:17], -v[148:149]
	v_add_f64 v[18:19], v[18:19], -v[150:151]
	s_waitcnt lgkmcnt(1)
	v_mul_f64 v[148:149], v[222:223], v[174:175]
	v_mul_f64 v[150:151], v[220:221], v[174:175]
	v_fma_f64 v[148:149], v[220:221], v[230:231], -v[148:149]
	v_fmac_f64_e32 v[150:151], v[222:223], v[230:231]
	ds_read2_b64 v[220:223], v232 offset0:104 offset1:105
	v_add_f64 v[12:13], v[12:13], -v[148:149]
	v_add_f64 v[14:15], v[14:15], -v[150:151]
	s_waitcnt lgkmcnt(1)
	v_mul_f64 v[148:149], v[238:239], v[174:175]
	v_mul_f64 v[150:151], v[236:237], v[174:175]
	v_fma_f64 v[148:149], v[236:237], v[230:231], -v[148:149]
	v_fmac_f64_e32 v[150:151], v[238:239], v[230:231]
	ds_read2_b64 v[236:239], v232 offset0:106 offset1:107
	v_add_f64 v[8:9], v[8:9], -v[148:149]
	v_add_f64 v[10:11], v[10:11], -v[150:151]
	s_waitcnt lgkmcnt(1)
	v_mul_f64 v[148:149], v[222:223], v[174:175]
	v_mul_f64 v[150:151], v[220:221], v[174:175]
	v_fma_f64 v[148:149], v[220:221], v[230:231], -v[148:149]
	v_fmac_f64_e32 v[150:151], v[222:223], v[230:231]
	ds_read2_b64 v[220:223], v232 offset0:108 offset1:109
	v_add_f64 v[4:5], v[4:5], -v[148:149]
	v_add_f64 v[6:7], v[6:7], -v[150:151]
	s_waitcnt lgkmcnt(1)
	v_mul_f64 v[148:149], v[238:239], v[174:175]
	v_mul_f64 v[150:151], v[236:237], v[174:175]
	v_fma_f64 v[148:149], v[236:237], v[230:231], -v[148:149]
	v_fmac_f64_e32 v[150:151], v[238:239], v[230:231]
	v_add_f64 v[0:1], v[0:1], -v[148:149]
	v_add_f64 v[2:3], v[2:3], -v[150:151]
	s_waitcnt lgkmcnt(0)
	v_mul_f64 v[148:149], v[222:223], v[174:175]
	v_mul_f64 v[150:151], v[220:221], v[174:175]
	v_fma_f64 v[148:149], v[220:221], v[230:231], -v[148:149]
	v_fmac_f64_e32 v[150:151], v[222:223], v[230:231]
	v_add_f64 v[216:217], v[216:217], -v[148:149]
	v_add_f64 v[218:219], v[218:219], -v[150:151]
	v_mov_b64_e32 v[172:173], v[230:231]
.LBB108_272:
	s_or_b64 exec, exec, s[0:1]
	v_lshl_add_u32 v148, v233, 4, v232
	s_barrier
	ds_write2_b64 v148, v[168:169], v[170:171] offset1:1
	s_waitcnt lgkmcnt(0)
	s_barrier
	ds_read2_b64 v[220:223], v232 offset0:26 offset1:27
	s_cmp_lt_i32 s20, 15
	v_mov_b32_e32 v230, 13
	s_cbranch_scc1 .LBB108_275
; %bb.273:
	v_add_u32_e32 v231, 0xe0, v232
	s_mov_b32 s16, 14
	v_mov_b32_e32 v230, 13
.LBB108_274:                            ; =>This Inner Loop Header: Depth=1
	ds_read2_b64 v[236:239], v231 offset1:1
	s_waitcnt lgkmcnt(1)
	v_xor_b32_e32 v149, 0x80000000, v221
	v_xor_b32_e32 v151, 0x80000000, v223
	v_cmp_gt_f64_e32 vcc, 0, v[222:223]
	v_cmp_gt_f64_e64 s[0:1], 0, v[220:221]
	v_mov_b32_e32 v148, v220
	v_mov_b32_e32 v150, v222
	v_cndmask_b32_e64 v149, v221, v149, s[0:1]
	v_cndmask_b32_e32 v151, v223, v151, vcc
	v_add_f64 v[148:149], v[148:149], v[150:151]
	s_waitcnt lgkmcnt(0)
	v_xor_b32_e32 v151, 0x80000000, v237
	v_xor_b32_e32 v227, 0x80000000, v239
	v_cmp_gt_f64_e32 vcc, 0, v[238:239]
	v_cmp_gt_f64_e64 s[0:1], 0, v[236:237]
	v_mov_b32_e32 v150, v236
	v_mov_b32_e32 v226, v238
	v_cndmask_b32_e64 v151, v237, v151, s[0:1]
	v_cndmask_b32_e32 v227, v239, v227, vcc
	v_add_f64 v[150:151], v[150:151], v[226:227]
	v_mov_b32_e32 v228, s16
	s_add_i32 s16, s16, 1
	v_cmp_lt_f64_e32 vcc, v[148:149], v[150:151]
	v_add_u32_e32 v231, 16, v231
	s_cmp_lg_u32 s20, s16
	v_cndmask_b32_e32 v221, v221, v237, vcc
	v_cndmask_b32_e32 v220, v220, v236, vcc
	v_cndmask_b32_e32 v223, v223, v239, vcc
	v_cndmask_b32_e32 v222, v222, v238, vcc
	v_cndmask_b32_e32 v230, v230, v228, vcc
	s_cbranch_scc1 .LBB108_274
.LBB108_275:
	s_waitcnt lgkmcnt(0)
	v_cmp_eq_f64_e32 vcc, 0, v[220:221]
	v_cmp_eq_f64_e64 s[0:1], 0, v[222:223]
	s_and_b64 s[0:1], vcc, s[0:1]
	s_and_saveexec_b64 s[16:17], s[0:1]
	s_xor_b64 s[0:1], exec, s[16:17]
; %bb.276:
	v_cmp_ne_u32_e32 vcc, 0, v234
	s_nop 1
	v_cndmask_b32_e32 v234, 14, v234, vcc
; %bb.277:
	s_andn2_saveexec_b64 s[0:1], s[0:1]
	s_cbranch_execz .LBB108_283
; %bb.278:
	v_cmp_ngt_f64_e64 s[16:17], |v[220:221]|, |v[222:223]|
	s_and_saveexec_b64 s[18:19], s[16:17]
	s_xor_b64 s[16:17], exec, s[18:19]
	s_cbranch_execz .LBB108_280
; %bb.279:
	v_div_scale_f64 v[148:149], s[18:19], v[222:223], v[222:223], v[220:221]
	v_rcp_f64_e32 v[150:151], v[148:149]
	v_div_scale_f64 v[226:227], vcc, v[220:221], v[222:223], v[220:221]
	v_fma_f64 v[228:229], -v[148:149], v[150:151], 1.0
	v_fmac_f64_e32 v[150:151], v[150:151], v[228:229]
	v_fma_f64 v[228:229], -v[148:149], v[150:151], 1.0
	v_fmac_f64_e32 v[150:151], v[150:151], v[228:229]
	v_mul_f64 v[228:229], v[226:227], v[150:151]
	v_fma_f64 v[148:149], -v[148:149], v[228:229], v[226:227]
	v_div_fmas_f64 v[148:149], v[148:149], v[150:151], v[228:229]
	v_div_fixup_f64 v[148:149], v[148:149], v[222:223], v[220:221]
	v_fmac_f64_e32 v[222:223], v[220:221], v[148:149]
	v_div_scale_f64 v[150:151], s[18:19], v[222:223], v[222:223], 1.0
	v_rcp_f64_e32 v[220:221], v[150:151]
	s_nop 0
	v_fma_f64 v[226:227], -v[150:151], v[220:221], 1.0
	v_fmac_f64_e32 v[220:221], v[220:221], v[226:227]
	v_fma_f64 v[226:227], -v[150:151], v[220:221], 1.0
	v_fmac_f64_e32 v[220:221], v[220:221], v[226:227]
	v_div_scale_f64 v[226:227], vcc, 1.0, v[222:223], 1.0
	v_mul_f64 v[228:229], v[226:227], v[220:221]
	v_fma_f64 v[150:151], -v[150:151], v[228:229], v[226:227]
	s_nop 1
	v_div_fmas_f64 v[150:151], v[150:151], v[220:221], v[228:229]
	v_div_fixup_f64 v[222:223], v[150:151], v[222:223], 1.0
	v_mul_f64 v[220:221], v[148:149], v[222:223]
	v_xor_b32_e32 v223, 0x80000000, v223
.LBB108_280:
	s_andn2_saveexec_b64 s[16:17], s[16:17]
	s_cbranch_execz .LBB108_282
; %bb.281:
	v_div_scale_f64 v[148:149], s[18:19], v[220:221], v[220:221], v[222:223]
	v_rcp_f64_e32 v[150:151], v[148:149]
	v_div_scale_f64 v[226:227], vcc, v[222:223], v[220:221], v[222:223]
	v_fma_f64 v[228:229], -v[148:149], v[150:151], 1.0
	v_fmac_f64_e32 v[150:151], v[150:151], v[228:229]
	v_fma_f64 v[228:229], -v[148:149], v[150:151], 1.0
	v_fmac_f64_e32 v[150:151], v[150:151], v[228:229]
	v_mul_f64 v[228:229], v[226:227], v[150:151]
	v_fma_f64 v[148:149], -v[148:149], v[228:229], v[226:227]
	v_div_fmas_f64 v[148:149], v[148:149], v[150:151], v[228:229]
	v_div_fixup_f64 v[148:149], v[148:149], v[220:221], v[222:223]
	v_fmac_f64_e32 v[220:221], v[222:223], v[148:149]
	v_div_scale_f64 v[150:151], s[18:19], v[220:221], v[220:221], 1.0
	v_rcp_f64_e32 v[222:223], v[150:151]
	s_nop 0
	v_fma_f64 v[226:227], -v[150:151], v[222:223], 1.0
	v_fmac_f64_e32 v[222:223], v[222:223], v[226:227]
	v_fma_f64 v[226:227], -v[150:151], v[222:223], 1.0
	v_fmac_f64_e32 v[222:223], v[222:223], v[226:227]
	v_div_scale_f64 v[226:227], vcc, 1.0, v[220:221], 1.0
	v_mul_f64 v[228:229], v[226:227], v[222:223]
	v_fma_f64 v[150:151], -v[150:151], v[228:229], v[226:227]
	s_nop 1
	v_div_fmas_f64 v[150:151], v[150:151], v[222:223], v[228:229]
	v_div_fixup_f64 v[220:221], v[150:151], v[220:221], 1.0
	v_mul_f64 v[222:223], v[148:149], -v[220:221]
.LBB108_282:
	s_or_b64 exec, exec, s[16:17]
.LBB108_283:
	s_or_b64 exec, exec, s[0:1]
	v_cmp_ne_u32_e32 vcc, v233, v230
	s_and_saveexec_b64 s[0:1], vcc
	s_xor_b64 s[0:1], exec, s[0:1]
	s_cbranch_execz .LBB108_289
; %bb.284:
	v_cmp_eq_u32_e32 vcc, 13, v233
	s_and_saveexec_b64 s[16:17], vcc
	s_cbranch_execz .LBB108_288
; %bb.285:
	v_cmp_ne_u32_e32 vcc, 13, v230
	s_xor_b64 s[18:19], s[14:15], -1
	s_and_b64 s[22:23], s[18:19], vcc
	s_and_saveexec_b64 s[18:19], s[22:23]
	s_cbranch_execz .LBB108_287
; %bb.286:
	v_ashrrev_i32_e32 v231, 31, v230
	s_waitcnt vmcnt(0)
	v_lshl_add_u64 v[148:149], v[230:231], 2, v[146:147]
	global_load_dword v150, v[148:149], off
	global_load_dword v151, v[146:147], off offset:52
	s_waitcnt vmcnt(1)
	global_store_dword v[146:147], v150, off offset:52
	s_waitcnt vmcnt(1)
	global_store_dword v[148:149], v151, off
.LBB108_287:
	s_or_b64 exec, exec, s[18:19]
	v_mov_b32_e32 v233, v230
	v_mov_b32_e32 v224, v230
.LBB108_288:
	s_or_b64 exec, exec, s[16:17]
.LBB108_289:
	s_andn2_saveexec_b64 s[0:1], s[0:1]
	s_cbranch_execz .LBB108_291
; %bb.290:
	v_mov_b32_e32 v233, 13
	ds_write2_b64 v232, v[164:165], v[166:167] offset0:28 offset1:29
	ds_write2_b64 v232, v[160:161], v[162:163] offset0:30 offset1:31
	ds_write2_b64 v232, v[156:157], v[158:159] offset0:32 offset1:33
	ds_write2_b64 v232, v[152:153], v[154:155] offset0:34 offset1:35
	ds_write2_b64 v232, v[140:141], v[142:143] offset0:36 offset1:37
	ds_write2_b64 v232, v[136:137], v[138:139] offset0:38 offset1:39
	ds_write2_b64 v232, v[132:133], v[134:135] offset0:40 offset1:41
	ds_write2_b64 v232, v[128:129], v[130:131] offset0:42 offset1:43
	ds_write2_b64 v232, v[124:125], v[126:127] offset0:44 offset1:45
	ds_write2_b64 v232, v[120:121], v[122:123] offset0:46 offset1:47
	ds_write2_b64 v232, v[116:117], v[118:119] offset0:48 offset1:49
	ds_write2_b64 v232, v[112:113], v[114:115] offset0:50 offset1:51
	ds_write2_b64 v232, v[108:109], v[110:111] offset0:52 offset1:53
	ds_write2_b64 v232, v[104:105], v[106:107] offset0:54 offset1:55
	ds_write2_b64 v232, v[100:101], v[102:103] offset0:56 offset1:57
	ds_write2_b64 v232, v[96:97], v[98:99] offset0:58 offset1:59
	ds_write2_b64 v232, v[92:93], v[94:95] offset0:60 offset1:61
	ds_write2_b64 v232, v[88:89], v[90:91] offset0:62 offset1:63
	ds_write2_b64 v232, v[84:85], v[86:87] offset0:64 offset1:65
	ds_write2_b64 v232, v[80:81], v[82:83] offset0:66 offset1:67
	ds_write2_b64 v232, v[76:77], v[78:79] offset0:68 offset1:69
	ds_write2_b64 v232, v[72:73], v[74:75] offset0:70 offset1:71
	ds_write2_b64 v232, v[68:69], v[70:71] offset0:72 offset1:73
	ds_write2_b64 v232, v[64:65], v[66:67] offset0:74 offset1:75
	ds_write2_b64 v232, v[60:61], v[62:63] offset0:76 offset1:77
	ds_write2_b64 v232, v[56:57], v[58:59] offset0:78 offset1:79
	ds_write2_b64 v232, v[52:53], v[54:55] offset0:80 offset1:81
	ds_write2_b64 v232, v[48:49], v[50:51] offset0:82 offset1:83
	ds_write2_b64 v232, v[44:45], v[46:47] offset0:84 offset1:85
	ds_write2_b64 v232, v[40:41], v[42:43] offset0:86 offset1:87
	ds_write2_b64 v232, v[36:37], v[38:39] offset0:88 offset1:89
	ds_write2_b64 v232, v[32:33], v[34:35] offset0:90 offset1:91
	ds_write2_b64 v232, v[28:29], v[30:31] offset0:92 offset1:93
	ds_write2_b64 v232, v[24:25], v[26:27] offset0:94 offset1:95
	ds_write2_b64 v232, v[20:21], v[22:23] offset0:96 offset1:97
	ds_write2_b64 v232, v[16:17], v[18:19] offset0:98 offset1:99
	ds_write2_b64 v232, v[12:13], v[14:15] offset0:100 offset1:101
	ds_write2_b64 v232, v[8:9], v[10:11] offset0:102 offset1:103
	ds_write2_b64 v232, v[4:5], v[6:7] offset0:104 offset1:105
	ds_write2_b64 v232, v[0:1], v[2:3] offset0:106 offset1:107
	ds_write2_b64 v232, v[216:217], v[218:219] offset0:108 offset1:109
.LBB108_291:
	s_or_b64 exec, exec, s[0:1]
	v_cmp_lt_i32_e32 vcc, 13, v233
	s_waitcnt lgkmcnt(0)
	s_barrier
	s_and_saveexec_b64 s[0:1], vcc
	s_cbranch_execz .LBB108_293
; %bb.292:
	ds_read2_b64 v[236:239], v232 offset0:28 offset1:29
	v_mul_f64 v[148:149], v[222:223], v[170:171]
	v_mul_f64 v[170:171], v[220:221], v[170:171]
	v_fma_f64 v[230:231], v[220:221], v[168:169], -v[148:149]
	v_fmac_f64_e32 v[170:171], v[222:223], v[168:169]
	ds_read2_b64 v[220:223], v232 offset0:30 offset1:31
	s_waitcnt lgkmcnt(1)
	v_mul_f64 v[148:149], v[238:239], v[170:171]
	v_mul_f64 v[150:151], v[236:237], v[170:171]
	v_fma_f64 v[148:149], v[236:237], v[230:231], -v[148:149]
	v_fmac_f64_e32 v[150:151], v[238:239], v[230:231]
	ds_read2_b64 v[236:239], v232 offset0:32 offset1:33
	v_add_f64 v[164:165], v[164:165], -v[148:149]
	v_add_f64 v[166:167], v[166:167], -v[150:151]
	s_waitcnt lgkmcnt(1)
	v_mul_f64 v[148:149], v[222:223], v[170:171]
	v_mul_f64 v[150:151], v[220:221], v[170:171]
	v_fma_f64 v[148:149], v[220:221], v[230:231], -v[148:149]
	v_fmac_f64_e32 v[150:151], v[222:223], v[230:231]
	ds_read2_b64 v[220:223], v232 offset0:34 offset1:35
	v_add_f64 v[160:161], v[160:161], -v[148:149]
	v_add_f64 v[162:163], v[162:163], -v[150:151]
	;; [unrolled: 8-line block ×39, first 2 shown]
	s_waitcnt lgkmcnt(1)
	v_mul_f64 v[148:149], v[222:223], v[170:171]
	v_mul_f64 v[150:151], v[220:221], v[170:171]
	v_fma_f64 v[148:149], v[220:221], v[230:231], -v[148:149]
	v_fmac_f64_e32 v[150:151], v[222:223], v[230:231]
	v_add_f64 v[0:1], v[0:1], -v[148:149]
	v_add_f64 v[2:3], v[2:3], -v[150:151]
	s_waitcnt lgkmcnt(0)
	v_mul_f64 v[148:149], v[238:239], v[170:171]
	v_mul_f64 v[150:151], v[236:237], v[170:171]
	v_fma_f64 v[148:149], v[236:237], v[230:231], -v[148:149]
	v_fmac_f64_e32 v[150:151], v[238:239], v[230:231]
	v_add_f64 v[216:217], v[216:217], -v[148:149]
	v_add_f64 v[218:219], v[218:219], -v[150:151]
	v_mov_b64_e32 v[168:169], v[230:231]
.LBB108_293:
	s_or_b64 exec, exec, s[0:1]
	v_lshl_add_u32 v148, v233, 4, v232
	s_barrier
	ds_write2_b64 v148, v[164:165], v[166:167] offset1:1
	s_waitcnt lgkmcnt(0)
	s_barrier
	ds_read2_b64 v[220:223], v232 offset0:28 offset1:29
	s_cmp_lt_i32 s20, 16
	v_mov_b32_e32 v230, 14
	s_cbranch_scc1 .LBB108_296
; %bb.294:
	v_add_u32_e32 v231, 0xf0, v232
	s_mov_b32 s16, 15
	v_mov_b32_e32 v230, 14
.LBB108_295:                            ; =>This Inner Loop Header: Depth=1
	ds_read2_b64 v[236:239], v231 offset1:1
	s_waitcnt lgkmcnt(1)
	v_xor_b32_e32 v149, 0x80000000, v221
	v_xor_b32_e32 v151, 0x80000000, v223
	v_cmp_gt_f64_e32 vcc, 0, v[222:223]
	v_cmp_gt_f64_e64 s[0:1], 0, v[220:221]
	v_mov_b32_e32 v148, v220
	v_mov_b32_e32 v150, v222
	v_cndmask_b32_e64 v149, v221, v149, s[0:1]
	v_cndmask_b32_e32 v151, v223, v151, vcc
	v_add_f64 v[148:149], v[148:149], v[150:151]
	s_waitcnt lgkmcnt(0)
	v_xor_b32_e32 v151, 0x80000000, v237
	v_xor_b32_e32 v227, 0x80000000, v239
	v_cmp_gt_f64_e32 vcc, 0, v[238:239]
	v_cmp_gt_f64_e64 s[0:1], 0, v[236:237]
	v_mov_b32_e32 v150, v236
	v_mov_b32_e32 v226, v238
	v_cndmask_b32_e64 v151, v237, v151, s[0:1]
	v_cndmask_b32_e32 v227, v239, v227, vcc
	v_add_f64 v[150:151], v[150:151], v[226:227]
	v_mov_b32_e32 v228, s16
	s_add_i32 s16, s16, 1
	v_cmp_lt_f64_e32 vcc, v[148:149], v[150:151]
	v_add_u32_e32 v231, 16, v231
	s_cmp_lg_u32 s20, s16
	v_cndmask_b32_e32 v221, v221, v237, vcc
	v_cndmask_b32_e32 v220, v220, v236, vcc
	;; [unrolled: 1-line block ×5, first 2 shown]
	s_cbranch_scc1 .LBB108_295
.LBB108_296:
	s_waitcnt lgkmcnt(0)
	v_cmp_eq_f64_e32 vcc, 0, v[220:221]
	v_cmp_eq_f64_e64 s[0:1], 0, v[222:223]
	s_and_b64 s[0:1], vcc, s[0:1]
	s_and_saveexec_b64 s[16:17], s[0:1]
	s_xor_b64 s[0:1], exec, s[16:17]
; %bb.297:
	v_cmp_ne_u32_e32 vcc, 0, v234
	s_nop 1
	v_cndmask_b32_e32 v234, 15, v234, vcc
; %bb.298:
	s_andn2_saveexec_b64 s[0:1], s[0:1]
	s_cbranch_execz .LBB108_304
; %bb.299:
	v_cmp_ngt_f64_e64 s[16:17], |v[220:221]|, |v[222:223]|
	s_and_saveexec_b64 s[18:19], s[16:17]
	s_xor_b64 s[16:17], exec, s[18:19]
	s_cbranch_execz .LBB108_301
; %bb.300:
	v_div_scale_f64 v[148:149], s[18:19], v[222:223], v[222:223], v[220:221]
	v_rcp_f64_e32 v[150:151], v[148:149]
	v_div_scale_f64 v[226:227], vcc, v[220:221], v[222:223], v[220:221]
	v_fma_f64 v[228:229], -v[148:149], v[150:151], 1.0
	v_fmac_f64_e32 v[150:151], v[150:151], v[228:229]
	v_fma_f64 v[228:229], -v[148:149], v[150:151], 1.0
	v_fmac_f64_e32 v[150:151], v[150:151], v[228:229]
	v_mul_f64 v[228:229], v[226:227], v[150:151]
	v_fma_f64 v[148:149], -v[148:149], v[228:229], v[226:227]
	v_div_fmas_f64 v[148:149], v[148:149], v[150:151], v[228:229]
	v_div_fixup_f64 v[148:149], v[148:149], v[222:223], v[220:221]
	v_fmac_f64_e32 v[222:223], v[220:221], v[148:149]
	v_div_scale_f64 v[150:151], s[18:19], v[222:223], v[222:223], 1.0
	v_rcp_f64_e32 v[220:221], v[150:151]
	s_nop 0
	v_fma_f64 v[226:227], -v[150:151], v[220:221], 1.0
	v_fmac_f64_e32 v[220:221], v[220:221], v[226:227]
	v_fma_f64 v[226:227], -v[150:151], v[220:221], 1.0
	v_fmac_f64_e32 v[220:221], v[220:221], v[226:227]
	v_div_scale_f64 v[226:227], vcc, 1.0, v[222:223], 1.0
	v_mul_f64 v[228:229], v[226:227], v[220:221]
	v_fma_f64 v[150:151], -v[150:151], v[228:229], v[226:227]
	s_nop 1
	v_div_fmas_f64 v[150:151], v[150:151], v[220:221], v[228:229]
	v_div_fixup_f64 v[222:223], v[150:151], v[222:223], 1.0
	v_mul_f64 v[220:221], v[148:149], v[222:223]
	v_xor_b32_e32 v223, 0x80000000, v223
.LBB108_301:
	s_andn2_saveexec_b64 s[16:17], s[16:17]
	s_cbranch_execz .LBB108_303
; %bb.302:
	v_div_scale_f64 v[148:149], s[18:19], v[220:221], v[220:221], v[222:223]
	v_rcp_f64_e32 v[150:151], v[148:149]
	v_div_scale_f64 v[226:227], vcc, v[222:223], v[220:221], v[222:223]
	v_fma_f64 v[228:229], -v[148:149], v[150:151], 1.0
	v_fmac_f64_e32 v[150:151], v[150:151], v[228:229]
	v_fma_f64 v[228:229], -v[148:149], v[150:151], 1.0
	v_fmac_f64_e32 v[150:151], v[150:151], v[228:229]
	v_mul_f64 v[228:229], v[226:227], v[150:151]
	v_fma_f64 v[148:149], -v[148:149], v[228:229], v[226:227]
	v_div_fmas_f64 v[148:149], v[148:149], v[150:151], v[228:229]
	v_div_fixup_f64 v[148:149], v[148:149], v[220:221], v[222:223]
	v_fmac_f64_e32 v[220:221], v[222:223], v[148:149]
	v_div_scale_f64 v[150:151], s[18:19], v[220:221], v[220:221], 1.0
	v_rcp_f64_e32 v[222:223], v[150:151]
	s_nop 0
	v_fma_f64 v[226:227], -v[150:151], v[222:223], 1.0
	v_fmac_f64_e32 v[222:223], v[222:223], v[226:227]
	v_fma_f64 v[226:227], -v[150:151], v[222:223], 1.0
	v_fmac_f64_e32 v[222:223], v[222:223], v[226:227]
	v_div_scale_f64 v[226:227], vcc, 1.0, v[220:221], 1.0
	v_mul_f64 v[228:229], v[226:227], v[222:223]
	v_fma_f64 v[150:151], -v[150:151], v[228:229], v[226:227]
	s_nop 1
	v_div_fmas_f64 v[150:151], v[150:151], v[222:223], v[228:229]
	v_div_fixup_f64 v[220:221], v[150:151], v[220:221], 1.0
	v_mul_f64 v[222:223], v[148:149], -v[220:221]
.LBB108_303:
	s_or_b64 exec, exec, s[16:17]
.LBB108_304:
	s_or_b64 exec, exec, s[0:1]
	v_cmp_ne_u32_e32 vcc, v233, v230
	s_and_saveexec_b64 s[0:1], vcc
	s_xor_b64 s[0:1], exec, s[0:1]
	s_cbranch_execz .LBB108_310
; %bb.305:
	v_cmp_eq_u32_e32 vcc, 14, v233
	s_and_saveexec_b64 s[16:17], vcc
	s_cbranch_execz .LBB108_309
; %bb.306:
	v_cmp_ne_u32_e32 vcc, 14, v230
	s_xor_b64 s[18:19], s[14:15], -1
	s_and_b64 s[22:23], s[18:19], vcc
	s_and_saveexec_b64 s[18:19], s[22:23]
	s_cbranch_execz .LBB108_308
; %bb.307:
	v_ashrrev_i32_e32 v231, 31, v230
	s_waitcnt vmcnt(0)
	v_lshl_add_u64 v[148:149], v[230:231], 2, v[146:147]
	global_load_dword v150, v[148:149], off
	global_load_dword v151, v[146:147], off offset:56
	s_waitcnt vmcnt(1)
	global_store_dword v[146:147], v150, off offset:56
	s_waitcnt vmcnt(1)
	global_store_dword v[148:149], v151, off
.LBB108_308:
	s_or_b64 exec, exec, s[18:19]
	v_mov_b32_e32 v233, v230
	v_mov_b32_e32 v224, v230
.LBB108_309:
	s_or_b64 exec, exec, s[16:17]
.LBB108_310:
	s_andn2_saveexec_b64 s[0:1], s[0:1]
	s_cbranch_execz .LBB108_312
; %bb.311:
	v_mov_b32_e32 v233, 14
	ds_write2_b64 v232, v[160:161], v[162:163] offset0:30 offset1:31
	ds_write2_b64 v232, v[156:157], v[158:159] offset0:32 offset1:33
	;; [unrolled: 1-line block ×40, first 2 shown]
.LBB108_312:
	s_or_b64 exec, exec, s[0:1]
	v_cmp_lt_i32_e32 vcc, 14, v233
	s_waitcnt lgkmcnt(0)
	s_barrier
	s_and_saveexec_b64 s[0:1], vcc
	s_cbranch_execz .LBB108_314
; %bb.313:
	ds_read2_b64 v[236:239], v232 offset0:30 offset1:31
	v_mul_f64 v[148:149], v[222:223], v[166:167]
	v_mul_f64 v[166:167], v[220:221], v[166:167]
	v_fma_f64 v[230:231], v[220:221], v[164:165], -v[148:149]
	v_fmac_f64_e32 v[166:167], v[222:223], v[164:165]
	ds_read2_b64 v[220:223], v232 offset0:32 offset1:33
	s_waitcnt lgkmcnt(1)
	v_mul_f64 v[148:149], v[238:239], v[166:167]
	v_mul_f64 v[150:151], v[236:237], v[166:167]
	v_fma_f64 v[148:149], v[236:237], v[230:231], -v[148:149]
	v_fmac_f64_e32 v[150:151], v[238:239], v[230:231]
	ds_read2_b64 v[236:239], v232 offset0:34 offset1:35
	v_add_f64 v[160:161], v[160:161], -v[148:149]
	v_add_f64 v[162:163], v[162:163], -v[150:151]
	s_waitcnt lgkmcnt(1)
	v_mul_f64 v[148:149], v[222:223], v[166:167]
	v_mul_f64 v[150:151], v[220:221], v[166:167]
	v_fma_f64 v[148:149], v[220:221], v[230:231], -v[148:149]
	v_fmac_f64_e32 v[150:151], v[222:223], v[230:231]
	ds_read2_b64 v[220:223], v232 offset0:36 offset1:37
	v_add_f64 v[156:157], v[156:157], -v[148:149]
	v_add_f64 v[158:159], v[158:159], -v[150:151]
	;; [unrolled: 8-line block ×38, first 2 shown]
	s_waitcnt lgkmcnt(1)
	v_mul_f64 v[148:149], v[238:239], v[166:167]
	v_mul_f64 v[150:151], v[236:237], v[166:167]
	v_fma_f64 v[148:149], v[236:237], v[230:231], -v[148:149]
	v_fmac_f64_e32 v[150:151], v[238:239], v[230:231]
	v_add_f64 v[0:1], v[0:1], -v[148:149]
	v_add_f64 v[2:3], v[2:3], -v[150:151]
	s_waitcnt lgkmcnt(0)
	v_mul_f64 v[148:149], v[222:223], v[166:167]
	v_mul_f64 v[150:151], v[220:221], v[166:167]
	v_fma_f64 v[148:149], v[220:221], v[230:231], -v[148:149]
	v_fmac_f64_e32 v[150:151], v[222:223], v[230:231]
	v_add_f64 v[216:217], v[216:217], -v[148:149]
	v_add_f64 v[218:219], v[218:219], -v[150:151]
	v_mov_b64_e32 v[164:165], v[230:231]
.LBB108_314:
	s_or_b64 exec, exec, s[0:1]
	v_lshl_add_u32 v148, v233, 4, v232
	s_barrier
	ds_write2_b64 v148, v[160:161], v[162:163] offset1:1
	s_waitcnt lgkmcnt(0)
	s_barrier
	ds_read2_b64 v[220:223], v232 offset0:30 offset1:31
	s_cmp_lt_i32 s20, 17
	v_mov_b32_e32 v230, 15
	s_cbranch_scc1 .LBB108_317
; %bb.315:
	v_add_u32_e32 v231, 0x100, v232
	s_mov_b32 s16, 16
	v_mov_b32_e32 v230, 15
.LBB108_316:                            ; =>This Inner Loop Header: Depth=1
	ds_read2_b64 v[236:239], v231 offset1:1
	s_waitcnt lgkmcnt(1)
	v_xor_b32_e32 v149, 0x80000000, v221
	v_xor_b32_e32 v151, 0x80000000, v223
	v_cmp_gt_f64_e32 vcc, 0, v[222:223]
	v_cmp_gt_f64_e64 s[0:1], 0, v[220:221]
	v_mov_b32_e32 v148, v220
	v_mov_b32_e32 v150, v222
	v_cndmask_b32_e64 v149, v221, v149, s[0:1]
	v_cndmask_b32_e32 v151, v223, v151, vcc
	v_add_f64 v[148:149], v[148:149], v[150:151]
	s_waitcnt lgkmcnt(0)
	v_xor_b32_e32 v151, 0x80000000, v237
	v_xor_b32_e32 v227, 0x80000000, v239
	v_cmp_gt_f64_e32 vcc, 0, v[238:239]
	v_cmp_gt_f64_e64 s[0:1], 0, v[236:237]
	v_mov_b32_e32 v150, v236
	v_mov_b32_e32 v226, v238
	v_cndmask_b32_e64 v151, v237, v151, s[0:1]
	v_cndmask_b32_e32 v227, v239, v227, vcc
	v_add_f64 v[150:151], v[150:151], v[226:227]
	v_mov_b32_e32 v228, s16
	s_add_i32 s16, s16, 1
	v_cmp_lt_f64_e32 vcc, v[148:149], v[150:151]
	v_add_u32_e32 v231, 16, v231
	s_cmp_lg_u32 s20, s16
	v_cndmask_b32_e32 v221, v221, v237, vcc
	v_cndmask_b32_e32 v220, v220, v236, vcc
	;; [unrolled: 1-line block ×5, first 2 shown]
	s_cbranch_scc1 .LBB108_316
.LBB108_317:
	s_waitcnt lgkmcnt(0)
	v_cmp_eq_f64_e32 vcc, 0, v[220:221]
	v_cmp_eq_f64_e64 s[0:1], 0, v[222:223]
	s_and_b64 s[0:1], vcc, s[0:1]
	s_and_saveexec_b64 s[16:17], s[0:1]
	s_xor_b64 s[0:1], exec, s[16:17]
; %bb.318:
	v_cmp_ne_u32_e32 vcc, 0, v234
	s_nop 1
	v_cndmask_b32_e32 v234, 16, v234, vcc
; %bb.319:
	s_andn2_saveexec_b64 s[0:1], s[0:1]
	s_cbranch_execz .LBB108_325
; %bb.320:
	v_cmp_ngt_f64_e64 s[16:17], |v[220:221]|, |v[222:223]|
	s_and_saveexec_b64 s[18:19], s[16:17]
	s_xor_b64 s[16:17], exec, s[18:19]
	s_cbranch_execz .LBB108_322
; %bb.321:
	v_div_scale_f64 v[148:149], s[18:19], v[222:223], v[222:223], v[220:221]
	v_rcp_f64_e32 v[150:151], v[148:149]
	v_div_scale_f64 v[226:227], vcc, v[220:221], v[222:223], v[220:221]
	v_fma_f64 v[228:229], -v[148:149], v[150:151], 1.0
	v_fmac_f64_e32 v[150:151], v[150:151], v[228:229]
	v_fma_f64 v[228:229], -v[148:149], v[150:151], 1.0
	v_fmac_f64_e32 v[150:151], v[150:151], v[228:229]
	v_mul_f64 v[228:229], v[226:227], v[150:151]
	v_fma_f64 v[148:149], -v[148:149], v[228:229], v[226:227]
	v_div_fmas_f64 v[148:149], v[148:149], v[150:151], v[228:229]
	v_div_fixup_f64 v[148:149], v[148:149], v[222:223], v[220:221]
	v_fmac_f64_e32 v[222:223], v[220:221], v[148:149]
	v_div_scale_f64 v[150:151], s[18:19], v[222:223], v[222:223], 1.0
	v_rcp_f64_e32 v[220:221], v[150:151]
	s_nop 0
	v_fma_f64 v[226:227], -v[150:151], v[220:221], 1.0
	v_fmac_f64_e32 v[220:221], v[220:221], v[226:227]
	v_fma_f64 v[226:227], -v[150:151], v[220:221], 1.0
	v_fmac_f64_e32 v[220:221], v[220:221], v[226:227]
	v_div_scale_f64 v[226:227], vcc, 1.0, v[222:223], 1.0
	v_mul_f64 v[228:229], v[226:227], v[220:221]
	v_fma_f64 v[150:151], -v[150:151], v[228:229], v[226:227]
	s_nop 1
	v_div_fmas_f64 v[150:151], v[150:151], v[220:221], v[228:229]
	v_div_fixup_f64 v[222:223], v[150:151], v[222:223], 1.0
	v_mul_f64 v[220:221], v[148:149], v[222:223]
	v_xor_b32_e32 v223, 0x80000000, v223
.LBB108_322:
	s_andn2_saveexec_b64 s[16:17], s[16:17]
	s_cbranch_execz .LBB108_324
; %bb.323:
	v_div_scale_f64 v[148:149], s[18:19], v[220:221], v[220:221], v[222:223]
	v_rcp_f64_e32 v[150:151], v[148:149]
	v_div_scale_f64 v[226:227], vcc, v[222:223], v[220:221], v[222:223]
	v_fma_f64 v[228:229], -v[148:149], v[150:151], 1.0
	v_fmac_f64_e32 v[150:151], v[150:151], v[228:229]
	v_fma_f64 v[228:229], -v[148:149], v[150:151], 1.0
	v_fmac_f64_e32 v[150:151], v[150:151], v[228:229]
	v_mul_f64 v[228:229], v[226:227], v[150:151]
	v_fma_f64 v[148:149], -v[148:149], v[228:229], v[226:227]
	v_div_fmas_f64 v[148:149], v[148:149], v[150:151], v[228:229]
	v_div_fixup_f64 v[148:149], v[148:149], v[220:221], v[222:223]
	v_fmac_f64_e32 v[220:221], v[222:223], v[148:149]
	v_div_scale_f64 v[150:151], s[18:19], v[220:221], v[220:221], 1.0
	v_rcp_f64_e32 v[222:223], v[150:151]
	s_nop 0
	v_fma_f64 v[226:227], -v[150:151], v[222:223], 1.0
	v_fmac_f64_e32 v[222:223], v[222:223], v[226:227]
	v_fma_f64 v[226:227], -v[150:151], v[222:223], 1.0
	v_fmac_f64_e32 v[222:223], v[222:223], v[226:227]
	v_div_scale_f64 v[226:227], vcc, 1.0, v[220:221], 1.0
	v_mul_f64 v[228:229], v[226:227], v[222:223]
	v_fma_f64 v[150:151], -v[150:151], v[228:229], v[226:227]
	s_nop 1
	v_div_fmas_f64 v[150:151], v[150:151], v[222:223], v[228:229]
	v_div_fixup_f64 v[220:221], v[150:151], v[220:221], 1.0
	v_mul_f64 v[222:223], v[148:149], -v[220:221]
.LBB108_324:
	s_or_b64 exec, exec, s[16:17]
.LBB108_325:
	s_or_b64 exec, exec, s[0:1]
	v_cmp_ne_u32_e32 vcc, v233, v230
	s_and_saveexec_b64 s[0:1], vcc
	s_xor_b64 s[0:1], exec, s[0:1]
	s_cbranch_execz .LBB108_331
; %bb.326:
	v_cmp_eq_u32_e32 vcc, 15, v233
	s_and_saveexec_b64 s[16:17], vcc
	s_cbranch_execz .LBB108_330
; %bb.327:
	v_cmp_ne_u32_e32 vcc, 15, v230
	s_xor_b64 s[18:19], s[14:15], -1
	s_and_b64 s[22:23], s[18:19], vcc
	s_and_saveexec_b64 s[18:19], s[22:23]
	s_cbranch_execz .LBB108_329
; %bb.328:
	v_ashrrev_i32_e32 v231, 31, v230
	s_waitcnt vmcnt(0)
	v_lshl_add_u64 v[148:149], v[230:231], 2, v[146:147]
	global_load_dword v150, v[148:149], off
	global_load_dword v151, v[146:147], off offset:60
	s_waitcnt vmcnt(1)
	global_store_dword v[146:147], v150, off offset:60
	s_waitcnt vmcnt(1)
	global_store_dword v[148:149], v151, off
.LBB108_329:
	s_or_b64 exec, exec, s[18:19]
	v_mov_b32_e32 v233, v230
	v_mov_b32_e32 v224, v230
.LBB108_330:
	s_or_b64 exec, exec, s[16:17]
.LBB108_331:
	s_andn2_saveexec_b64 s[0:1], s[0:1]
	s_cbranch_execz .LBB108_333
; %bb.332:
	v_mov_b32_e32 v233, 15
	ds_write2_b64 v232, v[156:157], v[158:159] offset0:32 offset1:33
	ds_write2_b64 v232, v[152:153], v[154:155] offset0:34 offset1:35
	;; [unrolled: 1-line block ×39, first 2 shown]
.LBB108_333:
	s_or_b64 exec, exec, s[0:1]
	v_cmp_lt_i32_e32 vcc, 15, v233
	s_waitcnt lgkmcnt(0)
	s_barrier
	s_and_saveexec_b64 s[0:1], vcc
	s_cbranch_execz .LBB108_335
; %bb.334:
	ds_read2_b64 v[236:239], v232 offset0:32 offset1:33
	v_mul_f64 v[148:149], v[222:223], v[162:163]
	v_mul_f64 v[162:163], v[220:221], v[162:163]
	v_fma_f64 v[230:231], v[220:221], v[160:161], -v[148:149]
	v_fmac_f64_e32 v[162:163], v[222:223], v[160:161]
	ds_read2_b64 v[220:223], v232 offset0:34 offset1:35
	s_waitcnt lgkmcnt(1)
	v_mul_f64 v[148:149], v[238:239], v[162:163]
	v_mul_f64 v[150:151], v[236:237], v[162:163]
	v_fma_f64 v[148:149], v[236:237], v[230:231], -v[148:149]
	v_fmac_f64_e32 v[150:151], v[238:239], v[230:231]
	ds_read2_b64 v[236:239], v232 offset0:36 offset1:37
	v_add_f64 v[156:157], v[156:157], -v[148:149]
	v_add_f64 v[158:159], v[158:159], -v[150:151]
	s_waitcnt lgkmcnt(1)
	v_mul_f64 v[148:149], v[222:223], v[162:163]
	v_mul_f64 v[150:151], v[220:221], v[162:163]
	v_fma_f64 v[148:149], v[220:221], v[230:231], -v[148:149]
	v_fmac_f64_e32 v[150:151], v[222:223], v[230:231]
	ds_read2_b64 v[220:223], v232 offset0:38 offset1:39
	v_add_f64 v[152:153], v[152:153], -v[148:149]
	v_add_f64 v[154:155], v[154:155], -v[150:151]
	;; [unrolled: 8-line block ×37, first 2 shown]
	s_waitcnt lgkmcnt(1)
	v_mul_f64 v[148:149], v[222:223], v[162:163]
	v_mul_f64 v[150:151], v[220:221], v[162:163]
	v_fma_f64 v[148:149], v[220:221], v[230:231], -v[148:149]
	v_fmac_f64_e32 v[150:151], v[222:223], v[230:231]
	v_add_f64 v[0:1], v[0:1], -v[148:149]
	v_add_f64 v[2:3], v[2:3], -v[150:151]
	s_waitcnt lgkmcnt(0)
	v_mul_f64 v[148:149], v[238:239], v[162:163]
	v_mul_f64 v[150:151], v[236:237], v[162:163]
	v_fma_f64 v[148:149], v[236:237], v[230:231], -v[148:149]
	v_fmac_f64_e32 v[150:151], v[238:239], v[230:231]
	v_add_f64 v[216:217], v[216:217], -v[148:149]
	v_add_f64 v[218:219], v[218:219], -v[150:151]
	v_mov_b64_e32 v[160:161], v[230:231]
.LBB108_335:
	s_or_b64 exec, exec, s[0:1]
	v_lshl_add_u32 v148, v233, 4, v232
	s_barrier
	ds_write2_b64 v148, v[156:157], v[158:159] offset1:1
	s_waitcnt lgkmcnt(0)
	s_barrier
	ds_read2_b64 v[220:223], v232 offset0:32 offset1:33
	s_cmp_lt_i32 s20, 18
	v_mov_b32_e32 v230, 16
	s_cbranch_scc1 .LBB108_338
; %bb.336:
	v_add_u32_e32 v231, 0x110, v232
	s_mov_b32 s16, 17
	v_mov_b32_e32 v230, 16
.LBB108_337:                            ; =>This Inner Loop Header: Depth=1
	ds_read2_b64 v[236:239], v231 offset1:1
	s_waitcnt lgkmcnt(1)
	v_xor_b32_e32 v149, 0x80000000, v221
	v_xor_b32_e32 v151, 0x80000000, v223
	v_cmp_gt_f64_e32 vcc, 0, v[222:223]
	v_cmp_gt_f64_e64 s[0:1], 0, v[220:221]
	v_mov_b32_e32 v148, v220
	v_mov_b32_e32 v150, v222
	v_cndmask_b32_e64 v149, v221, v149, s[0:1]
	v_cndmask_b32_e32 v151, v223, v151, vcc
	v_add_f64 v[148:149], v[148:149], v[150:151]
	s_waitcnt lgkmcnt(0)
	v_xor_b32_e32 v151, 0x80000000, v237
	v_xor_b32_e32 v227, 0x80000000, v239
	v_cmp_gt_f64_e32 vcc, 0, v[238:239]
	v_cmp_gt_f64_e64 s[0:1], 0, v[236:237]
	v_mov_b32_e32 v150, v236
	v_mov_b32_e32 v226, v238
	v_cndmask_b32_e64 v151, v237, v151, s[0:1]
	v_cndmask_b32_e32 v227, v239, v227, vcc
	v_add_f64 v[150:151], v[150:151], v[226:227]
	v_mov_b32_e32 v228, s16
	s_add_i32 s16, s16, 1
	v_cmp_lt_f64_e32 vcc, v[148:149], v[150:151]
	v_add_u32_e32 v231, 16, v231
	s_cmp_lg_u32 s20, s16
	v_cndmask_b32_e32 v221, v221, v237, vcc
	v_cndmask_b32_e32 v220, v220, v236, vcc
	;; [unrolled: 1-line block ×5, first 2 shown]
	s_cbranch_scc1 .LBB108_337
.LBB108_338:
	s_waitcnt lgkmcnt(0)
	v_cmp_eq_f64_e32 vcc, 0, v[220:221]
	v_cmp_eq_f64_e64 s[0:1], 0, v[222:223]
	s_and_b64 s[0:1], vcc, s[0:1]
	s_and_saveexec_b64 s[16:17], s[0:1]
	s_xor_b64 s[0:1], exec, s[16:17]
; %bb.339:
	v_cmp_ne_u32_e32 vcc, 0, v234
	s_nop 1
	v_cndmask_b32_e32 v234, 17, v234, vcc
; %bb.340:
	s_andn2_saveexec_b64 s[0:1], s[0:1]
	s_cbranch_execz .LBB108_346
; %bb.341:
	v_cmp_ngt_f64_e64 s[16:17], |v[220:221]|, |v[222:223]|
	s_and_saveexec_b64 s[18:19], s[16:17]
	s_xor_b64 s[16:17], exec, s[18:19]
	s_cbranch_execz .LBB108_343
; %bb.342:
	v_div_scale_f64 v[148:149], s[18:19], v[222:223], v[222:223], v[220:221]
	v_rcp_f64_e32 v[150:151], v[148:149]
	v_div_scale_f64 v[226:227], vcc, v[220:221], v[222:223], v[220:221]
	v_fma_f64 v[228:229], -v[148:149], v[150:151], 1.0
	v_fmac_f64_e32 v[150:151], v[150:151], v[228:229]
	v_fma_f64 v[228:229], -v[148:149], v[150:151], 1.0
	v_fmac_f64_e32 v[150:151], v[150:151], v[228:229]
	v_mul_f64 v[228:229], v[226:227], v[150:151]
	v_fma_f64 v[148:149], -v[148:149], v[228:229], v[226:227]
	v_div_fmas_f64 v[148:149], v[148:149], v[150:151], v[228:229]
	v_div_fixup_f64 v[148:149], v[148:149], v[222:223], v[220:221]
	v_fmac_f64_e32 v[222:223], v[220:221], v[148:149]
	v_div_scale_f64 v[150:151], s[18:19], v[222:223], v[222:223], 1.0
	v_rcp_f64_e32 v[220:221], v[150:151]
	s_nop 0
	v_fma_f64 v[226:227], -v[150:151], v[220:221], 1.0
	v_fmac_f64_e32 v[220:221], v[220:221], v[226:227]
	v_fma_f64 v[226:227], -v[150:151], v[220:221], 1.0
	v_fmac_f64_e32 v[220:221], v[220:221], v[226:227]
	v_div_scale_f64 v[226:227], vcc, 1.0, v[222:223], 1.0
	v_mul_f64 v[228:229], v[226:227], v[220:221]
	v_fma_f64 v[150:151], -v[150:151], v[228:229], v[226:227]
	s_nop 1
	v_div_fmas_f64 v[150:151], v[150:151], v[220:221], v[228:229]
	v_div_fixup_f64 v[222:223], v[150:151], v[222:223], 1.0
	v_mul_f64 v[220:221], v[148:149], v[222:223]
	v_xor_b32_e32 v223, 0x80000000, v223
.LBB108_343:
	s_andn2_saveexec_b64 s[16:17], s[16:17]
	s_cbranch_execz .LBB108_345
; %bb.344:
	v_div_scale_f64 v[148:149], s[18:19], v[220:221], v[220:221], v[222:223]
	v_rcp_f64_e32 v[150:151], v[148:149]
	v_div_scale_f64 v[226:227], vcc, v[222:223], v[220:221], v[222:223]
	v_fma_f64 v[228:229], -v[148:149], v[150:151], 1.0
	v_fmac_f64_e32 v[150:151], v[150:151], v[228:229]
	v_fma_f64 v[228:229], -v[148:149], v[150:151], 1.0
	v_fmac_f64_e32 v[150:151], v[150:151], v[228:229]
	v_mul_f64 v[228:229], v[226:227], v[150:151]
	v_fma_f64 v[148:149], -v[148:149], v[228:229], v[226:227]
	v_div_fmas_f64 v[148:149], v[148:149], v[150:151], v[228:229]
	v_div_fixup_f64 v[148:149], v[148:149], v[220:221], v[222:223]
	v_fmac_f64_e32 v[220:221], v[222:223], v[148:149]
	v_div_scale_f64 v[150:151], s[18:19], v[220:221], v[220:221], 1.0
	v_rcp_f64_e32 v[222:223], v[150:151]
	s_nop 0
	v_fma_f64 v[226:227], -v[150:151], v[222:223], 1.0
	v_fmac_f64_e32 v[222:223], v[222:223], v[226:227]
	v_fma_f64 v[226:227], -v[150:151], v[222:223], 1.0
	v_fmac_f64_e32 v[222:223], v[222:223], v[226:227]
	v_div_scale_f64 v[226:227], vcc, 1.0, v[220:221], 1.0
	v_mul_f64 v[228:229], v[226:227], v[222:223]
	v_fma_f64 v[150:151], -v[150:151], v[228:229], v[226:227]
	s_nop 1
	v_div_fmas_f64 v[150:151], v[150:151], v[222:223], v[228:229]
	v_div_fixup_f64 v[220:221], v[150:151], v[220:221], 1.0
	v_mul_f64 v[222:223], v[148:149], -v[220:221]
.LBB108_345:
	s_or_b64 exec, exec, s[16:17]
.LBB108_346:
	s_or_b64 exec, exec, s[0:1]
	v_cmp_ne_u32_e32 vcc, v233, v230
	s_and_saveexec_b64 s[0:1], vcc
	s_xor_b64 s[0:1], exec, s[0:1]
	s_cbranch_execz .LBB108_352
; %bb.347:
	v_cmp_eq_u32_e32 vcc, 16, v233
	s_and_saveexec_b64 s[16:17], vcc
	s_cbranch_execz .LBB108_351
; %bb.348:
	v_cmp_ne_u32_e32 vcc, 16, v230
	s_xor_b64 s[18:19], s[14:15], -1
	s_and_b64 s[22:23], s[18:19], vcc
	s_and_saveexec_b64 s[18:19], s[22:23]
	s_cbranch_execz .LBB108_350
; %bb.349:
	v_ashrrev_i32_e32 v231, 31, v230
	s_waitcnt vmcnt(0)
	v_lshl_add_u64 v[148:149], v[230:231], 2, v[146:147]
	global_load_dword v150, v[148:149], off
	global_load_dword v151, v[146:147], off offset:64
	s_waitcnt vmcnt(1)
	global_store_dword v[146:147], v150, off offset:64
	s_waitcnt vmcnt(1)
	global_store_dword v[148:149], v151, off
.LBB108_350:
	s_or_b64 exec, exec, s[18:19]
	v_mov_b32_e32 v233, v230
	v_mov_b32_e32 v224, v230
.LBB108_351:
	s_or_b64 exec, exec, s[16:17]
.LBB108_352:
	s_andn2_saveexec_b64 s[0:1], s[0:1]
	s_cbranch_execz .LBB108_354
; %bb.353:
	v_mov_b32_e32 v233, 16
	ds_write2_b64 v232, v[152:153], v[154:155] offset0:34 offset1:35
	ds_write2_b64 v232, v[140:141], v[142:143] offset0:36 offset1:37
	;; [unrolled: 1-line block ×38, first 2 shown]
.LBB108_354:
	s_or_b64 exec, exec, s[0:1]
	v_cmp_lt_i32_e32 vcc, 16, v233
	s_waitcnt lgkmcnt(0)
	s_barrier
	s_and_saveexec_b64 s[0:1], vcc
	s_cbranch_execz .LBB108_356
; %bb.355:
	ds_read2_b64 v[236:239], v232 offset0:34 offset1:35
	v_mul_f64 v[148:149], v[222:223], v[158:159]
	v_mul_f64 v[158:159], v[220:221], v[158:159]
	v_fma_f64 v[230:231], v[220:221], v[156:157], -v[148:149]
	v_fmac_f64_e32 v[158:159], v[222:223], v[156:157]
	ds_read2_b64 v[220:223], v232 offset0:36 offset1:37
	s_waitcnt lgkmcnt(1)
	v_mul_f64 v[148:149], v[238:239], v[158:159]
	v_mul_f64 v[150:151], v[236:237], v[158:159]
	v_fma_f64 v[148:149], v[236:237], v[230:231], -v[148:149]
	v_fmac_f64_e32 v[150:151], v[238:239], v[230:231]
	ds_read2_b64 v[236:239], v232 offset0:38 offset1:39
	v_add_f64 v[152:153], v[152:153], -v[148:149]
	v_add_f64 v[154:155], v[154:155], -v[150:151]
	s_waitcnt lgkmcnt(1)
	v_mul_f64 v[148:149], v[222:223], v[158:159]
	v_mul_f64 v[150:151], v[220:221], v[158:159]
	v_fma_f64 v[148:149], v[220:221], v[230:231], -v[148:149]
	v_fmac_f64_e32 v[150:151], v[222:223], v[230:231]
	ds_read2_b64 v[220:223], v232 offset0:40 offset1:41
	v_add_f64 v[140:141], v[140:141], -v[148:149]
	v_add_f64 v[142:143], v[142:143], -v[150:151]
	;; [unrolled: 8-line block ×36, first 2 shown]
	s_waitcnt lgkmcnt(1)
	v_mul_f64 v[148:149], v[238:239], v[158:159]
	v_mul_f64 v[150:151], v[236:237], v[158:159]
	v_fma_f64 v[148:149], v[236:237], v[230:231], -v[148:149]
	v_fmac_f64_e32 v[150:151], v[238:239], v[230:231]
	v_add_f64 v[0:1], v[0:1], -v[148:149]
	v_add_f64 v[2:3], v[2:3], -v[150:151]
	s_waitcnt lgkmcnt(0)
	v_mul_f64 v[148:149], v[222:223], v[158:159]
	v_mul_f64 v[150:151], v[220:221], v[158:159]
	v_fma_f64 v[148:149], v[220:221], v[230:231], -v[148:149]
	v_fmac_f64_e32 v[150:151], v[222:223], v[230:231]
	v_add_f64 v[216:217], v[216:217], -v[148:149]
	v_add_f64 v[218:219], v[218:219], -v[150:151]
	v_mov_b64_e32 v[156:157], v[230:231]
.LBB108_356:
	s_or_b64 exec, exec, s[0:1]
	v_lshl_add_u32 v148, v233, 4, v232
	s_barrier
	ds_write2_b64 v148, v[152:153], v[154:155] offset1:1
	s_waitcnt lgkmcnt(0)
	s_barrier
	ds_read2_b64 v[220:223], v232 offset0:34 offset1:35
	s_cmp_lt_i32 s20, 19
	v_mov_b32_e32 v230, 17
	s_cbranch_scc1 .LBB108_359
; %bb.357:
	v_add_u32_e32 v231, 0x120, v232
	s_mov_b32 s16, 18
	v_mov_b32_e32 v230, 17
.LBB108_358:                            ; =>This Inner Loop Header: Depth=1
	ds_read2_b64 v[236:239], v231 offset1:1
	s_waitcnt lgkmcnt(1)
	v_xor_b32_e32 v149, 0x80000000, v221
	v_xor_b32_e32 v151, 0x80000000, v223
	v_cmp_gt_f64_e32 vcc, 0, v[222:223]
	v_cmp_gt_f64_e64 s[0:1], 0, v[220:221]
	v_mov_b32_e32 v148, v220
	v_mov_b32_e32 v150, v222
	v_cndmask_b32_e64 v149, v221, v149, s[0:1]
	v_cndmask_b32_e32 v151, v223, v151, vcc
	v_add_f64 v[148:149], v[148:149], v[150:151]
	s_waitcnt lgkmcnt(0)
	v_xor_b32_e32 v151, 0x80000000, v237
	v_xor_b32_e32 v227, 0x80000000, v239
	v_cmp_gt_f64_e32 vcc, 0, v[238:239]
	v_cmp_gt_f64_e64 s[0:1], 0, v[236:237]
	v_mov_b32_e32 v150, v236
	v_mov_b32_e32 v226, v238
	v_cndmask_b32_e64 v151, v237, v151, s[0:1]
	v_cndmask_b32_e32 v227, v239, v227, vcc
	v_add_f64 v[150:151], v[150:151], v[226:227]
	v_mov_b32_e32 v228, s16
	s_add_i32 s16, s16, 1
	v_cmp_lt_f64_e32 vcc, v[148:149], v[150:151]
	v_add_u32_e32 v231, 16, v231
	s_cmp_lg_u32 s20, s16
	v_cndmask_b32_e32 v221, v221, v237, vcc
	v_cndmask_b32_e32 v220, v220, v236, vcc
	;; [unrolled: 1-line block ×5, first 2 shown]
	s_cbranch_scc1 .LBB108_358
.LBB108_359:
	s_waitcnt lgkmcnt(0)
	v_cmp_eq_f64_e32 vcc, 0, v[220:221]
	v_cmp_eq_f64_e64 s[0:1], 0, v[222:223]
	s_and_b64 s[0:1], vcc, s[0:1]
	s_and_saveexec_b64 s[16:17], s[0:1]
	s_xor_b64 s[0:1], exec, s[16:17]
; %bb.360:
	v_cmp_ne_u32_e32 vcc, 0, v234
	s_nop 1
	v_cndmask_b32_e32 v234, 18, v234, vcc
; %bb.361:
	s_andn2_saveexec_b64 s[0:1], s[0:1]
	s_cbranch_execz .LBB108_367
; %bb.362:
	v_cmp_ngt_f64_e64 s[16:17], |v[220:221]|, |v[222:223]|
	s_and_saveexec_b64 s[18:19], s[16:17]
	s_xor_b64 s[16:17], exec, s[18:19]
	s_cbranch_execz .LBB108_364
; %bb.363:
	v_div_scale_f64 v[148:149], s[18:19], v[222:223], v[222:223], v[220:221]
	v_rcp_f64_e32 v[150:151], v[148:149]
	v_div_scale_f64 v[226:227], vcc, v[220:221], v[222:223], v[220:221]
	v_fma_f64 v[228:229], -v[148:149], v[150:151], 1.0
	v_fmac_f64_e32 v[150:151], v[150:151], v[228:229]
	v_fma_f64 v[228:229], -v[148:149], v[150:151], 1.0
	v_fmac_f64_e32 v[150:151], v[150:151], v[228:229]
	v_mul_f64 v[228:229], v[226:227], v[150:151]
	v_fma_f64 v[148:149], -v[148:149], v[228:229], v[226:227]
	v_div_fmas_f64 v[148:149], v[148:149], v[150:151], v[228:229]
	v_div_fixup_f64 v[148:149], v[148:149], v[222:223], v[220:221]
	v_fmac_f64_e32 v[222:223], v[220:221], v[148:149]
	v_div_scale_f64 v[150:151], s[18:19], v[222:223], v[222:223], 1.0
	v_rcp_f64_e32 v[220:221], v[150:151]
	s_nop 0
	v_fma_f64 v[226:227], -v[150:151], v[220:221], 1.0
	v_fmac_f64_e32 v[220:221], v[220:221], v[226:227]
	v_fma_f64 v[226:227], -v[150:151], v[220:221], 1.0
	v_fmac_f64_e32 v[220:221], v[220:221], v[226:227]
	v_div_scale_f64 v[226:227], vcc, 1.0, v[222:223], 1.0
	v_mul_f64 v[228:229], v[226:227], v[220:221]
	v_fma_f64 v[150:151], -v[150:151], v[228:229], v[226:227]
	s_nop 1
	v_div_fmas_f64 v[150:151], v[150:151], v[220:221], v[228:229]
	v_div_fixup_f64 v[222:223], v[150:151], v[222:223], 1.0
	v_mul_f64 v[220:221], v[148:149], v[222:223]
	v_xor_b32_e32 v223, 0x80000000, v223
.LBB108_364:
	s_andn2_saveexec_b64 s[16:17], s[16:17]
	s_cbranch_execz .LBB108_366
; %bb.365:
	v_div_scale_f64 v[148:149], s[18:19], v[220:221], v[220:221], v[222:223]
	v_rcp_f64_e32 v[150:151], v[148:149]
	v_div_scale_f64 v[226:227], vcc, v[222:223], v[220:221], v[222:223]
	v_fma_f64 v[228:229], -v[148:149], v[150:151], 1.0
	v_fmac_f64_e32 v[150:151], v[150:151], v[228:229]
	v_fma_f64 v[228:229], -v[148:149], v[150:151], 1.0
	v_fmac_f64_e32 v[150:151], v[150:151], v[228:229]
	v_mul_f64 v[228:229], v[226:227], v[150:151]
	v_fma_f64 v[148:149], -v[148:149], v[228:229], v[226:227]
	v_div_fmas_f64 v[148:149], v[148:149], v[150:151], v[228:229]
	v_div_fixup_f64 v[148:149], v[148:149], v[220:221], v[222:223]
	v_fmac_f64_e32 v[220:221], v[222:223], v[148:149]
	v_div_scale_f64 v[150:151], s[18:19], v[220:221], v[220:221], 1.0
	v_rcp_f64_e32 v[222:223], v[150:151]
	s_nop 0
	v_fma_f64 v[226:227], -v[150:151], v[222:223], 1.0
	v_fmac_f64_e32 v[222:223], v[222:223], v[226:227]
	v_fma_f64 v[226:227], -v[150:151], v[222:223], 1.0
	v_fmac_f64_e32 v[222:223], v[222:223], v[226:227]
	v_div_scale_f64 v[226:227], vcc, 1.0, v[220:221], 1.0
	v_mul_f64 v[228:229], v[226:227], v[222:223]
	v_fma_f64 v[150:151], -v[150:151], v[228:229], v[226:227]
	s_nop 1
	v_div_fmas_f64 v[150:151], v[150:151], v[222:223], v[228:229]
	v_div_fixup_f64 v[220:221], v[150:151], v[220:221], 1.0
	v_mul_f64 v[222:223], v[148:149], -v[220:221]
.LBB108_366:
	s_or_b64 exec, exec, s[16:17]
.LBB108_367:
	s_or_b64 exec, exec, s[0:1]
	v_cmp_ne_u32_e32 vcc, v233, v230
	s_and_saveexec_b64 s[0:1], vcc
	s_xor_b64 s[0:1], exec, s[0:1]
	s_cbranch_execz .LBB108_373
; %bb.368:
	v_cmp_eq_u32_e32 vcc, 17, v233
	s_and_saveexec_b64 s[16:17], vcc
	s_cbranch_execz .LBB108_372
; %bb.369:
	v_cmp_ne_u32_e32 vcc, 17, v230
	s_xor_b64 s[18:19], s[14:15], -1
	s_and_b64 s[22:23], s[18:19], vcc
	s_and_saveexec_b64 s[18:19], s[22:23]
	s_cbranch_execz .LBB108_371
; %bb.370:
	v_ashrrev_i32_e32 v231, 31, v230
	s_waitcnt vmcnt(0)
	v_lshl_add_u64 v[148:149], v[230:231], 2, v[146:147]
	global_load_dword v150, v[148:149], off
	global_load_dword v151, v[146:147], off offset:68
	s_waitcnt vmcnt(1)
	global_store_dword v[146:147], v150, off offset:68
	s_waitcnt vmcnt(1)
	global_store_dword v[148:149], v151, off
.LBB108_371:
	s_or_b64 exec, exec, s[18:19]
	v_mov_b32_e32 v233, v230
	v_mov_b32_e32 v224, v230
.LBB108_372:
	s_or_b64 exec, exec, s[16:17]
.LBB108_373:
	s_andn2_saveexec_b64 s[0:1], s[0:1]
	s_cbranch_execz .LBB108_375
; %bb.374:
	v_mov_b32_e32 v233, 17
	ds_write2_b64 v232, v[140:141], v[142:143] offset0:36 offset1:37
	ds_write2_b64 v232, v[136:137], v[138:139] offset0:38 offset1:39
	ds_write2_b64 v232, v[132:133], v[134:135] offset0:40 offset1:41
	ds_write2_b64 v232, v[128:129], v[130:131] offset0:42 offset1:43
	ds_write2_b64 v232, v[124:125], v[126:127] offset0:44 offset1:45
	ds_write2_b64 v232, v[120:121], v[122:123] offset0:46 offset1:47
	ds_write2_b64 v232, v[116:117], v[118:119] offset0:48 offset1:49
	ds_write2_b64 v232, v[112:113], v[114:115] offset0:50 offset1:51
	ds_write2_b64 v232, v[108:109], v[110:111] offset0:52 offset1:53
	ds_write2_b64 v232, v[104:105], v[106:107] offset0:54 offset1:55
	ds_write2_b64 v232, v[100:101], v[102:103] offset0:56 offset1:57
	ds_write2_b64 v232, v[96:97], v[98:99] offset0:58 offset1:59
	ds_write2_b64 v232, v[92:93], v[94:95] offset0:60 offset1:61
	ds_write2_b64 v232, v[88:89], v[90:91] offset0:62 offset1:63
	ds_write2_b64 v232, v[84:85], v[86:87] offset0:64 offset1:65
	ds_write2_b64 v232, v[80:81], v[82:83] offset0:66 offset1:67
	ds_write2_b64 v232, v[76:77], v[78:79] offset0:68 offset1:69
	ds_write2_b64 v232, v[72:73], v[74:75] offset0:70 offset1:71
	ds_write2_b64 v232, v[68:69], v[70:71] offset0:72 offset1:73
	ds_write2_b64 v232, v[64:65], v[66:67] offset0:74 offset1:75
	ds_write2_b64 v232, v[60:61], v[62:63] offset0:76 offset1:77
	ds_write2_b64 v232, v[56:57], v[58:59] offset0:78 offset1:79
	ds_write2_b64 v232, v[52:53], v[54:55] offset0:80 offset1:81
	ds_write2_b64 v232, v[48:49], v[50:51] offset0:82 offset1:83
	ds_write2_b64 v232, v[44:45], v[46:47] offset0:84 offset1:85
	ds_write2_b64 v232, v[40:41], v[42:43] offset0:86 offset1:87
	ds_write2_b64 v232, v[36:37], v[38:39] offset0:88 offset1:89
	ds_write2_b64 v232, v[32:33], v[34:35] offset0:90 offset1:91
	ds_write2_b64 v232, v[28:29], v[30:31] offset0:92 offset1:93
	ds_write2_b64 v232, v[24:25], v[26:27] offset0:94 offset1:95
	ds_write2_b64 v232, v[20:21], v[22:23] offset0:96 offset1:97
	ds_write2_b64 v232, v[16:17], v[18:19] offset0:98 offset1:99
	ds_write2_b64 v232, v[12:13], v[14:15] offset0:100 offset1:101
	ds_write2_b64 v232, v[8:9], v[10:11] offset0:102 offset1:103
	ds_write2_b64 v232, v[4:5], v[6:7] offset0:104 offset1:105
	ds_write2_b64 v232, v[0:1], v[2:3] offset0:106 offset1:107
	ds_write2_b64 v232, v[216:217], v[218:219] offset0:108 offset1:109
.LBB108_375:
	s_or_b64 exec, exec, s[0:1]
	v_cmp_lt_i32_e32 vcc, 17, v233
	s_waitcnt lgkmcnt(0)
	s_barrier
	s_and_saveexec_b64 s[0:1], vcc
	s_cbranch_execz .LBB108_377
; %bb.376:
	ds_read2_b64 v[236:239], v232 offset0:36 offset1:37
	v_mul_f64 v[148:149], v[222:223], v[154:155]
	v_mul_f64 v[154:155], v[220:221], v[154:155]
	v_fma_f64 v[230:231], v[220:221], v[152:153], -v[148:149]
	v_fmac_f64_e32 v[154:155], v[222:223], v[152:153]
	ds_read2_b64 v[220:223], v232 offset0:38 offset1:39
	s_waitcnt lgkmcnt(1)
	v_mul_f64 v[148:149], v[238:239], v[154:155]
	v_mul_f64 v[150:151], v[236:237], v[154:155]
	v_fma_f64 v[148:149], v[236:237], v[230:231], -v[148:149]
	v_fmac_f64_e32 v[150:151], v[238:239], v[230:231]
	ds_read2_b64 v[236:239], v232 offset0:40 offset1:41
	v_add_f64 v[140:141], v[140:141], -v[148:149]
	v_add_f64 v[142:143], v[142:143], -v[150:151]
	s_waitcnt lgkmcnt(1)
	v_mul_f64 v[148:149], v[222:223], v[154:155]
	v_mul_f64 v[150:151], v[220:221], v[154:155]
	v_fma_f64 v[148:149], v[220:221], v[230:231], -v[148:149]
	v_fmac_f64_e32 v[150:151], v[222:223], v[230:231]
	ds_read2_b64 v[220:223], v232 offset0:42 offset1:43
	v_add_f64 v[136:137], v[136:137], -v[148:149]
	v_add_f64 v[138:139], v[138:139], -v[150:151]
	;; [unrolled: 8-line block ×35, first 2 shown]
	s_waitcnt lgkmcnt(1)
	v_mul_f64 v[148:149], v[222:223], v[154:155]
	v_mul_f64 v[150:151], v[220:221], v[154:155]
	v_fma_f64 v[148:149], v[220:221], v[230:231], -v[148:149]
	v_fmac_f64_e32 v[150:151], v[222:223], v[230:231]
	v_add_f64 v[0:1], v[0:1], -v[148:149]
	v_add_f64 v[2:3], v[2:3], -v[150:151]
	s_waitcnt lgkmcnt(0)
	v_mul_f64 v[148:149], v[238:239], v[154:155]
	v_mul_f64 v[150:151], v[236:237], v[154:155]
	v_fma_f64 v[148:149], v[236:237], v[230:231], -v[148:149]
	v_fmac_f64_e32 v[150:151], v[238:239], v[230:231]
	v_add_f64 v[216:217], v[216:217], -v[148:149]
	v_add_f64 v[218:219], v[218:219], -v[150:151]
	v_mov_b64_e32 v[152:153], v[230:231]
.LBB108_377:
	s_or_b64 exec, exec, s[0:1]
	v_lshl_add_u32 v148, v233, 4, v232
	s_barrier
	ds_write2_b64 v148, v[140:141], v[142:143] offset1:1
	s_waitcnt lgkmcnt(0)
	s_barrier
	ds_read2_b64 v[220:223], v232 offset0:36 offset1:37
	s_cmp_lt_i32 s20, 20
	v_mov_b32_e32 v230, 18
	s_cbranch_scc1 .LBB108_380
; %bb.378:
	v_add_u32_e32 v231, 0x130, v232
	s_mov_b32 s16, 19
	v_mov_b32_e32 v230, 18
.LBB108_379:                            ; =>This Inner Loop Header: Depth=1
	ds_read2_b64 v[236:239], v231 offset1:1
	s_waitcnt lgkmcnt(1)
	v_xor_b32_e32 v149, 0x80000000, v221
	v_xor_b32_e32 v151, 0x80000000, v223
	v_cmp_gt_f64_e32 vcc, 0, v[222:223]
	v_cmp_gt_f64_e64 s[0:1], 0, v[220:221]
	v_mov_b32_e32 v148, v220
	v_mov_b32_e32 v150, v222
	v_cndmask_b32_e64 v149, v221, v149, s[0:1]
	v_cndmask_b32_e32 v151, v223, v151, vcc
	v_add_f64 v[148:149], v[148:149], v[150:151]
	s_waitcnt lgkmcnt(0)
	v_xor_b32_e32 v151, 0x80000000, v237
	v_xor_b32_e32 v227, 0x80000000, v239
	v_cmp_gt_f64_e32 vcc, 0, v[238:239]
	v_cmp_gt_f64_e64 s[0:1], 0, v[236:237]
	v_mov_b32_e32 v150, v236
	v_mov_b32_e32 v226, v238
	v_cndmask_b32_e64 v151, v237, v151, s[0:1]
	v_cndmask_b32_e32 v227, v239, v227, vcc
	v_add_f64 v[150:151], v[150:151], v[226:227]
	v_mov_b32_e32 v228, s16
	s_add_i32 s16, s16, 1
	v_cmp_lt_f64_e32 vcc, v[148:149], v[150:151]
	v_add_u32_e32 v231, 16, v231
	s_cmp_lg_u32 s20, s16
	v_cndmask_b32_e32 v221, v221, v237, vcc
	v_cndmask_b32_e32 v220, v220, v236, vcc
	v_cndmask_b32_e32 v223, v223, v239, vcc
	v_cndmask_b32_e32 v222, v222, v238, vcc
	v_cndmask_b32_e32 v230, v230, v228, vcc
	s_cbranch_scc1 .LBB108_379
.LBB108_380:
	s_waitcnt lgkmcnt(0)
	v_cmp_eq_f64_e32 vcc, 0, v[220:221]
	v_cmp_eq_f64_e64 s[0:1], 0, v[222:223]
	s_and_b64 s[0:1], vcc, s[0:1]
	s_and_saveexec_b64 s[16:17], s[0:1]
	s_xor_b64 s[0:1], exec, s[16:17]
; %bb.381:
	v_cmp_ne_u32_e32 vcc, 0, v234
	s_nop 1
	v_cndmask_b32_e32 v234, 19, v234, vcc
; %bb.382:
	s_andn2_saveexec_b64 s[0:1], s[0:1]
	s_cbranch_execz .LBB108_388
; %bb.383:
	v_cmp_ngt_f64_e64 s[16:17], |v[220:221]|, |v[222:223]|
	s_and_saveexec_b64 s[18:19], s[16:17]
	s_xor_b64 s[16:17], exec, s[18:19]
	s_cbranch_execz .LBB108_385
; %bb.384:
	v_div_scale_f64 v[148:149], s[18:19], v[222:223], v[222:223], v[220:221]
	v_rcp_f64_e32 v[150:151], v[148:149]
	v_div_scale_f64 v[226:227], vcc, v[220:221], v[222:223], v[220:221]
	v_fma_f64 v[228:229], -v[148:149], v[150:151], 1.0
	v_fmac_f64_e32 v[150:151], v[150:151], v[228:229]
	v_fma_f64 v[228:229], -v[148:149], v[150:151], 1.0
	v_fmac_f64_e32 v[150:151], v[150:151], v[228:229]
	v_mul_f64 v[228:229], v[226:227], v[150:151]
	v_fma_f64 v[148:149], -v[148:149], v[228:229], v[226:227]
	v_div_fmas_f64 v[148:149], v[148:149], v[150:151], v[228:229]
	v_div_fixup_f64 v[148:149], v[148:149], v[222:223], v[220:221]
	v_fmac_f64_e32 v[222:223], v[220:221], v[148:149]
	v_div_scale_f64 v[150:151], s[18:19], v[222:223], v[222:223], 1.0
	v_rcp_f64_e32 v[220:221], v[150:151]
	s_nop 0
	v_fma_f64 v[226:227], -v[150:151], v[220:221], 1.0
	v_fmac_f64_e32 v[220:221], v[220:221], v[226:227]
	v_fma_f64 v[226:227], -v[150:151], v[220:221], 1.0
	v_fmac_f64_e32 v[220:221], v[220:221], v[226:227]
	v_div_scale_f64 v[226:227], vcc, 1.0, v[222:223], 1.0
	v_mul_f64 v[228:229], v[226:227], v[220:221]
	v_fma_f64 v[150:151], -v[150:151], v[228:229], v[226:227]
	s_nop 1
	v_div_fmas_f64 v[150:151], v[150:151], v[220:221], v[228:229]
	v_div_fixup_f64 v[222:223], v[150:151], v[222:223], 1.0
	v_mul_f64 v[220:221], v[148:149], v[222:223]
	v_xor_b32_e32 v223, 0x80000000, v223
.LBB108_385:
	s_andn2_saveexec_b64 s[16:17], s[16:17]
	s_cbranch_execz .LBB108_387
; %bb.386:
	v_div_scale_f64 v[148:149], s[18:19], v[220:221], v[220:221], v[222:223]
	v_rcp_f64_e32 v[150:151], v[148:149]
	v_div_scale_f64 v[226:227], vcc, v[222:223], v[220:221], v[222:223]
	v_fma_f64 v[228:229], -v[148:149], v[150:151], 1.0
	v_fmac_f64_e32 v[150:151], v[150:151], v[228:229]
	v_fma_f64 v[228:229], -v[148:149], v[150:151], 1.0
	v_fmac_f64_e32 v[150:151], v[150:151], v[228:229]
	v_mul_f64 v[228:229], v[226:227], v[150:151]
	v_fma_f64 v[148:149], -v[148:149], v[228:229], v[226:227]
	v_div_fmas_f64 v[148:149], v[148:149], v[150:151], v[228:229]
	v_div_fixup_f64 v[148:149], v[148:149], v[220:221], v[222:223]
	v_fmac_f64_e32 v[220:221], v[222:223], v[148:149]
	v_div_scale_f64 v[150:151], s[18:19], v[220:221], v[220:221], 1.0
	v_rcp_f64_e32 v[222:223], v[150:151]
	s_nop 0
	v_fma_f64 v[226:227], -v[150:151], v[222:223], 1.0
	v_fmac_f64_e32 v[222:223], v[222:223], v[226:227]
	v_fma_f64 v[226:227], -v[150:151], v[222:223], 1.0
	v_fmac_f64_e32 v[222:223], v[222:223], v[226:227]
	v_div_scale_f64 v[226:227], vcc, 1.0, v[220:221], 1.0
	v_mul_f64 v[228:229], v[226:227], v[222:223]
	v_fma_f64 v[150:151], -v[150:151], v[228:229], v[226:227]
	s_nop 1
	v_div_fmas_f64 v[150:151], v[150:151], v[222:223], v[228:229]
	v_div_fixup_f64 v[220:221], v[150:151], v[220:221], 1.0
	v_mul_f64 v[222:223], v[148:149], -v[220:221]
.LBB108_387:
	s_or_b64 exec, exec, s[16:17]
.LBB108_388:
	s_or_b64 exec, exec, s[0:1]
	v_cmp_ne_u32_e32 vcc, v233, v230
	s_and_saveexec_b64 s[0:1], vcc
	s_xor_b64 s[0:1], exec, s[0:1]
	s_cbranch_execz .LBB108_394
; %bb.389:
	v_cmp_eq_u32_e32 vcc, 18, v233
	s_and_saveexec_b64 s[16:17], vcc
	s_cbranch_execz .LBB108_393
; %bb.390:
	v_cmp_ne_u32_e32 vcc, 18, v230
	s_xor_b64 s[18:19], s[14:15], -1
	s_and_b64 s[22:23], s[18:19], vcc
	s_and_saveexec_b64 s[18:19], s[22:23]
	s_cbranch_execz .LBB108_392
; %bb.391:
	v_ashrrev_i32_e32 v231, 31, v230
	s_waitcnt vmcnt(0)
	v_lshl_add_u64 v[148:149], v[230:231], 2, v[146:147]
	global_load_dword v150, v[148:149], off
	global_load_dword v151, v[146:147], off offset:72
	s_waitcnt vmcnt(1)
	global_store_dword v[146:147], v150, off offset:72
	s_waitcnt vmcnt(1)
	global_store_dword v[148:149], v151, off
.LBB108_392:
	s_or_b64 exec, exec, s[18:19]
	v_mov_b32_e32 v233, v230
	v_mov_b32_e32 v224, v230
.LBB108_393:
	s_or_b64 exec, exec, s[16:17]
.LBB108_394:
	s_andn2_saveexec_b64 s[0:1], s[0:1]
	s_cbranch_execz .LBB108_396
; %bb.395:
	v_mov_b32_e32 v233, 18
	ds_write2_b64 v232, v[136:137], v[138:139] offset0:38 offset1:39
	ds_write2_b64 v232, v[132:133], v[134:135] offset0:40 offset1:41
	ds_write2_b64 v232, v[128:129], v[130:131] offset0:42 offset1:43
	ds_write2_b64 v232, v[124:125], v[126:127] offset0:44 offset1:45
	ds_write2_b64 v232, v[120:121], v[122:123] offset0:46 offset1:47
	ds_write2_b64 v232, v[116:117], v[118:119] offset0:48 offset1:49
	ds_write2_b64 v232, v[112:113], v[114:115] offset0:50 offset1:51
	ds_write2_b64 v232, v[108:109], v[110:111] offset0:52 offset1:53
	ds_write2_b64 v232, v[104:105], v[106:107] offset0:54 offset1:55
	ds_write2_b64 v232, v[100:101], v[102:103] offset0:56 offset1:57
	ds_write2_b64 v232, v[96:97], v[98:99] offset0:58 offset1:59
	ds_write2_b64 v232, v[92:93], v[94:95] offset0:60 offset1:61
	ds_write2_b64 v232, v[88:89], v[90:91] offset0:62 offset1:63
	ds_write2_b64 v232, v[84:85], v[86:87] offset0:64 offset1:65
	ds_write2_b64 v232, v[80:81], v[82:83] offset0:66 offset1:67
	ds_write2_b64 v232, v[76:77], v[78:79] offset0:68 offset1:69
	ds_write2_b64 v232, v[72:73], v[74:75] offset0:70 offset1:71
	ds_write2_b64 v232, v[68:69], v[70:71] offset0:72 offset1:73
	ds_write2_b64 v232, v[64:65], v[66:67] offset0:74 offset1:75
	ds_write2_b64 v232, v[60:61], v[62:63] offset0:76 offset1:77
	ds_write2_b64 v232, v[56:57], v[58:59] offset0:78 offset1:79
	ds_write2_b64 v232, v[52:53], v[54:55] offset0:80 offset1:81
	ds_write2_b64 v232, v[48:49], v[50:51] offset0:82 offset1:83
	ds_write2_b64 v232, v[44:45], v[46:47] offset0:84 offset1:85
	ds_write2_b64 v232, v[40:41], v[42:43] offset0:86 offset1:87
	ds_write2_b64 v232, v[36:37], v[38:39] offset0:88 offset1:89
	ds_write2_b64 v232, v[32:33], v[34:35] offset0:90 offset1:91
	ds_write2_b64 v232, v[28:29], v[30:31] offset0:92 offset1:93
	ds_write2_b64 v232, v[24:25], v[26:27] offset0:94 offset1:95
	ds_write2_b64 v232, v[20:21], v[22:23] offset0:96 offset1:97
	ds_write2_b64 v232, v[16:17], v[18:19] offset0:98 offset1:99
	ds_write2_b64 v232, v[12:13], v[14:15] offset0:100 offset1:101
	ds_write2_b64 v232, v[8:9], v[10:11] offset0:102 offset1:103
	ds_write2_b64 v232, v[4:5], v[6:7] offset0:104 offset1:105
	ds_write2_b64 v232, v[0:1], v[2:3] offset0:106 offset1:107
	ds_write2_b64 v232, v[216:217], v[218:219] offset0:108 offset1:109
.LBB108_396:
	s_or_b64 exec, exec, s[0:1]
	v_cmp_lt_i32_e32 vcc, 18, v233
	s_waitcnt lgkmcnt(0)
	s_barrier
	s_and_saveexec_b64 s[0:1], vcc
	s_cbranch_execz .LBB108_398
; %bb.397:
	ds_read2_b64 v[236:239], v232 offset0:38 offset1:39
	v_mul_f64 v[148:149], v[222:223], v[142:143]
	v_mul_f64 v[142:143], v[220:221], v[142:143]
	v_fma_f64 v[230:231], v[220:221], v[140:141], -v[148:149]
	v_fmac_f64_e32 v[142:143], v[222:223], v[140:141]
	ds_read2_b64 v[220:223], v232 offset0:40 offset1:41
	s_waitcnt lgkmcnt(1)
	v_mul_f64 v[140:141], v[238:239], v[142:143]
	v_mul_f64 v[148:149], v[236:237], v[142:143]
	v_fma_f64 v[140:141], v[236:237], v[230:231], -v[140:141]
	v_fmac_f64_e32 v[148:149], v[238:239], v[230:231]
	ds_read2_b64 v[236:239], v232 offset0:42 offset1:43
	v_add_f64 v[136:137], v[136:137], -v[140:141]
	v_add_f64 v[138:139], v[138:139], -v[148:149]
	s_waitcnt lgkmcnt(1)
	v_mul_f64 v[140:141], v[222:223], v[142:143]
	v_mul_f64 v[148:149], v[220:221], v[142:143]
	v_fma_f64 v[140:141], v[220:221], v[230:231], -v[140:141]
	v_fmac_f64_e32 v[148:149], v[222:223], v[230:231]
	ds_read2_b64 v[220:223], v232 offset0:44 offset1:45
	v_add_f64 v[132:133], v[132:133], -v[140:141]
	v_add_f64 v[134:135], v[134:135], -v[148:149]
	;; [unrolled: 8-line block ×34, first 2 shown]
	s_waitcnt lgkmcnt(1)
	v_mul_f64 v[140:141], v[238:239], v[142:143]
	v_mul_f64 v[148:149], v[236:237], v[142:143]
	v_fma_f64 v[140:141], v[236:237], v[230:231], -v[140:141]
	v_fmac_f64_e32 v[148:149], v[238:239], v[230:231]
	v_add_f64 v[0:1], v[0:1], -v[140:141]
	v_add_f64 v[2:3], v[2:3], -v[148:149]
	s_waitcnt lgkmcnt(0)
	v_mul_f64 v[140:141], v[222:223], v[142:143]
	v_mul_f64 v[148:149], v[220:221], v[142:143]
	v_fma_f64 v[140:141], v[220:221], v[230:231], -v[140:141]
	v_fmac_f64_e32 v[148:149], v[222:223], v[230:231]
	v_add_f64 v[216:217], v[216:217], -v[140:141]
	v_add_f64 v[218:219], v[218:219], -v[148:149]
	v_mov_b64_e32 v[140:141], v[230:231]
.LBB108_398:
	s_or_b64 exec, exec, s[0:1]
	v_lshl_add_u32 v148, v233, 4, v232
	s_barrier
	ds_write2_b64 v148, v[136:137], v[138:139] offset1:1
	s_waitcnt lgkmcnt(0)
	s_barrier
	ds_read2_b64 v[220:223], v232 offset0:38 offset1:39
	s_cmp_lt_i32 s20, 21
	v_mov_b32_e32 v230, 19
	s_cbranch_scc1 .LBB108_401
; %bb.399:
	v_add_u32_e32 v231, 0x140, v232
	s_mov_b32 s16, 20
	v_mov_b32_e32 v230, 19
.LBB108_400:                            ; =>This Inner Loop Header: Depth=1
	ds_read2_b64 v[236:239], v231 offset1:1
	s_waitcnt lgkmcnt(1)
	v_xor_b32_e32 v149, 0x80000000, v221
	v_xor_b32_e32 v151, 0x80000000, v223
	v_cmp_gt_f64_e32 vcc, 0, v[222:223]
	v_cmp_gt_f64_e64 s[0:1], 0, v[220:221]
	v_mov_b32_e32 v148, v220
	v_mov_b32_e32 v150, v222
	v_cndmask_b32_e64 v149, v221, v149, s[0:1]
	v_cndmask_b32_e32 v151, v223, v151, vcc
	v_add_f64 v[148:149], v[148:149], v[150:151]
	s_waitcnt lgkmcnt(0)
	v_xor_b32_e32 v151, 0x80000000, v237
	v_xor_b32_e32 v227, 0x80000000, v239
	v_cmp_gt_f64_e32 vcc, 0, v[238:239]
	v_cmp_gt_f64_e64 s[0:1], 0, v[236:237]
	v_mov_b32_e32 v150, v236
	v_mov_b32_e32 v226, v238
	v_cndmask_b32_e64 v151, v237, v151, s[0:1]
	v_cndmask_b32_e32 v227, v239, v227, vcc
	v_add_f64 v[150:151], v[150:151], v[226:227]
	v_mov_b32_e32 v228, s16
	s_add_i32 s16, s16, 1
	v_cmp_lt_f64_e32 vcc, v[148:149], v[150:151]
	v_add_u32_e32 v231, 16, v231
	s_cmp_lg_u32 s20, s16
	v_cndmask_b32_e32 v221, v221, v237, vcc
	v_cndmask_b32_e32 v220, v220, v236, vcc
	;; [unrolled: 1-line block ×5, first 2 shown]
	s_cbranch_scc1 .LBB108_400
.LBB108_401:
	s_waitcnt lgkmcnt(0)
	v_cmp_eq_f64_e32 vcc, 0, v[220:221]
	v_cmp_eq_f64_e64 s[0:1], 0, v[222:223]
	s_and_b64 s[0:1], vcc, s[0:1]
	s_and_saveexec_b64 s[16:17], s[0:1]
	s_xor_b64 s[0:1], exec, s[16:17]
; %bb.402:
	v_cmp_ne_u32_e32 vcc, 0, v234
	s_nop 1
	v_cndmask_b32_e32 v234, 20, v234, vcc
; %bb.403:
	s_andn2_saveexec_b64 s[0:1], s[0:1]
	s_cbranch_execz .LBB108_409
; %bb.404:
	v_cmp_ngt_f64_e64 s[16:17], |v[220:221]|, |v[222:223]|
	s_and_saveexec_b64 s[18:19], s[16:17]
	s_xor_b64 s[16:17], exec, s[18:19]
	s_cbranch_execz .LBB108_406
; %bb.405:
	v_div_scale_f64 v[148:149], s[18:19], v[222:223], v[222:223], v[220:221]
	v_rcp_f64_e32 v[150:151], v[148:149]
	v_div_scale_f64 v[226:227], vcc, v[220:221], v[222:223], v[220:221]
	v_fma_f64 v[228:229], -v[148:149], v[150:151], 1.0
	v_fmac_f64_e32 v[150:151], v[150:151], v[228:229]
	v_fma_f64 v[228:229], -v[148:149], v[150:151], 1.0
	v_fmac_f64_e32 v[150:151], v[150:151], v[228:229]
	v_mul_f64 v[228:229], v[226:227], v[150:151]
	v_fma_f64 v[148:149], -v[148:149], v[228:229], v[226:227]
	v_div_fmas_f64 v[148:149], v[148:149], v[150:151], v[228:229]
	v_div_fixup_f64 v[148:149], v[148:149], v[222:223], v[220:221]
	v_fmac_f64_e32 v[222:223], v[220:221], v[148:149]
	v_div_scale_f64 v[150:151], s[18:19], v[222:223], v[222:223], 1.0
	v_rcp_f64_e32 v[220:221], v[150:151]
	s_nop 0
	v_fma_f64 v[226:227], -v[150:151], v[220:221], 1.0
	v_fmac_f64_e32 v[220:221], v[220:221], v[226:227]
	v_fma_f64 v[226:227], -v[150:151], v[220:221], 1.0
	v_fmac_f64_e32 v[220:221], v[220:221], v[226:227]
	v_div_scale_f64 v[226:227], vcc, 1.0, v[222:223], 1.0
	v_mul_f64 v[228:229], v[226:227], v[220:221]
	v_fma_f64 v[150:151], -v[150:151], v[228:229], v[226:227]
	s_nop 1
	v_div_fmas_f64 v[150:151], v[150:151], v[220:221], v[228:229]
	v_div_fixup_f64 v[222:223], v[150:151], v[222:223], 1.0
	v_mul_f64 v[220:221], v[148:149], v[222:223]
	v_xor_b32_e32 v223, 0x80000000, v223
.LBB108_406:
	s_andn2_saveexec_b64 s[16:17], s[16:17]
	s_cbranch_execz .LBB108_408
; %bb.407:
	v_div_scale_f64 v[148:149], s[18:19], v[220:221], v[220:221], v[222:223]
	v_rcp_f64_e32 v[150:151], v[148:149]
	v_div_scale_f64 v[226:227], vcc, v[222:223], v[220:221], v[222:223]
	v_fma_f64 v[228:229], -v[148:149], v[150:151], 1.0
	v_fmac_f64_e32 v[150:151], v[150:151], v[228:229]
	v_fma_f64 v[228:229], -v[148:149], v[150:151], 1.0
	v_fmac_f64_e32 v[150:151], v[150:151], v[228:229]
	v_mul_f64 v[228:229], v[226:227], v[150:151]
	v_fma_f64 v[148:149], -v[148:149], v[228:229], v[226:227]
	v_div_fmas_f64 v[148:149], v[148:149], v[150:151], v[228:229]
	v_div_fixup_f64 v[148:149], v[148:149], v[220:221], v[222:223]
	v_fmac_f64_e32 v[220:221], v[222:223], v[148:149]
	v_div_scale_f64 v[150:151], s[18:19], v[220:221], v[220:221], 1.0
	v_rcp_f64_e32 v[222:223], v[150:151]
	s_nop 0
	v_fma_f64 v[226:227], -v[150:151], v[222:223], 1.0
	v_fmac_f64_e32 v[222:223], v[222:223], v[226:227]
	v_fma_f64 v[226:227], -v[150:151], v[222:223], 1.0
	v_fmac_f64_e32 v[222:223], v[222:223], v[226:227]
	v_div_scale_f64 v[226:227], vcc, 1.0, v[220:221], 1.0
	v_mul_f64 v[228:229], v[226:227], v[222:223]
	v_fma_f64 v[150:151], -v[150:151], v[228:229], v[226:227]
	s_nop 1
	v_div_fmas_f64 v[150:151], v[150:151], v[222:223], v[228:229]
	v_div_fixup_f64 v[220:221], v[150:151], v[220:221], 1.0
	v_mul_f64 v[222:223], v[148:149], -v[220:221]
.LBB108_408:
	s_or_b64 exec, exec, s[16:17]
.LBB108_409:
	s_or_b64 exec, exec, s[0:1]
	v_cmp_ne_u32_e32 vcc, v233, v230
	s_and_saveexec_b64 s[0:1], vcc
	s_xor_b64 s[0:1], exec, s[0:1]
	s_cbranch_execz .LBB108_415
; %bb.410:
	v_cmp_eq_u32_e32 vcc, 19, v233
	s_and_saveexec_b64 s[16:17], vcc
	s_cbranch_execz .LBB108_414
; %bb.411:
	v_cmp_ne_u32_e32 vcc, 19, v230
	s_xor_b64 s[18:19], s[14:15], -1
	s_and_b64 s[22:23], s[18:19], vcc
	s_and_saveexec_b64 s[18:19], s[22:23]
	s_cbranch_execz .LBB108_413
; %bb.412:
	v_ashrrev_i32_e32 v231, 31, v230
	s_waitcnt vmcnt(0)
	v_lshl_add_u64 v[148:149], v[230:231], 2, v[146:147]
	global_load_dword v150, v[148:149], off
	global_load_dword v151, v[146:147], off offset:76
	s_waitcnt vmcnt(1)
	global_store_dword v[146:147], v150, off offset:76
	s_waitcnt vmcnt(1)
	global_store_dword v[148:149], v151, off
.LBB108_413:
	s_or_b64 exec, exec, s[18:19]
	v_mov_b32_e32 v233, v230
	v_mov_b32_e32 v224, v230
.LBB108_414:
	s_or_b64 exec, exec, s[16:17]
.LBB108_415:
	s_andn2_saveexec_b64 s[0:1], s[0:1]
	s_cbranch_execz .LBB108_417
; %bb.416:
	v_mov_b32_e32 v233, 19
	ds_write2_b64 v232, v[132:133], v[134:135] offset0:40 offset1:41
	ds_write2_b64 v232, v[128:129], v[130:131] offset0:42 offset1:43
	;; [unrolled: 1-line block ×35, first 2 shown]
.LBB108_417:
	s_or_b64 exec, exec, s[0:1]
	v_cmp_lt_i32_e32 vcc, 19, v233
	s_waitcnt lgkmcnt(0)
	s_barrier
	s_and_saveexec_b64 s[0:1], vcc
	s_cbranch_execz .LBB108_419
; %bb.418:
	ds_read2_b64 v[236:239], v232 offset0:40 offset1:41
	v_mul_f64 v[148:149], v[222:223], v[138:139]
	v_mul_f64 v[138:139], v[220:221], v[138:139]
	v_fma_f64 v[230:231], v[220:221], v[136:137], -v[148:149]
	v_fmac_f64_e32 v[138:139], v[222:223], v[136:137]
	ds_read2_b64 v[220:223], v232 offset0:42 offset1:43
	s_waitcnt lgkmcnt(1)
	v_mul_f64 v[136:137], v[238:239], v[138:139]
	v_mul_f64 v[148:149], v[236:237], v[138:139]
	v_fma_f64 v[136:137], v[236:237], v[230:231], -v[136:137]
	v_fmac_f64_e32 v[148:149], v[238:239], v[230:231]
	ds_read2_b64 v[236:239], v232 offset0:44 offset1:45
	v_add_f64 v[132:133], v[132:133], -v[136:137]
	v_add_f64 v[134:135], v[134:135], -v[148:149]
	s_waitcnt lgkmcnt(1)
	v_mul_f64 v[136:137], v[222:223], v[138:139]
	v_mul_f64 v[148:149], v[220:221], v[138:139]
	v_fma_f64 v[136:137], v[220:221], v[230:231], -v[136:137]
	v_fmac_f64_e32 v[148:149], v[222:223], v[230:231]
	ds_read2_b64 v[220:223], v232 offset0:46 offset1:47
	v_add_f64 v[128:129], v[128:129], -v[136:137]
	v_add_f64 v[130:131], v[130:131], -v[148:149]
	;; [unrolled: 8-line block ×33, first 2 shown]
	s_waitcnt lgkmcnt(1)
	v_mul_f64 v[136:137], v[222:223], v[138:139]
	v_mul_f64 v[148:149], v[220:221], v[138:139]
	v_fma_f64 v[136:137], v[220:221], v[230:231], -v[136:137]
	v_fmac_f64_e32 v[148:149], v[222:223], v[230:231]
	v_add_f64 v[0:1], v[0:1], -v[136:137]
	v_add_f64 v[2:3], v[2:3], -v[148:149]
	s_waitcnt lgkmcnt(0)
	v_mul_f64 v[136:137], v[238:239], v[138:139]
	v_mul_f64 v[148:149], v[236:237], v[138:139]
	v_fma_f64 v[136:137], v[236:237], v[230:231], -v[136:137]
	v_fmac_f64_e32 v[148:149], v[238:239], v[230:231]
	v_add_f64 v[216:217], v[216:217], -v[136:137]
	v_add_f64 v[218:219], v[218:219], -v[148:149]
	v_mov_b64_e32 v[136:137], v[230:231]
.LBB108_419:
	s_or_b64 exec, exec, s[0:1]
	v_lshl_add_u32 v148, v233, 4, v232
	s_barrier
	ds_write2_b64 v148, v[132:133], v[134:135] offset1:1
	s_waitcnt lgkmcnt(0)
	s_barrier
	ds_read2_b64 v[220:223], v232 offset0:40 offset1:41
	s_cmp_lt_i32 s20, 22
	v_mov_b32_e32 v230, 20
	s_cbranch_scc1 .LBB108_422
; %bb.420:
	v_add_u32_e32 v231, 0x150, v232
	s_mov_b32 s16, 21
	v_mov_b32_e32 v230, 20
.LBB108_421:                            ; =>This Inner Loop Header: Depth=1
	ds_read2_b64 v[236:239], v231 offset1:1
	s_waitcnt lgkmcnt(1)
	v_xor_b32_e32 v149, 0x80000000, v221
	v_xor_b32_e32 v151, 0x80000000, v223
	v_cmp_gt_f64_e32 vcc, 0, v[222:223]
	v_cmp_gt_f64_e64 s[0:1], 0, v[220:221]
	v_mov_b32_e32 v148, v220
	v_mov_b32_e32 v150, v222
	v_cndmask_b32_e64 v149, v221, v149, s[0:1]
	v_cndmask_b32_e32 v151, v223, v151, vcc
	v_add_f64 v[148:149], v[148:149], v[150:151]
	s_waitcnt lgkmcnt(0)
	v_xor_b32_e32 v151, 0x80000000, v237
	v_xor_b32_e32 v227, 0x80000000, v239
	v_cmp_gt_f64_e32 vcc, 0, v[238:239]
	v_cmp_gt_f64_e64 s[0:1], 0, v[236:237]
	v_mov_b32_e32 v150, v236
	v_mov_b32_e32 v226, v238
	v_cndmask_b32_e64 v151, v237, v151, s[0:1]
	v_cndmask_b32_e32 v227, v239, v227, vcc
	v_add_f64 v[150:151], v[150:151], v[226:227]
	v_mov_b32_e32 v228, s16
	s_add_i32 s16, s16, 1
	v_cmp_lt_f64_e32 vcc, v[148:149], v[150:151]
	v_add_u32_e32 v231, 16, v231
	s_cmp_lg_u32 s20, s16
	v_cndmask_b32_e32 v221, v221, v237, vcc
	v_cndmask_b32_e32 v220, v220, v236, vcc
	;; [unrolled: 1-line block ×5, first 2 shown]
	s_cbranch_scc1 .LBB108_421
.LBB108_422:
	s_waitcnt lgkmcnt(0)
	v_cmp_eq_f64_e32 vcc, 0, v[220:221]
	v_cmp_eq_f64_e64 s[0:1], 0, v[222:223]
	s_and_b64 s[0:1], vcc, s[0:1]
	s_and_saveexec_b64 s[16:17], s[0:1]
	s_xor_b64 s[0:1], exec, s[16:17]
; %bb.423:
	v_cmp_ne_u32_e32 vcc, 0, v234
	s_nop 1
	v_cndmask_b32_e32 v234, 21, v234, vcc
; %bb.424:
	s_andn2_saveexec_b64 s[0:1], s[0:1]
	s_cbranch_execz .LBB108_430
; %bb.425:
	v_cmp_ngt_f64_e64 s[16:17], |v[220:221]|, |v[222:223]|
	s_and_saveexec_b64 s[18:19], s[16:17]
	s_xor_b64 s[16:17], exec, s[18:19]
	s_cbranch_execz .LBB108_427
; %bb.426:
	v_div_scale_f64 v[148:149], s[18:19], v[222:223], v[222:223], v[220:221]
	v_rcp_f64_e32 v[150:151], v[148:149]
	v_div_scale_f64 v[226:227], vcc, v[220:221], v[222:223], v[220:221]
	v_fma_f64 v[228:229], -v[148:149], v[150:151], 1.0
	v_fmac_f64_e32 v[150:151], v[150:151], v[228:229]
	v_fma_f64 v[228:229], -v[148:149], v[150:151], 1.0
	v_fmac_f64_e32 v[150:151], v[150:151], v[228:229]
	v_mul_f64 v[228:229], v[226:227], v[150:151]
	v_fma_f64 v[148:149], -v[148:149], v[228:229], v[226:227]
	v_div_fmas_f64 v[148:149], v[148:149], v[150:151], v[228:229]
	v_div_fixup_f64 v[148:149], v[148:149], v[222:223], v[220:221]
	v_fmac_f64_e32 v[222:223], v[220:221], v[148:149]
	v_div_scale_f64 v[150:151], s[18:19], v[222:223], v[222:223], 1.0
	v_rcp_f64_e32 v[220:221], v[150:151]
	s_nop 0
	v_fma_f64 v[226:227], -v[150:151], v[220:221], 1.0
	v_fmac_f64_e32 v[220:221], v[220:221], v[226:227]
	v_fma_f64 v[226:227], -v[150:151], v[220:221], 1.0
	v_fmac_f64_e32 v[220:221], v[220:221], v[226:227]
	v_div_scale_f64 v[226:227], vcc, 1.0, v[222:223], 1.0
	v_mul_f64 v[228:229], v[226:227], v[220:221]
	v_fma_f64 v[150:151], -v[150:151], v[228:229], v[226:227]
	s_nop 1
	v_div_fmas_f64 v[150:151], v[150:151], v[220:221], v[228:229]
	v_div_fixup_f64 v[222:223], v[150:151], v[222:223], 1.0
	v_mul_f64 v[220:221], v[148:149], v[222:223]
	v_xor_b32_e32 v223, 0x80000000, v223
.LBB108_427:
	s_andn2_saveexec_b64 s[16:17], s[16:17]
	s_cbranch_execz .LBB108_429
; %bb.428:
	v_div_scale_f64 v[148:149], s[18:19], v[220:221], v[220:221], v[222:223]
	v_rcp_f64_e32 v[150:151], v[148:149]
	v_div_scale_f64 v[226:227], vcc, v[222:223], v[220:221], v[222:223]
	v_fma_f64 v[228:229], -v[148:149], v[150:151], 1.0
	v_fmac_f64_e32 v[150:151], v[150:151], v[228:229]
	v_fma_f64 v[228:229], -v[148:149], v[150:151], 1.0
	v_fmac_f64_e32 v[150:151], v[150:151], v[228:229]
	v_mul_f64 v[228:229], v[226:227], v[150:151]
	v_fma_f64 v[148:149], -v[148:149], v[228:229], v[226:227]
	v_div_fmas_f64 v[148:149], v[148:149], v[150:151], v[228:229]
	v_div_fixup_f64 v[148:149], v[148:149], v[220:221], v[222:223]
	v_fmac_f64_e32 v[220:221], v[222:223], v[148:149]
	v_div_scale_f64 v[150:151], s[18:19], v[220:221], v[220:221], 1.0
	v_rcp_f64_e32 v[222:223], v[150:151]
	s_nop 0
	v_fma_f64 v[226:227], -v[150:151], v[222:223], 1.0
	v_fmac_f64_e32 v[222:223], v[222:223], v[226:227]
	v_fma_f64 v[226:227], -v[150:151], v[222:223], 1.0
	v_fmac_f64_e32 v[222:223], v[222:223], v[226:227]
	v_div_scale_f64 v[226:227], vcc, 1.0, v[220:221], 1.0
	v_mul_f64 v[228:229], v[226:227], v[222:223]
	v_fma_f64 v[150:151], -v[150:151], v[228:229], v[226:227]
	s_nop 1
	v_div_fmas_f64 v[150:151], v[150:151], v[222:223], v[228:229]
	v_div_fixup_f64 v[220:221], v[150:151], v[220:221], 1.0
	v_mul_f64 v[222:223], v[148:149], -v[220:221]
.LBB108_429:
	s_or_b64 exec, exec, s[16:17]
.LBB108_430:
	s_or_b64 exec, exec, s[0:1]
	v_cmp_ne_u32_e32 vcc, v233, v230
	s_and_saveexec_b64 s[0:1], vcc
	s_xor_b64 s[0:1], exec, s[0:1]
	s_cbranch_execz .LBB108_436
; %bb.431:
	v_cmp_eq_u32_e32 vcc, 20, v233
	s_and_saveexec_b64 s[16:17], vcc
	s_cbranch_execz .LBB108_435
; %bb.432:
	v_cmp_ne_u32_e32 vcc, 20, v230
	s_xor_b64 s[18:19], s[14:15], -1
	s_and_b64 s[22:23], s[18:19], vcc
	s_and_saveexec_b64 s[18:19], s[22:23]
	s_cbranch_execz .LBB108_434
; %bb.433:
	v_ashrrev_i32_e32 v231, 31, v230
	s_waitcnt vmcnt(0)
	v_lshl_add_u64 v[148:149], v[230:231], 2, v[146:147]
	global_load_dword v150, v[148:149], off
	global_load_dword v151, v[146:147], off offset:80
	s_waitcnt vmcnt(1)
	global_store_dword v[146:147], v150, off offset:80
	s_waitcnt vmcnt(1)
	global_store_dword v[148:149], v151, off
.LBB108_434:
	s_or_b64 exec, exec, s[18:19]
	v_mov_b32_e32 v233, v230
	v_mov_b32_e32 v224, v230
.LBB108_435:
	s_or_b64 exec, exec, s[16:17]
.LBB108_436:
	s_andn2_saveexec_b64 s[0:1], s[0:1]
	s_cbranch_execz .LBB108_438
; %bb.437:
	v_mov_b32_e32 v233, 20
	ds_write2_b64 v232, v[128:129], v[130:131] offset0:42 offset1:43
	ds_write2_b64 v232, v[124:125], v[126:127] offset0:44 offset1:45
	;; [unrolled: 1-line block ×34, first 2 shown]
.LBB108_438:
	s_or_b64 exec, exec, s[0:1]
	v_cmp_lt_i32_e32 vcc, 20, v233
	s_waitcnt lgkmcnt(0)
	s_barrier
	s_and_saveexec_b64 s[0:1], vcc
	s_cbranch_execz .LBB108_440
; %bb.439:
	ds_read2_b64 v[236:239], v232 offset0:42 offset1:43
	v_mul_f64 v[148:149], v[222:223], v[134:135]
	v_mul_f64 v[134:135], v[220:221], v[134:135]
	v_fma_f64 v[230:231], v[220:221], v[132:133], -v[148:149]
	v_fmac_f64_e32 v[134:135], v[222:223], v[132:133]
	ds_read2_b64 v[220:223], v232 offset0:44 offset1:45
	s_waitcnt lgkmcnt(1)
	v_mul_f64 v[132:133], v[238:239], v[134:135]
	v_mul_f64 v[148:149], v[236:237], v[134:135]
	v_fma_f64 v[132:133], v[236:237], v[230:231], -v[132:133]
	v_fmac_f64_e32 v[148:149], v[238:239], v[230:231]
	ds_read2_b64 v[236:239], v232 offset0:46 offset1:47
	v_add_f64 v[128:129], v[128:129], -v[132:133]
	v_add_f64 v[130:131], v[130:131], -v[148:149]
	s_waitcnt lgkmcnt(1)
	v_mul_f64 v[132:133], v[222:223], v[134:135]
	v_mul_f64 v[148:149], v[220:221], v[134:135]
	v_fma_f64 v[132:133], v[220:221], v[230:231], -v[132:133]
	v_fmac_f64_e32 v[148:149], v[222:223], v[230:231]
	ds_read2_b64 v[220:223], v232 offset0:48 offset1:49
	v_add_f64 v[124:125], v[124:125], -v[132:133]
	v_add_f64 v[126:127], v[126:127], -v[148:149]
	s_waitcnt lgkmcnt(1)
	v_mul_f64 v[132:133], v[238:239], v[134:135]
	v_mul_f64 v[148:149], v[236:237], v[134:135]
	v_fma_f64 v[132:133], v[236:237], v[230:231], -v[132:133]
	v_fmac_f64_e32 v[148:149], v[238:239], v[230:231]
	ds_read2_b64 v[236:239], v232 offset0:50 offset1:51
	v_add_f64 v[120:121], v[120:121], -v[132:133]
	v_add_f64 v[122:123], v[122:123], -v[148:149]
	s_waitcnt lgkmcnt(1)
	v_mul_f64 v[132:133], v[222:223], v[134:135]
	v_mul_f64 v[148:149], v[220:221], v[134:135]
	v_fma_f64 v[132:133], v[220:221], v[230:231], -v[132:133]
	v_fmac_f64_e32 v[148:149], v[222:223], v[230:231]
	ds_read2_b64 v[220:223], v232 offset0:52 offset1:53
	v_add_f64 v[116:117], v[116:117], -v[132:133]
	v_add_f64 v[118:119], v[118:119], -v[148:149]
	s_waitcnt lgkmcnt(1)
	v_mul_f64 v[132:133], v[238:239], v[134:135]
	v_mul_f64 v[148:149], v[236:237], v[134:135]
	v_fma_f64 v[132:133], v[236:237], v[230:231], -v[132:133]
	v_fmac_f64_e32 v[148:149], v[238:239], v[230:231]
	ds_read2_b64 v[236:239], v232 offset0:54 offset1:55
	v_add_f64 v[112:113], v[112:113], -v[132:133]
	v_add_f64 v[114:115], v[114:115], -v[148:149]
	s_waitcnt lgkmcnt(1)
	v_mul_f64 v[132:133], v[222:223], v[134:135]
	v_mul_f64 v[148:149], v[220:221], v[134:135]
	v_fma_f64 v[132:133], v[220:221], v[230:231], -v[132:133]
	v_fmac_f64_e32 v[148:149], v[222:223], v[230:231]
	ds_read2_b64 v[220:223], v232 offset0:56 offset1:57
	v_add_f64 v[108:109], v[108:109], -v[132:133]
	v_add_f64 v[110:111], v[110:111], -v[148:149]
	s_waitcnt lgkmcnt(1)
	v_mul_f64 v[132:133], v[238:239], v[134:135]
	v_mul_f64 v[148:149], v[236:237], v[134:135]
	v_fma_f64 v[132:133], v[236:237], v[230:231], -v[132:133]
	v_fmac_f64_e32 v[148:149], v[238:239], v[230:231]
	ds_read2_b64 v[236:239], v232 offset0:58 offset1:59
	v_add_f64 v[104:105], v[104:105], -v[132:133]
	v_add_f64 v[106:107], v[106:107], -v[148:149]
	s_waitcnt lgkmcnt(1)
	v_mul_f64 v[132:133], v[222:223], v[134:135]
	v_mul_f64 v[148:149], v[220:221], v[134:135]
	v_fma_f64 v[132:133], v[220:221], v[230:231], -v[132:133]
	v_fmac_f64_e32 v[148:149], v[222:223], v[230:231]
	ds_read2_b64 v[220:223], v232 offset0:60 offset1:61
	v_add_f64 v[100:101], v[100:101], -v[132:133]
	v_add_f64 v[102:103], v[102:103], -v[148:149]
	s_waitcnt lgkmcnt(1)
	v_mul_f64 v[132:133], v[238:239], v[134:135]
	v_mul_f64 v[148:149], v[236:237], v[134:135]
	v_fma_f64 v[132:133], v[236:237], v[230:231], -v[132:133]
	v_fmac_f64_e32 v[148:149], v[238:239], v[230:231]
	ds_read2_b64 v[236:239], v232 offset0:62 offset1:63
	v_add_f64 v[96:97], v[96:97], -v[132:133]
	v_add_f64 v[98:99], v[98:99], -v[148:149]
	s_waitcnt lgkmcnt(1)
	v_mul_f64 v[132:133], v[222:223], v[134:135]
	v_mul_f64 v[148:149], v[220:221], v[134:135]
	v_fma_f64 v[132:133], v[220:221], v[230:231], -v[132:133]
	v_fmac_f64_e32 v[148:149], v[222:223], v[230:231]
	ds_read2_b64 v[220:223], v232 offset0:64 offset1:65
	v_add_f64 v[92:93], v[92:93], -v[132:133]
	v_add_f64 v[94:95], v[94:95], -v[148:149]
	s_waitcnt lgkmcnt(1)
	v_mul_f64 v[132:133], v[238:239], v[134:135]
	v_mul_f64 v[148:149], v[236:237], v[134:135]
	v_fma_f64 v[132:133], v[236:237], v[230:231], -v[132:133]
	v_fmac_f64_e32 v[148:149], v[238:239], v[230:231]
	ds_read2_b64 v[236:239], v232 offset0:66 offset1:67
	v_add_f64 v[88:89], v[88:89], -v[132:133]
	v_add_f64 v[90:91], v[90:91], -v[148:149]
	s_waitcnt lgkmcnt(1)
	v_mul_f64 v[132:133], v[222:223], v[134:135]
	v_mul_f64 v[148:149], v[220:221], v[134:135]
	v_fma_f64 v[132:133], v[220:221], v[230:231], -v[132:133]
	v_fmac_f64_e32 v[148:149], v[222:223], v[230:231]
	ds_read2_b64 v[220:223], v232 offset0:68 offset1:69
	v_add_f64 v[84:85], v[84:85], -v[132:133]
	v_add_f64 v[86:87], v[86:87], -v[148:149]
	s_waitcnt lgkmcnt(1)
	v_mul_f64 v[132:133], v[238:239], v[134:135]
	v_mul_f64 v[148:149], v[236:237], v[134:135]
	v_fma_f64 v[132:133], v[236:237], v[230:231], -v[132:133]
	v_fmac_f64_e32 v[148:149], v[238:239], v[230:231]
	ds_read2_b64 v[236:239], v232 offset0:70 offset1:71
	v_add_f64 v[80:81], v[80:81], -v[132:133]
	v_add_f64 v[82:83], v[82:83], -v[148:149]
	s_waitcnt lgkmcnt(1)
	v_mul_f64 v[132:133], v[222:223], v[134:135]
	v_mul_f64 v[148:149], v[220:221], v[134:135]
	v_fma_f64 v[132:133], v[220:221], v[230:231], -v[132:133]
	v_fmac_f64_e32 v[148:149], v[222:223], v[230:231]
	ds_read2_b64 v[220:223], v232 offset0:72 offset1:73
	v_add_f64 v[76:77], v[76:77], -v[132:133]
	v_add_f64 v[78:79], v[78:79], -v[148:149]
	s_waitcnt lgkmcnt(1)
	v_mul_f64 v[132:133], v[238:239], v[134:135]
	v_mul_f64 v[148:149], v[236:237], v[134:135]
	v_fma_f64 v[132:133], v[236:237], v[230:231], -v[132:133]
	v_fmac_f64_e32 v[148:149], v[238:239], v[230:231]
	ds_read2_b64 v[236:239], v232 offset0:74 offset1:75
	v_add_f64 v[72:73], v[72:73], -v[132:133]
	v_add_f64 v[74:75], v[74:75], -v[148:149]
	s_waitcnt lgkmcnt(1)
	v_mul_f64 v[132:133], v[222:223], v[134:135]
	v_mul_f64 v[148:149], v[220:221], v[134:135]
	v_fma_f64 v[132:133], v[220:221], v[230:231], -v[132:133]
	v_fmac_f64_e32 v[148:149], v[222:223], v[230:231]
	ds_read2_b64 v[220:223], v232 offset0:76 offset1:77
	v_add_f64 v[68:69], v[68:69], -v[132:133]
	v_add_f64 v[70:71], v[70:71], -v[148:149]
	s_waitcnt lgkmcnt(1)
	v_mul_f64 v[132:133], v[238:239], v[134:135]
	v_mul_f64 v[148:149], v[236:237], v[134:135]
	v_fma_f64 v[132:133], v[236:237], v[230:231], -v[132:133]
	v_fmac_f64_e32 v[148:149], v[238:239], v[230:231]
	ds_read2_b64 v[236:239], v232 offset0:78 offset1:79
	v_add_f64 v[64:65], v[64:65], -v[132:133]
	v_add_f64 v[66:67], v[66:67], -v[148:149]
	s_waitcnt lgkmcnt(1)
	v_mul_f64 v[132:133], v[222:223], v[134:135]
	v_mul_f64 v[148:149], v[220:221], v[134:135]
	v_fma_f64 v[132:133], v[220:221], v[230:231], -v[132:133]
	v_fmac_f64_e32 v[148:149], v[222:223], v[230:231]
	ds_read2_b64 v[220:223], v232 offset0:80 offset1:81
	v_add_f64 v[60:61], v[60:61], -v[132:133]
	v_add_f64 v[62:63], v[62:63], -v[148:149]
	s_waitcnt lgkmcnt(1)
	v_mul_f64 v[132:133], v[238:239], v[134:135]
	v_mul_f64 v[148:149], v[236:237], v[134:135]
	v_fma_f64 v[132:133], v[236:237], v[230:231], -v[132:133]
	v_fmac_f64_e32 v[148:149], v[238:239], v[230:231]
	ds_read2_b64 v[236:239], v232 offset0:82 offset1:83
	v_add_f64 v[56:57], v[56:57], -v[132:133]
	v_add_f64 v[58:59], v[58:59], -v[148:149]
	s_waitcnt lgkmcnt(1)
	v_mul_f64 v[132:133], v[222:223], v[134:135]
	v_mul_f64 v[148:149], v[220:221], v[134:135]
	v_fma_f64 v[132:133], v[220:221], v[230:231], -v[132:133]
	v_fmac_f64_e32 v[148:149], v[222:223], v[230:231]
	ds_read2_b64 v[220:223], v232 offset0:84 offset1:85
	v_add_f64 v[52:53], v[52:53], -v[132:133]
	v_add_f64 v[54:55], v[54:55], -v[148:149]
	s_waitcnt lgkmcnt(1)
	v_mul_f64 v[132:133], v[238:239], v[134:135]
	v_mul_f64 v[148:149], v[236:237], v[134:135]
	v_fma_f64 v[132:133], v[236:237], v[230:231], -v[132:133]
	v_fmac_f64_e32 v[148:149], v[238:239], v[230:231]
	ds_read2_b64 v[236:239], v232 offset0:86 offset1:87
	v_add_f64 v[48:49], v[48:49], -v[132:133]
	v_add_f64 v[50:51], v[50:51], -v[148:149]
	s_waitcnt lgkmcnt(1)
	v_mul_f64 v[132:133], v[222:223], v[134:135]
	v_mul_f64 v[148:149], v[220:221], v[134:135]
	v_fma_f64 v[132:133], v[220:221], v[230:231], -v[132:133]
	v_fmac_f64_e32 v[148:149], v[222:223], v[230:231]
	ds_read2_b64 v[220:223], v232 offset0:88 offset1:89
	v_add_f64 v[44:45], v[44:45], -v[132:133]
	v_add_f64 v[46:47], v[46:47], -v[148:149]
	s_waitcnt lgkmcnt(1)
	v_mul_f64 v[132:133], v[238:239], v[134:135]
	v_mul_f64 v[148:149], v[236:237], v[134:135]
	v_fma_f64 v[132:133], v[236:237], v[230:231], -v[132:133]
	v_fmac_f64_e32 v[148:149], v[238:239], v[230:231]
	ds_read2_b64 v[236:239], v232 offset0:90 offset1:91
	v_add_f64 v[40:41], v[40:41], -v[132:133]
	v_add_f64 v[42:43], v[42:43], -v[148:149]
	s_waitcnt lgkmcnt(1)
	v_mul_f64 v[132:133], v[222:223], v[134:135]
	v_mul_f64 v[148:149], v[220:221], v[134:135]
	v_fma_f64 v[132:133], v[220:221], v[230:231], -v[132:133]
	v_fmac_f64_e32 v[148:149], v[222:223], v[230:231]
	ds_read2_b64 v[220:223], v232 offset0:92 offset1:93
	v_add_f64 v[36:37], v[36:37], -v[132:133]
	v_add_f64 v[38:39], v[38:39], -v[148:149]
	s_waitcnt lgkmcnt(1)
	v_mul_f64 v[132:133], v[238:239], v[134:135]
	v_mul_f64 v[148:149], v[236:237], v[134:135]
	v_fma_f64 v[132:133], v[236:237], v[230:231], -v[132:133]
	v_fmac_f64_e32 v[148:149], v[238:239], v[230:231]
	ds_read2_b64 v[236:239], v232 offset0:94 offset1:95
	v_add_f64 v[32:33], v[32:33], -v[132:133]
	v_add_f64 v[34:35], v[34:35], -v[148:149]
	s_waitcnt lgkmcnt(1)
	v_mul_f64 v[132:133], v[222:223], v[134:135]
	v_mul_f64 v[148:149], v[220:221], v[134:135]
	v_fma_f64 v[132:133], v[220:221], v[230:231], -v[132:133]
	v_fmac_f64_e32 v[148:149], v[222:223], v[230:231]
	ds_read2_b64 v[220:223], v232 offset0:96 offset1:97
	v_add_f64 v[28:29], v[28:29], -v[132:133]
	v_add_f64 v[30:31], v[30:31], -v[148:149]
	s_waitcnt lgkmcnt(1)
	v_mul_f64 v[132:133], v[238:239], v[134:135]
	v_mul_f64 v[148:149], v[236:237], v[134:135]
	v_fma_f64 v[132:133], v[236:237], v[230:231], -v[132:133]
	v_fmac_f64_e32 v[148:149], v[238:239], v[230:231]
	ds_read2_b64 v[236:239], v232 offset0:98 offset1:99
	v_add_f64 v[24:25], v[24:25], -v[132:133]
	v_add_f64 v[26:27], v[26:27], -v[148:149]
	s_waitcnt lgkmcnt(1)
	v_mul_f64 v[132:133], v[222:223], v[134:135]
	v_mul_f64 v[148:149], v[220:221], v[134:135]
	v_fma_f64 v[132:133], v[220:221], v[230:231], -v[132:133]
	v_fmac_f64_e32 v[148:149], v[222:223], v[230:231]
	ds_read2_b64 v[220:223], v232 offset0:100 offset1:101
	v_add_f64 v[20:21], v[20:21], -v[132:133]
	v_add_f64 v[22:23], v[22:23], -v[148:149]
	s_waitcnt lgkmcnt(1)
	v_mul_f64 v[132:133], v[238:239], v[134:135]
	v_mul_f64 v[148:149], v[236:237], v[134:135]
	v_fma_f64 v[132:133], v[236:237], v[230:231], -v[132:133]
	v_fmac_f64_e32 v[148:149], v[238:239], v[230:231]
	ds_read2_b64 v[236:239], v232 offset0:102 offset1:103
	v_add_f64 v[16:17], v[16:17], -v[132:133]
	v_add_f64 v[18:19], v[18:19], -v[148:149]
	s_waitcnt lgkmcnt(1)
	v_mul_f64 v[132:133], v[222:223], v[134:135]
	v_mul_f64 v[148:149], v[220:221], v[134:135]
	v_fma_f64 v[132:133], v[220:221], v[230:231], -v[132:133]
	v_fmac_f64_e32 v[148:149], v[222:223], v[230:231]
	ds_read2_b64 v[220:223], v232 offset0:104 offset1:105
	v_add_f64 v[12:13], v[12:13], -v[132:133]
	v_add_f64 v[14:15], v[14:15], -v[148:149]
	s_waitcnt lgkmcnt(1)
	v_mul_f64 v[132:133], v[238:239], v[134:135]
	v_mul_f64 v[148:149], v[236:237], v[134:135]
	v_fma_f64 v[132:133], v[236:237], v[230:231], -v[132:133]
	v_fmac_f64_e32 v[148:149], v[238:239], v[230:231]
	ds_read2_b64 v[236:239], v232 offset0:106 offset1:107
	v_add_f64 v[8:9], v[8:9], -v[132:133]
	v_add_f64 v[10:11], v[10:11], -v[148:149]
	s_waitcnt lgkmcnt(1)
	v_mul_f64 v[132:133], v[222:223], v[134:135]
	v_mul_f64 v[148:149], v[220:221], v[134:135]
	v_fma_f64 v[132:133], v[220:221], v[230:231], -v[132:133]
	v_fmac_f64_e32 v[148:149], v[222:223], v[230:231]
	ds_read2_b64 v[220:223], v232 offset0:108 offset1:109
	v_add_f64 v[4:5], v[4:5], -v[132:133]
	v_add_f64 v[6:7], v[6:7], -v[148:149]
	s_waitcnt lgkmcnt(1)
	v_mul_f64 v[132:133], v[238:239], v[134:135]
	v_mul_f64 v[148:149], v[236:237], v[134:135]
	v_fma_f64 v[132:133], v[236:237], v[230:231], -v[132:133]
	v_fmac_f64_e32 v[148:149], v[238:239], v[230:231]
	v_add_f64 v[0:1], v[0:1], -v[132:133]
	v_add_f64 v[2:3], v[2:3], -v[148:149]
	s_waitcnt lgkmcnt(0)
	v_mul_f64 v[132:133], v[222:223], v[134:135]
	v_mul_f64 v[148:149], v[220:221], v[134:135]
	v_fma_f64 v[132:133], v[220:221], v[230:231], -v[132:133]
	v_fmac_f64_e32 v[148:149], v[222:223], v[230:231]
	v_add_f64 v[216:217], v[216:217], -v[132:133]
	v_add_f64 v[218:219], v[218:219], -v[148:149]
	v_mov_b64_e32 v[132:133], v[230:231]
.LBB108_440:
	s_or_b64 exec, exec, s[0:1]
	v_lshl_add_u32 v148, v233, 4, v232
	s_barrier
	ds_write2_b64 v148, v[128:129], v[130:131] offset1:1
	s_waitcnt lgkmcnt(0)
	s_barrier
	ds_read2_b64 v[220:223], v232 offset0:42 offset1:43
	s_cmp_lt_i32 s20, 23
	v_mov_b32_e32 v230, 21
	s_cbranch_scc1 .LBB108_443
; %bb.441:
	v_add_u32_e32 v231, 0x160, v232
	s_mov_b32 s16, 22
	v_mov_b32_e32 v230, 21
.LBB108_442:                            ; =>This Inner Loop Header: Depth=1
	ds_read2_b64 v[236:239], v231 offset1:1
	s_waitcnt lgkmcnt(1)
	v_xor_b32_e32 v149, 0x80000000, v221
	v_xor_b32_e32 v151, 0x80000000, v223
	v_cmp_gt_f64_e32 vcc, 0, v[222:223]
	v_cmp_gt_f64_e64 s[0:1], 0, v[220:221]
	v_mov_b32_e32 v148, v220
	v_mov_b32_e32 v150, v222
	v_cndmask_b32_e64 v149, v221, v149, s[0:1]
	v_cndmask_b32_e32 v151, v223, v151, vcc
	v_add_f64 v[148:149], v[148:149], v[150:151]
	s_waitcnt lgkmcnt(0)
	v_xor_b32_e32 v151, 0x80000000, v237
	v_xor_b32_e32 v227, 0x80000000, v239
	v_cmp_gt_f64_e32 vcc, 0, v[238:239]
	v_cmp_gt_f64_e64 s[0:1], 0, v[236:237]
	v_mov_b32_e32 v150, v236
	v_mov_b32_e32 v226, v238
	v_cndmask_b32_e64 v151, v237, v151, s[0:1]
	v_cndmask_b32_e32 v227, v239, v227, vcc
	v_add_f64 v[150:151], v[150:151], v[226:227]
	v_mov_b32_e32 v228, s16
	s_add_i32 s16, s16, 1
	v_cmp_lt_f64_e32 vcc, v[148:149], v[150:151]
	v_add_u32_e32 v231, 16, v231
	s_cmp_lg_u32 s20, s16
	v_cndmask_b32_e32 v221, v221, v237, vcc
	v_cndmask_b32_e32 v220, v220, v236, vcc
	;; [unrolled: 1-line block ×5, first 2 shown]
	s_cbranch_scc1 .LBB108_442
.LBB108_443:
	s_waitcnt lgkmcnt(0)
	v_cmp_eq_f64_e32 vcc, 0, v[220:221]
	v_cmp_eq_f64_e64 s[0:1], 0, v[222:223]
	s_and_b64 s[0:1], vcc, s[0:1]
	s_and_saveexec_b64 s[16:17], s[0:1]
	s_xor_b64 s[0:1], exec, s[16:17]
; %bb.444:
	v_cmp_ne_u32_e32 vcc, 0, v234
	s_nop 1
	v_cndmask_b32_e32 v234, 22, v234, vcc
; %bb.445:
	s_andn2_saveexec_b64 s[0:1], s[0:1]
	s_cbranch_execz .LBB108_451
; %bb.446:
	v_cmp_ngt_f64_e64 s[16:17], |v[220:221]|, |v[222:223]|
	s_and_saveexec_b64 s[18:19], s[16:17]
	s_xor_b64 s[16:17], exec, s[18:19]
	s_cbranch_execz .LBB108_448
; %bb.447:
	v_div_scale_f64 v[148:149], s[18:19], v[222:223], v[222:223], v[220:221]
	v_rcp_f64_e32 v[150:151], v[148:149]
	v_div_scale_f64 v[226:227], vcc, v[220:221], v[222:223], v[220:221]
	v_fma_f64 v[228:229], -v[148:149], v[150:151], 1.0
	v_fmac_f64_e32 v[150:151], v[150:151], v[228:229]
	v_fma_f64 v[228:229], -v[148:149], v[150:151], 1.0
	v_fmac_f64_e32 v[150:151], v[150:151], v[228:229]
	v_mul_f64 v[228:229], v[226:227], v[150:151]
	v_fma_f64 v[148:149], -v[148:149], v[228:229], v[226:227]
	v_div_fmas_f64 v[148:149], v[148:149], v[150:151], v[228:229]
	v_div_fixup_f64 v[148:149], v[148:149], v[222:223], v[220:221]
	v_fmac_f64_e32 v[222:223], v[220:221], v[148:149]
	v_div_scale_f64 v[150:151], s[18:19], v[222:223], v[222:223], 1.0
	v_rcp_f64_e32 v[220:221], v[150:151]
	s_nop 0
	v_fma_f64 v[226:227], -v[150:151], v[220:221], 1.0
	v_fmac_f64_e32 v[220:221], v[220:221], v[226:227]
	v_fma_f64 v[226:227], -v[150:151], v[220:221], 1.0
	v_fmac_f64_e32 v[220:221], v[220:221], v[226:227]
	v_div_scale_f64 v[226:227], vcc, 1.0, v[222:223], 1.0
	v_mul_f64 v[228:229], v[226:227], v[220:221]
	v_fma_f64 v[150:151], -v[150:151], v[228:229], v[226:227]
	s_nop 1
	v_div_fmas_f64 v[150:151], v[150:151], v[220:221], v[228:229]
	v_div_fixup_f64 v[222:223], v[150:151], v[222:223], 1.0
	v_mul_f64 v[220:221], v[148:149], v[222:223]
	v_xor_b32_e32 v223, 0x80000000, v223
.LBB108_448:
	s_andn2_saveexec_b64 s[16:17], s[16:17]
	s_cbranch_execz .LBB108_450
; %bb.449:
	v_div_scale_f64 v[148:149], s[18:19], v[220:221], v[220:221], v[222:223]
	v_rcp_f64_e32 v[150:151], v[148:149]
	v_div_scale_f64 v[226:227], vcc, v[222:223], v[220:221], v[222:223]
	v_fma_f64 v[228:229], -v[148:149], v[150:151], 1.0
	v_fmac_f64_e32 v[150:151], v[150:151], v[228:229]
	v_fma_f64 v[228:229], -v[148:149], v[150:151], 1.0
	v_fmac_f64_e32 v[150:151], v[150:151], v[228:229]
	v_mul_f64 v[228:229], v[226:227], v[150:151]
	v_fma_f64 v[148:149], -v[148:149], v[228:229], v[226:227]
	v_div_fmas_f64 v[148:149], v[148:149], v[150:151], v[228:229]
	v_div_fixup_f64 v[148:149], v[148:149], v[220:221], v[222:223]
	v_fmac_f64_e32 v[220:221], v[222:223], v[148:149]
	v_div_scale_f64 v[150:151], s[18:19], v[220:221], v[220:221], 1.0
	v_rcp_f64_e32 v[222:223], v[150:151]
	s_nop 0
	v_fma_f64 v[226:227], -v[150:151], v[222:223], 1.0
	v_fmac_f64_e32 v[222:223], v[222:223], v[226:227]
	v_fma_f64 v[226:227], -v[150:151], v[222:223], 1.0
	v_fmac_f64_e32 v[222:223], v[222:223], v[226:227]
	v_div_scale_f64 v[226:227], vcc, 1.0, v[220:221], 1.0
	v_mul_f64 v[228:229], v[226:227], v[222:223]
	v_fma_f64 v[150:151], -v[150:151], v[228:229], v[226:227]
	s_nop 1
	v_div_fmas_f64 v[150:151], v[150:151], v[222:223], v[228:229]
	v_div_fixup_f64 v[220:221], v[150:151], v[220:221], 1.0
	v_mul_f64 v[222:223], v[148:149], -v[220:221]
.LBB108_450:
	s_or_b64 exec, exec, s[16:17]
.LBB108_451:
	s_or_b64 exec, exec, s[0:1]
	v_cmp_ne_u32_e32 vcc, v233, v230
	s_and_saveexec_b64 s[0:1], vcc
	s_xor_b64 s[0:1], exec, s[0:1]
	s_cbranch_execz .LBB108_457
; %bb.452:
	v_cmp_eq_u32_e32 vcc, 21, v233
	s_and_saveexec_b64 s[16:17], vcc
	s_cbranch_execz .LBB108_456
; %bb.453:
	v_cmp_ne_u32_e32 vcc, 21, v230
	s_xor_b64 s[18:19], s[14:15], -1
	s_and_b64 s[22:23], s[18:19], vcc
	s_and_saveexec_b64 s[18:19], s[22:23]
	s_cbranch_execz .LBB108_455
; %bb.454:
	v_ashrrev_i32_e32 v231, 31, v230
	s_waitcnt vmcnt(0)
	v_lshl_add_u64 v[148:149], v[230:231], 2, v[146:147]
	global_load_dword v150, v[148:149], off
	global_load_dword v151, v[146:147], off offset:84
	s_waitcnt vmcnt(1)
	global_store_dword v[146:147], v150, off offset:84
	s_waitcnt vmcnt(1)
	global_store_dword v[148:149], v151, off
.LBB108_455:
	s_or_b64 exec, exec, s[18:19]
	v_mov_b32_e32 v233, v230
	v_mov_b32_e32 v224, v230
.LBB108_456:
	s_or_b64 exec, exec, s[16:17]
.LBB108_457:
	s_andn2_saveexec_b64 s[0:1], s[0:1]
	s_cbranch_execz .LBB108_459
; %bb.458:
	v_mov_b32_e32 v233, 21
	ds_write2_b64 v232, v[124:125], v[126:127] offset0:44 offset1:45
	ds_write2_b64 v232, v[120:121], v[122:123] offset0:46 offset1:47
	;; [unrolled: 1-line block ×33, first 2 shown]
.LBB108_459:
	s_or_b64 exec, exec, s[0:1]
	v_cmp_lt_i32_e32 vcc, 21, v233
	s_waitcnt lgkmcnt(0)
	s_barrier
	s_and_saveexec_b64 s[0:1], vcc
	s_cbranch_execz .LBB108_461
; %bb.460:
	ds_read2_b64 v[236:239], v232 offset0:44 offset1:45
	v_mul_f64 v[148:149], v[222:223], v[130:131]
	v_mul_f64 v[130:131], v[220:221], v[130:131]
	v_fma_f64 v[230:231], v[220:221], v[128:129], -v[148:149]
	v_fmac_f64_e32 v[130:131], v[222:223], v[128:129]
	ds_read2_b64 v[220:223], v232 offset0:46 offset1:47
	s_waitcnt lgkmcnt(1)
	v_mul_f64 v[128:129], v[238:239], v[130:131]
	v_mul_f64 v[148:149], v[236:237], v[130:131]
	v_fma_f64 v[128:129], v[236:237], v[230:231], -v[128:129]
	v_fmac_f64_e32 v[148:149], v[238:239], v[230:231]
	ds_read2_b64 v[236:239], v232 offset0:48 offset1:49
	v_add_f64 v[124:125], v[124:125], -v[128:129]
	v_add_f64 v[126:127], v[126:127], -v[148:149]
	s_waitcnt lgkmcnt(1)
	v_mul_f64 v[128:129], v[222:223], v[130:131]
	v_mul_f64 v[148:149], v[220:221], v[130:131]
	v_fma_f64 v[128:129], v[220:221], v[230:231], -v[128:129]
	v_fmac_f64_e32 v[148:149], v[222:223], v[230:231]
	ds_read2_b64 v[220:223], v232 offset0:50 offset1:51
	v_add_f64 v[120:121], v[120:121], -v[128:129]
	v_add_f64 v[122:123], v[122:123], -v[148:149]
	;; [unrolled: 8-line block ×31, first 2 shown]
	s_waitcnt lgkmcnt(1)
	v_mul_f64 v[128:129], v[222:223], v[130:131]
	v_mul_f64 v[148:149], v[220:221], v[130:131]
	v_fma_f64 v[128:129], v[220:221], v[230:231], -v[128:129]
	v_fmac_f64_e32 v[148:149], v[222:223], v[230:231]
	v_add_f64 v[0:1], v[0:1], -v[128:129]
	v_add_f64 v[2:3], v[2:3], -v[148:149]
	s_waitcnt lgkmcnt(0)
	v_mul_f64 v[128:129], v[238:239], v[130:131]
	v_mul_f64 v[148:149], v[236:237], v[130:131]
	v_fma_f64 v[128:129], v[236:237], v[230:231], -v[128:129]
	v_fmac_f64_e32 v[148:149], v[238:239], v[230:231]
	v_add_f64 v[216:217], v[216:217], -v[128:129]
	v_add_f64 v[218:219], v[218:219], -v[148:149]
	v_mov_b64_e32 v[128:129], v[230:231]
.LBB108_461:
	s_or_b64 exec, exec, s[0:1]
	v_lshl_add_u32 v148, v233, 4, v232
	s_barrier
	ds_write2_b64 v148, v[124:125], v[126:127] offset1:1
	s_waitcnt lgkmcnt(0)
	s_barrier
	ds_read2_b64 v[220:223], v232 offset0:44 offset1:45
	s_cmp_lt_i32 s20, 24
	v_mov_b32_e32 v230, 22
	s_cbranch_scc1 .LBB108_464
; %bb.462:
	v_add_u32_e32 v231, 0x170, v232
	s_mov_b32 s16, 23
	v_mov_b32_e32 v230, 22
.LBB108_463:                            ; =>This Inner Loop Header: Depth=1
	ds_read2_b64 v[236:239], v231 offset1:1
	s_waitcnt lgkmcnt(1)
	v_xor_b32_e32 v149, 0x80000000, v221
	v_xor_b32_e32 v151, 0x80000000, v223
	v_cmp_gt_f64_e32 vcc, 0, v[222:223]
	v_cmp_gt_f64_e64 s[0:1], 0, v[220:221]
	v_mov_b32_e32 v148, v220
	v_mov_b32_e32 v150, v222
	v_cndmask_b32_e64 v149, v221, v149, s[0:1]
	v_cndmask_b32_e32 v151, v223, v151, vcc
	v_add_f64 v[148:149], v[148:149], v[150:151]
	s_waitcnt lgkmcnt(0)
	v_xor_b32_e32 v151, 0x80000000, v237
	v_xor_b32_e32 v227, 0x80000000, v239
	v_cmp_gt_f64_e32 vcc, 0, v[238:239]
	v_cmp_gt_f64_e64 s[0:1], 0, v[236:237]
	v_mov_b32_e32 v150, v236
	v_mov_b32_e32 v226, v238
	v_cndmask_b32_e64 v151, v237, v151, s[0:1]
	v_cndmask_b32_e32 v227, v239, v227, vcc
	v_add_f64 v[150:151], v[150:151], v[226:227]
	v_mov_b32_e32 v228, s16
	s_add_i32 s16, s16, 1
	v_cmp_lt_f64_e32 vcc, v[148:149], v[150:151]
	v_add_u32_e32 v231, 16, v231
	s_cmp_lg_u32 s20, s16
	v_cndmask_b32_e32 v221, v221, v237, vcc
	v_cndmask_b32_e32 v220, v220, v236, vcc
	;; [unrolled: 1-line block ×5, first 2 shown]
	s_cbranch_scc1 .LBB108_463
.LBB108_464:
	s_waitcnt lgkmcnt(0)
	v_cmp_eq_f64_e32 vcc, 0, v[220:221]
	v_cmp_eq_f64_e64 s[0:1], 0, v[222:223]
	s_and_b64 s[0:1], vcc, s[0:1]
	s_and_saveexec_b64 s[16:17], s[0:1]
	s_xor_b64 s[0:1], exec, s[16:17]
; %bb.465:
	v_cmp_ne_u32_e32 vcc, 0, v234
	s_nop 1
	v_cndmask_b32_e32 v234, 23, v234, vcc
; %bb.466:
	s_andn2_saveexec_b64 s[0:1], s[0:1]
	s_cbranch_execz .LBB108_472
; %bb.467:
	v_cmp_ngt_f64_e64 s[16:17], |v[220:221]|, |v[222:223]|
	s_and_saveexec_b64 s[18:19], s[16:17]
	s_xor_b64 s[16:17], exec, s[18:19]
	s_cbranch_execz .LBB108_469
; %bb.468:
	v_div_scale_f64 v[148:149], s[18:19], v[222:223], v[222:223], v[220:221]
	v_rcp_f64_e32 v[150:151], v[148:149]
	v_div_scale_f64 v[226:227], vcc, v[220:221], v[222:223], v[220:221]
	v_fma_f64 v[228:229], -v[148:149], v[150:151], 1.0
	v_fmac_f64_e32 v[150:151], v[150:151], v[228:229]
	v_fma_f64 v[228:229], -v[148:149], v[150:151], 1.0
	v_fmac_f64_e32 v[150:151], v[150:151], v[228:229]
	v_mul_f64 v[228:229], v[226:227], v[150:151]
	v_fma_f64 v[148:149], -v[148:149], v[228:229], v[226:227]
	v_div_fmas_f64 v[148:149], v[148:149], v[150:151], v[228:229]
	v_div_fixup_f64 v[148:149], v[148:149], v[222:223], v[220:221]
	v_fmac_f64_e32 v[222:223], v[220:221], v[148:149]
	v_div_scale_f64 v[150:151], s[18:19], v[222:223], v[222:223], 1.0
	v_rcp_f64_e32 v[220:221], v[150:151]
	s_nop 0
	v_fma_f64 v[226:227], -v[150:151], v[220:221], 1.0
	v_fmac_f64_e32 v[220:221], v[220:221], v[226:227]
	v_fma_f64 v[226:227], -v[150:151], v[220:221], 1.0
	v_fmac_f64_e32 v[220:221], v[220:221], v[226:227]
	v_div_scale_f64 v[226:227], vcc, 1.0, v[222:223], 1.0
	v_mul_f64 v[228:229], v[226:227], v[220:221]
	v_fma_f64 v[150:151], -v[150:151], v[228:229], v[226:227]
	s_nop 1
	v_div_fmas_f64 v[150:151], v[150:151], v[220:221], v[228:229]
	v_div_fixup_f64 v[222:223], v[150:151], v[222:223], 1.0
	v_mul_f64 v[220:221], v[148:149], v[222:223]
	v_xor_b32_e32 v223, 0x80000000, v223
.LBB108_469:
	s_andn2_saveexec_b64 s[16:17], s[16:17]
	s_cbranch_execz .LBB108_471
; %bb.470:
	v_div_scale_f64 v[148:149], s[18:19], v[220:221], v[220:221], v[222:223]
	v_rcp_f64_e32 v[150:151], v[148:149]
	v_div_scale_f64 v[226:227], vcc, v[222:223], v[220:221], v[222:223]
	v_fma_f64 v[228:229], -v[148:149], v[150:151], 1.0
	v_fmac_f64_e32 v[150:151], v[150:151], v[228:229]
	v_fma_f64 v[228:229], -v[148:149], v[150:151], 1.0
	v_fmac_f64_e32 v[150:151], v[150:151], v[228:229]
	v_mul_f64 v[228:229], v[226:227], v[150:151]
	v_fma_f64 v[148:149], -v[148:149], v[228:229], v[226:227]
	v_div_fmas_f64 v[148:149], v[148:149], v[150:151], v[228:229]
	v_div_fixup_f64 v[148:149], v[148:149], v[220:221], v[222:223]
	v_fmac_f64_e32 v[220:221], v[222:223], v[148:149]
	v_div_scale_f64 v[150:151], s[18:19], v[220:221], v[220:221], 1.0
	v_rcp_f64_e32 v[222:223], v[150:151]
	s_nop 0
	v_fma_f64 v[226:227], -v[150:151], v[222:223], 1.0
	v_fmac_f64_e32 v[222:223], v[222:223], v[226:227]
	v_fma_f64 v[226:227], -v[150:151], v[222:223], 1.0
	v_fmac_f64_e32 v[222:223], v[222:223], v[226:227]
	v_div_scale_f64 v[226:227], vcc, 1.0, v[220:221], 1.0
	v_mul_f64 v[228:229], v[226:227], v[222:223]
	v_fma_f64 v[150:151], -v[150:151], v[228:229], v[226:227]
	s_nop 1
	v_div_fmas_f64 v[150:151], v[150:151], v[222:223], v[228:229]
	v_div_fixup_f64 v[220:221], v[150:151], v[220:221], 1.0
	v_mul_f64 v[222:223], v[148:149], -v[220:221]
.LBB108_471:
	s_or_b64 exec, exec, s[16:17]
.LBB108_472:
	s_or_b64 exec, exec, s[0:1]
	v_cmp_ne_u32_e32 vcc, v233, v230
	s_and_saveexec_b64 s[0:1], vcc
	s_xor_b64 s[0:1], exec, s[0:1]
	s_cbranch_execz .LBB108_478
; %bb.473:
	v_cmp_eq_u32_e32 vcc, 22, v233
	s_and_saveexec_b64 s[16:17], vcc
	s_cbranch_execz .LBB108_477
; %bb.474:
	v_cmp_ne_u32_e32 vcc, 22, v230
	s_xor_b64 s[18:19], s[14:15], -1
	s_and_b64 s[22:23], s[18:19], vcc
	s_and_saveexec_b64 s[18:19], s[22:23]
	s_cbranch_execz .LBB108_476
; %bb.475:
	v_ashrrev_i32_e32 v231, 31, v230
	s_waitcnt vmcnt(0)
	v_lshl_add_u64 v[148:149], v[230:231], 2, v[146:147]
	global_load_dword v150, v[148:149], off
	global_load_dword v151, v[146:147], off offset:88
	s_waitcnt vmcnt(1)
	global_store_dword v[146:147], v150, off offset:88
	s_waitcnt vmcnt(1)
	global_store_dword v[148:149], v151, off
.LBB108_476:
	s_or_b64 exec, exec, s[18:19]
	v_mov_b32_e32 v233, v230
	v_mov_b32_e32 v224, v230
.LBB108_477:
	s_or_b64 exec, exec, s[16:17]
.LBB108_478:
	s_andn2_saveexec_b64 s[0:1], s[0:1]
	s_cbranch_execz .LBB108_480
; %bb.479:
	v_mov_b32_e32 v233, 22
	ds_write2_b64 v232, v[120:121], v[122:123] offset0:46 offset1:47
	ds_write2_b64 v232, v[116:117], v[118:119] offset0:48 offset1:49
	;; [unrolled: 1-line block ×32, first 2 shown]
.LBB108_480:
	s_or_b64 exec, exec, s[0:1]
	v_cmp_lt_i32_e32 vcc, 22, v233
	s_waitcnt lgkmcnt(0)
	s_barrier
	s_and_saveexec_b64 s[0:1], vcc
	s_cbranch_execz .LBB108_482
; %bb.481:
	ds_read2_b64 v[236:239], v232 offset0:46 offset1:47
	v_mul_f64 v[148:149], v[222:223], v[126:127]
	v_mul_f64 v[126:127], v[220:221], v[126:127]
	v_fma_f64 v[230:231], v[220:221], v[124:125], -v[148:149]
	v_fmac_f64_e32 v[126:127], v[222:223], v[124:125]
	ds_read2_b64 v[220:223], v232 offset0:48 offset1:49
	s_waitcnt lgkmcnt(1)
	v_mul_f64 v[124:125], v[238:239], v[126:127]
	v_mul_f64 v[148:149], v[236:237], v[126:127]
	v_fma_f64 v[124:125], v[236:237], v[230:231], -v[124:125]
	v_fmac_f64_e32 v[148:149], v[238:239], v[230:231]
	ds_read2_b64 v[236:239], v232 offset0:50 offset1:51
	v_add_f64 v[120:121], v[120:121], -v[124:125]
	v_add_f64 v[122:123], v[122:123], -v[148:149]
	s_waitcnt lgkmcnt(1)
	v_mul_f64 v[124:125], v[222:223], v[126:127]
	v_mul_f64 v[148:149], v[220:221], v[126:127]
	v_fma_f64 v[124:125], v[220:221], v[230:231], -v[124:125]
	v_fmac_f64_e32 v[148:149], v[222:223], v[230:231]
	ds_read2_b64 v[220:223], v232 offset0:52 offset1:53
	v_add_f64 v[116:117], v[116:117], -v[124:125]
	v_add_f64 v[118:119], v[118:119], -v[148:149]
	s_waitcnt lgkmcnt(1)
	v_mul_f64 v[124:125], v[238:239], v[126:127]
	v_mul_f64 v[148:149], v[236:237], v[126:127]
	v_fma_f64 v[124:125], v[236:237], v[230:231], -v[124:125]
	v_fmac_f64_e32 v[148:149], v[238:239], v[230:231]
	ds_read2_b64 v[236:239], v232 offset0:54 offset1:55
	v_add_f64 v[112:113], v[112:113], -v[124:125]
	v_add_f64 v[114:115], v[114:115], -v[148:149]
	s_waitcnt lgkmcnt(1)
	v_mul_f64 v[124:125], v[222:223], v[126:127]
	v_mul_f64 v[148:149], v[220:221], v[126:127]
	v_fma_f64 v[124:125], v[220:221], v[230:231], -v[124:125]
	v_fmac_f64_e32 v[148:149], v[222:223], v[230:231]
	ds_read2_b64 v[220:223], v232 offset0:56 offset1:57
	v_add_f64 v[108:109], v[108:109], -v[124:125]
	v_add_f64 v[110:111], v[110:111], -v[148:149]
	s_waitcnt lgkmcnt(1)
	v_mul_f64 v[124:125], v[238:239], v[126:127]
	v_mul_f64 v[148:149], v[236:237], v[126:127]
	v_fma_f64 v[124:125], v[236:237], v[230:231], -v[124:125]
	v_fmac_f64_e32 v[148:149], v[238:239], v[230:231]
	ds_read2_b64 v[236:239], v232 offset0:58 offset1:59
	v_add_f64 v[104:105], v[104:105], -v[124:125]
	v_add_f64 v[106:107], v[106:107], -v[148:149]
	s_waitcnt lgkmcnt(1)
	v_mul_f64 v[124:125], v[222:223], v[126:127]
	v_mul_f64 v[148:149], v[220:221], v[126:127]
	v_fma_f64 v[124:125], v[220:221], v[230:231], -v[124:125]
	v_fmac_f64_e32 v[148:149], v[222:223], v[230:231]
	ds_read2_b64 v[220:223], v232 offset0:60 offset1:61
	v_add_f64 v[100:101], v[100:101], -v[124:125]
	v_add_f64 v[102:103], v[102:103], -v[148:149]
	s_waitcnt lgkmcnt(1)
	v_mul_f64 v[124:125], v[238:239], v[126:127]
	v_mul_f64 v[148:149], v[236:237], v[126:127]
	v_fma_f64 v[124:125], v[236:237], v[230:231], -v[124:125]
	v_fmac_f64_e32 v[148:149], v[238:239], v[230:231]
	ds_read2_b64 v[236:239], v232 offset0:62 offset1:63
	v_add_f64 v[96:97], v[96:97], -v[124:125]
	v_add_f64 v[98:99], v[98:99], -v[148:149]
	s_waitcnt lgkmcnt(1)
	v_mul_f64 v[124:125], v[222:223], v[126:127]
	v_mul_f64 v[148:149], v[220:221], v[126:127]
	v_fma_f64 v[124:125], v[220:221], v[230:231], -v[124:125]
	v_fmac_f64_e32 v[148:149], v[222:223], v[230:231]
	ds_read2_b64 v[220:223], v232 offset0:64 offset1:65
	v_add_f64 v[92:93], v[92:93], -v[124:125]
	v_add_f64 v[94:95], v[94:95], -v[148:149]
	s_waitcnt lgkmcnt(1)
	v_mul_f64 v[124:125], v[238:239], v[126:127]
	v_mul_f64 v[148:149], v[236:237], v[126:127]
	v_fma_f64 v[124:125], v[236:237], v[230:231], -v[124:125]
	v_fmac_f64_e32 v[148:149], v[238:239], v[230:231]
	ds_read2_b64 v[236:239], v232 offset0:66 offset1:67
	v_add_f64 v[88:89], v[88:89], -v[124:125]
	v_add_f64 v[90:91], v[90:91], -v[148:149]
	s_waitcnt lgkmcnt(1)
	v_mul_f64 v[124:125], v[222:223], v[126:127]
	v_mul_f64 v[148:149], v[220:221], v[126:127]
	v_fma_f64 v[124:125], v[220:221], v[230:231], -v[124:125]
	v_fmac_f64_e32 v[148:149], v[222:223], v[230:231]
	ds_read2_b64 v[220:223], v232 offset0:68 offset1:69
	v_add_f64 v[84:85], v[84:85], -v[124:125]
	v_add_f64 v[86:87], v[86:87], -v[148:149]
	s_waitcnt lgkmcnt(1)
	v_mul_f64 v[124:125], v[238:239], v[126:127]
	v_mul_f64 v[148:149], v[236:237], v[126:127]
	v_fma_f64 v[124:125], v[236:237], v[230:231], -v[124:125]
	v_fmac_f64_e32 v[148:149], v[238:239], v[230:231]
	ds_read2_b64 v[236:239], v232 offset0:70 offset1:71
	v_add_f64 v[80:81], v[80:81], -v[124:125]
	v_add_f64 v[82:83], v[82:83], -v[148:149]
	s_waitcnt lgkmcnt(1)
	v_mul_f64 v[124:125], v[222:223], v[126:127]
	v_mul_f64 v[148:149], v[220:221], v[126:127]
	v_fma_f64 v[124:125], v[220:221], v[230:231], -v[124:125]
	v_fmac_f64_e32 v[148:149], v[222:223], v[230:231]
	ds_read2_b64 v[220:223], v232 offset0:72 offset1:73
	v_add_f64 v[76:77], v[76:77], -v[124:125]
	v_add_f64 v[78:79], v[78:79], -v[148:149]
	s_waitcnt lgkmcnt(1)
	v_mul_f64 v[124:125], v[238:239], v[126:127]
	v_mul_f64 v[148:149], v[236:237], v[126:127]
	v_fma_f64 v[124:125], v[236:237], v[230:231], -v[124:125]
	v_fmac_f64_e32 v[148:149], v[238:239], v[230:231]
	ds_read2_b64 v[236:239], v232 offset0:74 offset1:75
	v_add_f64 v[72:73], v[72:73], -v[124:125]
	v_add_f64 v[74:75], v[74:75], -v[148:149]
	s_waitcnt lgkmcnt(1)
	v_mul_f64 v[124:125], v[222:223], v[126:127]
	v_mul_f64 v[148:149], v[220:221], v[126:127]
	v_fma_f64 v[124:125], v[220:221], v[230:231], -v[124:125]
	v_fmac_f64_e32 v[148:149], v[222:223], v[230:231]
	ds_read2_b64 v[220:223], v232 offset0:76 offset1:77
	v_add_f64 v[68:69], v[68:69], -v[124:125]
	v_add_f64 v[70:71], v[70:71], -v[148:149]
	s_waitcnt lgkmcnt(1)
	v_mul_f64 v[124:125], v[238:239], v[126:127]
	v_mul_f64 v[148:149], v[236:237], v[126:127]
	v_fma_f64 v[124:125], v[236:237], v[230:231], -v[124:125]
	v_fmac_f64_e32 v[148:149], v[238:239], v[230:231]
	ds_read2_b64 v[236:239], v232 offset0:78 offset1:79
	v_add_f64 v[64:65], v[64:65], -v[124:125]
	v_add_f64 v[66:67], v[66:67], -v[148:149]
	s_waitcnt lgkmcnt(1)
	v_mul_f64 v[124:125], v[222:223], v[126:127]
	v_mul_f64 v[148:149], v[220:221], v[126:127]
	v_fma_f64 v[124:125], v[220:221], v[230:231], -v[124:125]
	v_fmac_f64_e32 v[148:149], v[222:223], v[230:231]
	ds_read2_b64 v[220:223], v232 offset0:80 offset1:81
	v_add_f64 v[60:61], v[60:61], -v[124:125]
	v_add_f64 v[62:63], v[62:63], -v[148:149]
	s_waitcnt lgkmcnt(1)
	v_mul_f64 v[124:125], v[238:239], v[126:127]
	v_mul_f64 v[148:149], v[236:237], v[126:127]
	v_fma_f64 v[124:125], v[236:237], v[230:231], -v[124:125]
	v_fmac_f64_e32 v[148:149], v[238:239], v[230:231]
	ds_read2_b64 v[236:239], v232 offset0:82 offset1:83
	v_add_f64 v[56:57], v[56:57], -v[124:125]
	v_add_f64 v[58:59], v[58:59], -v[148:149]
	s_waitcnt lgkmcnt(1)
	v_mul_f64 v[124:125], v[222:223], v[126:127]
	v_mul_f64 v[148:149], v[220:221], v[126:127]
	v_fma_f64 v[124:125], v[220:221], v[230:231], -v[124:125]
	v_fmac_f64_e32 v[148:149], v[222:223], v[230:231]
	ds_read2_b64 v[220:223], v232 offset0:84 offset1:85
	v_add_f64 v[52:53], v[52:53], -v[124:125]
	v_add_f64 v[54:55], v[54:55], -v[148:149]
	s_waitcnt lgkmcnt(1)
	v_mul_f64 v[124:125], v[238:239], v[126:127]
	v_mul_f64 v[148:149], v[236:237], v[126:127]
	v_fma_f64 v[124:125], v[236:237], v[230:231], -v[124:125]
	v_fmac_f64_e32 v[148:149], v[238:239], v[230:231]
	ds_read2_b64 v[236:239], v232 offset0:86 offset1:87
	v_add_f64 v[48:49], v[48:49], -v[124:125]
	v_add_f64 v[50:51], v[50:51], -v[148:149]
	s_waitcnt lgkmcnt(1)
	v_mul_f64 v[124:125], v[222:223], v[126:127]
	v_mul_f64 v[148:149], v[220:221], v[126:127]
	v_fma_f64 v[124:125], v[220:221], v[230:231], -v[124:125]
	v_fmac_f64_e32 v[148:149], v[222:223], v[230:231]
	ds_read2_b64 v[220:223], v232 offset0:88 offset1:89
	v_add_f64 v[44:45], v[44:45], -v[124:125]
	v_add_f64 v[46:47], v[46:47], -v[148:149]
	s_waitcnt lgkmcnt(1)
	v_mul_f64 v[124:125], v[238:239], v[126:127]
	v_mul_f64 v[148:149], v[236:237], v[126:127]
	v_fma_f64 v[124:125], v[236:237], v[230:231], -v[124:125]
	v_fmac_f64_e32 v[148:149], v[238:239], v[230:231]
	ds_read2_b64 v[236:239], v232 offset0:90 offset1:91
	v_add_f64 v[40:41], v[40:41], -v[124:125]
	v_add_f64 v[42:43], v[42:43], -v[148:149]
	s_waitcnt lgkmcnt(1)
	v_mul_f64 v[124:125], v[222:223], v[126:127]
	v_mul_f64 v[148:149], v[220:221], v[126:127]
	v_fma_f64 v[124:125], v[220:221], v[230:231], -v[124:125]
	v_fmac_f64_e32 v[148:149], v[222:223], v[230:231]
	ds_read2_b64 v[220:223], v232 offset0:92 offset1:93
	v_add_f64 v[36:37], v[36:37], -v[124:125]
	v_add_f64 v[38:39], v[38:39], -v[148:149]
	s_waitcnt lgkmcnt(1)
	v_mul_f64 v[124:125], v[238:239], v[126:127]
	v_mul_f64 v[148:149], v[236:237], v[126:127]
	v_fma_f64 v[124:125], v[236:237], v[230:231], -v[124:125]
	v_fmac_f64_e32 v[148:149], v[238:239], v[230:231]
	ds_read2_b64 v[236:239], v232 offset0:94 offset1:95
	v_add_f64 v[32:33], v[32:33], -v[124:125]
	v_add_f64 v[34:35], v[34:35], -v[148:149]
	s_waitcnt lgkmcnt(1)
	v_mul_f64 v[124:125], v[222:223], v[126:127]
	v_mul_f64 v[148:149], v[220:221], v[126:127]
	v_fma_f64 v[124:125], v[220:221], v[230:231], -v[124:125]
	v_fmac_f64_e32 v[148:149], v[222:223], v[230:231]
	ds_read2_b64 v[220:223], v232 offset0:96 offset1:97
	v_add_f64 v[28:29], v[28:29], -v[124:125]
	v_add_f64 v[30:31], v[30:31], -v[148:149]
	s_waitcnt lgkmcnt(1)
	v_mul_f64 v[124:125], v[238:239], v[126:127]
	v_mul_f64 v[148:149], v[236:237], v[126:127]
	v_fma_f64 v[124:125], v[236:237], v[230:231], -v[124:125]
	v_fmac_f64_e32 v[148:149], v[238:239], v[230:231]
	ds_read2_b64 v[236:239], v232 offset0:98 offset1:99
	v_add_f64 v[24:25], v[24:25], -v[124:125]
	v_add_f64 v[26:27], v[26:27], -v[148:149]
	s_waitcnt lgkmcnt(1)
	v_mul_f64 v[124:125], v[222:223], v[126:127]
	v_mul_f64 v[148:149], v[220:221], v[126:127]
	v_fma_f64 v[124:125], v[220:221], v[230:231], -v[124:125]
	v_fmac_f64_e32 v[148:149], v[222:223], v[230:231]
	ds_read2_b64 v[220:223], v232 offset0:100 offset1:101
	v_add_f64 v[20:21], v[20:21], -v[124:125]
	v_add_f64 v[22:23], v[22:23], -v[148:149]
	s_waitcnt lgkmcnt(1)
	v_mul_f64 v[124:125], v[238:239], v[126:127]
	v_mul_f64 v[148:149], v[236:237], v[126:127]
	v_fma_f64 v[124:125], v[236:237], v[230:231], -v[124:125]
	v_fmac_f64_e32 v[148:149], v[238:239], v[230:231]
	ds_read2_b64 v[236:239], v232 offset0:102 offset1:103
	v_add_f64 v[16:17], v[16:17], -v[124:125]
	v_add_f64 v[18:19], v[18:19], -v[148:149]
	s_waitcnt lgkmcnt(1)
	v_mul_f64 v[124:125], v[222:223], v[126:127]
	v_mul_f64 v[148:149], v[220:221], v[126:127]
	v_fma_f64 v[124:125], v[220:221], v[230:231], -v[124:125]
	v_fmac_f64_e32 v[148:149], v[222:223], v[230:231]
	ds_read2_b64 v[220:223], v232 offset0:104 offset1:105
	v_add_f64 v[12:13], v[12:13], -v[124:125]
	v_add_f64 v[14:15], v[14:15], -v[148:149]
	s_waitcnt lgkmcnt(1)
	v_mul_f64 v[124:125], v[238:239], v[126:127]
	v_mul_f64 v[148:149], v[236:237], v[126:127]
	v_fma_f64 v[124:125], v[236:237], v[230:231], -v[124:125]
	v_fmac_f64_e32 v[148:149], v[238:239], v[230:231]
	ds_read2_b64 v[236:239], v232 offset0:106 offset1:107
	v_add_f64 v[8:9], v[8:9], -v[124:125]
	v_add_f64 v[10:11], v[10:11], -v[148:149]
	s_waitcnt lgkmcnt(1)
	v_mul_f64 v[124:125], v[222:223], v[126:127]
	v_mul_f64 v[148:149], v[220:221], v[126:127]
	v_fma_f64 v[124:125], v[220:221], v[230:231], -v[124:125]
	v_fmac_f64_e32 v[148:149], v[222:223], v[230:231]
	ds_read2_b64 v[220:223], v232 offset0:108 offset1:109
	v_add_f64 v[4:5], v[4:5], -v[124:125]
	v_add_f64 v[6:7], v[6:7], -v[148:149]
	s_waitcnt lgkmcnt(1)
	v_mul_f64 v[124:125], v[238:239], v[126:127]
	v_mul_f64 v[148:149], v[236:237], v[126:127]
	v_fma_f64 v[124:125], v[236:237], v[230:231], -v[124:125]
	v_fmac_f64_e32 v[148:149], v[238:239], v[230:231]
	v_add_f64 v[0:1], v[0:1], -v[124:125]
	v_add_f64 v[2:3], v[2:3], -v[148:149]
	s_waitcnt lgkmcnt(0)
	v_mul_f64 v[124:125], v[222:223], v[126:127]
	v_mul_f64 v[148:149], v[220:221], v[126:127]
	v_fma_f64 v[124:125], v[220:221], v[230:231], -v[124:125]
	v_fmac_f64_e32 v[148:149], v[222:223], v[230:231]
	v_add_f64 v[216:217], v[216:217], -v[124:125]
	v_add_f64 v[218:219], v[218:219], -v[148:149]
	v_mov_b64_e32 v[124:125], v[230:231]
.LBB108_482:
	s_or_b64 exec, exec, s[0:1]
	v_lshl_add_u32 v148, v233, 4, v232
	s_barrier
	ds_write2_b64 v148, v[120:121], v[122:123] offset1:1
	s_waitcnt lgkmcnt(0)
	s_barrier
	ds_read2_b64 v[220:223], v232 offset0:46 offset1:47
	s_cmp_lt_i32 s20, 25
	v_mov_b32_e32 v230, 23
	s_cbranch_scc1 .LBB108_485
; %bb.483:
	v_add_u32_e32 v231, 0x180, v232
	s_mov_b32 s16, 24
	v_mov_b32_e32 v230, 23
.LBB108_484:                            ; =>This Inner Loop Header: Depth=1
	ds_read2_b64 v[236:239], v231 offset1:1
	s_waitcnt lgkmcnt(1)
	v_xor_b32_e32 v149, 0x80000000, v221
	v_xor_b32_e32 v151, 0x80000000, v223
	v_cmp_gt_f64_e32 vcc, 0, v[222:223]
	v_cmp_gt_f64_e64 s[0:1], 0, v[220:221]
	v_mov_b32_e32 v148, v220
	v_mov_b32_e32 v150, v222
	v_cndmask_b32_e64 v149, v221, v149, s[0:1]
	v_cndmask_b32_e32 v151, v223, v151, vcc
	v_add_f64 v[148:149], v[148:149], v[150:151]
	s_waitcnt lgkmcnt(0)
	v_xor_b32_e32 v151, 0x80000000, v237
	v_xor_b32_e32 v227, 0x80000000, v239
	v_cmp_gt_f64_e32 vcc, 0, v[238:239]
	v_cmp_gt_f64_e64 s[0:1], 0, v[236:237]
	v_mov_b32_e32 v150, v236
	v_mov_b32_e32 v226, v238
	v_cndmask_b32_e64 v151, v237, v151, s[0:1]
	v_cndmask_b32_e32 v227, v239, v227, vcc
	v_add_f64 v[150:151], v[150:151], v[226:227]
	v_mov_b32_e32 v228, s16
	s_add_i32 s16, s16, 1
	v_cmp_lt_f64_e32 vcc, v[148:149], v[150:151]
	v_add_u32_e32 v231, 16, v231
	s_cmp_lg_u32 s20, s16
	v_cndmask_b32_e32 v221, v221, v237, vcc
	v_cndmask_b32_e32 v220, v220, v236, vcc
	;; [unrolled: 1-line block ×5, first 2 shown]
	s_cbranch_scc1 .LBB108_484
.LBB108_485:
	s_waitcnt lgkmcnt(0)
	v_cmp_eq_f64_e32 vcc, 0, v[220:221]
	v_cmp_eq_f64_e64 s[0:1], 0, v[222:223]
	s_and_b64 s[0:1], vcc, s[0:1]
	s_and_saveexec_b64 s[16:17], s[0:1]
	s_xor_b64 s[0:1], exec, s[16:17]
; %bb.486:
	v_cmp_ne_u32_e32 vcc, 0, v234
	s_nop 1
	v_cndmask_b32_e32 v234, 24, v234, vcc
; %bb.487:
	s_andn2_saveexec_b64 s[0:1], s[0:1]
	s_cbranch_execz .LBB108_493
; %bb.488:
	v_cmp_ngt_f64_e64 s[16:17], |v[220:221]|, |v[222:223]|
	s_and_saveexec_b64 s[18:19], s[16:17]
	s_xor_b64 s[16:17], exec, s[18:19]
	s_cbranch_execz .LBB108_490
; %bb.489:
	v_div_scale_f64 v[148:149], s[18:19], v[222:223], v[222:223], v[220:221]
	v_rcp_f64_e32 v[150:151], v[148:149]
	v_div_scale_f64 v[226:227], vcc, v[220:221], v[222:223], v[220:221]
	v_fma_f64 v[228:229], -v[148:149], v[150:151], 1.0
	v_fmac_f64_e32 v[150:151], v[150:151], v[228:229]
	v_fma_f64 v[228:229], -v[148:149], v[150:151], 1.0
	v_fmac_f64_e32 v[150:151], v[150:151], v[228:229]
	v_mul_f64 v[228:229], v[226:227], v[150:151]
	v_fma_f64 v[148:149], -v[148:149], v[228:229], v[226:227]
	v_div_fmas_f64 v[148:149], v[148:149], v[150:151], v[228:229]
	v_div_fixup_f64 v[148:149], v[148:149], v[222:223], v[220:221]
	v_fmac_f64_e32 v[222:223], v[220:221], v[148:149]
	v_div_scale_f64 v[150:151], s[18:19], v[222:223], v[222:223], 1.0
	v_rcp_f64_e32 v[220:221], v[150:151]
	s_nop 0
	v_fma_f64 v[226:227], -v[150:151], v[220:221], 1.0
	v_fmac_f64_e32 v[220:221], v[220:221], v[226:227]
	v_fma_f64 v[226:227], -v[150:151], v[220:221], 1.0
	v_fmac_f64_e32 v[220:221], v[220:221], v[226:227]
	v_div_scale_f64 v[226:227], vcc, 1.0, v[222:223], 1.0
	v_mul_f64 v[228:229], v[226:227], v[220:221]
	v_fma_f64 v[150:151], -v[150:151], v[228:229], v[226:227]
	s_nop 1
	v_div_fmas_f64 v[150:151], v[150:151], v[220:221], v[228:229]
	v_div_fixup_f64 v[222:223], v[150:151], v[222:223], 1.0
	v_mul_f64 v[220:221], v[148:149], v[222:223]
	v_xor_b32_e32 v223, 0x80000000, v223
.LBB108_490:
	s_andn2_saveexec_b64 s[16:17], s[16:17]
	s_cbranch_execz .LBB108_492
; %bb.491:
	v_div_scale_f64 v[148:149], s[18:19], v[220:221], v[220:221], v[222:223]
	v_rcp_f64_e32 v[150:151], v[148:149]
	v_div_scale_f64 v[226:227], vcc, v[222:223], v[220:221], v[222:223]
	v_fma_f64 v[228:229], -v[148:149], v[150:151], 1.0
	v_fmac_f64_e32 v[150:151], v[150:151], v[228:229]
	v_fma_f64 v[228:229], -v[148:149], v[150:151], 1.0
	v_fmac_f64_e32 v[150:151], v[150:151], v[228:229]
	v_mul_f64 v[228:229], v[226:227], v[150:151]
	v_fma_f64 v[148:149], -v[148:149], v[228:229], v[226:227]
	v_div_fmas_f64 v[148:149], v[148:149], v[150:151], v[228:229]
	v_div_fixup_f64 v[148:149], v[148:149], v[220:221], v[222:223]
	v_fmac_f64_e32 v[220:221], v[222:223], v[148:149]
	v_div_scale_f64 v[150:151], s[18:19], v[220:221], v[220:221], 1.0
	v_rcp_f64_e32 v[222:223], v[150:151]
	s_nop 0
	v_fma_f64 v[226:227], -v[150:151], v[222:223], 1.0
	v_fmac_f64_e32 v[222:223], v[222:223], v[226:227]
	v_fma_f64 v[226:227], -v[150:151], v[222:223], 1.0
	v_fmac_f64_e32 v[222:223], v[222:223], v[226:227]
	v_div_scale_f64 v[226:227], vcc, 1.0, v[220:221], 1.0
	v_mul_f64 v[228:229], v[226:227], v[222:223]
	v_fma_f64 v[150:151], -v[150:151], v[228:229], v[226:227]
	s_nop 1
	v_div_fmas_f64 v[150:151], v[150:151], v[222:223], v[228:229]
	v_div_fixup_f64 v[220:221], v[150:151], v[220:221], 1.0
	v_mul_f64 v[222:223], v[148:149], -v[220:221]
.LBB108_492:
	s_or_b64 exec, exec, s[16:17]
.LBB108_493:
	s_or_b64 exec, exec, s[0:1]
	v_cmp_ne_u32_e32 vcc, v233, v230
	s_and_saveexec_b64 s[0:1], vcc
	s_xor_b64 s[0:1], exec, s[0:1]
	s_cbranch_execz .LBB108_499
; %bb.494:
	v_cmp_eq_u32_e32 vcc, 23, v233
	s_and_saveexec_b64 s[16:17], vcc
	s_cbranch_execz .LBB108_498
; %bb.495:
	v_cmp_ne_u32_e32 vcc, 23, v230
	s_xor_b64 s[18:19], s[14:15], -1
	s_and_b64 s[22:23], s[18:19], vcc
	s_and_saveexec_b64 s[18:19], s[22:23]
	s_cbranch_execz .LBB108_497
; %bb.496:
	v_ashrrev_i32_e32 v231, 31, v230
	s_waitcnt vmcnt(0)
	v_lshl_add_u64 v[148:149], v[230:231], 2, v[146:147]
	global_load_dword v150, v[148:149], off
	global_load_dword v151, v[146:147], off offset:92
	s_waitcnt vmcnt(1)
	global_store_dword v[146:147], v150, off offset:92
	s_waitcnt vmcnt(1)
	global_store_dword v[148:149], v151, off
.LBB108_497:
	s_or_b64 exec, exec, s[18:19]
	v_mov_b32_e32 v233, v230
	v_mov_b32_e32 v224, v230
.LBB108_498:
	s_or_b64 exec, exec, s[16:17]
.LBB108_499:
	s_andn2_saveexec_b64 s[0:1], s[0:1]
	s_cbranch_execz .LBB108_501
; %bb.500:
	v_mov_b32_e32 v233, 23
	ds_write2_b64 v232, v[116:117], v[118:119] offset0:48 offset1:49
	ds_write2_b64 v232, v[112:113], v[114:115] offset0:50 offset1:51
	;; [unrolled: 1-line block ×31, first 2 shown]
.LBB108_501:
	s_or_b64 exec, exec, s[0:1]
	v_cmp_lt_i32_e32 vcc, 23, v233
	s_waitcnt lgkmcnt(0)
	s_barrier
	s_and_saveexec_b64 s[0:1], vcc
	s_cbranch_execz .LBB108_503
; %bb.502:
	ds_read2_b64 v[236:239], v232 offset0:48 offset1:49
	v_mul_f64 v[148:149], v[222:223], v[122:123]
	v_mul_f64 v[122:123], v[220:221], v[122:123]
	v_fma_f64 v[230:231], v[220:221], v[120:121], -v[148:149]
	v_fmac_f64_e32 v[122:123], v[222:223], v[120:121]
	ds_read2_b64 v[220:223], v232 offset0:50 offset1:51
	s_waitcnt lgkmcnt(1)
	v_mul_f64 v[120:121], v[238:239], v[122:123]
	v_mul_f64 v[148:149], v[236:237], v[122:123]
	v_fma_f64 v[120:121], v[236:237], v[230:231], -v[120:121]
	v_fmac_f64_e32 v[148:149], v[238:239], v[230:231]
	ds_read2_b64 v[236:239], v232 offset0:52 offset1:53
	v_add_f64 v[116:117], v[116:117], -v[120:121]
	v_add_f64 v[118:119], v[118:119], -v[148:149]
	s_waitcnt lgkmcnt(1)
	v_mul_f64 v[120:121], v[222:223], v[122:123]
	v_mul_f64 v[148:149], v[220:221], v[122:123]
	v_fma_f64 v[120:121], v[220:221], v[230:231], -v[120:121]
	v_fmac_f64_e32 v[148:149], v[222:223], v[230:231]
	ds_read2_b64 v[220:223], v232 offset0:54 offset1:55
	v_add_f64 v[112:113], v[112:113], -v[120:121]
	v_add_f64 v[114:115], v[114:115], -v[148:149]
	;; [unrolled: 8-line block ×29, first 2 shown]
	s_waitcnt lgkmcnt(1)
	v_mul_f64 v[120:121], v[222:223], v[122:123]
	v_mul_f64 v[148:149], v[220:221], v[122:123]
	v_fma_f64 v[120:121], v[220:221], v[230:231], -v[120:121]
	v_fmac_f64_e32 v[148:149], v[222:223], v[230:231]
	v_add_f64 v[0:1], v[0:1], -v[120:121]
	v_add_f64 v[2:3], v[2:3], -v[148:149]
	s_waitcnt lgkmcnt(0)
	v_mul_f64 v[120:121], v[238:239], v[122:123]
	v_mul_f64 v[148:149], v[236:237], v[122:123]
	v_fma_f64 v[120:121], v[236:237], v[230:231], -v[120:121]
	v_fmac_f64_e32 v[148:149], v[238:239], v[230:231]
	v_add_f64 v[216:217], v[216:217], -v[120:121]
	v_add_f64 v[218:219], v[218:219], -v[148:149]
	v_mov_b64_e32 v[120:121], v[230:231]
.LBB108_503:
	s_or_b64 exec, exec, s[0:1]
	v_lshl_add_u32 v148, v233, 4, v232
	s_barrier
	ds_write2_b64 v148, v[116:117], v[118:119] offset1:1
	s_waitcnt lgkmcnt(0)
	s_barrier
	ds_read2_b64 v[220:223], v232 offset0:48 offset1:49
	s_cmp_lt_i32 s20, 26
	v_mov_b32_e32 v230, 24
	s_cbranch_scc1 .LBB108_506
; %bb.504:
	v_add_u32_e32 v231, 0x190, v232
	s_mov_b32 s16, 25
	v_mov_b32_e32 v230, 24
.LBB108_505:                            ; =>This Inner Loop Header: Depth=1
	ds_read2_b64 v[236:239], v231 offset1:1
	s_waitcnt lgkmcnt(1)
	v_xor_b32_e32 v149, 0x80000000, v221
	v_xor_b32_e32 v151, 0x80000000, v223
	v_cmp_gt_f64_e32 vcc, 0, v[222:223]
	v_cmp_gt_f64_e64 s[0:1], 0, v[220:221]
	v_mov_b32_e32 v148, v220
	v_mov_b32_e32 v150, v222
	v_cndmask_b32_e64 v149, v221, v149, s[0:1]
	v_cndmask_b32_e32 v151, v223, v151, vcc
	v_add_f64 v[148:149], v[148:149], v[150:151]
	s_waitcnt lgkmcnt(0)
	v_xor_b32_e32 v151, 0x80000000, v237
	v_xor_b32_e32 v227, 0x80000000, v239
	v_cmp_gt_f64_e32 vcc, 0, v[238:239]
	v_cmp_gt_f64_e64 s[0:1], 0, v[236:237]
	v_mov_b32_e32 v150, v236
	v_mov_b32_e32 v226, v238
	v_cndmask_b32_e64 v151, v237, v151, s[0:1]
	v_cndmask_b32_e32 v227, v239, v227, vcc
	v_add_f64 v[150:151], v[150:151], v[226:227]
	v_mov_b32_e32 v228, s16
	s_add_i32 s16, s16, 1
	v_cmp_lt_f64_e32 vcc, v[148:149], v[150:151]
	v_add_u32_e32 v231, 16, v231
	s_cmp_lg_u32 s20, s16
	v_cndmask_b32_e32 v221, v221, v237, vcc
	v_cndmask_b32_e32 v220, v220, v236, vcc
	;; [unrolled: 1-line block ×5, first 2 shown]
	s_cbranch_scc1 .LBB108_505
.LBB108_506:
	s_waitcnt lgkmcnt(0)
	v_cmp_eq_f64_e32 vcc, 0, v[220:221]
	v_cmp_eq_f64_e64 s[0:1], 0, v[222:223]
	s_and_b64 s[0:1], vcc, s[0:1]
	s_and_saveexec_b64 s[16:17], s[0:1]
	s_xor_b64 s[0:1], exec, s[16:17]
; %bb.507:
	v_cmp_ne_u32_e32 vcc, 0, v234
	s_nop 1
	v_cndmask_b32_e32 v234, 25, v234, vcc
; %bb.508:
	s_andn2_saveexec_b64 s[0:1], s[0:1]
	s_cbranch_execz .LBB108_514
; %bb.509:
	v_cmp_ngt_f64_e64 s[16:17], |v[220:221]|, |v[222:223]|
	s_and_saveexec_b64 s[18:19], s[16:17]
	s_xor_b64 s[16:17], exec, s[18:19]
	s_cbranch_execz .LBB108_511
; %bb.510:
	v_div_scale_f64 v[148:149], s[18:19], v[222:223], v[222:223], v[220:221]
	v_rcp_f64_e32 v[150:151], v[148:149]
	v_div_scale_f64 v[226:227], vcc, v[220:221], v[222:223], v[220:221]
	v_fma_f64 v[228:229], -v[148:149], v[150:151], 1.0
	v_fmac_f64_e32 v[150:151], v[150:151], v[228:229]
	v_fma_f64 v[228:229], -v[148:149], v[150:151], 1.0
	v_fmac_f64_e32 v[150:151], v[150:151], v[228:229]
	v_mul_f64 v[228:229], v[226:227], v[150:151]
	v_fma_f64 v[148:149], -v[148:149], v[228:229], v[226:227]
	v_div_fmas_f64 v[148:149], v[148:149], v[150:151], v[228:229]
	v_div_fixup_f64 v[148:149], v[148:149], v[222:223], v[220:221]
	v_fmac_f64_e32 v[222:223], v[220:221], v[148:149]
	v_div_scale_f64 v[150:151], s[18:19], v[222:223], v[222:223], 1.0
	v_rcp_f64_e32 v[220:221], v[150:151]
	s_nop 0
	v_fma_f64 v[226:227], -v[150:151], v[220:221], 1.0
	v_fmac_f64_e32 v[220:221], v[220:221], v[226:227]
	v_fma_f64 v[226:227], -v[150:151], v[220:221], 1.0
	v_fmac_f64_e32 v[220:221], v[220:221], v[226:227]
	v_div_scale_f64 v[226:227], vcc, 1.0, v[222:223], 1.0
	v_mul_f64 v[228:229], v[226:227], v[220:221]
	v_fma_f64 v[150:151], -v[150:151], v[228:229], v[226:227]
	s_nop 1
	v_div_fmas_f64 v[150:151], v[150:151], v[220:221], v[228:229]
	v_div_fixup_f64 v[222:223], v[150:151], v[222:223], 1.0
	v_mul_f64 v[220:221], v[148:149], v[222:223]
	v_xor_b32_e32 v223, 0x80000000, v223
.LBB108_511:
	s_andn2_saveexec_b64 s[16:17], s[16:17]
	s_cbranch_execz .LBB108_513
; %bb.512:
	v_div_scale_f64 v[148:149], s[18:19], v[220:221], v[220:221], v[222:223]
	v_rcp_f64_e32 v[150:151], v[148:149]
	v_div_scale_f64 v[226:227], vcc, v[222:223], v[220:221], v[222:223]
	v_fma_f64 v[228:229], -v[148:149], v[150:151], 1.0
	v_fmac_f64_e32 v[150:151], v[150:151], v[228:229]
	v_fma_f64 v[228:229], -v[148:149], v[150:151], 1.0
	v_fmac_f64_e32 v[150:151], v[150:151], v[228:229]
	v_mul_f64 v[228:229], v[226:227], v[150:151]
	v_fma_f64 v[148:149], -v[148:149], v[228:229], v[226:227]
	v_div_fmas_f64 v[148:149], v[148:149], v[150:151], v[228:229]
	v_div_fixup_f64 v[148:149], v[148:149], v[220:221], v[222:223]
	v_fmac_f64_e32 v[220:221], v[222:223], v[148:149]
	v_div_scale_f64 v[150:151], s[18:19], v[220:221], v[220:221], 1.0
	v_rcp_f64_e32 v[222:223], v[150:151]
	s_nop 0
	v_fma_f64 v[226:227], -v[150:151], v[222:223], 1.0
	v_fmac_f64_e32 v[222:223], v[222:223], v[226:227]
	v_fma_f64 v[226:227], -v[150:151], v[222:223], 1.0
	v_fmac_f64_e32 v[222:223], v[222:223], v[226:227]
	v_div_scale_f64 v[226:227], vcc, 1.0, v[220:221], 1.0
	v_mul_f64 v[228:229], v[226:227], v[222:223]
	v_fma_f64 v[150:151], -v[150:151], v[228:229], v[226:227]
	s_nop 1
	v_div_fmas_f64 v[150:151], v[150:151], v[222:223], v[228:229]
	v_div_fixup_f64 v[220:221], v[150:151], v[220:221], 1.0
	v_mul_f64 v[222:223], v[148:149], -v[220:221]
.LBB108_513:
	s_or_b64 exec, exec, s[16:17]
.LBB108_514:
	s_or_b64 exec, exec, s[0:1]
	v_cmp_ne_u32_e32 vcc, v233, v230
	s_and_saveexec_b64 s[0:1], vcc
	s_xor_b64 s[0:1], exec, s[0:1]
	s_cbranch_execz .LBB108_520
; %bb.515:
	v_cmp_eq_u32_e32 vcc, 24, v233
	s_and_saveexec_b64 s[16:17], vcc
	s_cbranch_execz .LBB108_519
; %bb.516:
	v_cmp_ne_u32_e32 vcc, 24, v230
	s_xor_b64 s[18:19], s[14:15], -1
	s_and_b64 s[22:23], s[18:19], vcc
	s_and_saveexec_b64 s[18:19], s[22:23]
	s_cbranch_execz .LBB108_518
; %bb.517:
	v_ashrrev_i32_e32 v231, 31, v230
	s_waitcnt vmcnt(0)
	v_lshl_add_u64 v[148:149], v[230:231], 2, v[146:147]
	global_load_dword v150, v[148:149], off
	global_load_dword v151, v[146:147], off offset:96
	s_waitcnt vmcnt(1)
	global_store_dword v[146:147], v150, off offset:96
	s_waitcnt vmcnt(1)
	global_store_dword v[148:149], v151, off
.LBB108_518:
	s_or_b64 exec, exec, s[18:19]
	v_mov_b32_e32 v233, v230
	v_mov_b32_e32 v224, v230
.LBB108_519:
	s_or_b64 exec, exec, s[16:17]
.LBB108_520:
	s_andn2_saveexec_b64 s[0:1], s[0:1]
	s_cbranch_execz .LBB108_522
; %bb.521:
	v_mov_b32_e32 v233, 24
	ds_write2_b64 v232, v[112:113], v[114:115] offset0:50 offset1:51
	ds_write2_b64 v232, v[108:109], v[110:111] offset0:52 offset1:53
	;; [unrolled: 1-line block ×30, first 2 shown]
.LBB108_522:
	s_or_b64 exec, exec, s[0:1]
	v_cmp_lt_i32_e32 vcc, 24, v233
	s_waitcnt lgkmcnt(0)
	s_barrier
	s_and_saveexec_b64 s[0:1], vcc
	s_cbranch_execz .LBB108_524
; %bb.523:
	ds_read2_b64 v[236:239], v232 offset0:50 offset1:51
	v_mul_f64 v[148:149], v[222:223], v[118:119]
	v_mul_f64 v[118:119], v[220:221], v[118:119]
	v_fma_f64 v[230:231], v[220:221], v[116:117], -v[148:149]
	v_fmac_f64_e32 v[118:119], v[222:223], v[116:117]
	ds_read2_b64 v[220:223], v232 offset0:52 offset1:53
	s_waitcnt lgkmcnt(1)
	v_mul_f64 v[116:117], v[238:239], v[118:119]
	v_mul_f64 v[148:149], v[236:237], v[118:119]
	v_fma_f64 v[116:117], v[236:237], v[230:231], -v[116:117]
	v_fmac_f64_e32 v[148:149], v[238:239], v[230:231]
	ds_read2_b64 v[236:239], v232 offset0:54 offset1:55
	v_add_f64 v[112:113], v[112:113], -v[116:117]
	v_add_f64 v[114:115], v[114:115], -v[148:149]
	s_waitcnt lgkmcnt(1)
	v_mul_f64 v[116:117], v[222:223], v[118:119]
	v_mul_f64 v[148:149], v[220:221], v[118:119]
	v_fma_f64 v[116:117], v[220:221], v[230:231], -v[116:117]
	v_fmac_f64_e32 v[148:149], v[222:223], v[230:231]
	ds_read2_b64 v[220:223], v232 offset0:56 offset1:57
	v_add_f64 v[108:109], v[108:109], -v[116:117]
	v_add_f64 v[110:111], v[110:111], -v[148:149]
	;; [unrolled: 8-line block ×28, first 2 shown]
	s_waitcnt lgkmcnt(1)
	v_mul_f64 v[116:117], v[238:239], v[118:119]
	v_mul_f64 v[148:149], v[236:237], v[118:119]
	v_fma_f64 v[116:117], v[236:237], v[230:231], -v[116:117]
	v_fmac_f64_e32 v[148:149], v[238:239], v[230:231]
	v_add_f64 v[0:1], v[0:1], -v[116:117]
	v_add_f64 v[2:3], v[2:3], -v[148:149]
	s_waitcnt lgkmcnt(0)
	v_mul_f64 v[116:117], v[222:223], v[118:119]
	v_mul_f64 v[148:149], v[220:221], v[118:119]
	v_fma_f64 v[116:117], v[220:221], v[230:231], -v[116:117]
	v_fmac_f64_e32 v[148:149], v[222:223], v[230:231]
	v_add_f64 v[216:217], v[216:217], -v[116:117]
	v_add_f64 v[218:219], v[218:219], -v[148:149]
	v_mov_b64_e32 v[116:117], v[230:231]
.LBB108_524:
	s_or_b64 exec, exec, s[0:1]
	v_lshl_add_u32 v148, v233, 4, v232
	s_barrier
	ds_write2_b64 v148, v[112:113], v[114:115] offset1:1
	s_waitcnt lgkmcnt(0)
	s_barrier
	ds_read2_b64 v[220:223], v232 offset0:50 offset1:51
	s_cmp_lt_i32 s20, 27
	v_mov_b32_e32 v230, 25
	s_cbranch_scc1 .LBB108_527
; %bb.525:
	v_add_u32_e32 v231, 0x1a0, v232
	s_mov_b32 s16, 26
	v_mov_b32_e32 v230, 25
.LBB108_526:                            ; =>This Inner Loop Header: Depth=1
	ds_read2_b64 v[236:239], v231 offset1:1
	s_waitcnt lgkmcnt(1)
	v_xor_b32_e32 v149, 0x80000000, v221
	v_xor_b32_e32 v151, 0x80000000, v223
	v_cmp_gt_f64_e32 vcc, 0, v[222:223]
	v_cmp_gt_f64_e64 s[0:1], 0, v[220:221]
	v_mov_b32_e32 v148, v220
	v_mov_b32_e32 v150, v222
	v_cndmask_b32_e64 v149, v221, v149, s[0:1]
	v_cndmask_b32_e32 v151, v223, v151, vcc
	v_add_f64 v[148:149], v[148:149], v[150:151]
	s_waitcnt lgkmcnt(0)
	v_xor_b32_e32 v151, 0x80000000, v237
	v_xor_b32_e32 v227, 0x80000000, v239
	v_cmp_gt_f64_e32 vcc, 0, v[238:239]
	v_cmp_gt_f64_e64 s[0:1], 0, v[236:237]
	v_mov_b32_e32 v150, v236
	v_mov_b32_e32 v226, v238
	v_cndmask_b32_e64 v151, v237, v151, s[0:1]
	v_cndmask_b32_e32 v227, v239, v227, vcc
	v_add_f64 v[150:151], v[150:151], v[226:227]
	v_mov_b32_e32 v228, s16
	s_add_i32 s16, s16, 1
	v_cmp_lt_f64_e32 vcc, v[148:149], v[150:151]
	v_add_u32_e32 v231, 16, v231
	s_cmp_lg_u32 s20, s16
	v_cndmask_b32_e32 v221, v221, v237, vcc
	v_cndmask_b32_e32 v220, v220, v236, vcc
	;; [unrolled: 1-line block ×5, first 2 shown]
	s_cbranch_scc1 .LBB108_526
.LBB108_527:
	s_waitcnt lgkmcnt(0)
	v_cmp_eq_f64_e32 vcc, 0, v[220:221]
	v_cmp_eq_f64_e64 s[0:1], 0, v[222:223]
	s_and_b64 s[0:1], vcc, s[0:1]
	s_and_saveexec_b64 s[16:17], s[0:1]
	s_xor_b64 s[0:1], exec, s[16:17]
; %bb.528:
	v_cmp_ne_u32_e32 vcc, 0, v234
	s_nop 1
	v_cndmask_b32_e32 v234, 26, v234, vcc
; %bb.529:
	s_andn2_saveexec_b64 s[0:1], s[0:1]
	s_cbranch_execz .LBB108_535
; %bb.530:
	v_cmp_ngt_f64_e64 s[16:17], |v[220:221]|, |v[222:223]|
	s_and_saveexec_b64 s[18:19], s[16:17]
	s_xor_b64 s[16:17], exec, s[18:19]
	s_cbranch_execz .LBB108_532
; %bb.531:
	v_div_scale_f64 v[148:149], s[18:19], v[222:223], v[222:223], v[220:221]
	v_rcp_f64_e32 v[150:151], v[148:149]
	v_div_scale_f64 v[226:227], vcc, v[220:221], v[222:223], v[220:221]
	v_fma_f64 v[228:229], -v[148:149], v[150:151], 1.0
	v_fmac_f64_e32 v[150:151], v[150:151], v[228:229]
	v_fma_f64 v[228:229], -v[148:149], v[150:151], 1.0
	v_fmac_f64_e32 v[150:151], v[150:151], v[228:229]
	v_mul_f64 v[228:229], v[226:227], v[150:151]
	v_fma_f64 v[148:149], -v[148:149], v[228:229], v[226:227]
	v_div_fmas_f64 v[148:149], v[148:149], v[150:151], v[228:229]
	v_div_fixup_f64 v[148:149], v[148:149], v[222:223], v[220:221]
	v_fmac_f64_e32 v[222:223], v[220:221], v[148:149]
	v_div_scale_f64 v[150:151], s[18:19], v[222:223], v[222:223], 1.0
	v_rcp_f64_e32 v[220:221], v[150:151]
	s_nop 0
	v_fma_f64 v[226:227], -v[150:151], v[220:221], 1.0
	v_fmac_f64_e32 v[220:221], v[220:221], v[226:227]
	v_fma_f64 v[226:227], -v[150:151], v[220:221], 1.0
	v_fmac_f64_e32 v[220:221], v[220:221], v[226:227]
	v_div_scale_f64 v[226:227], vcc, 1.0, v[222:223], 1.0
	v_mul_f64 v[228:229], v[226:227], v[220:221]
	v_fma_f64 v[150:151], -v[150:151], v[228:229], v[226:227]
	s_nop 1
	v_div_fmas_f64 v[150:151], v[150:151], v[220:221], v[228:229]
	v_div_fixup_f64 v[222:223], v[150:151], v[222:223], 1.0
	v_mul_f64 v[220:221], v[148:149], v[222:223]
	v_xor_b32_e32 v223, 0x80000000, v223
.LBB108_532:
	s_andn2_saveexec_b64 s[16:17], s[16:17]
	s_cbranch_execz .LBB108_534
; %bb.533:
	v_div_scale_f64 v[148:149], s[18:19], v[220:221], v[220:221], v[222:223]
	v_rcp_f64_e32 v[150:151], v[148:149]
	v_div_scale_f64 v[226:227], vcc, v[222:223], v[220:221], v[222:223]
	v_fma_f64 v[228:229], -v[148:149], v[150:151], 1.0
	v_fmac_f64_e32 v[150:151], v[150:151], v[228:229]
	v_fma_f64 v[228:229], -v[148:149], v[150:151], 1.0
	v_fmac_f64_e32 v[150:151], v[150:151], v[228:229]
	v_mul_f64 v[228:229], v[226:227], v[150:151]
	v_fma_f64 v[148:149], -v[148:149], v[228:229], v[226:227]
	v_div_fmas_f64 v[148:149], v[148:149], v[150:151], v[228:229]
	v_div_fixup_f64 v[148:149], v[148:149], v[220:221], v[222:223]
	v_fmac_f64_e32 v[220:221], v[222:223], v[148:149]
	v_div_scale_f64 v[150:151], s[18:19], v[220:221], v[220:221], 1.0
	v_rcp_f64_e32 v[222:223], v[150:151]
	s_nop 0
	v_fma_f64 v[226:227], -v[150:151], v[222:223], 1.0
	v_fmac_f64_e32 v[222:223], v[222:223], v[226:227]
	v_fma_f64 v[226:227], -v[150:151], v[222:223], 1.0
	v_fmac_f64_e32 v[222:223], v[222:223], v[226:227]
	v_div_scale_f64 v[226:227], vcc, 1.0, v[220:221], 1.0
	v_mul_f64 v[228:229], v[226:227], v[222:223]
	v_fma_f64 v[150:151], -v[150:151], v[228:229], v[226:227]
	s_nop 1
	v_div_fmas_f64 v[150:151], v[150:151], v[222:223], v[228:229]
	v_div_fixup_f64 v[220:221], v[150:151], v[220:221], 1.0
	v_mul_f64 v[222:223], v[148:149], -v[220:221]
.LBB108_534:
	s_or_b64 exec, exec, s[16:17]
.LBB108_535:
	s_or_b64 exec, exec, s[0:1]
	v_cmp_ne_u32_e32 vcc, v233, v230
	s_and_saveexec_b64 s[0:1], vcc
	s_xor_b64 s[0:1], exec, s[0:1]
	s_cbranch_execz .LBB108_541
; %bb.536:
	v_cmp_eq_u32_e32 vcc, 25, v233
	s_and_saveexec_b64 s[16:17], vcc
	s_cbranch_execz .LBB108_540
; %bb.537:
	v_cmp_ne_u32_e32 vcc, 25, v230
	s_xor_b64 s[18:19], s[14:15], -1
	s_and_b64 s[22:23], s[18:19], vcc
	s_and_saveexec_b64 s[18:19], s[22:23]
	s_cbranch_execz .LBB108_539
; %bb.538:
	v_ashrrev_i32_e32 v231, 31, v230
	s_waitcnt vmcnt(0)
	v_lshl_add_u64 v[148:149], v[230:231], 2, v[146:147]
	global_load_dword v150, v[148:149], off
	global_load_dword v151, v[146:147], off offset:100
	s_waitcnt vmcnt(1)
	global_store_dword v[146:147], v150, off offset:100
	s_waitcnt vmcnt(1)
	global_store_dword v[148:149], v151, off
.LBB108_539:
	s_or_b64 exec, exec, s[18:19]
	v_mov_b32_e32 v233, v230
	v_mov_b32_e32 v224, v230
.LBB108_540:
	s_or_b64 exec, exec, s[16:17]
.LBB108_541:
	s_andn2_saveexec_b64 s[0:1], s[0:1]
	s_cbranch_execz .LBB108_543
; %bb.542:
	v_mov_b32_e32 v233, 25
	ds_write2_b64 v232, v[108:109], v[110:111] offset0:52 offset1:53
	ds_write2_b64 v232, v[104:105], v[106:107] offset0:54 offset1:55
	;; [unrolled: 1-line block ×29, first 2 shown]
.LBB108_543:
	s_or_b64 exec, exec, s[0:1]
	v_cmp_lt_i32_e32 vcc, 25, v233
	s_waitcnt lgkmcnt(0)
	s_barrier
	s_and_saveexec_b64 s[0:1], vcc
	s_cbranch_execz .LBB108_545
; %bb.544:
	ds_read2_b64 v[236:239], v232 offset0:52 offset1:53
	v_mul_f64 v[148:149], v[222:223], v[114:115]
	v_mul_f64 v[114:115], v[220:221], v[114:115]
	v_fma_f64 v[230:231], v[220:221], v[112:113], -v[148:149]
	v_fmac_f64_e32 v[114:115], v[222:223], v[112:113]
	ds_read2_b64 v[220:223], v232 offset0:54 offset1:55
	s_waitcnt lgkmcnt(1)
	v_mul_f64 v[112:113], v[238:239], v[114:115]
	v_mul_f64 v[148:149], v[236:237], v[114:115]
	v_fma_f64 v[112:113], v[236:237], v[230:231], -v[112:113]
	v_fmac_f64_e32 v[148:149], v[238:239], v[230:231]
	ds_read2_b64 v[236:239], v232 offset0:56 offset1:57
	v_add_f64 v[108:109], v[108:109], -v[112:113]
	v_add_f64 v[110:111], v[110:111], -v[148:149]
	s_waitcnt lgkmcnt(1)
	v_mul_f64 v[112:113], v[222:223], v[114:115]
	v_mul_f64 v[148:149], v[220:221], v[114:115]
	v_fma_f64 v[112:113], v[220:221], v[230:231], -v[112:113]
	v_fmac_f64_e32 v[148:149], v[222:223], v[230:231]
	ds_read2_b64 v[220:223], v232 offset0:58 offset1:59
	v_add_f64 v[104:105], v[104:105], -v[112:113]
	v_add_f64 v[106:107], v[106:107], -v[148:149]
	;; [unrolled: 8-line block ×27, first 2 shown]
	s_waitcnt lgkmcnt(1)
	v_mul_f64 v[112:113], v[222:223], v[114:115]
	v_mul_f64 v[148:149], v[220:221], v[114:115]
	v_fma_f64 v[112:113], v[220:221], v[230:231], -v[112:113]
	v_fmac_f64_e32 v[148:149], v[222:223], v[230:231]
	v_add_f64 v[0:1], v[0:1], -v[112:113]
	v_add_f64 v[2:3], v[2:3], -v[148:149]
	s_waitcnt lgkmcnt(0)
	v_mul_f64 v[112:113], v[238:239], v[114:115]
	v_mul_f64 v[148:149], v[236:237], v[114:115]
	v_fma_f64 v[112:113], v[236:237], v[230:231], -v[112:113]
	v_fmac_f64_e32 v[148:149], v[238:239], v[230:231]
	v_add_f64 v[216:217], v[216:217], -v[112:113]
	v_add_f64 v[218:219], v[218:219], -v[148:149]
	v_mov_b64_e32 v[112:113], v[230:231]
.LBB108_545:
	s_or_b64 exec, exec, s[0:1]
	v_lshl_add_u32 v148, v233, 4, v232
	s_barrier
	ds_write2_b64 v148, v[108:109], v[110:111] offset1:1
	s_waitcnt lgkmcnt(0)
	s_barrier
	ds_read2_b64 v[220:223], v232 offset0:52 offset1:53
	s_cmp_lt_i32 s20, 28
	v_mov_b32_e32 v230, 26
	s_cbranch_scc1 .LBB108_548
; %bb.546:
	v_add_u32_e32 v231, 0x1b0, v232
	s_mov_b32 s16, 27
	v_mov_b32_e32 v230, 26
.LBB108_547:                            ; =>This Inner Loop Header: Depth=1
	ds_read2_b64 v[236:239], v231 offset1:1
	s_waitcnt lgkmcnt(1)
	v_xor_b32_e32 v149, 0x80000000, v221
	v_xor_b32_e32 v151, 0x80000000, v223
	v_cmp_gt_f64_e32 vcc, 0, v[222:223]
	v_cmp_gt_f64_e64 s[0:1], 0, v[220:221]
	v_mov_b32_e32 v148, v220
	v_mov_b32_e32 v150, v222
	v_cndmask_b32_e64 v149, v221, v149, s[0:1]
	v_cndmask_b32_e32 v151, v223, v151, vcc
	v_add_f64 v[148:149], v[148:149], v[150:151]
	s_waitcnt lgkmcnt(0)
	v_xor_b32_e32 v151, 0x80000000, v237
	v_xor_b32_e32 v227, 0x80000000, v239
	v_cmp_gt_f64_e32 vcc, 0, v[238:239]
	v_cmp_gt_f64_e64 s[0:1], 0, v[236:237]
	v_mov_b32_e32 v150, v236
	v_mov_b32_e32 v226, v238
	v_cndmask_b32_e64 v151, v237, v151, s[0:1]
	v_cndmask_b32_e32 v227, v239, v227, vcc
	v_add_f64 v[150:151], v[150:151], v[226:227]
	v_mov_b32_e32 v228, s16
	s_add_i32 s16, s16, 1
	v_cmp_lt_f64_e32 vcc, v[148:149], v[150:151]
	v_add_u32_e32 v231, 16, v231
	s_cmp_lg_u32 s20, s16
	v_cndmask_b32_e32 v221, v221, v237, vcc
	v_cndmask_b32_e32 v220, v220, v236, vcc
	;; [unrolled: 1-line block ×5, first 2 shown]
	s_cbranch_scc1 .LBB108_547
.LBB108_548:
	s_waitcnt lgkmcnt(0)
	v_cmp_eq_f64_e32 vcc, 0, v[220:221]
	v_cmp_eq_f64_e64 s[0:1], 0, v[222:223]
	s_and_b64 s[0:1], vcc, s[0:1]
	s_and_saveexec_b64 s[16:17], s[0:1]
	s_xor_b64 s[0:1], exec, s[16:17]
; %bb.549:
	v_cmp_ne_u32_e32 vcc, 0, v234
	s_nop 1
	v_cndmask_b32_e32 v234, 27, v234, vcc
; %bb.550:
	s_andn2_saveexec_b64 s[0:1], s[0:1]
	s_cbranch_execz .LBB108_556
; %bb.551:
	v_cmp_ngt_f64_e64 s[16:17], |v[220:221]|, |v[222:223]|
	s_and_saveexec_b64 s[18:19], s[16:17]
	s_xor_b64 s[16:17], exec, s[18:19]
	s_cbranch_execz .LBB108_553
; %bb.552:
	v_div_scale_f64 v[148:149], s[18:19], v[222:223], v[222:223], v[220:221]
	v_rcp_f64_e32 v[150:151], v[148:149]
	v_div_scale_f64 v[226:227], vcc, v[220:221], v[222:223], v[220:221]
	v_fma_f64 v[228:229], -v[148:149], v[150:151], 1.0
	v_fmac_f64_e32 v[150:151], v[150:151], v[228:229]
	v_fma_f64 v[228:229], -v[148:149], v[150:151], 1.0
	v_fmac_f64_e32 v[150:151], v[150:151], v[228:229]
	v_mul_f64 v[228:229], v[226:227], v[150:151]
	v_fma_f64 v[148:149], -v[148:149], v[228:229], v[226:227]
	v_div_fmas_f64 v[148:149], v[148:149], v[150:151], v[228:229]
	v_div_fixup_f64 v[148:149], v[148:149], v[222:223], v[220:221]
	v_fmac_f64_e32 v[222:223], v[220:221], v[148:149]
	v_div_scale_f64 v[150:151], s[18:19], v[222:223], v[222:223], 1.0
	v_rcp_f64_e32 v[220:221], v[150:151]
	s_nop 0
	v_fma_f64 v[226:227], -v[150:151], v[220:221], 1.0
	v_fmac_f64_e32 v[220:221], v[220:221], v[226:227]
	v_fma_f64 v[226:227], -v[150:151], v[220:221], 1.0
	v_fmac_f64_e32 v[220:221], v[220:221], v[226:227]
	v_div_scale_f64 v[226:227], vcc, 1.0, v[222:223], 1.0
	v_mul_f64 v[228:229], v[226:227], v[220:221]
	v_fma_f64 v[150:151], -v[150:151], v[228:229], v[226:227]
	s_nop 1
	v_div_fmas_f64 v[150:151], v[150:151], v[220:221], v[228:229]
	v_div_fixup_f64 v[222:223], v[150:151], v[222:223], 1.0
	v_mul_f64 v[220:221], v[148:149], v[222:223]
	v_xor_b32_e32 v223, 0x80000000, v223
.LBB108_553:
	s_andn2_saveexec_b64 s[16:17], s[16:17]
	s_cbranch_execz .LBB108_555
; %bb.554:
	v_div_scale_f64 v[148:149], s[18:19], v[220:221], v[220:221], v[222:223]
	v_rcp_f64_e32 v[150:151], v[148:149]
	v_div_scale_f64 v[226:227], vcc, v[222:223], v[220:221], v[222:223]
	v_fma_f64 v[228:229], -v[148:149], v[150:151], 1.0
	v_fmac_f64_e32 v[150:151], v[150:151], v[228:229]
	v_fma_f64 v[228:229], -v[148:149], v[150:151], 1.0
	v_fmac_f64_e32 v[150:151], v[150:151], v[228:229]
	v_mul_f64 v[228:229], v[226:227], v[150:151]
	v_fma_f64 v[148:149], -v[148:149], v[228:229], v[226:227]
	v_div_fmas_f64 v[148:149], v[148:149], v[150:151], v[228:229]
	v_div_fixup_f64 v[148:149], v[148:149], v[220:221], v[222:223]
	v_fmac_f64_e32 v[220:221], v[222:223], v[148:149]
	v_div_scale_f64 v[150:151], s[18:19], v[220:221], v[220:221], 1.0
	v_rcp_f64_e32 v[222:223], v[150:151]
	s_nop 0
	v_fma_f64 v[226:227], -v[150:151], v[222:223], 1.0
	v_fmac_f64_e32 v[222:223], v[222:223], v[226:227]
	v_fma_f64 v[226:227], -v[150:151], v[222:223], 1.0
	v_fmac_f64_e32 v[222:223], v[222:223], v[226:227]
	v_div_scale_f64 v[226:227], vcc, 1.0, v[220:221], 1.0
	v_mul_f64 v[228:229], v[226:227], v[222:223]
	v_fma_f64 v[150:151], -v[150:151], v[228:229], v[226:227]
	s_nop 1
	v_div_fmas_f64 v[150:151], v[150:151], v[222:223], v[228:229]
	v_div_fixup_f64 v[220:221], v[150:151], v[220:221], 1.0
	v_mul_f64 v[222:223], v[148:149], -v[220:221]
.LBB108_555:
	s_or_b64 exec, exec, s[16:17]
.LBB108_556:
	s_or_b64 exec, exec, s[0:1]
	v_cmp_ne_u32_e32 vcc, v233, v230
	s_and_saveexec_b64 s[0:1], vcc
	s_xor_b64 s[0:1], exec, s[0:1]
	s_cbranch_execz .LBB108_562
; %bb.557:
	v_cmp_eq_u32_e32 vcc, 26, v233
	s_and_saveexec_b64 s[16:17], vcc
	s_cbranch_execz .LBB108_561
; %bb.558:
	v_cmp_ne_u32_e32 vcc, 26, v230
	s_xor_b64 s[18:19], s[14:15], -1
	s_and_b64 s[22:23], s[18:19], vcc
	s_and_saveexec_b64 s[18:19], s[22:23]
	s_cbranch_execz .LBB108_560
; %bb.559:
	v_ashrrev_i32_e32 v231, 31, v230
	s_waitcnt vmcnt(0)
	v_lshl_add_u64 v[148:149], v[230:231], 2, v[146:147]
	global_load_dword v150, v[148:149], off
	global_load_dword v151, v[146:147], off offset:104
	s_waitcnt vmcnt(1)
	global_store_dword v[146:147], v150, off offset:104
	s_waitcnt vmcnt(1)
	global_store_dword v[148:149], v151, off
.LBB108_560:
	s_or_b64 exec, exec, s[18:19]
	v_mov_b32_e32 v233, v230
	v_mov_b32_e32 v224, v230
.LBB108_561:
	s_or_b64 exec, exec, s[16:17]
.LBB108_562:
	s_andn2_saveexec_b64 s[0:1], s[0:1]
	s_cbranch_execz .LBB108_564
; %bb.563:
	v_mov_b32_e32 v233, 26
	ds_write2_b64 v232, v[104:105], v[106:107] offset0:54 offset1:55
	ds_write2_b64 v232, v[100:101], v[102:103] offset0:56 offset1:57
	;; [unrolled: 1-line block ×28, first 2 shown]
.LBB108_564:
	s_or_b64 exec, exec, s[0:1]
	v_cmp_lt_i32_e32 vcc, 26, v233
	s_waitcnt lgkmcnt(0)
	s_barrier
	s_and_saveexec_b64 s[0:1], vcc
	s_cbranch_execz .LBB108_566
; %bb.565:
	ds_read2_b64 v[236:239], v232 offset0:54 offset1:55
	v_mul_f64 v[148:149], v[222:223], v[110:111]
	v_mul_f64 v[110:111], v[220:221], v[110:111]
	v_fma_f64 v[230:231], v[220:221], v[108:109], -v[148:149]
	v_fmac_f64_e32 v[110:111], v[222:223], v[108:109]
	ds_read2_b64 v[220:223], v232 offset0:56 offset1:57
	s_waitcnt lgkmcnt(1)
	v_mul_f64 v[108:109], v[238:239], v[110:111]
	v_mul_f64 v[148:149], v[236:237], v[110:111]
	v_fma_f64 v[108:109], v[236:237], v[230:231], -v[108:109]
	v_fmac_f64_e32 v[148:149], v[238:239], v[230:231]
	ds_read2_b64 v[236:239], v232 offset0:58 offset1:59
	v_add_f64 v[104:105], v[104:105], -v[108:109]
	v_add_f64 v[106:107], v[106:107], -v[148:149]
	s_waitcnt lgkmcnt(1)
	v_mul_f64 v[108:109], v[222:223], v[110:111]
	v_mul_f64 v[148:149], v[220:221], v[110:111]
	v_fma_f64 v[108:109], v[220:221], v[230:231], -v[108:109]
	v_fmac_f64_e32 v[148:149], v[222:223], v[230:231]
	ds_read2_b64 v[220:223], v232 offset0:60 offset1:61
	v_add_f64 v[100:101], v[100:101], -v[108:109]
	v_add_f64 v[102:103], v[102:103], -v[148:149]
	s_waitcnt lgkmcnt(1)
	v_mul_f64 v[108:109], v[238:239], v[110:111]
	v_mul_f64 v[148:149], v[236:237], v[110:111]
	v_fma_f64 v[108:109], v[236:237], v[230:231], -v[108:109]
	v_fmac_f64_e32 v[148:149], v[238:239], v[230:231]
	ds_read2_b64 v[236:239], v232 offset0:62 offset1:63
	v_add_f64 v[96:97], v[96:97], -v[108:109]
	v_add_f64 v[98:99], v[98:99], -v[148:149]
	s_waitcnt lgkmcnt(1)
	v_mul_f64 v[108:109], v[222:223], v[110:111]
	v_mul_f64 v[148:149], v[220:221], v[110:111]
	v_fma_f64 v[108:109], v[220:221], v[230:231], -v[108:109]
	v_fmac_f64_e32 v[148:149], v[222:223], v[230:231]
	ds_read2_b64 v[220:223], v232 offset0:64 offset1:65
	v_add_f64 v[92:93], v[92:93], -v[108:109]
	v_add_f64 v[94:95], v[94:95], -v[148:149]
	s_waitcnt lgkmcnt(1)
	v_mul_f64 v[108:109], v[238:239], v[110:111]
	v_mul_f64 v[148:149], v[236:237], v[110:111]
	v_fma_f64 v[108:109], v[236:237], v[230:231], -v[108:109]
	v_fmac_f64_e32 v[148:149], v[238:239], v[230:231]
	ds_read2_b64 v[236:239], v232 offset0:66 offset1:67
	v_add_f64 v[88:89], v[88:89], -v[108:109]
	v_add_f64 v[90:91], v[90:91], -v[148:149]
	s_waitcnt lgkmcnt(1)
	v_mul_f64 v[108:109], v[222:223], v[110:111]
	v_mul_f64 v[148:149], v[220:221], v[110:111]
	v_fma_f64 v[108:109], v[220:221], v[230:231], -v[108:109]
	v_fmac_f64_e32 v[148:149], v[222:223], v[230:231]
	ds_read2_b64 v[220:223], v232 offset0:68 offset1:69
	v_add_f64 v[84:85], v[84:85], -v[108:109]
	v_add_f64 v[86:87], v[86:87], -v[148:149]
	s_waitcnt lgkmcnt(1)
	v_mul_f64 v[108:109], v[238:239], v[110:111]
	v_mul_f64 v[148:149], v[236:237], v[110:111]
	v_fma_f64 v[108:109], v[236:237], v[230:231], -v[108:109]
	v_fmac_f64_e32 v[148:149], v[238:239], v[230:231]
	ds_read2_b64 v[236:239], v232 offset0:70 offset1:71
	v_add_f64 v[80:81], v[80:81], -v[108:109]
	v_add_f64 v[82:83], v[82:83], -v[148:149]
	s_waitcnt lgkmcnt(1)
	v_mul_f64 v[108:109], v[222:223], v[110:111]
	v_mul_f64 v[148:149], v[220:221], v[110:111]
	v_fma_f64 v[108:109], v[220:221], v[230:231], -v[108:109]
	v_fmac_f64_e32 v[148:149], v[222:223], v[230:231]
	ds_read2_b64 v[220:223], v232 offset0:72 offset1:73
	v_add_f64 v[76:77], v[76:77], -v[108:109]
	v_add_f64 v[78:79], v[78:79], -v[148:149]
	s_waitcnt lgkmcnt(1)
	v_mul_f64 v[108:109], v[238:239], v[110:111]
	v_mul_f64 v[148:149], v[236:237], v[110:111]
	v_fma_f64 v[108:109], v[236:237], v[230:231], -v[108:109]
	v_fmac_f64_e32 v[148:149], v[238:239], v[230:231]
	ds_read2_b64 v[236:239], v232 offset0:74 offset1:75
	v_add_f64 v[72:73], v[72:73], -v[108:109]
	v_add_f64 v[74:75], v[74:75], -v[148:149]
	s_waitcnt lgkmcnt(1)
	v_mul_f64 v[108:109], v[222:223], v[110:111]
	v_mul_f64 v[148:149], v[220:221], v[110:111]
	v_fma_f64 v[108:109], v[220:221], v[230:231], -v[108:109]
	v_fmac_f64_e32 v[148:149], v[222:223], v[230:231]
	ds_read2_b64 v[220:223], v232 offset0:76 offset1:77
	v_add_f64 v[68:69], v[68:69], -v[108:109]
	v_add_f64 v[70:71], v[70:71], -v[148:149]
	s_waitcnt lgkmcnt(1)
	v_mul_f64 v[108:109], v[238:239], v[110:111]
	v_mul_f64 v[148:149], v[236:237], v[110:111]
	v_fma_f64 v[108:109], v[236:237], v[230:231], -v[108:109]
	v_fmac_f64_e32 v[148:149], v[238:239], v[230:231]
	ds_read2_b64 v[236:239], v232 offset0:78 offset1:79
	v_add_f64 v[64:65], v[64:65], -v[108:109]
	v_add_f64 v[66:67], v[66:67], -v[148:149]
	s_waitcnt lgkmcnt(1)
	v_mul_f64 v[108:109], v[222:223], v[110:111]
	v_mul_f64 v[148:149], v[220:221], v[110:111]
	v_fma_f64 v[108:109], v[220:221], v[230:231], -v[108:109]
	v_fmac_f64_e32 v[148:149], v[222:223], v[230:231]
	ds_read2_b64 v[220:223], v232 offset0:80 offset1:81
	v_add_f64 v[60:61], v[60:61], -v[108:109]
	v_add_f64 v[62:63], v[62:63], -v[148:149]
	s_waitcnt lgkmcnt(1)
	v_mul_f64 v[108:109], v[238:239], v[110:111]
	v_mul_f64 v[148:149], v[236:237], v[110:111]
	v_fma_f64 v[108:109], v[236:237], v[230:231], -v[108:109]
	v_fmac_f64_e32 v[148:149], v[238:239], v[230:231]
	ds_read2_b64 v[236:239], v232 offset0:82 offset1:83
	v_add_f64 v[56:57], v[56:57], -v[108:109]
	v_add_f64 v[58:59], v[58:59], -v[148:149]
	s_waitcnt lgkmcnt(1)
	v_mul_f64 v[108:109], v[222:223], v[110:111]
	v_mul_f64 v[148:149], v[220:221], v[110:111]
	v_fma_f64 v[108:109], v[220:221], v[230:231], -v[108:109]
	v_fmac_f64_e32 v[148:149], v[222:223], v[230:231]
	ds_read2_b64 v[220:223], v232 offset0:84 offset1:85
	v_add_f64 v[52:53], v[52:53], -v[108:109]
	v_add_f64 v[54:55], v[54:55], -v[148:149]
	s_waitcnt lgkmcnt(1)
	v_mul_f64 v[108:109], v[238:239], v[110:111]
	v_mul_f64 v[148:149], v[236:237], v[110:111]
	v_fma_f64 v[108:109], v[236:237], v[230:231], -v[108:109]
	v_fmac_f64_e32 v[148:149], v[238:239], v[230:231]
	ds_read2_b64 v[236:239], v232 offset0:86 offset1:87
	v_add_f64 v[48:49], v[48:49], -v[108:109]
	v_add_f64 v[50:51], v[50:51], -v[148:149]
	s_waitcnt lgkmcnt(1)
	v_mul_f64 v[108:109], v[222:223], v[110:111]
	v_mul_f64 v[148:149], v[220:221], v[110:111]
	v_fma_f64 v[108:109], v[220:221], v[230:231], -v[108:109]
	v_fmac_f64_e32 v[148:149], v[222:223], v[230:231]
	ds_read2_b64 v[220:223], v232 offset0:88 offset1:89
	v_add_f64 v[44:45], v[44:45], -v[108:109]
	v_add_f64 v[46:47], v[46:47], -v[148:149]
	s_waitcnt lgkmcnt(1)
	v_mul_f64 v[108:109], v[238:239], v[110:111]
	v_mul_f64 v[148:149], v[236:237], v[110:111]
	v_fma_f64 v[108:109], v[236:237], v[230:231], -v[108:109]
	v_fmac_f64_e32 v[148:149], v[238:239], v[230:231]
	ds_read2_b64 v[236:239], v232 offset0:90 offset1:91
	v_add_f64 v[40:41], v[40:41], -v[108:109]
	v_add_f64 v[42:43], v[42:43], -v[148:149]
	s_waitcnt lgkmcnt(1)
	v_mul_f64 v[108:109], v[222:223], v[110:111]
	v_mul_f64 v[148:149], v[220:221], v[110:111]
	v_fma_f64 v[108:109], v[220:221], v[230:231], -v[108:109]
	v_fmac_f64_e32 v[148:149], v[222:223], v[230:231]
	ds_read2_b64 v[220:223], v232 offset0:92 offset1:93
	v_add_f64 v[36:37], v[36:37], -v[108:109]
	v_add_f64 v[38:39], v[38:39], -v[148:149]
	s_waitcnt lgkmcnt(1)
	v_mul_f64 v[108:109], v[238:239], v[110:111]
	v_mul_f64 v[148:149], v[236:237], v[110:111]
	v_fma_f64 v[108:109], v[236:237], v[230:231], -v[108:109]
	v_fmac_f64_e32 v[148:149], v[238:239], v[230:231]
	ds_read2_b64 v[236:239], v232 offset0:94 offset1:95
	v_add_f64 v[32:33], v[32:33], -v[108:109]
	v_add_f64 v[34:35], v[34:35], -v[148:149]
	s_waitcnt lgkmcnt(1)
	v_mul_f64 v[108:109], v[222:223], v[110:111]
	v_mul_f64 v[148:149], v[220:221], v[110:111]
	v_fma_f64 v[108:109], v[220:221], v[230:231], -v[108:109]
	v_fmac_f64_e32 v[148:149], v[222:223], v[230:231]
	ds_read2_b64 v[220:223], v232 offset0:96 offset1:97
	v_add_f64 v[28:29], v[28:29], -v[108:109]
	v_add_f64 v[30:31], v[30:31], -v[148:149]
	s_waitcnt lgkmcnt(1)
	v_mul_f64 v[108:109], v[238:239], v[110:111]
	v_mul_f64 v[148:149], v[236:237], v[110:111]
	v_fma_f64 v[108:109], v[236:237], v[230:231], -v[108:109]
	v_fmac_f64_e32 v[148:149], v[238:239], v[230:231]
	ds_read2_b64 v[236:239], v232 offset0:98 offset1:99
	v_add_f64 v[24:25], v[24:25], -v[108:109]
	v_add_f64 v[26:27], v[26:27], -v[148:149]
	s_waitcnt lgkmcnt(1)
	v_mul_f64 v[108:109], v[222:223], v[110:111]
	v_mul_f64 v[148:149], v[220:221], v[110:111]
	v_fma_f64 v[108:109], v[220:221], v[230:231], -v[108:109]
	v_fmac_f64_e32 v[148:149], v[222:223], v[230:231]
	ds_read2_b64 v[220:223], v232 offset0:100 offset1:101
	v_add_f64 v[20:21], v[20:21], -v[108:109]
	v_add_f64 v[22:23], v[22:23], -v[148:149]
	s_waitcnt lgkmcnt(1)
	v_mul_f64 v[108:109], v[238:239], v[110:111]
	v_mul_f64 v[148:149], v[236:237], v[110:111]
	v_fma_f64 v[108:109], v[236:237], v[230:231], -v[108:109]
	v_fmac_f64_e32 v[148:149], v[238:239], v[230:231]
	ds_read2_b64 v[236:239], v232 offset0:102 offset1:103
	v_add_f64 v[16:17], v[16:17], -v[108:109]
	v_add_f64 v[18:19], v[18:19], -v[148:149]
	s_waitcnt lgkmcnt(1)
	v_mul_f64 v[108:109], v[222:223], v[110:111]
	v_mul_f64 v[148:149], v[220:221], v[110:111]
	v_fma_f64 v[108:109], v[220:221], v[230:231], -v[108:109]
	v_fmac_f64_e32 v[148:149], v[222:223], v[230:231]
	ds_read2_b64 v[220:223], v232 offset0:104 offset1:105
	v_add_f64 v[12:13], v[12:13], -v[108:109]
	v_add_f64 v[14:15], v[14:15], -v[148:149]
	s_waitcnt lgkmcnt(1)
	v_mul_f64 v[108:109], v[238:239], v[110:111]
	v_mul_f64 v[148:149], v[236:237], v[110:111]
	v_fma_f64 v[108:109], v[236:237], v[230:231], -v[108:109]
	v_fmac_f64_e32 v[148:149], v[238:239], v[230:231]
	ds_read2_b64 v[236:239], v232 offset0:106 offset1:107
	v_add_f64 v[8:9], v[8:9], -v[108:109]
	v_add_f64 v[10:11], v[10:11], -v[148:149]
	s_waitcnt lgkmcnt(1)
	v_mul_f64 v[108:109], v[222:223], v[110:111]
	v_mul_f64 v[148:149], v[220:221], v[110:111]
	v_fma_f64 v[108:109], v[220:221], v[230:231], -v[108:109]
	v_fmac_f64_e32 v[148:149], v[222:223], v[230:231]
	ds_read2_b64 v[220:223], v232 offset0:108 offset1:109
	v_add_f64 v[4:5], v[4:5], -v[108:109]
	v_add_f64 v[6:7], v[6:7], -v[148:149]
	s_waitcnt lgkmcnt(1)
	v_mul_f64 v[108:109], v[238:239], v[110:111]
	v_mul_f64 v[148:149], v[236:237], v[110:111]
	v_fma_f64 v[108:109], v[236:237], v[230:231], -v[108:109]
	v_fmac_f64_e32 v[148:149], v[238:239], v[230:231]
	v_add_f64 v[0:1], v[0:1], -v[108:109]
	v_add_f64 v[2:3], v[2:3], -v[148:149]
	s_waitcnt lgkmcnt(0)
	v_mul_f64 v[108:109], v[222:223], v[110:111]
	v_mul_f64 v[148:149], v[220:221], v[110:111]
	v_fma_f64 v[108:109], v[220:221], v[230:231], -v[108:109]
	v_fmac_f64_e32 v[148:149], v[222:223], v[230:231]
	v_add_f64 v[216:217], v[216:217], -v[108:109]
	v_add_f64 v[218:219], v[218:219], -v[148:149]
	v_mov_b64_e32 v[108:109], v[230:231]
.LBB108_566:
	s_or_b64 exec, exec, s[0:1]
	v_lshl_add_u32 v148, v233, 4, v232
	s_barrier
	ds_write2_b64 v148, v[104:105], v[106:107] offset1:1
	s_waitcnt lgkmcnt(0)
	s_barrier
	ds_read2_b64 v[220:223], v232 offset0:54 offset1:55
	s_cmp_lt_i32 s20, 29
	v_mov_b32_e32 v230, 27
	s_cbranch_scc1 .LBB108_569
; %bb.567:
	v_add_u32_e32 v231, 0x1c0, v232
	s_mov_b32 s16, 28
	v_mov_b32_e32 v230, 27
.LBB108_568:                            ; =>This Inner Loop Header: Depth=1
	ds_read2_b64 v[236:239], v231 offset1:1
	s_waitcnt lgkmcnt(1)
	v_xor_b32_e32 v149, 0x80000000, v221
	v_xor_b32_e32 v151, 0x80000000, v223
	v_cmp_gt_f64_e32 vcc, 0, v[222:223]
	v_cmp_gt_f64_e64 s[0:1], 0, v[220:221]
	v_mov_b32_e32 v148, v220
	v_mov_b32_e32 v150, v222
	v_cndmask_b32_e64 v149, v221, v149, s[0:1]
	v_cndmask_b32_e32 v151, v223, v151, vcc
	v_add_f64 v[148:149], v[148:149], v[150:151]
	s_waitcnt lgkmcnt(0)
	v_xor_b32_e32 v151, 0x80000000, v237
	v_xor_b32_e32 v227, 0x80000000, v239
	v_cmp_gt_f64_e32 vcc, 0, v[238:239]
	v_cmp_gt_f64_e64 s[0:1], 0, v[236:237]
	v_mov_b32_e32 v150, v236
	v_mov_b32_e32 v226, v238
	v_cndmask_b32_e64 v151, v237, v151, s[0:1]
	v_cndmask_b32_e32 v227, v239, v227, vcc
	v_add_f64 v[150:151], v[150:151], v[226:227]
	v_mov_b32_e32 v228, s16
	s_add_i32 s16, s16, 1
	v_cmp_lt_f64_e32 vcc, v[148:149], v[150:151]
	v_add_u32_e32 v231, 16, v231
	s_cmp_lg_u32 s20, s16
	v_cndmask_b32_e32 v221, v221, v237, vcc
	v_cndmask_b32_e32 v220, v220, v236, vcc
	;; [unrolled: 1-line block ×5, first 2 shown]
	s_cbranch_scc1 .LBB108_568
.LBB108_569:
	s_waitcnt lgkmcnt(0)
	v_cmp_eq_f64_e32 vcc, 0, v[220:221]
	v_cmp_eq_f64_e64 s[0:1], 0, v[222:223]
	s_and_b64 s[0:1], vcc, s[0:1]
	s_and_saveexec_b64 s[16:17], s[0:1]
	s_xor_b64 s[0:1], exec, s[16:17]
; %bb.570:
	v_cmp_ne_u32_e32 vcc, 0, v234
	s_nop 1
	v_cndmask_b32_e32 v234, 28, v234, vcc
; %bb.571:
	s_andn2_saveexec_b64 s[0:1], s[0:1]
	s_cbranch_execz .LBB108_577
; %bb.572:
	v_cmp_ngt_f64_e64 s[16:17], |v[220:221]|, |v[222:223]|
	s_and_saveexec_b64 s[18:19], s[16:17]
	s_xor_b64 s[16:17], exec, s[18:19]
	s_cbranch_execz .LBB108_574
; %bb.573:
	v_div_scale_f64 v[148:149], s[18:19], v[222:223], v[222:223], v[220:221]
	v_rcp_f64_e32 v[150:151], v[148:149]
	v_div_scale_f64 v[226:227], vcc, v[220:221], v[222:223], v[220:221]
	v_fma_f64 v[228:229], -v[148:149], v[150:151], 1.0
	v_fmac_f64_e32 v[150:151], v[150:151], v[228:229]
	v_fma_f64 v[228:229], -v[148:149], v[150:151], 1.0
	v_fmac_f64_e32 v[150:151], v[150:151], v[228:229]
	v_mul_f64 v[228:229], v[226:227], v[150:151]
	v_fma_f64 v[148:149], -v[148:149], v[228:229], v[226:227]
	v_div_fmas_f64 v[148:149], v[148:149], v[150:151], v[228:229]
	v_div_fixup_f64 v[148:149], v[148:149], v[222:223], v[220:221]
	v_fmac_f64_e32 v[222:223], v[220:221], v[148:149]
	v_div_scale_f64 v[150:151], s[18:19], v[222:223], v[222:223], 1.0
	v_rcp_f64_e32 v[220:221], v[150:151]
	s_nop 0
	v_fma_f64 v[226:227], -v[150:151], v[220:221], 1.0
	v_fmac_f64_e32 v[220:221], v[220:221], v[226:227]
	v_fma_f64 v[226:227], -v[150:151], v[220:221], 1.0
	v_fmac_f64_e32 v[220:221], v[220:221], v[226:227]
	v_div_scale_f64 v[226:227], vcc, 1.0, v[222:223], 1.0
	v_mul_f64 v[228:229], v[226:227], v[220:221]
	v_fma_f64 v[150:151], -v[150:151], v[228:229], v[226:227]
	s_nop 1
	v_div_fmas_f64 v[150:151], v[150:151], v[220:221], v[228:229]
	v_div_fixup_f64 v[222:223], v[150:151], v[222:223], 1.0
	v_mul_f64 v[220:221], v[148:149], v[222:223]
	v_xor_b32_e32 v223, 0x80000000, v223
.LBB108_574:
	s_andn2_saveexec_b64 s[16:17], s[16:17]
	s_cbranch_execz .LBB108_576
; %bb.575:
	v_div_scale_f64 v[148:149], s[18:19], v[220:221], v[220:221], v[222:223]
	v_rcp_f64_e32 v[150:151], v[148:149]
	v_div_scale_f64 v[226:227], vcc, v[222:223], v[220:221], v[222:223]
	v_fma_f64 v[228:229], -v[148:149], v[150:151], 1.0
	v_fmac_f64_e32 v[150:151], v[150:151], v[228:229]
	v_fma_f64 v[228:229], -v[148:149], v[150:151], 1.0
	v_fmac_f64_e32 v[150:151], v[150:151], v[228:229]
	v_mul_f64 v[228:229], v[226:227], v[150:151]
	v_fma_f64 v[148:149], -v[148:149], v[228:229], v[226:227]
	v_div_fmas_f64 v[148:149], v[148:149], v[150:151], v[228:229]
	v_div_fixup_f64 v[148:149], v[148:149], v[220:221], v[222:223]
	v_fmac_f64_e32 v[220:221], v[222:223], v[148:149]
	v_div_scale_f64 v[150:151], s[18:19], v[220:221], v[220:221], 1.0
	v_rcp_f64_e32 v[222:223], v[150:151]
	s_nop 0
	v_fma_f64 v[226:227], -v[150:151], v[222:223], 1.0
	v_fmac_f64_e32 v[222:223], v[222:223], v[226:227]
	v_fma_f64 v[226:227], -v[150:151], v[222:223], 1.0
	v_fmac_f64_e32 v[222:223], v[222:223], v[226:227]
	v_div_scale_f64 v[226:227], vcc, 1.0, v[220:221], 1.0
	v_mul_f64 v[228:229], v[226:227], v[222:223]
	v_fma_f64 v[150:151], -v[150:151], v[228:229], v[226:227]
	s_nop 1
	v_div_fmas_f64 v[150:151], v[150:151], v[222:223], v[228:229]
	v_div_fixup_f64 v[220:221], v[150:151], v[220:221], 1.0
	v_mul_f64 v[222:223], v[148:149], -v[220:221]
.LBB108_576:
	s_or_b64 exec, exec, s[16:17]
.LBB108_577:
	s_or_b64 exec, exec, s[0:1]
	v_cmp_ne_u32_e32 vcc, v233, v230
	s_and_saveexec_b64 s[0:1], vcc
	s_xor_b64 s[0:1], exec, s[0:1]
	s_cbranch_execz .LBB108_583
; %bb.578:
	v_cmp_eq_u32_e32 vcc, 27, v233
	s_and_saveexec_b64 s[16:17], vcc
	s_cbranch_execz .LBB108_582
; %bb.579:
	v_cmp_ne_u32_e32 vcc, 27, v230
	s_xor_b64 s[18:19], s[14:15], -1
	s_and_b64 s[22:23], s[18:19], vcc
	s_and_saveexec_b64 s[18:19], s[22:23]
	s_cbranch_execz .LBB108_581
; %bb.580:
	v_ashrrev_i32_e32 v231, 31, v230
	s_waitcnt vmcnt(0)
	v_lshl_add_u64 v[148:149], v[230:231], 2, v[146:147]
	global_load_dword v150, v[148:149], off
	global_load_dword v151, v[146:147], off offset:108
	s_waitcnt vmcnt(1)
	global_store_dword v[146:147], v150, off offset:108
	s_waitcnt vmcnt(1)
	global_store_dword v[148:149], v151, off
.LBB108_581:
	s_or_b64 exec, exec, s[18:19]
	v_mov_b32_e32 v233, v230
	v_mov_b32_e32 v224, v230
.LBB108_582:
	s_or_b64 exec, exec, s[16:17]
.LBB108_583:
	s_andn2_saveexec_b64 s[0:1], s[0:1]
	s_cbranch_execz .LBB108_585
; %bb.584:
	v_mov_b32_e32 v233, 27
	ds_write2_b64 v232, v[100:101], v[102:103] offset0:56 offset1:57
	ds_write2_b64 v232, v[96:97], v[98:99] offset0:58 offset1:59
	;; [unrolled: 1-line block ×27, first 2 shown]
.LBB108_585:
	s_or_b64 exec, exec, s[0:1]
	v_cmp_lt_i32_e32 vcc, 27, v233
	s_waitcnt lgkmcnt(0)
	s_barrier
	s_and_saveexec_b64 s[0:1], vcc
	s_cbranch_execz .LBB108_587
; %bb.586:
	ds_read2_b64 v[236:239], v232 offset0:56 offset1:57
	v_mul_f64 v[148:149], v[222:223], v[106:107]
	v_mul_f64 v[106:107], v[220:221], v[106:107]
	v_fma_f64 v[230:231], v[220:221], v[104:105], -v[148:149]
	v_fmac_f64_e32 v[106:107], v[222:223], v[104:105]
	ds_read2_b64 v[220:223], v232 offset0:58 offset1:59
	s_waitcnt lgkmcnt(1)
	v_mul_f64 v[104:105], v[238:239], v[106:107]
	v_mul_f64 v[148:149], v[236:237], v[106:107]
	v_fma_f64 v[104:105], v[236:237], v[230:231], -v[104:105]
	v_fmac_f64_e32 v[148:149], v[238:239], v[230:231]
	ds_read2_b64 v[236:239], v232 offset0:60 offset1:61
	v_add_f64 v[100:101], v[100:101], -v[104:105]
	v_add_f64 v[102:103], v[102:103], -v[148:149]
	s_waitcnt lgkmcnt(1)
	v_mul_f64 v[104:105], v[222:223], v[106:107]
	v_mul_f64 v[148:149], v[220:221], v[106:107]
	v_fma_f64 v[104:105], v[220:221], v[230:231], -v[104:105]
	v_fmac_f64_e32 v[148:149], v[222:223], v[230:231]
	ds_read2_b64 v[220:223], v232 offset0:62 offset1:63
	v_add_f64 v[96:97], v[96:97], -v[104:105]
	v_add_f64 v[98:99], v[98:99], -v[148:149]
	;; [unrolled: 8-line block ×25, first 2 shown]
	s_waitcnt lgkmcnt(1)
	v_mul_f64 v[104:105], v[222:223], v[106:107]
	v_mul_f64 v[148:149], v[220:221], v[106:107]
	v_fma_f64 v[104:105], v[220:221], v[230:231], -v[104:105]
	v_fmac_f64_e32 v[148:149], v[222:223], v[230:231]
	v_add_f64 v[0:1], v[0:1], -v[104:105]
	v_add_f64 v[2:3], v[2:3], -v[148:149]
	s_waitcnt lgkmcnt(0)
	v_mul_f64 v[104:105], v[238:239], v[106:107]
	v_mul_f64 v[148:149], v[236:237], v[106:107]
	v_fma_f64 v[104:105], v[236:237], v[230:231], -v[104:105]
	v_fmac_f64_e32 v[148:149], v[238:239], v[230:231]
	v_add_f64 v[216:217], v[216:217], -v[104:105]
	v_add_f64 v[218:219], v[218:219], -v[148:149]
	v_mov_b64_e32 v[104:105], v[230:231]
.LBB108_587:
	s_or_b64 exec, exec, s[0:1]
	v_lshl_add_u32 v148, v233, 4, v232
	s_barrier
	ds_write2_b64 v148, v[100:101], v[102:103] offset1:1
	s_waitcnt lgkmcnt(0)
	s_barrier
	ds_read2_b64 v[220:223], v232 offset0:56 offset1:57
	s_cmp_lt_i32 s20, 30
	v_mov_b32_e32 v230, 28
	s_cbranch_scc1 .LBB108_590
; %bb.588:
	v_add_u32_e32 v231, 0x1d0, v232
	s_mov_b32 s16, 29
	v_mov_b32_e32 v230, 28
.LBB108_589:                            ; =>This Inner Loop Header: Depth=1
	ds_read2_b64 v[236:239], v231 offset1:1
	s_waitcnt lgkmcnt(1)
	v_xor_b32_e32 v149, 0x80000000, v221
	v_xor_b32_e32 v151, 0x80000000, v223
	v_cmp_gt_f64_e32 vcc, 0, v[222:223]
	v_cmp_gt_f64_e64 s[0:1], 0, v[220:221]
	v_mov_b32_e32 v148, v220
	v_mov_b32_e32 v150, v222
	v_cndmask_b32_e64 v149, v221, v149, s[0:1]
	v_cndmask_b32_e32 v151, v223, v151, vcc
	v_add_f64 v[148:149], v[148:149], v[150:151]
	s_waitcnt lgkmcnt(0)
	v_xor_b32_e32 v151, 0x80000000, v237
	v_xor_b32_e32 v227, 0x80000000, v239
	v_cmp_gt_f64_e32 vcc, 0, v[238:239]
	v_cmp_gt_f64_e64 s[0:1], 0, v[236:237]
	v_mov_b32_e32 v150, v236
	v_mov_b32_e32 v226, v238
	v_cndmask_b32_e64 v151, v237, v151, s[0:1]
	v_cndmask_b32_e32 v227, v239, v227, vcc
	v_add_f64 v[150:151], v[150:151], v[226:227]
	v_mov_b32_e32 v228, s16
	s_add_i32 s16, s16, 1
	v_cmp_lt_f64_e32 vcc, v[148:149], v[150:151]
	v_add_u32_e32 v231, 16, v231
	s_cmp_lg_u32 s20, s16
	v_cndmask_b32_e32 v221, v221, v237, vcc
	v_cndmask_b32_e32 v220, v220, v236, vcc
	;; [unrolled: 1-line block ×5, first 2 shown]
	s_cbranch_scc1 .LBB108_589
.LBB108_590:
	s_waitcnt lgkmcnt(0)
	v_cmp_eq_f64_e32 vcc, 0, v[220:221]
	v_cmp_eq_f64_e64 s[0:1], 0, v[222:223]
	s_and_b64 s[0:1], vcc, s[0:1]
	s_and_saveexec_b64 s[16:17], s[0:1]
	s_xor_b64 s[0:1], exec, s[16:17]
; %bb.591:
	v_cmp_ne_u32_e32 vcc, 0, v234
	s_nop 1
	v_cndmask_b32_e32 v234, 29, v234, vcc
; %bb.592:
	s_andn2_saveexec_b64 s[0:1], s[0:1]
	s_cbranch_execz .LBB108_598
; %bb.593:
	v_cmp_ngt_f64_e64 s[16:17], |v[220:221]|, |v[222:223]|
	s_and_saveexec_b64 s[18:19], s[16:17]
	s_xor_b64 s[16:17], exec, s[18:19]
	s_cbranch_execz .LBB108_595
; %bb.594:
	v_div_scale_f64 v[148:149], s[18:19], v[222:223], v[222:223], v[220:221]
	v_rcp_f64_e32 v[150:151], v[148:149]
	v_div_scale_f64 v[226:227], vcc, v[220:221], v[222:223], v[220:221]
	v_fma_f64 v[228:229], -v[148:149], v[150:151], 1.0
	v_fmac_f64_e32 v[150:151], v[150:151], v[228:229]
	v_fma_f64 v[228:229], -v[148:149], v[150:151], 1.0
	v_fmac_f64_e32 v[150:151], v[150:151], v[228:229]
	v_mul_f64 v[228:229], v[226:227], v[150:151]
	v_fma_f64 v[148:149], -v[148:149], v[228:229], v[226:227]
	v_div_fmas_f64 v[148:149], v[148:149], v[150:151], v[228:229]
	v_div_fixup_f64 v[148:149], v[148:149], v[222:223], v[220:221]
	v_fmac_f64_e32 v[222:223], v[220:221], v[148:149]
	v_div_scale_f64 v[150:151], s[18:19], v[222:223], v[222:223], 1.0
	v_rcp_f64_e32 v[220:221], v[150:151]
	s_nop 0
	v_fma_f64 v[226:227], -v[150:151], v[220:221], 1.0
	v_fmac_f64_e32 v[220:221], v[220:221], v[226:227]
	v_fma_f64 v[226:227], -v[150:151], v[220:221], 1.0
	v_fmac_f64_e32 v[220:221], v[220:221], v[226:227]
	v_div_scale_f64 v[226:227], vcc, 1.0, v[222:223], 1.0
	v_mul_f64 v[228:229], v[226:227], v[220:221]
	v_fma_f64 v[150:151], -v[150:151], v[228:229], v[226:227]
	s_nop 1
	v_div_fmas_f64 v[150:151], v[150:151], v[220:221], v[228:229]
	v_div_fixup_f64 v[222:223], v[150:151], v[222:223], 1.0
	v_mul_f64 v[220:221], v[148:149], v[222:223]
	v_xor_b32_e32 v223, 0x80000000, v223
.LBB108_595:
	s_andn2_saveexec_b64 s[16:17], s[16:17]
	s_cbranch_execz .LBB108_597
; %bb.596:
	v_div_scale_f64 v[148:149], s[18:19], v[220:221], v[220:221], v[222:223]
	v_rcp_f64_e32 v[150:151], v[148:149]
	v_div_scale_f64 v[226:227], vcc, v[222:223], v[220:221], v[222:223]
	v_fma_f64 v[228:229], -v[148:149], v[150:151], 1.0
	v_fmac_f64_e32 v[150:151], v[150:151], v[228:229]
	v_fma_f64 v[228:229], -v[148:149], v[150:151], 1.0
	v_fmac_f64_e32 v[150:151], v[150:151], v[228:229]
	v_mul_f64 v[228:229], v[226:227], v[150:151]
	v_fma_f64 v[148:149], -v[148:149], v[228:229], v[226:227]
	v_div_fmas_f64 v[148:149], v[148:149], v[150:151], v[228:229]
	v_div_fixup_f64 v[148:149], v[148:149], v[220:221], v[222:223]
	v_fmac_f64_e32 v[220:221], v[222:223], v[148:149]
	v_div_scale_f64 v[150:151], s[18:19], v[220:221], v[220:221], 1.0
	v_rcp_f64_e32 v[222:223], v[150:151]
	s_nop 0
	v_fma_f64 v[226:227], -v[150:151], v[222:223], 1.0
	v_fmac_f64_e32 v[222:223], v[222:223], v[226:227]
	v_fma_f64 v[226:227], -v[150:151], v[222:223], 1.0
	v_fmac_f64_e32 v[222:223], v[222:223], v[226:227]
	v_div_scale_f64 v[226:227], vcc, 1.0, v[220:221], 1.0
	v_mul_f64 v[228:229], v[226:227], v[222:223]
	v_fma_f64 v[150:151], -v[150:151], v[228:229], v[226:227]
	s_nop 1
	v_div_fmas_f64 v[150:151], v[150:151], v[222:223], v[228:229]
	v_div_fixup_f64 v[220:221], v[150:151], v[220:221], 1.0
	v_mul_f64 v[222:223], v[148:149], -v[220:221]
.LBB108_597:
	s_or_b64 exec, exec, s[16:17]
.LBB108_598:
	s_or_b64 exec, exec, s[0:1]
	v_cmp_ne_u32_e32 vcc, v233, v230
	s_and_saveexec_b64 s[0:1], vcc
	s_xor_b64 s[0:1], exec, s[0:1]
	s_cbranch_execz .LBB108_604
; %bb.599:
	v_cmp_eq_u32_e32 vcc, 28, v233
	s_and_saveexec_b64 s[16:17], vcc
	s_cbranch_execz .LBB108_603
; %bb.600:
	v_cmp_ne_u32_e32 vcc, 28, v230
	s_xor_b64 s[18:19], s[14:15], -1
	s_and_b64 s[22:23], s[18:19], vcc
	s_and_saveexec_b64 s[18:19], s[22:23]
	s_cbranch_execz .LBB108_602
; %bb.601:
	v_ashrrev_i32_e32 v231, 31, v230
	s_waitcnt vmcnt(0)
	v_lshl_add_u64 v[148:149], v[230:231], 2, v[146:147]
	global_load_dword v150, v[148:149], off
	global_load_dword v151, v[146:147], off offset:112
	s_waitcnt vmcnt(1)
	global_store_dword v[146:147], v150, off offset:112
	s_waitcnt vmcnt(1)
	global_store_dword v[148:149], v151, off
.LBB108_602:
	s_or_b64 exec, exec, s[18:19]
	v_mov_b32_e32 v233, v230
	v_mov_b32_e32 v224, v230
.LBB108_603:
	s_or_b64 exec, exec, s[16:17]
.LBB108_604:
	s_andn2_saveexec_b64 s[0:1], s[0:1]
	s_cbranch_execz .LBB108_606
; %bb.605:
	v_mov_b32_e32 v233, 28
	ds_write2_b64 v232, v[96:97], v[98:99] offset0:58 offset1:59
	ds_write2_b64 v232, v[92:93], v[94:95] offset0:60 offset1:61
	;; [unrolled: 1-line block ×26, first 2 shown]
.LBB108_606:
	s_or_b64 exec, exec, s[0:1]
	v_cmp_lt_i32_e32 vcc, 28, v233
	s_waitcnt lgkmcnt(0)
	s_barrier
	s_and_saveexec_b64 s[0:1], vcc
	s_cbranch_execz .LBB108_608
; %bb.607:
	ds_read2_b64 v[236:239], v232 offset0:58 offset1:59
	v_mul_f64 v[148:149], v[222:223], v[102:103]
	v_mul_f64 v[102:103], v[220:221], v[102:103]
	v_fma_f64 v[230:231], v[220:221], v[100:101], -v[148:149]
	v_fmac_f64_e32 v[102:103], v[222:223], v[100:101]
	ds_read2_b64 v[220:223], v232 offset0:60 offset1:61
	s_waitcnt lgkmcnt(1)
	v_mul_f64 v[100:101], v[238:239], v[102:103]
	v_mul_f64 v[148:149], v[236:237], v[102:103]
	v_fma_f64 v[100:101], v[236:237], v[230:231], -v[100:101]
	v_fmac_f64_e32 v[148:149], v[238:239], v[230:231]
	ds_read2_b64 v[236:239], v232 offset0:62 offset1:63
	v_add_f64 v[96:97], v[96:97], -v[100:101]
	v_add_f64 v[98:99], v[98:99], -v[148:149]
	s_waitcnt lgkmcnt(1)
	v_mul_f64 v[100:101], v[222:223], v[102:103]
	v_mul_f64 v[148:149], v[220:221], v[102:103]
	v_fma_f64 v[100:101], v[220:221], v[230:231], -v[100:101]
	v_fmac_f64_e32 v[148:149], v[222:223], v[230:231]
	ds_read2_b64 v[220:223], v232 offset0:64 offset1:65
	v_add_f64 v[92:93], v[92:93], -v[100:101]
	v_add_f64 v[94:95], v[94:95], -v[148:149]
	;; [unrolled: 8-line block ×24, first 2 shown]
	s_waitcnt lgkmcnt(1)
	v_mul_f64 v[100:101], v[238:239], v[102:103]
	v_mul_f64 v[148:149], v[236:237], v[102:103]
	v_fma_f64 v[100:101], v[236:237], v[230:231], -v[100:101]
	v_fmac_f64_e32 v[148:149], v[238:239], v[230:231]
	v_add_f64 v[0:1], v[0:1], -v[100:101]
	v_add_f64 v[2:3], v[2:3], -v[148:149]
	s_waitcnt lgkmcnt(0)
	v_mul_f64 v[100:101], v[222:223], v[102:103]
	v_mul_f64 v[148:149], v[220:221], v[102:103]
	v_fma_f64 v[100:101], v[220:221], v[230:231], -v[100:101]
	v_fmac_f64_e32 v[148:149], v[222:223], v[230:231]
	v_add_f64 v[216:217], v[216:217], -v[100:101]
	v_add_f64 v[218:219], v[218:219], -v[148:149]
	v_mov_b64_e32 v[100:101], v[230:231]
.LBB108_608:
	s_or_b64 exec, exec, s[0:1]
	v_lshl_add_u32 v148, v233, 4, v232
	s_barrier
	ds_write2_b64 v148, v[96:97], v[98:99] offset1:1
	s_waitcnt lgkmcnt(0)
	s_barrier
	ds_read2_b64 v[220:223], v232 offset0:58 offset1:59
	s_cmp_lt_i32 s20, 31
	v_mov_b32_e32 v230, 29
	s_cbranch_scc1 .LBB108_611
; %bb.609:
	v_add_u32_e32 v231, 0x1e0, v232
	s_mov_b32 s16, 30
	v_mov_b32_e32 v230, 29
.LBB108_610:                            ; =>This Inner Loop Header: Depth=1
	ds_read2_b64 v[236:239], v231 offset1:1
	s_waitcnt lgkmcnt(1)
	v_xor_b32_e32 v149, 0x80000000, v221
	v_xor_b32_e32 v151, 0x80000000, v223
	v_cmp_gt_f64_e32 vcc, 0, v[222:223]
	v_cmp_gt_f64_e64 s[0:1], 0, v[220:221]
	v_mov_b32_e32 v148, v220
	v_mov_b32_e32 v150, v222
	v_cndmask_b32_e64 v149, v221, v149, s[0:1]
	v_cndmask_b32_e32 v151, v223, v151, vcc
	v_add_f64 v[148:149], v[148:149], v[150:151]
	s_waitcnt lgkmcnt(0)
	v_xor_b32_e32 v151, 0x80000000, v237
	v_xor_b32_e32 v227, 0x80000000, v239
	v_cmp_gt_f64_e32 vcc, 0, v[238:239]
	v_cmp_gt_f64_e64 s[0:1], 0, v[236:237]
	v_mov_b32_e32 v150, v236
	v_mov_b32_e32 v226, v238
	v_cndmask_b32_e64 v151, v237, v151, s[0:1]
	v_cndmask_b32_e32 v227, v239, v227, vcc
	v_add_f64 v[150:151], v[150:151], v[226:227]
	v_mov_b32_e32 v228, s16
	s_add_i32 s16, s16, 1
	v_cmp_lt_f64_e32 vcc, v[148:149], v[150:151]
	v_add_u32_e32 v231, 16, v231
	s_cmp_lg_u32 s20, s16
	v_cndmask_b32_e32 v221, v221, v237, vcc
	v_cndmask_b32_e32 v220, v220, v236, vcc
	;; [unrolled: 1-line block ×5, first 2 shown]
	s_cbranch_scc1 .LBB108_610
.LBB108_611:
	s_waitcnt lgkmcnt(0)
	v_cmp_eq_f64_e32 vcc, 0, v[220:221]
	v_cmp_eq_f64_e64 s[0:1], 0, v[222:223]
	s_and_b64 s[0:1], vcc, s[0:1]
	s_and_saveexec_b64 s[16:17], s[0:1]
	s_xor_b64 s[0:1], exec, s[16:17]
; %bb.612:
	v_cmp_ne_u32_e32 vcc, 0, v234
	s_nop 1
	v_cndmask_b32_e32 v234, 30, v234, vcc
; %bb.613:
	s_andn2_saveexec_b64 s[0:1], s[0:1]
	s_cbranch_execz .LBB108_619
; %bb.614:
	v_cmp_ngt_f64_e64 s[16:17], |v[220:221]|, |v[222:223]|
	s_and_saveexec_b64 s[18:19], s[16:17]
	s_xor_b64 s[16:17], exec, s[18:19]
	s_cbranch_execz .LBB108_616
; %bb.615:
	v_div_scale_f64 v[148:149], s[18:19], v[222:223], v[222:223], v[220:221]
	v_rcp_f64_e32 v[150:151], v[148:149]
	v_div_scale_f64 v[226:227], vcc, v[220:221], v[222:223], v[220:221]
	v_fma_f64 v[228:229], -v[148:149], v[150:151], 1.0
	v_fmac_f64_e32 v[150:151], v[150:151], v[228:229]
	v_fma_f64 v[228:229], -v[148:149], v[150:151], 1.0
	v_fmac_f64_e32 v[150:151], v[150:151], v[228:229]
	v_mul_f64 v[228:229], v[226:227], v[150:151]
	v_fma_f64 v[148:149], -v[148:149], v[228:229], v[226:227]
	v_div_fmas_f64 v[148:149], v[148:149], v[150:151], v[228:229]
	v_div_fixup_f64 v[148:149], v[148:149], v[222:223], v[220:221]
	v_fmac_f64_e32 v[222:223], v[220:221], v[148:149]
	v_div_scale_f64 v[150:151], s[18:19], v[222:223], v[222:223], 1.0
	v_rcp_f64_e32 v[220:221], v[150:151]
	s_nop 0
	v_fma_f64 v[226:227], -v[150:151], v[220:221], 1.0
	v_fmac_f64_e32 v[220:221], v[220:221], v[226:227]
	v_fma_f64 v[226:227], -v[150:151], v[220:221], 1.0
	v_fmac_f64_e32 v[220:221], v[220:221], v[226:227]
	v_div_scale_f64 v[226:227], vcc, 1.0, v[222:223], 1.0
	v_mul_f64 v[228:229], v[226:227], v[220:221]
	v_fma_f64 v[150:151], -v[150:151], v[228:229], v[226:227]
	s_nop 1
	v_div_fmas_f64 v[150:151], v[150:151], v[220:221], v[228:229]
	v_div_fixup_f64 v[222:223], v[150:151], v[222:223], 1.0
	v_mul_f64 v[220:221], v[148:149], v[222:223]
	v_xor_b32_e32 v223, 0x80000000, v223
.LBB108_616:
	s_andn2_saveexec_b64 s[16:17], s[16:17]
	s_cbranch_execz .LBB108_618
; %bb.617:
	v_div_scale_f64 v[148:149], s[18:19], v[220:221], v[220:221], v[222:223]
	v_rcp_f64_e32 v[150:151], v[148:149]
	v_div_scale_f64 v[226:227], vcc, v[222:223], v[220:221], v[222:223]
	v_fma_f64 v[228:229], -v[148:149], v[150:151], 1.0
	v_fmac_f64_e32 v[150:151], v[150:151], v[228:229]
	v_fma_f64 v[228:229], -v[148:149], v[150:151], 1.0
	v_fmac_f64_e32 v[150:151], v[150:151], v[228:229]
	v_mul_f64 v[228:229], v[226:227], v[150:151]
	v_fma_f64 v[148:149], -v[148:149], v[228:229], v[226:227]
	v_div_fmas_f64 v[148:149], v[148:149], v[150:151], v[228:229]
	v_div_fixup_f64 v[148:149], v[148:149], v[220:221], v[222:223]
	v_fmac_f64_e32 v[220:221], v[222:223], v[148:149]
	v_div_scale_f64 v[150:151], s[18:19], v[220:221], v[220:221], 1.0
	v_rcp_f64_e32 v[222:223], v[150:151]
	s_nop 0
	v_fma_f64 v[226:227], -v[150:151], v[222:223], 1.0
	v_fmac_f64_e32 v[222:223], v[222:223], v[226:227]
	v_fma_f64 v[226:227], -v[150:151], v[222:223], 1.0
	v_fmac_f64_e32 v[222:223], v[222:223], v[226:227]
	v_div_scale_f64 v[226:227], vcc, 1.0, v[220:221], 1.0
	v_mul_f64 v[228:229], v[226:227], v[222:223]
	v_fma_f64 v[150:151], -v[150:151], v[228:229], v[226:227]
	s_nop 1
	v_div_fmas_f64 v[150:151], v[150:151], v[222:223], v[228:229]
	v_div_fixup_f64 v[220:221], v[150:151], v[220:221], 1.0
	v_mul_f64 v[222:223], v[148:149], -v[220:221]
.LBB108_618:
	s_or_b64 exec, exec, s[16:17]
.LBB108_619:
	s_or_b64 exec, exec, s[0:1]
	v_cmp_ne_u32_e32 vcc, v233, v230
	s_and_saveexec_b64 s[0:1], vcc
	s_xor_b64 s[0:1], exec, s[0:1]
	s_cbranch_execz .LBB108_625
; %bb.620:
	v_cmp_eq_u32_e32 vcc, 29, v233
	s_and_saveexec_b64 s[16:17], vcc
	s_cbranch_execz .LBB108_624
; %bb.621:
	v_cmp_ne_u32_e32 vcc, 29, v230
	s_xor_b64 s[18:19], s[14:15], -1
	s_and_b64 s[22:23], s[18:19], vcc
	s_and_saveexec_b64 s[18:19], s[22:23]
	s_cbranch_execz .LBB108_623
; %bb.622:
	v_ashrrev_i32_e32 v231, 31, v230
	s_waitcnt vmcnt(0)
	v_lshl_add_u64 v[148:149], v[230:231], 2, v[146:147]
	global_load_dword v150, v[148:149], off
	global_load_dword v151, v[146:147], off offset:116
	s_waitcnt vmcnt(1)
	global_store_dword v[146:147], v150, off offset:116
	s_waitcnt vmcnt(1)
	global_store_dword v[148:149], v151, off
.LBB108_623:
	s_or_b64 exec, exec, s[18:19]
	v_mov_b32_e32 v233, v230
	v_mov_b32_e32 v224, v230
.LBB108_624:
	s_or_b64 exec, exec, s[16:17]
.LBB108_625:
	s_andn2_saveexec_b64 s[0:1], s[0:1]
	s_cbranch_execz .LBB108_627
; %bb.626:
	v_mov_b32_e32 v233, 29
	ds_write2_b64 v232, v[92:93], v[94:95] offset0:60 offset1:61
	ds_write2_b64 v232, v[88:89], v[90:91] offset0:62 offset1:63
	;; [unrolled: 1-line block ×25, first 2 shown]
.LBB108_627:
	s_or_b64 exec, exec, s[0:1]
	v_cmp_lt_i32_e32 vcc, 29, v233
	s_waitcnt lgkmcnt(0)
	s_barrier
	s_and_saveexec_b64 s[0:1], vcc
	s_cbranch_execz .LBB108_629
; %bb.628:
	ds_read2_b64 v[236:239], v232 offset0:60 offset1:61
	v_mul_f64 v[148:149], v[222:223], v[98:99]
	v_mul_f64 v[98:99], v[220:221], v[98:99]
	v_fma_f64 v[230:231], v[220:221], v[96:97], -v[148:149]
	v_fmac_f64_e32 v[98:99], v[222:223], v[96:97]
	ds_read2_b64 v[220:223], v232 offset0:62 offset1:63
	s_waitcnt lgkmcnt(1)
	v_mul_f64 v[96:97], v[238:239], v[98:99]
	v_mul_f64 v[148:149], v[236:237], v[98:99]
	v_fma_f64 v[96:97], v[236:237], v[230:231], -v[96:97]
	v_fmac_f64_e32 v[148:149], v[238:239], v[230:231]
	ds_read2_b64 v[236:239], v232 offset0:64 offset1:65
	v_add_f64 v[92:93], v[92:93], -v[96:97]
	v_add_f64 v[94:95], v[94:95], -v[148:149]
	s_waitcnt lgkmcnt(1)
	v_mul_f64 v[96:97], v[222:223], v[98:99]
	v_mul_f64 v[148:149], v[220:221], v[98:99]
	v_fma_f64 v[96:97], v[220:221], v[230:231], -v[96:97]
	v_fmac_f64_e32 v[148:149], v[222:223], v[230:231]
	ds_read2_b64 v[220:223], v232 offset0:66 offset1:67
	v_add_f64 v[88:89], v[88:89], -v[96:97]
	v_add_f64 v[90:91], v[90:91], -v[148:149]
	;; [unrolled: 8-line block ×23, first 2 shown]
	s_waitcnt lgkmcnt(1)
	v_mul_f64 v[96:97], v[222:223], v[98:99]
	v_mul_f64 v[148:149], v[220:221], v[98:99]
	v_fma_f64 v[96:97], v[220:221], v[230:231], -v[96:97]
	v_fmac_f64_e32 v[148:149], v[222:223], v[230:231]
	v_add_f64 v[0:1], v[0:1], -v[96:97]
	v_add_f64 v[2:3], v[2:3], -v[148:149]
	s_waitcnt lgkmcnt(0)
	v_mul_f64 v[96:97], v[238:239], v[98:99]
	v_mul_f64 v[148:149], v[236:237], v[98:99]
	v_fma_f64 v[96:97], v[236:237], v[230:231], -v[96:97]
	v_fmac_f64_e32 v[148:149], v[238:239], v[230:231]
	v_add_f64 v[216:217], v[216:217], -v[96:97]
	v_add_f64 v[218:219], v[218:219], -v[148:149]
	v_mov_b64_e32 v[96:97], v[230:231]
.LBB108_629:
	s_or_b64 exec, exec, s[0:1]
	v_lshl_add_u32 v148, v233, 4, v232
	s_barrier
	ds_write2_b64 v148, v[92:93], v[94:95] offset1:1
	s_waitcnt lgkmcnt(0)
	s_barrier
	ds_read2_b64 v[220:223], v232 offset0:60 offset1:61
	s_cmp_lt_i32 s20, 32
	v_mov_b32_e32 v230, 30
	s_cbranch_scc1 .LBB108_632
; %bb.630:
	v_add_u32_e32 v231, 0x1f0, v232
	s_mov_b32 s16, 31
	v_mov_b32_e32 v230, 30
.LBB108_631:                            ; =>This Inner Loop Header: Depth=1
	ds_read2_b64 v[236:239], v231 offset1:1
	s_waitcnt lgkmcnt(1)
	v_xor_b32_e32 v149, 0x80000000, v221
	v_xor_b32_e32 v151, 0x80000000, v223
	v_cmp_gt_f64_e32 vcc, 0, v[222:223]
	v_cmp_gt_f64_e64 s[0:1], 0, v[220:221]
	v_mov_b32_e32 v148, v220
	v_mov_b32_e32 v150, v222
	v_cndmask_b32_e64 v149, v221, v149, s[0:1]
	v_cndmask_b32_e32 v151, v223, v151, vcc
	v_add_f64 v[148:149], v[148:149], v[150:151]
	s_waitcnt lgkmcnt(0)
	v_xor_b32_e32 v151, 0x80000000, v237
	v_xor_b32_e32 v227, 0x80000000, v239
	v_cmp_gt_f64_e32 vcc, 0, v[238:239]
	v_cmp_gt_f64_e64 s[0:1], 0, v[236:237]
	v_mov_b32_e32 v150, v236
	v_mov_b32_e32 v226, v238
	v_cndmask_b32_e64 v151, v237, v151, s[0:1]
	v_cndmask_b32_e32 v227, v239, v227, vcc
	v_add_f64 v[150:151], v[150:151], v[226:227]
	v_mov_b32_e32 v228, s16
	s_add_i32 s16, s16, 1
	v_cmp_lt_f64_e32 vcc, v[148:149], v[150:151]
	v_add_u32_e32 v231, 16, v231
	s_cmp_lg_u32 s20, s16
	v_cndmask_b32_e32 v221, v221, v237, vcc
	v_cndmask_b32_e32 v220, v220, v236, vcc
	;; [unrolled: 1-line block ×5, first 2 shown]
	s_cbranch_scc1 .LBB108_631
.LBB108_632:
	s_waitcnt lgkmcnt(0)
	v_cmp_eq_f64_e32 vcc, 0, v[220:221]
	v_cmp_eq_f64_e64 s[0:1], 0, v[222:223]
	s_and_b64 s[0:1], vcc, s[0:1]
	s_and_saveexec_b64 s[16:17], s[0:1]
	s_xor_b64 s[0:1], exec, s[16:17]
; %bb.633:
	v_cmp_ne_u32_e32 vcc, 0, v234
	s_nop 1
	v_cndmask_b32_e32 v234, 31, v234, vcc
; %bb.634:
	s_andn2_saveexec_b64 s[0:1], s[0:1]
	s_cbranch_execz .LBB108_640
; %bb.635:
	v_cmp_ngt_f64_e64 s[16:17], |v[220:221]|, |v[222:223]|
	s_and_saveexec_b64 s[18:19], s[16:17]
	s_xor_b64 s[16:17], exec, s[18:19]
	s_cbranch_execz .LBB108_637
; %bb.636:
	v_div_scale_f64 v[148:149], s[18:19], v[222:223], v[222:223], v[220:221]
	v_rcp_f64_e32 v[150:151], v[148:149]
	v_div_scale_f64 v[226:227], vcc, v[220:221], v[222:223], v[220:221]
	v_fma_f64 v[228:229], -v[148:149], v[150:151], 1.0
	v_fmac_f64_e32 v[150:151], v[150:151], v[228:229]
	v_fma_f64 v[228:229], -v[148:149], v[150:151], 1.0
	v_fmac_f64_e32 v[150:151], v[150:151], v[228:229]
	v_mul_f64 v[228:229], v[226:227], v[150:151]
	v_fma_f64 v[148:149], -v[148:149], v[228:229], v[226:227]
	v_div_fmas_f64 v[148:149], v[148:149], v[150:151], v[228:229]
	v_div_fixup_f64 v[148:149], v[148:149], v[222:223], v[220:221]
	v_fmac_f64_e32 v[222:223], v[220:221], v[148:149]
	v_div_scale_f64 v[150:151], s[18:19], v[222:223], v[222:223], 1.0
	v_rcp_f64_e32 v[220:221], v[150:151]
	s_nop 0
	v_fma_f64 v[226:227], -v[150:151], v[220:221], 1.0
	v_fmac_f64_e32 v[220:221], v[220:221], v[226:227]
	v_fma_f64 v[226:227], -v[150:151], v[220:221], 1.0
	v_fmac_f64_e32 v[220:221], v[220:221], v[226:227]
	v_div_scale_f64 v[226:227], vcc, 1.0, v[222:223], 1.0
	v_mul_f64 v[228:229], v[226:227], v[220:221]
	v_fma_f64 v[150:151], -v[150:151], v[228:229], v[226:227]
	s_nop 1
	v_div_fmas_f64 v[150:151], v[150:151], v[220:221], v[228:229]
	v_div_fixup_f64 v[222:223], v[150:151], v[222:223], 1.0
	v_mul_f64 v[220:221], v[148:149], v[222:223]
	v_xor_b32_e32 v223, 0x80000000, v223
.LBB108_637:
	s_andn2_saveexec_b64 s[16:17], s[16:17]
	s_cbranch_execz .LBB108_639
; %bb.638:
	v_div_scale_f64 v[148:149], s[18:19], v[220:221], v[220:221], v[222:223]
	v_rcp_f64_e32 v[150:151], v[148:149]
	v_div_scale_f64 v[226:227], vcc, v[222:223], v[220:221], v[222:223]
	v_fma_f64 v[228:229], -v[148:149], v[150:151], 1.0
	v_fmac_f64_e32 v[150:151], v[150:151], v[228:229]
	v_fma_f64 v[228:229], -v[148:149], v[150:151], 1.0
	v_fmac_f64_e32 v[150:151], v[150:151], v[228:229]
	v_mul_f64 v[228:229], v[226:227], v[150:151]
	v_fma_f64 v[148:149], -v[148:149], v[228:229], v[226:227]
	v_div_fmas_f64 v[148:149], v[148:149], v[150:151], v[228:229]
	v_div_fixup_f64 v[148:149], v[148:149], v[220:221], v[222:223]
	v_fmac_f64_e32 v[220:221], v[222:223], v[148:149]
	v_div_scale_f64 v[150:151], s[18:19], v[220:221], v[220:221], 1.0
	v_rcp_f64_e32 v[222:223], v[150:151]
	s_nop 0
	v_fma_f64 v[226:227], -v[150:151], v[222:223], 1.0
	v_fmac_f64_e32 v[222:223], v[222:223], v[226:227]
	v_fma_f64 v[226:227], -v[150:151], v[222:223], 1.0
	v_fmac_f64_e32 v[222:223], v[222:223], v[226:227]
	v_div_scale_f64 v[226:227], vcc, 1.0, v[220:221], 1.0
	v_mul_f64 v[228:229], v[226:227], v[222:223]
	v_fma_f64 v[150:151], -v[150:151], v[228:229], v[226:227]
	s_nop 1
	v_div_fmas_f64 v[150:151], v[150:151], v[222:223], v[228:229]
	v_div_fixup_f64 v[220:221], v[150:151], v[220:221], 1.0
	v_mul_f64 v[222:223], v[148:149], -v[220:221]
.LBB108_639:
	s_or_b64 exec, exec, s[16:17]
.LBB108_640:
	s_or_b64 exec, exec, s[0:1]
	v_cmp_ne_u32_e32 vcc, v233, v230
	s_and_saveexec_b64 s[0:1], vcc
	s_xor_b64 s[0:1], exec, s[0:1]
	s_cbranch_execz .LBB108_646
; %bb.641:
	v_cmp_eq_u32_e32 vcc, 30, v233
	s_and_saveexec_b64 s[16:17], vcc
	s_cbranch_execz .LBB108_645
; %bb.642:
	v_cmp_ne_u32_e32 vcc, 30, v230
	s_xor_b64 s[18:19], s[14:15], -1
	s_and_b64 s[22:23], s[18:19], vcc
	s_and_saveexec_b64 s[18:19], s[22:23]
	s_cbranch_execz .LBB108_644
; %bb.643:
	v_ashrrev_i32_e32 v231, 31, v230
	s_waitcnt vmcnt(0)
	v_lshl_add_u64 v[148:149], v[230:231], 2, v[146:147]
	global_load_dword v150, v[148:149], off
	global_load_dword v151, v[146:147], off offset:120
	s_waitcnt vmcnt(1)
	global_store_dword v[146:147], v150, off offset:120
	s_waitcnt vmcnt(1)
	global_store_dword v[148:149], v151, off
.LBB108_644:
	s_or_b64 exec, exec, s[18:19]
	v_mov_b32_e32 v233, v230
	v_mov_b32_e32 v224, v230
.LBB108_645:
	s_or_b64 exec, exec, s[16:17]
.LBB108_646:
	s_andn2_saveexec_b64 s[0:1], s[0:1]
	s_cbranch_execz .LBB108_648
; %bb.647:
	v_mov_b32_e32 v233, 30
	ds_write2_b64 v232, v[88:89], v[90:91] offset0:62 offset1:63
	ds_write2_b64 v232, v[84:85], v[86:87] offset0:64 offset1:65
	;; [unrolled: 1-line block ×24, first 2 shown]
.LBB108_648:
	s_or_b64 exec, exec, s[0:1]
	v_cmp_lt_i32_e32 vcc, 30, v233
	s_waitcnt lgkmcnt(0)
	s_barrier
	s_and_saveexec_b64 s[0:1], vcc
	s_cbranch_execz .LBB108_650
; %bb.649:
	ds_read2_b64 v[236:239], v232 offset0:62 offset1:63
	v_mul_f64 v[148:149], v[222:223], v[94:95]
	v_mul_f64 v[94:95], v[220:221], v[94:95]
	v_fma_f64 v[230:231], v[220:221], v[92:93], -v[148:149]
	v_fmac_f64_e32 v[94:95], v[222:223], v[92:93]
	ds_read2_b64 v[220:223], v232 offset0:64 offset1:65
	s_waitcnt lgkmcnt(1)
	v_mul_f64 v[92:93], v[238:239], v[94:95]
	v_mul_f64 v[148:149], v[236:237], v[94:95]
	v_fma_f64 v[92:93], v[236:237], v[230:231], -v[92:93]
	v_fmac_f64_e32 v[148:149], v[238:239], v[230:231]
	ds_read2_b64 v[236:239], v232 offset0:66 offset1:67
	v_add_f64 v[88:89], v[88:89], -v[92:93]
	v_add_f64 v[90:91], v[90:91], -v[148:149]
	s_waitcnt lgkmcnt(1)
	v_mul_f64 v[92:93], v[222:223], v[94:95]
	v_mul_f64 v[148:149], v[220:221], v[94:95]
	v_fma_f64 v[92:93], v[220:221], v[230:231], -v[92:93]
	v_fmac_f64_e32 v[148:149], v[222:223], v[230:231]
	ds_read2_b64 v[220:223], v232 offset0:68 offset1:69
	v_add_f64 v[84:85], v[84:85], -v[92:93]
	v_add_f64 v[86:87], v[86:87], -v[148:149]
	;; [unrolled: 8-line block ×22, first 2 shown]
	s_waitcnt lgkmcnt(1)
	v_mul_f64 v[92:93], v[238:239], v[94:95]
	v_mul_f64 v[148:149], v[236:237], v[94:95]
	v_fma_f64 v[92:93], v[236:237], v[230:231], -v[92:93]
	v_fmac_f64_e32 v[148:149], v[238:239], v[230:231]
	v_add_f64 v[0:1], v[0:1], -v[92:93]
	v_add_f64 v[2:3], v[2:3], -v[148:149]
	s_waitcnt lgkmcnt(0)
	v_mul_f64 v[92:93], v[222:223], v[94:95]
	v_mul_f64 v[148:149], v[220:221], v[94:95]
	v_fma_f64 v[92:93], v[220:221], v[230:231], -v[92:93]
	v_fmac_f64_e32 v[148:149], v[222:223], v[230:231]
	v_add_f64 v[216:217], v[216:217], -v[92:93]
	v_add_f64 v[218:219], v[218:219], -v[148:149]
	v_mov_b64_e32 v[92:93], v[230:231]
.LBB108_650:
	s_or_b64 exec, exec, s[0:1]
	v_lshl_add_u32 v148, v233, 4, v232
	s_barrier
	ds_write2_b64 v148, v[88:89], v[90:91] offset1:1
	s_waitcnt lgkmcnt(0)
	s_barrier
	ds_read2_b64 v[220:223], v232 offset0:62 offset1:63
	s_cmp_lt_i32 s20, 33
	v_mov_b32_e32 v230, 31
	s_cbranch_scc1 .LBB108_653
; %bb.651:
	v_add_u32_e32 v231, 0x200, v232
	s_mov_b32 s16, 32
	v_mov_b32_e32 v230, 31
.LBB108_652:                            ; =>This Inner Loop Header: Depth=1
	ds_read2_b64 v[236:239], v231 offset1:1
	s_waitcnt lgkmcnt(1)
	v_xor_b32_e32 v149, 0x80000000, v221
	v_xor_b32_e32 v151, 0x80000000, v223
	v_cmp_gt_f64_e32 vcc, 0, v[222:223]
	v_cmp_gt_f64_e64 s[0:1], 0, v[220:221]
	v_mov_b32_e32 v148, v220
	v_mov_b32_e32 v150, v222
	v_cndmask_b32_e64 v149, v221, v149, s[0:1]
	v_cndmask_b32_e32 v151, v223, v151, vcc
	v_add_f64 v[148:149], v[148:149], v[150:151]
	s_waitcnt lgkmcnt(0)
	v_xor_b32_e32 v151, 0x80000000, v237
	v_xor_b32_e32 v227, 0x80000000, v239
	v_cmp_gt_f64_e32 vcc, 0, v[238:239]
	v_cmp_gt_f64_e64 s[0:1], 0, v[236:237]
	v_mov_b32_e32 v150, v236
	v_mov_b32_e32 v226, v238
	v_cndmask_b32_e64 v151, v237, v151, s[0:1]
	v_cndmask_b32_e32 v227, v239, v227, vcc
	v_add_f64 v[150:151], v[150:151], v[226:227]
	v_mov_b32_e32 v228, s16
	s_add_i32 s16, s16, 1
	v_cmp_lt_f64_e32 vcc, v[148:149], v[150:151]
	v_add_u32_e32 v231, 16, v231
	s_cmp_lg_u32 s20, s16
	v_cndmask_b32_e32 v221, v221, v237, vcc
	v_cndmask_b32_e32 v220, v220, v236, vcc
	;; [unrolled: 1-line block ×5, first 2 shown]
	s_cbranch_scc1 .LBB108_652
.LBB108_653:
	s_waitcnt lgkmcnt(0)
	v_cmp_eq_f64_e32 vcc, 0, v[220:221]
	v_cmp_eq_f64_e64 s[0:1], 0, v[222:223]
	s_and_b64 s[0:1], vcc, s[0:1]
	s_and_saveexec_b64 s[16:17], s[0:1]
	s_xor_b64 s[0:1], exec, s[16:17]
; %bb.654:
	v_cmp_ne_u32_e32 vcc, 0, v234
	s_nop 1
	v_cndmask_b32_e32 v234, 32, v234, vcc
; %bb.655:
	s_andn2_saveexec_b64 s[0:1], s[0:1]
	s_cbranch_execz .LBB108_661
; %bb.656:
	v_cmp_ngt_f64_e64 s[16:17], |v[220:221]|, |v[222:223]|
	s_and_saveexec_b64 s[18:19], s[16:17]
	s_xor_b64 s[16:17], exec, s[18:19]
	s_cbranch_execz .LBB108_658
; %bb.657:
	v_div_scale_f64 v[148:149], s[18:19], v[222:223], v[222:223], v[220:221]
	v_rcp_f64_e32 v[150:151], v[148:149]
	v_div_scale_f64 v[226:227], vcc, v[220:221], v[222:223], v[220:221]
	v_fma_f64 v[228:229], -v[148:149], v[150:151], 1.0
	v_fmac_f64_e32 v[150:151], v[150:151], v[228:229]
	v_fma_f64 v[228:229], -v[148:149], v[150:151], 1.0
	v_fmac_f64_e32 v[150:151], v[150:151], v[228:229]
	v_mul_f64 v[228:229], v[226:227], v[150:151]
	v_fma_f64 v[148:149], -v[148:149], v[228:229], v[226:227]
	v_div_fmas_f64 v[148:149], v[148:149], v[150:151], v[228:229]
	v_div_fixup_f64 v[148:149], v[148:149], v[222:223], v[220:221]
	v_fmac_f64_e32 v[222:223], v[220:221], v[148:149]
	v_div_scale_f64 v[150:151], s[18:19], v[222:223], v[222:223], 1.0
	v_rcp_f64_e32 v[220:221], v[150:151]
	s_nop 0
	v_fma_f64 v[226:227], -v[150:151], v[220:221], 1.0
	v_fmac_f64_e32 v[220:221], v[220:221], v[226:227]
	v_fma_f64 v[226:227], -v[150:151], v[220:221], 1.0
	v_fmac_f64_e32 v[220:221], v[220:221], v[226:227]
	v_div_scale_f64 v[226:227], vcc, 1.0, v[222:223], 1.0
	v_mul_f64 v[228:229], v[226:227], v[220:221]
	v_fma_f64 v[150:151], -v[150:151], v[228:229], v[226:227]
	s_nop 1
	v_div_fmas_f64 v[150:151], v[150:151], v[220:221], v[228:229]
	v_div_fixup_f64 v[222:223], v[150:151], v[222:223], 1.0
	v_mul_f64 v[220:221], v[148:149], v[222:223]
	v_xor_b32_e32 v223, 0x80000000, v223
.LBB108_658:
	s_andn2_saveexec_b64 s[16:17], s[16:17]
	s_cbranch_execz .LBB108_660
; %bb.659:
	v_div_scale_f64 v[148:149], s[18:19], v[220:221], v[220:221], v[222:223]
	v_rcp_f64_e32 v[150:151], v[148:149]
	v_div_scale_f64 v[226:227], vcc, v[222:223], v[220:221], v[222:223]
	v_fma_f64 v[228:229], -v[148:149], v[150:151], 1.0
	v_fmac_f64_e32 v[150:151], v[150:151], v[228:229]
	v_fma_f64 v[228:229], -v[148:149], v[150:151], 1.0
	v_fmac_f64_e32 v[150:151], v[150:151], v[228:229]
	v_mul_f64 v[228:229], v[226:227], v[150:151]
	v_fma_f64 v[148:149], -v[148:149], v[228:229], v[226:227]
	v_div_fmas_f64 v[148:149], v[148:149], v[150:151], v[228:229]
	v_div_fixup_f64 v[148:149], v[148:149], v[220:221], v[222:223]
	v_fmac_f64_e32 v[220:221], v[222:223], v[148:149]
	v_div_scale_f64 v[150:151], s[18:19], v[220:221], v[220:221], 1.0
	v_rcp_f64_e32 v[222:223], v[150:151]
	s_nop 0
	v_fma_f64 v[226:227], -v[150:151], v[222:223], 1.0
	v_fmac_f64_e32 v[222:223], v[222:223], v[226:227]
	v_fma_f64 v[226:227], -v[150:151], v[222:223], 1.0
	v_fmac_f64_e32 v[222:223], v[222:223], v[226:227]
	v_div_scale_f64 v[226:227], vcc, 1.0, v[220:221], 1.0
	v_mul_f64 v[228:229], v[226:227], v[222:223]
	v_fma_f64 v[150:151], -v[150:151], v[228:229], v[226:227]
	s_nop 1
	v_div_fmas_f64 v[150:151], v[150:151], v[222:223], v[228:229]
	v_div_fixup_f64 v[220:221], v[150:151], v[220:221], 1.0
	v_mul_f64 v[222:223], v[148:149], -v[220:221]
.LBB108_660:
	s_or_b64 exec, exec, s[16:17]
.LBB108_661:
	s_or_b64 exec, exec, s[0:1]
	v_cmp_ne_u32_e32 vcc, v233, v230
	s_and_saveexec_b64 s[0:1], vcc
	s_xor_b64 s[0:1], exec, s[0:1]
	s_cbranch_execz .LBB108_667
; %bb.662:
	v_cmp_eq_u32_e32 vcc, 31, v233
	s_and_saveexec_b64 s[16:17], vcc
	s_cbranch_execz .LBB108_666
; %bb.663:
	v_cmp_ne_u32_e32 vcc, 31, v230
	s_xor_b64 s[18:19], s[14:15], -1
	s_and_b64 s[22:23], s[18:19], vcc
	s_and_saveexec_b64 s[18:19], s[22:23]
	s_cbranch_execz .LBB108_665
; %bb.664:
	v_ashrrev_i32_e32 v231, 31, v230
	s_waitcnt vmcnt(0)
	v_lshl_add_u64 v[148:149], v[230:231], 2, v[146:147]
	global_load_dword v150, v[148:149], off
	global_load_dword v151, v[146:147], off offset:124
	s_waitcnt vmcnt(1)
	global_store_dword v[146:147], v150, off offset:124
	s_waitcnt vmcnt(1)
	global_store_dword v[148:149], v151, off
.LBB108_665:
	s_or_b64 exec, exec, s[18:19]
	v_mov_b32_e32 v233, v230
	v_mov_b32_e32 v224, v230
.LBB108_666:
	s_or_b64 exec, exec, s[16:17]
.LBB108_667:
	s_andn2_saveexec_b64 s[0:1], s[0:1]
	s_cbranch_execz .LBB108_669
; %bb.668:
	v_mov_b32_e32 v233, 31
	ds_write2_b64 v232, v[84:85], v[86:87] offset0:64 offset1:65
	ds_write2_b64 v232, v[80:81], v[82:83] offset0:66 offset1:67
	;; [unrolled: 1-line block ×23, first 2 shown]
.LBB108_669:
	s_or_b64 exec, exec, s[0:1]
	v_cmp_lt_i32_e32 vcc, 31, v233
	s_waitcnt lgkmcnt(0)
	s_barrier
	s_and_saveexec_b64 s[0:1], vcc
	s_cbranch_execz .LBB108_671
; %bb.670:
	ds_read2_b64 v[236:239], v232 offset0:64 offset1:65
	v_mul_f64 v[148:149], v[222:223], v[90:91]
	v_mul_f64 v[90:91], v[220:221], v[90:91]
	v_fma_f64 v[230:231], v[220:221], v[88:89], -v[148:149]
	v_fmac_f64_e32 v[90:91], v[222:223], v[88:89]
	ds_read2_b64 v[220:223], v232 offset0:66 offset1:67
	s_waitcnt lgkmcnt(1)
	v_mul_f64 v[88:89], v[238:239], v[90:91]
	v_mul_f64 v[148:149], v[236:237], v[90:91]
	v_fma_f64 v[88:89], v[236:237], v[230:231], -v[88:89]
	v_fmac_f64_e32 v[148:149], v[238:239], v[230:231]
	ds_read2_b64 v[236:239], v232 offset0:68 offset1:69
	v_add_f64 v[84:85], v[84:85], -v[88:89]
	v_add_f64 v[86:87], v[86:87], -v[148:149]
	s_waitcnt lgkmcnt(1)
	v_mul_f64 v[88:89], v[222:223], v[90:91]
	v_mul_f64 v[148:149], v[220:221], v[90:91]
	v_fma_f64 v[88:89], v[220:221], v[230:231], -v[88:89]
	v_fmac_f64_e32 v[148:149], v[222:223], v[230:231]
	ds_read2_b64 v[220:223], v232 offset0:70 offset1:71
	v_add_f64 v[80:81], v[80:81], -v[88:89]
	v_add_f64 v[82:83], v[82:83], -v[148:149]
	;; [unrolled: 8-line block ×21, first 2 shown]
	s_waitcnt lgkmcnt(1)
	v_mul_f64 v[88:89], v[222:223], v[90:91]
	v_mul_f64 v[148:149], v[220:221], v[90:91]
	v_fma_f64 v[88:89], v[220:221], v[230:231], -v[88:89]
	v_fmac_f64_e32 v[148:149], v[222:223], v[230:231]
	v_add_f64 v[0:1], v[0:1], -v[88:89]
	v_add_f64 v[2:3], v[2:3], -v[148:149]
	s_waitcnt lgkmcnt(0)
	v_mul_f64 v[88:89], v[238:239], v[90:91]
	v_mul_f64 v[148:149], v[236:237], v[90:91]
	v_fma_f64 v[88:89], v[236:237], v[230:231], -v[88:89]
	v_fmac_f64_e32 v[148:149], v[238:239], v[230:231]
	v_add_f64 v[216:217], v[216:217], -v[88:89]
	v_add_f64 v[218:219], v[218:219], -v[148:149]
	v_mov_b64_e32 v[88:89], v[230:231]
.LBB108_671:
	s_or_b64 exec, exec, s[0:1]
	v_lshl_add_u32 v148, v233, 4, v232
	s_barrier
	ds_write2_b64 v148, v[84:85], v[86:87] offset1:1
	s_waitcnt lgkmcnt(0)
	s_barrier
	ds_read2_b64 v[220:223], v232 offset0:64 offset1:65
	s_cmp_lt_i32 s20, 34
	v_mov_b32_e32 v230, 32
	s_cbranch_scc1 .LBB108_674
; %bb.672:
	v_add_u32_e32 v231, 0x210, v232
	s_mov_b32 s16, 33
	v_mov_b32_e32 v230, 32
.LBB108_673:                            ; =>This Inner Loop Header: Depth=1
	ds_read2_b64 v[236:239], v231 offset1:1
	s_waitcnt lgkmcnt(1)
	v_xor_b32_e32 v149, 0x80000000, v221
	v_xor_b32_e32 v151, 0x80000000, v223
	v_cmp_gt_f64_e32 vcc, 0, v[222:223]
	v_cmp_gt_f64_e64 s[0:1], 0, v[220:221]
	v_mov_b32_e32 v148, v220
	v_mov_b32_e32 v150, v222
	v_cndmask_b32_e64 v149, v221, v149, s[0:1]
	v_cndmask_b32_e32 v151, v223, v151, vcc
	v_add_f64 v[148:149], v[148:149], v[150:151]
	s_waitcnt lgkmcnt(0)
	v_xor_b32_e32 v151, 0x80000000, v237
	v_xor_b32_e32 v227, 0x80000000, v239
	v_cmp_gt_f64_e32 vcc, 0, v[238:239]
	v_cmp_gt_f64_e64 s[0:1], 0, v[236:237]
	v_mov_b32_e32 v150, v236
	v_mov_b32_e32 v226, v238
	v_cndmask_b32_e64 v151, v237, v151, s[0:1]
	v_cndmask_b32_e32 v227, v239, v227, vcc
	v_add_f64 v[150:151], v[150:151], v[226:227]
	v_mov_b32_e32 v228, s16
	s_add_i32 s16, s16, 1
	v_cmp_lt_f64_e32 vcc, v[148:149], v[150:151]
	v_add_u32_e32 v231, 16, v231
	s_cmp_lg_u32 s20, s16
	v_cndmask_b32_e32 v221, v221, v237, vcc
	v_cndmask_b32_e32 v220, v220, v236, vcc
	;; [unrolled: 1-line block ×5, first 2 shown]
	s_cbranch_scc1 .LBB108_673
.LBB108_674:
	s_waitcnt lgkmcnt(0)
	v_cmp_eq_f64_e32 vcc, 0, v[220:221]
	v_cmp_eq_f64_e64 s[0:1], 0, v[222:223]
	s_and_b64 s[0:1], vcc, s[0:1]
	s_and_saveexec_b64 s[16:17], s[0:1]
	s_xor_b64 s[0:1], exec, s[16:17]
; %bb.675:
	v_cmp_ne_u32_e32 vcc, 0, v234
	s_nop 1
	v_cndmask_b32_e32 v234, 33, v234, vcc
; %bb.676:
	s_andn2_saveexec_b64 s[0:1], s[0:1]
	s_cbranch_execz .LBB108_682
; %bb.677:
	v_cmp_ngt_f64_e64 s[16:17], |v[220:221]|, |v[222:223]|
	s_and_saveexec_b64 s[18:19], s[16:17]
	s_xor_b64 s[16:17], exec, s[18:19]
	s_cbranch_execz .LBB108_679
; %bb.678:
	v_div_scale_f64 v[148:149], s[18:19], v[222:223], v[222:223], v[220:221]
	v_rcp_f64_e32 v[150:151], v[148:149]
	v_div_scale_f64 v[226:227], vcc, v[220:221], v[222:223], v[220:221]
	v_fma_f64 v[228:229], -v[148:149], v[150:151], 1.0
	v_fmac_f64_e32 v[150:151], v[150:151], v[228:229]
	v_fma_f64 v[228:229], -v[148:149], v[150:151], 1.0
	v_fmac_f64_e32 v[150:151], v[150:151], v[228:229]
	v_mul_f64 v[228:229], v[226:227], v[150:151]
	v_fma_f64 v[148:149], -v[148:149], v[228:229], v[226:227]
	v_div_fmas_f64 v[148:149], v[148:149], v[150:151], v[228:229]
	v_div_fixup_f64 v[148:149], v[148:149], v[222:223], v[220:221]
	v_fmac_f64_e32 v[222:223], v[220:221], v[148:149]
	v_div_scale_f64 v[150:151], s[18:19], v[222:223], v[222:223], 1.0
	v_rcp_f64_e32 v[220:221], v[150:151]
	s_nop 0
	v_fma_f64 v[226:227], -v[150:151], v[220:221], 1.0
	v_fmac_f64_e32 v[220:221], v[220:221], v[226:227]
	v_fma_f64 v[226:227], -v[150:151], v[220:221], 1.0
	v_fmac_f64_e32 v[220:221], v[220:221], v[226:227]
	v_div_scale_f64 v[226:227], vcc, 1.0, v[222:223], 1.0
	v_mul_f64 v[228:229], v[226:227], v[220:221]
	v_fma_f64 v[150:151], -v[150:151], v[228:229], v[226:227]
	s_nop 1
	v_div_fmas_f64 v[150:151], v[150:151], v[220:221], v[228:229]
	v_div_fixup_f64 v[222:223], v[150:151], v[222:223], 1.0
	v_mul_f64 v[220:221], v[148:149], v[222:223]
	v_xor_b32_e32 v223, 0x80000000, v223
.LBB108_679:
	s_andn2_saveexec_b64 s[16:17], s[16:17]
	s_cbranch_execz .LBB108_681
; %bb.680:
	v_div_scale_f64 v[148:149], s[18:19], v[220:221], v[220:221], v[222:223]
	v_rcp_f64_e32 v[150:151], v[148:149]
	v_div_scale_f64 v[226:227], vcc, v[222:223], v[220:221], v[222:223]
	v_fma_f64 v[228:229], -v[148:149], v[150:151], 1.0
	v_fmac_f64_e32 v[150:151], v[150:151], v[228:229]
	v_fma_f64 v[228:229], -v[148:149], v[150:151], 1.0
	v_fmac_f64_e32 v[150:151], v[150:151], v[228:229]
	v_mul_f64 v[228:229], v[226:227], v[150:151]
	v_fma_f64 v[148:149], -v[148:149], v[228:229], v[226:227]
	v_div_fmas_f64 v[148:149], v[148:149], v[150:151], v[228:229]
	v_div_fixup_f64 v[148:149], v[148:149], v[220:221], v[222:223]
	v_fmac_f64_e32 v[220:221], v[222:223], v[148:149]
	v_div_scale_f64 v[150:151], s[18:19], v[220:221], v[220:221], 1.0
	v_rcp_f64_e32 v[222:223], v[150:151]
	s_nop 0
	v_fma_f64 v[226:227], -v[150:151], v[222:223], 1.0
	v_fmac_f64_e32 v[222:223], v[222:223], v[226:227]
	v_fma_f64 v[226:227], -v[150:151], v[222:223], 1.0
	v_fmac_f64_e32 v[222:223], v[222:223], v[226:227]
	v_div_scale_f64 v[226:227], vcc, 1.0, v[220:221], 1.0
	v_mul_f64 v[228:229], v[226:227], v[222:223]
	v_fma_f64 v[150:151], -v[150:151], v[228:229], v[226:227]
	s_nop 1
	v_div_fmas_f64 v[150:151], v[150:151], v[222:223], v[228:229]
	v_div_fixup_f64 v[220:221], v[150:151], v[220:221], 1.0
	v_mul_f64 v[222:223], v[148:149], -v[220:221]
.LBB108_681:
	s_or_b64 exec, exec, s[16:17]
.LBB108_682:
	s_or_b64 exec, exec, s[0:1]
	v_cmp_ne_u32_e32 vcc, v233, v230
	s_and_saveexec_b64 s[0:1], vcc
	s_xor_b64 s[0:1], exec, s[0:1]
	s_cbranch_execz .LBB108_688
; %bb.683:
	v_cmp_eq_u32_e32 vcc, 32, v233
	s_and_saveexec_b64 s[16:17], vcc
	s_cbranch_execz .LBB108_687
; %bb.684:
	v_cmp_ne_u32_e32 vcc, 32, v230
	s_xor_b64 s[18:19], s[14:15], -1
	s_and_b64 s[22:23], s[18:19], vcc
	s_and_saveexec_b64 s[18:19], s[22:23]
	s_cbranch_execz .LBB108_686
; %bb.685:
	v_ashrrev_i32_e32 v231, 31, v230
	s_waitcnt vmcnt(0)
	v_lshl_add_u64 v[148:149], v[230:231], 2, v[146:147]
	global_load_dword v150, v[148:149], off
	global_load_dword v151, v[146:147], off offset:128
	s_waitcnt vmcnt(1)
	global_store_dword v[146:147], v150, off offset:128
	s_waitcnt vmcnt(1)
	global_store_dword v[148:149], v151, off
.LBB108_686:
	s_or_b64 exec, exec, s[18:19]
	v_mov_b32_e32 v233, v230
	v_mov_b32_e32 v224, v230
.LBB108_687:
	s_or_b64 exec, exec, s[16:17]
.LBB108_688:
	s_andn2_saveexec_b64 s[0:1], s[0:1]
	s_cbranch_execz .LBB108_690
; %bb.689:
	v_mov_b32_e32 v233, 32
	ds_write2_b64 v232, v[80:81], v[82:83] offset0:66 offset1:67
	ds_write2_b64 v232, v[76:77], v[78:79] offset0:68 offset1:69
	;; [unrolled: 1-line block ×22, first 2 shown]
.LBB108_690:
	s_or_b64 exec, exec, s[0:1]
	v_cmp_lt_i32_e32 vcc, 32, v233
	s_waitcnt lgkmcnt(0)
	s_barrier
	s_and_saveexec_b64 s[0:1], vcc
	s_cbranch_execz .LBB108_692
; %bb.691:
	ds_read2_b64 v[236:239], v232 offset0:66 offset1:67
	v_mul_f64 v[148:149], v[222:223], v[86:87]
	v_mul_f64 v[86:87], v[220:221], v[86:87]
	v_fma_f64 v[230:231], v[220:221], v[84:85], -v[148:149]
	v_fmac_f64_e32 v[86:87], v[222:223], v[84:85]
	ds_read2_b64 v[220:223], v232 offset0:68 offset1:69
	s_waitcnt lgkmcnt(1)
	v_mul_f64 v[84:85], v[238:239], v[86:87]
	v_mul_f64 v[148:149], v[236:237], v[86:87]
	v_fma_f64 v[84:85], v[236:237], v[230:231], -v[84:85]
	v_fmac_f64_e32 v[148:149], v[238:239], v[230:231]
	ds_read2_b64 v[236:239], v232 offset0:70 offset1:71
	v_add_f64 v[80:81], v[80:81], -v[84:85]
	v_add_f64 v[82:83], v[82:83], -v[148:149]
	s_waitcnt lgkmcnt(1)
	v_mul_f64 v[84:85], v[222:223], v[86:87]
	v_mul_f64 v[148:149], v[220:221], v[86:87]
	v_fma_f64 v[84:85], v[220:221], v[230:231], -v[84:85]
	v_fmac_f64_e32 v[148:149], v[222:223], v[230:231]
	ds_read2_b64 v[220:223], v232 offset0:72 offset1:73
	v_add_f64 v[76:77], v[76:77], -v[84:85]
	v_add_f64 v[78:79], v[78:79], -v[148:149]
	;; [unrolled: 8-line block ×20, first 2 shown]
	s_waitcnt lgkmcnt(1)
	v_mul_f64 v[84:85], v[238:239], v[86:87]
	v_mul_f64 v[148:149], v[236:237], v[86:87]
	v_fma_f64 v[84:85], v[236:237], v[230:231], -v[84:85]
	v_fmac_f64_e32 v[148:149], v[238:239], v[230:231]
	v_add_f64 v[0:1], v[0:1], -v[84:85]
	v_add_f64 v[2:3], v[2:3], -v[148:149]
	s_waitcnt lgkmcnt(0)
	v_mul_f64 v[84:85], v[222:223], v[86:87]
	v_mul_f64 v[148:149], v[220:221], v[86:87]
	v_fma_f64 v[84:85], v[220:221], v[230:231], -v[84:85]
	v_fmac_f64_e32 v[148:149], v[222:223], v[230:231]
	v_add_f64 v[216:217], v[216:217], -v[84:85]
	v_add_f64 v[218:219], v[218:219], -v[148:149]
	v_mov_b64_e32 v[84:85], v[230:231]
.LBB108_692:
	s_or_b64 exec, exec, s[0:1]
	v_lshl_add_u32 v148, v233, 4, v232
	s_barrier
	ds_write2_b64 v148, v[80:81], v[82:83] offset1:1
	s_waitcnt lgkmcnt(0)
	s_barrier
	ds_read2_b64 v[220:223], v232 offset0:66 offset1:67
	s_cmp_lt_i32 s20, 35
	v_mov_b32_e32 v230, 33
	s_cbranch_scc1 .LBB108_695
; %bb.693:
	v_add_u32_e32 v231, 0x220, v232
	s_mov_b32 s16, 34
	v_mov_b32_e32 v230, 33
.LBB108_694:                            ; =>This Inner Loop Header: Depth=1
	ds_read2_b64 v[236:239], v231 offset1:1
	s_waitcnt lgkmcnt(1)
	v_xor_b32_e32 v149, 0x80000000, v221
	v_xor_b32_e32 v151, 0x80000000, v223
	v_cmp_gt_f64_e32 vcc, 0, v[222:223]
	v_cmp_gt_f64_e64 s[0:1], 0, v[220:221]
	v_mov_b32_e32 v148, v220
	v_mov_b32_e32 v150, v222
	v_cndmask_b32_e64 v149, v221, v149, s[0:1]
	v_cndmask_b32_e32 v151, v223, v151, vcc
	v_add_f64 v[148:149], v[148:149], v[150:151]
	s_waitcnt lgkmcnt(0)
	v_xor_b32_e32 v151, 0x80000000, v237
	v_xor_b32_e32 v227, 0x80000000, v239
	v_cmp_gt_f64_e32 vcc, 0, v[238:239]
	v_cmp_gt_f64_e64 s[0:1], 0, v[236:237]
	v_mov_b32_e32 v150, v236
	v_mov_b32_e32 v226, v238
	v_cndmask_b32_e64 v151, v237, v151, s[0:1]
	v_cndmask_b32_e32 v227, v239, v227, vcc
	v_add_f64 v[150:151], v[150:151], v[226:227]
	v_mov_b32_e32 v228, s16
	s_add_i32 s16, s16, 1
	v_cmp_lt_f64_e32 vcc, v[148:149], v[150:151]
	v_add_u32_e32 v231, 16, v231
	s_cmp_lg_u32 s20, s16
	v_cndmask_b32_e32 v221, v221, v237, vcc
	v_cndmask_b32_e32 v220, v220, v236, vcc
	;; [unrolled: 1-line block ×5, first 2 shown]
	s_cbranch_scc1 .LBB108_694
.LBB108_695:
	s_waitcnt lgkmcnt(0)
	v_cmp_eq_f64_e32 vcc, 0, v[220:221]
	v_cmp_eq_f64_e64 s[0:1], 0, v[222:223]
	s_and_b64 s[0:1], vcc, s[0:1]
	s_and_saveexec_b64 s[16:17], s[0:1]
	s_xor_b64 s[0:1], exec, s[16:17]
; %bb.696:
	v_cmp_ne_u32_e32 vcc, 0, v234
	s_nop 1
	v_cndmask_b32_e32 v234, 34, v234, vcc
; %bb.697:
	s_andn2_saveexec_b64 s[0:1], s[0:1]
	s_cbranch_execz .LBB108_703
; %bb.698:
	v_cmp_ngt_f64_e64 s[16:17], |v[220:221]|, |v[222:223]|
	s_and_saveexec_b64 s[18:19], s[16:17]
	s_xor_b64 s[16:17], exec, s[18:19]
	s_cbranch_execz .LBB108_700
; %bb.699:
	v_div_scale_f64 v[148:149], s[18:19], v[222:223], v[222:223], v[220:221]
	v_rcp_f64_e32 v[150:151], v[148:149]
	v_div_scale_f64 v[226:227], vcc, v[220:221], v[222:223], v[220:221]
	v_fma_f64 v[228:229], -v[148:149], v[150:151], 1.0
	v_fmac_f64_e32 v[150:151], v[150:151], v[228:229]
	v_fma_f64 v[228:229], -v[148:149], v[150:151], 1.0
	v_fmac_f64_e32 v[150:151], v[150:151], v[228:229]
	v_mul_f64 v[228:229], v[226:227], v[150:151]
	v_fma_f64 v[148:149], -v[148:149], v[228:229], v[226:227]
	v_div_fmas_f64 v[148:149], v[148:149], v[150:151], v[228:229]
	v_div_fixup_f64 v[148:149], v[148:149], v[222:223], v[220:221]
	v_fmac_f64_e32 v[222:223], v[220:221], v[148:149]
	v_div_scale_f64 v[150:151], s[18:19], v[222:223], v[222:223], 1.0
	v_rcp_f64_e32 v[220:221], v[150:151]
	s_nop 0
	v_fma_f64 v[226:227], -v[150:151], v[220:221], 1.0
	v_fmac_f64_e32 v[220:221], v[220:221], v[226:227]
	v_fma_f64 v[226:227], -v[150:151], v[220:221], 1.0
	v_fmac_f64_e32 v[220:221], v[220:221], v[226:227]
	v_div_scale_f64 v[226:227], vcc, 1.0, v[222:223], 1.0
	v_mul_f64 v[228:229], v[226:227], v[220:221]
	v_fma_f64 v[150:151], -v[150:151], v[228:229], v[226:227]
	s_nop 1
	v_div_fmas_f64 v[150:151], v[150:151], v[220:221], v[228:229]
	v_div_fixup_f64 v[222:223], v[150:151], v[222:223], 1.0
	v_mul_f64 v[220:221], v[148:149], v[222:223]
	v_xor_b32_e32 v223, 0x80000000, v223
.LBB108_700:
	s_andn2_saveexec_b64 s[16:17], s[16:17]
	s_cbranch_execz .LBB108_702
; %bb.701:
	v_div_scale_f64 v[148:149], s[18:19], v[220:221], v[220:221], v[222:223]
	v_rcp_f64_e32 v[150:151], v[148:149]
	v_div_scale_f64 v[226:227], vcc, v[222:223], v[220:221], v[222:223]
	v_fma_f64 v[228:229], -v[148:149], v[150:151], 1.0
	v_fmac_f64_e32 v[150:151], v[150:151], v[228:229]
	v_fma_f64 v[228:229], -v[148:149], v[150:151], 1.0
	v_fmac_f64_e32 v[150:151], v[150:151], v[228:229]
	v_mul_f64 v[228:229], v[226:227], v[150:151]
	v_fma_f64 v[148:149], -v[148:149], v[228:229], v[226:227]
	v_div_fmas_f64 v[148:149], v[148:149], v[150:151], v[228:229]
	v_div_fixup_f64 v[148:149], v[148:149], v[220:221], v[222:223]
	v_fmac_f64_e32 v[220:221], v[222:223], v[148:149]
	v_div_scale_f64 v[150:151], s[18:19], v[220:221], v[220:221], 1.0
	v_rcp_f64_e32 v[222:223], v[150:151]
	s_nop 0
	v_fma_f64 v[226:227], -v[150:151], v[222:223], 1.0
	v_fmac_f64_e32 v[222:223], v[222:223], v[226:227]
	v_fma_f64 v[226:227], -v[150:151], v[222:223], 1.0
	v_fmac_f64_e32 v[222:223], v[222:223], v[226:227]
	v_div_scale_f64 v[226:227], vcc, 1.0, v[220:221], 1.0
	v_mul_f64 v[228:229], v[226:227], v[222:223]
	v_fma_f64 v[150:151], -v[150:151], v[228:229], v[226:227]
	s_nop 1
	v_div_fmas_f64 v[150:151], v[150:151], v[222:223], v[228:229]
	v_div_fixup_f64 v[220:221], v[150:151], v[220:221], 1.0
	v_mul_f64 v[222:223], v[148:149], -v[220:221]
.LBB108_702:
	s_or_b64 exec, exec, s[16:17]
.LBB108_703:
	s_or_b64 exec, exec, s[0:1]
	v_cmp_ne_u32_e32 vcc, v233, v230
	s_and_saveexec_b64 s[0:1], vcc
	s_xor_b64 s[0:1], exec, s[0:1]
	s_cbranch_execz .LBB108_709
; %bb.704:
	v_cmp_eq_u32_e32 vcc, 33, v233
	s_and_saveexec_b64 s[16:17], vcc
	s_cbranch_execz .LBB108_708
; %bb.705:
	v_cmp_ne_u32_e32 vcc, 33, v230
	s_xor_b64 s[18:19], s[14:15], -1
	s_and_b64 s[22:23], s[18:19], vcc
	s_and_saveexec_b64 s[18:19], s[22:23]
	s_cbranch_execz .LBB108_707
; %bb.706:
	v_ashrrev_i32_e32 v231, 31, v230
	s_waitcnt vmcnt(0)
	v_lshl_add_u64 v[148:149], v[230:231], 2, v[146:147]
	global_load_dword v150, v[148:149], off
	global_load_dword v151, v[146:147], off offset:132
	s_waitcnt vmcnt(1)
	global_store_dword v[146:147], v150, off offset:132
	s_waitcnt vmcnt(1)
	global_store_dword v[148:149], v151, off
.LBB108_707:
	s_or_b64 exec, exec, s[18:19]
	v_mov_b32_e32 v233, v230
	v_mov_b32_e32 v224, v230
.LBB108_708:
	s_or_b64 exec, exec, s[16:17]
.LBB108_709:
	s_andn2_saveexec_b64 s[0:1], s[0:1]
	s_cbranch_execz .LBB108_711
; %bb.710:
	v_mov_b32_e32 v233, 33
	ds_write2_b64 v232, v[76:77], v[78:79] offset0:68 offset1:69
	ds_write2_b64 v232, v[72:73], v[74:75] offset0:70 offset1:71
	;; [unrolled: 1-line block ×21, first 2 shown]
.LBB108_711:
	s_or_b64 exec, exec, s[0:1]
	v_cmp_lt_i32_e32 vcc, 33, v233
	s_waitcnt lgkmcnt(0)
	s_barrier
	s_and_saveexec_b64 s[0:1], vcc
	s_cbranch_execz .LBB108_713
; %bb.712:
	ds_read2_b64 v[236:239], v232 offset0:68 offset1:69
	v_mul_f64 v[148:149], v[222:223], v[82:83]
	v_mul_f64 v[82:83], v[220:221], v[82:83]
	v_fma_f64 v[230:231], v[220:221], v[80:81], -v[148:149]
	v_fmac_f64_e32 v[82:83], v[222:223], v[80:81]
	ds_read2_b64 v[220:223], v232 offset0:70 offset1:71
	s_waitcnt lgkmcnt(1)
	v_mul_f64 v[80:81], v[238:239], v[82:83]
	v_mul_f64 v[148:149], v[236:237], v[82:83]
	v_fma_f64 v[80:81], v[236:237], v[230:231], -v[80:81]
	v_fmac_f64_e32 v[148:149], v[238:239], v[230:231]
	ds_read2_b64 v[236:239], v232 offset0:72 offset1:73
	v_add_f64 v[76:77], v[76:77], -v[80:81]
	v_add_f64 v[78:79], v[78:79], -v[148:149]
	s_waitcnt lgkmcnt(1)
	v_mul_f64 v[80:81], v[222:223], v[82:83]
	v_mul_f64 v[148:149], v[220:221], v[82:83]
	v_fma_f64 v[80:81], v[220:221], v[230:231], -v[80:81]
	v_fmac_f64_e32 v[148:149], v[222:223], v[230:231]
	ds_read2_b64 v[220:223], v232 offset0:74 offset1:75
	v_add_f64 v[72:73], v[72:73], -v[80:81]
	v_add_f64 v[74:75], v[74:75], -v[148:149]
	;; [unrolled: 8-line block ×19, first 2 shown]
	s_waitcnt lgkmcnt(1)
	v_mul_f64 v[80:81], v[222:223], v[82:83]
	v_mul_f64 v[148:149], v[220:221], v[82:83]
	v_fma_f64 v[80:81], v[220:221], v[230:231], -v[80:81]
	v_fmac_f64_e32 v[148:149], v[222:223], v[230:231]
	v_add_f64 v[0:1], v[0:1], -v[80:81]
	v_add_f64 v[2:3], v[2:3], -v[148:149]
	s_waitcnt lgkmcnt(0)
	v_mul_f64 v[80:81], v[238:239], v[82:83]
	v_mul_f64 v[148:149], v[236:237], v[82:83]
	v_fma_f64 v[80:81], v[236:237], v[230:231], -v[80:81]
	v_fmac_f64_e32 v[148:149], v[238:239], v[230:231]
	v_add_f64 v[216:217], v[216:217], -v[80:81]
	v_add_f64 v[218:219], v[218:219], -v[148:149]
	v_mov_b64_e32 v[80:81], v[230:231]
.LBB108_713:
	s_or_b64 exec, exec, s[0:1]
	v_lshl_add_u32 v148, v233, 4, v232
	s_barrier
	ds_write2_b64 v148, v[76:77], v[78:79] offset1:1
	s_waitcnt lgkmcnt(0)
	s_barrier
	ds_read2_b64 v[220:223], v232 offset0:68 offset1:69
	s_cmp_lt_i32 s20, 36
	v_mov_b32_e32 v230, 34
	s_cbranch_scc1 .LBB108_716
; %bb.714:
	v_add_u32_e32 v231, 0x230, v232
	s_mov_b32 s16, 35
	v_mov_b32_e32 v230, 34
.LBB108_715:                            ; =>This Inner Loop Header: Depth=1
	ds_read2_b64 v[236:239], v231 offset1:1
	s_waitcnt lgkmcnt(1)
	v_xor_b32_e32 v149, 0x80000000, v221
	v_xor_b32_e32 v151, 0x80000000, v223
	v_cmp_gt_f64_e32 vcc, 0, v[222:223]
	v_cmp_gt_f64_e64 s[0:1], 0, v[220:221]
	v_mov_b32_e32 v148, v220
	v_mov_b32_e32 v150, v222
	v_cndmask_b32_e64 v149, v221, v149, s[0:1]
	v_cndmask_b32_e32 v151, v223, v151, vcc
	v_add_f64 v[148:149], v[148:149], v[150:151]
	s_waitcnt lgkmcnt(0)
	v_xor_b32_e32 v151, 0x80000000, v237
	v_xor_b32_e32 v227, 0x80000000, v239
	v_cmp_gt_f64_e32 vcc, 0, v[238:239]
	v_cmp_gt_f64_e64 s[0:1], 0, v[236:237]
	v_mov_b32_e32 v150, v236
	v_mov_b32_e32 v226, v238
	v_cndmask_b32_e64 v151, v237, v151, s[0:1]
	v_cndmask_b32_e32 v227, v239, v227, vcc
	v_add_f64 v[150:151], v[150:151], v[226:227]
	v_mov_b32_e32 v228, s16
	s_add_i32 s16, s16, 1
	v_cmp_lt_f64_e32 vcc, v[148:149], v[150:151]
	v_add_u32_e32 v231, 16, v231
	s_cmp_lg_u32 s20, s16
	v_cndmask_b32_e32 v221, v221, v237, vcc
	v_cndmask_b32_e32 v220, v220, v236, vcc
	;; [unrolled: 1-line block ×5, first 2 shown]
	s_cbranch_scc1 .LBB108_715
.LBB108_716:
	s_waitcnt lgkmcnt(0)
	v_cmp_eq_f64_e32 vcc, 0, v[220:221]
	v_cmp_eq_f64_e64 s[0:1], 0, v[222:223]
	s_and_b64 s[0:1], vcc, s[0:1]
	s_and_saveexec_b64 s[16:17], s[0:1]
	s_xor_b64 s[0:1], exec, s[16:17]
; %bb.717:
	v_cmp_ne_u32_e32 vcc, 0, v234
	s_nop 1
	v_cndmask_b32_e32 v234, 35, v234, vcc
; %bb.718:
	s_andn2_saveexec_b64 s[0:1], s[0:1]
	s_cbranch_execz .LBB108_724
; %bb.719:
	v_cmp_ngt_f64_e64 s[16:17], |v[220:221]|, |v[222:223]|
	s_and_saveexec_b64 s[18:19], s[16:17]
	s_xor_b64 s[16:17], exec, s[18:19]
	s_cbranch_execz .LBB108_721
; %bb.720:
	v_div_scale_f64 v[148:149], s[18:19], v[222:223], v[222:223], v[220:221]
	v_rcp_f64_e32 v[150:151], v[148:149]
	v_div_scale_f64 v[226:227], vcc, v[220:221], v[222:223], v[220:221]
	v_fma_f64 v[228:229], -v[148:149], v[150:151], 1.0
	v_fmac_f64_e32 v[150:151], v[150:151], v[228:229]
	v_fma_f64 v[228:229], -v[148:149], v[150:151], 1.0
	v_fmac_f64_e32 v[150:151], v[150:151], v[228:229]
	v_mul_f64 v[228:229], v[226:227], v[150:151]
	v_fma_f64 v[148:149], -v[148:149], v[228:229], v[226:227]
	v_div_fmas_f64 v[148:149], v[148:149], v[150:151], v[228:229]
	v_div_fixup_f64 v[148:149], v[148:149], v[222:223], v[220:221]
	v_fmac_f64_e32 v[222:223], v[220:221], v[148:149]
	v_div_scale_f64 v[150:151], s[18:19], v[222:223], v[222:223], 1.0
	v_rcp_f64_e32 v[220:221], v[150:151]
	s_nop 0
	v_fma_f64 v[226:227], -v[150:151], v[220:221], 1.0
	v_fmac_f64_e32 v[220:221], v[220:221], v[226:227]
	v_fma_f64 v[226:227], -v[150:151], v[220:221], 1.0
	v_fmac_f64_e32 v[220:221], v[220:221], v[226:227]
	v_div_scale_f64 v[226:227], vcc, 1.0, v[222:223], 1.0
	v_mul_f64 v[228:229], v[226:227], v[220:221]
	v_fma_f64 v[150:151], -v[150:151], v[228:229], v[226:227]
	s_nop 1
	v_div_fmas_f64 v[150:151], v[150:151], v[220:221], v[228:229]
	v_div_fixup_f64 v[222:223], v[150:151], v[222:223], 1.0
	v_mul_f64 v[220:221], v[148:149], v[222:223]
	v_xor_b32_e32 v223, 0x80000000, v223
.LBB108_721:
	s_andn2_saveexec_b64 s[16:17], s[16:17]
	s_cbranch_execz .LBB108_723
; %bb.722:
	v_div_scale_f64 v[148:149], s[18:19], v[220:221], v[220:221], v[222:223]
	v_rcp_f64_e32 v[150:151], v[148:149]
	v_div_scale_f64 v[226:227], vcc, v[222:223], v[220:221], v[222:223]
	v_fma_f64 v[228:229], -v[148:149], v[150:151], 1.0
	v_fmac_f64_e32 v[150:151], v[150:151], v[228:229]
	v_fma_f64 v[228:229], -v[148:149], v[150:151], 1.0
	v_fmac_f64_e32 v[150:151], v[150:151], v[228:229]
	v_mul_f64 v[228:229], v[226:227], v[150:151]
	v_fma_f64 v[148:149], -v[148:149], v[228:229], v[226:227]
	v_div_fmas_f64 v[148:149], v[148:149], v[150:151], v[228:229]
	v_div_fixup_f64 v[148:149], v[148:149], v[220:221], v[222:223]
	v_fmac_f64_e32 v[220:221], v[222:223], v[148:149]
	v_div_scale_f64 v[150:151], s[18:19], v[220:221], v[220:221], 1.0
	v_rcp_f64_e32 v[222:223], v[150:151]
	s_nop 0
	v_fma_f64 v[226:227], -v[150:151], v[222:223], 1.0
	v_fmac_f64_e32 v[222:223], v[222:223], v[226:227]
	v_fma_f64 v[226:227], -v[150:151], v[222:223], 1.0
	v_fmac_f64_e32 v[222:223], v[222:223], v[226:227]
	v_div_scale_f64 v[226:227], vcc, 1.0, v[220:221], 1.0
	v_mul_f64 v[228:229], v[226:227], v[222:223]
	v_fma_f64 v[150:151], -v[150:151], v[228:229], v[226:227]
	s_nop 1
	v_div_fmas_f64 v[150:151], v[150:151], v[222:223], v[228:229]
	v_div_fixup_f64 v[220:221], v[150:151], v[220:221], 1.0
	v_mul_f64 v[222:223], v[148:149], -v[220:221]
.LBB108_723:
	s_or_b64 exec, exec, s[16:17]
.LBB108_724:
	s_or_b64 exec, exec, s[0:1]
	v_cmp_ne_u32_e32 vcc, v233, v230
	s_and_saveexec_b64 s[0:1], vcc
	s_xor_b64 s[0:1], exec, s[0:1]
	s_cbranch_execz .LBB108_730
; %bb.725:
	v_cmp_eq_u32_e32 vcc, 34, v233
	s_and_saveexec_b64 s[16:17], vcc
	s_cbranch_execz .LBB108_729
; %bb.726:
	v_cmp_ne_u32_e32 vcc, 34, v230
	s_xor_b64 s[18:19], s[14:15], -1
	s_and_b64 s[22:23], s[18:19], vcc
	s_and_saveexec_b64 s[18:19], s[22:23]
	s_cbranch_execz .LBB108_728
; %bb.727:
	v_ashrrev_i32_e32 v231, 31, v230
	s_waitcnt vmcnt(0)
	v_lshl_add_u64 v[148:149], v[230:231], 2, v[146:147]
	global_load_dword v150, v[148:149], off
	global_load_dword v151, v[146:147], off offset:136
	s_waitcnt vmcnt(1)
	global_store_dword v[146:147], v150, off offset:136
	s_waitcnt vmcnt(1)
	global_store_dword v[148:149], v151, off
.LBB108_728:
	s_or_b64 exec, exec, s[18:19]
	v_mov_b32_e32 v233, v230
	v_mov_b32_e32 v224, v230
.LBB108_729:
	s_or_b64 exec, exec, s[16:17]
.LBB108_730:
	s_andn2_saveexec_b64 s[0:1], s[0:1]
	s_cbranch_execz .LBB108_732
; %bb.731:
	v_mov_b32_e32 v233, 34
	ds_write2_b64 v232, v[72:73], v[74:75] offset0:70 offset1:71
	ds_write2_b64 v232, v[68:69], v[70:71] offset0:72 offset1:73
	ds_write2_b64 v232, v[64:65], v[66:67] offset0:74 offset1:75
	ds_write2_b64 v232, v[60:61], v[62:63] offset0:76 offset1:77
	ds_write2_b64 v232, v[56:57], v[58:59] offset0:78 offset1:79
	ds_write2_b64 v232, v[52:53], v[54:55] offset0:80 offset1:81
	ds_write2_b64 v232, v[48:49], v[50:51] offset0:82 offset1:83
	ds_write2_b64 v232, v[44:45], v[46:47] offset0:84 offset1:85
	ds_write2_b64 v232, v[40:41], v[42:43] offset0:86 offset1:87
	ds_write2_b64 v232, v[36:37], v[38:39] offset0:88 offset1:89
	ds_write2_b64 v232, v[32:33], v[34:35] offset0:90 offset1:91
	ds_write2_b64 v232, v[28:29], v[30:31] offset0:92 offset1:93
	ds_write2_b64 v232, v[24:25], v[26:27] offset0:94 offset1:95
	ds_write2_b64 v232, v[20:21], v[22:23] offset0:96 offset1:97
	ds_write2_b64 v232, v[16:17], v[18:19] offset0:98 offset1:99
	ds_write2_b64 v232, v[12:13], v[14:15] offset0:100 offset1:101
	ds_write2_b64 v232, v[8:9], v[10:11] offset0:102 offset1:103
	ds_write2_b64 v232, v[4:5], v[6:7] offset0:104 offset1:105
	ds_write2_b64 v232, v[0:1], v[2:3] offset0:106 offset1:107
	ds_write2_b64 v232, v[216:217], v[218:219] offset0:108 offset1:109
.LBB108_732:
	s_or_b64 exec, exec, s[0:1]
	v_cmp_lt_i32_e32 vcc, 34, v233
	s_waitcnt lgkmcnt(0)
	s_barrier
	s_and_saveexec_b64 s[0:1], vcc
	s_cbranch_execz .LBB108_734
; %bb.733:
	ds_read2_b64 v[236:239], v232 offset0:70 offset1:71
	v_mul_f64 v[148:149], v[222:223], v[78:79]
	v_mul_f64 v[78:79], v[220:221], v[78:79]
	v_fma_f64 v[230:231], v[220:221], v[76:77], -v[148:149]
	v_fmac_f64_e32 v[78:79], v[222:223], v[76:77]
	ds_read2_b64 v[220:223], v232 offset0:72 offset1:73
	s_waitcnt lgkmcnt(1)
	v_mul_f64 v[76:77], v[238:239], v[78:79]
	v_mul_f64 v[148:149], v[236:237], v[78:79]
	v_fma_f64 v[76:77], v[236:237], v[230:231], -v[76:77]
	v_fmac_f64_e32 v[148:149], v[238:239], v[230:231]
	ds_read2_b64 v[236:239], v232 offset0:74 offset1:75
	v_add_f64 v[72:73], v[72:73], -v[76:77]
	v_add_f64 v[74:75], v[74:75], -v[148:149]
	s_waitcnt lgkmcnt(1)
	v_mul_f64 v[76:77], v[222:223], v[78:79]
	v_mul_f64 v[148:149], v[220:221], v[78:79]
	v_fma_f64 v[76:77], v[220:221], v[230:231], -v[76:77]
	v_fmac_f64_e32 v[148:149], v[222:223], v[230:231]
	ds_read2_b64 v[220:223], v232 offset0:76 offset1:77
	v_add_f64 v[68:69], v[68:69], -v[76:77]
	v_add_f64 v[70:71], v[70:71], -v[148:149]
	;; [unrolled: 8-line block ×18, first 2 shown]
	s_waitcnt lgkmcnt(1)
	v_mul_f64 v[76:77], v[238:239], v[78:79]
	v_mul_f64 v[148:149], v[236:237], v[78:79]
	v_fma_f64 v[76:77], v[236:237], v[230:231], -v[76:77]
	v_fmac_f64_e32 v[148:149], v[238:239], v[230:231]
	v_add_f64 v[0:1], v[0:1], -v[76:77]
	v_add_f64 v[2:3], v[2:3], -v[148:149]
	s_waitcnt lgkmcnt(0)
	v_mul_f64 v[76:77], v[222:223], v[78:79]
	v_mul_f64 v[148:149], v[220:221], v[78:79]
	v_fma_f64 v[76:77], v[220:221], v[230:231], -v[76:77]
	v_fmac_f64_e32 v[148:149], v[222:223], v[230:231]
	v_add_f64 v[216:217], v[216:217], -v[76:77]
	v_add_f64 v[218:219], v[218:219], -v[148:149]
	v_mov_b64_e32 v[76:77], v[230:231]
.LBB108_734:
	s_or_b64 exec, exec, s[0:1]
	v_lshl_add_u32 v148, v233, 4, v232
	s_barrier
	ds_write2_b64 v148, v[72:73], v[74:75] offset1:1
	s_waitcnt lgkmcnt(0)
	s_barrier
	ds_read2_b64 v[220:223], v232 offset0:70 offset1:71
	s_cmp_lt_i32 s20, 37
	v_mov_b32_e32 v230, 35
	s_cbranch_scc1 .LBB108_737
; %bb.735:
	v_add_u32_e32 v231, 0x240, v232
	s_mov_b32 s16, 36
	v_mov_b32_e32 v230, 35
.LBB108_736:                            ; =>This Inner Loop Header: Depth=1
	ds_read2_b64 v[236:239], v231 offset1:1
	s_waitcnt lgkmcnt(1)
	v_xor_b32_e32 v149, 0x80000000, v221
	v_xor_b32_e32 v151, 0x80000000, v223
	v_cmp_gt_f64_e32 vcc, 0, v[222:223]
	v_cmp_gt_f64_e64 s[0:1], 0, v[220:221]
	v_mov_b32_e32 v148, v220
	v_mov_b32_e32 v150, v222
	v_cndmask_b32_e64 v149, v221, v149, s[0:1]
	v_cndmask_b32_e32 v151, v223, v151, vcc
	v_add_f64 v[148:149], v[148:149], v[150:151]
	s_waitcnt lgkmcnt(0)
	v_xor_b32_e32 v151, 0x80000000, v237
	v_xor_b32_e32 v227, 0x80000000, v239
	v_cmp_gt_f64_e32 vcc, 0, v[238:239]
	v_cmp_gt_f64_e64 s[0:1], 0, v[236:237]
	v_mov_b32_e32 v150, v236
	v_mov_b32_e32 v226, v238
	v_cndmask_b32_e64 v151, v237, v151, s[0:1]
	v_cndmask_b32_e32 v227, v239, v227, vcc
	v_add_f64 v[150:151], v[150:151], v[226:227]
	v_mov_b32_e32 v228, s16
	s_add_i32 s16, s16, 1
	v_cmp_lt_f64_e32 vcc, v[148:149], v[150:151]
	v_add_u32_e32 v231, 16, v231
	s_cmp_lg_u32 s20, s16
	v_cndmask_b32_e32 v221, v221, v237, vcc
	v_cndmask_b32_e32 v220, v220, v236, vcc
	v_cndmask_b32_e32 v223, v223, v239, vcc
	v_cndmask_b32_e32 v222, v222, v238, vcc
	v_cndmask_b32_e32 v230, v230, v228, vcc
	s_cbranch_scc1 .LBB108_736
.LBB108_737:
	s_waitcnt lgkmcnt(0)
	v_cmp_eq_f64_e32 vcc, 0, v[220:221]
	v_cmp_eq_f64_e64 s[0:1], 0, v[222:223]
	s_and_b64 s[0:1], vcc, s[0:1]
	s_and_saveexec_b64 s[16:17], s[0:1]
	s_xor_b64 s[0:1], exec, s[16:17]
; %bb.738:
	v_cmp_ne_u32_e32 vcc, 0, v234
	s_nop 1
	v_cndmask_b32_e32 v234, 36, v234, vcc
; %bb.739:
	s_andn2_saveexec_b64 s[0:1], s[0:1]
	s_cbranch_execz .LBB108_745
; %bb.740:
	v_cmp_ngt_f64_e64 s[16:17], |v[220:221]|, |v[222:223]|
	s_and_saveexec_b64 s[18:19], s[16:17]
	s_xor_b64 s[16:17], exec, s[18:19]
	s_cbranch_execz .LBB108_742
; %bb.741:
	v_div_scale_f64 v[148:149], s[18:19], v[222:223], v[222:223], v[220:221]
	v_rcp_f64_e32 v[150:151], v[148:149]
	v_div_scale_f64 v[226:227], vcc, v[220:221], v[222:223], v[220:221]
	v_fma_f64 v[228:229], -v[148:149], v[150:151], 1.0
	v_fmac_f64_e32 v[150:151], v[150:151], v[228:229]
	v_fma_f64 v[228:229], -v[148:149], v[150:151], 1.0
	v_fmac_f64_e32 v[150:151], v[150:151], v[228:229]
	v_mul_f64 v[228:229], v[226:227], v[150:151]
	v_fma_f64 v[148:149], -v[148:149], v[228:229], v[226:227]
	v_div_fmas_f64 v[148:149], v[148:149], v[150:151], v[228:229]
	v_div_fixup_f64 v[148:149], v[148:149], v[222:223], v[220:221]
	v_fmac_f64_e32 v[222:223], v[220:221], v[148:149]
	v_div_scale_f64 v[150:151], s[18:19], v[222:223], v[222:223], 1.0
	v_rcp_f64_e32 v[220:221], v[150:151]
	s_nop 0
	v_fma_f64 v[226:227], -v[150:151], v[220:221], 1.0
	v_fmac_f64_e32 v[220:221], v[220:221], v[226:227]
	v_fma_f64 v[226:227], -v[150:151], v[220:221], 1.0
	v_fmac_f64_e32 v[220:221], v[220:221], v[226:227]
	v_div_scale_f64 v[226:227], vcc, 1.0, v[222:223], 1.0
	v_mul_f64 v[228:229], v[226:227], v[220:221]
	v_fma_f64 v[150:151], -v[150:151], v[228:229], v[226:227]
	s_nop 1
	v_div_fmas_f64 v[150:151], v[150:151], v[220:221], v[228:229]
	v_div_fixup_f64 v[222:223], v[150:151], v[222:223], 1.0
	v_mul_f64 v[220:221], v[148:149], v[222:223]
	v_xor_b32_e32 v223, 0x80000000, v223
.LBB108_742:
	s_andn2_saveexec_b64 s[16:17], s[16:17]
	s_cbranch_execz .LBB108_744
; %bb.743:
	v_div_scale_f64 v[148:149], s[18:19], v[220:221], v[220:221], v[222:223]
	v_rcp_f64_e32 v[150:151], v[148:149]
	v_div_scale_f64 v[226:227], vcc, v[222:223], v[220:221], v[222:223]
	v_fma_f64 v[228:229], -v[148:149], v[150:151], 1.0
	v_fmac_f64_e32 v[150:151], v[150:151], v[228:229]
	v_fma_f64 v[228:229], -v[148:149], v[150:151], 1.0
	v_fmac_f64_e32 v[150:151], v[150:151], v[228:229]
	v_mul_f64 v[228:229], v[226:227], v[150:151]
	v_fma_f64 v[148:149], -v[148:149], v[228:229], v[226:227]
	v_div_fmas_f64 v[148:149], v[148:149], v[150:151], v[228:229]
	v_div_fixup_f64 v[148:149], v[148:149], v[220:221], v[222:223]
	v_fmac_f64_e32 v[220:221], v[222:223], v[148:149]
	v_div_scale_f64 v[150:151], s[18:19], v[220:221], v[220:221], 1.0
	v_rcp_f64_e32 v[222:223], v[150:151]
	s_nop 0
	v_fma_f64 v[226:227], -v[150:151], v[222:223], 1.0
	v_fmac_f64_e32 v[222:223], v[222:223], v[226:227]
	v_fma_f64 v[226:227], -v[150:151], v[222:223], 1.0
	v_fmac_f64_e32 v[222:223], v[222:223], v[226:227]
	v_div_scale_f64 v[226:227], vcc, 1.0, v[220:221], 1.0
	v_mul_f64 v[228:229], v[226:227], v[222:223]
	v_fma_f64 v[150:151], -v[150:151], v[228:229], v[226:227]
	s_nop 1
	v_div_fmas_f64 v[150:151], v[150:151], v[222:223], v[228:229]
	v_div_fixup_f64 v[220:221], v[150:151], v[220:221], 1.0
	v_mul_f64 v[222:223], v[148:149], -v[220:221]
.LBB108_744:
	s_or_b64 exec, exec, s[16:17]
.LBB108_745:
	s_or_b64 exec, exec, s[0:1]
	v_cmp_ne_u32_e32 vcc, v233, v230
	s_and_saveexec_b64 s[0:1], vcc
	s_xor_b64 s[0:1], exec, s[0:1]
	s_cbranch_execz .LBB108_751
; %bb.746:
	v_cmp_eq_u32_e32 vcc, 35, v233
	s_and_saveexec_b64 s[16:17], vcc
	s_cbranch_execz .LBB108_750
; %bb.747:
	v_cmp_ne_u32_e32 vcc, 35, v230
	s_xor_b64 s[18:19], s[14:15], -1
	s_and_b64 s[22:23], s[18:19], vcc
	s_and_saveexec_b64 s[18:19], s[22:23]
	s_cbranch_execz .LBB108_749
; %bb.748:
	v_ashrrev_i32_e32 v231, 31, v230
	s_waitcnt vmcnt(0)
	v_lshl_add_u64 v[148:149], v[230:231], 2, v[146:147]
	global_load_dword v150, v[148:149], off
	global_load_dword v151, v[146:147], off offset:140
	s_waitcnt vmcnt(1)
	global_store_dword v[146:147], v150, off offset:140
	s_waitcnt vmcnt(1)
	global_store_dword v[148:149], v151, off
.LBB108_749:
	s_or_b64 exec, exec, s[18:19]
	v_mov_b32_e32 v233, v230
	v_mov_b32_e32 v224, v230
.LBB108_750:
	s_or_b64 exec, exec, s[16:17]
.LBB108_751:
	s_andn2_saveexec_b64 s[0:1], s[0:1]
	s_cbranch_execz .LBB108_753
; %bb.752:
	v_mov_b32_e32 v233, 35
	ds_write2_b64 v232, v[68:69], v[70:71] offset0:72 offset1:73
	ds_write2_b64 v232, v[64:65], v[66:67] offset0:74 offset1:75
	;; [unrolled: 1-line block ×19, first 2 shown]
.LBB108_753:
	s_or_b64 exec, exec, s[0:1]
	v_cmp_lt_i32_e32 vcc, 35, v233
	s_waitcnt lgkmcnt(0)
	s_barrier
	s_and_saveexec_b64 s[0:1], vcc
	s_cbranch_execz .LBB108_755
; %bb.754:
	ds_read2_b64 v[236:239], v232 offset0:72 offset1:73
	v_mul_f64 v[148:149], v[222:223], v[74:75]
	v_mul_f64 v[74:75], v[220:221], v[74:75]
	v_fma_f64 v[230:231], v[220:221], v[72:73], -v[148:149]
	v_fmac_f64_e32 v[74:75], v[222:223], v[72:73]
	ds_read2_b64 v[220:223], v232 offset0:74 offset1:75
	s_waitcnt lgkmcnt(1)
	v_mul_f64 v[72:73], v[238:239], v[74:75]
	v_mul_f64 v[148:149], v[236:237], v[74:75]
	v_fma_f64 v[72:73], v[236:237], v[230:231], -v[72:73]
	v_fmac_f64_e32 v[148:149], v[238:239], v[230:231]
	ds_read2_b64 v[236:239], v232 offset0:76 offset1:77
	v_add_f64 v[68:69], v[68:69], -v[72:73]
	v_add_f64 v[70:71], v[70:71], -v[148:149]
	s_waitcnt lgkmcnt(1)
	v_mul_f64 v[72:73], v[222:223], v[74:75]
	v_mul_f64 v[148:149], v[220:221], v[74:75]
	v_fma_f64 v[72:73], v[220:221], v[230:231], -v[72:73]
	v_fmac_f64_e32 v[148:149], v[222:223], v[230:231]
	ds_read2_b64 v[220:223], v232 offset0:78 offset1:79
	v_add_f64 v[64:65], v[64:65], -v[72:73]
	v_add_f64 v[66:67], v[66:67], -v[148:149]
	;; [unrolled: 8-line block ×17, first 2 shown]
	s_waitcnt lgkmcnt(1)
	v_mul_f64 v[72:73], v[222:223], v[74:75]
	v_mul_f64 v[148:149], v[220:221], v[74:75]
	v_fma_f64 v[72:73], v[220:221], v[230:231], -v[72:73]
	v_fmac_f64_e32 v[148:149], v[222:223], v[230:231]
	v_add_f64 v[0:1], v[0:1], -v[72:73]
	v_add_f64 v[2:3], v[2:3], -v[148:149]
	s_waitcnt lgkmcnt(0)
	v_mul_f64 v[72:73], v[238:239], v[74:75]
	v_mul_f64 v[148:149], v[236:237], v[74:75]
	v_fma_f64 v[72:73], v[236:237], v[230:231], -v[72:73]
	v_fmac_f64_e32 v[148:149], v[238:239], v[230:231]
	v_add_f64 v[216:217], v[216:217], -v[72:73]
	v_add_f64 v[218:219], v[218:219], -v[148:149]
	v_mov_b64_e32 v[72:73], v[230:231]
.LBB108_755:
	s_or_b64 exec, exec, s[0:1]
	v_lshl_add_u32 v148, v233, 4, v232
	s_barrier
	ds_write2_b64 v148, v[68:69], v[70:71] offset1:1
	s_waitcnt lgkmcnt(0)
	s_barrier
	ds_read2_b64 v[220:223], v232 offset0:72 offset1:73
	s_cmp_lt_i32 s20, 38
	v_mov_b32_e32 v230, 36
	s_cbranch_scc1 .LBB108_758
; %bb.756:
	v_add_u32_e32 v231, 0x250, v232
	s_mov_b32 s16, 37
	v_mov_b32_e32 v230, 36
.LBB108_757:                            ; =>This Inner Loop Header: Depth=1
	ds_read2_b64 v[236:239], v231 offset1:1
	s_waitcnt lgkmcnt(1)
	v_xor_b32_e32 v149, 0x80000000, v221
	v_xor_b32_e32 v151, 0x80000000, v223
	v_cmp_gt_f64_e32 vcc, 0, v[222:223]
	v_cmp_gt_f64_e64 s[0:1], 0, v[220:221]
	v_mov_b32_e32 v148, v220
	v_mov_b32_e32 v150, v222
	v_cndmask_b32_e64 v149, v221, v149, s[0:1]
	v_cndmask_b32_e32 v151, v223, v151, vcc
	v_add_f64 v[148:149], v[148:149], v[150:151]
	s_waitcnt lgkmcnt(0)
	v_xor_b32_e32 v151, 0x80000000, v237
	v_xor_b32_e32 v227, 0x80000000, v239
	v_cmp_gt_f64_e32 vcc, 0, v[238:239]
	v_cmp_gt_f64_e64 s[0:1], 0, v[236:237]
	v_mov_b32_e32 v150, v236
	v_mov_b32_e32 v226, v238
	v_cndmask_b32_e64 v151, v237, v151, s[0:1]
	v_cndmask_b32_e32 v227, v239, v227, vcc
	v_add_f64 v[150:151], v[150:151], v[226:227]
	v_mov_b32_e32 v228, s16
	s_add_i32 s16, s16, 1
	v_cmp_lt_f64_e32 vcc, v[148:149], v[150:151]
	v_add_u32_e32 v231, 16, v231
	s_cmp_lg_u32 s20, s16
	v_cndmask_b32_e32 v221, v221, v237, vcc
	v_cndmask_b32_e32 v220, v220, v236, vcc
	;; [unrolled: 1-line block ×5, first 2 shown]
	s_cbranch_scc1 .LBB108_757
.LBB108_758:
	s_waitcnt lgkmcnt(0)
	v_cmp_eq_f64_e32 vcc, 0, v[220:221]
	v_cmp_eq_f64_e64 s[0:1], 0, v[222:223]
	s_and_b64 s[0:1], vcc, s[0:1]
	s_and_saveexec_b64 s[16:17], s[0:1]
	s_xor_b64 s[0:1], exec, s[16:17]
; %bb.759:
	v_cmp_ne_u32_e32 vcc, 0, v234
	s_nop 1
	v_cndmask_b32_e32 v234, 37, v234, vcc
; %bb.760:
	s_andn2_saveexec_b64 s[0:1], s[0:1]
	s_cbranch_execz .LBB108_766
; %bb.761:
	v_cmp_ngt_f64_e64 s[16:17], |v[220:221]|, |v[222:223]|
	s_and_saveexec_b64 s[18:19], s[16:17]
	s_xor_b64 s[16:17], exec, s[18:19]
	s_cbranch_execz .LBB108_763
; %bb.762:
	v_div_scale_f64 v[148:149], s[18:19], v[222:223], v[222:223], v[220:221]
	v_rcp_f64_e32 v[150:151], v[148:149]
	v_div_scale_f64 v[226:227], vcc, v[220:221], v[222:223], v[220:221]
	v_fma_f64 v[228:229], -v[148:149], v[150:151], 1.0
	v_fmac_f64_e32 v[150:151], v[150:151], v[228:229]
	v_fma_f64 v[228:229], -v[148:149], v[150:151], 1.0
	v_fmac_f64_e32 v[150:151], v[150:151], v[228:229]
	v_mul_f64 v[228:229], v[226:227], v[150:151]
	v_fma_f64 v[148:149], -v[148:149], v[228:229], v[226:227]
	v_div_fmas_f64 v[148:149], v[148:149], v[150:151], v[228:229]
	v_div_fixup_f64 v[148:149], v[148:149], v[222:223], v[220:221]
	v_fmac_f64_e32 v[222:223], v[220:221], v[148:149]
	v_div_scale_f64 v[150:151], s[18:19], v[222:223], v[222:223], 1.0
	v_rcp_f64_e32 v[220:221], v[150:151]
	s_nop 0
	v_fma_f64 v[226:227], -v[150:151], v[220:221], 1.0
	v_fmac_f64_e32 v[220:221], v[220:221], v[226:227]
	v_fma_f64 v[226:227], -v[150:151], v[220:221], 1.0
	v_fmac_f64_e32 v[220:221], v[220:221], v[226:227]
	v_div_scale_f64 v[226:227], vcc, 1.0, v[222:223], 1.0
	v_mul_f64 v[228:229], v[226:227], v[220:221]
	v_fma_f64 v[150:151], -v[150:151], v[228:229], v[226:227]
	s_nop 1
	v_div_fmas_f64 v[150:151], v[150:151], v[220:221], v[228:229]
	v_div_fixup_f64 v[222:223], v[150:151], v[222:223], 1.0
	v_mul_f64 v[220:221], v[148:149], v[222:223]
	v_xor_b32_e32 v223, 0x80000000, v223
.LBB108_763:
	s_andn2_saveexec_b64 s[16:17], s[16:17]
	s_cbranch_execz .LBB108_765
; %bb.764:
	v_div_scale_f64 v[148:149], s[18:19], v[220:221], v[220:221], v[222:223]
	v_rcp_f64_e32 v[150:151], v[148:149]
	v_div_scale_f64 v[226:227], vcc, v[222:223], v[220:221], v[222:223]
	v_fma_f64 v[228:229], -v[148:149], v[150:151], 1.0
	v_fmac_f64_e32 v[150:151], v[150:151], v[228:229]
	v_fma_f64 v[228:229], -v[148:149], v[150:151], 1.0
	v_fmac_f64_e32 v[150:151], v[150:151], v[228:229]
	v_mul_f64 v[228:229], v[226:227], v[150:151]
	v_fma_f64 v[148:149], -v[148:149], v[228:229], v[226:227]
	v_div_fmas_f64 v[148:149], v[148:149], v[150:151], v[228:229]
	v_div_fixup_f64 v[148:149], v[148:149], v[220:221], v[222:223]
	v_fmac_f64_e32 v[220:221], v[222:223], v[148:149]
	v_div_scale_f64 v[150:151], s[18:19], v[220:221], v[220:221], 1.0
	v_rcp_f64_e32 v[222:223], v[150:151]
	s_nop 0
	v_fma_f64 v[226:227], -v[150:151], v[222:223], 1.0
	v_fmac_f64_e32 v[222:223], v[222:223], v[226:227]
	v_fma_f64 v[226:227], -v[150:151], v[222:223], 1.0
	v_fmac_f64_e32 v[222:223], v[222:223], v[226:227]
	v_div_scale_f64 v[226:227], vcc, 1.0, v[220:221], 1.0
	v_mul_f64 v[228:229], v[226:227], v[222:223]
	v_fma_f64 v[150:151], -v[150:151], v[228:229], v[226:227]
	s_nop 1
	v_div_fmas_f64 v[150:151], v[150:151], v[222:223], v[228:229]
	v_div_fixup_f64 v[220:221], v[150:151], v[220:221], 1.0
	v_mul_f64 v[222:223], v[148:149], -v[220:221]
.LBB108_765:
	s_or_b64 exec, exec, s[16:17]
.LBB108_766:
	s_or_b64 exec, exec, s[0:1]
	v_cmp_ne_u32_e32 vcc, v233, v230
	s_and_saveexec_b64 s[0:1], vcc
	s_xor_b64 s[0:1], exec, s[0:1]
	s_cbranch_execz .LBB108_772
; %bb.767:
	v_cmp_eq_u32_e32 vcc, 36, v233
	s_and_saveexec_b64 s[16:17], vcc
	s_cbranch_execz .LBB108_771
; %bb.768:
	v_cmp_ne_u32_e32 vcc, 36, v230
	s_xor_b64 s[18:19], s[14:15], -1
	s_and_b64 s[22:23], s[18:19], vcc
	s_and_saveexec_b64 s[18:19], s[22:23]
	s_cbranch_execz .LBB108_770
; %bb.769:
	v_ashrrev_i32_e32 v231, 31, v230
	s_waitcnt vmcnt(0)
	v_lshl_add_u64 v[148:149], v[230:231], 2, v[146:147]
	global_load_dword v150, v[148:149], off
	global_load_dword v151, v[146:147], off offset:144
	s_waitcnt vmcnt(1)
	global_store_dword v[146:147], v150, off offset:144
	s_waitcnt vmcnt(1)
	global_store_dword v[148:149], v151, off
.LBB108_770:
	s_or_b64 exec, exec, s[18:19]
	v_mov_b32_e32 v233, v230
	v_mov_b32_e32 v224, v230
.LBB108_771:
	s_or_b64 exec, exec, s[16:17]
.LBB108_772:
	s_andn2_saveexec_b64 s[0:1], s[0:1]
	s_cbranch_execz .LBB108_774
; %bb.773:
	v_mov_b32_e32 v233, 36
	ds_write2_b64 v232, v[64:65], v[66:67] offset0:74 offset1:75
	ds_write2_b64 v232, v[60:61], v[62:63] offset0:76 offset1:77
	;; [unrolled: 1-line block ×18, first 2 shown]
.LBB108_774:
	s_or_b64 exec, exec, s[0:1]
	v_cmp_lt_i32_e32 vcc, 36, v233
	s_waitcnt lgkmcnt(0)
	s_barrier
	s_and_saveexec_b64 s[0:1], vcc
	s_cbranch_execz .LBB108_776
; %bb.775:
	ds_read2_b64 v[236:239], v232 offset0:74 offset1:75
	v_mul_f64 v[148:149], v[222:223], v[70:71]
	v_mul_f64 v[70:71], v[220:221], v[70:71]
	v_fma_f64 v[230:231], v[220:221], v[68:69], -v[148:149]
	v_fmac_f64_e32 v[70:71], v[222:223], v[68:69]
	ds_read2_b64 v[220:223], v232 offset0:76 offset1:77
	s_waitcnt lgkmcnt(1)
	v_mul_f64 v[68:69], v[238:239], v[70:71]
	v_mul_f64 v[148:149], v[236:237], v[70:71]
	v_fma_f64 v[68:69], v[236:237], v[230:231], -v[68:69]
	v_fmac_f64_e32 v[148:149], v[238:239], v[230:231]
	ds_read2_b64 v[236:239], v232 offset0:78 offset1:79
	v_add_f64 v[64:65], v[64:65], -v[68:69]
	v_add_f64 v[66:67], v[66:67], -v[148:149]
	s_waitcnt lgkmcnt(1)
	v_mul_f64 v[68:69], v[222:223], v[70:71]
	v_mul_f64 v[148:149], v[220:221], v[70:71]
	v_fma_f64 v[68:69], v[220:221], v[230:231], -v[68:69]
	v_fmac_f64_e32 v[148:149], v[222:223], v[230:231]
	ds_read2_b64 v[220:223], v232 offset0:80 offset1:81
	v_add_f64 v[60:61], v[60:61], -v[68:69]
	v_add_f64 v[62:63], v[62:63], -v[148:149]
	;; [unrolled: 8-line block ×16, first 2 shown]
	s_waitcnt lgkmcnt(1)
	v_mul_f64 v[68:69], v[238:239], v[70:71]
	v_mul_f64 v[148:149], v[236:237], v[70:71]
	v_fma_f64 v[68:69], v[236:237], v[230:231], -v[68:69]
	v_fmac_f64_e32 v[148:149], v[238:239], v[230:231]
	v_add_f64 v[0:1], v[0:1], -v[68:69]
	v_add_f64 v[2:3], v[2:3], -v[148:149]
	s_waitcnt lgkmcnt(0)
	v_mul_f64 v[68:69], v[222:223], v[70:71]
	v_mul_f64 v[148:149], v[220:221], v[70:71]
	v_fma_f64 v[68:69], v[220:221], v[230:231], -v[68:69]
	v_fmac_f64_e32 v[148:149], v[222:223], v[230:231]
	v_add_f64 v[216:217], v[216:217], -v[68:69]
	v_add_f64 v[218:219], v[218:219], -v[148:149]
	v_mov_b64_e32 v[68:69], v[230:231]
.LBB108_776:
	s_or_b64 exec, exec, s[0:1]
	v_lshl_add_u32 v148, v233, 4, v232
	s_barrier
	ds_write2_b64 v148, v[64:65], v[66:67] offset1:1
	s_waitcnt lgkmcnt(0)
	s_barrier
	ds_read2_b64 v[220:223], v232 offset0:74 offset1:75
	s_cmp_lt_i32 s20, 39
	v_mov_b32_e32 v230, 37
	s_cbranch_scc1 .LBB108_779
; %bb.777:
	v_add_u32_e32 v231, 0x260, v232
	s_mov_b32 s16, 38
	v_mov_b32_e32 v230, 37
.LBB108_778:                            ; =>This Inner Loop Header: Depth=1
	ds_read2_b64 v[236:239], v231 offset1:1
	s_waitcnt lgkmcnt(1)
	v_xor_b32_e32 v149, 0x80000000, v221
	v_xor_b32_e32 v151, 0x80000000, v223
	v_cmp_gt_f64_e32 vcc, 0, v[222:223]
	v_cmp_gt_f64_e64 s[0:1], 0, v[220:221]
	v_mov_b32_e32 v148, v220
	v_mov_b32_e32 v150, v222
	v_cndmask_b32_e64 v149, v221, v149, s[0:1]
	v_cndmask_b32_e32 v151, v223, v151, vcc
	v_add_f64 v[148:149], v[148:149], v[150:151]
	s_waitcnt lgkmcnt(0)
	v_xor_b32_e32 v151, 0x80000000, v237
	v_xor_b32_e32 v227, 0x80000000, v239
	v_cmp_gt_f64_e32 vcc, 0, v[238:239]
	v_cmp_gt_f64_e64 s[0:1], 0, v[236:237]
	v_mov_b32_e32 v150, v236
	v_mov_b32_e32 v226, v238
	v_cndmask_b32_e64 v151, v237, v151, s[0:1]
	v_cndmask_b32_e32 v227, v239, v227, vcc
	v_add_f64 v[150:151], v[150:151], v[226:227]
	v_mov_b32_e32 v228, s16
	s_add_i32 s16, s16, 1
	v_cmp_lt_f64_e32 vcc, v[148:149], v[150:151]
	v_add_u32_e32 v231, 16, v231
	s_cmp_lg_u32 s20, s16
	v_cndmask_b32_e32 v221, v221, v237, vcc
	v_cndmask_b32_e32 v220, v220, v236, vcc
	;; [unrolled: 1-line block ×5, first 2 shown]
	s_cbranch_scc1 .LBB108_778
.LBB108_779:
	s_waitcnt lgkmcnt(0)
	v_cmp_eq_f64_e32 vcc, 0, v[220:221]
	v_cmp_eq_f64_e64 s[0:1], 0, v[222:223]
	s_and_b64 s[0:1], vcc, s[0:1]
	s_and_saveexec_b64 s[16:17], s[0:1]
	s_xor_b64 s[0:1], exec, s[16:17]
; %bb.780:
	v_cmp_ne_u32_e32 vcc, 0, v234
	s_nop 1
	v_cndmask_b32_e32 v234, 38, v234, vcc
; %bb.781:
	s_andn2_saveexec_b64 s[0:1], s[0:1]
	s_cbranch_execz .LBB108_787
; %bb.782:
	v_cmp_ngt_f64_e64 s[16:17], |v[220:221]|, |v[222:223]|
	s_and_saveexec_b64 s[18:19], s[16:17]
	s_xor_b64 s[16:17], exec, s[18:19]
	s_cbranch_execz .LBB108_784
; %bb.783:
	v_div_scale_f64 v[148:149], s[18:19], v[222:223], v[222:223], v[220:221]
	v_rcp_f64_e32 v[150:151], v[148:149]
	v_div_scale_f64 v[226:227], vcc, v[220:221], v[222:223], v[220:221]
	v_fma_f64 v[228:229], -v[148:149], v[150:151], 1.0
	v_fmac_f64_e32 v[150:151], v[150:151], v[228:229]
	v_fma_f64 v[228:229], -v[148:149], v[150:151], 1.0
	v_fmac_f64_e32 v[150:151], v[150:151], v[228:229]
	v_mul_f64 v[228:229], v[226:227], v[150:151]
	v_fma_f64 v[148:149], -v[148:149], v[228:229], v[226:227]
	v_div_fmas_f64 v[148:149], v[148:149], v[150:151], v[228:229]
	v_div_fixup_f64 v[148:149], v[148:149], v[222:223], v[220:221]
	v_fmac_f64_e32 v[222:223], v[220:221], v[148:149]
	v_div_scale_f64 v[150:151], s[18:19], v[222:223], v[222:223], 1.0
	v_rcp_f64_e32 v[220:221], v[150:151]
	s_nop 0
	v_fma_f64 v[226:227], -v[150:151], v[220:221], 1.0
	v_fmac_f64_e32 v[220:221], v[220:221], v[226:227]
	v_fma_f64 v[226:227], -v[150:151], v[220:221], 1.0
	v_fmac_f64_e32 v[220:221], v[220:221], v[226:227]
	v_div_scale_f64 v[226:227], vcc, 1.0, v[222:223], 1.0
	v_mul_f64 v[228:229], v[226:227], v[220:221]
	v_fma_f64 v[150:151], -v[150:151], v[228:229], v[226:227]
	s_nop 1
	v_div_fmas_f64 v[150:151], v[150:151], v[220:221], v[228:229]
	v_div_fixup_f64 v[222:223], v[150:151], v[222:223], 1.0
	v_mul_f64 v[220:221], v[148:149], v[222:223]
	v_xor_b32_e32 v223, 0x80000000, v223
.LBB108_784:
	s_andn2_saveexec_b64 s[16:17], s[16:17]
	s_cbranch_execz .LBB108_786
; %bb.785:
	v_div_scale_f64 v[148:149], s[18:19], v[220:221], v[220:221], v[222:223]
	v_rcp_f64_e32 v[150:151], v[148:149]
	v_div_scale_f64 v[226:227], vcc, v[222:223], v[220:221], v[222:223]
	v_fma_f64 v[228:229], -v[148:149], v[150:151], 1.0
	v_fmac_f64_e32 v[150:151], v[150:151], v[228:229]
	v_fma_f64 v[228:229], -v[148:149], v[150:151], 1.0
	v_fmac_f64_e32 v[150:151], v[150:151], v[228:229]
	v_mul_f64 v[228:229], v[226:227], v[150:151]
	v_fma_f64 v[148:149], -v[148:149], v[228:229], v[226:227]
	v_div_fmas_f64 v[148:149], v[148:149], v[150:151], v[228:229]
	v_div_fixup_f64 v[148:149], v[148:149], v[220:221], v[222:223]
	v_fmac_f64_e32 v[220:221], v[222:223], v[148:149]
	v_div_scale_f64 v[150:151], s[18:19], v[220:221], v[220:221], 1.0
	v_rcp_f64_e32 v[222:223], v[150:151]
	s_nop 0
	v_fma_f64 v[226:227], -v[150:151], v[222:223], 1.0
	v_fmac_f64_e32 v[222:223], v[222:223], v[226:227]
	v_fma_f64 v[226:227], -v[150:151], v[222:223], 1.0
	v_fmac_f64_e32 v[222:223], v[222:223], v[226:227]
	v_div_scale_f64 v[226:227], vcc, 1.0, v[220:221], 1.0
	v_mul_f64 v[228:229], v[226:227], v[222:223]
	v_fma_f64 v[150:151], -v[150:151], v[228:229], v[226:227]
	s_nop 1
	v_div_fmas_f64 v[150:151], v[150:151], v[222:223], v[228:229]
	v_div_fixup_f64 v[220:221], v[150:151], v[220:221], 1.0
	v_mul_f64 v[222:223], v[148:149], -v[220:221]
.LBB108_786:
	s_or_b64 exec, exec, s[16:17]
.LBB108_787:
	s_or_b64 exec, exec, s[0:1]
	v_cmp_ne_u32_e32 vcc, v233, v230
	s_and_saveexec_b64 s[0:1], vcc
	s_xor_b64 s[0:1], exec, s[0:1]
	s_cbranch_execz .LBB108_793
; %bb.788:
	v_cmp_eq_u32_e32 vcc, 37, v233
	s_and_saveexec_b64 s[16:17], vcc
	s_cbranch_execz .LBB108_792
; %bb.789:
	v_cmp_ne_u32_e32 vcc, 37, v230
	s_xor_b64 s[18:19], s[14:15], -1
	s_and_b64 s[22:23], s[18:19], vcc
	s_and_saveexec_b64 s[18:19], s[22:23]
	s_cbranch_execz .LBB108_791
; %bb.790:
	v_ashrrev_i32_e32 v231, 31, v230
	s_waitcnt vmcnt(0)
	v_lshl_add_u64 v[148:149], v[230:231], 2, v[146:147]
	global_load_dword v150, v[148:149], off
	global_load_dword v151, v[146:147], off offset:148
	s_waitcnt vmcnt(1)
	global_store_dword v[146:147], v150, off offset:148
	s_waitcnt vmcnt(1)
	global_store_dword v[148:149], v151, off
.LBB108_791:
	s_or_b64 exec, exec, s[18:19]
	v_mov_b32_e32 v233, v230
	v_mov_b32_e32 v224, v230
.LBB108_792:
	s_or_b64 exec, exec, s[16:17]
.LBB108_793:
	s_andn2_saveexec_b64 s[0:1], s[0:1]
	s_cbranch_execz .LBB108_795
; %bb.794:
	v_mov_b32_e32 v233, 37
	ds_write2_b64 v232, v[60:61], v[62:63] offset0:76 offset1:77
	ds_write2_b64 v232, v[56:57], v[58:59] offset0:78 offset1:79
	;; [unrolled: 1-line block ×17, first 2 shown]
.LBB108_795:
	s_or_b64 exec, exec, s[0:1]
	v_cmp_lt_i32_e32 vcc, 37, v233
	s_waitcnt lgkmcnt(0)
	s_barrier
	s_and_saveexec_b64 s[0:1], vcc
	s_cbranch_execz .LBB108_797
; %bb.796:
	ds_read2_b64 v[236:239], v232 offset0:76 offset1:77
	v_mul_f64 v[148:149], v[222:223], v[66:67]
	v_mul_f64 v[66:67], v[220:221], v[66:67]
	v_fma_f64 v[230:231], v[220:221], v[64:65], -v[148:149]
	v_fmac_f64_e32 v[66:67], v[222:223], v[64:65]
	ds_read2_b64 v[220:223], v232 offset0:78 offset1:79
	s_waitcnt lgkmcnt(1)
	v_mul_f64 v[64:65], v[238:239], v[66:67]
	v_mul_f64 v[148:149], v[236:237], v[66:67]
	v_fma_f64 v[64:65], v[236:237], v[230:231], -v[64:65]
	v_fmac_f64_e32 v[148:149], v[238:239], v[230:231]
	ds_read2_b64 v[236:239], v232 offset0:80 offset1:81
	v_add_f64 v[60:61], v[60:61], -v[64:65]
	v_add_f64 v[62:63], v[62:63], -v[148:149]
	s_waitcnt lgkmcnt(1)
	v_mul_f64 v[64:65], v[222:223], v[66:67]
	v_mul_f64 v[148:149], v[220:221], v[66:67]
	v_fma_f64 v[64:65], v[220:221], v[230:231], -v[64:65]
	v_fmac_f64_e32 v[148:149], v[222:223], v[230:231]
	ds_read2_b64 v[220:223], v232 offset0:82 offset1:83
	v_add_f64 v[56:57], v[56:57], -v[64:65]
	v_add_f64 v[58:59], v[58:59], -v[148:149]
	;; [unrolled: 8-line block ×15, first 2 shown]
	s_waitcnt lgkmcnt(1)
	v_mul_f64 v[64:65], v[222:223], v[66:67]
	v_mul_f64 v[148:149], v[220:221], v[66:67]
	v_fma_f64 v[64:65], v[220:221], v[230:231], -v[64:65]
	v_fmac_f64_e32 v[148:149], v[222:223], v[230:231]
	v_add_f64 v[0:1], v[0:1], -v[64:65]
	v_add_f64 v[2:3], v[2:3], -v[148:149]
	s_waitcnt lgkmcnt(0)
	v_mul_f64 v[64:65], v[238:239], v[66:67]
	v_mul_f64 v[148:149], v[236:237], v[66:67]
	v_fma_f64 v[64:65], v[236:237], v[230:231], -v[64:65]
	v_fmac_f64_e32 v[148:149], v[238:239], v[230:231]
	v_add_f64 v[216:217], v[216:217], -v[64:65]
	v_add_f64 v[218:219], v[218:219], -v[148:149]
	v_mov_b64_e32 v[64:65], v[230:231]
.LBB108_797:
	s_or_b64 exec, exec, s[0:1]
	v_lshl_add_u32 v148, v233, 4, v232
	s_barrier
	ds_write2_b64 v148, v[60:61], v[62:63] offset1:1
	s_waitcnt lgkmcnt(0)
	s_barrier
	ds_read2_b64 v[220:223], v232 offset0:76 offset1:77
	s_cmp_lt_i32 s20, 40
	v_mov_b32_e32 v230, 38
	s_cbranch_scc1 .LBB108_800
; %bb.798:
	v_add_u32_e32 v231, 0x270, v232
	s_mov_b32 s16, 39
	v_mov_b32_e32 v230, 38
.LBB108_799:                            ; =>This Inner Loop Header: Depth=1
	ds_read2_b64 v[236:239], v231 offset1:1
	s_waitcnt lgkmcnt(1)
	v_xor_b32_e32 v149, 0x80000000, v221
	v_xor_b32_e32 v151, 0x80000000, v223
	v_cmp_gt_f64_e32 vcc, 0, v[222:223]
	v_cmp_gt_f64_e64 s[0:1], 0, v[220:221]
	v_mov_b32_e32 v148, v220
	v_mov_b32_e32 v150, v222
	v_cndmask_b32_e64 v149, v221, v149, s[0:1]
	v_cndmask_b32_e32 v151, v223, v151, vcc
	v_add_f64 v[148:149], v[148:149], v[150:151]
	s_waitcnt lgkmcnt(0)
	v_xor_b32_e32 v151, 0x80000000, v237
	v_xor_b32_e32 v227, 0x80000000, v239
	v_cmp_gt_f64_e32 vcc, 0, v[238:239]
	v_cmp_gt_f64_e64 s[0:1], 0, v[236:237]
	v_mov_b32_e32 v150, v236
	v_mov_b32_e32 v226, v238
	v_cndmask_b32_e64 v151, v237, v151, s[0:1]
	v_cndmask_b32_e32 v227, v239, v227, vcc
	v_add_f64 v[150:151], v[150:151], v[226:227]
	v_mov_b32_e32 v228, s16
	s_add_i32 s16, s16, 1
	v_cmp_lt_f64_e32 vcc, v[148:149], v[150:151]
	v_add_u32_e32 v231, 16, v231
	s_cmp_lg_u32 s20, s16
	v_cndmask_b32_e32 v221, v221, v237, vcc
	v_cndmask_b32_e32 v220, v220, v236, vcc
	;; [unrolled: 1-line block ×5, first 2 shown]
	s_cbranch_scc1 .LBB108_799
.LBB108_800:
	s_waitcnt lgkmcnt(0)
	v_cmp_eq_f64_e32 vcc, 0, v[220:221]
	v_cmp_eq_f64_e64 s[0:1], 0, v[222:223]
	s_and_b64 s[0:1], vcc, s[0:1]
	s_and_saveexec_b64 s[16:17], s[0:1]
	s_xor_b64 s[0:1], exec, s[16:17]
; %bb.801:
	v_cmp_ne_u32_e32 vcc, 0, v234
	s_nop 1
	v_cndmask_b32_e32 v234, 39, v234, vcc
; %bb.802:
	s_andn2_saveexec_b64 s[0:1], s[0:1]
	s_cbranch_execz .LBB108_808
; %bb.803:
	v_cmp_ngt_f64_e64 s[16:17], |v[220:221]|, |v[222:223]|
	s_and_saveexec_b64 s[18:19], s[16:17]
	s_xor_b64 s[16:17], exec, s[18:19]
	s_cbranch_execz .LBB108_805
; %bb.804:
	v_div_scale_f64 v[148:149], s[18:19], v[222:223], v[222:223], v[220:221]
	v_rcp_f64_e32 v[150:151], v[148:149]
	v_div_scale_f64 v[226:227], vcc, v[220:221], v[222:223], v[220:221]
	v_fma_f64 v[228:229], -v[148:149], v[150:151], 1.0
	v_fmac_f64_e32 v[150:151], v[150:151], v[228:229]
	v_fma_f64 v[228:229], -v[148:149], v[150:151], 1.0
	v_fmac_f64_e32 v[150:151], v[150:151], v[228:229]
	v_mul_f64 v[228:229], v[226:227], v[150:151]
	v_fma_f64 v[148:149], -v[148:149], v[228:229], v[226:227]
	v_div_fmas_f64 v[148:149], v[148:149], v[150:151], v[228:229]
	v_div_fixup_f64 v[148:149], v[148:149], v[222:223], v[220:221]
	v_fmac_f64_e32 v[222:223], v[220:221], v[148:149]
	v_div_scale_f64 v[150:151], s[18:19], v[222:223], v[222:223], 1.0
	v_rcp_f64_e32 v[220:221], v[150:151]
	s_nop 0
	v_fma_f64 v[226:227], -v[150:151], v[220:221], 1.0
	v_fmac_f64_e32 v[220:221], v[220:221], v[226:227]
	v_fma_f64 v[226:227], -v[150:151], v[220:221], 1.0
	v_fmac_f64_e32 v[220:221], v[220:221], v[226:227]
	v_div_scale_f64 v[226:227], vcc, 1.0, v[222:223], 1.0
	v_mul_f64 v[228:229], v[226:227], v[220:221]
	v_fma_f64 v[150:151], -v[150:151], v[228:229], v[226:227]
	s_nop 1
	v_div_fmas_f64 v[150:151], v[150:151], v[220:221], v[228:229]
	v_div_fixup_f64 v[222:223], v[150:151], v[222:223], 1.0
	v_mul_f64 v[220:221], v[148:149], v[222:223]
	v_xor_b32_e32 v223, 0x80000000, v223
.LBB108_805:
	s_andn2_saveexec_b64 s[16:17], s[16:17]
	s_cbranch_execz .LBB108_807
; %bb.806:
	v_div_scale_f64 v[148:149], s[18:19], v[220:221], v[220:221], v[222:223]
	v_rcp_f64_e32 v[150:151], v[148:149]
	v_div_scale_f64 v[226:227], vcc, v[222:223], v[220:221], v[222:223]
	v_fma_f64 v[228:229], -v[148:149], v[150:151], 1.0
	v_fmac_f64_e32 v[150:151], v[150:151], v[228:229]
	v_fma_f64 v[228:229], -v[148:149], v[150:151], 1.0
	v_fmac_f64_e32 v[150:151], v[150:151], v[228:229]
	v_mul_f64 v[228:229], v[226:227], v[150:151]
	v_fma_f64 v[148:149], -v[148:149], v[228:229], v[226:227]
	v_div_fmas_f64 v[148:149], v[148:149], v[150:151], v[228:229]
	v_div_fixup_f64 v[148:149], v[148:149], v[220:221], v[222:223]
	v_fmac_f64_e32 v[220:221], v[222:223], v[148:149]
	v_div_scale_f64 v[150:151], s[18:19], v[220:221], v[220:221], 1.0
	v_rcp_f64_e32 v[222:223], v[150:151]
	s_nop 0
	v_fma_f64 v[226:227], -v[150:151], v[222:223], 1.0
	v_fmac_f64_e32 v[222:223], v[222:223], v[226:227]
	v_fma_f64 v[226:227], -v[150:151], v[222:223], 1.0
	v_fmac_f64_e32 v[222:223], v[222:223], v[226:227]
	v_div_scale_f64 v[226:227], vcc, 1.0, v[220:221], 1.0
	v_mul_f64 v[228:229], v[226:227], v[222:223]
	v_fma_f64 v[150:151], -v[150:151], v[228:229], v[226:227]
	s_nop 1
	v_div_fmas_f64 v[150:151], v[150:151], v[222:223], v[228:229]
	v_div_fixup_f64 v[220:221], v[150:151], v[220:221], 1.0
	v_mul_f64 v[222:223], v[148:149], -v[220:221]
.LBB108_807:
	s_or_b64 exec, exec, s[16:17]
.LBB108_808:
	s_or_b64 exec, exec, s[0:1]
	v_cmp_ne_u32_e32 vcc, v233, v230
	s_and_saveexec_b64 s[0:1], vcc
	s_xor_b64 s[0:1], exec, s[0:1]
	s_cbranch_execz .LBB108_814
; %bb.809:
	v_cmp_eq_u32_e32 vcc, 38, v233
	s_and_saveexec_b64 s[16:17], vcc
	s_cbranch_execz .LBB108_813
; %bb.810:
	v_cmp_ne_u32_e32 vcc, 38, v230
	s_xor_b64 s[18:19], s[14:15], -1
	s_and_b64 s[22:23], s[18:19], vcc
	s_and_saveexec_b64 s[18:19], s[22:23]
	s_cbranch_execz .LBB108_812
; %bb.811:
	v_ashrrev_i32_e32 v231, 31, v230
	s_waitcnt vmcnt(0)
	v_lshl_add_u64 v[148:149], v[230:231], 2, v[146:147]
	global_load_dword v150, v[148:149], off
	global_load_dword v151, v[146:147], off offset:152
	s_waitcnt vmcnt(1)
	global_store_dword v[146:147], v150, off offset:152
	s_waitcnt vmcnt(1)
	global_store_dword v[148:149], v151, off
.LBB108_812:
	s_or_b64 exec, exec, s[18:19]
	v_mov_b32_e32 v233, v230
	v_mov_b32_e32 v224, v230
.LBB108_813:
	s_or_b64 exec, exec, s[16:17]
.LBB108_814:
	s_andn2_saveexec_b64 s[0:1], s[0:1]
	s_cbranch_execz .LBB108_816
; %bb.815:
	v_mov_b32_e32 v233, 38
	ds_write2_b64 v232, v[56:57], v[58:59] offset0:78 offset1:79
	ds_write2_b64 v232, v[52:53], v[54:55] offset0:80 offset1:81
	;; [unrolled: 1-line block ×16, first 2 shown]
.LBB108_816:
	s_or_b64 exec, exec, s[0:1]
	v_cmp_lt_i32_e32 vcc, 38, v233
	s_waitcnt lgkmcnt(0)
	s_barrier
	s_and_saveexec_b64 s[0:1], vcc
	s_cbranch_execz .LBB108_818
; %bb.817:
	ds_read2_b64 v[236:239], v232 offset0:78 offset1:79
	v_mul_f64 v[230:231], v[220:221], v[62:63]
	v_mul_f64 v[62:63], v[222:223], v[62:63]
	v_fmac_f64_e32 v[230:231], v[222:223], v[60:61]
	v_fma_f64 v[60:61], v[220:221], v[60:61], -v[62:63]
	ds_read2_b64 v[220:223], v232 offset0:80 offset1:81
	s_waitcnt lgkmcnt(1)
	v_mul_f64 v[62:63], v[238:239], v[230:231]
	v_mul_f64 v[148:149], v[236:237], v[230:231]
	v_fma_f64 v[62:63], v[236:237], v[60:61], -v[62:63]
	v_fmac_f64_e32 v[148:149], v[238:239], v[60:61]
	ds_read2_b64 v[236:239], v232 offset0:82 offset1:83
	v_add_f64 v[56:57], v[56:57], -v[62:63]
	v_add_f64 v[58:59], v[58:59], -v[148:149]
	s_waitcnt lgkmcnt(1)
	v_mul_f64 v[62:63], v[222:223], v[230:231]
	v_mul_f64 v[148:149], v[220:221], v[230:231]
	v_fma_f64 v[62:63], v[220:221], v[60:61], -v[62:63]
	v_fmac_f64_e32 v[148:149], v[222:223], v[60:61]
	ds_read2_b64 v[220:223], v232 offset0:84 offset1:85
	v_add_f64 v[52:53], v[52:53], -v[62:63]
	v_add_f64 v[54:55], v[54:55], -v[148:149]
	;; [unrolled: 8-line block ×14, first 2 shown]
	s_waitcnt lgkmcnt(1)
	v_mul_f64 v[62:63], v[238:239], v[230:231]
	v_mul_f64 v[148:149], v[236:237], v[230:231]
	v_fma_f64 v[62:63], v[236:237], v[60:61], -v[62:63]
	v_fmac_f64_e32 v[148:149], v[238:239], v[60:61]
	v_add_f64 v[0:1], v[0:1], -v[62:63]
	v_add_f64 v[2:3], v[2:3], -v[148:149]
	s_waitcnt lgkmcnt(0)
	v_mul_f64 v[62:63], v[222:223], v[230:231]
	v_mul_f64 v[148:149], v[220:221], v[230:231]
	v_fma_f64 v[62:63], v[220:221], v[60:61], -v[62:63]
	v_fmac_f64_e32 v[148:149], v[222:223], v[60:61]
	v_add_f64 v[216:217], v[216:217], -v[62:63]
	v_add_f64 v[218:219], v[218:219], -v[148:149]
	v_mov_b64_e32 v[62:63], v[230:231]
.LBB108_818:
	s_or_b64 exec, exec, s[0:1]
	v_lshl_add_u32 v148, v233, 4, v232
	s_barrier
	ds_write2_b64 v148, v[56:57], v[58:59] offset1:1
	s_waitcnt lgkmcnt(0)
	s_barrier
	ds_read2_b64 v[220:223], v232 offset0:78 offset1:79
	s_cmp_lt_i32 s20, 41
	v_mov_b32_e32 v230, 39
	s_cbranch_scc1 .LBB108_821
; %bb.819:
	v_add_u32_e32 v231, 0x280, v232
	s_mov_b32 s16, 40
	v_mov_b32_e32 v230, 39
.LBB108_820:                            ; =>This Inner Loop Header: Depth=1
	ds_read2_b64 v[236:239], v231 offset1:1
	s_waitcnt lgkmcnt(1)
	v_xor_b32_e32 v149, 0x80000000, v221
	v_xor_b32_e32 v151, 0x80000000, v223
	v_cmp_gt_f64_e32 vcc, 0, v[222:223]
	v_cmp_gt_f64_e64 s[0:1], 0, v[220:221]
	v_mov_b32_e32 v148, v220
	v_mov_b32_e32 v150, v222
	v_cndmask_b32_e64 v149, v221, v149, s[0:1]
	v_cndmask_b32_e32 v151, v223, v151, vcc
	v_add_f64 v[148:149], v[148:149], v[150:151]
	s_waitcnt lgkmcnt(0)
	v_xor_b32_e32 v151, 0x80000000, v237
	v_xor_b32_e32 v227, 0x80000000, v239
	v_cmp_gt_f64_e32 vcc, 0, v[238:239]
	v_cmp_gt_f64_e64 s[0:1], 0, v[236:237]
	v_mov_b32_e32 v150, v236
	v_mov_b32_e32 v226, v238
	v_cndmask_b32_e64 v151, v237, v151, s[0:1]
	v_cndmask_b32_e32 v227, v239, v227, vcc
	v_add_f64 v[150:151], v[150:151], v[226:227]
	v_mov_b32_e32 v228, s16
	s_add_i32 s16, s16, 1
	v_cmp_lt_f64_e32 vcc, v[148:149], v[150:151]
	v_add_u32_e32 v231, 16, v231
	s_cmp_lg_u32 s20, s16
	v_cndmask_b32_e32 v221, v221, v237, vcc
	v_cndmask_b32_e32 v220, v220, v236, vcc
	;; [unrolled: 1-line block ×5, first 2 shown]
	s_cbranch_scc1 .LBB108_820
.LBB108_821:
	s_waitcnt lgkmcnt(0)
	v_cmp_eq_f64_e32 vcc, 0, v[220:221]
	v_cmp_eq_f64_e64 s[0:1], 0, v[222:223]
	s_and_b64 s[0:1], vcc, s[0:1]
	s_and_saveexec_b64 s[16:17], s[0:1]
	s_xor_b64 s[0:1], exec, s[16:17]
; %bb.822:
	v_cmp_ne_u32_e32 vcc, 0, v234
	s_nop 1
	v_cndmask_b32_e32 v234, 40, v234, vcc
; %bb.823:
	s_andn2_saveexec_b64 s[0:1], s[0:1]
	s_cbranch_execz .LBB108_829
; %bb.824:
	v_cmp_ngt_f64_e64 s[16:17], |v[220:221]|, |v[222:223]|
	s_and_saveexec_b64 s[18:19], s[16:17]
	s_xor_b64 s[16:17], exec, s[18:19]
	s_cbranch_execz .LBB108_826
; %bb.825:
	v_div_scale_f64 v[148:149], s[18:19], v[222:223], v[222:223], v[220:221]
	v_rcp_f64_e32 v[150:151], v[148:149]
	v_div_scale_f64 v[226:227], vcc, v[220:221], v[222:223], v[220:221]
	v_fma_f64 v[228:229], -v[148:149], v[150:151], 1.0
	v_fmac_f64_e32 v[150:151], v[150:151], v[228:229]
	v_fma_f64 v[228:229], -v[148:149], v[150:151], 1.0
	v_fmac_f64_e32 v[150:151], v[150:151], v[228:229]
	v_mul_f64 v[228:229], v[226:227], v[150:151]
	v_fma_f64 v[148:149], -v[148:149], v[228:229], v[226:227]
	v_div_fmas_f64 v[148:149], v[148:149], v[150:151], v[228:229]
	v_div_fixup_f64 v[148:149], v[148:149], v[222:223], v[220:221]
	v_fmac_f64_e32 v[222:223], v[220:221], v[148:149]
	v_div_scale_f64 v[150:151], s[18:19], v[222:223], v[222:223], 1.0
	v_rcp_f64_e32 v[220:221], v[150:151]
	s_nop 0
	v_fma_f64 v[226:227], -v[150:151], v[220:221], 1.0
	v_fmac_f64_e32 v[220:221], v[220:221], v[226:227]
	v_fma_f64 v[226:227], -v[150:151], v[220:221], 1.0
	v_fmac_f64_e32 v[220:221], v[220:221], v[226:227]
	v_div_scale_f64 v[226:227], vcc, 1.0, v[222:223], 1.0
	v_mul_f64 v[228:229], v[226:227], v[220:221]
	v_fma_f64 v[150:151], -v[150:151], v[228:229], v[226:227]
	s_nop 1
	v_div_fmas_f64 v[150:151], v[150:151], v[220:221], v[228:229]
	v_div_fixup_f64 v[222:223], v[150:151], v[222:223], 1.0
	v_mul_f64 v[220:221], v[148:149], v[222:223]
	v_xor_b32_e32 v223, 0x80000000, v223
.LBB108_826:
	s_andn2_saveexec_b64 s[16:17], s[16:17]
	s_cbranch_execz .LBB108_828
; %bb.827:
	v_div_scale_f64 v[148:149], s[18:19], v[220:221], v[220:221], v[222:223]
	v_rcp_f64_e32 v[150:151], v[148:149]
	v_div_scale_f64 v[226:227], vcc, v[222:223], v[220:221], v[222:223]
	v_fma_f64 v[228:229], -v[148:149], v[150:151], 1.0
	v_fmac_f64_e32 v[150:151], v[150:151], v[228:229]
	v_fma_f64 v[228:229], -v[148:149], v[150:151], 1.0
	v_fmac_f64_e32 v[150:151], v[150:151], v[228:229]
	v_mul_f64 v[228:229], v[226:227], v[150:151]
	v_fma_f64 v[148:149], -v[148:149], v[228:229], v[226:227]
	v_div_fmas_f64 v[148:149], v[148:149], v[150:151], v[228:229]
	v_div_fixup_f64 v[148:149], v[148:149], v[220:221], v[222:223]
	v_fmac_f64_e32 v[220:221], v[222:223], v[148:149]
	v_div_scale_f64 v[150:151], s[18:19], v[220:221], v[220:221], 1.0
	v_rcp_f64_e32 v[222:223], v[150:151]
	s_nop 0
	v_fma_f64 v[226:227], -v[150:151], v[222:223], 1.0
	v_fmac_f64_e32 v[222:223], v[222:223], v[226:227]
	v_fma_f64 v[226:227], -v[150:151], v[222:223], 1.0
	v_fmac_f64_e32 v[222:223], v[222:223], v[226:227]
	v_div_scale_f64 v[226:227], vcc, 1.0, v[220:221], 1.0
	v_mul_f64 v[228:229], v[226:227], v[222:223]
	v_fma_f64 v[150:151], -v[150:151], v[228:229], v[226:227]
	s_nop 1
	v_div_fmas_f64 v[150:151], v[150:151], v[222:223], v[228:229]
	v_div_fixup_f64 v[220:221], v[150:151], v[220:221], 1.0
	v_mul_f64 v[222:223], v[148:149], -v[220:221]
.LBB108_828:
	s_or_b64 exec, exec, s[16:17]
.LBB108_829:
	s_or_b64 exec, exec, s[0:1]
	v_cmp_ne_u32_e32 vcc, v233, v230
	s_and_saveexec_b64 s[0:1], vcc
	s_xor_b64 s[0:1], exec, s[0:1]
	s_cbranch_execz .LBB108_835
; %bb.830:
	v_cmp_eq_u32_e32 vcc, 39, v233
	s_and_saveexec_b64 s[16:17], vcc
	s_cbranch_execz .LBB108_834
; %bb.831:
	v_cmp_ne_u32_e32 vcc, 39, v230
	s_xor_b64 s[18:19], s[14:15], -1
	s_and_b64 s[22:23], s[18:19], vcc
	s_and_saveexec_b64 s[18:19], s[22:23]
	s_cbranch_execz .LBB108_833
; %bb.832:
	v_ashrrev_i32_e32 v231, 31, v230
	s_waitcnt vmcnt(0)
	v_lshl_add_u64 v[148:149], v[230:231], 2, v[146:147]
	global_load_dword v150, v[148:149], off
	global_load_dword v151, v[146:147], off offset:156
	s_waitcnt vmcnt(1)
	global_store_dword v[146:147], v150, off offset:156
	s_waitcnt vmcnt(1)
	global_store_dword v[148:149], v151, off
.LBB108_833:
	s_or_b64 exec, exec, s[18:19]
	v_mov_b32_e32 v233, v230
	v_mov_b32_e32 v224, v230
.LBB108_834:
	s_or_b64 exec, exec, s[16:17]
.LBB108_835:
	s_andn2_saveexec_b64 s[0:1], s[0:1]
	s_cbranch_execz .LBB108_837
; %bb.836:
	v_mov_b32_e32 v233, 39
	ds_write2_b64 v232, v[52:53], v[54:55] offset0:80 offset1:81
	ds_write2_b64 v232, v[48:49], v[50:51] offset0:82 offset1:83
	;; [unrolled: 1-line block ×15, first 2 shown]
.LBB108_837:
	s_or_b64 exec, exec, s[0:1]
	v_cmp_lt_i32_e32 vcc, 39, v233
	s_waitcnt lgkmcnt(0)
	s_barrier
	s_and_saveexec_b64 s[0:1], vcc
	s_cbranch_execz .LBB108_839
; %bb.838:
	ds_read2_b64 v[236:239], v232 offset0:80 offset1:81
	v_mul_f64 v[230:231], v[220:221], v[58:59]
	v_mul_f64 v[58:59], v[222:223], v[58:59]
	v_fmac_f64_e32 v[230:231], v[222:223], v[56:57]
	v_fma_f64 v[56:57], v[220:221], v[56:57], -v[58:59]
	ds_read2_b64 v[220:223], v232 offset0:82 offset1:83
	s_waitcnt lgkmcnt(1)
	v_mul_f64 v[58:59], v[238:239], v[230:231]
	v_mul_f64 v[148:149], v[236:237], v[230:231]
	v_fma_f64 v[58:59], v[236:237], v[56:57], -v[58:59]
	v_fmac_f64_e32 v[148:149], v[238:239], v[56:57]
	ds_read2_b64 v[236:239], v232 offset0:84 offset1:85
	v_add_f64 v[52:53], v[52:53], -v[58:59]
	v_add_f64 v[54:55], v[54:55], -v[148:149]
	s_waitcnt lgkmcnt(1)
	v_mul_f64 v[58:59], v[222:223], v[230:231]
	v_mul_f64 v[148:149], v[220:221], v[230:231]
	v_fma_f64 v[58:59], v[220:221], v[56:57], -v[58:59]
	v_fmac_f64_e32 v[148:149], v[222:223], v[56:57]
	ds_read2_b64 v[220:223], v232 offset0:86 offset1:87
	v_add_f64 v[48:49], v[48:49], -v[58:59]
	v_add_f64 v[50:51], v[50:51], -v[148:149]
	;; [unrolled: 8-line block ×13, first 2 shown]
	s_waitcnt lgkmcnt(1)
	v_mul_f64 v[58:59], v[222:223], v[230:231]
	v_mul_f64 v[148:149], v[220:221], v[230:231]
	v_fma_f64 v[58:59], v[220:221], v[56:57], -v[58:59]
	v_fmac_f64_e32 v[148:149], v[222:223], v[56:57]
	v_add_f64 v[0:1], v[0:1], -v[58:59]
	v_add_f64 v[2:3], v[2:3], -v[148:149]
	s_waitcnt lgkmcnt(0)
	v_mul_f64 v[58:59], v[238:239], v[230:231]
	v_mul_f64 v[148:149], v[236:237], v[230:231]
	v_fma_f64 v[58:59], v[236:237], v[56:57], -v[58:59]
	v_fmac_f64_e32 v[148:149], v[238:239], v[56:57]
	v_add_f64 v[216:217], v[216:217], -v[58:59]
	v_add_f64 v[218:219], v[218:219], -v[148:149]
	v_mov_b64_e32 v[58:59], v[230:231]
.LBB108_839:
	s_or_b64 exec, exec, s[0:1]
	v_lshl_add_u32 v148, v233, 4, v232
	s_barrier
	ds_write2_b64 v148, v[52:53], v[54:55] offset1:1
	s_waitcnt lgkmcnt(0)
	s_barrier
	ds_read2_b64 v[220:223], v232 offset0:80 offset1:81
	s_cmp_lt_i32 s20, 42
	v_mov_b32_e32 v230, 40
	s_cbranch_scc1 .LBB108_842
; %bb.840:
	v_add_u32_e32 v231, 0x290, v232
	s_mov_b32 s16, 41
	v_mov_b32_e32 v230, 40
.LBB108_841:                            ; =>This Inner Loop Header: Depth=1
	ds_read2_b64 v[236:239], v231 offset1:1
	s_waitcnt lgkmcnt(1)
	v_xor_b32_e32 v149, 0x80000000, v221
	v_xor_b32_e32 v151, 0x80000000, v223
	v_cmp_gt_f64_e32 vcc, 0, v[222:223]
	v_cmp_gt_f64_e64 s[0:1], 0, v[220:221]
	v_mov_b32_e32 v148, v220
	v_mov_b32_e32 v150, v222
	v_cndmask_b32_e64 v149, v221, v149, s[0:1]
	v_cndmask_b32_e32 v151, v223, v151, vcc
	v_add_f64 v[148:149], v[148:149], v[150:151]
	s_waitcnt lgkmcnt(0)
	v_xor_b32_e32 v151, 0x80000000, v237
	v_xor_b32_e32 v227, 0x80000000, v239
	v_cmp_gt_f64_e32 vcc, 0, v[238:239]
	v_cmp_gt_f64_e64 s[0:1], 0, v[236:237]
	v_mov_b32_e32 v150, v236
	v_mov_b32_e32 v226, v238
	v_cndmask_b32_e64 v151, v237, v151, s[0:1]
	v_cndmask_b32_e32 v227, v239, v227, vcc
	v_add_f64 v[150:151], v[150:151], v[226:227]
	v_mov_b32_e32 v228, s16
	s_add_i32 s16, s16, 1
	v_cmp_lt_f64_e32 vcc, v[148:149], v[150:151]
	v_add_u32_e32 v231, 16, v231
	s_cmp_lg_u32 s20, s16
	v_cndmask_b32_e32 v221, v221, v237, vcc
	v_cndmask_b32_e32 v220, v220, v236, vcc
	;; [unrolled: 1-line block ×5, first 2 shown]
	s_cbranch_scc1 .LBB108_841
.LBB108_842:
	s_waitcnt lgkmcnt(0)
	v_cmp_eq_f64_e32 vcc, 0, v[220:221]
	v_cmp_eq_f64_e64 s[0:1], 0, v[222:223]
	s_and_b64 s[0:1], vcc, s[0:1]
	s_and_saveexec_b64 s[16:17], s[0:1]
	s_xor_b64 s[0:1], exec, s[16:17]
; %bb.843:
	v_cmp_ne_u32_e32 vcc, 0, v234
	s_nop 1
	v_cndmask_b32_e32 v234, 41, v234, vcc
; %bb.844:
	s_andn2_saveexec_b64 s[0:1], s[0:1]
	s_cbranch_execz .LBB108_850
; %bb.845:
	v_cmp_ngt_f64_e64 s[16:17], |v[220:221]|, |v[222:223]|
	s_and_saveexec_b64 s[18:19], s[16:17]
	s_xor_b64 s[16:17], exec, s[18:19]
	s_cbranch_execz .LBB108_847
; %bb.846:
	v_div_scale_f64 v[148:149], s[18:19], v[222:223], v[222:223], v[220:221]
	v_rcp_f64_e32 v[150:151], v[148:149]
	v_div_scale_f64 v[226:227], vcc, v[220:221], v[222:223], v[220:221]
	v_fma_f64 v[228:229], -v[148:149], v[150:151], 1.0
	v_fmac_f64_e32 v[150:151], v[150:151], v[228:229]
	v_fma_f64 v[228:229], -v[148:149], v[150:151], 1.0
	v_fmac_f64_e32 v[150:151], v[150:151], v[228:229]
	v_mul_f64 v[228:229], v[226:227], v[150:151]
	v_fma_f64 v[148:149], -v[148:149], v[228:229], v[226:227]
	v_div_fmas_f64 v[148:149], v[148:149], v[150:151], v[228:229]
	v_div_fixup_f64 v[148:149], v[148:149], v[222:223], v[220:221]
	v_fmac_f64_e32 v[222:223], v[220:221], v[148:149]
	v_div_scale_f64 v[150:151], s[18:19], v[222:223], v[222:223], 1.0
	v_rcp_f64_e32 v[220:221], v[150:151]
	s_nop 0
	v_fma_f64 v[226:227], -v[150:151], v[220:221], 1.0
	v_fmac_f64_e32 v[220:221], v[220:221], v[226:227]
	v_fma_f64 v[226:227], -v[150:151], v[220:221], 1.0
	v_fmac_f64_e32 v[220:221], v[220:221], v[226:227]
	v_div_scale_f64 v[226:227], vcc, 1.0, v[222:223], 1.0
	v_mul_f64 v[228:229], v[226:227], v[220:221]
	v_fma_f64 v[150:151], -v[150:151], v[228:229], v[226:227]
	s_nop 1
	v_div_fmas_f64 v[150:151], v[150:151], v[220:221], v[228:229]
	v_div_fixup_f64 v[222:223], v[150:151], v[222:223], 1.0
	v_mul_f64 v[220:221], v[148:149], v[222:223]
	v_xor_b32_e32 v223, 0x80000000, v223
.LBB108_847:
	s_andn2_saveexec_b64 s[16:17], s[16:17]
	s_cbranch_execz .LBB108_849
; %bb.848:
	v_div_scale_f64 v[148:149], s[18:19], v[220:221], v[220:221], v[222:223]
	v_rcp_f64_e32 v[150:151], v[148:149]
	v_div_scale_f64 v[226:227], vcc, v[222:223], v[220:221], v[222:223]
	v_fma_f64 v[228:229], -v[148:149], v[150:151], 1.0
	v_fmac_f64_e32 v[150:151], v[150:151], v[228:229]
	v_fma_f64 v[228:229], -v[148:149], v[150:151], 1.0
	v_fmac_f64_e32 v[150:151], v[150:151], v[228:229]
	v_mul_f64 v[228:229], v[226:227], v[150:151]
	v_fma_f64 v[148:149], -v[148:149], v[228:229], v[226:227]
	v_div_fmas_f64 v[148:149], v[148:149], v[150:151], v[228:229]
	v_div_fixup_f64 v[148:149], v[148:149], v[220:221], v[222:223]
	v_fmac_f64_e32 v[220:221], v[222:223], v[148:149]
	v_div_scale_f64 v[150:151], s[18:19], v[220:221], v[220:221], 1.0
	v_rcp_f64_e32 v[222:223], v[150:151]
	s_nop 0
	v_fma_f64 v[226:227], -v[150:151], v[222:223], 1.0
	v_fmac_f64_e32 v[222:223], v[222:223], v[226:227]
	v_fma_f64 v[226:227], -v[150:151], v[222:223], 1.0
	v_fmac_f64_e32 v[222:223], v[222:223], v[226:227]
	v_div_scale_f64 v[226:227], vcc, 1.0, v[220:221], 1.0
	v_mul_f64 v[228:229], v[226:227], v[222:223]
	v_fma_f64 v[150:151], -v[150:151], v[228:229], v[226:227]
	s_nop 1
	v_div_fmas_f64 v[150:151], v[150:151], v[222:223], v[228:229]
	v_div_fixup_f64 v[220:221], v[150:151], v[220:221], 1.0
	v_mul_f64 v[222:223], v[148:149], -v[220:221]
.LBB108_849:
	s_or_b64 exec, exec, s[16:17]
.LBB108_850:
	s_or_b64 exec, exec, s[0:1]
	v_cmp_ne_u32_e32 vcc, v233, v230
	s_and_saveexec_b64 s[0:1], vcc
	s_xor_b64 s[0:1], exec, s[0:1]
	s_cbranch_execz .LBB108_856
; %bb.851:
	v_cmp_eq_u32_e32 vcc, 40, v233
	s_and_saveexec_b64 s[16:17], vcc
	s_cbranch_execz .LBB108_855
; %bb.852:
	v_cmp_ne_u32_e32 vcc, 40, v230
	s_xor_b64 s[18:19], s[14:15], -1
	s_and_b64 s[22:23], s[18:19], vcc
	s_and_saveexec_b64 s[18:19], s[22:23]
	s_cbranch_execz .LBB108_854
; %bb.853:
	v_ashrrev_i32_e32 v231, 31, v230
	s_waitcnt vmcnt(0)
	v_lshl_add_u64 v[148:149], v[230:231], 2, v[146:147]
	global_load_dword v150, v[148:149], off
	global_load_dword v151, v[146:147], off offset:160
	s_waitcnt vmcnt(1)
	global_store_dword v[146:147], v150, off offset:160
	s_waitcnt vmcnt(1)
	global_store_dword v[148:149], v151, off
.LBB108_854:
	s_or_b64 exec, exec, s[18:19]
	v_mov_b32_e32 v233, v230
	v_mov_b32_e32 v224, v230
.LBB108_855:
	s_or_b64 exec, exec, s[16:17]
.LBB108_856:
	s_andn2_saveexec_b64 s[0:1], s[0:1]
	s_cbranch_execz .LBB108_858
; %bb.857:
	v_mov_b32_e32 v233, 40
	ds_write2_b64 v232, v[48:49], v[50:51] offset0:82 offset1:83
	ds_write2_b64 v232, v[44:45], v[46:47] offset0:84 offset1:85
	;; [unrolled: 1-line block ×14, first 2 shown]
.LBB108_858:
	s_or_b64 exec, exec, s[0:1]
	v_cmp_lt_i32_e32 vcc, 40, v233
	s_waitcnt lgkmcnt(0)
	s_barrier
	s_and_saveexec_b64 s[0:1], vcc
	s_cbranch_execz .LBB108_860
; %bb.859:
	ds_read2_b64 v[236:239], v232 offset0:82 offset1:83
	v_mul_f64 v[230:231], v[220:221], v[54:55]
	v_mul_f64 v[54:55], v[222:223], v[54:55]
	v_fmac_f64_e32 v[230:231], v[222:223], v[52:53]
	v_fma_f64 v[52:53], v[220:221], v[52:53], -v[54:55]
	ds_read2_b64 v[220:223], v232 offset0:84 offset1:85
	s_waitcnt lgkmcnt(1)
	v_mul_f64 v[54:55], v[238:239], v[230:231]
	v_mul_f64 v[148:149], v[236:237], v[230:231]
	v_fma_f64 v[54:55], v[236:237], v[52:53], -v[54:55]
	v_fmac_f64_e32 v[148:149], v[238:239], v[52:53]
	ds_read2_b64 v[236:239], v232 offset0:86 offset1:87
	v_add_f64 v[48:49], v[48:49], -v[54:55]
	v_add_f64 v[50:51], v[50:51], -v[148:149]
	s_waitcnt lgkmcnt(1)
	v_mul_f64 v[54:55], v[222:223], v[230:231]
	v_mul_f64 v[148:149], v[220:221], v[230:231]
	v_fma_f64 v[54:55], v[220:221], v[52:53], -v[54:55]
	v_fmac_f64_e32 v[148:149], v[222:223], v[52:53]
	ds_read2_b64 v[220:223], v232 offset0:88 offset1:89
	v_add_f64 v[44:45], v[44:45], -v[54:55]
	v_add_f64 v[46:47], v[46:47], -v[148:149]
	;; [unrolled: 8-line block ×12, first 2 shown]
	s_waitcnt lgkmcnt(1)
	v_mul_f64 v[54:55], v[238:239], v[230:231]
	v_mul_f64 v[148:149], v[236:237], v[230:231]
	v_fma_f64 v[54:55], v[236:237], v[52:53], -v[54:55]
	v_fmac_f64_e32 v[148:149], v[238:239], v[52:53]
	v_add_f64 v[0:1], v[0:1], -v[54:55]
	v_add_f64 v[2:3], v[2:3], -v[148:149]
	s_waitcnt lgkmcnt(0)
	v_mul_f64 v[54:55], v[222:223], v[230:231]
	v_mul_f64 v[148:149], v[220:221], v[230:231]
	v_fma_f64 v[54:55], v[220:221], v[52:53], -v[54:55]
	v_fmac_f64_e32 v[148:149], v[222:223], v[52:53]
	v_add_f64 v[216:217], v[216:217], -v[54:55]
	v_add_f64 v[218:219], v[218:219], -v[148:149]
	v_mov_b64_e32 v[54:55], v[230:231]
.LBB108_860:
	s_or_b64 exec, exec, s[0:1]
	v_lshl_add_u32 v148, v233, 4, v232
	s_barrier
	ds_write2_b64 v148, v[48:49], v[50:51] offset1:1
	s_waitcnt lgkmcnt(0)
	s_barrier
	ds_read2_b64 v[220:223], v232 offset0:82 offset1:83
	s_cmp_lt_i32 s20, 43
	v_mov_b32_e32 v230, 41
	s_cbranch_scc1 .LBB108_863
; %bb.861:
	v_add_u32_e32 v231, 0x2a0, v232
	s_mov_b32 s16, 42
	v_mov_b32_e32 v230, 41
.LBB108_862:                            ; =>This Inner Loop Header: Depth=1
	ds_read2_b64 v[236:239], v231 offset1:1
	s_waitcnt lgkmcnt(1)
	v_xor_b32_e32 v149, 0x80000000, v221
	v_xor_b32_e32 v151, 0x80000000, v223
	v_cmp_gt_f64_e32 vcc, 0, v[222:223]
	v_cmp_gt_f64_e64 s[0:1], 0, v[220:221]
	v_mov_b32_e32 v148, v220
	v_mov_b32_e32 v150, v222
	v_cndmask_b32_e64 v149, v221, v149, s[0:1]
	v_cndmask_b32_e32 v151, v223, v151, vcc
	v_add_f64 v[148:149], v[148:149], v[150:151]
	s_waitcnt lgkmcnt(0)
	v_xor_b32_e32 v151, 0x80000000, v237
	v_xor_b32_e32 v227, 0x80000000, v239
	v_cmp_gt_f64_e32 vcc, 0, v[238:239]
	v_cmp_gt_f64_e64 s[0:1], 0, v[236:237]
	v_mov_b32_e32 v150, v236
	v_mov_b32_e32 v226, v238
	v_cndmask_b32_e64 v151, v237, v151, s[0:1]
	v_cndmask_b32_e32 v227, v239, v227, vcc
	v_add_f64 v[150:151], v[150:151], v[226:227]
	v_mov_b32_e32 v228, s16
	s_add_i32 s16, s16, 1
	v_cmp_lt_f64_e32 vcc, v[148:149], v[150:151]
	v_add_u32_e32 v231, 16, v231
	s_cmp_lg_u32 s20, s16
	v_cndmask_b32_e32 v221, v221, v237, vcc
	v_cndmask_b32_e32 v220, v220, v236, vcc
	;; [unrolled: 1-line block ×5, first 2 shown]
	s_cbranch_scc1 .LBB108_862
.LBB108_863:
	s_waitcnt lgkmcnt(0)
	v_cmp_eq_f64_e32 vcc, 0, v[220:221]
	v_cmp_eq_f64_e64 s[0:1], 0, v[222:223]
	s_and_b64 s[0:1], vcc, s[0:1]
	s_and_saveexec_b64 s[16:17], s[0:1]
	s_xor_b64 s[0:1], exec, s[16:17]
; %bb.864:
	v_cmp_ne_u32_e32 vcc, 0, v234
	s_nop 1
	v_cndmask_b32_e32 v234, 42, v234, vcc
; %bb.865:
	s_andn2_saveexec_b64 s[0:1], s[0:1]
	s_cbranch_execz .LBB108_871
; %bb.866:
	v_cmp_ngt_f64_e64 s[16:17], |v[220:221]|, |v[222:223]|
	s_and_saveexec_b64 s[18:19], s[16:17]
	s_xor_b64 s[16:17], exec, s[18:19]
	s_cbranch_execz .LBB108_868
; %bb.867:
	v_div_scale_f64 v[148:149], s[18:19], v[222:223], v[222:223], v[220:221]
	v_rcp_f64_e32 v[150:151], v[148:149]
	v_div_scale_f64 v[226:227], vcc, v[220:221], v[222:223], v[220:221]
	v_fma_f64 v[228:229], -v[148:149], v[150:151], 1.0
	v_fmac_f64_e32 v[150:151], v[150:151], v[228:229]
	v_fma_f64 v[228:229], -v[148:149], v[150:151], 1.0
	v_fmac_f64_e32 v[150:151], v[150:151], v[228:229]
	v_mul_f64 v[228:229], v[226:227], v[150:151]
	v_fma_f64 v[148:149], -v[148:149], v[228:229], v[226:227]
	v_div_fmas_f64 v[148:149], v[148:149], v[150:151], v[228:229]
	v_div_fixup_f64 v[148:149], v[148:149], v[222:223], v[220:221]
	v_fmac_f64_e32 v[222:223], v[220:221], v[148:149]
	v_div_scale_f64 v[150:151], s[18:19], v[222:223], v[222:223], 1.0
	v_rcp_f64_e32 v[220:221], v[150:151]
	s_nop 0
	v_fma_f64 v[226:227], -v[150:151], v[220:221], 1.0
	v_fmac_f64_e32 v[220:221], v[220:221], v[226:227]
	v_fma_f64 v[226:227], -v[150:151], v[220:221], 1.0
	v_fmac_f64_e32 v[220:221], v[220:221], v[226:227]
	v_div_scale_f64 v[226:227], vcc, 1.0, v[222:223], 1.0
	v_mul_f64 v[228:229], v[226:227], v[220:221]
	v_fma_f64 v[150:151], -v[150:151], v[228:229], v[226:227]
	s_nop 1
	v_div_fmas_f64 v[150:151], v[150:151], v[220:221], v[228:229]
	v_div_fixup_f64 v[222:223], v[150:151], v[222:223], 1.0
	v_mul_f64 v[220:221], v[148:149], v[222:223]
	v_xor_b32_e32 v223, 0x80000000, v223
.LBB108_868:
	s_andn2_saveexec_b64 s[16:17], s[16:17]
	s_cbranch_execz .LBB108_870
; %bb.869:
	v_div_scale_f64 v[148:149], s[18:19], v[220:221], v[220:221], v[222:223]
	v_rcp_f64_e32 v[150:151], v[148:149]
	v_div_scale_f64 v[226:227], vcc, v[222:223], v[220:221], v[222:223]
	v_fma_f64 v[228:229], -v[148:149], v[150:151], 1.0
	v_fmac_f64_e32 v[150:151], v[150:151], v[228:229]
	v_fma_f64 v[228:229], -v[148:149], v[150:151], 1.0
	v_fmac_f64_e32 v[150:151], v[150:151], v[228:229]
	v_mul_f64 v[228:229], v[226:227], v[150:151]
	v_fma_f64 v[148:149], -v[148:149], v[228:229], v[226:227]
	v_div_fmas_f64 v[148:149], v[148:149], v[150:151], v[228:229]
	v_div_fixup_f64 v[148:149], v[148:149], v[220:221], v[222:223]
	v_fmac_f64_e32 v[220:221], v[222:223], v[148:149]
	v_div_scale_f64 v[150:151], s[18:19], v[220:221], v[220:221], 1.0
	v_rcp_f64_e32 v[222:223], v[150:151]
	s_nop 0
	v_fma_f64 v[226:227], -v[150:151], v[222:223], 1.0
	v_fmac_f64_e32 v[222:223], v[222:223], v[226:227]
	v_fma_f64 v[226:227], -v[150:151], v[222:223], 1.0
	v_fmac_f64_e32 v[222:223], v[222:223], v[226:227]
	v_div_scale_f64 v[226:227], vcc, 1.0, v[220:221], 1.0
	v_mul_f64 v[228:229], v[226:227], v[222:223]
	v_fma_f64 v[150:151], -v[150:151], v[228:229], v[226:227]
	s_nop 1
	v_div_fmas_f64 v[150:151], v[150:151], v[222:223], v[228:229]
	v_div_fixup_f64 v[220:221], v[150:151], v[220:221], 1.0
	v_mul_f64 v[222:223], v[148:149], -v[220:221]
.LBB108_870:
	s_or_b64 exec, exec, s[16:17]
.LBB108_871:
	s_or_b64 exec, exec, s[0:1]
	v_cmp_ne_u32_e32 vcc, v233, v230
	s_and_saveexec_b64 s[0:1], vcc
	s_xor_b64 s[0:1], exec, s[0:1]
	s_cbranch_execz .LBB108_877
; %bb.872:
	v_cmp_eq_u32_e32 vcc, 41, v233
	s_and_saveexec_b64 s[16:17], vcc
	s_cbranch_execz .LBB108_876
; %bb.873:
	v_cmp_ne_u32_e32 vcc, 41, v230
	s_xor_b64 s[18:19], s[14:15], -1
	s_and_b64 s[22:23], s[18:19], vcc
	s_and_saveexec_b64 s[18:19], s[22:23]
	s_cbranch_execz .LBB108_875
; %bb.874:
	v_ashrrev_i32_e32 v231, 31, v230
	s_waitcnt vmcnt(0)
	v_lshl_add_u64 v[148:149], v[230:231], 2, v[146:147]
	global_load_dword v150, v[148:149], off
	global_load_dword v151, v[146:147], off offset:164
	s_waitcnt vmcnt(1)
	global_store_dword v[146:147], v150, off offset:164
	s_waitcnt vmcnt(1)
	global_store_dword v[148:149], v151, off
.LBB108_875:
	s_or_b64 exec, exec, s[18:19]
	v_mov_b32_e32 v233, v230
	v_mov_b32_e32 v224, v230
.LBB108_876:
	s_or_b64 exec, exec, s[16:17]
.LBB108_877:
	s_andn2_saveexec_b64 s[0:1], s[0:1]
	s_cbranch_execz .LBB108_879
; %bb.878:
	v_mov_b32_e32 v233, 41
	ds_write2_b64 v232, v[44:45], v[46:47] offset0:84 offset1:85
	ds_write2_b64 v232, v[40:41], v[42:43] offset0:86 offset1:87
	;; [unrolled: 1-line block ×13, first 2 shown]
.LBB108_879:
	s_or_b64 exec, exec, s[0:1]
	v_cmp_lt_i32_e32 vcc, 41, v233
	s_waitcnt lgkmcnt(0)
	s_barrier
	s_and_saveexec_b64 s[0:1], vcc
	s_cbranch_execz .LBB108_881
; %bb.880:
	ds_read2_b64 v[236:239], v232 offset0:84 offset1:85
	v_mul_f64 v[148:149], v[220:221], v[50:51]
	v_mul_f64 v[50:51], v[222:223], v[50:51]
	v_fmac_f64_e32 v[148:149], v[222:223], v[48:49]
	v_fma_f64 v[48:49], v[220:221], v[48:49], -v[50:51]
	ds_read2_b64 v[220:223], v232 offset0:86 offset1:87
	s_waitcnt lgkmcnt(1)
	v_mul_f64 v[50:51], v[238:239], v[148:149]
	v_mul_f64 v[150:151], v[236:237], v[148:149]
	v_fma_f64 v[50:51], v[236:237], v[48:49], -v[50:51]
	v_fmac_f64_e32 v[150:151], v[238:239], v[48:49]
	ds_read2_b64 v[236:239], v232 offset0:88 offset1:89
	v_add_f64 v[44:45], v[44:45], -v[50:51]
	v_add_f64 v[46:47], v[46:47], -v[150:151]
	s_waitcnt lgkmcnt(1)
	v_mul_f64 v[50:51], v[222:223], v[148:149]
	v_mul_f64 v[150:151], v[220:221], v[148:149]
	v_fma_f64 v[50:51], v[220:221], v[48:49], -v[50:51]
	v_fmac_f64_e32 v[150:151], v[222:223], v[48:49]
	ds_read2_b64 v[220:223], v232 offset0:90 offset1:91
	v_add_f64 v[40:41], v[40:41], -v[50:51]
	v_add_f64 v[42:43], v[42:43], -v[150:151]
	;; [unrolled: 8-line block ×11, first 2 shown]
	s_waitcnt lgkmcnt(1)
	v_mul_f64 v[50:51], v[222:223], v[148:149]
	v_mul_f64 v[150:151], v[220:221], v[148:149]
	v_fma_f64 v[50:51], v[220:221], v[48:49], -v[50:51]
	v_fmac_f64_e32 v[150:151], v[222:223], v[48:49]
	v_add_f64 v[0:1], v[0:1], -v[50:51]
	v_add_f64 v[2:3], v[2:3], -v[150:151]
	s_waitcnt lgkmcnt(0)
	v_mul_f64 v[50:51], v[238:239], v[148:149]
	v_mul_f64 v[150:151], v[236:237], v[148:149]
	v_fma_f64 v[50:51], v[236:237], v[48:49], -v[50:51]
	v_fmac_f64_e32 v[150:151], v[238:239], v[48:49]
	v_add_f64 v[216:217], v[216:217], -v[50:51]
	v_add_f64 v[218:219], v[218:219], -v[150:151]
	v_mov_b64_e32 v[50:51], v[148:149]
.LBB108_881:
	s_or_b64 exec, exec, s[0:1]
	v_lshl_add_u32 v148, v233, 4, v232
	s_barrier
	ds_write2_b64 v148, v[44:45], v[46:47] offset1:1
	s_waitcnt lgkmcnt(0)
	s_barrier
	ds_read2_b64 v[220:223], v232 offset0:84 offset1:85
	s_cmp_lt_i32 s20, 44
	v_mov_b32_e32 v230, 42
	s_cbranch_scc1 .LBB108_884
; %bb.882:
	v_add_u32_e32 v231, 0x2b0, v232
	s_mov_b32 s16, 43
	v_mov_b32_e32 v230, 42
.LBB108_883:                            ; =>This Inner Loop Header: Depth=1
	ds_read2_b64 v[236:239], v231 offset1:1
	s_waitcnt lgkmcnt(1)
	v_xor_b32_e32 v149, 0x80000000, v221
	v_xor_b32_e32 v151, 0x80000000, v223
	v_cmp_gt_f64_e32 vcc, 0, v[222:223]
	v_cmp_gt_f64_e64 s[0:1], 0, v[220:221]
	v_mov_b32_e32 v148, v220
	v_mov_b32_e32 v150, v222
	v_cndmask_b32_e64 v149, v221, v149, s[0:1]
	v_cndmask_b32_e32 v151, v223, v151, vcc
	v_add_f64 v[148:149], v[148:149], v[150:151]
	s_waitcnt lgkmcnt(0)
	v_xor_b32_e32 v151, 0x80000000, v237
	v_xor_b32_e32 v227, 0x80000000, v239
	v_cmp_gt_f64_e32 vcc, 0, v[238:239]
	v_cmp_gt_f64_e64 s[0:1], 0, v[236:237]
	v_mov_b32_e32 v150, v236
	v_mov_b32_e32 v226, v238
	v_cndmask_b32_e64 v151, v237, v151, s[0:1]
	v_cndmask_b32_e32 v227, v239, v227, vcc
	v_add_f64 v[150:151], v[150:151], v[226:227]
	v_mov_b32_e32 v228, s16
	s_add_i32 s16, s16, 1
	v_cmp_lt_f64_e32 vcc, v[148:149], v[150:151]
	v_add_u32_e32 v231, 16, v231
	s_cmp_lg_u32 s20, s16
	v_cndmask_b32_e32 v221, v221, v237, vcc
	v_cndmask_b32_e32 v220, v220, v236, vcc
	;; [unrolled: 1-line block ×5, first 2 shown]
	s_cbranch_scc1 .LBB108_883
.LBB108_884:
	s_waitcnt lgkmcnt(0)
	v_cmp_eq_f64_e32 vcc, 0, v[220:221]
	v_cmp_eq_f64_e64 s[0:1], 0, v[222:223]
	s_and_b64 s[0:1], vcc, s[0:1]
	s_and_saveexec_b64 s[16:17], s[0:1]
	s_xor_b64 s[0:1], exec, s[16:17]
; %bb.885:
	v_cmp_ne_u32_e32 vcc, 0, v234
	s_nop 1
	v_cndmask_b32_e32 v234, 43, v234, vcc
; %bb.886:
	s_andn2_saveexec_b64 s[0:1], s[0:1]
	s_cbranch_execz .LBB108_892
; %bb.887:
	v_cmp_ngt_f64_e64 s[16:17], |v[220:221]|, |v[222:223]|
	s_and_saveexec_b64 s[18:19], s[16:17]
	s_xor_b64 s[16:17], exec, s[18:19]
	s_cbranch_execz .LBB108_889
; %bb.888:
	v_div_scale_f64 v[148:149], s[18:19], v[222:223], v[222:223], v[220:221]
	v_rcp_f64_e32 v[150:151], v[148:149]
	v_div_scale_f64 v[226:227], vcc, v[220:221], v[222:223], v[220:221]
	v_fma_f64 v[228:229], -v[148:149], v[150:151], 1.0
	v_fmac_f64_e32 v[150:151], v[150:151], v[228:229]
	v_fma_f64 v[228:229], -v[148:149], v[150:151], 1.0
	v_fmac_f64_e32 v[150:151], v[150:151], v[228:229]
	v_mul_f64 v[228:229], v[226:227], v[150:151]
	v_fma_f64 v[148:149], -v[148:149], v[228:229], v[226:227]
	v_div_fmas_f64 v[148:149], v[148:149], v[150:151], v[228:229]
	v_div_fixup_f64 v[148:149], v[148:149], v[222:223], v[220:221]
	v_fmac_f64_e32 v[222:223], v[220:221], v[148:149]
	v_div_scale_f64 v[150:151], s[18:19], v[222:223], v[222:223], 1.0
	v_rcp_f64_e32 v[220:221], v[150:151]
	s_nop 0
	v_fma_f64 v[226:227], -v[150:151], v[220:221], 1.0
	v_fmac_f64_e32 v[220:221], v[220:221], v[226:227]
	v_fma_f64 v[226:227], -v[150:151], v[220:221], 1.0
	v_fmac_f64_e32 v[220:221], v[220:221], v[226:227]
	v_div_scale_f64 v[226:227], vcc, 1.0, v[222:223], 1.0
	v_mul_f64 v[228:229], v[226:227], v[220:221]
	v_fma_f64 v[150:151], -v[150:151], v[228:229], v[226:227]
	s_nop 1
	v_div_fmas_f64 v[150:151], v[150:151], v[220:221], v[228:229]
	v_div_fixup_f64 v[222:223], v[150:151], v[222:223], 1.0
	v_mul_f64 v[220:221], v[148:149], v[222:223]
	v_xor_b32_e32 v223, 0x80000000, v223
.LBB108_889:
	s_andn2_saveexec_b64 s[16:17], s[16:17]
	s_cbranch_execz .LBB108_891
; %bb.890:
	v_div_scale_f64 v[148:149], s[18:19], v[220:221], v[220:221], v[222:223]
	v_rcp_f64_e32 v[150:151], v[148:149]
	v_div_scale_f64 v[226:227], vcc, v[222:223], v[220:221], v[222:223]
	v_fma_f64 v[228:229], -v[148:149], v[150:151], 1.0
	v_fmac_f64_e32 v[150:151], v[150:151], v[228:229]
	v_fma_f64 v[228:229], -v[148:149], v[150:151], 1.0
	v_fmac_f64_e32 v[150:151], v[150:151], v[228:229]
	v_mul_f64 v[228:229], v[226:227], v[150:151]
	v_fma_f64 v[148:149], -v[148:149], v[228:229], v[226:227]
	v_div_fmas_f64 v[148:149], v[148:149], v[150:151], v[228:229]
	v_div_fixup_f64 v[148:149], v[148:149], v[220:221], v[222:223]
	v_fmac_f64_e32 v[220:221], v[222:223], v[148:149]
	v_div_scale_f64 v[150:151], s[18:19], v[220:221], v[220:221], 1.0
	v_rcp_f64_e32 v[222:223], v[150:151]
	s_nop 0
	v_fma_f64 v[226:227], -v[150:151], v[222:223], 1.0
	v_fmac_f64_e32 v[222:223], v[222:223], v[226:227]
	v_fma_f64 v[226:227], -v[150:151], v[222:223], 1.0
	v_fmac_f64_e32 v[222:223], v[222:223], v[226:227]
	v_div_scale_f64 v[226:227], vcc, 1.0, v[220:221], 1.0
	v_mul_f64 v[228:229], v[226:227], v[222:223]
	v_fma_f64 v[150:151], -v[150:151], v[228:229], v[226:227]
	s_nop 1
	v_div_fmas_f64 v[150:151], v[150:151], v[222:223], v[228:229]
	v_div_fixup_f64 v[220:221], v[150:151], v[220:221], 1.0
	v_mul_f64 v[222:223], v[148:149], -v[220:221]
.LBB108_891:
	s_or_b64 exec, exec, s[16:17]
.LBB108_892:
	s_or_b64 exec, exec, s[0:1]
	v_cmp_ne_u32_e32 vcc, v233, v230
	s_and_saveexec_b64 s[0:1], vcc
	s_xor_b64 s[0:1], exec, s[0:1]
	s_cbranch_execz .LBB108_898
; %bb.893:
	v_cmp_eq_u32_e32 vcc, 42, v233
	s_and_saveexec_b64 s[16:17], vcc
	s_cbranch_execz .LBB108_897
; %bb.894:
	v_cmp_ne_u32_e32 vcc, 42, v230
	s_xor_b64 s[18:19], s[14:15], -1
	s_and_b64 s[22:23], s[18:19], vcc
	s_and_saveexec_b64 s[18:19], s[22:23]
	s_cbranch_execz .LBB108_896
; %bb.895:
	v_ashrrev_i32_e32 v231, 31, v230
	s_waitcnt vmcnt(0)
	v_lshl_add_u64 v[148:149], v[230:231], 2, v[146:147]
	global_load_dword v150, v[148:149], off
	global_load_dword v151, v[146:147], off offset:168
	s_waitcnt vmcnt(1)
	global_store_dword v[146:147], v150, off offset:168
	s_waitcnt vmcnt(1)
	global_store_dword v[148:149], v151, off
.LBB108_896:
	s_or_b64 exec, exec, s[18:19]
	v_mov_b32_e32 v233, v230
	v_mov_b32_e32 v224, v230
.LBB108_897:
	s_or_b64 exec, exec, s[16:17]
.LBB108_898:
	s_andn2_saveexec_b64 s[0:1], s[0:1]
	s_cbranch_execz .LBB108_900
; %bb.899:
	v_mov_b32_e32 v233, 42
	ds_write2_b64 v232, v[40:41], v[42:43] offset0:86 offset1:87
	ds_write2_b64 v232, v[36:37], v[38:39] offset0:88 offset1:89
	;; [unrolled: 1-line block ×12, first 2 shown]
.LBB108_900:
	s_or_b64 exec, exec, s[0:1]
	v_cmp_lt_i32_e32 vcc, 42, v233
	s_waitcnt lgkmcnt(0)
	s_barrier
	s_and_saveexec_b64 s[0:1], vcc
	s_cbranch_execz .LBB108_902
; %bb.901:
	ds_read2_b64 v[236:239], v232 offset0:86 offset1:87
	v_mul_f64 v[148:149], v[220:221], v[46:47]
	v_mul_f64 v[46:47], v[222:223], v[46:47]
	v_fmac_f64_e32 v[148:149], v[222:223], v[44:45]
	v_fma_f64 v[44:45], v[220:221], v[44:45], -v[46:47]
	ds_read2_b64 v[220:223], v232 offset0:88 offset1:89
	s_waitcnt lgkmcnt(1)
	v_mul_f64 v[46:47], v[238:239], v[148:149]
	v_mul_f64 v[150:151], v[236:237], v[148:149]
	v_fma_f64 v[46:47], v[236:237], v[44:45], -v[46:47]
	v_fmac_f64_e32 v[150:151], v[238:239], v[44:45]
	ds_read2_b64 v[236:239], v232 offset0:90 offset1:91
	v_add_f64 v[40:41], v[40:41], -v[46:47]
	v_add_f64 v[42:43], v[42:43], -v[150:151]
	s_waitcnt lgkmcnt(1)
	v_mul_f64 v[46:47], v[222:223], v[148:149]
	v_mul_f64 v[150:151], v[220:221], v[148:149]
	v_fma_f64 v[46:47], v[220:221], v[44:45], -v[46:47]
	v_fmac_f64_e32 v[150:151], v[222:223], v[44:45]
	ds_read2_b64 v[220:223], v232 offset0:92 offset1:93
	v_add_f64 v[36:37], v[36:37], -v[46:47]
	v_add_f64 v[38:39], v[38:39], -v[150:151]
	;; [unrolled: 8-line block ×10, first 2 shown]
	s_waitcnt lgkmcnt(1)
	v_mul_f64 v[46:47], v[238:239], v[148:149]
	v_mul_f64 v[150:151], v[236:237], v[148:149]
	v_fma_f64 v[46:47], v[236:237], v[44:45], -v[46:47]
	v_fmac_f64_e32 v[150:151], v[238:239], v[44:45]
	v_add_f64 v[0:1], v[0:1], -v[46:47]
	v_add_f64 v[2:3], v[2:3], -v[150:151]
	s_waitcnt lgkmcnt(0)
	v_mul_f64 v[46:47], v[222:223], v[148:149]
	v_mul_f64 v[150:151], v[220:221], v[148:149]
	v_fma_f64 v[46:47], v[220:221], v[44:45], -v[46:47]
	v_fmac_f64_e32 v[150:151], v[222:223], v[44:45]
	v_add_f64 v[216:217], v[216:217], -v[46:47]
	v_add_f64 v[218:219], v[218:219], -v[150:151]
	v_mov_b64_e32 v[46:47], v[148:149]
.LBB108_902:
	s_or_b64 exec, exec, s[0:1]
	v_lshl_add_u32 v148, v233, 4, v232
	s_barrier
	ds_write2_b64 v148, v[40:41], v[42:43] offset1:1
	s_waitcnt lgkmcnt(0)
	s_barrier
	ds_read2_b64 v[220:223], v232 offset0:86 offset1:87
	s_cmp_lt_i32 s20, 45
	v_mov_b32_e32 v230, 43
	s_cbranch_scc1 .LBB108_905
; %bb.903:
	v_add_u32_e32 v231, 0x2c0, v232
	s_mov_b32 s16, 44
	v_mov_b32_e32 v230, 43
.LBB108_904:                            ; =>This Inner Loop Header: Depth=1
	ds_read2_b64 v[236:239], v231 offset1:1
	s_waitcnt lgkmcnt(1)
	v_xor_b32_e32 v149, 0x80000000, v221
	v_xor_b32_e32 v151, 0x80000000, v223
	v_cmp_gt_f64_e32 vcc, 0, v[222:223]
	v_cmp_gt_f64_e64 s[0:1], 0, v[220:221]
	v_mov_b32_e32 v148, v220
	v_mov_b32_e32 v150, v222
	v_cndmask_b32_e64 v149, v221, v149, s[0:1]
	v_cndmask_b32_e32 v151, v223, v151, vcc
	v_add_f64 v[148:149], v[148:149], v[150:151]
	s_waitcnt lgkmcnt(0)
	v_xor_b32_e32 v151, 0x80000000, v237
	v_xor_b32_e32 v227, 0x80000000, v239
	v_cmp_gt_f64_e32 vcc, 0, v[238:239]
	v_cmp_gt_f64_e64 s[0:1], 0, v[236:237]
	v_mov_b32_e32 v150, v236
	v_mov_b32_e32 v226, v238
	v_cndmask_b32_e64 v151, v237, v151, s[0:1]
	v_cndmask_b32_e32 v227, v239, v227, vcc
	v_add_f64 v[150:151], v[150:151], v[226:227]
	v_mov_b32_e32 v228, s16
	s_add_i32 s16, s16, 1
	v_cmp_lt_f64_e32 vcc, v[148:149], v[150:151]
	v_add_u32_e32 v231, 16, v231
	s_cmp_lg_u32 s20, s16
	v_cndmask_b32_e32 v221, v221, v237, vcc
	v_cndmask_b32_e32 v220, v220, v236, vcc
	;; [unrolled: 1-line block ×5, first 2 shown]
	s_cbranch_scc1 .LBB108_904
.LBB108_905:
	s_waitcnt lgkmcnt(0)
	v_cmp_eq_f64_e32 vcc, 0, v[220:221]
	v_cmp_eq_f64_e64 s[0:1], 0, v[222:223]
	s_and_b64 s[0:1], vcc, s[0:1]
	s_and_saveexec_b64 s[16:17], s[0:1]
	s_xor_b64 s[0:1], exec, s[16:17]
; %bb.906:
	v_cmp_ne_u32_e32 vcc, 0, v234
	s_nop 1
	v_cndmask_b32_e32 v234, 44, v234, vcc
; %bb.907:
	s_andn2_saveexec_b64 s[0:1], s[0:1]
	s_cbranch_execz .LBB108_913
; %bb.908:
	v_cmp_ngt_f64_e64 s[16:17], |v[220:221]|, |v[222:223]|
	s_and_saveexec_b64 s[18:19], s[16:17]
	s_xor_b64 s[16:17], exec, s[18:19]
	s_cbranch_execz .LBB108_910
; %bb.909:
	v_div_scale_f64 v[148:149], s[18:19], v[222:223], v[222:223], v[220:221]
	v_rcp_f64_e32 v[150:151], v[148:149]
	v_div_scale_f64 v[226:227], vcc, v[220:221], v[222:223], v[220:221]
	v_fma_f64 v[228:229], -v[148:149], v[150:151], 1.0
	v_fmac_f64_e32 v[150:151], v[150:151], v[228:229]
	v_fma_f64 v[228:229], -v[148:149], v[150:151], 1.0
	v_fmac_f64_e32 v[150:151], v[150:151], v[228:229]
	v_mul_f64 v[228:229], v[226:227], v[150:151]
	v_fma_f64 v[148:149], -v[148:149], v[228:229], v[226:227]
	v_div_fmas_f64 v[148:149], v[148:149], v[150:151], v[228:229]
	v_div_fixup_f64 v[148:149], v[148:149], v[222:223], v[220:221]
	v_fmac_f64_e32 v[222:223], v[220:221], v[148:149]
	v_div_scale_f64 v[150:151], s[18:19], v[222:223], v[222:223], 1.0
	v_rcp_f64_e32 v[220:221], v[150:151]
	s_nop 0
	v_fma_f64 v[226:227], -v[150:151], v[220:221], 1.0
	v_fmac_f64_e32 v[220:221], v[220:221], v[226:227]
	v_fma_f64 v[226:227], -v[150:151], v[220:221], 1.0
	v_fmac_f64_e32 v[220:221], v[220:221], v[226:227]
	v_div_scale_f64 v[226:227], vcc, 1.0, v[222:223], 1.0
	v_mul_f64 v[228:229], v[226:227], v[220:221]
	v_fma_f64 v[150:151], -v[150:151], v[228:229], v[226:227]
	s_nop 1
	v_div_fmas_f64 v[150:151], v[150:151], v[220:221], v[228:229]
	v_div_fixup_f64 v[222:223], v[150:151], v[222:223], 1.0
	v_mul_f64 v[220:221], v[148:149], v[222:223]
	v_xor_b32_e32 v223, 0x80000000, v223
.LBB108_910:
	s_andn2_saveexec_b64 s[16:17], s[16:17]
	s_cbranch_execz .LBB108_912
; %bb.911:
	v_div_scale_f64 v[148:149], s[18:19], v[220:221], v[220:221], v[222:223]
	v_rcp_f64_e32 v[150:151], v[148:149]
	v_div_scale_f64 v[226:227], vcc, v[222:223], v[220:221], v[222:223]
	v_fma_f64 v[228:229], -v[148:149], v[150:151], 1.0
	v_fmac_f64_e32 v[150:151], v[150:151], v[228:229]
	v_fma_f64 v[228:229], -v[148:149], v[150:151], 1.0
	v_fmac_f64_e32 v[150:151], v[150:151], v[228:229]
	v_mul_f64 v[228:229], v[226:227], v[150:151]
	v_fma_f64 v[148:149], -v[148:149], v[228:229], v[226:227]
	v_div_fmas_f64 v[148:149], v[148:149], v[150:151], v[228:229]
	v_div_fixup_f64 v[148:149], v[148:149], v[220:221], v[222:223]
	v_fmac_f64_e32 v[220:221], v[222:223], v[148:149]
	v_div_scale_f64 v[150:151], s[18:19], v[220:221], v[220:221], 1.0
	v_rcp_f64_e32 v[222:223], v[150:151]
	s_nop 0
	v_fma_f64 v[226:227], -v[150:151], v[222:223], 1.0
	v_fmac_f64_e32 v[222:223], v[222:223], v[226:227]
	v_fma_f64 v[226:227], -v[150:151], v[222:223], 1.0
	v_fmac_f64_e32 v[222:223], v[222:223], v[226:227]
	v_div_scale_f64 v[226:227], vcc, 1.0, v[220:221], 1.0
	v_mul_f64 v[228:229], v[226:227], v[222:223]
	v_fma_f64 v[150:151], -v[150:151], v[228:229], v[226:227]
	s_nop 1
	v_div_fmas_f64 v[150:151], v[150:151], v[222:223], v[228:229]
	v_div_fixup_f64 v[220:221], v[150:151], v[220:221], 1.0
	v_mul_f64 v[222:223], v[148:149], -v[220:221]
.LBB108_912:
	s_or_b64 exec, exec, s[16:17]
.LBB108_913:
	s_or_b64 exec, exec, s[0:1]
	v_cmp_ne_u32_e32 vcc, v233, v230
	s_and_saveexec_b64 s[0:1], vcc
	s_xor_b64 s[0:1], exec, s[0:1]
	s_cbranch_execz .LBB108_919
; %bb.914:
	v_cmp_eq_u32_e32 vcc, 43, v233
	s_and_saveexec_b64 s[16:17], vcc
	s_cbranch_execz .LBB108_918
; %bb.915:
	v_cmp_ne_u32_e32 vcc, 43, v230
	s_xor_b64 s[18:19], s[14:15], -1
	s_and_b64 s[22:23], s[18:19], vcc
	s_and_saveexec_b64 s[18:19], s[22:23]
	s_cbranch_execz .LBB108_917
; %bb.916:
	v_ashrrev_i32_e32 v231, 31, v230
	s_waitcnt vmcnt(0)
	v_lshl_add_u64 v[148:149], v[230:231], 2, v[146:147]
	global_load_dword v150, v[148:149], off
	global_load_dword v151, v[146:147], off offset:172
	s_waitcnt vmcnt(1)
	global_store_dword v[146:147], v150, off offset:172
	s_waitcnt vmcnt(1)
	global_store_dword v[148:149], v151, off
.LBB108_917:
	s_or_b64 exec, exec, s[18:19]
	v_mov_b32_e32 v233, v230
	v_mov_b32_e32 v224, v230
.LBB108_918:
	s_or_b64 exec, exec, s[16:17]
.LBB108_919:
	s_andn2_saveexec_b64 s[0:1], s[0:1]
	s_cbranch_execz .LBB108_921
; %bb.920:
	v_mov_b32_e32 v233, 43
	ds_write2_b64 v232, v[36:37], v[38:39] offset0:88 offset1:89
	ds_write2_b64 v232, v[32:33], v[34:35] offset0:90 offset1:91
	ds_write2_b64 v232, v[28:29], v[30:31] offset0:92 offset1:93
	ds_write2_b64 v232, v[24:25], v[26:27] offset0:94 offset1:95
	ds_write2_b64 v232, v[20:21], v[22:23] offset0:96 offset1:97
	ds_write2_b64 v232, v[16:17], v[18:19] offset0:98 offset1:99
	ds_write2_b64 v232, v[12:13], v[14:15] offset0:100 offset1:101
	ds_write2_b64 v232, v[8:9], v[10:11] offset0:102 offset1:103
	ds_write2_b64 v232, v[4:5], v[6:7] offset0:104 offset1:105
	ds_write2_b64 v232, v[0:1], v[2:3] offset0:106 offset1:107
	ds_write2_b64 v232, v[216:217], v[218:219] offset0:108 offset1:109
.LBB108_921:
	s_or_b64 exec, exec, s[0:1]
	v_cmp_lt_i32_e32 vcc, 43, v233
	s_waitcnt lgkmcnt(0)
	s_barrier
	s_and_saveexec_b64 s[0:1], vcc
	s_cbranch_execz .LBB108_923
; %bb.922:
	ds_read2_b64 v[236:239], v232 offset0:88 offset1:89
	v_mul_f64 v[148:149], v[220:221], v[42:43]
	v_mul_f64 v[42:43], v[222:223], v[42:43]
	v_fmac_f64_e32 v[148:149], v[222:223], v[40:41]
	v_fma_f64 v[40:41], v[220:221], v[40:41], -v[42:43]
	ds_read2_b64 v[220:223], v232 offset0:90 offset1:91
	s_waitcnt lgkmcnt(1)
	v_mul_f64 v[42:43], v[238:239], v[148:149]
	v_mul_f64 v[150:151], v[236:237], v[148:149]
	v_fma_f64 v[42:43], v[236:237], v[40:41], -v[42:43]
	v_fmac_f64_e32 v[150:151], v[238:239], v[40:41]
	ds_read2_b64 v[236:239], v232 offset0:92 offset1:93
	v_add_f64 v[36:37], v[36:37], -v[42:43]
	v_add_f64 v[38:39], v[38:39], -v[150:151]
	s_waitcnt lgkmcnt(1)
	v_mul_f64 v[42:43], v[222:223], v[148:149]
	v_mul_f64 v[150:151], v[220:221], v[148:149]
	v_fma_f64 v[42:43], v[220:221], v[40:41], -v[42:43]
	v_fmac_f64_e32 v[150:151], v[222:223], v[40:41]
	ds_read2_b64 v[220:223], v232 offset0:94 offset1:95
	v_add_f64 v[32:33], v[32:33], -v[42:43]
	v_add_f64 v[34:35], v[34:35], -v[150:151]
	s_waitcnt lgkmcnt(1)
	v_mul_f64 v[42:43], v[238:239], v[148:149]
	v_mul_f64 v[150:151], v[236:237], v[148:149]
	v_fma_f64 v[42:43], v[236:237], v[40:41], -v[42:43]
	v_fmac_f64_e32 v[150:151], v[238:239], v[40:41]
	ds_read2_b64 v[236:239], v232 offset0:96 offset1:97
	v_add_f64 v[28:29], v[28:29], -v[42:43]
	v_add_f64 v[30:31], v[30:31], -v[150:151]
	s_waitcnt lgkmcnt(1)
	v_mul_f64 v[42:43], v[222:223], v[148:149]
	v_mul_f64 v[150:151], v[220:221], v[148:149]
	v_fma_f64 v[42:43], v[220:221], v[40:41], -v[42:43]
	v_fmac_f64_e32 v[150:151], v[222:223], v[40:41]
	ds_read2_b64 v[220:223], v232 offset0:98 offset1:99
	v_add_f64 v[24:25], v[24:25], -v[42:43]
	v_add_f64 v[26:27], v[26:27], -v[150:151]
	s_waitcnt lgkmcnt(1)
	v_mul_f64 v[42:43], v[238:239], v[148:149]
	v_mul_f64 v[150:151], v[236:237], v[148:149]
	v_fma_f64 v[42:43], v[236:237], v[40:41], -v[42:43]
	v_fmac_f64_e32 v[150:151], v[238:239], v[40:41]
	ds_read2_b64 v[236:239], v232 offset0:100 offset1:101
	v_add_f64 v[20:21], v[20:21], -v[42:43]
	v_add_f64 v[22:23], v[22:23], -v[150:151]
	s_waitcnt lgkmcnt(1)
	v_mul_f64 v[42:43], v[222:223], v[148:149]
	v_mul_f64 v[150:151], v[220:221], v[148:149]
	v_fma_f64 v[42:43], v[220:221], v[40:41], -v[42:43]
	v_fmac_f64_e32 v[150:151], v[222:223], v[40:41]
	ds_read2_b64 v[220:223], v232 offset0:102 offset1:103
	v_add_f64 v[16:17], v[16:17], -v[42:43]
	v_add_f64 v[18:19], v[18:19], -v[150:151]
	s_waitcnt lgkmcnt(1)
	v_mul_f64 v[42:43], v[238:239], v[148:149]
	v_mul_f64 v[150:151], v[236:237], v[148:149]
	v_fma_f64 v[42:43], v[236:237], v[40:41], -v[42:43]
	v_fmac_f64_e32 v[150:151], v[238:239], v[40:41]
	ds_read2_b64 v[236:239], v232 offset0:104 offset1:105
	v_add_f64 v[12:13], v[12:13], -v[42:43]
	v_add_f64 v[14:15], v[14:15], -v[150:151]
	s_waitcnt lgkmcnt(1)
	v_mul_f64 v[42:43], v[222:223], v[148:149]
	v_mul_f64 v[150:151], v[220:221], v[148:149]
	v_fma_f64 v[42:43], v[220:221], v[40:41], -v[42:43]
	v_fmac_f64_e32 v[150:151], v[222:223], v[40:41]
	ds_read2_b64 v[220:223], v232 offset0:106 offset1:107
	v_add_f64 v[8:9], v[8:9], -v[42:43]
	v_add_f64 v[10:11], v[10:11], -v[150:151]
	s_waitcnt lgkmcnt(1)
	v_mul_f64 v[42:43], v[238:239], v[148:149]
	v_mul_f64 v[150:151], v[236:237], v[148:149]
	v_fma_f64 v[42:43], v[236:237], v[40:41], -v[42:43]
	v_fmac_f64_e32 v[150:151], v[238:239], v[40:41]
	ds_read2_b64 v[236:239], v232 offset0:108 offset1:109
	v_add_f64 v[4:5], v[4:5], -v[42:43]
	v_add_f64 v[6:7], v[6:7], -v[150:151]
	s_waitcnt lgkmcnt(1)
	v_mul_f64 v[42:43], v[222:223], v[148:149]
	v_mul_f64 v[150:151], v[220:221], v[148:149]
	v_fma_f64 v[42:43], v[220:221], v[40:41], -v[42:43]
	v_fmac_f64_e32 v[150:151], v[222:223], v[40:41]
	v_add_f64 v[0:1], v[0:1], -v[42:43]
	v_add_f64 v[2:3], v[2:3], -v[150:151]
	s_waitcnt lgkmcnt(0)
	v_mul_f64 v[42:43], v[238:239], v[148:149]
	v_mul_f64 v[150:151], v[236:237], v[148:149]
	v_fma_f64 v[42:43], v[236:237], v[40:41], -v[42:43]
	v_fmac_f64_e32 v[150:151], v[238:239], v[40:41]
	v_add_f64 v[216:217], v[216:217], -v[42:43]
	v_add_f64 v[218:219], v[218:219], -v[150:151]
	v_mov_b64_e32 v[42:43], v[148:149]
.LBB108_923:
	s_or_b64 exec, exec, s[0:1]
	v_lshl_add_u32 v148, v233, 4, v232
	s_barrier
	ds_write2_b64 v148, v[36:37], v[38:39] offset1:1
	s_waitcnt lgkmcnt(0)
	s_barrier
	ds_read2_b64 v[220:223], v232 offset0:88 offset1:89
	s_cmp_lt_i32 s20, 46
	v_mov_b32_e32 v230, 44
	s_cbranch_scc1 .LBB108_926
; %bb.924:
	v_add_u32_e32 v231, 0x2d0, v232
	s_mov_b32 s16, 45
	v_mov_b32_e32 v230, 44
.LBB108_925:                            ; =>This Inner Loop Header: Depth=1
	ds_read2_b64 v[236:239], v231 offset1:1
	s_waitcnt lgkmcnt(1)
	v_xor_b32_e32 v149, 0x80000000, v221
	v_xor_b32_e32 v151, 0x80000000, v223
	v_cmp_gt_f64_e32 vcc, 0, v[222:223]
	v_cmp_gt_f64_e64 s[0:1], 0, v[220:221]
	v_mov_b32_e32 v148, v220
	v_mov_b32_e32 v150, v222
	v_cndmask_b32_e64 v149, v221, v149, s[0:1]
	v_cndmask_b32_e32 v151, v223, v151, vcc
	v_add_f64 v[148:149], v[148:149], v[150:151]
	s_waitcnt lgkmcnt(0)
	v_xor_b32_e32 v151, 0x80000000, v237
	v_xor_b32_e32 v227, 0x80000000, v239
	v_cmp_gt_f64_e32 vcc, 0, v[238:239]
	v_cmp_gt_f64_e64 s[0:1], 0, v[236:237]
	v_mov_b32_e32 v150, v236
	v_mov_b32_e32 v226, v238
	v_cndmask_b32_e64 v151, v237, v151, s[0:1]
	v_cndmask_b32_e32 v227, v239, v227, vcc
	v_add_f64 v[150:151], v[150:151], v[226:227]
	v_mov_b32_e32 v228, s16
	s_add_i32 s16, s16, 1
	v_cmp_lt_f64_e32 vcc, v[148:149], v[150:151]
	v_add_u32_e32 v231, 16, v231
	s_cmp_lg_u32 s20, s16
	v_cndmask_b32_e32 v221, v221, v237, vcc
	v_cndmask_b32_e32 v220, v220, v236, vcc
	;; [unrolled: 1-line block ×5, first 2 shown]
	s_cbranch_scc1 .LBB108_925
.LBB108_926:
	s_waitcnt lgkmcnt(0)
	v_cmp_eq_f64_e32 vcc, 0, v[220:221]
	v_cmp_eq_f64_e64 s[0:1], 0, v[222:223]
	s_and_b64 s[0:1], vcc, s[0:1]
	s_and_saveexec_b64 s[16:17], s[0:1]
	s_xor_b64 s[0:1], exec, s[16:17]
; %bb.927:
	v_cmp_ne_u32_e32 vcc, 0, v234
	s_nop 1
	v_cndmask_b32_e32 v234, 45, v234, vcc
; %bb.928:
	s_andn2_saveexec_b64 s[0:1], s[0:1]
	s_cbranch_execz .LBB108_934
; %bb.929:
	v_cmp_ngt_f64_e64 s[16:17], |v[220:221]|, |v[222:223]|
	s_and_saveexec_b64 s[18:19], s[16:17]
	s_xor_b64 s[16:17], exec, s[18:19]
	s_cbranch_execz .LBB108_931
; %bb.930:
	v_div_scale_f64 v[148:149], s[18:19], v[222:223], v[222:223], v[220:221]
	v_rcp_f64_e32 v[150:151], v[148:149]
	v_div_scale_f64 v[226:227], vcc, v[220:221], v[222:223], v[220:221]
	v_fma_f64 v[228:229], -v[148:149], v[150:151], 1.0
	v_fmac_f64_e32 v[150:151], v[150:151], v[228:229]
	v_fma_f64 v[228:229], -v[148:149], v[150:151], 1.0
	v_fmac_f64_e32 v[150:151], v[150:151], v[228:229]
	v_mul_f64 v[228:229], v[226:227], v[150:151]
	v_fma_f64 v[148:149], -v[148:149], v[228:229], v[226:227]
	v_div_fmas_f64 v[148:149], v[148:149], v[150:151], v[228:229]
	v_div_fixup_f64 v[148:149], v[148:149], v[222:223], v[220:221]
	v_fmac_f64_e32 v[222:223], v[220:221], v[148:149]
	v_div_scale_f64 v[150:151], s[18:19], v[222:223], v[222:223], 1.0
	v_rcp_f64_e32 v[220:221], v[150:151]
	s_nop 0
	v_fma_f64 v[226:227], -v[150:151], v[220:221], 1.0
	v_fmac_f64_e32 v[220:221], v[220:221], v[226:227]
	v_fma_f64 v[226:227], -v[150:151], v[220:221], 1.0
	v_fmac_f64_e32 v[220:221], v[220:221], v[226:227]
	v_div_scale_f64 v[226:227], vcc, 1.0, v[222:223], 1.0
	v_mul_f64 v[228:229], v[226:227], v[220:221]
	v_fma_f64 v[150:151], -v[150:151], v[228:229], v[226:227]
	s_nop 1
	v_div_fmas_f64 v[150:151], v[150:151], v[220:221], v[228:229]
	v_div_fixup_f64 v[222:223], v[150:151], v[222:223], 1.0
	v_mul_f64 v[220:221], v[148:149], v[222:223]
	v_xor_b32_e32 v223, 0x80000000, v223
.LBB108_931:
	s_andn2_saveexec_b64 s[16:17], s[16:17]
	s_cbranch_execz .LBB108_933
; %bb.932:
	v_div_scale_f64 v[148:149], s[18:19], v[220:221], v[220:221], v[222:223]
	v_rcp_f64_e32 v[150:151], v[148:149]
	v_div_scale_f64 v[226:227], vcc, v[222:223], v[220:221], v[222:223]
	v_fma_f64 v[228:229], -v[148:149], v[150:151], 1.0
	v_fmac_f64_e32 v[150:151], v[150:151], v[228:229]
	v_fma_f64 v[228:229], -v[148:149], v[150:151], 1.0
	v_fmac_f64_e32 v[150:151], v[150:151], v[228:229]
	v_mul_f64 v[228:229], v[226:227], v[150:151]
	v_fma_f64 v[148:149], -v[148:149], v[228:229], v[226:227]
	v_div_fmas_f64 v[148:149], v[148:149], v[150:151], v[228:229]
	v_div_fixup_f64 v[148:149], v[148:149], v[220:221], v[222:223]
	v_fmac_f64_e32 v[220:221], v[222:223], v[148:149]
	v_div_scale_f64 v[150:151], s[18:19], v[220:221], v[220:221], 1.0
	v_rcp_f64_e32 v[222:223], v[150:151]
	s_nop 0
	v_fma_f64 v[226:227], -v[150:151], v[222:223], 1.0
	v_fmac_f64_e32 v[222:223], v[222:223], v[226:227]
	v_fma_f64 v[226:227], -v[150:151], v[222:223], 1.0
	v_fmac_f64_e32 v[222:223], v[222:223], v[226:227]
	v_div_scale_f64 v[226:227], vcc, 1.0, v[220:221], 1.0
	v_mul_f64 v[228:229], v[226:227], v[222:223]
	v_fma_f64 v[150:151], -v[150:151], v[228:229], v[226:227]
	s_nop 1
	v_div_fmas_f64 v[150:151], v[150:151], v[222:223], v[228:229]
	v_div_fixup_f64 v[220:221], v[150:151], v[220:221], 1.0
	v_mul_f64 v[222:223], v[148:149], -v[220:221]
.LBB108_933:
	s_or_b64 exec, exec, s[16:17]
.LBB108_934:
	s_or_b64 exec, exec, s[0:1]
	v_cmp_ne_u32_e32 vcc, v233, v230
	s_and_saveexec_b64 s[0:1], vcc
	s_xor_b64 s[0:1], exec, s[0:1]
	s_cbranch_execz .LBB108_940
; %bb.935:
	v_cmp_eq_u32_e32 vcc, 44, v233
	s_and_saveexec_b64 s[16:17], vcc
	s_cbranch_execz .LBB108_939
; %bb.936:
	v_cmp_ne_u32_e32 vcc, 44, v230
	s_xor_b64 s[18:19], s[14:15], -1
	s_and_b64 s[22:23], s[18:19], vcc
	s_and_saveexec_b64 s[18:19], s[22:23]
	s_cbranch_execz .LBB108_938
; %bb.937:
	v_ashrrev_i32_e32 v231, 31, v230
	s_waitcnt vmcnt(0)
	v_lshl_add_u64 v[148:149], v[230:231], 2, v[146:147]
	global_load_dword v150, v[148:149], off
	global_load_dword v151, v[146:147], off offset:176
	s_waitcnt vmcnt(1)
	global_store_dword v[146:147], v150, off offset:176
	s_waitcnt vmcnt(1)
	global_store_dword v[148:149], v151, off
.LBB108_938:
	s_or_b64 exec, exec, s[18:19]
	v_mov_b32_e32 v233, v230
	v_mov_b32_e32 v224, v230
.LBB108_939:
	s_or_b64 exec, exec, s[16:17]
.LBB108_940:
	s_andn2_saveexec_b64 s[0:1], s[0:1]
	s_cbranch_execz .LBB108_942
; %bb.941:
	v_mov_b32_e32 v233, 44
	ds_write2_b64 v232, v[32:33], v[34:35] offset0:90 offset1:91
	ds_write2_b64 v232, v[28:29], v[30:31] offset0:92 offset1:93
	;; [unrolled: 1-line block ×10, first 2 shown]
.LBB108_942:
	s_or_b64 exec, exec, s[0:1]
	v_cmp_lt_i32_e32 vcc, 44, v233
	s_waitcnt lgkmcnt(0)
	s_barrier
	s_and_saveexec_b64 s[0:1], vcc
	s_cbranch_execz .LBB108_944
; %bb.943:
	ds_read2_b64 v[236:239], v232 offset0:90 offset1:91
	v_mul_f64 v[148:149], v[220:221], v[38:39]
	v_mul_f64 v[38:39], v[222:223], v[38:39]
	v_fmac_f64_e32 v[148:149], v[222:223], v[36:37]
	v_fma_f64 v[36:37], v[220:221], v[36:37], -v[38:39]
	ds_read2_b64 v[220:223], v232 offset0:92 offset1:93
	s_waitcnt lgkmcnt(1)
	v_mul_f64 v[38:39], v[238:239], v[148:149]
	v_mul_f64 v[150:151], v[236:237], v[148:149]
	v_fma_f64 v[38:39], v[236:237], v[36:37], -v[38:39]
	v_fmac_f64_e32 v[150:151], v[238:239], v[36:37]
	ds_read2_b64 v[236:239], v232 offset0:94 offset1:95
	v_add_f64 v[32:33], v[32:33], -v[38:39]
	v_add_f64 v[34:35], v[34:35], -v[150:151]
	s_waitcnt lgkmcnt(1)
	v_mul_f64 v[38:39], v[222:223], v[148:149]
	v_mul_f64 v[150:151], v[220:221], v[148:149]
	v_fma_f64 v[38:39], v[220:221], v[36:37], -v[38:39]
	v_fmac_f64_e32 v[150:151], v[222:223], v[36:37]
	ds_read2_b64 v[220:223], v232 offset0:96 offset1:97
	v_add_f64 v[28:29], v[28:29], -v[38:39]
	v_add_f64 v[30:31], v[30:31], -v[150:151]
	;; [unrolled: 8-line block ×8, first 2 shown]
	s_waitcnt lgkmcnt(1)
	v_mul_f64 v[38:39], v[238:239], v[148:149]
	v_mul_f64 v[150:151], v[236:237], v[148:149]
	v_fma_f64 v[38:39], v[236:237], v[36:37], -v[38:39]
	v_fmac_f64_e32 v[150:151], v[238:239], v[36:37]
	v_add_f64 v[0:1], v[0:1], -v[38:39]
	v_add_f64 v[2:3], v[2:3], -v[150:151]
	s_waitcnt lgkmcnt(0)
	v_mul_f64 v[38:39], v[222:223], v[148:149]
	v_mul_f64 v[150:151], v[220:221], v[148:149]
	v_fma_f64 v[38:39], v[220:221], v[36:37], -v[38:39]
	v_fmac_f64_e32 v[150:151], v[222:223], v[36:37]
	v_add_f64 v[216:217], v[216:217], -v[38:39]
	v_add_f64 v[218:219], v[218:219], -v[150:151]
	v_mov_b64_e32 v[38:39], v[148:149]
.LBB108_944:
	s_or_b64 exec, exec, s[0:1]
	v_lshl_add_u32 v148, v233, 4, v232
	s_barrier
	ds_write2_b64 v148, v[32:33], v[34:35] offset1:1
	s_waitcnt lgkmcnt(0)
	s_barrier
	ds_read2_b64 v[220:223], v232 offset0:90 offset1:91
	s_cmp_lt_i32 s20, 47
	v_mov_b32_e32 v230, 45
	s_cbranch_scc1 .LBB108_947
; %bb.945:
	v_add_u32_e32 v231, 0x2e0, v232
	s_mov_b32 s16, 46
	v_mov_b32_e32 v230, 45
.LBB108_946:                            ; =>This Inner Loop Header: Depth=1
	ds_read2_b64 v[236:239], v231 offset1:1
	s_waitcnt lgkmcnt(1)
	v_xor_b32_e32 v149, 0x80000000, v221
	v_xor_b32_e32 v151, 0x80000000, v223
	v_cmp_gt_f64_e32 vcc, 0, v[222:223]
	v_cmp_gt_f64_e64 s[0:1], 0, v[220:221]
	v_mov_b32_e32 v148, v220
	v_mov_b32_e32 v150, v222
	v_cndmask_b32_e64 v149, v221, v149, s[0:1]
	v_cndmask_b32_e32 v151, v223, v151, vcc
	v_add_f64 v[148:149], v[148:149], v[150:151]
	s_waitcnt lgkmcnt(0)
	v_xor_b32_e32 v151, 0x80000000, v237
	v_xor_b32_e32 v227, 0x80000000, v239
	v_cmp_gt_f64_e32 vcc, 0, v[238:239]
	v_cmp_gt_f64_e64 s[0:1], 0, v[236:237]
	v_mov_b32_e32 v150, v236
	v_mov_b32_e32 v226, v238
	v_cndmask_b32_e64 v151, v237, v151, s[0:1]
	v_cndmask_b32_e32 v227, v239, v227, vcc
	v_add_f64 v[150:151], v[150:151], v[226:227]
	v_mov_b32_e32 v228, s16
	s_add_i32 s16, s16, 1
	v_cmp_lt_f64_e32 vcc, v[148:149], v[150:151]
	v_add_u32_e32 v231, 16, v231
	s_cmp_lg_u32 s20, s16
	v_cndmask_b32_e32 v221, v221, v237, vcc
	v_cndmask_b32_e32 v220, v220, v236, vcc
	;; [unrolled: 1-line block ×5, first 2 shown]
	s_cbranch_scc1 .LBB108_946
.LBB108_947:
	s_waitcnt lgkmcnt(0)
	v_cmp_eq_f64_e32 vcc, 0, v[220:221]
	v_cmp_eq_f64_e64 s[0:1], 0, v[222:223]
	s_and_b64 s[0:1], vcc, s[0:1]
	s_and_saveexec_b64 s[16:17], s[0:1]
	s_xor_b64 s[0:1], exec, s[16:17]
; %bb.948:
	v_cmp_ne_u32_e32 vcc, 0, v234
	s_nop 1
	v_cndmask_b32_e32 v234, 46, v234, vcc
; %bb.949:
	s_andn2_saveexec_b64 s[0:1], s[0:1]
	s_cbranch_execz .LBB108_955
; %bb.950:
	v_cmp_ngt_f64_e64 s[16:17], |v[220:221]|, |v[222:223]|
	s_and_saveexec_b64 s[18:19], s[16:17]
	s_xor_b64 s[16:17], exec, s[18:19]
	s_cbranch_execz .LBB108_952
; %bb.951:
	v_div_scale_f64 v[148:149], s[18:19], v[222:223], v[222:223], v[220:221]
	v_rcp_f64_e32 v[150:151], v[148:149]
	v_div_scale_f64 v[226:227], vcc, v[220:221], v[222:223], v[220:221]
	v_fma_f64 v[228:229], -v[148:149], v[150:151], 1.0
	v_fmac_f64_e32 v[150:151], v[150:151], v[228:229]
	v_fma_f64 v[228:229], -v[148:149], v[150:151], 1.0
	v_fmac_f64_e32 v[150:151], v[150:151], v[228:229]
	v_mul_f64 v[228:229], v[226:227], v[150:151]
	v_fma_f64 v[148:149], -v[148:149], v[228:229], v[226:227]
	v_div_fmas_f64 v[148:149], v[148:149], v[150:151], v[228:229]
	v_div_fixup_f64 v[148:149], v[148:149], v[222:223], v[220:221]
	v_fmac_f64_e32 v[222:223], v[220:221], v[148:149]
	v_div_scale_f64 v[150:151], s[18:19], v[222:223], v[222:223], 1.0
	v_rcp_f64_e32 v[220:221], v[150:151]
	s_nop 0
	v_fma_f64 v[226:227], -v[150:151], v[220:221], 1.0
	v_fmac_f64_e32 v[220:221], v[220:221], v[226:227]
	v_fma_f64 v[226:227], -v[150:151], v[220:221], 1.0
	v_fmac_f64_e32 v[220:221], v[220:221], v[226:227]
	v_div_scale_f64 v[226:227], vcc, 1.0, v[222:223], 1.0
	v_mul_f64 v[228:229], v[226:227], v[220:221]
	v_fma_f64 v[150:151], -v[150:151], v[228:229], v[226:227]
	s_nop 1
	v_div_fmas_f64 v[150:151], v[150:151], v[220:221], v[228:229]
	v_div_fixup_f64 v[222:223], v[150:151], v[222:223], 1.0
	v_mul_f64 v[220:221], v[148:149], v[222:223]
	v_xor_b32_e32 v223, 0x80000000, v223
.LBB108_952:
	s_andn2_saveexec_b64 s[16:17], s[16:17]
	s_cbranch_execz .LBB108_954
; %bb.953:
	v_div_scale_f64 v[148:149], s[18:19], v[220:221], v[220:221], v[222:223]
	v_rcp_f64_e32 v[150:151], v[148:149]
	v_div_scale_f64 v[226:227], vcc, v[222:223], v[220:221], v[222:223]
	v_fma_f64 v[228:229], -v[148:149], v[150:151], 1.0
	v_fmac_f64_e32 v[150:151], v[150:151], v[228:229]
	v_fma_f64 v[228:229], -v[148:149], v[150:151], 1.0
	v_fmac_f64_e32 v[150:151], v[150:151], v[228:229]
	v_mul_f64 v[228:229], v[226:227], v[150:151]
	v_fma_f64 v[148:149], -v[148:149], v[228:229], v[226:227]
	v_div_fmas_f64 v[148:149], v[148:149], v[150:151], v[228:229]
	v_div_fixup_f64 v[148:149], v[148:149], v[220:221], v[222:223]
	v_fmac_f64_e32 v[220:221], v[222:223], v[148:149]
	v_div_scale_f64 v[150:151], s[18:19], v[220:221], v[220:221], 1.0
	v_rcp_f64_e32 v[222:223], v[150:151]
	s_nop 0
	v_fma_f64 v[226:227], -v[150:151], v[222:223], 1.0
	v_fmac_f64_e32 v[222:223], v[222:223], v[226:227]
	v_fma_f64 v[226:227], -v[150:151], v[222:223], 1.0
	v_fmac_f64_e32 v[222:223], v[222:223], v[226:227]
	v_div_scale_f64 v[226:227], vcc, 1.0, v[220:221], 1.0
	v_mul_f64 v[228:229], v[226:227], v[222:223]
	v_fma_f64 v[150:151], -v[150:151], v[228:229], v[226:227]
	s_nop 1
	v_div_fmas_f64 v[150:151], v[150:151], v[222:223], v[228:229]
	v_div_fixup_f64 v[220:221], v[150:151], v[220:221], 1.0
	v_mul_f64 v[222:223], v[148:149], -v[220:221]
.LBB108_954:
	s_or_b64 exec, exec, s[16:17]
.LBB108_955:
	s_or_b64 exec, exec, s[0:1]
	v_cmp_ne_u32_e32 vcc, v233, v230
	s_and_saveexec_b64 s[0:1], vcc
	s_xor_b64 s[0:1], exec, s[0:1]
	s_cbranch_execz .LBB108_961
; %bb.956:
	v_cmp_eq_u32_e32 vcc, 45, v233
	s_and_saveexec_b64 s[16:17], vcc
	s_cbranch_execz .LBB108_960
; %bb.957:
	v_cmp_ne_u32_e32 vcc, 45, v230
	s_xor_b64 s[18:19], s[14:15], -1
	s_and_b64 s[22:23], s[18:19], vcc
	s_and_saveexec_b64 s[18:19], s[22:23]
	s_cbranch_execz .LBB108_959
; %bb.958:
	v_ashrrev_i32_e32 v231, 31, v230
	s_waitcnt vmcnt(0)
	v_lshl_add_u64 v[148:149], v[230:231], 2, v[146:147]
	global_load_dword v150, v[148:149], off
	global_load_dword v151, v[146:147], off offset:180
	s_waitcnt vmcnt(1)
	global_store_dword v[146:147], v150, off offset:180
	s_waitcnt vmcnt(1)
	global_store_dword v[148:149], v151, off
.LBB108_959:
	s_or_b64 exec, exec, s[18:19]
	v_mov_b32_e32 v233, v230
	v_mov_b32_e32 v224, v230
.LBB108_960:
	s_or_b64 exec, exec, s[16:17]
.LBB108_961:
	s_andn2_saveexec_b64 s[0:1], s[0:1]
	s_cbranch_execz .LBB108_963
; %bb.962:
	v_mov_b32_e32 v233, 45
	ds_write2_b64 v232, v[28:29], v[30:31] offset0:92 offset1:93
	ds_write2_b64 v232, v[24:25], v[26:27] offset0:94 offset1:95
	;; [unrolled: 1-line block ×9, first 2 shown]
.LBB108_963:
	s_or_b64 exec, exec, s[0:1]
	v_cmp_lt_i32_e32 vcc, 45, v233
	s_waitcnt lgkmcnt(0)
	s_barrier
	s_and_saveexec_b64 s[0:1], vcc
	s_cbranch_execz .LBB108_965
; %bb.964:
	ds_read2_b64 v[236:239], v232 offset0:92 offset1:93
	v_mul_f64 v[148:149], v[220:221], v[34:35]
	v_mul_f64 v[34:35], v[222:223], v[34:35]
	v_fmac_f64_e32 v[148:149], v[222:223], v[32:33]
	v_fma_f64 v[32:33], v[220:221], v[32:33], -v[34:35]
	ds_read2_b64 v[220:223], v232 offset0:94 offset1:95
	s_waitcnt lgkmcnt(1)
	v_mul_f64 v[34:35], v[238:239], v[148:149]
	v_mul_f64 v[150:151], v[236:237], v[148:149]
	v_fma_f64 v[34:35], v[236:237], v[32:33], -v[34:35]
	v_fmac_f64_e32 v[150:151], v[238:239], v[32:33]
	ds_read2_b64 v[236:239], v232 offset0:96 offset1:97
	v_add_f64 v[28:29], v[28:29], -v[34:35]
	v_add_f64 v[30:31], v[30:31], -v[150:151]
	s_waitcnt lgkmcnt(1)
	v_mul_f64 v[34:35], v[222:223], v[148:149]
	v_mul_f64 v[150:151], v[220:221], v[148:149]
	v_fma_f64 v[34:35], v[220:221], v[32:33], -v[34:35]
	v_fmac_f64_e32 v[150:151], v[222:223], v[32:33]
	ds_read2_b64 v[220:223], v232 offset0:98 offset1:99
	v_add_f64 v[24:25], v[24:25], -v[34:35]
	v_add_f64 v[26:27], v[26:27], -v[150:151]
	;; [unrolled: 8-line block ×7, first 2 shown]
	s_waitcnt lgkmcnt(1)
	v_mul_f64 v[34:35], v[222:223], v[148:149]
	v_mul_f64 v[150:151], v[220:221], v[148:149]
	v_fma_f64 v[34:35], v[220:221], v[32:33], -v[34:35]
	v_fmac_f64_e32 v[150:151], v[222:223], v[32:33]
	v_add_f64 v[0:1], v[0:1], -v[34:35]
	v_add_f64 v[2:3], v[2:3], -v[150:151]
	s_waitcnt lgkmcnt(0)
	v_mul_f64 v[34:35], v[238:239], v[148:149]
	v_mul_f64 v[150:151], v[236:237], v[148:149]
	v_fma_f64 v[34:35], v[236:237], v[32:33], -v[34:35]
	v_fmac_f64_e32 v[150:151], v[238:239], v[32:33]
	v_add_f64 v[216:217], v[216:217], -v[34:35]
	v_add_f64 v[218:219], v[218:219], -v[150:151]
	v_mov_b64_e32 v[34:35], v[148:149]
.LBB108_965:
	s_or_b64 exec, exec, s[0:1]
	v_lshl_add_u32 v148, v233, 4, v232
	s_barrier
	ds_write2_b64 v148, v[28:29], v[30:31] offset1:1
	s_waitcnt lgkmcnt(0)
	s_barrier
	ds_read2_b64 v[220:223], v232 offset0:92 offset1:93
	s_cmp_lt_i32 s20, 48
	v_mov_b32_e32 v230, 46
	s_cbranch_scc1 .LBB108_968
; %bb.966:
	v_add_u32_e32 v231, 0x2f0, v232
	s_mov_b32 s16, 47
	v_mov_b32_e32 v230, 46
.LBB108_967:                            ; =>This Inner Loop Header: Depth=1
	ds_read2_b64 v[236:239], v231 offset1:1
	s_waitcnt lgkmcnt(1)
	v_xor_b32_e32 v149, 0x80000000, v221
	v_xor_b32_e32 v151, 0x80000000, v223
	v_cmp_gt_f64_e32 vcc, 0, v[222:223]
	v_cmp_gt_f64_e64 s[0:1], 0, v[220:221]
	v_mov_b32_e32 v148, v220
	v_mov_b32_e32 v150, v222
	v_cndmask_b32_e64 v149, v221, v149, s[0:1]
	v_cndmask_b32_e32 v151, v223, v151, vcc
	v_add_f64 v[148:149], v[148:149], v[150:151]
	s_waitcnt lgkmcnt(0)
	v_xor_b32_e32 v151, 0x80000000, v237
	v_xor_b32_e32 v227, 0x80000000, v239
	v_cmp_gt_f64_e32 vcc, 0, v[238:239]
	v_cmp_gt_f64_e64 s[0:1], 0, v[236:237]
	v_mov_b32_e32 v150, v236
	v_mov_b32_e32 v226, v238
	v_cndmask_b32_e64 v151, v237, v151, s[0:1]
	v_cndmask_b32_e32 v227, v239, v227, vcc
	v_add_f64 v[150:151], v[150:151], v[226:227]
	v_mov_b32_e32 v228, s16
	s_add_i32 s16, s16, 1
	v_cmp_lt_f64_e32 vcc, v[148:149], v[150:151]
	v_add_u32_e32 v231, 16, v231
	s_cmp_lg_u32 s20, s16
	v_cndmask_b32_e32 v221, v221, v237, vcc
	v_cndmask_b32_e32 v220, v220, v236, vcc
	;; [unrolled: 1-line block ×5, first 2 shown]
	s_cbranch_scc1 .LBB108_967
.LBB108_968:
	s_waitcnt lgkmcnt(0)
	v_cmp_eq_f64_e32 vcc, 0, v[220:221]
	v_cmp_eq_f64_e64 s[0:1], 0, v[222:223]
	s_and_b64 s[0:1], vcc, s[0:1]
	s_and_saveexec_b64 s[16:17], s[0:1]
	s_xor_b64 s[0:1], exec, s[16:17]
; %bb.969:
	v_cmp_ne_u32_e32 vcc, 0, v234
	s_nop 1
	v_cndmask_b32_e32 v234, 47, v234, vcc
; %bb.970:
	s_andn2_saveexec_b64 s[0:1], s[0:1]
	s_cbranch_execz .LBB108_976
; %bb.971:
	v_cmp_ngt_f64_e64 s[16:17], |v[220:221]|, |v[222:223]|
	s_and_saveexec_b64 s[18:19], s[16:17]
	s_xor_b64 s[16:17], exec, s[18:19]
	s_cbranch_execz .LBB108_973
; %bb.972:
	v_div_scale_f64 v[148:149], s[18:19], v[222:223], v[222:223], v[220:221]
	v_rcp_f64_e32 v[150:151], v[148:149]
	v_div_scale_f64 v[226:227], vcc, v[220:221], v[222:223], v[220:221]
	v_fma_f64 v[228:229], -v[148:149], v[150:151], 1.0
	v_fmac_f64_e32 v[150:151], v[150:151], v[228:229]
	v_fma_f64 v[228:229], -v[148:149], v[150:151], 1.0
	v_fmac_f64_e32 v[150:151], v[150:151], v[228:229]
	v_mul_f64 v[228:229], v[226:227], v[150:151]
	v_fma_f64 v[148:149], -v[148:149], v[228:229], v[226:227]
	v_div_fmas_f64 v[148:149], v[148:149], v[150:151], v[228:229]
	v_div_fixup_f64 v[148:149], v[148:149], v[222:223], v[220:221]
	v_fmac_f64_e32 v[222:223], v[220:221], v[148:149]
	v_div_scale_f64 v[150:151], s[18:19], v[222:223], v[222:223], 1.0
	v_rcp_f64_e32 v[220:221], v[150:151]
	s_nop 0
	v_fma_f64 v[226:227], -v[150:151], v[220:221], 1.0
	v_fmac_f64_e32 v[220:221], v[220:221], v[226:227]
	v_fma_f64 v[226:227], -v[150:151], v[220:221], 1.0
	v_fmac_f64_e32 v[220:221], v[220:221], v[226:227]
	v_div_scale_f64 v[226:227], vcc, 1.0, v[222:223], 1.0
	v_mul_f64 v[228:229], v[226:227], v[220:221]
	v_fma_f64 v[150:151], -v[150:151], v[228:229], v[226:227]
	s_nop 1
	v_div_fmas_f64 v[150:151], v[150:151], v[220:221], v[228:229]
	v_div_fixup_f64 v[222:223], v[150:151], v[222:223], 1.0
	v_mul_f64 v[220:221], v[148:149], v[222:223]
	v_xor_b32_e32 v223, 0x80000000, v223
.LBB108_973:
	s_andn2_saveexec_b64 s[16:17], s[16:17]
	s_cbranch_execz .LBB108_975
; %bb.974:
	v_div_scale_f64 v[148:149], s[18:19], v[220:221], v[220:221], v[222:223]
	v_rcp_f64_e32 v[150:151], v[148:149]
	v_div_scale_f64 v[226:227], vcc, v[222:223], v[220:221], v[222:223]
	v_fma_f64 v[228:229], -v[148:149], v[150:151], 1.0
	v_fmac_f64_e32 v[150:151], v[150:151], v[228:229]
	v_fma_f64 v[228:229], -v[148:149], v[150:151], 1.0
	v_fmac_f64_e32 v[150:151], v[150:151], v[228:229]
	v_mul_f64 v[228:229], v[226:227], v[150:151]
	v_fma_f64 v[148:149], -v[148:149], v[228:229], v[226:227]
	v_div_fmas_f64 v[148:149], v[148:149], v[150:151], v[228:229]
	v_div_fixup_f64 v[148:149], v[148:149], v[220:221], v[222:223]
	v_fmac_f64_e32 v[220:221], v[222:223], v[148:149]
	v_div_scale_f64 v[150:151], s[18:19], v[220:221], v[220:221], 1.0
	v_rcp_f64_e32 v[222:223], v[150:151]
	s_nop 0
	v_fma_f64 v[226:227], -v[150:151], v[222:223], 1.0
	v_fmac_f64_e32 v[222:223], v[222:223], v[226:227]
	v_fma_f64 v[226:227], -v[150:151], v[222:223], 1.0
	v_fmac_f64_e32 v[222:223], v[222:223], v[226:227]
	v_div_scale_f64 v[226:227], vcc, 1.0, v[220:221], 1.0
	v_mul_f64 v[228:229], v[226:227], v[222:223]
	v_fma_f64 v[150:151], -v[150:151], v[228:229], v[226:227]
	s_nop 1
	v_div_fmas_f64 v[150:151], v[150:151], v[222:223], v[228:229]
	v_div_fixup_f64 v[220:221], v[150:151], v[220:221], 1.0
	v_mul_f64 v[222:223], v[148:149], -v[220:221]
.LBB108_975:
	s_or_b64 exec, exec, s[16:17]
.LBB108_976:
	s_or_b64 exec, exec, s[0:1]
	v_cmp_ne_u32_e32 vcc, v233, v230
	s_and_saveexec_b64 s[0:1], vcc
	s_xor_b64 s[0:1], exec, s[0:1]
	s_cbranch_execz .LBB108_982
; %bb.977:
	v_cmp_eq_u32_e32 vcc, 46, v233
	s_and_saveexec_b64 s[16:17], vcc
	s_cbranch_execz .LBB108_981
; %bb.978:
	v_cmp_ne_u32_e32 vcc, 46, v230
	s_xor_b64 s[18:19], s[14:15], -1
	s_and_b64 s[22:23], s[18:19], vcc
	s_and_saveexec_b64 s[18:19], s[22:23]
	s_cbranch_execz .LBB108_980
; %bb.979:
	v_ashrrev_i32_e32 v231, 31, v230
	s_waitcnt vmcnt(0)
	v_lshl_add_u64 v[148:149], v[230:231], 2, v[146:147]
	global_load_dword v150, v[148:149], off
	global_load_dword v151, v[146:147], off offset:184
	s_waitcnt vmcnt(1)
	global_store_dword v[146:147], v150, off offset:184
	s_waitcnt vmcnt(1)
	global_store_dword v[148:149], v151, off
.LBB108_980:
	s_or_b64 exec, exec, s[18:19]
	v_mov_b32_e32 v233, v230
	v_mov_b32_e32 v224, v230
.LBB108_981:
	s_or_b64 exec, exec, s[16:17]
.LBB108_982:
	s_andn2_saveexec_b64 s[0:1], s[0:1]
	s_cbranch_execz .LBB108_984
; %bb.983:
	v_mov_b32_e32 v233, 46
	ds_write2_b64 v232, v[24:25], v[26:27] offset0:94 offset1:95
	ds_write2_b64 v232, v[20:21], v[22:23] offset0:96 offset1:97
	;; [unrolled: 1-line block ×8, first 2 shown]
.LBB108_984:
	s_or_b64 exec, exec, s[0:1]
	v_cmp_lt_i32_e32 vcc, 46, v233
	s_waitcnt lgkmcnt(0)
	s_barrier
	s_and_saveexec_b64 s[0:1], vcc
	s_cbranch_execz .LBB108_986
; %bb.985:
	ds_read2_b64 v[236:239], v232 offset0:94 offset1:95
	v_mul_f64 v[148:149], v[220:221], v[30:31]
	v_mul_f64 v[30:31], v[222:223], v[30:31]
	v_fmac_f64_e32 v[148:149], v[222:223], v[28:29]
	v_fma_f64 v[28:29], v[220:221], v[28:29], -v[30:31]
	ds_read2_b64 v[220:223], v232 offset0:96 offset1:97
	s_waitcnt lgkmcnt(1)
	v_mul_f64 v[30:31], v[238:239], v[148:149]
	v_mul_f64 v[150:151], v[236:237], v[148:149]
	v_fma_f64 v[30:31], v[236:237], v[28:29], -v[30:31]
	v_fmac_f64_e32 v[150:151], v[238:239], v[28:29]
	ds_read2_b64 v[236:239], v232 offset0:98 offset1:99
	v_add_f64 v[24:25], v[24:25], -v[30:31]
	v_add_f64 v[26:27], v[26:27], -v[150:151]
	s_waitcnt lgkmcnt(1)
	v_mul_f64 v[30:31], v[222:223], v[148:149]
	v_mul_f64 v[150:151], v[220:221], v[148:149]
	v_fma_f64 v[30:31], v[220:221], v[28:29], -v[30:31]
	v_fmac_f64_e32 v[150:151], v[222:223], v[28:29]
	ds_read2_b64 v[220:223], v232 offset0:100 offset1:101
	v_add_f64 v[20:21], v[20:21], -v[30:31]
	v_add_f64 v[22:23], v[22:23], -v[150:151]
	;; [unrolled: 8-line block ×6, first 2 shown]
	s_waitcnt lgkmcnt(1)
	v_mul_f64 v[30:31], v[238:239], v[148:149]
	v_mul_f64 v[150:151], v[236:237], v[148:149]
	v_fma_f64 v[30:31], v[236:237], v[28:29], -v[30:31]
	v_fmac_f64_e32 v[150:151], v[238:239], v[28:29]
	v_add_f64 v[0:1], v[0:1], -v[30:31]
	v_add_f64 v[2:3], v[2:3], -v[150:151]
	s_waitcnt lgkmcnt(0)
	v_mul_f64 v[30:31], v[222:223], v[148:149]
	v_mul_f64 v[150:151], v[220:221], v[148:149]
	v_fma_f64 v[30:31], v[220:221], v[28:29], -v[30:31]
	v_fmac_f64_e32 v[150:151], v[222:223], v[28:29]
	v_add_f64 v[216:217], v[216:217], -v[30:31]
	v_add_f64 v[218:219], v[218:219], -v[150:151]
	v_mov_b64_e32 v[30:31], v[148:149]
.LBB108_986:
	s_or_b64 exec, exec, s[0:1]
	v_lshl_add_u32 v148, v233, 4, v232
	s_barrier
	ds_write2_b64 v148, v[24:25], v[26:27] offset1:1
	s_waitcnt lgkmcnt(0)
	s_barrier
	ds_read2_b64 v[220:223], v232 offset0:94 offset1:95
	s_cmp_lt_i32 s20, 49
	v_mov_b32_e32 v230, 47
	s_cbranch_scc1 .LBB108_989
; %bb.987:
	v_add_u32_e32 v231, 0x300, v232
	s_mov_b32 s16, 48
	v_mov_b32_e32 v230, 47
.LBB108_988:                            ; =>This Inner Loop Header: Depth=1
	ds_read2_b64 v[236:239], v231 offset1:1
	s_waitcnt lgkmcnt(1)
	v_xor_b32_e32 v149, 0x80000000, v221
	v_xor_b32_e32 v151, 0x80000000, v223
	v_cmp_gt_f64_e32 vcc, 0, v[222:223]
	v_cmp_gt_f64_e64 s[0:1], 0, v[220:221]
	v_mov_b32_e32 v148, v220
	v_mov_b32_e32 v150, v222
	v_cndmask_b32_e64 v149, v221, v149, s[0:1]
	v_cndmask_b32_e32 v151, v223, v151, vcc
	v_add_f64 v[148:149], v[148:149], v[150:151]
	s_waitcnt lgkmcnt(0)
	v_xor_b32_e32 v151, 0x80000000, v237
	v_xor_b32_e32 v227, 0x80000000, v239
	v_cmp_gt_f64_e32 vcc, 0, v[238:239]
	v_cmp_gt_f64_e64 s[0:1], 0, v[236:237]
	v_mov_b32_e32 v150, v236
	v_mov_b32_e32 v226, v238
	v_cndmask_b32_e64 v151, v237, v151, s[0:1]
	v_cndmask_b32_e32 v227, v239, v227, vcc
	v_add_f64 v[150:151], v[150:151], v[226:227]
	v_mov_b32_e32 v228, s16
	s_add_i32 s16, s16, 1
	v_cmp_lt_f64_e32 vcc, v[148:149], v[150:151]
	v_add_u32_e32 v231, 16, v231
	s_cmp_lg_u32 s20, s16
	v_cndmask_b32_e32 v221, v221, v237, vcc
	v_cndmask_b32_e32 v220, v220, v236, vcc
	;; [unrolled: 1-line block ×5, first 2 shown]
	s_cbranch_scc1 .LBB108_988
.LBB108_989:
	s_waitcnt lgkmcnt(0)
	v_cmp_eq_f64_e32 vcc, 0, v[220:221]
	v_cmp_eq_f64_e64 s[0:1], 0, v[222:223]
	s_and_b64 s[0:1], vcc, s[0:1]
	s_and_saveexec_b64 s[16:17], s[0:1]
	s_xor_b64 s[0:1], exec, s[16:17]
; %bb.990:
	v_cmp_ne_u32_e32 vcc, 0, v234
	s_nop 1
	v_cndmask_b32_e32 v234, 48, v234, vcc
; %bb.991:
	s_andn2_saveexec_b64 s[0:1], s[0:1]
	s_cbranch_execz .LBB108_997
; %bb.992:
	v_cmp_ngt_f64_e64 s[16:17], |v[220:221]|, |v[222:223]|
	s_and_saveexec_b64 s[18:19], s[16:17]
	s_xor_b64 s[16:17], exec, s[18:19]
	s_cbranch_execz .LBB108_994
; %bb.993:
	v_div_scale_f64 v[148:149], s[18:19], v[222:223], v[222:223], v[220:221]
	v_rcp_f64_e32 v[150:151], v[148:149]
	v_div_scale_f64 v[226:227], vcc, v[220:221], v[222:223], v[220:221]
	v_fma_f64 v[228:229], -v[148:149], v[150:151], 1.0
	v_fmac_f64_e32 v[150:151], v[150:151], v[228:229]
	v_fma_f64 v[228:229], -v[148:149], v[150:151], 1.0
	v_fmac_f64_e32 v[150:151], v[150:151], v[228:229]
	v_mul_f64 v[228:229], v[226:227], v[150:151]
	v_fma_f64 v[148:149], -v[148:149], v[228:229], v[226:227]
	v_div_fmas_f64 v[148:149], v[148:149], v[150:151], v[228:229]
	v_div_fixup_f64 v[148:149], v[148:149], v[222:223], v[220:221]
	v_fmac_f64_e32 v[222:223], v[220:221], v[148:149]
	v_div_scale_f64 v[150:151], s[18:19], v[222:223], v[222:223], 1.0
	v_rcp_f64_e32 v[220:221], v[150:151]
	s_nop 0
	v_fma_f64 v[226:227], -v[150:151], v[220:221], 1.0
	v_fmac_f64_e32 v[220:221], v[220:221], v[226:227]
	v_fma_f64 v[226:227], -v[150:151], v[220:221], 1.0
	v_fmac_f64_e32 v[220:221], v[220:221], v[226:227]
	v_div_scale_f64 v[226:227], vcc, 1.0, v[222:223], 1.0
	v_mul_f64 v[228:229], v[226:227], v[220:221]
	v_fma_f64 v[150:151], -v[150:151], v[228:229], v[226:227]
	s_nop 1
	v_div_fmas_f64 v[150:151], v[150:151], v[220:221], v[228:229]
	v_div_fixup_f64 v[222:223], v[150:151], v[222:223], 1.0
	v_mul_f64 v[220:221], v[148:149], v[222:223]
	v_xor_b32_e32 v223, 0x80000000, v223
.LBB108_994:
	s_andn2_saveexec_b64 s[16:17], s[16:17]
	s_cbranch_execz .LBB108_996
; %bb.995:
	v_div_scale_f64 v[148:149], s[18:19], v[220:221], v[220:221], v[222:223]
	v_rcp_f64_e32 v[150:151], v[148:149]
	v_div_scale_f64 v[226:227], vcc, v[222:223], v[220:221], v[222:223]
	v_fma_f64 v[228:229], -v[148:149], v[150:151], 1.0
	v_fmac_f64_e32 v[150:151], v[150:151], v[228:229]
	v_fma_f64 v[228:229], -v[148:149], v[150:151], 1.0
	v_fmac_f64_e32 v[150:151], v[150:151], v[228:229]
	v_mul_f64 v[228:229], v[226:227], v[150:151]
	v_fma_f64 v[148:149], -v[148:149], v[228:229], v[226:227]
	v_div_fmas_f64 v[148:149], v[148:149], v[150:151], v[228:229]
	v_div_fixup_f64 v[148:149], v[148:149], v[220:221], v[222:223]
	v_fmac_f64_e32 v[220:221], v[222:223], v[148:149]
	v_div_scale_f64 v[150:151], s[18:19], v[220:221], v[220:221], 1.0
	v_rcp_f64_e32 v[222:223], v[150:151]
	s_nop 0
	v_fma_f64 v[226:227], -v[150:151], v[222:223], 1.0
	v_fmac_f64_e32 v[222:223], v[222:223], v[226:227]
	v_fma_f64 v[226:227], -v[150:151], v[222:223], 1.0
	v_fmac_f64_e32 v[222:223], v[222:223], v[226:227]
	v_div_scale_f64 v[226:227], vcc, 1.0, v[220:221], 1.0
	v_mul_f64 v[228:229], v[226:227], v[222:223]
	v_fma_f64 v[150:151], -v[150:151], v[228:229], v[226:227]
	s_nop 1
	v_div_fmas_f64 v[150:151], v[150:151], v[222:223], v[228:229]
	v_div_fixup_f64 v[220:221], v[150:151], v[220:221], 1.0
	v_mul_f64 v[222:223], v[148:149], -v[220:221]
.LBB108_996:
	s_or_b64 exec, exec, s[16:17]
.LBB108_997:
	s_or_b64 exec, exec, s[0:1]
	v_cmp_ne_u32_e32 vcc, v233, v230
	s_and_saveexec_b64 s[0:1], vcc
	s_xor_b64 s[0:1], exec, s[0:1]
	s_cbranch_execz .LBB108_1003
; %bb.998:
	v_cmp_eq_u32_e32 vcc, 47, v233
	s_and_saveexec_b64 s[16:17], vcc
	s_cbranch_execz .LBB108_1002
; %bb.999:
	v_cmp_ne_u32_e32 vcc, 47, v230
	s_xor_b64 s[18:19], s[14:15], -1
	s_and_b64 s[22:23], s[18:19], vcc
	s_and_saveexec_b64 s[18:19], s[22:23]
	s_cbranch_execz .LBB108_1001
; %bb.1000:
	v_ashrrev_i32_e32 v231, 31, v230
	s_waitcnt vmcnt(0)
	v_lshl_add_u64 v[148:149], v[230:231], 2, v[146:147]
	global_load_dword v150, v[148:149], off
	global_load_dword v151, v[146:147], off offset:188
	s_waitcnt vmcnt(1)
	global_store_dword v[146:147], v150, off offset:188
	s_waitcnt vmcnt(1)
	global_store_dword v[148:149], v151, off
.LBB108_1001:
	s_or_b64 exec, exec, s[18:19]
	v_mov_b32_e32 v233, v230
	v_mov_b32_e32 v224, v230
.LBB108_1002:
	s_or_b64 exec, exec, s[16:17]
.LBB108_1003:
	s_andn2_saveexec_b64 s[0:1], s[0:1]
	s_cbranch_execz .LBB108_1005
; %bb.1004:
	v_mov_b32_e32 v233, 47
	ds_write2_b64 v232, v[20:21], v[22:23] offset0:96 offset1:97
	ds_write2_b64 v232, v[16:17], v[18:19] offset0:98 offset1:99
	;; [unrolled: 1-line block ×7, first 2 shown]
.LBB108_1005:
	s_or_b64 exec, exec, s[0:1]
	v_cmp_lt_i32_e32 vcc, 47, v233
	s_waitcnt lgkmcnt(0)
	s_barrier
	s_and_saveexec_b64 s[0:1], vcc
	s_cbranch_execz .LBB108_1007
; %bb.1006:
	ds_read2_b64 v[236:239], v232 offset0:96 offset1:97
	v_mul_f64 v[148:149], v[220:221], v[26:27]
	v_mul_f64 v[26:27], v[222:223], v[26:27]
	v_fmac_f64_e32 v[148:149], v[222:223], v[24:25]
	v_fma_f64 v[24:25], v[220:221], v[24:25], -v[26:27]
	ds_read2_b64 v[220:223], v232 offset0:98 offset1:99
	s_waitcnt lgkmcnt(1)
	v_mul_f64 v[26:27], v[238:239], v[148:149]
	v_mul_f64 v[150:151], v[236:237], v[148:149]
	v_fma_f64 v[26:27], v[236:237], v[24:25], -v[26:27]
	v_fmac_f64_e32 v[150:151], v[238:239], v[24:25]
	ds_read2_b64 v[236:239], v232 offset0:100 offset1:101
	v_add_f64 v[20:21], v[20:21], -v[26:27]
	v_add_f64 v[22:23], v[22:23], -v[150:151]
	s_waitcnt lgkmcnt(1)
	v_mul_f64 v[26:27], v[222:223], v[148:149]
	v_mul_f64 v[150:151], v[220:221], v[148:149]
	v_fma_f64 v[26:27], v[220:221], v[24:25], -v[26:27]
	v_fmac_f64_e32 v[150:151], v[222:223], v[24:25]
	ds_read2_b64 v[220:223], v232 offset0:102 offset1:103
	v_add_f64 v[16:17], v[16:17], -v[26:27]
	v_add_f64 v[18:19], v[18:19], -v[150:151]
	;; [unrolled: 8-line block ×5, first 2 shown]
	s_waitcnt lgkmcnt(1)
	v_mul_f64 v[26:27], v[222:223], v[148:149]
	v_mul_f64 v[150:151], v[220:221], v[148:149]
	v_fma_f64 v[26:27], v[220:221], v[24:25], -v[26:27]
	v_fmac_f64_e32 v[150:151], v[222:223], v[24:25]
	v_add_f64 v[0:1], v[0:1], -v[26:27]
	v_add_f64 v[2:3], v[2:3], -v[150:151]
	s_waitcnt lgkmcnt(0)
	v_mul_f64 v[26:27], v[238:239], v[148:149]
	v_mul_f64 v[150:151], v[236:237], v[148:149]
	v_fma_f64 v[26:27], v[236:237], v[24:25], -v[26:27]
	v_fmac_f64_e32 v[150:151], v[238:239], v[24:25]
	v_add_f64 v[216:217], v[216:217], -v[26:27]
	v_add_f64 v[218:219], v[218:219], -v[150:151]
	v_mov_b64_e32 v[26:27], v[148:149]
.LBB108_1007:
	s_or_b64 exec, exec, s[0:1]
	v_lshl_add_u32 v148, v233, 4, v232
	s_barrier
	ds_write2_b64 v148, v[20:21], v[22:23] offset1:1
	s_waitcnt lgkmcnt(0)
	s_barrier
	ds_read2_b64 v[220:223], v232 offset0:96 offset1:97
	s_cmp_lt_i32 s20, 50
	v_mov_b32_e32 v230, 48
	s_cbranch_scc1 .LBB108_1010
; %bb.1008:
	v_add_u32_e32 v231, 0x310, v232
	s_mov_b32 s16, 49
	v_mov_b32_e32 v230, 48
.LBB108_1009:                           ; =>This Inner Loop Header: Depth=1
	ds_read2_b64 v[236:239], v231 offset1:1
	s_waitcnt lgkmcnt(1)
	v_xor_b32_e32 v149, 0x80000000, v221
	v_xor_b32_e32 v151, 0x80000000, v223
	v_cmp_gt_f64_e32 vcc, 0, v[222:223]
	v_cmp_gt_f64_e64 s[0:1], 0, v[220:221]
	v_mov_b32_e32 v148, v220
	v_mov_b32_e32 v150, v222
	v_cndmask_b32_e64 v149, v221, v149, s[0:1]
	v_cndmask_b32_e32 v151, v223, v151, vcc
	v_add_f64 v[148:149], v[148:149], v[150:151]
	s_waitcnt lgkmcnt(0)
	v_xor_b32_e32 v151, 0x80000000, v237
	v_xor_b32_e32 v227, 0x80000000, v239
	v_cmp_gt_f64_e32 vcc, 0, v[238:239]
	v_cmp_gt_f64_e64 s[0:1], 0, v[236:237]
	v_mov_b32_e32 v150, v236
	v_mov_b32_e32 v226, v238
	v_cndmask_b32_e64 v151, v237, v151, s[0:1]
	v_cndmask_b32_e32 v227, v239, v227, vcc
	v_add_f64 v[150:151], v[150:151], v[226:227]
	v_mov_b32_e32 v228, s16
	s_add_i32 s16, s16, 1
	v_cmp_lt_f64_e32 vcc, v[148:149], v[150:151]
	v_add_u32_e32 v231, 16, v231
	s_cmp_lg_u32 s20, s16
	v_cndmask_b32_e32 v221, v221, v237, vcc
	v_cndmask_b32_e32 v220, v220, v236, vcc
	;; [unrolled: 1-line block ×5, first 2 shown]
	s_cbranch_scc1 .LBB108_1009
.LBB108_1010:
	s_waitcnt lgkmcnt(0)
	v_cmp_eq_f64_e32 vcc, 0, v[220:221]
	v_cmp_eq_f64_e64 s[0:1], 0, v[222:223]
	s_and_b64 s[0:1], vcc, s[0:1]
	s_and_saveexec_b64 s[16:17], s[0:1]
	s_xor_b64 s[0:1], exec, s[16:17]
; %bb.1011:
	v_cmp_ne_u32_e32 vcc, 0, v234
	s_nop 1
	v_cndmask_b32_e32 v234, 49, v234, vcc
; %bb.1012:
	s_andn2_saveexec_b64 s[0:1], s[0:1]
	s_cbranch_execz .LBB108_1018
; %bb.1013:
	v_cmp_ngt_f64_e64 s[16:17], |v[220:221]|, |v[222:223]|
	s_and_saveexec_b64 s[18:19], s[16:17]
	s_xor_b64 s[16:17], exec, s[18:19]
	s_cbranch_execz .LBB108_1015
; %bb.1014:
	v_div_scale_f64 v[148:149], s[18:19], v[222:223], v[222:223], v[220:221]
	v_rcp_f64_e32 v[150:151], v[148:149]
	v_div_scale_f64 v[226:227], vcc, v[220:221], v[222:223], v[220:221]
	v_fma_f64 v[228:229], -v[148:149], v[150:151], 1.0
	v_fmac_f64_e32 v[150:151], v[150:151], v[228:229]
	v_fma_f64 v[228:229], -v[148:149], v[150:151], 1.0
	v_fmac_f64_e32 v[150:151], v[150:151], v[228:229]
	v_mul_f64 v[228:229], v[226:227], v[150:151]
	v_fma_f64 v[148:149], -v[148:149], v[228:229], v[226:227]
	v_div_fmas_f64 v[148:149], v[148:149], v[150:151], v[228:229]
	v_div_fixup_f64 v[148:149], v[148:149], v[222:223], v[220:221]
	v_fmac_f64_e32 v[222:223], v[220:221], v[148:149]
	v_div_scale_f64 v[150:151], s[18:19], v[222:223], v[222:223], 1.0
	v_rcp_f64_e32 v[220:221], v[150:151]
	s_nop 0
	v_fma_f64 v[226:227], -v[150:151], v[220:221], 1.0
	v_fmac_f64_e32 v[220:221], v[220:221], v[226:227]
	v_fma_f64 v[226:227], -v[150:151], v[220:221], 1.0
	v_fmac_f64_e32 v[220:221], v[220:221], v[226:227]
	v_div_scale_f64 v[226:227], vcc, 1.0, v[222:223], 1.0
	v_mul_f64 v[228:229], v[226:227], v[220:221]
	v_fma_f64 v[150:151], -v[150:151], v[228:229], v[226:227]
	s_nop 1
	v_div_fmas_f64 v[150:151], v[150:151], v[220:221], v[228:229]
	v_div_fixup_f64 v[222:223], v[150:151], v[222:223], 1.0
	v_mul_f64 v[220:221], v[148:149], v[222:223]
	v_xor_b32_e32 v223, 0x80000000, v223
.LBB108_1015:
	s_andn2_saveexec_b64 s[16:17], s[16:17]
	s_cbranch_execz .LBB108_1017
; %bb.1016:
	v_div_scale_f64 v[148:149], s[18:19], v[220:221], v[220:221], v[222:223]
	v_rcp_f64_e32 v[150:151], v[148:149]
	v_div_scale_f64 v[226:227], vcc, v[222:223], v[220:221], v[222:223]
	v_fma_f64 v[228:229], -v[148:149], v[150:151], 1.0
	v_fmac_f64_e32 v[150:151], v[150:151], v[228:229]
	v_fma_f64 v[228:229], -v[148:149], v[150:151], 1.0
	v_fmac_f64_e32 v[150:151], v[150:151], v[228:229]
	v_mul_f64 v[228:229], v[226:227], v[150:151]
	v_fma_f64 v[148:149], -v[148:149], v[228:229], v[226:227]
	v_div_fmas_f64 v[148:149], v[148:149], v[150:151], v[228:229]
	v_div_fixup_f64 v[148:149], v[148:149], v[220:221], v[222:223]
	v_fmac_f64_e32 v[220:221], v[222:223], v[148:149]
	v_div_scale_f64 v[150:151], s[18:19], v[220:221], v[220:221], 1.0
	v_rcp_f64_e32 v[222:223], v[150:151]
	s_nop 0
	v_fma_f64 v[226:227], -v[150:151], v[222:223], 1.0
	v_fmac_f64_e32 v[222:223], v[222:223], v[226:227]
	v_fma_f64 v[226:227], -v[150:151], v[222:223], 1.0
	v_fmac_f64_e32 v[222:223], v[222:223], v[226:227]
	v_div_scale_f64 v[226:227], vcc, 1.0, v[220:221], 1.0
	v_mul_f64 v[228:229], v[226:227], v[222:223]
	v_fma_f64 v[150:151], -v[150:151], v[228:229], v[226:227]
	s_nop 1
	v_div_fmas_f64 v[150:151], v[150:151], v[222:223], v[228:229]
	v_div_fixup_f64 v[220:221], v[150:151], v[220:221], 1.0
	v_mul_f64 v[222:223], v[148:149], -v[220:221]
.LBB108_1017:
	s_or_b64 exec, exec, s[16:17]
.LBB108_1018:
	s_or_b64 exec, exec, s[0:1]
	v_cmp_ne_u32_e32 vcc, v233, v230
	s_and_saveexec_b64 s[0:1], vcc
	s_xor_b64 s[0:1], exec, s[0:1]
	s_cbranch_execz .LBB108_1024
; %bb.1019:
	v_cmp_eq_u32_e32 vcc, 48, v233
	s_and_saveexec_b64 s[16:17], vcc
	s_cbranch_execz .LBB108_1023
; %bb.1020:
	v_cmp_ne_u32_e32 vcc, 48, v230
	s_xor_b64 s[18:19], s[14:15], -1
	s_and_b64 s[22:23], s[18:19], vcc
	s_and_saveexec_b64 s[18:19], s[22:23]
	s_cbranch_execz .LBB108_1022
; %bb.1021:
	v_ashrrev_i32_e32 v231, 31, v230
	s_waitcnt vmcnt(0)
	v_lshl_add_u64 v[148:149], v[230:231], 2, v[146:147]
	global_load_dword v150, v[148:149], off
	global_load_dword v151, v[146:147], off offset:192
	s_waitcnt vmcnt(1)
	global_store_dword v[146:147], v150, off offset:192
	s_waitcnt vmcnt(1)
	global_store_dword v[148:149], v151, off
.LBB108_1022:
	s_or_b64 exec, exec, s[18:19]
	v_mov_b32_e32 v233, v230
	v_mov_b32_e32 v224, v230
.LBB108_1023:
	s_or_b64 exec, exec, s[16:17]
.LBB108_1024:
	s_andn2_saveexec_b64 s[0:1], s[0:1]
	s_cbranch_execz .LBB108_1026
; %bb.1025:
	v_mov_b32_e32 v233, 48
	ds_write2_b64 v232, v[16:17], v[18:19] offset0:98 offset1:99
	ds_write2_b64 v232, v[12:13], v[14:15] offset0:100 offset1:101
	;; [unrolled: 1-line block ×6, first 2 shown]
.LBB108_1026:
	s_or_b64 exec, exec, s[0:1]
	v_cmp_lt_i32_e32 vcc, 48, v233
	s_waitcnt lgkmcnt(0)
	s_barrier
	s_and_saveexec_b64 s[0:1], vcc
	s_cbranch_execz .LBB108_1028
; %bb.1027:
	ds_read2_b64 v[236:239], v232 offset0:98 offset1:99
	v_mul_f64 v[148:149], v[220:221], v[22:23]
	v_mul_f64 v[22:23], v[222:223], v[22:23]
	v_fmac_f64_e32 v[148:149], v[222:223], v[20:21]
	v_fma_f64 v[20:21], v[220:221], v[20:21], -v[22:23]
	ds_read2_b64 v[220:223], v232 offset0:100 offset1:101
	s_waitcnt lgkmcnt(1)
	v_mul_f64 v[22:23], v[238:239], v[148:149]
	v_mul_f64 v[150:151], v[236:237], v[148:149]
	v_fma_f64 v[22:23], v[236:237], v[20:21], -v[22:23]
	v_fmac_f64_e32 v[150:151], v[238:239], v[20:21]
	ds_read2_b64 v[236:239], v232 offset0:102 offset1:103
	v_add_f64 v[16:17], v[16:17], -v[22:23]
	v_add_f64 v[18:19], v[18:19], -v[150:151]
	s_waitcnt lgkmcnt(1)
	v_mul_f64 v[22:23], v[222:223], v[148:149]
	v_mul_f64 v[150:151], v[220:221], v[148:149]
	v_fma_f64 v[22:23], v[220:221], v[20:21], -v[22:23]
	v_fmac_f64_e32 v[150:151], v[222:223], v[20:21]
	ds_read2_b64 v[220:223], v232 offset0:104 offset1:105
	v_add_f64 v[12:13], v[12:13], -v[22:23]
	v_add_f64 v[14:15], v[14:15], -v[150:151]
	;; [unrolled: 8-line block ×4, first 2 shown]
	s_waitcnt lgkmcnt(1)
	v_mul_f64 v[22:23], v[238:239], v[148:149]
	v_mul_f64 v[150:151], v[236:237], v[148:149]
	v_fma_f64 v[22:23], v[236:237], v[20:21], -v[22:23]
	v_fmac_f64_e32 v[150:151], v[238:239], v[20:21]
	v_add_f64 v[0:1], v[0:1], -v[22:23]
	v_add_f64 v[2:3], v[2:3], -v[150:151]
	s_waitcnt lgkmcnt(0)
	v_mul_f64 v[22:23], v[222:223], v[148:149]
	v_mul_f64 v[150:151], v[220:221], v[148:149]
	v_fma_f64 v[22:23], v[220:221], v[20:21], -v[22:23]
	v_fmac_f64_e32 v[150:151], v[222:223], v[20:21]
	v_add_f64 v[216:217], v[216:217], -v[22:23]
	v_add_f64 v[218:219], v[218:219], -v[150:151]
	v_mov_b64_e32 v[22:23], v[148:149]
.LBB108_1028:
	s_or_b64 exec, exec, s[0:1]
	v_lshl_add_u32 v148, v233, 4, v232
	s_barrier
	ds_write2_b64 v148, v[16:17], v[18:19] offset1:1
	s_waitcnt lgkmcnt(0)
	s_barrier
	ds_read2_b64 v[220:223], v232 offset0:98 offset1:99
	s_cmp_lt_i32 s20, 51
	v_mov_b32_e32 v230, 49
	s_cbranch_scc1 .LBB108_1031
; %bb.1029:
	v_add_u32_e32 v231, 0x320, v232
	s_mov_b32 s16, 50
	v_mov_b32_e32 v230, 49
.LBB108_1030:                           ; =>This Inner Loop Header: Depth=1
	ds_read2_b64 v[236:239], v231 offset1:1
	s_waitcnt lgkmcnt(1)
	v_xor_b32_e32 v149, 0x80000000, v221
	v_xor_b32_e32 v151, 0x80000000, v223
	v_cmp_gt_f64_e32 vcc, 0, v[222:223]
	v_cmp_gt_f64_e64 s[0:1], 0, v[220:221]
	v_mov_b32_e32 v148, v220
	v_mov_b32_e32 v150, v222
	v_cndmask_b32_e64 v149, v221, v149, s[0:1]
	v_cndmask_b32_e32 v151, v223, v151, vcc
	v_add_f64 v[148:149], v[148:149], v[150:151]
	s_waitcnt lgkmcnt(0)
	v_xor_b32_e32 v151, 0x80000000, v237
	v_xor_b32_e32 v227, 0x80000000, v239
	v_cmp_gt_f64_e32 vcc, 0, v[238:239]
	v_cmp_gt_f64_e64 s[0:1], 0, v[236:237]
	v_mov_b32_e32 v150, v236
	v_mov_b32_e32 v226, v238
	v_cndmask_b32_e64 v151, v237, v151, s[0:1]
	v_cndmask_b32_e32 v227, v239, v227, vcc
	v_add_f64 v[150:151], v[150:151], v[226:227]
	v_mov_b32_e32 v228, s16
	s_add_i32 s16, s16, 1
	v_cmp_lt_f64_e32 vcc, v[148:149], v[150:151]
	v_add_u32_e32 v231, 16, v231
	s_cmp_lg_u32 s20, s16
	v_cndmask_b32_e32 v221, v221, v237, vcc
	v_cndmask_b32_e32 v220, v220, v236, vcc
	;; [unrolled: 1-line block ×5, first 2 shown]
	s_cbranch_scc1 .LBB108_1030
.LBB108_1031:
	s_waitcnt lgkmcnt(0)
	v_cmp_eq_f64_e32 vcc, 0, v[220:221]
	v_cmp_eq_f64_e64 s[0:1], 0, v[222:223]
	s_and_b64 s[0:1], vcc, s[0:1]
	s_and_saveexec_b64 s[16:17], s[0:1]
	s_xor_b64 s[0:1], exec, s[16:17]
; %bb.1032:
	v_cmp_ne_u32_e32 vcc, 0, v234
	s_nop 1
	v_cndmask_b32_e32 v234, 50, v234, vcc
; %bb.1033:
	s_andn2_saveexec_b64 s[0:1], s[0:1]
	s_cbranch_execz .LBB108_1039
; %bb.1034:
	v_cmp_ngt_f64_e64 s[16:17], |v[220:221]|, |v[222:223]|
	s_and_saveexec_b64 s[18:19], s[16:17]
	s_xor_b64 s[16:17], exec, s[18:19]
	s_cbranch_execz .LBB108_1036
; %bb.1035:
	v_div_scale_f64 v[148:149], s[18:19], v[222:223], v[222:223], v[220:221]
	v_rcp_f64_e32 v[150:151], v[148:149]
	v_div_scale_f64 v[226:227], vcc, v[220:221], v[222:223], v[220:221]
	v_fma_f64 v[228:229], -v[148:149], v[150:151], 1.0
	v_fmac_f64_e32 v[150:151], v[150:151], v[228:229]
	v_fma_f64 v[228:229], -v[148:149], v[150:151], 1.0
	v_fmac_f64_e32 v[150:151], v[150:151], v[228:229]
	v_mul_f64 v[228:229], v[226:227], v[150:151]
	v_fma_f64 v[148:149], -v[148:149], v[228:229], v[226:227]
	v_div_fmas_f64 v[148:149], v[148:149], v[150:151], v[228:229]
	v_div_fixup_f64 v[148:149], v[148:149], v[222:223], v[220:221]
	v_fmac_f64_e32 v[222:223], v[220:221], v[148:149]
	v_div_scale_f64 v[150:151], s[18:19], v[222:223], v[222:223], 1.0
	v_rcp_f64_e32 v[220:221], v[150:151]
	s_nop 0
	v_fma_f64 v[226:227], -v[150:151], v[220:221], 1.0
	v_fmac_f64_e32 v[220:221], v[220:221], v[226:227]
	v_fma_f64 v[226:227], -v[150:151], v[220:221], 1.0
	v_fmac_f64_e32 v[220:221], v[220:221], v[226:227]
	v_div_scale_f64 v[226:227], vcc, 1.0, v[222:223], 1.0
	v_mul_f64 v[228:229], v[226:227], v[220:221]
	v_fma_f64 v[150:151], -v[150:151], v[228:229], v[226:227]
	s_nop 1
	v_div_fmas_f64 v[150:151], v[150:151], v[220:221], v[228:229]
	v_div_fixup_f64 v[222:223], v[150:151], v[222:223], 1.0
	v_mul_f64 v[220:221], v[148:149], v[222:223]
	v_xor_b32_e32 v223, 0x80000000, v223
.LBB108_1036:
	s_andn2_saveexec_b64 s[16:17], s[16:17]
	s_cbranch_execz .LBB108_1038
; %bb.1037:
	v_div_scale_f64 v[148:149], s[18:19], v[220:221], v[220:221], v[222:223]
	v_rcp_f64_e32 v[150:151], v[148:149]
	v_div_scale_f64 v[226:227], vcc, v[222:223], v[220:221], v[222:223]
	v_fma_f64 v[228:229], -v[148:149], v[150:151], 1.0
	v_fmac_f64_e32 v[150:151], v[150:151], v[228:229]
	v_fma_f64 v[228:229], -v[148:149], v[150:151], 1.0
	v_fmac_f64_e32 v[150:151], v[150:151], v[228:229]
	v_mul_f64 v[228:229], v[226:227], v[150:151]
	v_fma_f64 v[148:149], -v[148:149], v[228:229], v[226:227]
	v_div_fmas_f64 v[148:149], v[148:149], v[150:151], v[228:229]
	v_div_fixup_f64 v[148:149], v[148:149], v[220:221], v[222:223]
	v_fmac_f64_e32 v[220:221], v[222:223], v[148:149]
	v_div_scale_f64 v[150:151], s[18:19], v[220:221], v[220:221], 1.0
	v_rcp_f64_e32 v[222:223], v[150:151]
	s_nop 0
	v_fma_f64 v[226:227], -v[150:151], v[222:223], 1.0
	v_fmac_f64_e32 v[222:223], v[222:223], v[226:227]
	v_fma_f64 v[226:227], -v[150:151], v[222:223], 1.0
	v_fmac_f64_e32 v[222:223], v[222:223], v[226:227]
	v_div_scale_f64 v[226:227], vcc, 1.0, v[220:221], 1.0
	v_mul_f64 v[228:229], v[226:227], v[222:223]
	v_fma_f64 v[150:151], -v[150:151], v[228:229], v[226:227]
	s_nop 1
	v_div_fmas_f64 v[150:151], v[150:151], v[222:223], v[228:229]
	v_div_fixup_f64 v[220:221], v[150:151], v[220:221], 1.0
	v_mul_f64 v[222:223], v[148:149], -v[220:221]
.LBB108_1038:
	s_or_b64 exec, exec, s[16:17]
.LBB108_1039:
	s_or_b64 exec, exec, s[0:1]
	v_cmp_ne_u32_e32 vcc, v233, v230
	s_and_saveexec_b64 s[0:1], vcc
	s_xor_b64 s[0:1], exec, s[0:1]
	s_cbranch_execz .LBB108_1045
; %bb.1040:
	v_cmp_eq_u32_e32 vcc, 49, v233
	s_and_saveexec_b64 s[16:17], vcc
	s_cbranch_execz .LBB108_1044
; %bb.1041:
	v_cmp_ne_u32_e32 vcc, 49, v230
	s_xor_b64 s[18:19], s[14:15], -1
	s_and_b64 s[22:23], s[18:19], vcc
	s_and_saveexec_b64 s[18:19], s[22:23]
	s_cbranch_execz .LBB108_1043
; %bb.1042:
	v_ashrrev_i32_e32 v231, 31, v230
	s_waitcnt vmcnt(0)
	v_lshl_add_u64 v[148:149], v[230:231], 2, v[146:147]
	global_load_dword v150, v[148:149], off
	global_load_dword v151, v[146:147], off offset:196
	s_waitcnt vmcnt(1)
	global_store_dword v[146:147], v150, off offset:196
	s_waitcnt vmcnt(1)
	global_store_dword v[148:149], v151, off
.LBB108_1043:
	s_or_b64 exec, exec, s[18:19]
	v_mov_b32_e32 v233, v230
	v_mov_b32_e32 v224, v230
.LBB108_1044:
	s_or_b64 exec, exec, s[16:17]
.LBB108_1045:
	s_andn2_saveexec_b64 s[0:1], s[0:1]
	s_cbranch_execz .LBB108_1047
; %bb.1046:
	v_mov_b32_e32 v233, 49
	ds_write2_b64 v232, v[12:13], v[14:15] offset0:100 offset1:101
	ds_write2_b64 v232, v[8:9], v[10:11] offset0:102 offset1:103
	;; [unrolled: 1-line block ×5, first 2 shown]
.LBB108_1047:
	s_or_b64 exec, exec, s[0:1]
	v_cmp_lt_i32_e32 vcc, 49, v233
	s_waitcnt lgkmcnt(0)
	s_barrier
	s_and_saveexec_b64 s[0:1], vcc
	s_cbranch_execz .LBB108_1049
; %bb.1048:
	ds_read2_b64 v[236:239], v232 offset0:100 offset1:101
	v_mul_f64 v[148:149], v[220:221], v[18:19]
	v_mul_f64 v[18:19], v[222:223], v[18:19]
	v_fmac_f64_e32 v[148:149], v[222:223], v[16:17]
	v_fma_f64 v[16:17], v[220:221], v[16:17], -v[18:19]
	ds_read2_b64 v[220:223], v232 offset0:102 offset1:103
	s_waitcnt lgkmcnt(1)
	v_mul_f64 v[18:19], v[238:239], v[148:149]
	v_mul_f64 v[150:151], v[236:237], v[148:149]
	v_fma_f64 v[18:19], v[236:237], v[16:17], -v[18:19]
	v_fmac_f64_e32 v[150:151], v[238:239], v[16:17]
	ds_read2_b64 v[236:239], v232 offset0:104 offset1:105
	v_add_f64 v[12:13], v[12:13], -v[18:19]
	v_add_f64 v[14:15], v[14:15], -v[150:151]
	s_waitcnt lgkmcnt(1)
	v_mul_f64 v[18:19], v[222:223], v[148:149]
	v_mul_f64 v[150:151], v[220:221], v[148:149]
	v_fma_f64 v[18:19], v[220:221], v[16:17], -v[18:19]
	v_fmac_f64_e32 v[150:151], v[222:223], v[16:17]
	ds_read2_b64 v[220:223], v232 offset0:106 offset1:107
	v_add_f64 v[8:9], v[8:9], -v[18:19]
	v_add_f64 v[10:11], v[10:11], -v[150:151]
	s_waitcnt lgkmcnt(1)
	v_mul_f64 v[18:19], v[238:239], v[148:149]
	v_mul_f64 v[150:151], v[236:237], v[148:149]
	v_fma_f64 v[18:19], v[236:237], v[16:17], -v[18:19]
	v_fmac_f64_e32 v[150:151], v[238:239], v[16:17]
	ds_read2_b64 v[236:239], v232 offset0:108 offset1:109
	v_add_f64 v[4:5], v[4:5], -v[18:19]
	v_add_f64 v[6:7], v[6:7], -v[150:151]
	s_waitcnt lgkmcnt(1)
	v_mul_f64 v[18:19], v[222:223], v[148:149]
	v_mul_f64 v[150:151], v[220:221], v[148:149]
	v_fma_f64 v[18:19], v[220:221], v[16:17], -v[18:19]
	v_fmac_f64_e32 v[150:151], v[222:223], v[16:17]
	v_add_f64 v[0:1], v[0:1], -v[18:19]
	v_add_f64 v[2:3], v[2:3], -v[150:151]
	s_waitcnt lgkmcnt(0)
	v_mul_f64 v[18:19], v[238:239], v[148:149]
	v_mul_f64 v[150:151], v[236:237], v[148:149]
	v_fma_f64 v[18:19], v[236:237], v[16:17], -v[18:19]
	v_fmac_f64_e32 v[150:151], v[238:239], v[16:17]
	v_add_f64 v[216:217], v[216:217], -v[18:19]
	v_add_f64 v[218:219], v[218:219], -v[150:151]
	v_mov_b64_e32 v[18:19], v[148:149]
.LBB108_1049:
	s_or_b64 exec, exec, s[0:1]
	v_lshl_add_u32 v148, v233, 4, v232
	s_barrier
	ds_write2_b64 v148, v[12:13], v[14:15] offset1:1
	s_waitcnt lgkmcnt(0)
	s_barrier
	ds_read2_b64 v[220:223], v232 offset0:100 offset1:101
	s_cmp_lt_i32 s20, 52
	v_mov_b32_e32 v230, 50
	s_cbranch_scc1 .LBB108_1052
; %bb.1050:
	v_add_u32_e32 v231, 0x330, v232
	s_mov_b32 s16, 51
	v_mov_b32_e32 v230, 50
.LBB108_1051:                           ; =>This Inner Loop Header: Depth=1
	ds_read2_b64 v[236:239], v231 offset1:1
	s_waitcnt lgkmcnt(1)
	v_xor_b32_e32 v149, 0x80000000, v221
	v_xor_b32_e32 v151, 0x80000000, v223
	v_cmp_gt_f64_e32 vcc, 0, v[222:223]
	v_cmp_gt_f64_e64 s[0:1], 0, v[220:221]
	v_mov_b32_e32 v148, v220
	v_mov_b32_e32 v150, v222
	v_cndmask_b32_e64 v149, v221, v149, s[0:1]
	v_cndmask_b32_e32 v151, v223, v151, vcc
	v_add_f64 v[148:149], v[148:149], v[150:151]
	s_waitcnt lgkmcnt(0)
	v_xor_b32_e32 v151, 0x80000000, v237
	v_xor_b32_e32 v227, 0x80000000, v239
	v_cmp_gt_f64_e32 vcc, 0, v[238:239]
	v_cmp_gt_f64_e64 s[0:1], 0, v[236:237]
	v_mov_b32_e32 v150, v236
	v_mov_b32_e32 v226, v238
	v_cndmask_b32_e64 v151, v237, v151, s[0:1]
	v_cndmask_b32_e32 v227, v239, v227, vcc
	v_add_f64 v[150:151], v[150:151], v[226:227]
	v_mov_b32_e32 v228, s16
	s_add_i32 s16, s16, 1
	v_cmp_lt_f64_e32 vcc, v[148:149], v[150:151]
	v_add_u32_e32 v231, 16, v231
	s_cmp_lg_u32 s20, s16
	v_cndmask_b32_e32 v221, v221, v237, vcc
	v_cndmask_b32_e32 v220, v220, v236, vcc
	;; [unrolled: 1-line block ×5, first 2 shown]
	s_cbranch_scc1 .LBB108_1051
.LBB108_1052:
	s_waitcnt lgkmcnt(0)
	v_cmp_eq_f64_e32 vcc, 0, v[220:221]
	v_cmp_eq_f64_e64 s[0:1], 0, v[222:223]
	s_and_b64 s[0:1], vcc, s[0:1]
	s_and_saveexec_b64 s[16:17], s[0:1]
	s_xor_b64 s[0:1], exec, s[16:17]
; %bb.1053:
	v_cmp_ne_u32_e32 vcc, 0, v234
	s_nop 1
	v_cndmask_b32_e32 v234, 51, v234, vcc
; %bb.1054:
	s_andn2_saveexec_b64 s[0:1], s[0:1]
	s_cbranch_execz .LBB108_1060
; %bb.1055:
	v_cmp_ngt_f64_e64 s[16:17], |v[220:221]|, |v[222:223]|
	s_and_saveexec_b64 s[18:19], s[16:17]
	s_xor_b64 s[16:17], exec, s[18:19]
	s_cbranch_execz .LBB108_1057
; %bb.1056:
	v_div_scale_f64 v[148:149], s[18:19], v[222:223], v[222:223], v[220:221]
	v_rcp_f64_e32 v[150:151], v[148:149]
	v_div_scale_f64 v[226:227], vcc, v[220:221], v[222:223], v[220:221]
	v_fma_f64 v[228:229], -v[148:149], v[150:151], 1.0
	v_fmac_f64_e32 v[150:151], v[150:151], v[228:229]
	v_fma_f64 v[228:229], -v[148:149], v[150:151], 1.0
	v_fmac_f64_e32 v[150:151], v[150:151], v[228:229]
	v_mul_f64 v[228:229], v[226:227], v[150:151]
	v_fma_f64 v[148:149], -v[148:149], v[228:229], v[226:227]
	v_div_fmas_f64 v[148:149], v[148:149], v[150:151], v[228:229]
	v_div_fixup_f64 v[148:149], v[148:149], v[222:223], v[220:221]
	v_fmac_f64_e32 v[222:223], v[220:221], v[148:149]
	v_div_scale_f64 v[150:151], s[18:19], v[222:223], v[222:223], 1.0
	v_rcp_f64_e32 v[220:221], v[150:151]
	s_nop 0
	v_fma_f64 v[226:227], -v[150:151], v[220:221], 1.0
	v_fmac_f64_e32 v[220:221], v[220:221], v[226:227]
	v_fma_f64 v[226:227], -v[150:151], v[220:221], 1.0
	v_fmac_f64_e32 v[220:221], v[220:221], v[226:227]
	v_div_scale_f64 v[226:227], vcc, 1.0, v[222:223], 1.0
	v_mul_f64 v[228:229], v[226:227], v[220:221]
	v_fma_f64 v[150:151], -v[150:151], v[228:229], v[226:227]
	s_nop 1
	v_div_fmas_f64 v[150:151], v[150:151], v[220:221], v[228:229]
	v_div_fixup_f64 v[222:223], v[150:151], v[222:223], 1.0
	v_mul_f64 v[220:221], v[148:149], v[222:223]
	v_xor_b32_e32 v223, 0x80000000, v223
.LBB108_1057:
	s_andn2_saveexec_b64 s[16:17], s[16:17]
	s_cbranch_execz .LBB108_1059
; %bb.1058:
	v_div_scale_f64 v[148:149], s[18:19], v[220:221], v[220:221], v[222:223]
	v_rcp_f64_e32 v[150:151], v[148:149]
	v_div_scale_f64 v[226:227], vcc, v[222:223], v[220:221], v[222:223]
	v_fma_f64 v[228:229], -v[148:149], v[150:151], 1.0
	v_fmac_f64_e32 v[150:151], v[150:151], v[228:229]
	v_fma_f64 v[228:229], -v[148:149], v[150:151], 1.0
	v_fmac_f64_e32 v[150:151], v[150:151], v[228:229]
	v_mul_f64 v[228:229], v[226:227], v[150:151]
	v_fma_f64 v[148:149], -v[148:149], v[228:229], v[226:227]
	v_div_fmas_f64 v[148:149], v[148:149], v[150:151], v[228:229]
	v_div_fixup_f64 v[148:149], v[148:149], v[220:221], v[222:223]
	v_fmac_f64_e32 v[220:221], v[222:223], v[148:149]
	v_div_scale_f64 v[150:151], s[18:19], v[220:221], v[220:221], 1.0
	v_rcp_f64_e32 v[222:223], v[150:151]
	s_nop 0
	v_fma_f64 v[226:227], -v[150:151], v[222:223], 1.0
	v_fmac_f64_e32 v[222:223], v[222:223], v[226:227]
	v_fma_f64 v[226:227], -v[150:151], v[222:223], 1.0
	v_fmac_f64_e32 v[222:223], v[222:223], v[226:227]
	v_div_scale_f64 v[226:227], vcc, 1.0, v[220:221], 1.0
	v_mul_f64 v[228:229], v[226:227], v[222:223]
	v_fma_f64 v[150:151], -v[150:151], v[228:229], v[226:227]
	s_nop 1
	v_div_fmas_f64 v[150:151], v[150:151], v[222:223], v[228:229]
	v_div_fixup_f64 v[220:221], v[150:151], v[220:221], 1.0
	v_mul_f64 v[222:223], v[148:149], -v[220:221]
.LBB108_1059:
	s_or_b64 exec, exec, s[16:17]
.LBB108_1060:
	s_or_b64 exec, exec, s[0:1]
	v_cmp_ne_u32_e32 vcc, v233, v230
	s_and_saveexec_b64 s[0:1], vcc
	s_xor_b64 s[0:1], exec, s[0:1]
	s_cbranch_execz .LBB108_1066
; %bb.1061:
	v_cmp_eq_u32_e32 vcc, 50, v233
	s_and_saveexec_b64 s[16:17], vcc
	s_cbranch_execz .LBB108_1065
; %bb.1062:
	v_cmp_ne_u32_e32 vcc, 50, v230
	s_xor_b64 s[18:19], s[14:15], -1
	s_and_b64 s[22:23], s[18:19], vcc
	s_and_saveexec_b64 s[18:19], s[22:23]
	s_cbranch_execz .LBB108_1064
; %bb.1063:
	v_ashrrev_i32_e32 v231, 31, v230
	s_waitcnt vmcnt(0)
	v_lshl_add_u64 v[148:149], v[230:231], 2, v[146:147]
	global_load_dword v150, v[148:149], off
	global_load_dword v151, v[146:147], off offset:200
	s_waitcnt vmcnt(1)
	global_store_dword v[146:147], v150, off offset:200
	s_waitcnt vmcnt(1)
	global_store_dword v[148:149], v151, off
.LBB108_1064:
	s_or_b64 exec, exec, s[18:19]
	v_mov_b32_e32 v233, v230
	v_mov_b32_e32 v224, v230
.LBB108_1065:
	s_or_b64 exec, exec, s[16:17]
.LBB108_1066:
	s_andn2_saveexec_b64 s[0:1], s[0:1]
	s_cbranch_execz .LBB108_1068
; %bb.1067:
	v_mov_b32_e32 v233, 50
	ds_write2_b64 v232, v[8:9], v[10:11] offset0:102 offset1:103
	ds_write2_b64 v232, v[4:5], v[6:7] offset0:104 offset1:105
	;; [unrolled: 1-line block ×4, first 2 shown]
.LBB108_1068:
	s_or_b64 exec, exec, s[0:1]
	v_cmp_lt_i32_e32 vcc, 50, v233
	s_waitcnt lgkmcnt(0)
	s_barrier
	s_and_saveexec_b64 s[0:1], vcc
	s_cbranch_execz .LBB108_1070
; %bb.1069:
	ds_read2_b64 v[236:239], v232 offset0:102 offset1:103
	v_mul_f64 v[148:149], v[220:221], v[14:15]
	v_mul_f64 v[14:15], v[222:223], v[14:15]
	v_fmac_f64_e32 v[148:149], v[222:223], v[12:13]
	v_fma_f64 v[12:13], v[220:221], v[12:13], -v[14:15]
	ds_read2_b64 v[220:223], v232 offset0:104 offset1:105
	s_waitcnt lgkmcnt(1)
	v_mul_f64 v[14:15], v[238:239], v[148:149]
	v_mul_f64 v[150:151], v[236:237], v[148:149]
	v_fma_f64 v[14:15], v[236:237], v[12:13], -v[14:15]
	v_fmac_f64_e32 v[150:151], v[238:239], v[12:13]
	ds_read2_b64 v[236:239], v232 offset0:106 offset1:107
	v_add_f64 v[8:9], v[8:9], -v[14:15]
	v_add_f64 v[10:11], v[10:11], -v[150:151]
	s_waitcnt lgkmcnt(1)
	v_mul_f64 v[14:15], v[222:223], v[148:149]
	v_mul_f64 v[150:151], v[220:221], v[148:149]
	v_fma_f64 v[14:15], v[220:221], v[12:13], -v[14:15]
	v_fmac_f64_e32 v[150:151], v[222:223], v[12:13]
	ds_read2_b64 v[220:223], v232 offset0:108 offset1:109
	v_add_f64 v[4:5], v[4:5], -v[14:15]
	v_add_f64 v[6:7], v[6:7], -v[150:151]
	s_waitcnt lgkmcnt(1)
	v_mul_f64 v[14:15], v[238:239], v[148:149]
	v_mul_f64 v[150:151], v[236:237], v[148:149]
	v_fma_f64 v[14:15], v[236:237], v[12:13], -v[14:15]
	v_fmac_f64_e32 v[150:151], v[238:239], v[12:13]
	v_add_f64 v[0:1], v[0:1], -v[14:15]
	v_add_f64 v[2:3], v[2:3], -v[150:151]
	s_waitcnt lgkmcnt(0)
	v_mul_f64 v[14:15], v[222:223], v[148:149]
	v_mul_f64 v[150:151], v[220:221], v[148:149]
	v_fma_f64 v[14:15], v[220:221], v[12:13], -v[14:15]
	v_fmac_f64_e32 v[150:151], v[222:223], v[12:13]
	v_add_f64 v[216:217], v[216:217], -v[14:15]
	v_add_f64 v[218:219], v[218:219], -v[150:151]
	v_mov_b64_e32 v[14:15], v[148:149]
.LBB108_1070:
	s_or_b64 exec, exec, s[0:1]
	v_lshl_add_u32 v148, v233, 4, v232
	s_barrier
	ds_write2_b64 v148, v[8:9], v[10:11] offset1:1
	s_waitcnt lgkmcnt(0)
	s_barrier
	ds_read2_b64 v[220:223], v232 offset0:102 offset1:103
	s_cmp_lt_i32 s20, 53
	v_mov_b32_e32 v230, 51
	s_cbranch_scc1 .LBB108_1073
; %bb.1071:
	v_add_u32_e32 v231, 0x340, v232
	s_mov_b32 s16, 52
	v_mov_b32_e32 v230, 51
.LBB108_1072:                           ; =>This Inner Loop Header: Depth=1
	ds_read2_b64 v[236:239], v231 offset1:1
	s_waitcnt lgkmcnt(1)
	v_xor_b32_e32 v149, 0x80000000, v221
	v_xor_b32_e32 v151, 0x80000000, v223
	v_cmp_gt_f64_e32 vcc, 0, v[222:223]
	v_cmp_gt_f64_e64 s[0:1], 0, v[220:221]
	v_mov_b32_e32 v148, v220
	v_mov_b32_e32 v150, v222
	v_cndmask_b32_e64 v149, v221, v149, s[0:1]
	v_cndmask_b32_e32 v151, v223, v151, vcc
	v_add_f64 v[148:149], v[148:149], v[150:151]
	s_waitcnt lgkmcnt(0)
	v_xor_b32_e32 v151, 0x80000000, v237
	v_xor_b32_e32 v227, 0x80000000, v239
	v_cmp_gt_f64_e32 vcc, 0, v[238:239]
	v_cmp_gt_f64_e64 s[0:1], 0, v[236:237]
	v_mov_b32_e32 v150, v236
	v_mov_b32_e32 v226, v238
	v_cndmask_b32_e64 v151, v237, v151, s[0:1]
	v_cndmask_b32_e32 v227, v239, v227, vcc
	v_add_f64 v[150:151], v[150:151], v[226:227]
	v_mov_b32_e32 v228, s16
	s_add_i32 s16, s16, 1
	v_cmp_lt_f64_e32 vcc, v[148:149], v[150:151]
	v_add_u32_e32 v231, 16, v231
	s_cmp_lg_u32 s20, s16
	v_cndmask_b32_e32 v221, v221, v237, vcc
	v_cndmask_b32_e32 v220, v220, v236, vcc
	;; [unrolled: 1-line block ×5, first 2 shown]
	s_cbranch_scc1 .LBB108_1072
.LBB108_1073:
	s_waitcnt lgkmcnt(0)
	v_cmp_eq_f64_e32 vcc, 0, v[220:221]
	v_cmp_eq_f64_e64 s[0:1], 0, v[222:223]
	s_and_b64 s[0:1], vcc, s[0:1]
	s_and_saveexec_b64 s[16:17], s[0:1]
	s_xor_b64 s[0:1], exec, s[16:17]
; %bb.1074:
	v_cmp_ne_u32_e32 vcc, 0, v234
	s_nop 1
	v_cndmask_b32_e32 v234, 52, v234, vcc
; %bb.1075:
	s_andn2_saveexec_b64 s[0:1], s[0:1]
	s_cbranch_execz .LBB108_1081
; %bb.1076:
	v_cmp_ngt_f64_e64 s[16:17], |v[220:221]|, |v[222:223]|
	s_and_saveexec_b64 s[18:19], s[16:17]
	s_xor_b64 s[16:17], exec, s[18:19]
	s_cbranch_execz .LBB108_1078
; %bb.1077:
	v_div_scale_f64 v[148:149], s[18:19], v[222:223], v[222:223], v[220:221]
	v_rcp_f64_e32 v[150:151], v[148:149]
	v_div_scale_f64 v[226:227], vcc, v[220:221], v[222:223], v[220:221]
	v_fma_f64 v[228:229], -v[148:149], v[150:151], 1.0
	v_fmac_f64_e32 v[150:151], v[150:151], v[228:229]
	v_fma_f64 v[228:229], -v[148:149], v[150:151], 1.0
	v_fmac_f64_e32 v[150:151], v[150:151], v[228:229]
	v_mul_f64 v[228:229], v[226:227], v[150:151]
	v_fma_f64 v[148:149], -v[148:149], v[228:229], v[226:227]
	v_div_fmas_f64 v[148:149], v[148:149], v[150:151], v[228:229]
	v_div_fixup_f64 v[148:149], v[148:149], v[222:223], v[220:221]
	v_fmac_f64_e32 v[222:223], v[220:221], v[148:149]
	v_div_scale_f64 v[150:151], s[18:19], v[222:223], v[222:223], 1.0
	v_rcp_f64_e32 v[220:221], v[150:151]
	s_nop 0
	v_fma_f64 v[226:227], -v[150:151], v[220:221], 1.0
	v_fmac_f64_e32 v[220:221], v[220:221], v[226:227]
	v_fma_f64 v[226:227], -v[150:151], v[220:221], 1.0
	v_fmac_f64_e32 v[220:221], v[220:221], v[226:227]
	v_div_scale_f64 v[226:227], vcc, 1.0, v[222:223], 1.0
	v_mul_f64 v[228:229], v[226:227], v[220:221]
	v_fma_f64 v[150:151], -v[150:151], v[228:229], v[226:227]
	s_nop 1
	v_div_fmas_f64 v[150:151], v[150:151], v[220:221], v[228:229]
	v_div_fixup_f64 v[222:223], v[150:151], v[222:223], 1.0
	v_mul_f64 v[220:221], v[148:149], v[222:223]
	v_xor_b32_e32 v223, 0x80000000, v223
.LBB108_1078:
	s_andn2_saveexec_b64 s[16:17], s[16:17]
	s_cbranch_execz .LBB108_1080
; %bb.1079:
	v_div_scale_f64 v[148:149], s[18:19], v[220:221], v[220:221], v[222:223]
	v_rcp_f64_e32 v[150:151], v[148:149]
	v_div_scale_f64 v[226:227], vcc, v[222:223], v[220:221], v[222:223]
	v_fma_f64 v[228:229], -v[148:149], v[150:151], 1.0
	v_fmac_f64_e32 v[150:151], v[150:151], v[228:229]
	v_fma_f64 v[228:229], -v[148:149], v[150:151], 1.0
	v_fmac_f64_e32 v[150:151], v[150:151], v[228:229]
	v_mul_f64 v[228:229], v[226:227], v[150:151]
	v_fma_f64 v[148:149], -v[148:149], v[228:229], v[226:227]
	v_div_fmas_f64 v[148:149], v[148:149], v[150:151], v[228:229]
	v_div_fixup_f64 v[148:149], v[148:149], v[220:221], v[222:223]
	v_fmac_f64_e32 v[220:221], v[222:223], v[148:149]
	v_div_scale_f64 v[150:151], s[18:19], v[220:221], v[220:221], 1.0
	v_rcp_f64_e32 v[222:223], v[150:151]
	s_nop 0
	v_fma_f64 v[226:227], -v[150:151], v[222:223], 1.0
	v_fmac_f64_e32 v[222:223], v[222:223], v[226:227]
	v_fma_f64 v[226:227], -v[150:151], v[222:223], 1.0
	v_fmac_f64_e32 v[222:223], v[222:223], v[226:227]
	v_div_scale_f64 v[226:227], vcc, 1.0, v[220:221], 1.0
	v_mul_f64 v[228:229], v[226:227], v[222:223]
	v_fma_f64 v[150:151], -v[150:151], v[228:229], v[226:227]
	s_nop 1
	v_div_fmas_f64 v[150:151], v[150:151], v[222:223], v[228:229]
	v_div_fixup_f64 v[220:221], v[150:151], v[220:221], 1.0
	v_mul_f64 v[222:223], v[148:149], -v[220:221]
.LBB108_1080:
	s_or_b64 exec, exec, s[16:17]
.LBB108_1081:
	s_or_b64 exec, exec, s[0:1]
	v_cmp_ne_u32_e32 vcc, v233, v230
	s_and_saveexec_b64 s[0:1], vcc
	s_xor_b64 s[0:1], exec, s[0:1]
	s_cbranch_execz .LBB108_1087
; %bb.1082:
	v_cmp_eq_u32_e32 vcc, 51, v233
	s_and_saveexec_b64 s[16:17], vcc
	s_cbranch_execz .LBB108_1086
; %bb.1083:
	v_cmp_ne_u32_e32 vcc, 51, v230
	s_xor_b64 s[18:19], s[14:15], -1
	s_and_b64 s[22:23], s[18:19], vcc
	s_and_saveexec_b64 s[18:19], s[22:23]
	s_cbranch_execz .LBB108_1085
; %bb.1084:
	v_ashrrev_i32_e32 v231, 31, v230
	s_waitcnt vmcnt(0)
	v_lshl_add_u64 v[148:149], v[230:231], 2, v[146:147]
	global_load_dword v150, v[148:149], off
	global_load_dword v151, v[146:147], off offset:204
	s_waitcnt vmcnt(1)
	global_store_dword v[146:147], v150, off offset:204
	s_waitcnt vmcnt(1)
	global_store_dword v[148:149], v151, off
.LBB108_1085:
	s_or_b64 exec, exec, s[18:19]
	v_mov_b32_e32 v233, v230
	v_mov_b32_e32 v224, v230
.LBB108_1086:
	s_or_b64 exec, exec, s[16:17]
.LBB108_1087:
	s_andn2_saveexec_b64 s[0:1], s[0:1]
	s_cbranch_execz .LBB108_1089
; %bb.1088:
	v_mov_b32_e32 v233, 51
	ds_write2_b64 v232, v[4:5], v[6:7] offset0:104 offset1:105
	ds_write2_b64 v232, v[0:1], v[2:3] offset0:106 offset1:107
	ds_write2_b64 v232, v[216:217], v[218:219] offset0:108 offset1:109
.LBB108_1089:
	s_or_b64 exec, exec, s[0:1]
	v_cmp_lt_i32_e32 vcc, 51, v233
	s_waitcnt lgkmcnt(0)
	s_barrier
	s_and_saveexec_b64 s[0:1], vcc
	s_cbranch_execz .LBB108_1091
; %bb.1090:
	ds_read2_b64 v[236:239], v232 offset0:104 offset1:105
	v_mul_f64 v[148:149], v[220:221], v[10:11]
	v_mul_f64 v[10:11], v[222:223], v[10:11]
	v_fmac_f64_e32 v[148:149], v[222:223], v[8:9]
	v_fma_f64 v[8:9], v[220:221], v[8:9], -v[10:11]
	ds_read2_b64 v[220:223], v232 offset0:106 offset1:107
	s_waitcnt lgkmcnt(1)
	v_mul_f64 v[10:11], v[238:239], v[148:149]
	v_mul_f64 v[150:151], v[236:237], v[148:149]
	v_fma_f64 v[10:11], v[236:237], v[8:9], -v[10:11]
	v_fmac_f64_e32 v[150:151], v[238:239], v[8:9]
	ds_read2_b64 v[236:239], v232 offset0:108 offset1:109
	v_add_f64 v[4:5], v[4:5], -v[10:11]
	v_add_f64 v[6:7], v[6:7], -v[150:151]
	s_waitcnt lgkmcnt(1)
	v_mul_f64 v[10:11], v[222:223], v[148:149]
	v_mul_f64 v[150:151], v[220:221], v[148:149]
	v_fma_f64 v[10:11], v[220:221], v[8:9], -v[10:11]
	v_fmac_f64_e32 v[150:151], v[222:223], v[8:9]
	v_add_f64 v[0:1], v[0:1], -v[10:11]
	v_add_f64 v[2:3], v[2:3], -v[150:151]
	s_waitcnt lgkmcnt(0)
	v_mul_f64 v[10:11], v[238:239], v[148:149]
	v_mul_f64 v[150:151], v[236:237], v[148:149]
	v_fma_f64 v[10:11], v[236:237], v[8:9], -v[10:11]
	v_fmac_f64_e32 v[150:151], v[238:239], v[8:9]
	v_add_f64 v[216:217], v[216:217], -v[10:11]
	v_add_f64 v[218:219], v[218:219], -v[150:151]
	v_mov_b64_e32 v[10:11], v[148:149]
.LBB108_1091:
	s_or_b64 exec, exec, s[0:1]
	v_lshl_add_u32 v148, v233, 4, v232
	s_barrier
	ds_write2_b64 v148, v[4:5], v[6:7] offset1:1
	s_waitcnt lgkmcnt(0)
	s_barrier
	ds_read2_b64 v[220:223], v232 offset0:104 offset1:105
	s_cmp_lt_i32 s20, 54
	v_mov_b32_e32 v230, 52
	s_cbranch_scc1 .LBB108_1094
; %bb.1092:
	v_add_u32_e32 v231, 0x350, v232
	s_mov_b32 s16, 53
	v_mov_b32_e32 v230, 52
.LBB108_1093:                           ; =>This Inner Loop Header: Depth=1
	ds_read2_b64 v[236:239], v231 offset1:1
	s_waitcnt lgkmcnt(1)
	v_xor_b32_e32 v149, 0x80000000, v221
	v_xor_b32_e32 v151, 0x80000000, v223
	v_cmp_gt_f64_e32 vcc, 0, v[222:223]
	v_cmp_gt_f64_e64 s[0:1], 0, v[220:221]
	v_mov_b32_e32 v148, v220
	v_mov_b32_e32 v150, v222
	v_cndmask_b32_e64 v149, v221, v149, s[0:1]
	v_cndmask_b32_e32 v151, v223, v151, vcc
	v_add_f64 v[148:149], v[148:149], v[150:151]
	s_waitcnt lgkmcnt(0)
	v_xor_b32_e32 v151, 0x80000000, v237
	v_xor_b32_e32 v227, 0x80000000, v239
	v_cmp_gt_f64_e32 vcc, 0, v[238:239]
	v_cmp_gt_f64_e64 s[0:1], 0, v[236:237]
	v_mov_b32_e32 v150, v236
	v_mov_b32_e32 v226, v238
	v_cndmask_b32_e64 v151, v237, v151, s[0:1]
	v_cndmask_b32_e32 v227, v239, v227, vcc
	v_add_f64 v[150:151], v[150:151], v[226:227]
	v_mov_b32_e32 v228, s16
	s_add_i32 s16, s16, 1
	v_cmp_lt_f64_e32 vcc, v[148:149], v[150:151]
	v_add_u32_e32 v231, 16, v231
	s_cmp_lg_u32 s20, s16
	v_cndmask_b32_e32 v221, v221, v237, vcc
	v_cndmask_b32_e32 v220, v220, v236, vcc
	;; [unrolled: 1-line block ×5, first 2 shown]
	s_cbranch_scc1 .LBB108_1093
.LBB108_1094:
	s_waitcnt lgkmcnt(0)
	v_cmp_eq_f64_e32 vcc, 0, v[220:221]
	v_cmp_eq_f64_e64 s[0:1], 0, v[222:223]
	s_and_b64 s[0:1], vcc, s[0:1]
	s_and_saveexec_b64 s[16:17], s[0:1]
	s_xor_b64 s[0:1], exec, s[16:17]
; %bb.1095:
	v_cmp_ne_u32_e32 vcc, 0, v234
	s_nop 1
	v_cndmask_b32_e32 v234, 53, v234, vcc
; %bb.1096:
	s_andn2_saveexec_b64 s[0:1], s[0:1]
	s_cbranch_execz .LBB108_1102
; %bb.1097:
	v_cmp_ngt_f64_e64 s[16:17], |v[220:221]|, |v[222:223]|
	s_and_saveexec_b64 s[18:19], s[16:17]
	s_xor_b64 s[16:17], exec, s[18:19]
	s_cbranch_execz .LBB108_1099
; %bb.1098:
	v_div_scale_f64 v[148:149], s[18:19], v[222:223], v[222:223], v[220:221]
	v_rcp_f64_e32 v[150:151], v[148:149]
	v_div_scale_f64 v[226:227], vcc, v[220:221], v[222:223], v[220:221]
	v_fma_f64 v[228:229], -v[148:149], v[150:151], 1.0
	v_fmac_f64_e32 v[150:151], v[150:151], v[228:229]
	v_fma_f64 v[228:229], -v[148:149], v[150:151], 1.0
	v_fmac_f64_e32 v[150:151], v[150:151], v[228:229]
	v_mul_f64 v[228:229], v[226:227], v[150:151]
	v_fma_f64 v[148:149], -v[148:149], v[228:229], v[226:227]
	v_div_fmas_f64 v[148:149], v[148:149], v[150:151], v[228:229]
	v_div_fixup_f64 v[148:149], v[148:149], v[222:223], v[220:221]
	v_fmac_f64_e32 v[222:223], v[220:221], v[148:149]
	v_div_scale_f64 v[150:151], s[18:19], v[222:223], v[222:223], 1.0
	v_rcp_f64_e32 v[220:221], v[150:151]
	s_nop 0
	v_fma_f64 v[226:227], -v[150:151], v[220:221], 1.0
	v_fmac_f64_e32 v[220:221], v[220:221], v[226:227]
	v_fma_f64 v[226:227], -v[150:151], v[220:221], 1.0
	v_fmac_f64_e32 v[220:221], v[220:221], v[226:227]
	v_div_scale_f64 v[226:227], vcc, 1.0, v[222:223], 1.0
	v_mul_f64 v[228:229], v[226:227], v[220:221]
	v_fma_f64 v[150:151], -v[150:151], v[228:229], v[226:227]
	s_nop 1
	v_div_fmas_f64 v[150:151], v[150:151], v[220:221], v[228:229]
	v_div_fixup_f64 v[222:223], v[150:151], v[222:223], 1.0
	v_mul_f64 v[220:221], v[148:149], v[222:223]
	v_xor_b32_e32 v223, 0x80000000, v223
.LBB108_1099:
	s_andn2_saveexec_b64 s[16:17], s[16:17]
	s_cbranch_execz .LBB108_1101
; %bb.1100:
	v_div_scale_f64 v[148:149], s[18:19], v[220:221], v[220:221], v[222:223]
	v_rcp_f64_e32 v[150:151], v[148:149]
	v_div_scale_f64 v[226:227], vcc, v[222:223], v[220:221], v[222:223]
	v_fma_f64 v[228:229], -v[148:149], v[150:151], 1.0
	v_fmac_f64_e32 v[150:151], v[150:151], v[228:229]
	v_fma_f64 v[228:229], -v[148:149], v[150:151], 1.0
	v_fmac_f64_e32 v[150:151], v[150:151], v[228:229]
	v_mul_f64 v[228:229], v[226:227], v[150:151]
	v_fma_f64 v[148:149], -v[148:149], v[228:229], v[226:227]
	v_div_fmas_f64 v[148:149], v[148:149], v[150:151], v[228:229]
	v_div_fixup_f64 v[148:149], v[148:149], v[220:221], v[222:223]
	v_fmac_f64_e32 v[220:221], v[222:223], v[148:149]
	v_div_scale_f64 v[150:151], s[18:19], v[220:221], v[220:221], 1.0
	v_rcp_f64_e32 v[222:223], v[150:151]
	s_nop 0
	v_fma_f64 v[226:227], -v[150:151], v[222:223], 1.0
	v_fmac_f64_e32 v[222:223], v[222:223], v[226:227]
	v_fma_f64 v[226:227], -v[150:151], v[222:223], 1.0
	v_fmac_f64_e32 v[222:223], v[222:223], v[226:227]
	v_div_scale_f64 v[226:227], vcc, 1.0, v[220:221], 1.0
	v_mul_f64 v[228:229], v[226:227], v[222:223]
	v_fma_f64 v[150:151], -v[150:151], v[228:229], v[226:227]
	s_nop 1
	v_div_fmas_f64 v[150:151], v[150:151], v[222:223], v[228:229]
	v_div_fixup_f64 v[220:221], v[150:151], v[220:221], 1.0
	v_mul_f64 v[222:223], v[148:149], -v[220:221]
.LBB108_1101:
	s_or_b64 exec, exec, s[16:17]
.LBB108_1102:
	s_or_b64 exec, exec, s[0:1]
	v_cmp_ne_u32_e32 vcc, v233, v230
	s_and_saveexec_b64 s[0:1], vcc
	s_xor_b64 s[0:1], exec, s[0:1]
	s_cbranch_execz .LBB108_1108
; %bb.1103:
	v_cmp_eq_u32_e32 vcc, 52, v233
	s_and_saveexec_b64 s[16:17], vcc
	s_cbranch_execz .LBB108_1107
; %bb.1104:
	v_cmp_ne_u32_e32 vcc, 52, v230
	s_xor_b64 s[18:19], s[14:15], -1
	s_and_b64 s[22:23], s[18:19], vcc
	s_and_saveexec_b64 s[18:19], s[22:23]
	s_cbranch_execz .LBB108_1106
; %bb.1105:
	v_ashrrev_i32_e32 v231, 31, v230
	s_waitcnt vmcnt(0)
	v_lshl_add_u64 v[148:149], v[230:231], 2, v[146:147]
	global_load_dword v150, v[148:149], off
	global_load_dword v151, v[146:147], off offset:208
	s_waitcnt vmcnt(1)
	global_store_dword v[146:147], v150, off offset:208
	s_waitcnt vmcnt(1)
	global_store_dword v[148:149], v151, off
.LBB108_1106:
	s_or_b64 exec, exec, s[18:19]
	v_mov_b32_e32 v233, v230
	v_mov_b32_e32 v224, v230
.LBB108_1107:
	s_or_b64 exec, exec, s[16:17]
.LBB108_1108:
	s_andn2_saveexec_b64 s[0:1], s[0:1]
	s_cbranch_execz .LBB108_1110
; %bb.1109:
	v_mov_b32_e32 v233, 52
	ds_write2_b64 v232, v[0:1], v[2:3] offset0:106 offset1:107
	ds_write2_b64 v232, v[216:217], v[218:219] offset0:108 offset1:109
.LBB108_1110:
	s_or_b64 exec, exec, s[0:1]
	v_cmp_lt_i32_e32 vcc, 52, v233
	s_waitcnt lgkmcnt(0)
	s_barrier
	s_and_saveexec_b64 s[0:1], vcc
	s_cbranch_execz .LBB108_1112
; %bb.1111:
	ds_read2_b64 v[236:239], v232 offset0:106 offset1:107
	v_mul_f64 v[148:149], v[220:221], v[6:7]
	v_mul_f64 v[6:7], v[222:223], v[6:7]
	v_fmac_f64_e32 v[148:149], v[222:223], v[4:5]
	v_fma_f64 v[4:5], v[220:221], v[4:5], -v[6:7]
	ds_read2_b64 v[220:223], v232 offset0:108 offset1:109
	s_waitcnt lgkmcnt(1)
	v_mul_f64 v[6:7], v[238:239], v[148:149]
	v_mul_f64 v[150:151], v[236:237], v[148:149]
	v_fma_f64 v[6:7], v[236:237], v[4:5], -v[6:7]
	v_fmac_f64_e32 v[150:151], v[238:239], v[4:5]
	v_add_f64 v[0:1], v[0:1], -v[6:7]
	v_add_f64 v[2:3], v[2:3], -v[150:151]
	s_waitcnt lgkmcnt(0)
	v_mul_f64 v[6:7], v[222:223], v[148:149]
	v_mul_f64 v[150:151], v[220:221], v[148:149]
	v_fma_f64 v[6:7], v[220:221], v[4:5], -v[6:7]
	v_fmac_f64_e32 v[150:151], v[222:223], v[4:5]
	v_add_f64 v[216:217], v[216:217], -v[6:7]
	v_add_f64 v[218:219], v[218:219], -v[150:151]
	v_mov_b64_e32 v[6:7], v[148:149]
.LBB108_1112:
	s_or_b64 exec, exec, s[0:1]
	v_lshl_add_u32 v148, v233, 4, v232
	s_barrier
	ds_write2_b64 v148, v[0:1], v[2:3] offset1:1
	s_waitcnt lgkmcnt(0)
	s_barrier
	ds_read2_b64 v[220:223], v232 offset0:106 offset1:107
	s_cmp_lt_i32 s20, 55
	v_mov_b32_e32 v230, 53
	s_cbranch_scc1 .LBB108_1115
; %bb.1113:
	v_add_u32_e32 v231, 0x360, v232
	s_mov_b32 s16, 54
	v_mov_b32_e32 v230, 53
.LBB108_1114:                           ; =>This Inner Loop Header: Depth=1
	ds_read2_b64 v[236:239], v231 offset1:1
	s_waitcnt lgkmcnt(1)
	v_xor_b32_e32 v149, 0x80000000, v221
	v_xor_b32_e32 v151, 0x80000000, v223
	v_cmp_gt_f64_e32 vcc, 0, v[222:223]
	v_cmp_gt_f64_e64 s[0:1], 0, v[220:221]
	v_mov_b32_e32 v148, v220
	v_mov_b32_e32 v150, v222
	v_cndmask_b32_e64 v149, v221, v149, s[0:1]
	v_cndmask_b32_e32 v151, v223, v151, vcc
	v_add_f64 v[148:149], v[148:149], v[150:151]
	s_waitcnt lgkmcnt(0)
	v_xor_b32_e32 v151, 0x80000000, v237
	v_xor_b32_e32 v227, 0x80000000, v239
	v_cmp_gt_f64_e32 vcc, 0, v[238:239]
	v_cmp_gt_f64_e64 s[0:1], 0, v[236:237]
	v_mov_b32_e32 v150, v236
	v_mov_b32_e32 v226, v238
	v_cndmask_b32_e64 v151, v237, v151, s[0:1]
	v_cndmask_b32_e32 v227, v239, v227, vcc
	v_add_f64 v[150:151], v[150:151], v[226:227]
	v_mov_b32_e32 v228, s16
	s_add_i32 s16, s16, 1
	v_cmp_lt_f64_e32 vcc, v[148:149], v[150:151]
	v_add_u32_e32 v231, 16, v231
	s_cmp_lg_u32 s20, s16
	v_cndmask_b32_e32 v221, v221, v237, vcc
	v_cndmask_b32_e32 v220, v220, v236, vcc
	;; [unrolled: 1-line block ×5, first 2 shown]
	s_cbranch_scc1 .LBB108_1114
.LBB108_1115:
	s_waitcnt lgkmcnt(0)
	v_cmp_eq_f64_e32 vcc, 0, v[220:221]
	v_cmp_eq_f64_e64 s[0:1], 0, v[222:223]
	s_and_b64 s[0:1], vcc, s[0:1]
	s_and_saveexec_b64 s[16:17], s[0:1]
	s_xor_b64 s[0:1], exec, s[16:17]
; %bb.1116:
	v_cmp_ne_u32_e32 vcc, 0, v234
	s_nop 1
	v_cndmask_b32_e32 v234, 54, v234, vcc
; %bb.1117:
	s_andn2_saveexec_b64 s[0:1], s[0:1]
	s_cbranch_execz .LBB108_1123
; %bb.1118:
	v_cmp_ngt_f64_e64 s[16:17], |v[220:221]|, |v[222:223]|
	s_and_saveexec_b64 s[18:19], s[16:17]
	s_xor_b64 s[16:17], exec, s[18:19]
	s_cbranch_execz .LBB108_1120
; %bb.1119:
	v_div_scale_f64 v[148:149], s[18:19], v[222:223], v[222:223], v[220:221]
	v_rcp_f64_e32 v[150:151], v[148:149]
	v_div_scale_f64 v[226:227], vcc, v[220:221], v[222:223], v[220:221]
	v_fma_f64 v[228:229], -v[148:149], v[150:151], 1.0
	v_fmac_f64_e32 v[150:151], v[150:151], v[228:229]
	v_fma_f64 v[228:229], -v[148:149], v[150:151], 1.0
	v_fmac_f64_e32 v[150:151], v[150:151], v[228:229]
	v_mul_f64 v[228:229], v[226:227], v[150:151]
	v_fma_f64 v[148:149], -v[148:149], v[228:229], v[226:227]
	v_div_fmas_f64 v[148:149], v[148:149], v[150:151], v[228:229]
	v_div_fixup_f64 v[148:149], v[148:149], v[222:223], v[220:221]
	v_fmac_f64_e32 v[222:223], v[220:221], v[148:149]
	v_div_scale_f64 v[150:151], s[18:19], v[222:223], v[222:223], 1.0
	v_rcp_f64_e32 v[220:221], v[150:151]
	s_nop 0
	v_fma_f64 v[226:227], -v[150:151], v[220:221], 1.0
	v_fmac_f64_e32 v[220:221], v[220:221], v[226:227]
	v_fma_f64 v[226:227], -v[150:151], v[220:221], 1.0
	v_fmac_f64_e32 v[220:221], v[220:221], v[226:227]
	v_div_scale_f64 v[226:227], vcc, 1.0, v[222:223], 1.0
	v_mul_f64 v[228:229], v[226:227], v[220:221]
	v_fma_f64 v[150:151], -v[150:151], v[228:229], v[226:227]
	s_nop 1
	v_div_fmas_f64 v[150:151], v[150:151], v[220:221], v[228:229]
	v_div_fixup_f64 v[222:223], v[150:151], v[222:223], 1.0
	v_mul_f64 v[220:221], v[148:149], v[222:223]
	v_xor_b32_e32 v223, 0x80000000, v223
.LBB108_1120:
	s_andn2_saveexec_b64 s[16:17], s[16:17]
	s_cbranch_execz .LBB108_1122
; %bb.1121:
	v_div_scale_f64 v[148:149], s[18:19], v[220:221], v[220:221], v[222:223]
	v_rcp_f64_e32 v[150:151], v[148:149]
	v_div_scale_f64 v[226:227], vcc, v[222:223], v[220:221], v[222:223]
	v_fma_f64 v[228:229], -v[148:149], v[150:151], 1.0
	v_fmac_f64_e32 v[150:151], v[150:151], v[228:229]
	v_fma_f64 v[228:229], -v[148:149], v[150:151], 1.0
	v_fmac_f64_e32 v[150:151], v[150:151], v[228:229]
	v_mul_f64 v[228:229], v[226:227], v[150:151]
	v_fma_f64 v[148:149], -v[148:149], v[228:229], v[226:227]
	v_div_fmas_f64 v[148:149], v[148:149], v[150:151], v[228:229]
	v_div_fixup_f64 v[148:149], v[148:149], v[220:221], v[222:223]
	v_fmac_f64_e32 v[220:221], v[222:223], v[148:149]
	v_div_scale_f64 v[150:151], s[18:19], v[220:221], v[220:221], 1.0
	v_rcp_f64_e32 v[222:223], v[150:151]
	s_nop 0
	v_fma_f64 v[226:227], -v[150:151], v[222:223], 1.0
	v_fmac_f64_e32 v[222:223], v[222:223], v[226:227]
	v_fma_f64 v[226:227], -v[150:151], v[222:223], 1.0
	v_fmac_f64_e32 v[222:223], v[222:223], v[226:227]
	v_div_scale_f64 v[226:227], vcc, 1.0, v[220:221], 1.0
	v_mul_f64 v[228:229], v[226:227], v[222:223]
	v_fma_f64 v[150:151], -v[150:151], v[228:229], v[226:227]
	s_nop 1
	v_div_fmas_f64 v[150:151], v[150:151], v[222:223], v[228:229]
	v_div_fixup_f64 v[220:221], v[150:151], v[220:221], 1.0
	v_mul_f64 v[222:223], v[148:149], -v[220:221]
.LBB108_1122:
	s_or_b64 exec, exec, s[16:17]
.LBB108_1123:
	s_or_b64 exec, exec, s[0:1]
	v_cmp_ne_u32_e32 vcc, v233, v230
	s_and_saveexec_b64 s[0:1], vcc
	s_xor_b64 s[0:1], exec, s[0:1]
	s_cbranch_execz .LBB108_1129
; %bb.1124:
	v_cmp_eq_u32_e32 vcc, 53, v233
	s_and_saveexec_b64 s[16:17], vcc
	s_cbranch_execz .LBB108_1128
; %bb.1125:
	v_cmp_ne_u32_e32 vcc, 53, v230
	s_xor_b64 s[18:19], s[14:15], -1
	s_and_b64 s[22:23], s[18:19], vcc
	s_and_saveexec_b64 s[18:19], s[22:23]
	s_cbranch_execz .LBB108_1127
; %bb.1126:
	v_ashrrev_i32_e32 v231, 31, v230
	s_waitcnt vmcnt(0)
	v_lshl_add_u64 v[148:149], v[230:231], 2, v[146:147]
	global_load_dword v150, v[148:149], off
	global_load_dword v151, v[146:147], off offset:212
	s_waitcnt vmcnt(1)
	global_store_dword v[146:147], v150, off offset:212
	s_waitcnt vmcnt(1)
	global_store_dword v[148:149], v151, off
.LBB108_1127:
	s_or_b64 exec, exec, s[18:19]
	v_mov_b32_e32 v233, v230
	v_mov_b32_e32 v224, v230
.LBB108_1128:
	s_or_b64 exec, exec, s[16:17]
.LBB108_1129:
	s_andn2_saveexec_b64 s[0:1], s[0:1]
; %bb.1130:
	v_mov_b32_e32 v233, 53
	ds_write2_b64 v232, v[216:217], v[218:219] offset0:108 offset1:109
; %bb.1131:
	s_or_b64 exec, exec, s[0:1]
	v_cmp_lt_i32_e32 vcc, 53, v233
	s_waitcnt lgkmcnt(0)
	s_barrier
	s_and_saveexec_b64 s[0:1], vcc
	s_cbranch_execz .LBB108_1133
; %bb.1132:
	ds_read2_b64 v[236:239], v232 offset0:108 offset1:109
	v_mul_f64 v[148:149], v[220:221], v[2:3]
	v_mul_f64 v[2:3], v[222:223], v[2:3]
	v_fmac_f64_e32 v[148:149], v[222:223], v[0:1]
	v_fma_f64 v[0:1], v[220:221], v[0:1], -v[2:3]
	s_waitcnt lgkmcnt(0)
	v_mul_f64 v[2:3], v[238:239], v[148:149]
	v_mul_f64 v[150:151], v[236:237], v[148:149]
	v_fma_f64 v[2:3], v[236:237], v[0:1], -v[2:3]
	v_fmac_f64_e32 v[150:151], v[238:239], v[0:1]
	v_add_f64 v[216:217], v[216:217], -v[2:3]
	v_add_f64 v[218:219], v[218:219], -v[150:151]
	v_mov_b64_e32 v[2:3], v[148:149]
.LBB108_1133:
	s_or_b64 exec, exec, s[0:1]
	v_lshl_add_u32 v148, v233, 4, v232
	s_barrier
	ds_write2_b64 v148, v[216:217], v[218:219] offset1:1
	s_waitcnt lgkmcnt(0)
	s_barrier
	ds_read2_b64 v[220:223], v232 offset0:108 offset1:109
	s_cmp_lt_i32 s20, 56
	v_mov_b32_e32 v230, 54
	s_cbranch_scc1 .LBB108_1136
; %bb.1134:
	v_add_u32_e32 v231, 0x370, v232
	s_mov_b32 s16, 55
	v_mov_b32_e32 v230, 54
.LBB108_1135:                           ; =>This Inner Loop Header: Depth=1
	ds_read2_b64 v[236:239], v231 offset1:1
	s_waitcnt lgkmcnt(1)
	v_xor_b32_e32 v149, 0x80000000, v221
	v_xor_b32_e32 v151, 0x80000000, v223
	v_cmp_gt_f64_e32 vcc, 0, v[222:223]
	v_cmp_gt_f64_e64 s[0:1], 0, v[220:221]
	v_mov_b32_e32 v148, v220
	v_mov_b32_e32 v150, v222
	v_cndmask_b32_e64 v149, v221, v149, s[0:1]
	v_cndmask_b32_e32 v151, v223, v151, vcc
	v_add_f64 v[148:149], v[148:149], v[150:151]
	s_waitcnt lgkmcnt(0)
	v_xor_b32_e32 v151, 0x80000000, v237
	v_xor_b32_e32 v227, 0x80000000, v239
	v_cmp_gt_f64_e32 vcc, 0, v[238:239]
	v_cmp_gt_f64_e64 s[0:1], 0, v[236:237]
	v_mov_b32_e32 v150, v236
	v_mov_b32_e32 v226, v238
	v_cndmask_b32_e64 v151, v237, v151, s[0:1]
	v_cndmask_b32_e32 v227, v239, v227, vcc
	v_add_f64 v[150:151], v[150:151], v[226:227]
	v_mov_b32_e32 v228, s16
	s_add_i32 s16, s16, 1
	v_cmp_lt_f64_e32 vcc, v[148:149], v[150:151]
	v_add_u32_e32 v231, 16, v231
	s_cmp_lg_u32 s20, s16
	v_cndmask_b32_e32 v221, v221, v237, vcc
	v_cndmask_b32_e32 v220, v220, v236, vcc
	;; [unrolled: 1-line block ×5, first 2 shown]
	s_cbranch_scc1 .LBB108_1135
.LBB108_1136:
	s_waitcnt lgkmcnt(0)
	v_cmp_eq_f64_e32 vcc, 0, v[220:221]
	v_cmp_eq_f64_e64 s[0:1], 0, v[222:223]
	s_and_b64 s[0:1], vcc, s[0:1]
	s_and_saveexec_b64 s[16:17], s[0:1]
	s_xor_b64 s[0:1], exec, s[16:17]
; %bb.1137:
	v_cmp_ne_u32_e32 vcc, 0, v234
	s_nop 1
	v_cndmask_b32_e32 v234, 55, v234, vcc
; %bb.1138:
	s_andn2_saveexec_b64 s[0:1], s[0:1]
	s_cbranch_execz .LBB108_1144
; %bb.1139:
	v_cmp_ngt_f64_e64 s[16:17], |v[220:221]|, |v[222:223]|
	s_and_saveexec_b64 s[18:19], s[16:17]
	s_xor_b64 s[16:17], exec, s[18:19]
	s_cbranch_execz .LBB108_1141
; %bb.1140:
	v_div_scale_f64 v[148:149], s[18:19], v[222:223], v[222:223], v[220:221]
	v_rcp_f64_e32 v[150:151], v[148:149]
	v_div_scale_f64 v[226:227], vcc, v[220:221], v[222:223], v[220:221]
	v_fma_f64 v[228:229], -v[148:149], v[150:151], 1.0
	v_fmac_f64_e32 v[150:151], v[150:151], v[228:229]
	v_fma_f64 v[228:229], -v[148:149], v[150:151], 1.0
	v_fmac_f64_e32 v[150:151], v[150:151], v[228:229]
	v_mul_f64 v[228:229], v[226:227], v[150:151]
	v_fma_f64 v[148:149], -v[148:149], v[228:229], v[226:227]
	v_div_fmas_f64 v[148:149], v[148:149], v[150:151], v[228:229]
	v_div_fixup_f64 v[148:149], v[148:149], v[222:223], v[220:221]
	v_fmac_f64_e32 v[222:223], v[220:221], v[148:149]
	v_div_scale_f64 v[150:151], s[18:19], v[222:223], v[222:223], 1.0
	v_rcp_f64_e32 v[220:221], v[150:151]
	s_nop 0
	v_fma_f64 v[226:227], -v[150:151], v[220:221], 1.0
	v_fmac_f64_e32 v[220:221], v[220:221], v[226:227]
	v_fma_f64 v[226:227], -v[150:151], v[220:221], 1.0
	v_fmac_f64_e32 v[220:221], v[220:221], v[226:227]
	v_div_scale_f64 v[226:227], vcc, 1.0, v[222:223], 1.0
	v_mul_f64 v[228:229], v[226:227], v[220:221]
	v_fma_f64 v[150:151], -v[150:151], v[228:229], v[226:227]
	s_nop 1
	v_div_fmas_f64 v[150:151], v[150:151], v[220:221], v[228:229]
	v_div_fixup_f64 v[222:223], v[150:151], v[222:223], 1.0
	v_mul_f64 v[220:221], v[148:149], v[222:223]
	v_xor_b32_e32 v223, 0x80000000, v223
.LBB108_1141:
	s_andn2_saveexec_b64 s[16:17], s[16:17]
	s_cbranch_execz .LBB108_1143
; %bb.1142:
	v_div_scale_f64 v[148:149], s[18:19], v[220:221], v[220:221], v[222:223]
	v_rcp_f64_e32 v[150:151], v[148:149]
	v_div_scale_f64 v[226:227], vcc, v[222:223], v[220:221], v[222:223]
	v_fma_f64 v[228:229], -v[148:149], v[150:151], 1.0
	v_fmac_f64_e32 v[150:151], v[150:151], v[228:229]
	v_fma_f64 v[228:229], -v[148:149], v[150:151], 1.0
	v_fmac_f64_e32 v[150:151], v[150:151], v[228:229]
	v_mul_f64 v[228:229], v[226:227], v[150:151]
	v_fma_f64 v[148:149], -v[148:149], v[228:229], v[226:227]
	v_div_fmas_f64 v[148:149], v[148:149], v[150:151], v[228:229]
	v_div_fixup_f64 v[148:149], v[148:149], v[220:221], v[222:223]
	v_fmac_f64_e32 v[220:221], v[222:223], v[148:149]
	v_div_scale_f64 v[150:151], s[18:19], v[220:221], v[220:221], 1.0
	v_rcp_f64_e32 v[222:223], v[150:151]
	s_nop 0
	v_fma_f64 v[226:227], -v[150:151], v[222:223], 1.0
	v_fmac_f64_e32 v[222:223], v[222:223], v[226:227]
	v_fma_f64 v[226:227], -v[150:151], v[222:223], 1.0
	v_fmac_f64_e32 v[222:223], v[222:223], v[226:227]
	v_div_scale_f64 v[226:227], vcc, 1.0, v[220:221], 1.0
	v_mul_f64 v[228:229], v[226:227], v[222:223]
	v_fma_f64 v[150:151], -v[150:151], v[228:229], v[226:227]
	s_nop 1
	v_div_fmas_f64 v[150:151], v[150:151], v[222:223], v[228:229]
	v_div_fixup_f64 v[220:221], v[150:151], v[220:221], 1.0
	v_mul_f64 v[222:223], v[148:149], -v[220:221]
.LBB108_1143:
	s_or_b64 exec, exec, s[16:17]
.LBB108_1144:
	s_or_b64 exec, exec, s[0:1]
	v_cmp_ne_u32_e32 vcc, v233, v230
	v_mov_b32_e32 v232, 54
	s_and_saveexec_b64 s[0:1], vcc
	s_cbranch_execz .LBB108_1150
; %bb.1145:
	v_cmp_eq_u32_e32 vcc, 54, v233
	s_and_saveexec_b64 s[16:17], vcc
	s_cbranch_execz .LBB108_1149
; %bb.1146:
	v_cmp_ne_u32_e32 vcc, 54, v230
	s_xor_b64 s[14:15], s[14:15], -1
	s_and_b64 s[18:19], s[14:15], vcc
	s_and_saveexec_b64 s[14:15], s[18:19]
	s_cbranch_execz .LBB108_1148
; %bb.1147:
	v_ashrrev_i32_e32 v231, 31, v230
	s_waitcnt vmcnt(0)
	v_lshl_add_u64 v[148:149], v[230:231], 2, v[146:147]
	global_load_dword v150, v[148:149], off
	global_load_dword v151, v[146:147], off offset:216
	s_waitcnt vmcnt(1)
	global_store_dword v[146:147], v150, off offset:216
	s_waitcnt vmcnt(1)
	global_store_dword v[148:149], v151, off
.LBB108_1148:
	s_or_b64 exec, exec, s[14:15]
	v_mov_b32_e32 v233, v230
	v_mov_b32_e32 v224, v230
.LBB108_1149:
	s_or_b64 exec, exec, s[16:17]
	v_mov_b32_e32 v232, v233
.LBB108_1150:
	s_or_b64 exec, exec, s[0:1]
	v_cmp_gt_i32_e32 vcc, 55, v232
	v_ashrrev_i32_e32 v233, 31, v232
	s_barrier
	s_barrier
	s_and_saveexec_b64 s[0:1], vcc
	s_cbranch_execz .LBB108_1152
; %bb.1151:
	v_mov_b32_e32 v148, s6
	v_mov_b32_e32 v149, s7
	v_mul_lo_u32 v226, s11, v242
	v_mul_lo_u32 v227, s10, v243
	v_mad_u64_u32 v[150:151], s[6:7], s10, v242, 0
	v_add3_u32 v151, v151, v227, v226
	v_lshl_add_u64 v[148:149], v[150:151], 2, v[148:149]
	v_lshl_add_u64 v[148:149], s[8:9], 2, v[148:149]
	;; [unrolled: 1-line block ×3, first 2 shown]
	v_add3_u32 v150, v224, s13, 1
	global_store_dword v[148:149], v150, off
.LBB108_1152:
	s_or_b64 exec, exec, s[0:1]
	v_cmp_eq_u32_e32 vcc, 0, v232
	s_and_saveexec_b64 s[6:7], vcc
	s_cbranch_execz .LBB108_1155
; %bb.1153:
	v_mov_b32_e32 v148, s4
	v_mov_b32_e32 v149, s5
	v_lshl_add_u64 v[226:227], v[242:243], 2, v[148:149]
	global_load_dword v148, v[226:227], off
	v_cmp_ne_u32_e64 s[0:1], 0, v234
	s_waitcnt vmcnt(0)
	v_cmp_eq_u32_e32 vcc, 0, v148
	s_and_b64 s[0:1], vcc, s[0:1]
	s_and_b64 exec, exec, s[0:1]
	s_cbranch_execz .LBB108_1155
; %bb.1154:
	v_add_u32_e32 v148, s13, v234
	global_store_dword v[226:227], v148, off
.LBB108_1155:
	s_or_b64 exec, exec, s[6:7]
	v_mul_f64 v[150:151], v[220:221], v[218:219]
	v_fmac_f64_e32 v[150:151], v[222:223], v[216:217]
	v_cmp_lt_i32_e32 vcc, 54, v232
	v_mul_f64 v[148:149], v[222:223], v[218:219]
	v_add_u32_e32 v144, s12, v232
	v_cndmask_b32_e32 v219, v219, v151, vcc
	v_cndmask_b32_e32 v218, v218, v150, vcc
	scratch_load_dwordx2 v[150:151], off, off ; 8-byte Folded Reload
	v_fma_f64 v[148:149], v[220:221], v[216:217], -v[148:149]
	v_ashrrev_i32_e32 v145, 31, v144
	v_cndmask_b32_e32 v217, v217, v149, vcc
	v_cndmask_b32_e32 v216, v216, v148, vcc
	s_waitcnt vmcnt(0)
	v_lshl_add_u64 v[148:149], v[232:233], 4, v[150:151]
	v_lshl_add_u64 v[146:147], v[144:145], 4, v[150:151]
	v_add_u32_e32 v144, s2, v144
	global_store_dwordx4 v[148:149], v[248:251], off
	v_lshl_add_u64 v[148:149], s[2:3], 4, v[148:149]
	v_ashrrev_i32_e32 v145, 31, v144
	global_store_dwordx4 v[148:149], v[244:247], off
	global_store_dwordx4 v[146:147], v[212:215], off
	v_lshl_add_u64 v[146:147], v[144:145], 4, v[150:151]
	v_add_u32_e32 v144, s2, v144
	v_ashrrev_i32_e32 v145, 31, v144
	global_store_dwordx4 v[146:147], v[208:211], off
	v_lshl_add_u64 v[146:147], v[144:145], 4, v[150:151]
	v_add_u32_e32 v144, s2, v144
	v_ashrrev_i32_e32 v145, 31, v144
	;; [unrolled: 4-line block ×15, first 2 shown]
	global_store_dwordx4 v[146:147], v[152:155], off
	v_lshl_add_u64 v[146:147], v[144:145], 4, v[150:151]
	global_store_dwordx4 v[146:147], v[140:143], off
	s_nop 1
	v_add_u32_e32 v140, s2, v144
	v_ashrrev_i32_e32 v141, 31, v140
	v_lshl_add_u64 v[142:143], v[140:141], 4, v[150:151]
	global_store_dwordx4 v[142:143], v[136:139], off
	s_nop 1
	v_add_u32_e32 v136, s2, v140
	v_ashrrev_i32_e32 v137, 31, v136
	;; [unrolled: 5-line block ×36, first 2 shown]
	v_lshl_add_u64 v[0:1], v[0:1], 4, v[150:151]
	global_store_dwordx4 v[0:1], v[216:219], off
.LBB108_1156:
	s_endpgm
	.section	.rodata,"a",@progbits
	.p2align	6, 0x0
	.amdhsa_kernel _ZN9rocsolver6v33100L18getf2_small_kernelILi55E19rocblas_complex_numIdEiiPS3_EEvT1_T3_lS5_lPS5_llPT2_S5_S5_S7_l
		.amdhsa_group_segment_fixed_size 0
		.amdhsa_private_segment_fixed_size 44
		.amdhsa_kernarg_size 352
		.amdhsa_user_sgpr_count 2
		.amdhsa_user_sgpr_dispatch_ptr 0
		.amdhsa_user_sgpr_queue_ptr 0
		.amdhsa_user_sgpr_kernarg_segment_ptr 1
		.amdhsa_user_sgpr_dispatch_id 0
		.amdhsa_user_sgpr_kernarg_preload_length 0
		.amdhsa_user_sgpr_kernarg_preload_offset 0
		.amdhsa_user_sgpr_private_segment_size 0
		.amdhsa_uses_dynamic_stack 0
		.amdhsa_enable_private_segment 1
		.amdhsa_system_sgpr_workgroup_id_x 1
		.amdhsa_system_sgpr_workgroup_id_y 1
		.amdhsa_system_sgpr_workgroup_id_z 0
		.amdhsa_system_sgpr_workgroup_info 0
		.amdhsa_system_vgpr_workitem_id 1
		.amdhsa_next_free_vgpr 256
		.amdhsa_next_free_sgpr 26
		.amdhsa_accum_offset 256
		.amdhsa_reserve_vcc 1
		.amdhsa_float_round_mode_32 0
		.amdhsa_float_round_mode_16_64 0
		.amdhsa_float_denorm_mode_32 3
		.amdhsa_float_denorm_mode_16_64 3
		.amdhsa_dx10_clamp 1
		.amdhsa_ieee_mode 1
		.amdhsa_fp16_overflow 0
		.amdhsa_tg_split 0
		.amdhsa_exception_fp_ieee_invalid_op 0
		.amdhsa_exception_fp_denorm_src 0
		.amdhsa_exception_fp_ieee_div_zero 0
		.amdhsa_exception_fp_ieee_overflow 0
		.amdhsa_exception_fp_ieee_underflow 0
		.amdhsa_exception_fp_ieee_inexact 0
		.amdhsa_exception_int_div_zero 0
	.end_amdhsa_kernel
	.section	.text._ZN9rocsolver6v33100L18getf2_small_kernelILi55E19rocblas_complex_numIdEiiPS3_EEvT1_T3_lS5_lPS5_llPT2_S5_S5_S7_l,"axG",@progbits,_ZN9rocsolver6v33100L18getf2_small_kernelILi55E19rocblas_complex_numIdEiiPS3_EEvT1_T3_lS5_lPS5_llPT2_S5_S5_S7_l,comdat
.Lfunc_end108:
	.size	_ZN9rocsolver6v33100L18getf2_small_kernelILi55E19rocblas_complex_numIdEiiPS3_EEvT1_T3_lS5_lPS5_llPT2_S5_S5_S7_l, .Lfunc_end108-_ZN9rocsolver6v33100L18getf2_small_kernelILi55E19rocblas_complex_numIdEiiPS3_EEvT1_T3_lS5_lPS5_llPT2_S5_S5_S7_l
                                        ; -- End function
	.set _ZN9rocsolver6v33100L18getf2_small_kernelILi55E19rocblas_complex_numIdEiiPS3_EEvT1_T3_lS5_lPS5_llPT2_S5_S5_S7_l.num_vgpr, 256
	.set _ZN9rocsolver6v33100L18getf2_small_kernelILi55E19rocblas_complex_numIdEiiPS3_EEvT1_T3_lS5_lPS5_llPT2_S5_S5_S7_l.num_agpr, 0
	.set _ZN9rocsolver6v33100L18getf2_small_kernelILi55E19rocblas_complex_numIdEiiPS3_EEvT1_T3_lS5_lPS5_llPT2_S5_S5_S7_l.numbered_sgpr, 26
	.set _ZN9rocsolver6v33100L18getf2_small_kernelILi55E19rocblas_complex_numIdEiiPS3_EEvT1_T3_lS5_lPS5_llPT2_S5_S5_S7_l.num_named_barrier, 0
	.set _ZN9rocsolver6v33100L18getf2_small_kernelILi55E19rocblas_complex_numIdEiiPS3_EEvT1_T3_lS5_lPS5_llPT2_S5_S5_S7_l.private_seg_size, 44
	.set _ZN9rocsolver6v33100L18getf2_small_kernelILi55E19rocblas_complex_numIdEiiPS3_EEvT1_T3_lS5_lPS5_llPT2_S5_S5_S7_l.uses_vcc, 1
	.set _ZN9rocsolver6v33100L18getf2_small_kernelILi55E19rocblas_complex_numIdEiiPS3_EEvT1_T3_lS5_lPS5_llPT2_S5_S5_S7_l.uses_flat_scratch, 0
	.set _ZN9rocsolver6v33100L18getf2_small_kernelILi55E19rocblas_complex_numIdEiiPS3_EEvT1_T3_lS5_lPS5_llPT2_S5_S5_S7_l.has_dyn_sized_stack, 0
	.set _ZN9rocsolver6v33100L18getf2_small_kernelILi55E19rocblas_complex_numIdEiiPS3_EEvT1_T3_lS5_lPS5_llPT2_S5_S5_S7_l.has_recursion, 0
	.set _ZN9rocsolver6v33100L18getf2_small_kernelILi55E19rocblas_complex_numIdEiiPS3_EEvT1_T3_lS5_lPS5_llPT2_S5_S5_S7_l.has_indirect_call, 0
	.section	.AMDGPU.csdata,"",@progbits
; Kernel info:
; codeLenInByte = 145868
; TotalNumSgprs: 32
; NumVgprs: 256
; NumAgprs: 0
; TotalNumVgprs: 256
; ScratchSize: 44
; MemoryBound: 0
; FloatMode: 240
; IeeeMode: 1
; LDSByteSize: 0 bytes/workgroup (compile time only)
; SGPRBlocks: 3
; VGPRBlocks: 31
; NumSGPRsForWavesPerEU: 32
; NumVGPRsForWavesPerEU: 256
; AccumOffset: 256
; Occupancy: 2
; WaveLimiterHint : 0
; COMPUTE_PGM_RSRC2:SCRATCH_EN: 1
; COMPUTE_PGM_RSRC2:USER_SGPR: 2
; COMPUTE_PGM_RSRC2:TRAP_HANDLER: 0
; COMPUTE_PGM_RSRC2:TGID_X_EN: 1
; COMPUTE_PGM_RSRC2:TGID_Y_EN: 1
; COMPUTE_PGM_RSRC2:TGID_Z_EN: 0
; COMPUTE_PGM_RSRC2:TIDIG_COMP_CNT: 1
; COMPUTE_PGM_RSRC3_GFX90A:ACCUM_OFFSET: 63
; COMPUTE_PGM_RSRC3_GFX90A:TG_SPLIT: 0
	.section	.text._ZN9rocsolver6v33100L23getf2_npvt_small_kernelILi55E19rocblas_complex_numIdEiiPS3_EEvT1_T3_lS5_lPT2_S5_S5_,"axG",@progbits,_ZN9rocsolver6v33100L23getf2_npvt_small_kernelILi55E19rocblas_complex_numIdEiiPS3_EEvT1_T3_lS5_lPT2_S5_S5_,comdat
	.globl	_ZN9rocsolver6v33100L23getf2_npvt_small_kernelILi55E19rocblas_complex_numIdEiiPS3_EEvT1_T3_lS5_lPT2_S5_S5_ ; -- Begin function _ZN9rocsolver6v33100L23getf2_npvt_small_kernelILi55E19rocblas_complex_numIdEiiPS3_EEvT1_T3_lS5_lPT2_S5_S5_
	.p2align	8
	.type	_ZN9rocsolver6v33100L23getf2_npvt_small_kernelILi55E19rocblas_complex_numIdEiiPS3_EEvT1_T3_lS5_lPT2_S5_S5_,@function
_ZN9rocsolver6v33100L23getf2_npvt_small_kernelILi55E19rocblas_complex_numIdEiiPS3_EEvT1_T3_lS5_lPT2_S5_S5_: ; @_ZN9rocsolver6v33100L23getf2_npvt_small_kernelILi55E19rocblas_complex_numIdEiiPS3_EEvT1_T3_lS5_lPT2_S5_S5_
; %bb.0:
	s_load_dword s2, s[0:1], 0x44
	s_load_dwordx2 s[8:9], s[0:1], 0x30
	v_bfe_u32 v2, v0, 10, 10
	s_waitcnt lgkmcnt(0)
	s_lshr_b32 s2, s2, 16
	s_mul_i32 s3, s3, s2
	v_add_u32_e32 v4, s3, v2
	v_cmp_gt_i32_e32 vcc, s8, v4
	s_and_saveexec_b64 s[4:5], vcc
	s_cbranch_execnz .LBB109_1
; %bb.499:
	s_getpc_b64 s[16:17]
.Lpost_getpc6:
	s_add_u32 s16, s16, (.LBB109_498-.Lpost_getpc6)&4294967295
	s_addc_u32 s17, s17, (.LBB109_498-.Lpost_getpc6)>>32
	s_setpc_b64 s[16:17]
.LBB109_1:
	s_load_dwordx4 s[12:15], s[0:1], 0x8
	s_load_dword s10, s[0:1], 0x18
	s_load_dwordx4 s[4:7], s[0:1], 0x20
	v_ashrrev_i32_e32 v5, 31, v4
	scratch_store_dwordx2 off, v[4:5], off offset:1224 ; 8-byte Folded Spill
	v_and_b32_e32 v200, 0x3ff, v0
	s_waitcnt lgkmcnt(0)
	v_mov_b32_e32 v0, s12
	v_mul_lo_u32 v3, s5, v4
	v_mul_lo_u32 v6, s4, v5
	v_mad_u64_u32 v[4:5], s[0:1], s4, v4, 0
	v_mov_b32_e32 v1, s13
	v_add3_u32 v5, v5, v6, v3
	v_lshl_add_u64 v[0:1], v[4:5], 4, v[0:1]
	v_lshl_add_u64 v[0:1], s[14:15], 4, v[0:1]
	v_lshlrev_b32_e32 v4, 4, v200
	v_mov_b32_e32 v5, 0
	s_add_i32 s0, s10, s10
	v_lshl_add_u64 v[6:7], v[0:1], 0, v[4:5]
	v_add_u32_e32 v4, s0, v200
	v_ashrrev_i32_e32 v5, 31, v4
	v_lshl_add_u64 v[8:9], v[4:5], 4, v[0:1]
	v_add_u32_e32 v4, s10, v4
	v_ashrrev_i32_e32 v5, 31, v4
	v_lshl_add_u64 v[10:11], v[4:5], 4, v[0:1]
	v_add_u32_e32 v4, s10, v4
	v_ashrrev_i32_e32 v5, 31, v4
	v_lshl_add_u64 v[12:13], v[4:5], 4, v[0:1]
	v_add_u32_e32 v4, s10, v4
	v_ashrrev_i32_e32 v5, 31, v4
	v_lshl_add_u64 v[14:15], v[4:5], 4, v[0:1]
	v_add_u32_e32 v4, s10, v4
	v_ashrrev_i32_e32 v5, 31, v4
	v_lshl_add_u64 v[16:17], v[4:5], 4, v[0:1]
	v_add_u32_e32 v4, s10, v4
	v_ashrrev_i32_e32 v5, 31, v4
	v_lshl_add_u64 v[18:19], v[4:5], 4, v[0:1]
	v_add_u32_e32 v4, s10, v4
	v_ashrrev_i32_e32 v5, 31, v4
	v_lshl_add_u64 v[20:21], v[4:5], 4, v[0:1]
	v_add_u32_e32 v4, s10, v4
	v_ashrrev_i32_e32 v5, 31, v4
	v_lshl_add_u64 v[22:23], v[4:5], 4, v[0:1]
	v_add_u32_e32 v4, s10, v4
	v_ashrrev_i32_e32 v5, 31, v4
	v_lshl_add_u64 v[24:25], v[4:5], 4, v[0:1]
	v_add_u32_e32 v4, s10, v4
	v_ashrrev_i32_e32 v5, 31, v4
	v_lshl_add_u64 v[26:27], v[4:5], 4, v[0:1]
	v_add_u32_e32 v4, s10, v4
	v_ashrrev_i32_e32 v5, 31, v4
	v_lshl_add_u64 v[28:29], v[4:5], 4, v[0:1]
	v_add_u32_e32 v4, s10, v4
	v_ashrrev_i32_e32 v5, 31, v4
	v_lshl_add_u64 v[30:31], v[4:5], 4, v[0:1]
	v_add_u32_e32 v4, s10, v4
	v_ashrrev_i32_e32 v5, 31, v4
	v_lshl_add_u64 v[32:33], v[4:5], 4, v[0:1]
	v_add_u32_e32 v4, s10, v4
	v_ashrrev_i32_e32 v5, 31, v4
	v_lshl_add_u64 v[34:35], v[4:5], 4, v[0:1]
	v_add_u32_e32 v4, s10, v4
	v_ashrrev_i32_e32 v5, 31, v4
	v_lshl_add_u64 v[36:37], v[4:5], 4, v[0:1]
	v_add_u32_e32 v4, s10, v4
	v_ashrrev_i32_e32 v5, 31, v4
	v_lshl_add_u64 v[38:39], v[4:5], 4, v[0:1]
	v_add_u32_e32 v4, s10, v4
	v_ashrrev_i32_e32 v5, 31, v4
	v_lshl_add_u64 v[40:41], v[4:5], 4, v[0:1]
	v_add_u32_e32 v4, s10, v4
	v_ashrrev_i32_e32 v5, 31, v4
	v_lshl_add_u64 v[42:43], v[4:5], 4, v[0:1]
	v_add_u32_e32 v4, s10, v4
	v_ashrrev_i32_e32 v5, 31, v4
	v_lshl_add_u64 v[44:45], v[4:5], 4, v[0:1]
	v_add_u32_e32 v4, s10, v4
	v_ashrrev_i32_e32 v5, 31, v4
	v_lshl_add_u64 v[46:47], v[4:5], 4, v[0:1]
	v_add_u32_e32 v4, s10, v4
	v_ashrrev_i32_e32 v5, 31, v4
	v_lshl_add_u64 v[48:49], v[4:5], 4, v[0:1]
	v_add_u32_e32 v4, s10, v4
	v_ashrrev_i32_e32 v5, 31, v4
	v_lshl_add_u64 v[50:51], v[4:5], 4, v[0:1]
	v_add_u32_e32 v4, s10, v4
	v_ashrrev_i32_e32 v5, 31, v4
	v_lshl_add_u64 v[52:53], v[4:5], 4, v[0:1]
	v_add_u32_e32 v4, s10, v4
	v_ashrrev_i32_e32 v5, 31, v4
	v_lshl_add_u64 v[54:55], v[4:5], 4, v[0:1]
	v_add_u32_e32 v4, s10, v4
	v_ashrrev_i32_e32 v5, 31, v4
	v_lshl_add_u64 v[56:57], v[4:5], 4, v[0:1]
	v_add_u32_e32 v4, s10, v4
	v_ashrrev_i32_e32 v5, 31, v4
	v_lshl_add_u64 v[58:59], v[4:5], 4, v[0:1]
	v_add_u32_e32 v4, s10, v4
	v_ashrrev_i32_e32 v5, 31, v4
	v_lshl_add_u64 v[60:61], v[4:5], 4, v[0:1]
	v_add_u32_e32 v4, s10, v4
	v_ashrrev_i32_e32 v5, 31, v4
	v_lshl_add_u64 v[62:63], v[4:5], 4, v[0:1]
	v_add_u32_e32 v4, s10, v4
	v_ashrrev_i32_e32 v5, 31, v4
	v_lshl_add_u64 v[64:65], v[4:5], 4, v[0:1]
	v_add_u32_e32 v4, s10, v4
	v_ashrrev_i32_e32 v5, 31, v4
	v_lshl_add_u64 v[66:67], v[4:5], 4, v[0:1]
	v_add_u32_e32 v4, s10, v4
	v_ashrrev_i32_e32 v5, 31, v4
	v_lshl_add_u64 v[68:69], v[4:5], 4, v[0:1]
	v_add_u32_e32 v4, s10, v4
	v_ashrrev_i32_e32 v5, 31, v4
	v_lshl_add_u64 v[70:71], v[4:5], 4, v[0:1]
	v_add_u32_e32 v4, s10, v4
	v_ashrrev_i32_e32 v5, 31, v4
	v_lshl_add_u64 v[72:73], v[4:5], 4, v[0:1]
	v_add_u32_e32 v4, s10, v4
	v_ashrrev_i32_e32 v5, 31, v4
	v_lshl_add_u64 v[74:75], v[4:5], 4, v[0:1]
	v_add_u32_e32 v4, s10, v4
	v_ashrrev_i32_e32 v5, 31, v4
	v_lshl_add_u64 v[196:197], v[4:5], 4, v[0:1]
	v_add_u32_e32 v4, s10, v4
	v_ashrrev_i32_e32 v5, 31, v4
	v_lshl_add_u64 v[198:199], v[4:5], 4, v[0:1]
	v_add_u32_e32 v4, s10, v4
	v_ashrrev_i32_e32 v5, 31, v4
	v_lshl_add_u64 v[204:205], v[4:5], 4, v[0:1]
	v_add_u32_e32 v4, s10, v4
	v_ashrrev_i32_e32 v5, 31, v4
	v_lshl_add_u64 v[206:207], v[4:5], 4, v[0:1]
	v_add_u32_e32 v4, s10, v4
	v_ashrrev_i32_e32 v5, 31, v4
	v_lshl_add_u64 v[208:209], v[4:5], 4, v[0:1]
	v_add_u32_e32 v4, s10, v4
	v_ashrrev_i32_e32 v5, 31, v4
	v_lshl_add_u64 v[210:211], v[4:5], 4, v[0:1]
	v_add_u32_e32 v4, s10, v4
	v_ashrrev_i32_e32 v5, 31, v4
	v_lshl_add_u64 v[212:213], v[4:5], 4, v[0:1]
	v_add_u32_e32 v4, s10, v4
	v_ashrrev_i32_e32 v5, 31, v4
	v_lshl_add_u64 v[214:215], v[4:5], 4, v[0:1]
	v_add_u32_e32 v4, s10, v4
	v_ashrrev_i32_e32 v5, 31, v4
	v_lshl_add_u64 v[216:217], v[4:5], 4, v[0:1]
	v_add_u32_e32 v4, s10, v4
	v_ashrrev_i32_e32 v5, 31, v4
	v_lshl_add_u64 v[218:219], v[4:5], 4, v[0:1]
	v_add_u32_e32 v4, s10, v4
	v_ashrrev_i32_e32 v5, 31, v4
	v_lshl_add_u64 v[220:221], v[4:5], 4, v[0:1]
	v_add_u32_e32 v4, s10, v4
	v_ashrrev_i32_e32 v5, 31, v4
	v_lshl_add_u64 v[222:223], v[4:5], 4, v[0:1]
	v_add_u32_e32 v4, s10, v4
	v_ashrrev_i32_e32 v5, 31, v4
	v_lshl_add_u64 v[224:225], v[4:5], 4, v[0:1]
	v_add_u32_e32 v4, s10, v4
	v_ashrrev_i32_e32 v5, 31, v4
	v_lshl_add_u64 v[226:227], v[4:5], 4, v[0:1]
	v_add_u32_e32 v4, s10, v4
	v_ashrrev_i32_e32 v5, 31, v4
	v_lshl_add_u64 v[228:229], v[4:5], 4, v[0:1]
	v_add_u32_e32 v4, s10, v4
	v_ashrrev_i32_e32 v5, 31, v4
	v_lshl_add_u64 v[230:231], v[4:5], 4, v[0:1]
	v_add_u32_e32 v4, s10, v4
	v_ashrrev_i32_e32 v5, 31, v4
	v_lshl_add_u64 v[232:233], v[4:5], 4, v[0:1]
	v_add_u32_e32 v4, s10, v4
	v_ashrrev_i32_e32 v5, 31, v4
	v_lshl_add_u64 v[234:235], v[4:5], 4, v[0:1]
	v_add_u32_e32 v4, s10, v4
	s_mulk_i32 s2, 0x370
	v_ashrrev_i32_e32 v5, 31, v4
	s_movk_i32 s0, 0x370
	s_add_i32 s1, s2, 0
	v_lshl_add_u64 v[236:237], v[4:5], 4, v[0:1]
	v_mad_u32_u24 v202, v2, s0, 0
	v_lshl_add_u32 v201, v2, 4, s1
	global_load_dwordx4 v[2:5], v[6:7], off
	s_ashr_i32 s11, s10, 31
	v_lshl_add_u64 v[0:1], s[10:11], 4, v[6:7]
	scratch_store_dwordx2 off, v[6:7], off offset:80 ; 8-byte Folded Spill
	v_cmp_ne_u32_e64 s[2:3], 0, v200
	v_cmp_eq_u32_e64 s[0:1], 0, v200
	s_waitcnt vmcnt(1)
	scratch_store_dwordx4 off, v[2:5], off offset:64 ; 16-byte Folded Spill
	scratch_store_dwordx2 off, v[0:1], off offset:512 ; 8-byte Folded Spill
	global_load_dwordx4 v[0:3], v[0:1], off
	s_waitcnt vmcnt(0)
	scratch_store_dwordx4 off, v[0:3], off offset:48 ; 16-byte Folded Spill
	scratch_store_dwordx2 off, v[8:9], off offset:88 ; 8-byte Folded Spill
	global_load_dwordx4 v[0:3], v[8:9], off
	;; [unrolled: 4-line block ×4, first 2 shown]
	s_nop 0
	global_load_dwordx4 v[4:7], v[14:15], off
	s_nop 0
	scratch_store_dwordx2 off, v[14:15], off offset:112 ; 8-byte Folded Spill
	s_waitcnt vmcnt(1)
	scratch_store_dwordx4 off, v[4:7], off  ; 16-byte Folded Spill
	scratch_store_dwordx2 off, v[16:17], off offset:120 ; 8-byte Folded Spill
	scratch_store_dwordx2 off, v[64:65], off offset:312 ; 8-byte Folded Spill
	global_load_dwordx4 v[92:95], v[64:65], off
	global_load_dwordx4 v[88:91], v[66:67], off
	;; [unrolled: 1-line block ×32, first 2 shown]
	s_nop 0
	scratch_store_dwordx2 off, v[66:67], off offset:320 ; 8-byte Folded Spill
	scratch_store_dwordx2 off, v[68:69], off offset:328 ; 8-byte Folded Spill
	;; [unrolled: 1-line block ×6, first 2 shown]
	global_load_dwordx4 v[68:71], v[196:197], off
	s_nop 0
	global_load_dwordx4 v[72:75], v[74:75], off
	s_nop 0
	;; [unrolled: 2-line block ×3, first 2 shown]
	scratch_store_dwordx2 off, v[198:199], off offset:368 ; 8-byte Folded Spill
	v_mov_b64_e32 v[198:199], v[2:3]
	scratch_store_dwordx2 off, v[18:19], off offset:128 ; 8-byte Folded Spill
	scratch_store_dwordx2 off, v[20:21], off offset:136 ; 8-byte Folded Spill
	;; [unrolled: 1-line block ×23, first 2 shown]
	v_mov_b64_e32 v[196:197], v[0:1]
	global_load_dwordx4 v[60:63], v[204:205], off
	global_load_dwordx4 v[56:59], v[206:207], off
	;; [unrolled: 1-line block ×13, first 2 shown]
	s_nop 0
	scratch_store_dwordx2 off, v[216:217], off offset:424 ; 8-byte Folded Spill
	scratch_store_dwordx2 off, v[218:219], off offset:432 ; 8-byte Folded Spill
	global_load_dwordx4 v[216:219], v[236:237], off
	s_nop 0
	scratch_store_dwordx2 off, v[204:205], off offset:376 ; 8-byte Folded Spill
	scratch_store_dwordx2 off, v[206:207], off offset:384 ; 8-byte Folded Spill
	;; [unrolled: 1-line block ×15, first 2 shown]
	s_and_saveexec_b64 s[10:11], s[0:1]
	s_cbranch_execz .LBB109_8
; %bb.2:
	scratch_load_dwordx4 v[192:195], off, off offset:64 ; 16-byte Folded Reload
	s_waitcnt vmcnt(0)
	ds_write2_b64 v201, v[192:193], v[194:195] offset1:1
	scratch_load_dwordx4 v[192:195], off, off offset:48 ; 16-byte Folded Reload
	s_waitcnt vmcnt(0)
	ds_write2_b64 v202, v[192:193], v[194:195] offset0:2 offset1:3
	scratch_load_dwordx4 v[192:195], off, off offset:32 ; 16-byte Folded Reload
	s_waitcnt vmcnt(0)
	ds_write2_b64 v202, v[192:193], v[194:195] offset0:4 offset1:5
	;; [unrolled: 3-line block ×3, first 2 shown]
	ds_write2_b64 v202, v[196:197], v[198:199] offset0:8 offset1:9
	scratch_load_dwordx4 v[192:195], off, off ; 16-byte Folded Reload
	s_waitcnt vmcnt(0)
	ds_write2_b64 v202, v[192:193], v[194:195] offset0:10 offset1:11
	ds_write2_b64 v202, v[188:189], v[190:191] offset0:12 offset1:13
	;; [unrolled: 1-line block ×50, first 2 shown]
	ds_read2_b64 v[208:211], v201 offset1:1
	s_waitcnt lgkmcnt(0)
	v_cmp_neq_f64_e32 vcc, 0, v[208:209]
	v_cmp_neq_f64_e64 s[4:5], 0, v[210:211]
	s_or_b64 s[4:5], vcc, s[4:5]
	s_and_b64 exec, exec, s[4:5]
	s_cbranch_execz .LBB109_8
; %bb.3:
	v_cmp_ngt_f64_e64 s[4:5], |v[208:209]|, |v[210:211]|
                                        ; implicit-def: $vgpr204_vgpr205
	s_and_saveexec_b64 s[12:13], s[4:5]
	s_xor_b64 s[4:5], exec, s[12:13]
                                        ; implicit-def: $vgpr206_vgpr207
	s_cbranch_execz .LBB109_5
; %bb.4:
	v_div_scale_f64 v[204:205], s[12:13], v[210:211], v[210:211], v[208:209]
	v_rcp_f64_e32 v[206:207], v[204:205]
	v_div_scale_f64 v[212:213], vcc, v[208:209], v[210:211], v[208:209]
	v_fma_f64 v[214:215], -v[204:205], v[206:207], 1.0
	v_fmac_f64_e32 v[206:207], v[206:207], v[214:215]
	v_fma_f64 v[214:215], -v[204:205], v[206:207], 1.0
	v_fmac_f64_e32 v[206:207], v[206:207], v[214:215]
	v_mul_f64 v[214:215], v[212:213], v[206:207]
	v_fma_f64 v[204:205], -v[204:205], v[214:215], v[212:213]
	v_div_fmas_f64 v[204:205], v[204:205], v[206:207], v[214:215]
	v_div_fixup_f64 v[204:205], v[204:205], v[210:211], v[208:209]
	v_fmac_f64_e32 v[210:211], v[208:209], v[204:205]
	v_div_scale_f64 v[206:207], s[12:13], v[210:211], v[210:211], 1.0
	v_rcp_f64_e32 v[208:209], v[206:207]
	s_nop 0
	v_fma_f64 v[212:213], -v[206:207], v[208:209], 1.0
	v_fmac_f64_e32 v[208:209], v[208:209], v[212:213]
	v_fma_f64 v[212:213], -v[206:207], v[208:209], 1.0
	v_fmac_f64_e32 v[208:209], v[208:209], v[212:213]
	v_div_scale_f64 v[212:213], vcc, 1.0, v[210:211], 1.0
	v_mul_f64 v[214:215], v[212:213], v[208:209]
	v_fma_f64 v[206:207], -v[206:207], v[214:215], v[212:213]
	s_nop 1
	v_div_fmas_f64 v[206:207], v[206:207], v[208:209], v[214:215]
	v_div_fixup_f64 v[206:207], v[206:207], v[210:211], 1.0
	v_mul_f64 v[204:205], v[204:205], v[206:207]
	v_xor_b32_e32 v207, 0x80000000, v207
                                        ; implicit-def: $vgpr208_vgpr209
.LBB109_5:
	s_andn2_saveexec_b64 s[4:5], s[4:5]
	s_cbranch_execz .LBB109_7
; %bb.6:
	v_div_scale_f64 v[204:205], s[12:13], v[208:209], v[208:209], v[210:211]
	v_rcp_f64_e32 v[206:207], v[204:205]
	v_div_scale_f64 v[212:213], vcc, v[210:211], v[208:209], v[210:211]
	v_fma_f64 v[214:215], -v[204:205], v[206:207], 1.0
	v_fmac_f64_e32 v[206:207], v[206:207], v[214:215]
	v_fma_f64 v[214:215], -v[204:205], v[206:207], 1.0
	v_fmac_f64_e32 v[206:207], v[206:207], v[214:215]
	v_mul_f64 v[214:215], v[212:213], v[206:207]
	v_fma_f64 v[204:205], -v[204:205], v[214:215], v[212:213]
	v_div_fmas_f64 v[204:205], v[204:205], v[206:207], v[214:215]
	v_div_fixup_f64 v[206:207], v[204:205], v[208:209], v[210:211]
	v_fmac_f64_e32 v[208:209], v[210:211], v[206:207]
	v_div_scale_f64 v[204:205], s[12:13], v[208:209], v[208:209], 1.0
	v_rcp_f64_e32 v[210:211], v[204:205]
	s_nop 0
	v_fma_f64 v[212:213], -v[204:205], v[210:211], 1.0
	v_fmac_f64_e32 v[210:211], v[210:211], v[212:213]
	v_fma_f64 v[212:213], -v[204:205], v[210:211], 1.0
	v_fmac_f64_e32 v[210:211], v[210:211], v[212:213]
	v_div_scale_f64 v[212:213], vcc, 1.0, v[208:209], 1.0
	v_mul_f64 v[214:215], v[212:213], v[210:211]
	v_fma_f64 v[204:205], -v[204:205], v[214:215], v[212:213]
	s_nop 1
	v_div_fmas_f64 v[204:205], v[204:205], v[210:211], v[214:215]
	v_div_fixup_f64 v[204:205], v[204:205], v[208:209], 1.0
	v_mul_f64 v[206:207], v[206:207], -v[204:205]
.LBB109_7:
	s_or_b64 exec, exec, s[4:5]
	ds_write2_b64 v201, v[204:205], v[206:207] offset1:1
.LBB109_8:
	s_or_b64 exec, exec, s[10:11]
	s_waitcnt lgkmcnt(0)
	s_barrier
	ds_read2_b64 v[192:195], v201 offset1:1
	s_waitcnt lgkmcnt(0)
	scratch_store_dwordx4 off, v[192:195], off offset:520 ; 16-byte Folded Spill
	s_and_saveexec_b64 s[4:5], s[2:3]
	s_cbranch_execz .LBB109_10
; %bb.9:
	scratch_load_dwordx4 v[210:213], off, off offset:64 ; 16-byte Folded Reload
	scratch_load_dwordx4 v[192:195], off, off offset:520 ; 16-byte Folded Reload
	s_waitcnt vmcnt(0)
	v_mul_f64 v[204:205], v[194:195], v[212:213]
	v_mul_f64 v[212:213], v[192:193], v[212:213]
	v_fma_f64 v[208:209], v[192:193], v[210:211], -v[204:205]
	v_fmac_f64_e32 v[212:213], v[194:195], v[210:211]
	scratch_load_dwordx4 v[192:195], off, off offset:48 ; 16-byte Folded Reload
	ds_read2_b64 v[204:207], v202 offset0:2 offset1:3
	s_waitcnt lgkmcnt(0)
	v_mul_f64 v[210:211], v[206:207], v[212:213]
	v_fma_f64 v[210:211], v[204:205], v[208:209], -v[210:211]
	v_mul_f64 v[204:205], v[204:205], v[212:213]
	v_fmac_f64_e32 v[204:205], v[206:207], v[208:209]
	s_waitcnt vmcnt(0)
	v_add_f64 v[192:193], v[192:193], -v[210:211]
	v_add_f64 v[194:195], v[194:195], -v[204:205]
	scratch_store_dwordx4 off, v[192:195], off offset:48 ; 16-byte Folded Spill
	scratch_load_dwordx4 v[192:195], off, off offset:32 ; 16-byte Folded Reload
	ds_read2_b64 v[204:207], v202 offset0:4 offset1:5
	s_waitcnt lgkmcnt(0)
	v_mul_f64 v[210:211], v[206:207], v[212:213]
	v_fma_f64 v[210:211], v[204:205], v[208:209], -v[210:211]
	v_mul_f64 v[204:205], v[204:205], v[212:213]
	v_fmac_f64_e32 v[204:205], v[206:207], v[208:209]
	s_waitcnt vmcnt(0)
	v_add_f64 v[192:193], v[192:193], -v[210:211]
	v_add_f64 v[194:195], v[194:195], -v[204:205]
	scratch_store_dwordx4 off, v[192:195], off offset:32 ; 16-byte Folded Spill
	;; [unrolled: 11-line block ×3, first 2 shown]
	scratch_load_dwordx4 v[192:195], off, off ; 16-byte Folded Reload
	ds_read2_b64 v[204:207], v202 offset0:8 offset1:9
	s_waitcnt lgkmcnt(0)
	v_mul_f64 v[210:211], v[206:207], v[212:213]
	v_fma_f64 v[210:211], v[204:205], v[208:209], -v[210:211]
	v_mul_f64 v[204:205], v[204:205], v[212:213]
	v_fmac_f64_e32 v[204:205], v[206:207], v[208:209]
	v_add_f64 v[198:199], v[198:199], -v[204:205]
	ds_read2_b64 v[204:207], v202 offset0:10 offset1:11
	v_add_f64 v[196:197], v[196:197], -v[210:211]
	s_waitcnt lgkmcnt(0)
	v_mul_f64 v[210:211], v[206:207], v[212:213]
	v_fma_f64 v[210:211], v[204:205], v[208:209], -v[210:211]
	v_mul_f64 v[204:205], v[204:205], v[212:213]
	v_fmac_f64_e32 v[204:205], v[206:207], v[208:209]
	s_waitcnt vmcnt(0)
	v_add_f64 v[194:195], v[194:195], -v[204:205]
	ds_read2_b64 v[204:207], v202 offset0:12 offset1:13
	v_add_f64 v[192:193], v[192:193], -v[210:211]
	scratch_store_dwordx4 off, v[192:195], off ; 16-byte Folded Spill
	s_waitcnt lgkmcnt(0)
	v_mul_f64 v[210:211], v[206:207], v[212:213]
	v_fma_f64 v[210:211], v[204:205], v[208:209], -v[210:211]
	v_mul_f64 v[204:205], v[204:205], v[212:213]
	v_fmac_f64_e32 v[204:205], v[206:207], v[208:209]
	v_add_f64 v[190:191], v[190:191], -v[204:205]
	ds_read2_b64 v[204:207], v202 offset0:14 offset1:15
	v_add_f64 v[188:189], v[188:189], -v[210:211]
	s_waitcnt lgkmcnt(0)
	v_mul_f64 v[210:211], v[206:207], v[212:213]
	v_fma_f64 v[210:211], v[204:205], v[208:209], -v[210:211]
	v_mul_f64 v[204:205], v[204:205], v[212:213]
	v_fmac_f64_e32 v[204:205], v[206:207], v[208:209]
	v_add_f64 v[186:187], v[186:187], -v[204:205]
	ds_read2_b64 v[204:207], v202 offset0:16 offset1:17
	v_add_f64 v[184:185], v[184:185], -v[210:211]
	;; [unrolled: 8-line block ×48, first 2 shown]
	s_waitcnt lgkmcnt(0)
	v_mul_f64 v[210:211], v[206:207], v[212:213]
	v_fma_f64 v[210:211], v[204:205], v[208:209], -v[210:211]
	v_mul_f64 v[204:205], v[204:205], v[212:213]
	v_fmac_f64_e32 v[204:205], v[206:207], v[208:209]
	v_add_f64 v[216:217], v[216:217], -v[210:211]
	v_add_f64 v[218:219], v[218:219], -v[204:205]
	v_mov_b64_e32 v[210:211], v[208:209]
	scratch_store_dwordx4 off, v[210:213], off offset:64 ; 16-byte Folded Spill
.LBB109_10:
	s_or_b64 exec, exec, s[4:5]
	v_cmp_eq_u32_e32 vcc, 1, v200
	s_waitcnt vmcnt(63) expcnt(7) lgkmcnt(15)
	s_barrier
	s_and_saveexec_b64 s[4:5], vcc
	s_cbranch_execz .LBB109_17
; %bb.11:
	scratch_load_dwordx4 v[192:195], off, off offset:48 ; 16-byte Folded Reload
	s_waitcnt vmcnt(0)
	ds_write2_b64 v201, v[192:193], v[194:195] offset1:1
	scratch_load_dwordx4 v[192:195], off, off offset:32 ; 16-byte Folded Reload
	s_waitcnt vmcnt(0)
	ds_write2_b64 v202, v[192:193], v[194:195] offset0:4 offset1:5
	scratch_load_dwordx4 v[192:195], off, off offset:16 ; 16-byte Folded Reload
	s_waitcnt vmcnt(0)
	ds_write2_b64 v202, v[192:193], v[194:195] offset0:6 offset1:7
	ds_write2_b64 v202, v[196:197], v[198:199] offset0:8 offset1:9
	scratch_load_dwordx4 v[192:195], off, off ; 16-byte Folded Reload
	s_waitcnt vmcnt(0)
	ds_write2_b64 v202, v[192:193], v[194:195] offset0:10 offset1:11
	ds_write2_b64 v202, v[188:189], v[190:191] offset0:12 offset1:13
	;; [unrolled: 1-line block ×50, first 2 shown]
	ds_read2_b64 v[208:211], v201 offset1:1
	s_waitcnt lgkmcnt(0)
	v_cmp_neq_f64_e32 vcc, 0, v[208:209]
	v_cmp_neq_f64_e64 s[2:3], 0, v[210:211]
	s_or_b64 s[2:3], vcc, s[2:3]
	s_and_b64 exec, exec, s[2:3]
	s_cbranch_execz .LBB109_17
; %bb.12:
	v_cmp_ngt_f64_e64 s[2:3], |v[208:209]|, |v[210:211]|
                                        ; implicit-def: $vgpr204_vgpr205
	s_and_saveexec_b64 s[10:11], s[2:3]
	s_xor_b64 s[2:3], exec, s[10:11]
                                        ; implicit-def: $vgpr206_vgpr207
	s_cbranch_execz .LBB109_14
; %bb.13:
	v_div_scale_f64 v[204:205], s[10:11], v[210:211], v[210:211], v[208:209]
	v_rcp_f64_e32 v[206:207], v[204:205]
	v_div_scale_f64 v[212:213], vcc, v[208:209], v[210:211], v[208:209]
	v_fma_f64 v[214:215], -v[204:205], v[206:207], 1.0
	v_fmac_f64_e32 v[206:207], v[206:207], v[214:215]
	v_fma_f64 v[214:215], -v[204:205], v[206:207], 1.0
	v_fmac_f64_e32 v[206:207], v[206:207], v[214:215]
	v_mul_f64 v[214:215], v[212:213], v[206:207]
	v_fma_f64 v[204:205], -v[204:205], v[214:215], v[212:213]
	v_div_fmas_f64 v[204:205], v[204:205], v[206:207], v[214:215]
	v_div_fixup_f64 v[204:205], v[204:205], v[210:211], v[208:209]
	v_fmac_f64_e32 v[210:211], v[208:209], v[204:205]
	v_div_scale_f64 v[206:207], s[10:11], v[210:211], v[210:211], 1.0
	v_rcp_f64_e32 v[208:209], v[206:207]
	s_nop 0
	v_fma_f64 v[212:213], -v[206:207], v[208:209], 1.0
	v_fmac_f64_e32 v[208:209], v[208:209], v[212:213]
	v_fma_f64 v[212:213], -v[206:207], v[208:209], 1.0
	v_fmac_f64_e32 v[208:209], v[208:209], v[212:213]
	v_div_scale_f64 v[212:213], vcc, 1.0, v[210:211], 1.0
	v_mul_f64 v[214:215], v[212:213], v[208:209]
	v_fma_f64 v[206:207], -v[206:207], v[214:215], v[212:213]
	s_nop 1
	v_div_fmas_f64 v[206:207], v[206:207], v[208:209], v[214:215]
	v_div_fixup_f64 v[206:207], v[206:207], v[210:211], 1.0
	v_mul_f64 v[204:205], v[204:205], v[206:207]
	v_xor_b32_e32 v207, 0x80000000, v207
                                        ; implicit-def: $vgpr208_vgpr209
.LBB109_14:
	s_andn2_saveexec_b64 s[2:3], s[2:3]
	s_cbranch_execz .LBB109_16
; %bb.15:
	v_div_scale_f64 v[204:205], s[10:11], v[208:209], v[208:209], v[210:211]
	v_rcp_f64_e32 v[206:207], v[204:205]
	v_div_scale_f64 v[212:213], vcc, v[210:211], v[208:209], v[210:211]
	v_fma_f64 v[214:215], -v[204:205], v[206:207], 1.0
	v_fmac_f64_e32 v[206:207], v[206:207], v[214:215]
	v_fma_f64 v[214:215], -v[204:205], v[206:207], 1.0
	v_fmac_f64_e32 v[206:207], v[206:207], v[214:215]
	v_mul_f64 v[214:215], v[212:213], v[206:207]
	v_fma_f64 v[204:205], -v[204:205], v[214:215], v[212:213]
	v_div_fmas_f64 v[204:205], v[204:205], v[206:207], v[214:215]
	v_div_fixup_f64 v[206:207], v[204:205], v[208:209], v[210:211]
	v_fmac_f64_e32 v[208:209], v[210:211], v[206:207]
	v_div_scale_f64 v[204:205], s[10:11], v[208:209], v[208:209], 1.0
	v_rcp_f64_e32 v[210:211], v[204:205]
	s_nop 0
	v_fma_f64 v[212:213], -v[204:205], v[210:211], 1.0
	v_fmac_f64_e32 v[210:211], v[210:211], v[212:213]
	v_fma_f64 v[212:213], -v[204:205], v[210:211], 1.0
	v_fmac_f64_e32 v[210:211], v[210:211], v[212:213]
	v_div_scale_f64 v[212:213], vcc, 1.0, v[208:209], 1.0
	v_mul_f64 v[214:215], v[212:213], v[210:211]
	v_fma_f64 v[204:205], -v[204:205], v[214:215], v[212:213]
	s_nop 1
	v_div_fmas_f64 v[204:205], v[204:205], v[210:211], v[214:215]
	v_div_fixup_f64 v[204:205], v[204:205], v[208:209], 1.0
	v_mul_f64 v[206:207], v[206:207], -v[204:205]
.LBB109_16:
	s_or_b64 exec, exec, s[2:3]
	ds_write2_b64 v201, v[204:205], v[206:207] offset1:1
.LBB109_17:
	s_or_b64 exec, exec, s[4:5]
	s_waitcnt lgkmcnt(0)
	s_barrier
	ds_read2_b64 v[192:195], v201 offset1:1
	v_cmp_lt_u32_e32 vcc, 1, v200
	s_waitcnt lgkmcnt(0)
	scratch_store_dwordx4 off, v[192:195], off offset:536 ; 16-byte Folded Spill
	s_and_saveexec_b64 s[2:3], vcc
	s_cbranch_execz .LBB109_19
; %bb.18:
	scratch_load_dwordx4 v[210:213], off, off offset:48 ; 16-byte Folded Reload
	scratch_load_dwordx4 v[192:195], off, off offset:536 ; 16-byte Folded Reload
	s_waitcnt vmcnt(0)
	v_mul_f64 v[204:205], v[194:195], v[212:213]
	v_mul_f64 v[212:213], v[192:193], v[212:213]
	v_fma_f64 v[208:209], v[192:193], v[210:211], -v[204:205]
	v_fmac_f64_e32 v[212:213], v[194:195], v[210:211]
	scratch_load_dwordx4 v[192:195], off, off offset:32 ; 16-byte Folded Reload
	ds_read2_b64 v[204:207], v202 offset0:4 offset1:5
	s_waitcnt lgkmcnt(0)
	v_mul_f64 v[210:211], v[206:207], v[212:213]
	v_fma_f64 v[210:211], v[204:205], v[208:209], -v[210:211]
	v_mul_f64 v[204:205], v[204:205], v[212:213]
	v_fmac_f64_e32 v[204:205], v[206:207], v[208:209]
	s_waitcnt vmcnt(0)
	v_add_f64 v[192:193], v[192:193], -v[210:211]
	v_add_f64 v[194:195], v[194:195], -v[204:205]
	scratch_store_dwordx4 off, v[192:195], off offset:32 ; 16-byte Folded Spill
	scratch_load_dwordx4 v[192:195], off, off offset:16 ; 16-byte Folded Reload
	ds_read2_b64 v[204:207], v202 offset0:6 offset1:7
	s_waitcnt lgkmcnt(0)
	v_mul_f64 v[210:211], v[206:207], v[212:213]
	v_fma_f64 v[210:211], v[204:205], v[208:209], -v[210:211]
	v_mul_f64 v[204:205], v[204:205], v[212:213]
	v_fmac_f64_e32 v[204:205], v[206:207], v[208:209]
	s_waitcnt vmcnt(0)
	v_add_f64 v[192:193], v[192:193], -v[210:211]
	v_add_f64 v[194:195], v[194:195], -v[204:205]
	scratch_store_dwordx4 off, v[192:195], off offset:16 ; 16-byte Folded Spill
	scratch_load_dwordx4 v[192:195], off, off ; 16-byte Folded Reload
	ds_read2_b64 v[204:207], v202 offset0:8 offset1:9
	s_waitcnt lgkmcnt(0)
	v_mul_f64 v[210:211], v[206:207], v[212:213]
	v_fma_f64 v[210:211], v[204:205], v[208:209], -v[210:211]
	v_mul_f64 v[204:205], v[204:205], v[212:213]
	v_fmac_f64_e32 v[204:205], v[206:207], v[208:209]
	v_add_f64 v[198:199], v[198:199], -v[204:205]
	ds_read2_b64 v[204:207], v202 offset0:10 offset1:11
	v_add_f64 v[196:197], v[196:197], -v[210:211]
	s_waitcnt lgkmcnt(0)
	v_mul_f64 v[210:211], v[206:207], v[212:213]
	v_fma_f64 v[210:211], v[204:205], v[208:209], -v[210:211]
	v_mul_f64 v[204:205], v[204:205], v[212:213]
	v_fmac_f64_e32 v[204:205], v[206:207], v[208:209]
	s_waitcnt vmcnt(0)
	v_add_f64 v[194:195], v[194:195], -v[204:205]
	ds_read2_b64 v[204:207], v202 offset0:12 offset1:13
	v_add_f64 v[192:193], v[192:193], -v[210:211]
	scratch_store_dwordx4 off, v[192:195], off ; 16-byte Folded Spill
	s_waitcnt lgkmcnt(0)
	v_mul_f64 v[210:211], v[206:207], v[212:213]
	v_fma_f64 v[210:211], v[204:205], v[208:209], -v[210:211]
	v_mul_f64 v[204:205], v[204:205], v[212:213]
	v_fmac_f64_e32 v[204:205], v[206:207], v[208:209]
	v_add_f64 v[190:191], v[190:191], -v[204:205]
	ds_read2_b64 v[204:207], v202 offset0:14 offset1:15
	v_add_f64 v[188:189], v[188:189], -v[210:211]
	s_waitcnt lgkmcnt(0)
	v_mul_f64 v[210:211], v[206:207], v[212:213]
	v_fma_f64 v[210:211], v[204:205], v[208:209], -v[210:211]
	v_mul_f64 v[204:205], v[204:205], v[212:213]
	v_fmac_f64_e32 v[204:205], v[206:207], v[208:209]
	v_add_f64 v[186:187], v[186:187], -v[204:205]
	ds_read2_b64 v[204:207], v202 offset0:16 offset1:17
	v_add_f64 v[184:185], v[184:185], -v[210:211]
	;; [unrolled: 8-line block ×48, first 2 shown]
	s_waitcnt lgkmcnt(0)
	v_mul_f64 v[210:211], v[206:207], v[212:213]
	v_fma_f64 v[210:211], v[204:205], v[208:209], -v[210:211]
	v_mul_f64 v[204:205], v[204:205], v[212:213]
	v_fmac_f64_e32 v[204:205], v[206:207], v[208:209]
	v_add_f64 v[216:217], v[216:217], -v[210:211]
	v_add_f64 v[218:219], v[218:219], -v[204:205]
	v_mov_b64_e32 v[210:211], v[208:209]
	scratch_store_dwordx4 off, v[210:213], off offset:48 ; 16-byte Folded Spill
.LBB109_19:
	s_or_b64 exec, exec, s[2:3]
	v_cmp_eq_u32_e32 vcc, 2, v200
	s_waitcnt vmcnt(63) expcnt(7) lgkmcnt(15)
	s_barrier
	s_and_saveexec_b64 s[4:5], vcc
	s_cbranch_execz .LBB109_26
; %bb.20:
	scratch_load_dwordx4 v[192:195], off, off offset:32 ; 16-byte Folded Reload
	s_waitcnt vmcnt(0)
	ds_write2_b64 v201, v[192:193], v[194:195] offset1:1
	scratch_load_dwordx4 v[192:195], off, off offset:16 ; 16-byte Folded Reload
	s_waitcnt vmcnt(0)
	ds_write2_b64 v202, v[192:193], v[194:195] offset0:6 offset1:7
	ds_write2_b64 v202, v[196:197], v[198:199] offset0:8 offset1:9
	scratch_load_dwordx4 v[192:195], off, off ; 16-byte Folded Reload
	s_waitcnt vmcnt(0)
	ds_write2_b64 v202, v[192:193], v[194:195] offset0:10 offset1:11
	ds_write2_b64 v202, v[188:189], v[190:191] offset0:12 offset1:13
	;; [unrolled: 1-line block ×50, first 2 shown]
	ds_read2_b64 v[208:211], v201 offset1:1
	s_waitcnt lgkmcnt(0)
	v_cmp_neq_f64_e32 vcc, 0, v[208:209]
	v_cmp_neq_f64_e64 s[2:3], 0, v[210:211]
	s_or_b64 s[2:3], vcc, s[2:3]
	s_and_b64 exec, exec, s[2:3]
	s_cbranch_execz .LBB109_26
; %bb.21:
	v_cmp_ngt_f64_e64 s[2:3], |v[208:209]|, |v[210:211]|
                                        ; implicit-def: $vgpr204_vgpr205
	s_and_saveexec_b64 s[10:11], s[2:3]
	s_xor_b64 s[2:3], exec, s[10:11]
                                        ; implicit-def: $vgpr206_vgpr207
	s_cbranch_execz .LBB109_23
; %bb.22:
	v_div_scale_f64 v[204:205], s[10:11], v[210:211], v[210:211], v[208:209]
	v_rcp_f64_e32 v[206:207], v[204:205]
	v_div_scale_f64 v[212:213], vcc, v[208:209], v[210:211], v[208:209]
	v_fma_f64 v[214:215], -v[204:205], v[206:207], 1.0
	v_fmac_f64_e32 v[206:207], v[206:207], v[214:215]
	v_fma_f64 v[214:215], -v[204:205], v[206:207], 1.0
	v_fmac_f64_e32 v[206:207], v[206:207], v[214:215]
	v_mul_f64 v[214:215], v[212:213], v[206:207]
	v_fma_f64 v[204:205], -v[204:205], v[214:215], v[212:213]
	v_div_fmas_f64 v[204:205], v[204:205], v[206:207], v[214:215]
	v_div_fixup_f64 v[204:205], v[204:205], v[210:211], v[208:209]
	v_fmac_f64_e32 v[210:211], v[208:209], v[204:205]
	v_div_scale_f64 v[206:207], s[10:11], v[210:211], v[210:211], 1.0
	v_rcp_f64_e32 v[208:209], v[206:207]
	s_nop 0
	v_fma_f64 v[212:213], -v[206:207], v[208:209], 1.0
	v_fmac_f64_e32 v[208:209], v[208:209], v[212:213]
	v_fma_f64 v[212:213], -v[206:207], v[208:209], 1.0
	v_fmac_f64_e32 v[208:209], v[208:209], v[212:213]
	v_div_scale_f64 v[212:213], vcc, 1.0, v[210:211], 1.0
	v_mul_f64 v[214:215], v[212:213], v[208:209]
	v_fma_f64 v[206:207], -v[206:207], v[214:215], v[212:213]
	s_nop 1
	v_div_fmas_f64 v[206:207], v[206:207], v[208:209], v[214:215]
	v_div_fixup_f64 v[206:207], v[206:207], v[210:211], 1.0
	v_mul_f64 v[204:205], v[204:205], v[206:207]
	v_xor_b32_e32 v207, 0x80000000, v207
                                        ; implicit-def: $vgpr208_vgpr209
.LBB109_23:
	s_andn2_saveexec_b64 s[2:3], s[2:3]
	s_cbranch_execz .LBB109_25
; %bb.24:
	v_div_scale_f64 v[204:205], s[10:11], v[208:209], v[208:209], v[210:211]
	v_rcp_f64_e32 v[206:207], v[204:205]
	v_div_scale_f64 v[212:213], vcc, v[210:211], v[208:209], v[210:211]
	v_fma_f64 v[214:215], -v[204:205], v[206:207], 1.0
	v_fmac_f64_e32 v[206:207], v[206:207], v[214:215]
	v_fma_f64 v[214:215], -v[204:205], v[206:207], 1.0
	v_fmac_f64_e32 v[206:207], v[206:207], v[214:215]
	v_mul_f64 v[214:215], v[212:213], v[206:207]
	v_fma_f64 v[204:205], -v[204:205], v[214:215], v[212:213]
	v_div_fmas_f64 v[204:205], v[204:205], v[206:207], v[214:215]
	v_div_fixup_f64 v[206:207], v[204:205], v[208:209], v[210:211]
	v_fmac_f64_e32 v[208:209], v[210:211], v[206:207]
	v_div_scale_f64 v[204:205], s[10:11], v[208:209], v[208:209], 1.0
	v_rcp_f64_e32 v[210:211], v[204:205]
	s_nop 0
	v_fma_f64 v[212:213], -v[204:205], v[210:211], 1.0
	v_fmac_f64_e32 v[210:211], v[210:211], v[212:213]
	v_fma_f64 v[212:213], -v[204:205], v[210:211], 1.0
	v_fmac_f64_e32 v[210:211], v[210:211], v[212:213]
	v_div_scale_f64 v[212:213], vcc, 1.0, v[208:209], 1.0
	v_mul_f64 v[214:215], v[212:213], v[210:211]
	v_fma_f64 v[204:205], -v[204:205], v[214:215], v[212:213]
	s_nop 1
	v_div_fmas_f64 v[204:205], v[204:205], v[210:211], v[214:215]
	v_div_fixup_f64 v[204:205], v[204:205], v[208:209], 1.0
	v_mul_f64 v[206:207], v[206:207], -v[204:205]
.LBB109_25:
	s_or_b64 exec, exec, s[2:3]
	ds_write2_b64 v201, v[204:205], v[206:207] offset1:1
.LBB109_26:
	s_or_b64 exec, exec, s[4:5]
	s_waitcnt lgkmcnt(0)
	s_barrier
	ds_read2_b64 v[192:195], v201 offset1:1
	v_cmp_lt_u32_e32 vcc, 2, v200
	s_waitcnt lgkmcnt(0)
	scratch_store_dwordx4 off, v[192:195], off offset:552 ; 16-byte Folded Spill
	s_and_saveexec_b64 s[2:3], vcc
	s_cbranch_execz .LBB109_28
; %bb.27:
	scratch_load_dwordx4 v[210:213], off, off offset:32 ; 16-byte Folded Reload
	scratch_load_dwordx4 v[192:195], off, off offset:552 ; 16-byte Folded Reload
	s_waitcnt vmcnt(0)
	v_mul_f64 v[204:205], v[194:195], v[212:213]
	v_mul_f64 v[212:213], v[192:193], v[212:213]
	v_fma_f64 v[208:209], v[192:193], v[210:211], -v[204:205]
	v_fmac_f64_e32 v[212:213], v[194:195], v[210:211]
	scratch_load_dwordx4 v[192:195], off, off offset:16 ; 16-byte Folded Reload
	ds_read2_b64 v[204:207], v202 offset0:6 offset1:7
	s_waitcnt lgkmcnt(0)
	v_mul_f64 v[210:211], v[206:207], v[212:213]
	v_fma_f64 v[210:211], v[204:205], v[208:209], -v[210:211]
	v_mul_f64 v[204:205], v[204:205], v[212:213]
	v_fmac_f64_e32 v[204:205], v[206:207], v[208:209]
	s_waitcnt vmcnt(0)
	v_add_f64 v[192:193], v[192:193], -v[210:211]
	v_add_f64 v[194:195], v[194:195], -v[204:205]
	scratch_store_dwordx4 off, v[192:195], off offset:16 ; 16-byte Folded Spill
	scratch_load_dwordx4 v[192:195], off, off ; 16-byte Folded Reload
	ds_read2_b64 v[204:207], v202 offset0:8 offset1:9
	s_waitcnt lgkmcnt(0)
	v_mul_f64 v[210:211], v[206:207], v[212:213]
	v_fma_f64 v[210:211], v[204:205], v[208:209], -v[210:211]
	v_mul_f64 v[204:205], v[204:205], v[212:213]
	v_fmac_f64_e32 v[204:205], v[206:207], v[208:209]
	v_add_f64 v[198:199], v[198:199], -v[204:205]
	ds_read2_b64 v[204:207], v202 offset0:10 offset1:11
	v_add_f64 v[196:197], v[196:197], -v[210:211]
	s_waitcnt lgkmcnt(0)
	v_mul_f64 v[210:211], v[206:207], v[212:213]
	v_fma_f64 v[210:211], v[204:205], v[208:209], -v[210:211]
	v_mul_f64 v[204:205], v[204:205], v[212:213]
	v_fmac_f64_e32 v[204:205], v[206:207], v[208:209]
	s_waitcnt vmcnt(0)
	v_add_f64 v[194:195], v[194:195], -v[204:205]
	ds_read2_b64 v[204:207], v202 offset0:12 offset1:13
	v_add_f64 v[192:193], v[192:193], -v[210:211]
	scratch_store_dwordx4 off, v[192:195], off ; 16-byte Folded Spill
	s_waitcnt lgkmcnt(0)
	v_mul_f64 v[210:211], v[206:207], v[212:213]
	v_fma_f64 v[210:211], v[204:205], v[208:209], -v[210:211]
	v_mul_f64 v[204:205], v[204:205], v[212:213]
	v_fmac_f64_e32 v[204:205], v[206:207], v[208:209]
	v_add_f64 v[190:191], v[190:191], -v[204:205]
	ds_read2_b64 v[204:207], v202 offset0:14 offset1:15
	v_add_f64 v[188:189], v[188:189], -v[210:211]
	s_waitcnt lgkmcnt(0)
	v_mul_f64 v[210:211], v[206:207], v[212:213]
	v_fma_f64 v[210:211], v[204:205], v[208:209], -v[210:211]
	v_mul_f64 v[204:205], v[204:205], v[212:213]
	v_fmac_f64_e32 v[204:205], v[206:207], v[208:209]
	v_add_f64 v[186:187], v[186:187], -v[204:205]
	ds_read2_b64 v[204:207], v202 offset0:16 offset1:17
	v_add_f64 v[184:185], v[184:185], -v[210:211]
	;; [unrolled: 8-line block ×48, first 2 shown]
	s_waitcnt lgkmcnt(0)
	v_mul_f64 v[210:211], v[206:207], v[212:213]
	v_fma_f64 v[210:211], v[204:205], v[208:209], -v[210:211]
	v_mul_f64 v[204:205], v[204:205], v[212:213]
	v_fmac_f64_e32 v[204:205], v[206:207], v[208:209]
	v_add_f64 v[216:217], v[216:217], -v[210:211]
	v_add_f64 v[218:219], v[218:219], -v[204:205]
	v_mov_b64_e32 v[210:211], v[208:209]
	scratch_store_dwordx4 off, v[210:213], off offset:32 ; 16-byte Folded Spill
.LBB109_28:
	s_or_b64 exec, exec, s[2:3]
	v_cmp_eq_u32_e32 vcc, 3, v200
	s_waitcnt vmcnt(63) expcnt(7) lgkmcnt(15)
	s_barrier
	s_and_saveexec_b64 s[4:5], vcc
	s_cbranch_execz .LBB109_35
; %bb.29:
	scratch_load_dwordx4 v[192:195], off, off offset:16 ; 16-byte Folded Reload
	s_waitcnt vmcnt(0)
	ds_write2_b64 v201, v[192:193], v[194:195] offset1:1
	ds_write2_b64 v202, v[196:197], v[198:199] offset0:8 offset1:9
	scratch_load_dwordx4 v[192:195], off, off ; 16-byte Folded Reload
	s_waitcnt vmcnt(0)
	ds_write2_b64 v202, v[192:193], v[194:195] offset0:10 offset1:11
	ds_write2_b64 v202, v[188:189], v[190:191] offset0:12 offset1:13
	;; [unrolled: 1-line block ×50, first 2 shown]
	ds_read2_b64 v[208:211], v201 offset1:1
	s_waitcnt lgkmcnt(0)
	v_cmp_neq_f64_e32 vcc, 0, v[208:209]
	v_cmp_neq_f64_e64 s[2:3], 0, v[210:211]
	s_or_b64 s[2:3], vcc, s[2:3]
	s_and_b64 exec, exec, s[2:3]
	s_cbranch_execz .LBB109_35
; %bb.30:
	v_cmp_ngt_f64_e64 s[2:3], |v[208:209]|, |v[210:211]|
                                        ; implicit-def: $vgpr204_vgpr205
	s_and_saveexec_b64 s[10:11], s[2:3]
	s_xor_b64 s[2:3], exec, s[10:11]
                                        ; implicit-def: $vgpr206_vgpr207
	s_cbranch_execz .LBB109_32
; %bb.31:
	v_div_scale_f64 v[204:205], s[10:11], v[210:211], v[210:211], v[208:209]
	v_rcp_f64_e32 v[206:207], v[204:205]
	v_div_scale_f64 v[212:213], vcc, v[208:209], v[210:211], v[208:209]
	v_fma_f64 v[214:215], -v[204:205], v[206:207], 1.0
	v_fmac_f64_e32 v[206:207], v[206:207], v[214:215]
	v_fma_f64 v[214:215], -v[204:205], v[206:207], 1.0
	v_fmac_f64_e32 v[206:207], v[206:207], v[214:215]
	v_mul_f64 v[214:215], v[212:213], v[206:207]
	v_fma_f64 v[204:205], -v[204:205], v[214:215], v[212:213]
	v_div_fmas_f64 v[204:205], v[204:205], v[206:207], v[214:215]
	v_div_fixup_f64 v[204:205], v[204:205], v[210:211], v[208:209]
	v_fmac_f64_e32 v[210:211], v[208:209], v[204:205]
	v_div_scale_f64 v[206:207], s[10:11], v[210:211], v[210:211], 1.0
	v_rcp_f64_e32 v[208:209], v[206:207]
	s_nop 0
	v_fma_f64 v[212:213], -v[206:207], v[208:209], 1.0
	v_fmac_f64_e32 v[208:209], v[208:209], v[212:213]
	v_fma_f64 v[212:213], -v[206:207], v[208:209], 1.0
	v_fmac_f64_e32 v[208:209], v[208:209], v[212:213]
	v_div_scale_f64 v[212:213], vcc, 1.0, v[210:211], 1.0
	v_mul_f64 v[214:215], v[212:213], v[208:209]
	v_fma_f64 v[206:207], -v[206:207], v[214:215], v[212:213]
	s_nop 1
	v_div_fmas_f64 v[206:207], v[206:207], v[208:209], v[214:215]
	v_div_fixup_f64 v[206:207], v[206:207], v[210:211], 1.0
	v_mul_f64 v[204:205], v[204:205], v[206:207]
	v_xor_b32_e32 v207, 0x80000000, v207
                                        ; implicit-def: $vgpr208_vgpr209
.LBB109_32:
	s_andn2_saveexec_b64 s[2:3], s[2:3]
	s_cbranch_execz .LBB109_34
; %bb.33:
	v_div_scale_f64 v[204:205], s[10:11], v[208:209], v[208:209], v[210:211]
	v_rcp_f64_e32 v[206:207], v[204:205]
	v_div_scale_f64 v[212:213], vcc, v[210:211], v[208:209], v[210:211]
	v_fma_f64 v[214:215], -v[204:205], v[206:207], 1.0
	v_fmac_f64_e32 v[206:207], v[206:207], v[214:215]
	v_fma_f64 v[214:215], -v[204:205], v[206:207], 1.0
	v_fmac_f64_e32 v[206:207], v[206:207], v[214:215]
	v_mul_f64 v[214:215], v[212:213], v[206:207]
	v_fma_f64 v[204:205], -v[204:205], v[214:215], v[212:213]
	v_div_fmas_f64 v[204:205], v[204:205], v[206:207], v[214:215]
	v_div_fixup_f64 v[206:207], v[204:205], v[208:209], v[210:211]
	v_fmac_f64_e32 v[208:209], v[210:211], v[206:207]
	v_div_scale_f64 v[204:205], s[10:11], v[208:209], v[208:209], 1.0
	v_rcp_f64_e32 v[210:211], v[204:205]
	s_nop 0
	v_fma_f64 v[212:213], -v[204:205], v[210:211], 1.0
	v_fmac_f64_e32 v[210:211], v[210:211], v[212:213]
	v_fma_f64 v[212:213], -v[204:205], v[210:211], 1.0
	v_fmac_f64_e32 v[210:211], v[210:211], v[212:213]
	v_div_scale_f64 v[212:213], vcc, 1.0, v[208:209], 1.0
	v_mul_f64 v[214:215], v[212:213], v[210:211]
	v_fma_f64 v[204:205], -v[204:205], v[214:215], v[212:213]
	s_nop 1
	v_div_fmas_f64 v[204:205], v[204:205], v[210:211], v[214:215]
	v_div_fixup_f64 v[204:205], v[204:205], v[208:209], 1.0
	v_mul_f64 v[206:207], v[206:207], -v[204:205]
.LBB109_34:
	s_or_b64 exec, exec, s[2:3]
	ds_write2_b64 v201, v[204:205], v[206:207] offset1:1
.LBB109_35:
	s_or_b64 exec, exec, s[4:5]
	s_waitcnt lgkmcnt(0)
	s_barrier
	ds_read2_b64 v[192:195], v201 offset1:1
	v_cmp_lt_u32_e32 vcc, 3, v200
	s_waitcnt lgkmcnt(0)
	scratch_store_dwordx4 off, v[192:195], off offset:568 ; 16-byte Folded Spill
	s_and_saveexec_b64 s[2:3], vcc
	s_cbranch_execz .LBB109_37
; %bb.36:
	scratch_load_dwordx4 v[210:213], off, off offset:16 ; 16-byte Folded Reload
	scratch_load_dwordx4 v[192:195], off, off offset:568 ; 16-byte Folded Reload
	s_waitcnt vmcnt(0)
	v_mul_f64 v[204:205], v[194:195], v[212:213]
	v_mul_f64 v[212:213], v[192:193], v[212:213]
	v_fma_f64 v[208:209], v[192:193], v[210:211], -v[204:205]
	v_fmac_f64_e32 v[212:213], v[194:195], v[210:211]
	scratch_load_dwordx4 v[192:195], off, off ; 16-byte Folded Reload
	ds_read2_b64 v[204:207], v202 offset0:8 offset1:9
	s_waitcnt lgkmcnt(0)
	v_mul_f64 v[210:211], v[206:207], v[212:213]
	v_fma_f64 v[210:211], v[204:205], v[208:209], -v[210:211]
	v_mul_f64 v[204:205], v[204:205], v[212:213]
	v_fmac_f64_e32 v[204:205], v[206:207], v[208:209]
	v_add_f64 v[198:199], v[198:199], -v[204:205]
	ds_read2_b64 v[204:207], v202 offset0:10 offset1:11
	v_add_f64 v[196:197], v[196:197], -v[210:211]
	s_waitcnt lgkmcnt(0)
	v_mul_f64 v[210:211], v[206:207], v[212:213]
	v_fma_f64 v[210:211], v[204:205], v[208:209], -v[210:211]
	v_mul_f64 v[204:205], v[204:205], v[212:213]
	v_fmac_f64_e32 v[204:205], v[206:207], v[208:209]
	s_waitcnt vmcnt(0)
	v_add_f64 v[194:195], v[194:195], -v[204:205]
	ds_read2_b64 v[204:207], v202 offset0:12 offset1:13
	v_add_f64 v[192:193], v[192:193], -v[210:211]
	scratch_store_dwordx4 off, v[192:195], off ; 16-byte Folded Spill
	s_waitcnt lgkmcnt(0)
	v_mul_f64 v[210:211], v[206:207], v[212:213]
	v_fma_f64 v[210:211], v[204:205], v[208:209], -v[210:211]
	v_mul_f64 v[204:205], v[204:205], v[212:213]
	v_fmac_f64_e32 v[204:205], v[206:207], v[208:209]
	v_add_f64 v[190:191], v[190:191], -v[204:205]
	ds_read2_b64 v[204:207], v202 offset0:14 offset1:15
	v_add_f64 v[188:189], v[188:189], -v[210:211]
	s_waitcnt lgkmcnt(0)
	v_mul_f64 v[210:211], v[206:207], v[212:213]
	v_fma_f64 v[210:211], v[204:205], v[208:209], -v[210:211]
	v_mul_f64 v[204:205], v[204:205], v[212:213]
	v_fmac_f64_e32 v[204:205], v[206:207], v[208:209]
	v_add_f64 v[186:187], v[186:187], -v[204:205]
	ds_read2_b64 v[204:207], v202 offset0:16 offset1:17
	v_add_f64 v[184:185], v[184:185], -v[210:211]
	;; [unrolled: 8-line block ×48, first 2 shown]
	s_waitcnt lgkmcnt(0)
	v_mul_f64 v[210:211], v[206:207], v[212:213]
	v_fma_f64 v[210:211], v[204:205], v[208:209], -v[210:211]
	v_mul_f64 v[204:205], v[204:205], v[212:213]
	v_fmac_f64_e32 v[204:205], v[206:207], v[208:209]
	v_add_f64 v[216:217], v[216:217], -v[210:211]
	v_add_f64 v[218:219], v[218:219], -v[204:205]
	v_mov_b64_e32 v[210:211], v[208:209]
	scratch_store_dwordx4 off, v[210:213], off offset:16 ; 16-byte Folded Spill
.LBB109_37:
	s_or_b64 exec, exec, s[2:3]
	v_cmp_eq_u32_e32 vcc, 4, v200
	s_waitcnt vmcnt(63) expcnt(7) lgkmcnt(15)
	s_barrier
	s_and_saveexec_b64 s[4:5], vcc
	s_cbranch_execz .LBB109_44
; %bb.38:
	scratch_load_dwordx4 v[192:195], off, off ; 16-byte Folded Reload
	ds_write2_b64 v201, v[196:197], v[198:199] offset1:1
	s_waitcnt vmcnt(0)
	ds_write2_b64 v202, v[192:193], v[194:195] offset0:10 offset1:11
	ds_write2_b64 v202, v[188:189], v[190:191] offset0:12 offset1:13
	;; [unrolled: 1-line block ×50, first 2 shown]
	ds_read2_b64 v[208:211], v201 offset1:1
	s_waitcnt lgkmcnt(0)
	v_cmp_neq_f64_e32 vcc, 0, v[208:209]
	v_cmp_neq_f64_e64 s[2:3], 0, v[210:211]
	s_or_b64 s[2:3], vcc, s[2:3]
	s_and_b64 exec, exec, s[2:3]
	s_cbranch_execz .LBB109_44
; %bb.39:
	v_cmp_ngt_f64_e64 s[2:3], |v[208:209]|, |v[210:211]|
                                        ; implicit-def: $vgpr204_vgpr205
	s_and_saveexec_b64 s[10:11], s[2:3]
	s_xor_b64 s[2:3], exec, s[10:11]
                                        ; implicit-def: $vgpr206_vgpr207
	s_cbranch_execz .LBB109_41
; %bb.40:
	v_div_scale_f64 v[204:205], s[10:11], v[210:211], v[210:211], v[208:209]
	v_rcp_f64_e32 v[206:207], v[204:205]
	v_div_scale_f64 v[212:213], vcc, v[208:209], v[210:211], v[208:209]
	v_fma_f64 v[214:215], -v[204:205], v[206:207], 1.0
	v_fmac_f64_e32 v[206:207], v[206:207], v[214:215]
	v_fma_f64 v[214:215], -v[204:205], v[206:207], 1.0
	v_fmac_f64_e32 v[206:207], v[206:207], v[214:215]
	v_mul_f64 v[214:215], v[212:213], v[206:207]
	v_fma_f64 v[204:205], -v[204:205], v[214:215], v[212:213]
	v_div_fmas_f64 v[204:205], v[204:205], v[206:207], v[214:215]
	v_div_fixup_f64 v[204:205], v[204:205], v[210:211], v[208:209]
	v_fmac_f64_e32 v[210:211], v[208:209], v[204:205]
	v_div_scale_f64 v[206:207], s[10:11], v[210:211], v[210:211], 1.0
	v_rcp_f64_e32 v[208:209], v[206:207]
	s_nop 0
	v_fma_f64 v[212:213], -v[206:207], v[208:209], 1.0
	v_fmac_f64_e32 v[208:209], v[208:209], v[212:213]
	v_fma_f64 v[212:213], -v[206:207], v[208:209], 1.0
	v_fmac_f64_e32 v[208:209], v[208:209], v[212:213]
	v_div_scale_f64 v[212:213], vcc, 1.0, v[210:211], 1.0
	v_mul_f64 v[214:215], v[212:213], v[208:209]
	v_fma_f64 v[206:207], -v[206:207], v[214:215], v[212:213]
	s_nop 1
	v_div_fmas_f64 v[206:207], v[206:207], v[208:209], v[214:215]
	v_div_fixup_f64 v[206:207], v[206:207], v[210:211], 1.0
	v_mul_f64 v[204:205], v[204:205], v[206:207]
	v_xor_b32_e32 v207, 0x80000000, v207
                                        ; implicit-def: $vgpr208_vgpr209
.LBB109_41:
	s_andn2_saveexec_b64 s[2:3], s[2:3]
	s_cbranch_execz .LBB109_43
; %bb.42:
	v_div_scale_f64 v[204:205], s[10:11], v[208:209], v[208:209], v[210:211]
	v_rcp_f64_e32 v[206:207], v[204:205]
	v_div_scale_f64 v[212:213], vcc, v[210:211], v[208:209], v[210:211]
	v_fma_f64 v[214:215], -v[204:205], v[206:207], 1.0
	v_fmac_f64_e32 v[206:207], v[206:207], v[214:215]
	v_fma_f64 v[214:215], -v[204:205], v[206:207], 1.0
	v_fmac_f64_e32 v[206:207], v[206:207], v[214:215]
	v_mul_f64 v[214:215], v[212:213], v[206:207]
	v_fma_f64 v[204:205], -v[204:205], v[214:215], v[212:213]
	v_div_fmas_f64 v[204:205], v[204:205], v[206:207], v[214:215]
	v_div_fixup_f64 v[206:207], v[204:205], v[208:209], v[210:211]
	v_fmac_f64_e32 v[208:209], v[210:211], v[206:207]
	v_div_scale_f64 v[204:205], s[10:11], v[208:209], v[208:209], 1.0
	v_rcp_f64_e32 v[210:211], v[204:205]
	s_nop 0
	v_fma_f64 v[212:213], -v[204:205], v[210:211], 1.0
	v_fmac_f64_e32 v[210:211], v[210:211], v[212:213]
	v_fma_f64 v[212:213], -v[204:205], v[210:211], 1.0
	v_fmac_f64_e32 v[210:211], v[210:211], v[212:213]
	v_div_scale_f64 v[212:213], vcc, 1.0, v[208:209], 1.0
	v_mul_f64 v[214:215], v[212:213], v[210:211]
	v_fma_f64 v[204:205], -v[204:205], v[214:215], v[212:213]
	s_nop 1
	v_div_fmas_f64 v[204:205], v[204:205], v[210:211], v[214:215]
	v_div_fixup_f64 v[204:205], v[204:205], v[208:209], 1.0
	v_mul_f64 v[206:207], v[206:207], -v[204:205]
.LBB109_43:
	s_or_b64 exec, exec, s[2:3]
	ds_write2_b64 v201, v[204:205], v[206:207] offset1:1
.LBB109_44:
	s_or_b64 exec, exec, s[4:5]
	s_waitcnt lgkmcnt(0)
	s_barrier
	ds_read2_b64 v[192:195], v201 offset1:1
	v_cmp_lt_u32_e32 vcc, 4, v200
	s_waitcnt lgkmcnt(0)
	scratch_store_dwordx4 off, v[192:195], off offset:584 ; 16-byte Folded Spill
	s_and_saveexec_b64 s[2:3], vcc
	s_cbranch_execz .LBB109_46
; %bb.45:
	scratch_load_dwordx4 v[192:195], off, off offset:584 ; 16-byte Folded Reload
	s_waitcnt vmcnt(0)
	v_mul_f64 v[204:205], v[194:195], v[198:199]
	v_mul_f64 v[198:199], v[192:193], v[198:199]
	v_fma_f64 v[208:209], v[192:193], v[196:197], -v[204:205]
	v_fmac_f64_e32 v[198:199], v[194:195], v[196:197]
	scratch_load_dwordx4 v[192:195], off, off ; 16-byte Folded Reload
	ds_read2_b64 v[204:207], v202 offset0:10 offset1:11
	s_waitcnt lgkmcnt(0)
	v_mul_f64 v[196:197], v[206:207], v[198:199]
	v_fma_f64 v[196:197], v[204:205], v[208:209], -v[196:197]
	v_mul_f64 v[204:205], v[204:205], v[198:199]
	v_fmac_f64_e32 v[204:205], v[206:207], v[208:209]
	s_waitcnt vmcnt(0)
	v_add_f64 v[194:195], v[194:195], -v[204:205]
	ds_read2_b64 v[204:207], v202 offset0:12 offset1:13
	v_add_f64 v[192:193], v[192:193], -v[196:197]
	scratch_store_dwordx4 off, v[192:195], off ; 16-byte Folded Spill
	s_waitcnt lgkmcnt(0)
	v_mul_f64 v[196:197], v[206:207], v[198:199]
	v_fma_f64 v[196:197], v[204:205], v[208:209], -v[196:197]
	v_mul_f64 v[204:205], v[204:205], v[198:199]
	v_fmac_f64_e32 v[204:205], v[206:207], v[208:209]
	v_add_f64 v[190:191], v[190:191], -v[204:205]
	ds_read2_b64 v[204:207], v202 offset0:14 offset1:15
	v_add_f64 v[188:189], v[188:189], -v[196:197]
	s_waitcnt lgkmcnt(0)
	v_mul_f64 v[196:197], v[206:207], v[198:199]
	v_fma_f64 v[196:197], v[204:205], v[208:209], -v[196:197]
	v_mul_f64 v[204:205], v[204:205], v[198:199]
	v_fmac_f64_e32 v[204:205], v[206:207], v[208:209]
	v_add_f64 v[186:187], v[186:187], -v[204:205]
	ds_read2_b64 v[204:207], v202 offset0:16 offset1:17
	v_add_f64 v[184:185], v[184:185], -v[196:197]
	s_waitcnt lgkmcnt(0)
	v_mul_f64 v[196:197], v[206:207], v[198:199]
	v_fma_f64 v[196:197], v[204:205], v[208:209], -v[196:197]
	v_mul_f64 v[204:205], v[204:205], v[198:199]
	v_fmac_f64_e32 v[204:205], v[206:207], v[208:209]
	v_add_f64 v[182:183], v[182:183], -v[204:205]
	ds_read2_b64 v[204:207], v202 offset0:18 offset1:19
	v_add_f64 v[180:181], v[180:181], -v[196:197]
	s_waitcnt lgkmcnt(0)
	v_mul_f64 v[196:197], v[206:207], v[198:199]
	v_fma_f64 v[196:197], v[204:205], v[208:209], -v[196:197]
	v_mul_f64 v[204:205], v[204:205], v[198:199]
	v_fmac_f64_e32 v[204:205], v[206:207], v[208:209]
	v_add_f64 v[178:179], v[178:179], -v[204:205]
	ds_read2_b64 v[204:207], v202 offset0:20 offset1:21
	v_add_f64 v[176:177], v[176:177], -v[196:197]
	s_waitcnt lgkmcnt(0)
	v_mul_f64 v[196:197], v[206:207], v[198:199]
	v_fma_f64 v[196:197], v[204:205], v[208:209], -v[196:197]
	v_mul_f64 v[204:205], v[204:205], v[198:199]
	v_fmac_f64_e32 v[204:205], v[206:207], v[208:209]
	v_add_f64 v[174:175], v[174:175], -v[204:205]
	ds_read2_b64 v[204:207], v202 offset0:22 offset1:23
	v_add_f64 v[172:173], v[172:173], -v[196:197]
	s_waitcnt lgkmcnt(0)
	v_mul_f64 v[196:197], v[206:207], v[198:199]
	v_fma_f64 v[196:197], v[204:205], v[208:209], -v[196:197]
	v_mul_f64 v[204:205], v[204:205], v[198:199]
	v_fmac_f64_e32 v[204:205], v[206:207], v[208:209]
	v_add_f64 v[170:171], v[170:171], -v[204:205]
	ds_read2_b64 v[204:207], v202 offset0:24 offset1:25
	v_add_f64 v[168:169], v[168:169], -v[196:197]
	s_waitcnt lgkmcnt(0)
	v_mul_f64 v[196:197], v[206:207], v[198:199]
	v_fma_f64 v[196:197], v[204:205], v[208:209], -v[196:197]
	v_mul_f64 v[204:205], v[204:205], v[198:199]
	v_fmac_f64_e32 v[204:205], v[206:207], v[208:209]
	v_add_f64 v[166:167], v[166:167], -v[204:205]
	ds_read2_b64 v[204:207], v202 offset0:26 offset1:27
	v_add_f64 v[164:165], v[164:165], -v[196:197]
	s_waitcnt lgkmcnt(0)
	v_mul_f64 v[196:197], v[206:207], v[198:199]
	v_fma_f64 v[196:197], v[204:205], v[208:209], -v[196:197]
	v_mul_f64 v[204:205], v[204:205], v[198:199]
	v_fmac_f64_e32 v[204:205], v[206:207], v[208:209]
	v_add_f64 v[162:163], v[162:163], -v[204:205]
	ds_read2_b64 v[204:207], v202 offset0:28 offset1:29
	v_add_f64 v[160:161], v[160:161], -v[196:197]
	s_waitcnt lgkmcnt(0)
	v_mul_f64 v[196:197], v[206:207], v[198:199]
	v_fma_f64 v[196:197], v[204:205], v[208:209], -v[196:197]
	v_mul_f64 v[204:205], v[204:205], v[198:199]
	v_fmac_f64_e32 v[204:205], v[206:207], v[208:209]
	v_add_f64 v[158:159], v[158:159], -v[204:205]
	ds_read2_b64 v[204:207], v202 offset0:30 offset1:31
	v_add_f64 v[156:157], v[156:157], -v[196:197]
	s_waitcnt lgkmcnt(0)
	v_mul_f64 v[196:197], v[206:207], v[198:199]
	v_fma_f64 v[196:197], v[204:205], v[208:209], -v[196:197]
	v_mul_f64 v[204:205], v[204:205], v[198:199]
	v_fmac_f64_e32 v[204:205], v[206:207], v[208:209]
	v_add_f64 v[154:155], v[154:155], -v[204:205]
	ds_read2_b64 v[204:207], v202 offset0:32 offset1:33
	v_add_f64 v[152:153], v[152:153], -v[196:197]
	s_waitcnt lgkmcnt(0)
	v_mul_f64 v[196:197], v[206:207], v[198:199]
	v_fma_f64 v[196:197], v[204:205], v[208:209], -v[196:197]
	v_mul_f64 v[204:205], v[204:205], v[198:199]
	v_fmac_f64_e32 v[204:205], v[206:207], v[208:209]
	v_add_f64 v[150:151], v[150:151], -v[204:205]
	ds_read2_b64 v[204:207], v202 offset0:34 offset1:35
	v_add_f64 v[148:149], v[148:149], -v[196:197]
	s_waitcnt lgkmcnt(0)
	v_mul_f64 v[196:197], v[206:207], v[198:199]
	v_fma_f64 v[196:197], v[204:205], v[208:209], -v[196:197]
	v_mul_f64 v[204:205], v[204:205], v[198:199]
	v_fmac_f64_e32 v[204:205], v[206:207], v[208:209]
	v_add_f64 v[146:147], v[146:147], -v[204:205]
	ds_read2_b64 v[204:207], v202 offset0:36 offset1:37
	v_add_f64 v[144:145], v[144:145], -v[196:197]
	s_waitcnt lgkmcnt(0)
	v_mul_f64 v[196:197], v[206:207], v[198:199]
	v_fma_f64 v[196:197], v[204:205], v[208:209], -v[196:197]
	v_mul_f64 v[204:205], v[204:205], v[198:199]
	v_fmac_f64_e32 v[204:205], v[206:207], v[208:209]
	v_add_f64 v[142:143], v[142:143], -v[204:205]
	ds_read2_b64 v[204:207], v202 offset0:38 offset1:39
	v_add_f64 v[140:141], v[140:141], -v[196:197]
	s_waitcnt lgkmcnt(0)
	v_mul_f64 v[196:197], v[206:207], v[198:199]
	v_fma_f64 v[196:197], v[204:205], v[208:209], -v[196:197]
	v_mul_f64 v[204:205], v[204:205], v[198:199]
	v_fmac_f64_e32 v[204:205], v[206:207], v[208:209]
	v_add_f64 v[138:139], v[138:139], -v[204:205]
	ds_read2_b64 v[204:207], v202 offset0:40 offset1:41
	v_add_f64 v[136:137], v[136:137], -v[196:197]
	s_waitcnt lgkmcnt(0)
	v_mul_f64 v[196:197], v[206:207], v[198:199]
	v_fma_f64 v[196:197], v[204:205], v[208:209], -v[196:197]
	v_mul_f64 v[204:205], v[204:205], v[198:199]
	v_fmac_f64_e32 v[204:205], v[206:207], v[208:209]
	v_add_f64 v[134:135], v[134:135], -v[204:205]
	ds_read2_b64 v[204:207], v202 offset0:42 offset1:43
	v_add_f64 v[132:133], v[132:133], -v[196:197]
	s_waitcnt lgkmcnt(0)
	v_mul_f64 v[196:197], v[206:207], v[198:199]
	v_fma_f64 v[196:197], v[204:205], v[208:209], -v[196:197]
	v_mul_f64 v[204:205], v[204:205], v[198:199]
	v_fmac_f64_e32 v[204:205], v[206:207], v[208:209]
	v_add_f64 v[130:131], v[130:131], -v[204:205]
	ds_read2_b64 v[204:207], v202 offset0:44 offset1:45
	v_add_f64 v[128:129], v[128:129], -v[196:197]
	s_waitcnt lgkmcnt(0)
	v_mul_f64 v[196:197], v[206:207], v[198:199]
	v_fma_f64 v[196:197], v[204:205], v[208:209], -v[196:197]
	v_mul_f64 v[204:205], v[204:205], v[198:199]
	v_fmac_f64_e32 v[204:205], v[206:207], v[208:209]
	v_add_f64 v[126:127], v[126:127], -v[204:205]
	ds_read2_b64 v[204:207], v202 offset0:46 offset1:47
	v_add_f64 v[124:125], v[124:125], -v[196:197]
	s_waitcnt lgkmcnt(0)
	v_mul_f64 v[196:197], v[206:207], v[198:199]
	v_fma_f64 v[196:197], v[204:205], v[208:209], -v[196:197]
	v_mul_f64 v[204:205], v[204:205], v[198:199]
	v_fmac_f64_e32 v[204:205], v[206:207], v[208:209]
	v_add_f64 v[122:123], v[122:123], -v[204:205]
	ds_read2_b64 v[204:207], v202 offset0:48 offset1:49
	v_add_f64 v[120:121], v[120:121], -v[196:197]
	s_waitcnt lgkmcnt(0)
	v_mul_f64 v[196:197], v[206:207], v[198:199]
	v_fma_f64 v[196:197], v[204:205], v[208:209], -v[196:197]
	v_mul_f64 v[204:205], v[204:205], v[198:199]
	v_fmac_f64_e32 v[204:205], v[206:207], v[208:209]
	v_add_f64 v[118:119], v[118:119], -v[204:205]
	ds_read2_b64 v[204:207], v202 offset0:50 offset1:51
	v_add_f64 v[116:117], v[116:117], -v[196:197]
	s_waitcnt lgkmcnt(0)
	v_mul_f64 v[196:197], v[206:207], v[198:199]
	v_fma_f64 v[196:197], v[204:205], v[208:209], -v[196:197]
	v_mul_f64 v[204:205], v[204:205], v[198:199]
	v_fmac_f64_e32 v[204:205], v[206:207], v[208:209]
	v_add_f64 v[114:115], v[114:115], -v[204:205]
	ds_read2_b64 v[204:207], v202 offset0:52 offset1:53
	v_add_f64 v[112:113], v[112:113], -v[196:197]
	s_waitcnt lgkmcnt(0)
	v_mul_f64 v[196:197], v[206:207], v[198:199]
	v_fma_f64 v[196:197], v[204:205], v[208:209], -v[196:197]
	v_mul_f64 v[204:205], v[204:205], v[198:199]
	v_fmac_f64_e32 v[204:205], v[206:207], v[208:209]
	v_add_f64 v[110:111], v[110:111], -v[204:205]
	ds_read2_b64 v[204:207], v202 offset0:54 offset1:55
	v_add_f64 v[108:109], v[108:109], -v[196:197]
	s_waitcnt lgkmcnt(0)
	v_mul_f64 v[196:197], v[206:207], v[198:199]
	v_fma_f64 v[196:197], v[204:205], v[208:209], -v[196:197]
	v_mul_f64 v[204:205], v[204:205], v[198:199]
	v_fmac_f64_e32 v[204:205], v[206:207], v[208:209]
	v_add_f64 v[106:107], v[106:107], -v[204:205]
	ds_read2_b64 v[204:207], v202 offset0:56 offset1:57
	v_add_f64 v[104:105], v[104:105], -v[196:197]
	s_waitcnt lgkmcnt(0)
	v_mul_f64 v[196:197], v[206:207], v[198:199]
	v_fma_f64 v[196:197], v[204:205], v[208:209], -v[196:197]
	v_mul_f64 v[204:205], v[204:205], v[198:199]
	v_fmac_f64_e32 v[204:205], v[206:207], v[208:209]
	v_add_f64 v[102:103], v[102:103], -v[204:205]
	ds_read2_b64 v[204:207], v202 offset0:58 offset1:59
	v_add_f64 v[100:101], v[100:101], -v[196:197]
	s_waitcnt lgkmcnt(0)
	v_mul_f64 v[196:197], v[206:207], v[198:199]
	v_fma_f64 v[196:197], v[204:205], v[208:209], -v[196:197]
	v_mul_f64 v[204:205], v[204:205], v[198:199]
	v_fmac_f64_e32 v[204:205], v[206:207], v[208:209]
	v_add_f64 v[98:99], v[98:99], -v[204:205]
	ds_read2_b64 v[204:207], v202 offset0:60 offset1:61
	v_add_f64 v[96:97], v[96:97], -v[196:197]
	s_waitcnt lgkmcnt(0)
	v_mul_f64 v[196:197], v[206:207], v[198:199]
	v_fma_f64 v[196:197], v[204:205], v[208:209], -v[196:197]
	v_mul_f64 v[204:205], v[204:205], v[198:199]
	v_fmac_f64_e32 v[204:205], v[206:207], v[208:209]
	v_add_f64 v[94:95], v[94:95], -v[204:205]
	ds_read2_b64 v[204:207], v202 offset0:62 offset1:63
	v_add_f64 v[92:93], v[92:93], -v[196:197]
	s_waitcnt lgkmcnt(0)
	v_mul_f64 v[196:197], v[206:207], v[198:199]
	v_fma_f64 v[196:197], v[204:205], v[208:209], -v[196:197]
	v_mul_f64 v[204:205], v[204:205], v[198:199]
	v_fmac_f64_e32 v[204:205], v[206:207], v[208:209]
	v_add_f64 v[90:91], v[90:91], -v[204:205]
	ds_read2_b64 v[204:207], v202 offset0:64 offset1:65
	v_add_f64 v[88:89], v[88:89], -v[196:197]
	s_waitcnt lgkmcnt(0)
	v_mul_f64 v[196:197], v[206:207], v[198:199]
	v_fma_f64 v[196:197], v[204:205], v[208:209], -v[196:197]
	v_mul_f64 v[204:205], v[204:205], v[198:199]
	v_fmac_f64_e32 v[204:205], v[206:207], v[208:209]
	v_add_f64 v[86:87], v[86:87], -v[204:205]
	ds_read2_b64 v[204:207], v202 offset0:66 offset1:67
	v_add_f64 v[84:85], v[84:85], -v[196:197]
	s_waitcnt lgkmcnt(0)
	v_mul_f64 v[196:197], v[206:207], v[198:199]
	v_fma_f64 v[196:197], v[204:205], v[208:209], -v[196:197]
	v_mul_f64 v[204:205], v[204:205], v[198:199]
	v_fmac_f64_e32 v[204:205], v[206:207], v[208:209]
	v_add_f64 v[82:83], v[82:83], -v[204:205]
	ds_read2_b64 v[204:207], v202 offset0:68 offset1:69
	v_add_f64 v[80:81], v[80:81], -v[196:197]
	s_waitcnt lgkmcnt(0)
	v_mul_f64 v[196:197], v[206:207], v[198:199]
	v_fma_f64 v[196:197], v[204:205], v[208:209], -v[196:197]
	v_mul_f64 v[204:205], v[204:205], v[198:199]
	v_fmac_f64_e32 v[204:205], v[206:207], v[208:209]
	v_add_f64 v[78:79], v[78:79], -v[204:205]
	ds_read2_b64 v[204:207], v202 offset0:70 offset1:71
	v_add_f64 v[76:77], v[76:77], -v[196:197]
	s_waitcnt lgkmcnt(0)
	v_mul_f64 v[196:197], v[206:207], v[198:199]
	v_fma_f64 v[196:197], v[204:205], v[208:209], -v[196:197]
	v_mul_f64 v[204:205], v[204:205], v[198:199]
	v_fmac_f64_e32 v[204:205], v[206:207], v[208:209]
	v_add_f64 v[74:75], v[74:75], -v[204:205]
	ds_read2_b64 v[204:207], v202 offset0:72 offset1:73
	v_add_f64 v[72:73], v[72:73], -v[196:197]
	s_waitcnt lgkmcnt(0)
	v_mul_f64 v[196:197], v[206:207], v[198:199]
	v_fma_f64 v[196:197], v[204:205], v[208:209], -v[196:197]
	v_mul_f64 v[204:205], v[204:205], v[198:199]
	v_fmac_f64_e32 v[204:205], v[206:207], v[208:209]
	v_add_f64 v[70:71], v[70:71], -v[204:205]
	ds_read2_b64 v[204:207], v202 offset0:74 offset1:75
	v_add_f64 v[68:69], v[68:69], -v[196:197]
	s_waitcnt lgkmcnt(0)
	v_mul_f64 v[196:197], v[206:207], v[198:199]
	v_fma_f64 v[196:197], v[204:205], v[208:209], -v[196:197]
	v_mul_f64 v[204:205], v[204:205], v[198:199]
	v_fmac_f64_e32 v[204:205], v[206:207], v[208:209]
	v_add_f64 v[66:67], v[66:67], -v[204:205]
	ds_read2_b64 v[204:207], v202 offset0:76 offset1:77
	v_add_f64 v[64:65], v[64:65], -v[196:197]
	s_waitcnt lgkmcnt(0)
	v_mul_f64 v[196:197], v[206:207], v[198:199]
	v_fma_f64 v[196:197], v[204:205], v[208:209], -v[196:197]
	v_mul_f64 v[204:205], v[204:205], v[198:199]
	v_fmac_f64_e32 v[204:205], v[206:207], v[208:209]
	v_add_f64 v[62:63], v[62:63], -v[204:205]
	ds_read2_b64 v[204:207], v202 offset0:78 offset1:79
	v_add_f64 v[60:61], v[60:61], -v[196:197]
	s_waitcnt lgkmcnt(0)
	v_mul_f64 v[196:197], v[206:207], v[198:199]
	v_fma_f64 v[196:197], v[204:205], v[208:209], -v[196:197]
	v_mul_f64 v[204:205], v[204:205], v[198:199]
	v_fmac_f64_e32 v[204:205], v[206:207], v[208:209]
	v_add_f64 v[58:59], v[58:59], -v[204:205]
	ds_read2_b64 v[204:207], v202 offset0:80 offset1:81
	v_add_f64 v[56:57], v[56:57], -v[196:197]
	s_waitcnt lgkmcnt(0)
	v_mul_f64 v[196:197], v[206:207], v[198:199]
	v_fma_f64 v[196:197], v[204:205], v[208:209], -v[196:197]
	v_mul_f64 v[204:205], v[204:205], v[198:199]
	v_fmac_f64_e32 v[204:205], v[206:207], v[208:209]
	v_add_f64 v[54:55], v[54:55], -v[204:205]
	ds_read2_b64 v[204:207], v202 offset0:82 offset1:83
	v_add_f64 v[52:53], v[52:53], -v[196:197]
	s_waitcnt lgkmcnt(0)
	v_mul_f64 v[196:197], v[206:207], v[198:199]
	v_fma_f64 v[196:197], v[204:205], v[208:209], -v[196:197]
	v_mul_f64 v[204:205], v[204:205], v[198:199]
	v_fmac_f64_e32 v[204:205], v[206:207], v[208:209]
	v_add_f64 v[50:51], v[50:51], -v[204:205]
	ds_read2_b64 v[204:207], v202 offset0:84 offset1:85
	v_add_f64 v[48:49], v[48:49], -v[196:197]
	s_waitcnt lgkmcnt(0)
	v_mul_f64 v[196:197], v[206:207], v[198:199]
	v_fma_f64 v[196:197], v[204:205], v[208:209], -v[196:197]
	v_mul_f64 v[204:205], v[204:205], v[198:199]
	v_fmac_f64_e32 v[204:205], v[206:207], v[208:209]
	v_add_f64 v[46:47], v[46:47], -v[204:205]
	ds_read2_b64 v[204:207], v202 offset0:86 offset1:87
	v_add_f64 v[44:45], v[44:45], -v[196:197]
	s_waitcnt lgkmcnt(0)
	v_mul_f64 v[196:197], v[206:207], v[198:199]
	v_fma_f64 v[196:197], v[204:205], v[208:209], -v[196:197]
	v_mul_f64 v[204:205], v[204:205], v[198:199]
	v_fmac_f64_e32 v[204:205], v[206:207], v[208:209]
	v_add_f64 v[42:43], v[42:43], -v[204:205]
	ds_read2_b64 v[204:207], v202 offset0:88 offset1:89
	v_add_f64 v[40:41], v[40:41], -v[196:197]
	s_waitcnt lgkmcnt(0)
	v_mul_f64 v[196:197], v[206:207], v[198:199]
	v_fma_f64 v[196:197], v[204:205], v[208:209], -v[196:197]
	v_mul_f64 v[204:205], v[204:205], v[198:199]
	v_fmac_f64_e32 v[204:205], v[206:207], v[208:209]
	v_add_f64 v[38:39], v[38:39], -v[204:205]
	ds_read2_b64 v[204:207], v202 offset0:90 offset1:91
	v_add_f64 v[36:37], v[36:37], -v[196:197]
	s_waitcnt lgkmcnt(0)
	v_mul_f64 v[196:197], v[206:207], v[198:199]
	v_fma_f64 v[196:197], v[204:205], v[208:209], -v[196:197]
	v_mul_f64 v[204:205], v[204:205], v[198:199]
	v_fmac_f64_e32 v[204:205], v[206:207], v[208:209]
	v_add_f64 v[34:35], v[34:35], -v[204:205]
	ds_read2_b64 v[204:207], v202 offset0:92 offset1:93
	v_add_f64 v[32:33], v[32:33], -v[196:197]
	s_waitcnt lgkmcnt(0)
	v_mul_f64 v[196:197], v[206:207], v[198:199]
	v_fma_f64 v[196:197], v[204:205], v[208:209], -v[196:197]
	v_mul_f64 v[204:205], v[204:205], v[198:199]
	v_fmac_f64_e32 v[204:205], v[206:207], v[208:209]
	v_add_f64 v[30:31], v[30:31], -v[204:205]
	ds_read2_b64 v[204:207], v202 offset0:94 offset1:95
	v_add_f64 v[28:29], v[28:29], -v[196:197]
	s_waitcnt lgkmcnt(0)
	v_mul_f64 v[196:197], v[206:207], v[198:199]
	v_fma_f64 v[196:197], v[204:205], v[208:209], -v[196:197]
	v_mul_f64 v[204:205], v[204:205], v[198:199]
	v_fmac_f64_e32 v[204:205], v[206:207], v[208:209]
	v_add_f64 v[26:27], v[26:27], -v[204:205]
	ds_read2_b64 v[204:207], v202 offset0:96 offset1:97
	v_add_f64 v[24:25], v[24:25], -v[196:197]
	s_waitcnt lgkmcnt(0)
	v_mul_f64 v[196:197], v[206:207], v[198:199]
	v_fma_f64 v[196:197], v[204:205], v[208:209], -v[196:197]
	v_mul_f64 v[204:205], v[204:205], v[198:199]
	v_fmac_f64_e32 v[204:205], v[206:207], v[208:209]
	v_add_f64 v[22:23], v[22:23], -v[204:205]
	ds_read2_b64 v[204:207], v202 offset0:98 offset1:99
	v_add_f64 v[20:21], v[20:21], -v[196:197]
	s_waitcnt lgkmcnt(0)
	v_mul_f64 v[196:197], v[206:207], v[198:199]
	v_fma_f64 v[196:197], v[204:205], v[208:209], -v[196:197]
	v_mul_f64 v[204:205], v[204:205], v[198:199]
	v_fmac_f64_e32 v[204:205], v[206:207], v[208:209]
	v_add_f64 v[18:19], v[18:19], -v[204:205]
	ds_read2_b64 v[204:207], v202 offset0:100 offset1:101
	v_add_f64 v[16:17], v[16:17], -v[196:197]
	s_waitcnt lgkmcnt(0)
	v_mul_f64 v[196:197], v[206:207], v[198:199]
	v_fma_f64 v[196:197], v[204:205], v[208:209], -v[196:197]
	v_mul_f64 v[204:205], v[204:205], v[198:199]
	v_fmac_f64_e32 v[204:205], v[206:207], v[208:209]
	v_add_f64 v[14:15], v[14:15], -v[204:205]
	ds_read2_b64 v[204:207], v202 offset0:102 offset1:103
	v_add_f64 v[12:13], v[12:13], -v[196:197]
	s_waitcnt lgkmcnt(0)
	v_mul_f64 v[196:197], v[206:207], v[198:199]
	v_fma_f64 v[196:197], v[204:205], v[208:209], -v[196:197]
	v_mul_f64 v[204:205], v[204:205], v[198:199]
	v_fmac_f64_e32 v[204:205], v[206:207], v[208:209]
	v_add_f64 v[10:11], v[10:11], -v[204:205]
	ds_read2_b64 v[204:207], v202 offset0:104 offset1:105
	v_add_f64 v[8:9], v[8:9], -v[196:197]
	s_waitcnt lgkmcnt(0)
	v_mul_f64 v[196:197], v[206:207], v[198:199]
	v_fma_f64 v[196:197], v[204:205], v[208:209], -v[196:197]
	v_mul_f64 v[204:205], v[204:205], v[198:199]
	v_fmac_f64_e32 v[204:205], v[206:207], v[208:209]
	v_add_f64 v[6:7], v[6:7], -v[204:205]
	ds_read2_b64 v[204:207], v202 offset0:106 offset1:107
	v_add_f64 v[4:5], v[4:5], -v[196:197]
	s_waitcnt lgkmcnt(0)
	v_mul_f64 v[196:197], v[206:207], v[198:199]
	v_fma_f64 v[196:197], v[204:205], v[208:209], -v[196:197]
	v_mul_f64 v[204:205], v[204:205], v[198:199]
	v_fmac_f64_e32 v[204:205], v[206:207], v[208:209]
	v_add_f64 v[2:3], v[2:3], -v[204:205]
	ds_read2_b64 v[204:207], v202 offset0:108 offset1:109
	v_add_f64 v[0:1], v[0:1], -v[196:197]
	s_waitcnt lgkmcnt(0)
	v_mul_f64 v[196:197], v[206:207], v[198:199]
	v_fma_f64 v[196:197], v[204:205], v[208:209], -v[196:197]
	v_mul_f64 v[204:205], v[204:205], v[198:199]
	v_fmac_f64_e32 v[204:205], v[206:207], v[208:209]
	v_add_f64 v[216:217], v[216:217], -v[196:197]
	v_add_f64 v[218:219], v[218:219], -v[204:205]
	v_mov_b64_e32 v[196:197], v[208:209]
.LBB109_46:
	s_or_b64 exec, exec, s[2:3]
	v_cmp_eq_u32_e32 vcc, 5, v200
	s_waitcnt vmcnt(63) expcnt(7) lgkmcnt(15)
	s_barrier
	s_and_saveexec_b64 s[4:5], vcc
	s_cbranch_execz .LBB109_53
; %bb.47:
	scratch_load_dwordx4 v[192:195], off, off ; 16-byte Folded Reload
	s_waitcnt vmcnt(0)
	ds_write2_b64 v201, v[192:193], v[194:195] offset1:1
	ds_write2_b64 v202, v[188:189], v[190:191] offset0:12 offset1:13
	ds_write2_b64 v202, v[184:185], v[186:187] offset0:14 offset1:15
	;; [unrolled: 1-line block ×49, first 2 shown]
	ds_read2_b64 v[208:211], v201 offset1:1
	s_waitcnt lgkmcnt(0)
	v_cmp_neq_f64_e32 vcc, 0, v[208:209]
	v_cmp_neq_f64_e64 s[2:3], 0, v[210:211]
	s_or_b64 s[2:3], vcc, s[2:3]
	s_and_b64 exec, exec, s[2:3]
	s_cbranch_execz .LBB109_53
; %bb.48:
	v_cmp_ngt_f64_e64 s[2:3], |v[208:209]|, |v[210:211]|
                                        ; implicit-def: $vgpr204_vgpr205
	s_and_saveexec_b64 s[10:11], s[2:3]
	s_xor_b64 s[2:3], exec, s[10:11]
                                        ; implicit-def: $vgpr206_vgpr207
	s_cbranch_execz .LBB109_50
; %bb.49:
	v_div_scale_f64 v[204:205], s[10:11], v[210:211], v[210:211], v[208:209]
	v_rcp_f64_e32 v[206:207], v[204:205]
	v_div_scale_f64 v[212:213], vcc, v[208:209], v[210:211], v[208:209]
	v_fma_f64 v[214:215], -v[204:205], v[206:207], 1.0
	v_fmac_f64_e32 v[206:207], v[206:207], v[214:215]
	v_fma_f64 v[214:215], -v[204:205], v[206:207], 1.0
	v_fmac_f64_e32 v[206:207], v[206:207], v[214:215]
	v_mul_f64 v[214:215], v[212:213], v[206:207]
	v_fma_f64 v[204:205], -v[204:205], v[214:215], v[212:213]
	v_div_fmas_f64 v[204:205], v[204:205], v[206:207], v[214:215]
	v_div_fixup_f64 v[204:205], v[204:205], v[210:211], v[208:209]
	v_fmac_f64_e32 v[210:211], v[208:209], v[204:205]
	v_div_scale_f64 v[206:207], s[10:11], v[210:211], v[210:211], 1.0
	v_rcp_f64_e32 v[208:209], v[206:207]
	s_nop 0
	v_fma_f64 v[212:213], -v[206:207], v[208:209], 1.0
	v_fmac_f64_e32 v[208:209], v[208:209], v[212:213]
	v_fma_f64 v[212:213], -v[206:207], v[208:209], 1.0
	v_fmac_f64_e32 v[208:209], v[208:209], v[212:213]
	v_div_scale_f64 v[212:213], vcc, 1.0, v[210:211], 1.0
	v_mul_f64 v[214:215], v[212:213], v[208:209]
	v_fma_f64 v[206:207], -v[206:207], v[214:215], v[212:213]
	s_nop 1
	v_div_fmas_f64 v[206:207], v[206:207], v[208:209], v[214:215]
	v_div_fixup_f64 v[206:207], v[206:207], v[210:211], 1.0
	v_mul_f64 v[204:205], v[204:205], v[206:207]
	v_xor_b32_e32 v207, 0x80000000, v207
                                        ; implicit-def: $vgpr208_vgpr209
.LBB109_50:
	s_andn2_saveexec_b64 s[2:3], s[2:3]
	s_cbranch_execz .LBB109_52
; %bb.51:
	v_div_scale_f64 v[204:205], s[10:11], v[208:209], v[208:209], v[210:211]
	v_rcp_f64_e32 v[206:207], v[204:205]
	v_div_scale_f64 v[212:213], vcc, v[210:211], v[208:209], v[210:211]
	v_fma_f64 v[214:215], -v[204:205], v[206:207], 1.0
	v_fmac_f64_e32 v[206:207], v[206:207], v[214:215]
	v_fma_f64 v[214:215], -v[204:205], v[206:207], 1.0
	v_fmac_f64_e32 v[206:207], v[206:207], v[214:215]
	v_mul_f64 v[214:215], v[212:213], v[206:207]
	v_fma_f64 v[204:205], -v[204:205], v[214:215], v[212:213]
	v_div_fmas_f64 v[204:205], v[204:205], v[206:207], v[214:215]
	v_div_fixup_f64 v[206:207], v[204:205], v[208:209], v[210:211]
	v_fmac_f64_e32 v[208:209], v[210:211], v[206:207]
	v_div_scale_f64 v[204:205], s[10:11], v[208:209], v[208:209], 1.0
	v_rcp_f64_e32 v[210:211], v[204:205]
	s_nop 0
	v_fma_f64 v[212:213], -v[204:205], v[210:211], 1.0
	v_fmac_f64_e32 v[210:211], v[210:211], v[212:213]
	v_fma_f64 v[212:213], -v[204:205], v[210:211], 1.0
	v_fmac_f64_e32 v[210:211], v[210:211], v[212:213]
	v_div_scale_f64 v[212:213], vcc, 1.0, v[208:209], 1.0
	v_mul_f64 v[214:215], v[212:213], v[210:211]
	v_fma_f64 v[204:205], -v[204:205], v[214:215], v[212:213]
	s_nop 1
	v_div_fmas_f64 v[204:205], v[204:205], v[210:211], v[214:215]
	v_div_fixup_f64 v[204:205], v[204:205], v[208:209], 1.0
	v_mul_f64 v[206:207], v[206:207], -v[204:205]
.LBB109_52:
	s_or_b64 exec, exec, s[2:3]
	ds_write2_b64 v201, v[204:205], v[206:207] offset1:1
.LBB109_53:
	s_or_b64 exec, exec, s[4:5]
	s_waitcnt lgkmcnt(0)
	s_barrier
	ds_read2_b64 v[192:195], v201 offset1:1
	v_cmp_lt_u32_e32 vcc, 5, v200
	s_waitcnt lgkmcnt(0)
	scratch_store_dwordx4 off, v[192:195], off offset:600 ; 16-byte Folded Spill
	s_and_saveexec_b64 s[2:3], vcc
	s_cbranch_execz .LBB109_55
; %bb.54:
	scratch_load_dwordx4 v[192:195], off, off ; 16-byte Folded Reload
	scratch_load_dwordx4 v[210:213], off, off offset:600 ; 16-byte Folded Reload
	s_waitcnt vmcnt(0)
	v_mul_f64 v[204:205], v[212:213], v[194:195]
	v_fma_f64 v[208:209], v[210:211], v[192:193], -v[204:205]
	ds_read2_b64 v[204:207], v202 offset0:12 offset1:13
	v_mul_f64 v[194:195], v[210:211], v[194:195]
	v_fmac_f64_e32 v[194:195], v[212:213], v[192:193]
	s_waitcnt lgkmcnt(0)
	v_mul_f64 v[192:193], v[206:207], v[194:195]
	v_fma_f64 v[192:193], v[204:205], v[208:209], -v[192:193]
	v_mul_f64 v[204:205], v[204:205], v[194:195]
	v_fmac_f64_e32 v[204:205], v[206:207], v[208:209]
	v_add_f64 v[190:191], v[190:191], -v[204:205]
	ds_read2_b64 v[204:207], v202 offset0:14 offset1:15
	v_add_f64 v[188:189], v[188:189], -v[192:193]
	s_waitcnt lgkmcnt(0)
	v_mul_f64 v[192:193], v[206:207], v[194:195]
	v_fma_f64 v[192:193], v[204:205], v[208:209], -v[192:193]
	v_mul_f64 v[204:205], v[204:205], v[194:195]
	v_fmac_f64_e32 v[204:205], v[206:207], v[208:209]
	v_add_f64 v[186:187], v[186:187], -v[204:205]
	ds_read2_b64 v[204:207], v202 offset0:16 offset1:17
	v_add_f64 v[184:185], v[184:185], -v[192:193]
	;; [unrolled: 8-line block ×48, first 2 shown]
	s_waitcnt lgkmcnt(0)
	v_mul_f64 v[192:193], v[206:207], v[194:195]
	v_fma_f64 v[192:193], v[204:205], v[208:209], -v[192:193]
	v_mul_f64 v[204:205], v[204:205], v[194:195]
	v_fmac_f64_e32 v[204:205], v[206:207], v[208:209]
	v_add_f64 v[216:217], v[216:217], -v[192:193]
	v_add_f64 v[218:219], v[218:219], -v[204:205]
	v_mov_b64_e32 v[192:193], v[208:209]
	scratch_store_dwordx4 off, v[192:195], off ; 16-byte Folded Spill
.LBB109_55:
	s_or_b64 exec, exec, s[2:3]
	v_cmp_eq_u32_e32 vcc, 6, v200
	s_waitcnt vmcnt(63) expcnt(7) lgkmcnt(15)
	s_barrier
	s_and_saveexec_b64 s[4:5], vcc
	s_cbranch_execz .LBB109_62
; %bb.56:
	ds_write2_b64 v201, v[188:189], v[190:191] offset1:1
	ds_write2_b64 v202, v[184:185], v[186:187] offset0:14 offset1:15
	ds_write2_b64 v202, v[180:181], v[182:183] offset0:16 offset1:17
	;; [unrolled: 1-line block ×28, first 2 shown]
	s_waitcnt vmcnt(62)
	ds_write2_b64 v202, v[72:73], v[74:75] offset0:70 offset1:71
	ds_write2_b64 v202, v[68:69], v[70:71] offset0:72 offset1:73
	s_waitcnt vmcnt(61)
	ds_write2_b64 v202, v[64:65], v[66:67] offset0:74 offset1:75
	s_waitcnt vmcnt(36)
	;; [unrolled: 2-line block ×13, first 2 shown]
	ds_write2_b64 v202, v[16:17], v[18:19] offset0:98 offset1:99
	ds_write2_b64 v202, v[12:13], v[14:15] offset0:100 offset1:101
	ds_write2_b64 v202, v[8:9], v[10:11] offset0:102 offset1:103
	ds_write2_b64 v202, v[4:5], v[6:7] offset0:104 offset1:105
	s_waitcnt vmcnt(24)
	ds_write2_b64 v202, v[0:1], v[2:3] offset0:106 offset1:107
	s_waitcnt vmcnt(21)
	ds_write2_b64 v202, v[216:217], v[218:219] offset0:108 offset1:109
	ds_read2_b64 v[208:211], v201 offset1:1
	s_waitcnt lgkmcnt(0)
	v_cmp_neq_f64_e32 vcc, 0, v[208:209]
	v_cmp_neq_f64_e64 s[2:3], 0, v[210:211]
	s_or_b64 s[2:3], vcc, s[2:3]
	s_and_b64 exec, exec, s[2:3]
	s_cbranch_execz .LBB109_62
; %bb.57:
	v_cmp_ngt_f64_e64 s[2:3], |v[208:209]|, |v[210:211]|
                                        ; implicit-def: $vgpr204_vgpr205
	s_and_saveexec_b64 s[10:11], s[2:3]
	s_xor_b64 s[2:3], exec, s[10:11]
                                        ; implicit-def: $vgpr206_vgpr207
	s_cbranch_execz .LBB109_59
; %bb.58:
	v_div_scale_f64 v[204:205], s[10:11], v[210:211], v[210:211], v[208:209]
	v_rcp_f64_e32 v[206:207], v[204:205]
	v_div_scale_f64 v[212:213], vcc, v[208:209], v[210:211], v[208:209]
	v_fma_f64 v[214:215], -v[204:205], v[206:207], 1.0
	v_fmac_f64_e32 v[206:207], v[206:207], v[214:215]
	v_fma_f64 v[214:215], -v[204:205], v[206:207], 1.0
	v_fmac_f64_e32 v[206:207], v[206:207], v[214:215]
	v_mul_f64 v[214:215], v[212:213], v[206:207]
	v_fma_f64 v[204:205], -v[204:205], v[214:215], v[212:213]
	v_div_fmas_f64 v[204:205], v[204:205], v[206:207], v[214:215]
	v_div_fixup_f64 v[204:205], v[204:205], v[210:211], v[208:209]
	v_fmac_f64_e32 v[210:211], v[208:209], v[204:205]
	v_div_scale_f64 v[206:207], s[10:11], v[210:211], v[210:211], 1.0
	v_rcp_f64_e32 v[208:209], v[206:207]
	s_nop 0
	v_fma_f64 v[212:213], -v[206:207], v[208:209], 1.0
	v_fmac_f64_e32 v[208:209], v[208:209], v[212:213]
	v_fma_f64 v[212:213], -v[206:207], v[208:209], 1.0
	v_fmac_f64_e32 v[208:209], v[208:209], v[212:213]
	v_div_scale_f64 v[212:213], vcc, 1.0, v[210:211], 1.0
	v_mul_f64 v[214:215], v[212:213], v[208:209]
	v_fma_f64 v[206:207], -v[206:207], v[214:215], v[212:213]
	s_nop 1
	v_div_fmas_f64 v[206:207], v[206:207], v[208:209], v[214:215]
	v_div_fixup_f64 v[206:207], v[206:207], v[210:211], 1.0
	v_mul_f64 v[204:205], v[204:205], v[206:207]
	v_xor_b32_e32 v207, 0x80000000, v207
                                        ; implicit-def: $vgpr208_vgpr209
.LBB109_59:
	s_andn2_saveexec_b64 s[2:3], s[2:3]
	s_cbranch_execz .LBB109_61
; %bb.60:
	v_div_scale_f64 v[204:205], s[10:11], v[208:209], v[208:209], v[210:211]
	v_rcp_f64_e32 v[206:207], v[204:205]
	v_div_scale_f64 v[212:213], vcc, v[210:211], v[208:209], v[210:211]
	v_fma_f64 v[214:215], -v[204:205], v[206:207], 1.0
	v_fmac_f64_e32 v[206:207], v[206:207], v[214:215]
	v_fma_f64 v[214:215], -v[204:205], v[206:207], 1.0
	v_fmac_f64_e32 v[206:207], v[206:207], v[214:215]
	v_mul_f64 v[214:215], v[212:213], v[206:207]
	v_fma_f64 v[204:205], -v[204:205], v[214:215], v[212:213]
	v_div_fmas_f64 v[204:205], v[204:205], v[206:207], v[214:215]
	v_div_fixup_f64 v[206:207], v[204:205], v[208:209], v[210:211]
	v_fmac_f64_e32 v[208:209], v[210:211], v[206:207]
	v_div_scale_f64 v[204:205], s[10:11], v[208:209], v[208:209], 1.0
	v_rcp_f64_e32 v[210:211], v[204:205]
	s_nop 0
	v_fma_f64 v[212:213], -v[204:205], v[210:211], 1.0
	v_fmac_f64_e32 v[210:211], v[210:211], v[212:213]
	v_fma_f64 v[212:213], -v[204:205], v[210:211], 1.0
	v_fmac_f64_e32 v[210:211], v[210:211], v[212:213]
	v_div_scale_f64 v[212:213], vcc, 1.0, v[208:209], 1.0
	v_mul_f64 v[214:215], v[212:213], v[210:211]
	v_fma_f64 v[204:205], -v[204:205], v[214:215], v[212:213]
	s_nop 1
	v_div_fmas_f64 v[204:205], v[204:205], v[210:211], v[214:215]
	v_div_fixup_f64 v[204:205], v[204:205], v[208:209], 1.0
	v_mul_f64 v[206:207], v[206:207], -v[204:205]
.LBB109_61:
	s_or_b64 exec, exec, s[2:3]
	ds_write2_b64 v201, v[204:205], v[206:207] offset1:1
.LBB109_62:
	s_or_b64 exec, exec, s[4:5]
	s_waitcnt lgkmcnt(0)
	s_barrier
	ds_read2_b64 v[192:195], v201 offset1:1
	v_cmp_lt_u32_e32 vcc, 6, v200
	s_waitcnt lgkmcnt(0)
	scratch_store_dwordx4 off, v[192:195], off offset:616 ; 16-byte Folded Spill
	s_and_saveexec_b64 s[2:3], vcc
	s_cbranch_execz .LBB109_64
; %bb.63:
	scratch_load_dwordx4 v[192:195], off, off offset:616 ; 16-byte Folded Reload
	s_waitcnt vmcnt(0)
	v_mul_f64 v[204:205], v[194:195], v[190:191]
	v_fma_f64 v[208:209], v[192:193], v[188:189], -v[204:205]
	ds_read2_b64 v[204:207], v202 offset0:14 offset1:15
	v_mul_f64 v[190:191], v[192:193], v[190:191]
	v_fmac_f64_e32 v[190:191], v[194:195], v[188:189]
	s_waitcnt lgkmcnt(0)
	v_mul_f64 v[188:189], v[206:207], v[190:191]
	v_fma_f64 v[188:189], v[204:205], v[208:209], -v[188:189]
	v_mul_f64 v[204:205], v[204:205], v[190:191]
	v_fmac_f64_e32 v[204:205], v[206:207], v[208:209]
	v_add_f64 v[186:187], v[186:187], -v[204:205]
	ds_read2_b64 v[204:207], v202 offset0:16 offset1:17
	v_add_f64 v[184:185], v[184:185], -v[188:189]
	s_waitcnt lgkmcnt(0)
	v_mul_f64 v[188:189], v[206:207], v[190:191]
	v_fma_f64 v[188:189], v[204:205], v[208:209], -v[188:189]
	v_mul_f64 v[204:205], v[204:205], v[190:191]
	v_fmac_f64_e32 v[204:205], v[206:207], v[208:209]
	v_add_f64 v[182:183], v[182:183], -v[204:205]
	ds_read2_b64 v[204:207], v202 offset0:18 offset1:19
	v_add_f64 v[180:181], v[180:181], -v[188:189]
	;; [unrolled: 8-line block ×47, first 2 shown]
	s_waitcnt lgkmcnt(0)
	v_mul_f64 v[188:189], v[206:207], v[190:191]
	v_fma_f64 v[188:189], v[204:205], v[208:209], -v[188:189]
	v_mul_f64 v[204:205], v[204:205], v[190:191]
	v_fmac_f64_e32 v[204:205], v[206:207], v[208:209]
	v_add_f64 v[216:217], v[216:217], -v[188:189]
	v_add_f64 v[218:219], v[218:219], -v[204:205]
	v_mov_b64_e32 v[188:189], v[208:209]
.LBB109_64:
	s_or_b64 exec, exec, s[2:3]
	v_cmp_eq_u32_e32 vcc, 7, v200
	s_waitcnt vmcnt(63) expcnt(7) lgkmcnt(15)
	s_barrier
	s_and_saveexec_b64 s[4:5], vcc
	s_cbranch_execz .LBB109_71
; %bb.65:
	ds_write2_b64 v201, v[184:185], v[186:187] offset1:1
	ds_write2_b64 v202, v[180:181], v[182:183] offset0:16 offset1:17
	ds_write2_b64 v202, v[176:177], v[178:179] offset0:18 offset1:19
	ds_write2_b64 v202, v[172:173], v[174:175] offset0:20 offset1:21
	ds_write2_b64 v202, v[168:169], v[170:171] offset0:22 offset1:23
	ds_write2_b64 v202, v[164:165], v[166:167] offset0:24 offset1:25
	ds_write2_b64 v202, v[160:161], v[162:163] offset0:26 offset1:27
	ds_write2_b64 v202, v[156:157], v[158:159] offset0:28 offset1:29
	ds_write2_b64 v202, v[152:153], v[154:155] offset0:30 offset1:31
	ds_write2_b64 v202, v[148:149], v[150:151] offset0:32 offset1:33
	ds_write2_b64 v202, v[144:145], v[146:147] offset0:34 offset1:35
	ds_write2_b64 v202, v[140:141], v[142:143] offset0:36 offset1:37
	ds_write2_b64 v202, v[136:137], v[138:139] offset0:38 offset1:39
	ds_write2_b64 v202, v[132:133], v[134:135] offset0:40 offset1:41
	ds_write2_b64 v202, v[128:129], v[130:131] offset0:42 offset1:43
	ds_write2_b64 v202, v[124:125], v[126:127] offset0:44 offset1:45
	ds_write2_b64 v202, v[120:121], v[122:123] offset0:46 offset1:47
	ds_write2_b64 v202, v[116:117], v[118:119] offset0:48 offset1:49
	ds_write2_b64 v202, v[112:113], v[114:115] offset0:50 offset1:51
	ds_write2_b64 v202, v[108:109], v[110:111] offset0:52 offset1:53
	ds_write2_b64 v202, v[104:105], v[106:107] offset0:54 offset1:55
	ds_write2_b64 v202, v[100:101], v[102:103] offset0:56 offset1:57
	ds_write2_b64 v202, v[96:97], v[98:99] offset0:58 offset1:59
	ds_write2_b64 v202, v[92:93], v[94:95] offset0:60 offset1:61
	ds_write2_b64 v202, v[88:89], v[90:91] offset0:62 offset1:63
	ds_write2_b64 v202, v[84:85], v[86:87] offset0:64 offset1:65
	ds_write2_b64 v202, v[80:81], v[82:83] offset0:66 offset1:67
	ds_write2_b64 v202, v[76:77], v[78:79] offset0:68 offset1:69
	ds_write2_b64 v202, v[72:73], v[74:75] offset0:70 offset1:71
	ds_write2_b64 v202, v[68:69], v[70:71] offset0:72 offset1:73
	s_waitcnt vmcnt(62)
	ds_write2_b64 v202, v[64:65], v[66:67] offset0:74 offset1:75
	s_waitcnt vmcnt(37)
	ds_write2_b64 v202, v[60:61], v[62:63] offset0:76 offset1:77
	;; [unrolled: 2-line block ×13, first 2 shown]
	ds_write2_b64 v202, v[12:13], v[14:15] offset0:100 offset1:101
	ds_write2_b64 v202, v[8:9], v[10:11] offset0:102 offset1:103
	;; [unrolled: 1-line block ×3, first 2 shown]
	s_waitcnt vmcnt(25)
	ds_write2_b64 v202, v[0:1], v[2:3] offset0:106 offset1:107
	s_waitcnt vmcnt(22)
	ds_write2_b64 v202, v[216:217], v[218:219] offset0:108 offset1:109
	ds_read2_b64 v[208:211], v201 offset1:1
	s_waitcnt lgkmcnt(0)
	v_cmp_neq_f64_e32 vcc, 0, v[208:209]
	v_cmp_neq_f64_e64 s[2:3], 0, v[210:211]
	s_or_b64 s[2:3], vcc, s[2:3]
	s_and_b64 exec, exec, s[2:3]
	s_cbranch_execz .LBB109_71
; %bb.66:
	v_cmp_ngt_f64_e64 s[2:3], |v[208:209]|, |v[210:211]|
                                        ; implicit-def: $vgpr204_vgpr205
	s_and_saveexec_b64 s[10:11], s[2:3]
	s_xor_b64 s[2:3], exec, s[10:11]
                                        ; implicit-def: $vgpr206_vgpr207
	s_cbranch_execz .LBB109_68
; %bb.67:
	v_div_scale_f64 v[204:205], s[10:11], v[210:211], v[210:211], v[208:209]
	v_rcp_f64_e32 v[206:207], v[204:205]
	v_div_scale_f64 v[212:213], vcc, v[208:209], v[210:211], v[208:209]
	v_fma_f64 v[214:215], -v[204:205], v[206:207], 1.0
	v_fmac_f64_e32 v[206:207], v[206:207], v[214:215]
	v_fma_f64 v[214:215], -v[204:205], v[206:207], 1.0
	v_fmac_f64_e32 v[206:207], v[206:207], v[214:215]
	v_mul_f64 v[214:215], v[212:213], v[206:207]
	v_fma_f64 v[204:205], -v[204:205], v[214:215], v[212:213]
	v_div_fmas_f64 v[204:205], v[204:205], v[206:207], v[214:215]
	v_div_fixup_f64 v[204:205], v[204:205], v[210:211], v[208:209]
	v_fmac_f64_e32 v[210:211], v[208:209], v[204:205]
	v_div_scale_f64 v[206:207], s[10:11], v[210:211], v[210:211], 1.0
	v_rcp_f64_e32 v[208:209], v[206:207]
	s_nop 0
	v_fma_f64 v[212:213], -v[206:207], v[208:209], 1.0
	v_fmac_f64_e32 v[208:209], v[208:209], v[212:213]
	v_fma_f64 v[212:213], -v[206:207], v[208:209], 1.0
	v_fmac_f64_e32 v[208:209], v[208:209], v[212:213]
	v_div_scale_f64 v[212:213], vcc, 1.0, v[210:211], 1.0
	v_mul_f64 v[214:215], v[212:213], v[208:209]
	v_fma_f64 v[206:207], -v[206:207], v[214:215], v[212:213]
	s_nop 1
	v_div_fmas_f64 v[206:207], v[206:207], v[208:209], v[214:215]
	v_div_fixup_f64 v[206:207], v[206:207], v[210:211], 1.0
	v_mul_f64 v[204:205], v[204:205], v[206:207]
	v_xor_b32_e32 v207, 0x80000000, v207
                                        ; implicit-def: $vgpr208_vgpr209
.LBB109_68:
	s_andn2_saveexec_b64 s[2:3], s[2:3]
	s_cbranch_execz .LBB109_70
; %bb.69:
	v_div_scale_f64 v[204:205], s[10:11], v[208:209], v[208:209], v[210:211]
	v_rcp_f64_e32 v[206:207], v[204:205]
	v_div_scale_f64 v[212:213], vcc, v[210:211], v[208:209], v[210:211]
	v_fma_f64 v[214:215], -v[204:205], v[206:207], 1.0
	v_fmac_f64_e32 v[206:207], v[206:207], v[214:215]
	v_fma_f64 v[214:215], -v[204:205], v[206:207], 1.0
	v_fmac_f64_e32 v[206:207], v[206:207], v[214:215]
	v_mul_f64 v[214:215], v[212:213], v[206:207]
	v_fma_f64 v[204:205], -v[204:205], v[214:215], v[212:213]
	v_div_fmas_f64 v[204:205], v[204:205], v[206:207], v[214:215]
	v_div_fixup_f64 v[206:207], v[204:205], v[208:209], v[210:211]
	v_fmac_f64_e32 v[208:209], v[210:211], v[206:207]
	v_div_scale_f64 v[204:205], s[10:11], v[208:209], v[208:209], 1.0
	v_rcp_f64_e32 v[210:211], v[204:205]
	s_nop 0
	v_fma_f64 v[212:213], -v[204:205], v[210:211], 1.0
	v_fmac_f64_e32 v[210:211], v[210:211], v[212:213]
	v_fma_f64 v[212:213], -v[204:205], v[210:211], 1.0
	v_fmac_f64_e32 v[210:211], v[210:211], v[212:213]
	v_div_scale_f64 v[212:213], vcc, 1.0, v[208:209], 1.0
	v_mul_f64 v[214:215], v[212:213], v[210:211]
	v_fma_f64 v[204:205], -v[204:205], v[214:215], v[212:213]
	s_nop 1
	v_div_fmas_f64 v[204:205], v[204:205], v[210:211], v[214:215]
	v_div_fixup_f64 v[204:205], v[204:205], v[208:209], 1.0
	v_mul_f64 v[206:207], v[206:207], -v[204:205]
.LBB109_70:
	s_or_b64 exec, exec, s[2:3]
	ds_write2_b64 v201, v[204:205], v[206:207] offset1:1
.LBB109_71:
	s_or_b64 exec, exec, s[4:5]
	s_waitcnt lgkmcnt(0)
	s_barrier
	ds_read2_b64 v[192:195], v201 offset1:1
	v_cmp_lt_u32_e32 vcc, 7, v200
	s_waitcnt lgkmcnt(0)
	scratch_store_dwordx4 off, v[192:195], off offset:632 ; 16-byte Folded Spill
	s_and_saveexec_b64 s[2:3], vcc
	s_cbranch_execz .LBB109_73
; %bb.72:
	scratch_load_dwordx4 v[192:195], off, off offset:632 ; 16-byte Folded Reload
	s_waitcnt vmcnt(0)
	v_mul_f64 v[204:205], v[194:195], v[186:187]
	v_fma_f64 v[208:209], v[192:193], v[184:185], -v[204:205]
	ds_read2_b64 v[204:207], v202 offset0:16 offset1:17
	v_mul_f64 v[186:187], v[192:193], v[186:187]
	v_fmac_f64_e32 v[186:187], v[194:195], v[184:185]
	s_waitcnt lgkmcnt(0)
	v_mul_f64 v[184:185], v[206:207], v[186:187]
	v_fma_f64 v[184:185], v[204:205], v[208:209], -v[184:185]
	v_mul_f64 v[204:205], v[204:205], v[186:187]
	v_fmac_f64_e32 v[204:205], v[206:207], v[208:209]
	v_add_f64 v[182:183], v[182:183], -v[204:205]
	ds_read2_b64 v[204:207], v202 offset0:18 offset1:19
	v_add_f64 v[180:181], v[180:181], -v[184:185]
	s_waitcnt lgkmcnt(0)
	v_mul_f64 v[184:185], v[206:207], v[186:187]
	v_fma_f64 v[184:185], v[204:205], v[208:209], -v[184:185]
	v_mul_f64 v[204:205], v[204:205], v[186:187]
	v_fmac_f64_e32 v[204:205], v[206:207], v[208:209]
	v_add_f64 v[178:179], v[178:179], -v[204:205]
	ds_read2_b64 v[204:207], v202 offset0:20 offset1:21
	v_add_f64 v[176:177], v[176:177], -v[184:185]
	;; [unrolled: 8-line block ×46, first 2 shown]
	s_waitcnt lgkmcnt(0)
	v_mul_f64 v[184:185], v[206:207], v[186:187]
	v_fma_f64 v[184:185], v[204:205], v[208:209], -v[184:185]
	v_mul_f64 v[204:205], v[204:205], v[186:187]
	v_fmac_f64_e32 v[204:205], v[206:207], v[208:209]
	v_add_f64 v[216:217], v[216:217], -v[184:185]
	v_add_f64 v[218:219], v[218:219], -v[204:205]
	v_mov_b64_e32 v[184:185], v[208:209]
.LBB109_73:
	s_or_b64 exec, exec, s[2:3]
	v_cmp_eq_u32_e32 vcc, 8, v200
	s_waitcnt vmcnt(63) expcnt(7) lgkmcnt(15)
	s_barrier
	s_and_saveexec_b64 s[4:5], vcc
	s_cbranch_execz .LBB109_80
; %bb.74:
	ds_write2_b64 v201, v[180:181], v[182:183] offset1:1
	ds_write2_b64 v202, v[176:177], v[178:179] offset0:18 offset1:19
	ds_write2_b64 v202, v[172:173], v[174:175] offset0:20 offset1:21
	;; [unrolled: 1-line block ×29, first 2 shown]
	s_waitcnt vmcnt(38)
	ds_write2_b64 v202, v[60:61], v[62:63] offset0:76 offset1:77
	s_waitcnt vmcnt(37)
	ds_write2_b64 v202, v[56:57], v[58:59] offset0:78 offset1:79
	s_waitcnt vmcnt(36)
	ds_write2_b64 v202, v[52:53], v[54:55] offset0:80 offset1:81
	s_waitcnt vmcnt(35)
	ds_write2_b64 v202, v[48:49], v[50:51] offset0:82 offset1:83
	s_waitcnt vmcnt(34)
	ds_write2_b64 v202, v[44:45], v[46:47] offset0:84 offset1:85
	s_waitcnt vmcnt(33)
	ds_write2_b64 v202, v[40:41], v[42:43] offset0:86 offset1:87
	s_waitcnt vmcnt(32)
	ds_write2_b64 v202, v[36:37], v[38:39] offset0:88 offset1:89
	s_waitcnt vmcnt(31)
	ds_write2_b64 v202, v[32:33], v[34:35] offset0:90 offset1:91
	s_waitcnt vmcnt(30)
	ds_write2_b64 v202, v[28:29], v[30:31] offset0:92 offset1:93
	s_waitcnt vmcnt(29)
	ds_write2_b64 v202, v[24:25], v[26:27] offset0:94 offset1:95
	s_waitcnt vmcnt(28)
	ds_write2_b64 v202, v[20:21], v[22:23] offset0:96 offset1:97
	s_waitcnt vmcnt(27)
	ds_write2_b64 v202, v[16:17], v[18:19] offset0:98 offset1:99
	ds_write2_b64 v202, v[12:13], v[14:15] offset0:100 offset1:101
	ds_write2_b64 v202, v[8:9], v[10:11] offset0:102 offset1:103
	;; [unrolled: 1-line block ×3, first 2 shown]
	s_waitcnt vmcnt(26)
	ds_write2_b64 v202, v[0:1], v[2:3] offset0:106 offset1:107
	s_waitcnt vmcnt(23)
	ds_write2_b64 v202, v[216:217], v[218:219] offset0:108 offset1:109
	ds_read2_b64 v[208:211], v201 offset1:1
	s_waitcnt lgkmcnt(0)
	v_cmp_neq_f64_e32 vcc, 0, v[208:209]
	v_cmp_neq_f64_e64 s[2:3], 0, v[210:211]
	s_or_b64 s[2:3], vcc, s[2:3]
	s_and_b64 exec, exec, s[2:3]
	s_cbranch_execz .LBB109_80
; %bb.75:
	v_cmp_ngt_f64_e64 s[2:3], |v[208:209]|, |v[210:211]|
                                        ; implicit-def: $vgpr204_vgpr205
	s_and_saveexec_b64 s[10:11], s[2:3]
	s_xor_b64 s[2:3], exec, s[10:11]
                                        ; implicit-def: $vgpr206_vgpr207
	s_cbranch_execz .LBB109_77
; %bb.76:
	v_div_scale_f64 v[204:205], s[10:11], v[210:211], v[210:211], v[208:209]
	v_rcp_f64_e32 v[206:207], v[204:205]
	v_div_scale_f64 v[212:213], vcc, v[208:209], v[210:211], v[208:209]
	v_fma_f64 v[214:215], -v[204:205], v[206:207], 1.0
	v_fmac_f64_e32 v[206:207], v[206:207], v[214:215]
	v_fma_f64 v[214:215], -v[204:205], v[206:207], 1.0
	v_fmac_f64_e32 v[206:207], v[206:207], v[214:215]
	v_mul_f64 v[214:215], v[212:213], v[206:207]
	v_fma_f64 v[204:205], -v[204:205], v[214:215], v[212:213]
	v_div_fmas_f64 v[204:205], v[204:205], v[206:207], v[214:215]
	v_div_fixup_f64 v[204:205], v[204:205], v[210:211], v[208:209]
	v_fmac_f64_e32 v[210:211], v[208:209], v[204:205]
	v_div_scale_f64 v[206:207], s[10:11], v[210:211], v[210:211], 1.0
	v_rcp_f64_e32 v[208:209], v[206:207]
	s_nop 0
	v_fma_f64 v[212:213], -v[206:207], v[208:209], 1.0
	v_fmac_f64_e32 v[208:209], v[208:209], v[212:213]
	v_fma_f64 v[212:213], -v[206:207], v[208:209], 1.0
	v_fmac_f64_e32 v[208:209], v[208:209], v[212:213]
	v_div_scale_f64 v[212:213], vcc, 1.0, v[210:211], 1.0
	v_mul_f64 v[214:215], v[212:213], v[208:209]
	v_fma_f64 v[206:207], -v[206:207], v[214:215], v[212:213]
	s_nop 1
	v_div_fmas_f64 v[206:207], v[206:207], v[208:209], v[214:215]
	v_div_fixup_f64 v[206:207], v[206:207], v[210:211], 1.0
	v_mul_f64 v[204:205], v[204:205], v[206:207]
	v_xor_b32_e32 v207, 0x80000000, v207
                                        ; implicit-def: $vgpr208_vgpr209
.LBB109_77:
	s_andn2_saveexec_b64 s[2:3], s[2:3]
	s_cbranch_execz .LBB109_79
; %bb.78:
	v_div_scale_f64 v[204:205], s[10:11], v[208:209], v[208:209], v[210:211]
	v_rcp_f64_e32 v[206:207], v[204:205]
	v_div_scale_f64 v[212:213], vcc, v[210:211], v[208:209], v[210:211]
	v_fma_f64 v[214:215], -v[204:205], v[206:207], 1.0
	v_fmac_f64_e32 v[206:207], v[206:207], v[214:215]
	v_fma_f64 v[214:215], -v[204:205], v[206:207], 1.0
	v_fmac_f64_e32 v[206:207], v[206:207], v[214:215]
	v_mul_f64 v[214:215], v[212:213], v[206:207]
	v_fma_f64 v[204:205], -v[204:205], v[214:215], v[212:213]
	v_div_fmas_f64 v[204:205], v[204:205], v[206:207], v[214:215]
	v_div_fixup_f64 v[206:207], v[204:205], v[208:209], v[210:211]
	v_fmac_f64_e32 v[208:209], v[210:211], v[206:207]
	v_div_scale_f64 v[204:205], s[10:11], v[208:209], v[208:209], 1.0
	v_rcp_f64_e32 v[210:211], v[204:205]
	s_nop 0
	v_fma_f64 v[212:213], -v[204:205], v[210:211], 1.0
	v_fmac_f64_e32 v[210:211], v[210:211], v[212:213]
	v_fma_f64 v[212:213], -v[204:205], v[210:211], 1.0
	v_fmac_f64_e32 v[210:211], v[210:211], v[212:213]
	v_div_scale_f64 v[212:213], vcc, 1.0, v[208:209], 1.0
	v_mul_f64 v[214:215], v[212:213], v[210:211]
	v_fma_f64 v[204:205], -v[204:205], v[214:215], v[212:213]
	s_nop 1
	v_div_fmas_f64 v[204:205], v[204:205], v[210:211], v[214:215]
	v_div_fixup_f64 v[204:205], v[204:205], v[208:209], 1.0
	v_mul_f64 v[206:207], v[206:207], -v[204:205]
.LBB109_79:
	s_or_b64 exec, exec, s[2:3]
	ds_write2_b64 v201, v[204:205], v[206:207] offset1:1
.LBB109_80:
	s_or_b64 exec, exec, s[4:5]
	s_waitcnt lgkmcnt(0)
	s_barrier
	ds_read2_b64 v[192:195], v201 offset1:1
	v_cmp_lt_u32_e32 vcc, 8, v200
	s_waitcnt lgkmcnt(0)
	scratch_store_dwordx4 off, v[192:195], off offset:648 ; 16-byte Folded Spill
	s_and_saveexec_b64 s[2:3], vcc
	s_cbranch_execz .LBB109_82
; %bb.81:
	scratch_load_dwordx4 v[192:195], off, off offset:648 ; 16-byte Folded Reload
	s_waitcnt vmcnt(0)
	v_mul_f64 v[204:205], v[194:195], v[182:183]
	v_fma_f64 v[208:209], v[192:193], v[180:181], -v[204:205]
	ds_read2_b64 v[204:207], v202 offset0:18 offset1:19
	v_mul_f64 v[182:183], v[192:193], v[182:183]
	v_fmac_f64_e32 v[182:183], v[194:195], v[180:181]
	s_waitcnt lgkmcnt(0)
	v_mul_f64 v[180:181], v[206:207], v[182:183]
	v_fma_f64 v[180:181], v[204:205], v[208:209], -v[180:181]
	v_mul_f64 v[204:205], v[204:205], v[182:183]
	v_fmac_f64_e32 v[204:205], v[206:207], v[208:209]
	v_add_f64 v[178:179], v[178:179], -v[204:205]
	ds_read2_b64 v[204:207], v202 offset0:20 offset1:21
	v_add_f64 v[176:177], v[176:177], -v[180:181]
	s_waitcnt lgkmcnt(0)
	v_mul_f64 v[180:181], v[206:207], v[182:183]
	v_fma_f64 v[180:181], v[204:205], v[208:209], -v[180:181]
	v_mul_f64 v[204:205], v[204:205], v[182:183]
	v_fmac_f64_e32 v[204:205], v[206:207], v[208:209]
	v_add_f64 v[174:175], v[174:175], -v[204:205]
	ds_read2_b64 v[204:207], v202 offset0:22 offset1:23
	v_add_f64 v[172:173], v[172:173], -v[180:181]
	;; [unrolled: 8-line block ×45, first 2 shown]
	s_waitcnt lgkmcnt(0)
	v_mul_f64 v[180:181], v[206:207], v[182:183]
	v_fma_f64 v[180:181], v[204:205], v[208:209], -v[180:181]
	v_mul_f64 v[204:205], v[204:205], v[182:183]
	v_fmac_f64_e32 v[204:205], v[206:207], v[208:209]
	v_add_f64 v[216:217], v[216:217], -v[180:181]
	v_add_f64 v[218:219], v[218:219], -v[204:205]
	v_mov_b64_e32 v[180:181], v[208:209]
.LBB109_82:
	s_or_b64 exec, exec, s[2:3]
	v_cmp_eq_u32_e32 vcc, 9, v200
	s_waitcnt vmcnt(63) expcnt(7) lgkmcnt(15)
	s_barrier
	s_and_saveexec_b64 s[4:5], vcc
	s_cbranch_execz .LBB109_89
; %bb.83:
	ds_write2_b64 v201, v[176:177], v[178:179] offset1:1
	ds_write2_b64 v202, v[172:173], v[174:175] offset0:20 offset1:21
	ds_write2_b64 v202, v[168:169], v[170:171] offset0:22 offset1:23
	;; [unrolled: 1-line block ×28, first 2 shown]
	s_waitcnt vmcnt(39)
	ds_write2_b64 v202, v[60:61], v[62:63] offset0:76 offset1:77
	s_waitcnt vmcnt(38)
	ds_write2_b64 v202, v[56:57], v[58:59] offset0:78 offset1:79
	;; [unrolled: 2-line block ×12, first 2 shown]
	ds_write2_b64 v202, v[12:13], v[14:15] offset0:100 offset1:101
	ds_write2_b64 v202, v[8:9], v[10:11] offset0:102 offset1:103
	;; [unrolled: 1-line block ×3, first 2 shown]
	s_waitcnt vmcnt(27)
	ds_write2_b64 v202, v[0:1], v[2:3] offset0:106 offset1:107
	s_waitcnt vmcnt(24)
	ds_write2_b64 v202, v[216:217], v[218:219] offset0:108 offset1:109
	ds_read2_b64 v[208:211], v201 offset1:1
	s_waitcnt lgkmcnt(0)
	v_cmp_neq_f64_e32 vcc, 0, v[208:209]
	v_cmp_neq_f64_e64 s[2:3], 0, v[210:211]
	s_or_b64 s[2:3], vcc, s[2:3]
	s_and_b64 exec, exec, s[2:3]
	s_cbranch_execz .LBB109_89
; %bb.84:
	v_cmp_ngt_f64_e64 s[2:3], |v[208:209]|, |v[210:211]|
                                        ; implicit-def: $vgpr204_vgpr205
	s_and_saveexec_b64 s[10:11], s[2:3]
	s_xor_b64 s[2:3], exec, s[10:11]
                                        ; implicit-def: $vgpr206_vgpr207
	s_cbranch_execz .LBB109_86
; %bb.85:
	v_div_scale_f64 v[204:205], s[10:11], v[210:211], v[210:211], v[208:209]
	v_rcp_f64_e32 v[206:207], v[204:205]
	v_div_scale_f64 v[212:213], vcc, v[208:209], v[210:211], v[208:209]
	v_fma_f64 v[214:215], -v[204:205], v[206:207], 1.0
	v_fmac_f64_e32 v[206:207], v[206:207], v[214:215]
	v_fma_f64 v[214:215], -v[204:205], v[206:207], 1.0
	v_fmac_f64_e32 v[206:207], v[206:207], v[214:215]
	v_mul_f64 v[214:215], v[212:213], v[206:207]
	v_fma_f64 v[204:205], -v[204:205], v[214:215], v[212:213]
	v_div_fmas_f64 v[204:205], v[204:205], v[206:207], v[214:215]
	v_div_fixup_f64 v[204:205], v[204:205], v[210:211], v[208:209]
	v_fmac_f64_e32 v[210:211], v[208:209], v[204:205]
	v_div_scale_f64 v[206:207], s[10:11], v[210:211], v[210:211], 1.0
	v_rcp_f64_e32 v[208:209], v[206:207]
	s_nop 0
	v_fma_f64 v[212:213], -v[206:207], v[208:209], 1.0
	v_fmac_f64_e32 v[208:209], v[208:209], v[212:213]
	v_fma_f64 v[212:213], -v[206:207], v[208:209], 1.0
	v_fmac_f64_e32 v[208:209], v[208:209], v[212:213]
	v_div_scale_f64 v[212:213], vcc, 1.0, v[210:211], 1.0
	v_mul_f64 v[214:215], v[212:213], v[208:209]
	v_fma_f64 v[206:207], -v[206:207], v[214:215], v[212:213]
	s_nop 1
	v_div_fmas_f64 v[206:207], v[206:207], v[208:209], v[214:215]
	v_div_fixup_f64 v[206:207], v[206:207], v[210:211], 1.0
	v_mul_f64 v[204:205], v[204:205], v[206:207]
	v_xor_b32_e32 v207, 0x80000000, v207
                                        ; implicit-def: $vgpr208_vgpr209
.LBB109_86:
	s_andn2_saveexec_b64 s[2:3], s[2:3]
	s_cbranch_execz .LBB109_88
; %bb.87:
	v_div_scale_f64 v[204:205], s[10:11], v[208:209], v[208:209], v[210:211]
	v_rcp_f64_e32 v[206:207], v[204:205]
	v_div_scale_f64 v[212:213], vcc, v[210:211], v[208:209], v[210:211]
	v_fma_f64 v[214:215], -v[204:205], v[206:207], 1.0
	v_fmac_f64_e32 v[206:207], v[206:207], v[214:215]
	v_fma_f64 v[214:215], -v[204:205], v[206:207], 1.0
	v_fmac_f64_e32 v[206:207], v[206:207], v[214:215]
	v_mul_f64 v[214:215], v[212:213], v[206:207]
	v_fma_f64 v[204:205], -v[204:205], v[214:215], v[212:213]
	v_div_fmas_f64 v[204:205], v[204:205], v[206:207], v[214:215]
	v_div_fixup_f64 v[206:207], v[204:205], v[208:209], v[210:211]
	v_fmac_f64_e32 v[208:209], v[210:211], v[206:207]
	v_div_scale_f64 v[204:205], s[10:11], v[208:209], v[208:209], 1.0
	v_rcp_f64_e32 v[210:211], v[204:205]
	s_nop 0
	v_fma_f64 v[212:213], -v[204:205], v[210:211], 1.0
	v_fmac_f64_e32 v[210:211], v[210:211], v[212:213]
	v_fma_f64 v[212:213], -v[204:205], v[210:211], 1.0
	v_fmac_f64_e32 v[210:211], v[210:211], v[212:213]
	v_div_scale_f64 v[212:213], vcc, 1.0, v[208:209], 1.0
	v_mul_f64 v[214:215], v[212:213], v[210:211]
	v_fma_f64 v[204:205], -v[204:205], v[214:215], v[212:213]
	s_nop 1
	v_div_fmas_f64 v[204:205], v[204:205], v[210:211], v[214:215]
	v_div_fixup_f64 v[204:205], v[204:205], v[208:209], 1.0
	v_mul_f64 v[206:207], v[206:207], -v[204:205]
.LBB109_88:
	s_or_b64 exec, exec, s[2:3]
	ds_write2_b64 v201, v[204:205], v[206:207] offset1:1
.LBB109_89:
	s_or_b64 exec, exec, s[4:5]
	s_waitcnt lgkmcnt(0)
	s_barrier
	ds_read2_b64 v[192:195], v201 offset1:1
	v_cmp_lt_u32_e32 vcc, 9, v200
	s_waitcnt lgkmcnt(0)
	scratch_store_dwordx4 off, v[192:195], off offset:664 ; 16-byte Folded Spill
	s_and_saveexec_b64 s[2:3], vcc
	s_cbranch_execz .LBB109_91
; %bb.90:
	scratch_load_dwordx4 v[192:195], off, off offset:664 ; 16-byte Folded Reload
	s_waitcnt vmcnt(0)
	v_mul_f64 v[204:205], v[194:195], v[178:179]
	v_fma_f64 v[208:209], v[192:193], v[176:177], -v[204:205]
	ds_read2_b64 v[204:207], v202 offset0:20 offset1:21
	v_mul_f64 v[178:179], v[192:193], v[178:179]
	v_fmac_f64_e32 v[178:179], v[194:195], v[176:177]
	s_waitcnt lgkmcnt(0)
	v_mul_f64 v[176:177], v[206:207], v[178:179]
	v_fma_f64 v[176:177], v[204:205], v[208:209], -v[176:177]
	v_mul_f64 v[204:205], v[204:205], v[178:179]
	v_fmac_f64_e32 v[204:205], v[206:207], v[208:209]
	v_add_f64 v[174:175], v[174:175], -v[204:205]
	ds_read2_b64 v[204:207], v202 offset0:22 offset1:23
	v_add_f64 v[172:173], v[172:173], -v[176:177]
	s_waitcnt lgkmcnt(0)
	v_mul_f64 v[176:177], v[206:207], v[178:179]
	v_fma_f64 v[176:177], v[204:205], v[208:209], -v[176:177]
	v_mul_f64 v[204:205], v[204:205], v[178:179]
	v_fmac_f64_e32 v[204:205], v[206:207], v[208:209]
	v_add_f64 v[170:171], v[170:171], -v[204:205]
	ds_read2_b64 v[204:207], v202 offset0:24 offset1:25
	v_add_f64 v[168:169], v[168:169], -v[176:177]
	;; [unrolled: 8-line block ×44, first 2 shown]
	s_waitcnt lgkmcnt(0)
	v_mul_f64 v[176:177], v[206:207], v[178:179]
	v_fma_f64 v[176:177], v[204:205], v[208:209], -v[176:177]
	v_mul_f64 v[204:205], v[204:205], v[178:179]
	v_fmac_f64_e32 v[204:205], v[206:207], v[208:209]
	v_add_f64 v[216:217], v[216:217], -v[176:177]
	v_add_f64 v[218:219], v[218:219], -v[204:205]
	v_mov_b64_e32 v[176:177], v[208:209]
.LBB109_91:
	s_or_b64 exec, exec, s[2:3]
	v_cmp_eq_u32_e32 vcc, 10, v200
	s_waitcnt vmcnt(63) expcnt(7) lgkmcnt(15)
	s_barrier
	s_and_saveexec_b64 s[4:5], vcc
	s_cbranch_execz .LBB109_98
; %bb.92:
	ds_write2_b64 v201, v[172:173], v[174:175] offset1:1
	ds_write2_b64 v202, v[168:169], v[170:171] offset0:22 offset1:23
	ds_write2_b64 v202, v[164:165], v[166:167] offset0:24 offset1:25
	;; [unrolled: 1-line block ×27, first 2 shown]
	s_waitcnt vmcnt(40)
	ds_write2_b64 v202, v[60:61], v[62:63] offset0:76 offset1:77
	s_waitcnt vmcnt(39)
	ds_write2_b64 v202, v[56:57], v[58:59] offset0:78 offset1:79
	;; [unrolled: 2-line block ×12, first 2 shown]
	ds_write2_b64 v202, v[12:13], v[14:15] offset0:100 offset1:101
	ds_write2_b64 v202, v[8:9], v[10:11] offset0:102 offset1:103
	;; [unrolled: 1-line block ×3, first 2 shown]
	s_waitcnt vmcnt(28)
	ds_write2_b64 v202, v[0:1], v[2:3] offset0:106 offset1:107
	s_waitcnt vmcnt(25)
	ds_write2_b64 v202, v[216:217], v[218:219] offset0:108 offset1:109
	ds_read2_b64 v[208:211], v201 offset1:1
	s_waitcnt lgkmcnt(0)
	v_cmp_neq_f64_e32 vcc, 0, v[208:209]
	v_cmp_neq_f64_e64 s[2:3], 0, v[210:211]
	s_or_b64 s[2:3], vcc, s[2:3]
	s_and_b64 exec, exec, s[2:3]
	s_cbranch_execz .LBB109_98
; %bb.93:
	v_cmp_ngt_f64_e64 s[2:3], |v[208:209]|, |v[210:211]|
                                        ; implicit-def: $vgpr204_vgpr205
	s_and_saveexec_b64 s[10:11], s[2:3]
	s_xor_b64 s[2:3], exec, s[10:11]
                                        ; implicit-def: $vgpr206_vgpr207
	s_cbranch_execz .LBB109_95
; %bb.94:
	v_div_scale_f64 v[204:205], s[10:11], v[210:211], v[210:211], v[208:209]
	v_rcp_f64_e32 v[206:207], v[204:205]
	v_div_scale_f64 v[212:213], vcc, v[208:209], v[210:211], v[208:209]
	v_fma_f64 v[214:215], -v[204:205], v[206:207], 1.0
	v_fmac_f64_e32 v[206:207], v[206:207], v[214:215]
	v_fma_f64 v[214:215], -v[204:205], v[206:207], 1.0
	v_fmac_f64_e32 v[206:207], v[206:207], v[214:215]
	v_mul_f64 v[214:215], v[212:213], v[206:207]
	v_fma_f64 v[204:205], -v[204:205], v[214:215], v[212:213]
	v_div_fmas_f64 v[204:205], v[204:205], v[206:207], v[214:215]
	v_div_fixup_f64 v[204:205], v[204:205], v[210:211], v[208:209]
	v_fmac_f64_e32 v[210:211], v[208:209], v[204:205]
	v_div_scale_f64 v[206:207], s[10:11], v[210:211], v[210:211], 1.0
	v_rcp_f64_e32 v[208:209], v[206:207]
	s_nop 0
	v_fma_f64 v[212:213], -v[206:207], v[208:209], 1.0
	v_fmac_f64_e32 v[208:209], v[208:209], v[212:213]
	v_fma_f64 v[212:213], -v[206:207], v[208:209], 1.0
	v_fmac_f64_e32 v[208:209], v[208:209], v[212:213]
	v_div_scale_f64 v[212:213], vcc, 1.0, v[210:211], 1.0
	v_mul_f64 v[214:215], v[212:213], v[208:209]
	v_fma_f64 v[206:207], -v[206:207], v[214:215], v[212:213]
	s_nop 1
	v_div_fmas_f64 v[206:207], v[206:207], v[208:209], v[214:215]
	v_div_fixup_f64 v[206:207], v[206:207], v[210:211], 1.0
	v_mul_f64 v[204:205], v[204:205], v[206:207]
	v_xor_b32_e32 v207, 0x80000000, v207
                                        ; implicit-def: $vgpr208_vgpr209
.LBB109_95:
	s_andn2_saveexec_b64 s[2:3], s[2:3]
	s_cbranch_execz .LBB109_97
; %bb.96:
	v_div_scale_f64 v[204:205], s[10:11], v[208:209], v[208:209], v[210:211]
	v_rcp_f64_e32 v[206:207], v[204:205]
	v_div_scale_f64 v[212:213], vcc, v[210:211], v[208:209], v[210:211]
	v_fma_f64 v[214:215], -v[204:205], v[206:207], 1.0
	v_fmac_f64_e32 v[206:207], v[206:207], v[214:215]
	v_fma_f64 v[214:215], -v[204:205], v[206:207], 1.0
	v_fmac_f64_e32 v[206:207], v[206:207], v[214:215]
	v_mul_f64 v[214:215], v[212:213], v[206:207]
	v_fma_f64 v[204:205], -v[204:205], v[214:215], v[212:213]
	v_div_fmas_f64 v[204:205], v[204:205], v[206:207], v[214:215]
	v_div_fixup_f64 v[206:207], v[204:205], v[208:209], v[210:211]
	v_fmac_f64_e32 v[208:209], v[210:211], v[206:207]
	v_div_scale_f64 v[204:205], s[10:11], v[208:209], v[208:209], 1.0
	v_rcp_f64_e32 v[210:211], v[204:205]
	s_nop 0
	v_fma_f64 v[212:213], -v[204:205], v[210:211], 1.0
	v_fmac_f64_e32 v[210:211], v[210:211], v[212:213]
	v_fma_f64 v[212:213], -v[204:205], v[210:211], 1.0
	v_fmac_f64_e32 v[210:211], v[210:211], v[212:213]
	v_div_scale_f64 v[212:213], vcc, 1.0, v[208:209], 1.0
	v_mul_f64 v[214:215], v[212:213], v[210:211]
	v_fma_f64 v[204:205], -v[204:205], v[214:215], v[212:213]
	s_nop 1
	v_div_fmas_f64 v[204:205], v[204:205], v[210:211], v[214:215]
	v_div_fixup_f64 v[204:205], v[204:205], v[208:209], 1.0
	v_mul_f64 v[206:207], v[206:207], -v[204:205]
.LBB109_97:
	s_or_b64 exec, exec, s[2:3]
	ds_write2_b64 v201, v[204:205], v[206:207] offset1:1
.LBB109_98:
	s_or_b64 exec, exec, s[4:5]
	s_waitcnt lgkmcnt(0)
	s_barrier
	ds_read2_b64 v[192:195], v201 offset1:1
	v_cmp_lt_u32_e32 vcc, 10, v200
	s_waitcnt lgkmcnt(0)
	scratch_store_dwordx4 off, v[192:195], off offset:680 ; 16-byte Folded Spill
	s_and_saveexec_b64 s[2:3], vcc
	s_cbranch_execz .LBB109_100
; %bb.99:
	scratch_load_dwordx4 v[192:195], off, off offset:680 ; 16-byte Folded Reload
	s_waitcnt vmcnt(0)
	v_mul_f64 v[204:205], v[194:195], v[174:175]
	v_fma_f64 v[208:209], v[192:193], v[172:173], -v[204:205]
	ds_read2_b64 v[204:207], v202 offset0:22 offset1:23
	v_mul_f64 v[174:175], v[192:193], v[174:175]
	v_fmac_f64_e32 v[174:175], v[194:195], v[172:173]
	s_waitcnt lgkmcnt(0)
	v_mul_f64 v[172:173], v[206:207], v[174:175]
	v_fma_f64 v[172:173], v[204:205], v[208:209], -v[172:173]
	v_mul_f64 v[204:205], v[204:205], v[174:175]
	v_fmac_f64_e32 v[204:205], v[206:207], v[208:209]
	v_add_f64 v[170:171], v[170:171], -v[204:205]
	ds_read2_b64 v[204:207], v202 offset0:24 offset1:25
	v_add_f64 v[168:169], v[168:169], -v[172:173]
	s_waitcnt lgkmcnt(0)
	v_mul_f64 v[172:173], v[206:207], v[174:175]
	v_fma_f64 v[172:173], v[204:205], v[208:209], -v[172:173]
	v_mul_f64 v[204:205], v[204:205], v[174:175]
	v_fmac_f64_e32 v[204:205], v[206:207], v[208:209]
	v_add_f64 v[166:167], v[166:167], -v[204:205]
	ds_read2_b64 v[204:207], v202 offset0:26 offset1:27
	v_add_f64 v[164:165], v[164:165], -v[172:173]
	;; [unrolled: 8-line block ×43, first 2 shown]
	s_waitcnt lgkmcnt(0)
	v_mul_f64 v[172:173], v[206:207], v[174:175]
	v_fma_f64 v[172:173], v[204:205], v[208:209], -v[172:173]
	v_mul_f64 v[204:205], v[204:205], v[174:175]
	v_fmac_f64_e32 v[204:205], v[206:207], v[208:209]
	v_add_f64 v[216:217], v[216:217], -v[172:173]
	v_add_f64 v[218:219], v[218:219], -v[204:205]
	v_mov_b64_e32 v[172:173], v[208:209]
.LBB109_100:
	s_or_b64 exec, exec, s[2:3]
	v_cmp_eq_u32_e32 vcc, 11, v200
	s_waitcnt vmcnt(63) expcnt(7) lgkmcnt(15)
	s_barrier
	s_and_saveexec_b64 s[4:5], vcc
	s_cbranch_execz .LBB109_107
; %bb.101:
	ds_write2_b64 v201, v[168:169], v[170:171] offset1:1
	ds_write2_b64 v202, v[164:165], v[166:167] offset0:24 offset1:25
	ds_write2_b64 v202, v[160:161], v[162:163] offset0:26 offset1:27
	;; [unrolled: 1-line block ×26, first 2 shown]
	s_waitcnt vmcnt(41)
	ds_write2_b64 v202, v[60:61], v[62:63] offset0:76 offset1:77
	s_waitcnt vmcnt(40)
	ds_write2_b64 v202, v[56:57], v[58:59] offset0:78 offset1:79
	;; [unrolled: 2-line block ×12, first 2 shown]
	ds_write2_b64 v202, v[12:13], v[14:15] offset0:100 offset1:101
	ds_write2_b64 v202, v[8:9], v[10:11] offset0:102 offset1:103
	;; [unrolled: 1-line block ×3, first 2 shown]
	s_waitcnt vmcnt(29)
	ds_write2_b64 v202, v[0:1], v[2:3] offset0:106 offset1:107
	s_waitcnt vmcnt(26)
	ds_write2_b64 v202, v[216:217], v[218:219] offset0:108 offset1:109
	ds_read2_b64 v[208:211], v201 offset1:1
	s_waitcnt lgkmcnt(0)
	v_cmp_neq_f64_e32 vcc, 0, v[208:209]
	v_cmp_neq_f64_e64 s[2:3], 0, v[210:211]
	s_or_b64 s[2:3], vcc, s[2:3]
	s_and_b64 exec, exec, s[2:3]
	s_cbranch_execz .LBB109_107
; %bb.102:
	v_cmp_ngt_f64_e64 s[2:3], |v[208:209]|, |v[210:211]|
                                        ; implicit-def: $vgpr204_vgpr205
	s_and_saveexec_b64 s[10:11], s[2:3]
	s_xor_b64 s[2:3], exec, s[10:11]
                                        ; implicit-def: $vgpr206_vgpr207
	s_cbranch_execz .LBB109_104
; %bb.103:
	v_div_scale_f64 v[204:205], s[10:11], v[210:211], v[210:211], v[208:209]
	v_rcp_f64_e32 v[206:207], v[204:205]
	v_div_scale_f64 v[212:213], vcc, v[208:209], v[210:211], v[208:209]
	v_fma_f64 v[214:215], -v[204:205], v[206:207], 1.0
	v_fmac_f64_e32 v[206:207], v[206:207], v[214:215]
	v_fma_f64 v[214:215], -v[204:205], v[206:207], 1.0
	v_fmac_f64_e32 v[206:207], v[206:207], v[214:215]
	v_mul_f64 v[214:215], v[212:213], v[206:207]
	v_fma_f64 v[204:205], -v[204:205], v[214:215], v[212:213]
	v_div_fmas_f64 v[204:205], v[204:205], v[206:207], v[214:215]
	v_div_fixup_f64 v[204:205], v[204:205], v[210:211], v[208:209]
	v_fmac_f64_e32 v[210:211], v[208:209], v[204:205]
	v_div_scale_f64 v[206:207], s[10:11], v[210:211], v[210:211], 1.0
	v_rcp_f64_e32 v[208:209], v[206:207]
	s_nop 0
	v_fma_f64 v[212:213], -v[206:207], v[208:209], 1.0
	v_fmac_f64_e32 v[208:209], v[208:209], v[212:213]
	v_fma_f64 v[212:213], -v[206:207], v[208:209], 1.0
	v_fmac_f64_e32 v[208:209], v[208:209], v[212:213]
	v_div_scale_f64 v[212:213], vcc, 1.0, v[210:211], 1.0
	v_mul_f64 v[214:215], v[212:213], v[208:209]
	v_fma_f64 v[206:207], -v[206:207], v[214:215], v[212:213]
	s_nop 1
	v_div_fmas_f64 v[206:207], v[206:207], v[208:209], v[214:215]
	v_div_fixup_f64 v[206:207], v[206:207], v[210:211], 1.0
	v_mul_f64 v[204:205], v[204:205], v[206:207]
	v_xor_b32_e32 v207, 0x80000000, v207
                                        ; implicit-def: $vgpr208_vgpr209
.LBB109_104:
	s_andn2_saveexec_b64 s[2:3], s[2:3]
	s_cbranch_execz .LBB109_106
; %bb.105:
	v_div_scale_f64 v[204:205], s[10:11], v[208:209], v[208:209], v[210:211]
	v_rcp_f64_e32 v[206:207], v[204:205]
	v_div_scale_f64 v[212:213], vcc, v[210:211], v[208:209], v[210:211]
	v_fma_f64 v[214:215], -v[204:205], v[206:207], 1.0
	v_fmac_f64_e32 v[206:207], v[206:207], v[214:215]
	v_fma_f64 v[214:215], -v[204:205], v[206:207], 1.0
	v_fmac_f64_e32 v[206:207], v[206:207], v[214:215]
	v_mul_f64 v[214:215], v[212:213], v[206:207]
	v_fma_f64 v[204:205], -v[204:205], v[214:215], v[212:213]
	v_div_fmas_f64 v[204:205], v[204:205], v[206:207], v[214:215]
	v_div_fixup_f64 v[206:207], v[204:205], v[208:209], v[210:211]
	v_fmac_f64_e32 v[208:209], v[210:211], v[206:207]
	v_div_scale_f64 v[204:205], s[10:11], v[208:209], v[208:209], 1.0
	v_rcp_f64_e32 v[210:211], v[204:205]
	s_nop 0
	v_fma_f64 v[212:213], -v[204:205], v[210:211], 1.0
	v_fmac_f64_e32 v[210:211], v[210:211], v[212:213]
	v_fma_f64 v[212:213], -v[204:205], v[210:211], 1.0
	v_fmac_f64_e32 v[210:211], v[210:211], v[212:213]
	v_div_scale_f64 v[212:213], vcc, 1.0, v[208:209], 1.0
	v_mul_f64 v[214:215], v[212:213], v[210:211]
	v_fma_f64 v[204:205], -v[204:205], v[214:215], v[212:213]
	s_nop 1
	v_div_fmas_f64 v[204:205], v[204:205], v[210:211], v[214:215]
	v_div_fixup_f64 v[204:205], v[204:205], v[208:209], 1.0
	v_mul_f64 v[206:207], v[206:207], -v[204:205]
.LBB109_106:
	s_or_b64 exec, exec, s[2:3]
	ds_write2_b64 v201, v[204:205], v[206:207] offset1:1
.LBB109_107:
	s_or_b64 exec, exec, s[4:5]
	s_waitcnt lgkmcnt(0)
	s_barrier
	ds_read2_b64 v[192:195], v201 offset1:1
	v_cmp_lt_u32_e32 vcc, 11, v200
	s_waitcnt lgkmcnt(0)
	scratch_store_dwordx4 off, v[192:195], off offset:696 ; 16-byte Folded Spill
	s_and_saveexec_b64 s[2:3], vcc
	s_cbranch_execz .LBB109_109
; %bb.108:
	scratch_load_dwordx4 v[192:195], off, off offset:696 ; 16-byte Folded Reload
	s_waitcnt vmcnt(0)
	v_mul_f64 v[204:205], v[194:195], v[170:171]
	v_fma_f64 v[208:209], v[192:193], v[168:169], -v[204:205]
	ds_read2_b64 v[204:207], v202 offset0:24 offset1:25
	v_mul_f64 v[170:171], v[192:193], v[170:171]
	v_fmac_f64_e32 v[170:171], v[194:195], v[168:169]
	s_waitcnt lgkmcnt(0)
	v_mul_f64 v[168:169], v[206:207], v[170:171]
	v_fma_f64 v[168:169], v[204:205], v[208:209], -v[168:169]
	v_mul_f64 v[204:205], v[204:205], v[170:171]
	v_fmac_f64_e32 v[204:205], v[206:207], v[208:209]
	v_add_f64 v[166:167], v[166:167], -v[204:205]
	ds_read2_b64 v[204:207], v202 offset0:26 offset1:27
	v_add_f64 v[164:165], v[164:165], -v[168:169]
	s_waitcnt lgkmcnt(0)
	v_mul_f64 v[168:169], v[206:207], v[170:171]
	v_fma_f64 v[168:169], v[204:205], v[208:209], -v[168:169]
	v_mul_f64 v[204:205], v[204:205], v[170:171]
	v_fmac_f64_e32 v[204:205], v[206:207], v[208:209]
	v_add_f64 v[162:163], v[162:163], -v[204:205]
	ds_read2_b64 v[204:207], v202 offset0:28 offset1:29
	v_add_f64 v[160:161], v[160:161], -v[168:169]
	;; [unrolled: 8-line block ×42, first 2 shown]
	s_waitcnt lgkmcnt(0)
	v_mul_f64 v[168:169], v[206:207], v[170:171]
	v_fma_f64 v[168:169], v[204:205], v[208:209], -v[168:169]
	v_mul_f64 v[204:205], v[204:205], v[170:171]
	v_fmac_f64_e32 v[204:205], v[206:207], v[208:209]
	v_add_f64 v[216:217], v[216:217], -v[168:169]
	v_add_f64 v[218:219], v[218:219], -v[204:205]
	v_mov_b64_e32 v[168:169], v[208:209]
.LBB109_109:
	s_or_b64 exec, exec, s[2:3]
	v_cmp_eq_u32_e32 vcc, 12, v200
	s_waitcnt vmcnt(63) expcnt(7) lgkmcnt(15)
	s_barrier
	s_and_saveexec_b64 s[4:5], vcc
	s_cbranch_execz .LBB109_116
; %bb.110:
	ds_write2_b64 v201, v[164:165], v[166:167] offset1:1
	ds_write2_b64 v202, v[160:161], v[162:163] offset0:26 offset1:27
	ds_write2_b64 v202, v[156:157], v[158:159] offset0:28 offset1:29
	ds_write2_b64 v202, v[152:153], v[154:155] offset0:30 offset1:31
	ds_write2_b64 v202, v[148:149], v[150:151] offset0:32 offset1:33
	ds_write2_b64 v202, v[144:145], v[146:147] offset0:34 offset1:35
	ds_write2_b64 v202, v[140:141], v[142:143] offset0:36 offset1:37
	ds_write2_b64 v202, v[136:137], v[138:139] offset0:38 offset1:39
	ds_write2_b64 v202, v[132:133], v[134:135] offset0:40 offset1:41
	ds_write2_b64 v202, v[128:129], v[130:131] offset0:42 offset1:43
	ds_write2_b64 v202, v[124:125], v[126:127] offset0:44 offset1:45
	ds_write2_b64 v202, v[120:121], v[122:123] offset0:46 offset1:47
	ds_write2_b64 v202, v[116:117], v[118:119] offset0:48 offset1:49
	ds_write2_b64 v202, v[112:113], v[114:115] offset0:50 offset1:51
	ds_write2_b64 v202, v[108:109], v[110:111] offset0:52 offset1:53
	ds_write2_b64 v202, v[104:105], v[106:107] offset0:54 offset1:55
	ds_write2_b64 v202, v[100:101], v[102:103] offset0:56 offset1:57
	ds_write2_b64 v202, v[96:97], v[98:99] offset0:58 offset1:59
	ds_write2_b64 v202, v[92:93], v[94:95] offset0:60 offset1:61
	ds_write2_b64 v202, v[88:89], v[90:91] offset0:62 offset1:63
	ds_write2_b64 v202, v[84:85], v[86:87] offset0:64 offset1:65
	ds_write2_b64 v202, v[80:81], v[82:83] offset0:66 offset1:67
	ds_write2_b64 v202, v[76:77], v[78:79] offset0:68 offset1:69
	ds_write2_b64 v202, v[72:73], v[74:75] offset0:70 offset1:71
	ds_write2_b64 v202, v[68:69], v[70:71] offset0:72 offset1:73
	ds_write2_b64 v202, v[64:65], v[66:67] offset0:74 offset1:75
	s_waitcnt vmcnt(42)
	ds_write2_b64 v202, v[60:61], v[62:63] offset0:76 offset1:77
	s_waitcnt vmcnt(41)
	ds_write2_b64 v202, v[56:57], v[58:59] offset0:78 offset1:79
	;; [unrolled: 2-line block ×12, first 2 shown]
	ds_write2_b64 v202, v[12:13], v[14:15] offset0:100 offset1:101
	ds_write2_b64 v202, v[8:9], v[10:11] offset0:102 offset1:103
	;; [unrolled: 1-line block ×3, first 2 shown]
	s_waitcnt vmcnt(30)
	ds_write2_b64 v202, v[0:1], v[2:3] offset0:106 offset1:107
	s_waitcnt vmcnt(27)
	ds_write2_b64 v202, v[216:217], v[218:219] offset0:108 offset1:109
	ds_read2_b64 v[208:211], v201 offset1:1
	s_waitcnt lgkmcnt(0)
	v_cmp_neq_f64_e32 vcc, 0, v[208:209]
	v_cmp_neq_f64_e64 s[2:3], 0, v[210:211]
	s_or_b64 s[2:3], vcc, s[2:3]
	s_and_b64 exec, exec, s[2:3]
	s_cbranch_execz .LBB109_116
; %bb.111:
	v_cmp_ngt_f64_e64 s[2:3], |v[208:209]|, |v[210:211]|
                                        ; implicit-def: $vgpr204_vgpr205
	s_and_saveexec_b64 s[10:11], s[2:3]
	s_xor_b64 s[2:3], exec, s[10:11]
                                        ; implicit-def: $vgpr206_vgpr207
	s_cbranch_execz .LBB109_113
; %bb.112:
	v_div_scale_f64 v[204:205], s[10:11], v[210:211], v[210:211], v[208:209]
	v_rcp_f64_e32 v[206:207], v[204:205]
	v_div_scale_f64 v[212:213], vcc, v[208:209], v[210:211], v[208:209]
	v_fma_f64 v[214:215], -v[204:205], v[206:207], 1.0
	v_fmac_f64_e32 v[206:207], v[206:207], v[214:215]
	v_fma_f64 v[214:215], -v[204:205], v[206:207], 1.0
	v_fmac_f64_e32 v[206:207], v[206:207], v[214:215]
	v_mul_f64 v[214:215], v[212:213], v[206:207]
	v_fma_f64 v[204:205], -v[204:205], v[214:215], v[212:213]
	v_div_fmas_f64 v[204:205], v[204:205], v[206:207], v[214:215]
	v_div_fixup_f64 v[204:205], v[204:205], v[210:211], v[208:209]
	v_fmac_f64_e32 v[210:211], v[208:209], v[204:205]
	v_div_scale_f64 v[206:207], s[10:11], v[210:211], v[210:211], 1.0
	v_rcp_f64_e32 v[208:209], v[206:207]
	s_nop 0
	v_fma_f64 v[212:213], -v[206:207], v[208:209], 1.0
	v_fmac_f64_e32 v[208:209], v[208:209], v[212:213]
	v_fma_f64 v[212:213], -v[206:207], v[208:209], 1.0
	v_fmac_f64_e32 v[208:209], v[208:209], v[212:213]
	v_div_scale_f64 v[212:213], vcc, 1.0, v[210:211], 1.0
	v_mul_f64 v[214:215], v[212:213], v[208:209]
	v_fma_f64 v[206:207], -v[206:207], v[214:215], v[212:213]
	s_nop 1
	v_div_fmas_f64 v[206:207], v[206:207], v[208:209], v[214:215]
	v_div_fixup_f64 v[206:207], v[206:207], v[210:211], 1.0
	v_mul_f64 v[204:205], v[204:205], v[206:207]
	v_xor_b32_e32 v207, 0x80000000, v207
                                        ; implicit-def: $vgpr208_vgpr209
.LBB109_113:
	s_andn2_saveexec_b64 s[2:3], s[2:3]
	s_cbranch_execz .LBB109_115
; %bb.114:
	v_div_scale_f64 v[204:205], s[10:11], v[208:209], v[208:209], v[210:211]
	v_rcp_f64_e32 v[206:207], v[204:205]
	v_div_scale_f64 v[212:213], vcc, v[210:211], v[208:209], v[210:211]
	v_fma_f64 v[214:215], -v[204:205], v[206:207], 1.0
	v_fmac_f64_e32 v[206:207], v[206:207], v[214:215]
	v_fma_f64 v[214:215], -v[204:205], v[206:207], 1.0
	v_fmac_f64_e32 v[206:207], v[206:207], v[214:215]
	v_mul_f64 v[214:215], v[212:213], v[206:207]
	v_fma_f64 v[204:205], -v[204:205], v[214:215], v[212:213]
	v_div_fmas_f64 v[204:205], v[204:205], v[206:207], v[214:215]
	v_div_fixup_f64 v[206:207], v[204:205], v[208:209], v[210:211]
	v_fmac_f64_e32 v[208:209], v[210:211], v[206:207]
	v_div_scale_f64 v[204:205], s[10:11], v[208:209], v[208:209], 1.0
	v_rcp_f64_e32 v[210:211], v[204:205]
	s_nop 0
	v_fma_f64 v[212:213], -v[204:205], v[210:211], 1.0
	v_fmac_f64_e32 v[210:211], v[210:211], v[212:213]
	v_fma_f64 v[212:213], -v[204:205], v[210:211], 1.0
	v_fmac_f64_e32 v[210:211], v[210:211], v[212:213]
	v_div_scale_f64 v[212:213], vcc, 1.0, v[208:209], 1.0
	v_mul_f64 v[214:215], v[212:213], v[210:211]
	v_fma_f64 v[204:205], -v[204:205], v[214:215], v[212:213]
	s_nop 1
	v_div_fmas_f64 v[204:205], v[204:205], v[210:211], v[214:215]
	v_div_fixup_f64 v[204:205], v[204:205], v[208:209], 1.0
	v_mul_f64 v[206:207], v[206:207], -v[204:205]
.LBB109_115:
	s_or_b64 exec, exec, s[2:3]
	ds_write2_b64 v201, v[204:205], v[206:207] offset1:1
.LBB109_116:
	s_or_b64 exec, exec, s[4:5]
	s_waitcnt lgkmcnt(0)
	s_barrier
	ds_read2_b64 v[192:195], v201 offset1:1
	v_cmp_lt_u32_e32 vcc, 12, v200
	s_waitcnt lgkmcnt(0)
	scratch_store_dwordx4 off, v[192:195], off offset:712 ; 16-byte Folded Spill
	s_and_saveexec_b64 s[2:3], vcc
	s_cbranch_execz .LBB109_118
; %bb.117:
	scratch_load_dwordx4 v[192:195], off, off offset:712 ; 16-byte Folded Reload
	s_waitcnt vmcnt(0)
	v_mul_f64 v[204:205], v[194:195], v[166:167]
	v_fma_f64 v[208:209], v[192:193], v[164:165], -v[204:205]
	ds_read2_b64 v[204:207], v202 offset0:26 offset1:27
	v_mul_f64 v[166:167], v[192:193], v[166:167]
	v_fmac_f64_e32 v[166:167], v[194:195], v[164:165]
	s_waitcnt lgkmcnt(0)
	v_mul_f64 v[164:165], v[206:207], v[166:167]
	v_fma_f64 v[164:165], v[204:205], v[208:209], -v[164:165]
	v_mul_f64 v[204:205], v[204:205], v[166:167]
	v_fmac_f64_e32 v[204:205], v[206:207], v[208:209]
	v_add_f64 v[162:163], v[162:163], -v[204:205]
	ds_read2_b64 v[204:207], v202 offset0:28 offset1:29
	v_add_f64 v[160:161], v[160:161], -v[164:165]
	s_waitcnt lgkmcnt(0)
	v_mul_f64 v[164:165], v[206:207], v[166:167]
	v_fma_f64 v[164:165], v[204:205], v[208:209], -v[164:165]
	v_mul_f64 v[204:205], v[204:205], v[166:167]
	v_fmac_f64_e32 v[204:205], v[206:207], v[208:209]
	v_add_f64 v[158:159], v[158:159], -v[204:205]
	ds_read2_b64 v[204:207], v202 offset0:30 offset1:31
	v_add_f64 v[156:157], v[156:157], -v[164:165]
	;; [unrolled: 8-line block ×41, first 2 shown]
	s_waitcnt lgkmcnt(0)
	v_mul_f64 v[164:165], v[206:207], v[166:167]
	v_fma_f64 v[164:165], v[204:205], v[208:209], -v[164:165]
	v_mul_f64 v[204:205], v[204:205], v[166:167]
	v_fmac_f64_e32 v[204:205], v[206:207], v[208:209]
	v_add_f64 v[216:217], v[216:217], -v[164:165]
	v_add_f64 v[218:219], v[218:219], -v[204:205]
	v_mov_b64_e32 v[164:165], v[208:209]
.LBB109_118:
	s_or_b64 exec, exec, s[2:3]
	v_cmp_eq_u32_e32 vcc, 13, v200
	s_waitcnt vmcnt(63) expcnt(7) lgkmcnt(15)
	s_barrier
	s_and_saveexec_b64 s[4:5], vcc
	s_cbranch_execz .LBB109_125
; %bb.119:
	ds_write2_b64 v201, v[160:161], v[162:163] offset1:1
	ds_write2_b64 v202, v[156:157], v[158:159] offset0:28 offset1:29
	ds_write2_b64 v202, v[152:153], v[154:155] offset0:30 offset1:31
	;; [unrolled: 1-line block ×24, first 2 shown]
	s_waitcnt vmcnt(43)
	ds_write2_b64 v202, v[60:61], v[62:63] offset0:76 offset1:77
	s_waitcnt vmcnt(42)
	ds_write2_b64 v202, v[56:57], v[58:59] offset0:78 offset1:79
	;; [unrolled: 2-line block ×12, first 2 shown]
	ds_write2_b64 v202, v[12:13], v[14:15] offset0:100 offset1:101
	ds_write2_b64 v202, v[8:9], v[10:11] offset0:102 offset1:103
	;; [unrolled: 1-line block ×3, first 2 shown]
	s_waitcnt vmcnt(31)
	ds_write2_b64 v202, v[0:1], v[2:3] offset0:106 offset1:107
	s_waitcnt vmcnt(28)
	ds_write2_b64 v202, v[216:217], v[218:219] offset0:108 offset1:109
	ds_read2_b64 v[208:211], v201 offset1:1
	s_waitcnt lgkmcnt(0)
	v_cmp_neq_f64_e32 vcc, 0, v[208:209]
	v_cmp_neq_f64_e64 s[2:3], 0, v[210:211]
	s_or_b64 s[2:3], vcc, s[2:3]
	s_and_b64 exec, exec, s[2:3]
	s_cbranch_execz .LBB109_125
; %bb.120:
	v_cmp_ngt_f64_e64 s[2:3], |v[208:209]|, |v[210:211]|
                                        ; implicit-def: $vgpr204_vgpr205
	s_and_saveexec_b64 s[10:11], s[2:3]
	s_xor_b64 s[2:3], exec, s[10:11]
                                        ; implicit-def: $vgpr206_vgpr207
	s_cbranch_execz .LBB109_122
; %bb.121:
	v_div_scale_f64 v[204:205], s[10:11], v[210:211], v[210:211], v[208:209]
	v_rcp_f64_e32 v[206:207], v[204:205]
	v_div_scale_f64 v[212:213], vcc, v[208:209], v[210:211], v[208:209]
	v_fma_f64 v[214:215], -v[204:205], v[206:207], 1.0
	v_fmac_f64_e32 v[206:207], v[206:207], v[214:215]
	v_fma_f64 v[214:215], -v[204:205], v[206:207], 1.0
	v_fmac_f64_e32 v[206:207], v[206:207], v[214:215]
	v_mul_f64 v[214:215], v[212:213], v[206:207]
	v_fma_f64 v[204:205], -v[204:205], v[214:215], v[212:213]
	v_div_fmas_f64 v[204:205], v[204:205], v[206:207], v[214:215]
	v_div_fixup_f64 v[204:205], v[204:205], v[210:211], v[208:209]
	v_fmac_f64_e32 v[210:211], v[208:209], v[204:205]
	v_div_scale_f64 v[206:207], s[10:11], v[210:211], v[210:211], 1.0
	v_rcp_f64_e32 v[208:209], v[206:207]
	s_nop 0
	v_fma_f64 v[212:213], -v[206:207], v[208:209], 1.0
	v_fmac_f64_e32 v[208:209], v[208:209], v[212:213]
	v_fma_f64 v[212:213], -v[206:207], v[208:209], 1.0
	v_fmac_f64_e32 v[208:209], v[208:209], v[212:213]
	v_div_scale_f64 v[212:213], vcc, 1.0, v[210:211], 1.0
	v_mul_f64 v[214:215], v[212:213], v[208:209]
	v_fma_f64 v[206:207], -v[206:207], v[214:215], v[212:213]
	s_nop 1
	v_div_fmas_f64 v[206:207], v[206:207], v[208:209], v[214:215]
	v_div_fixup_f64 v[206:207], v[206:207], v[210:211], 1.0
	v_mul_f64 v[204:205], v[204:205], v[206:207]
	v_xor_b32_e32 v207, 0x80000000, v207
                                        ; implicit-def: $vgpr208_vgpr209
.LBB109_122:
	s_andn2_saveexec_b64 s[2:3], s[2:3]
	s_cbranch_execz .LBB109_124
; %bb.123:
	v_div_scale_f64 v[204:205], s[10:11], v[208:209], v[208:209], v[210:211]
	v_rcp_f64_e32 v[206:207], v[204:205]
	v_div_scale_f64 v[212:213], vcc, v[210:211], v[208:209], v[210:211]
	v_fma_f64 v[214:215], -v[204:205], v[206:207], 1.0
	v_fmac_f64_e32 v[206:207], v[206:207], v[214:215]
	v_fma_f64 v[214:215], -v[204:205], v[206:207], 1.0
	v_fmac_f64_e32 v[206:207], v[206:207], v[214:215]
	v_mul_f64 v[214:215], v[212:213], v[206:207]
	v_fma_f64 v[204:205], -v[204:205], v[214:215], v[212:213]
	v_div_fmas_f64 v[204:205], v[204:205], v[206:207], v[214:215]
	v_div_fixup_f64 v[206:207], v[204:205], v[208:209], v[210:211]
	v_fmac_f64_e32 v[208:209], v[210:211], v[206:207]
	v_div_scale_f64 v[204:205], s[10:11], v[208:209], v[208:209], 1.0
	v_rcp_f64_e32 v[210:211], v[204:205]
	s_nop 0
	v_fma_f64 v[212:213], -v[204:205], v[210:211], 1.0
	v_fmac_f64_e32 v[210:211], v[210:211], v[212:213]
	v_fma_f64 v[212:213], -v[204:205], v[210:211], 1.0
	v_fmac_f64_e32 v[210:211], v[210:211], v[212:213]
	v_div_scale_f64 v[212:213], vcc, 1.0, v[208:209], 1.0
	v_mul_f64 v[214:215], v[212:213], v[210:211]
	v_fma_f64 v[204:205], -v[204:205], v[214:215], v[212:213]
	s_nop 1
	v_div_fmas_f64 v[204:205], v[204:205], v[210:211], v[214:215]
	v_div_fixup_f64 v[204:205], v[204:205], v[208:209], 1.0
	v_mul_f64 v[206:207], v[206:207], -v[204:205]
.LBB109_124:
	s_or_b64 exec, exec, s[2:3]
	ds_write2_b64 v201, v[204:205], v[206:207] offset1:1
.LBB109_125:
	s_or_b64 exec, exec, s[4:5]
	s_waitcnt lgkmcnt(0)
	s_barrier
	ds_read2_b64 v[192:195], v201 offset1:1
	v_cmp_lt_u32_e32 vcc, 13, v200
	s_waitcnt lgkmcnt(0)
	scratch_store_dwordx4 off, v[192:195], off offset:728 ; 16-byte Folded Spill
	s_and_saveexec_b64 s[2:3], vcc
	s_cbranch_execz .LBB109_127
; %bb.126:
	scratch_load_dwordx4 v[192:195], off, off offset:728 ; 16-byte Folded Reload
	s_waitcnt vmcnt(0)
	v_mul_f64 v[204:205], v[194:195], v[162:163]
	v_fma_f64 v[208:209], v[192:193], v[160:161], -v[204:205]
	ds_read2_b64 v[204:207], v202 offset0:28 offset1:29
	v_mul_f64 v[162:163], v[192:193], v[162:163]
	v_fmac_f64_e32 v[162:163], v[194:195], v[160:161]
	s_waitcnt lgkmcnt(0)
	v_mul_f64 v[160:161], v[206:207], v[162:163]
	v_fma_f64 v[160:161], v[204:205], v[208:209], -v[160:161]
	v_mul_f64 v[204:205], v[204:205], v[162:163]
	v_fmac_f64_e32 v[204:205], v[206:207], v[208:209]
	v_add_f64 v[158:159], v[158:159], -v[204:205]
	ds_read2_b64 v[204:207], v202 offset0:30 offset1:31
	v_add_f64 v[156:157], v[156:157], -v[160:161]
	s_waitcnt lgkmcnt(0)
	v_mul_f64 v[160:161], v[206:207], v[162:163]
	v_fma_f64 v[160:161], v[204:205], v[208:209], -v[160:161]
	v_mul_f64 v[204:205], v[204:205], v[162:163]
	v_fmac_f64_e32 v[204:205], v[206:207], v[208:209]
	v_add_f64 v[154:155], v[154:155], -v[204:205]
	ds_read2_b64 v[204:207], v202 offset0:32 offset1:33
	v_add_f64 v[152:153], v[152:153], -v[160:161]
	;; [unrolled: 8-line block ×40, first 2 shown]
	s_waitcnt lgkmcnt(0)
	v_mul_f64 v[160:161], v[206:207], v[162:163]
	v_fma_f64 v[160:161], v[204:205], v[208:209], -v[160:161]
	v_mul_f64 v[204:205], v[204:205], v[162:163]
	v_fmac_f64_e32 v[204:205], v[206:207], v[208:209]
	v_add_f64 v[216:217], v[216:217], -v[160:161]
	v_add_f64 v[218:219], v[218:219], -v[204:205]
	v_mov_b64_e32 v[160:161], v[208:209]
.LBB109_127:
	s_or_b64 exec, exec, s[2:3]
	v_cmp_eq_u32_e32 vcc, 14, v200
	s_waitcnt vmcnt(63) expcnt(7) lgkmcnt(15)
	s_barrier
	s_and_saveexec_b64 s[4:5], vcc
	s_cbranch_execz .LBB109_134
; %bb.128:
	ds_write2_b64 v201, v[156:157], v[158:159] offset1:1
	ds_write2_b64 v202, v[152:153], v[154:155] offset0:30 offset1:31
	ds_write2_b64 v202, v[148:149], v[150:151] offset0:32 offset1:33
	ds_write2_b64 v202, v[144:145], v[146:147] offset0:34 offset1:35
	ds_write2_b64 v202, v[140:141], v[142:143] offset0:36 offset1:37
	ds_write2_b64 v202, v[136:137], v[138:139] offset0:38 offset1:39
	ds_write2_b64 v202, v[132:133], v[134:135] offset0:40 offset1:41
	ds_write2_b64 v202, v[128:129], v[130:131] offset0:42 offset1:43
	ds_write2_b64 v202, v[124:125], v[126:127] offset0:44 offset1:45
	ds_write2_b64 v202, v[120:121], v[122:123] offset0:46 offset1:47
	ds_write2_b64 v202, v[116:117], v[118:119] offset0:48 offset1:49
	ds_write2_b64 v202, v[112:113], v[114:115] offset0:50 offset1:51
	ds_write2_b64 v202, v[108:109], v[110:111] offset0:52 offset1:53
	ds_write2_b64 v202, v[104:105], v[106:107] offset0:54 offset1:55
	ds_write2_b64 v202, v[100:101], v[102:103] offset0:56 offset1:57
	ds_write2_b64 v202, v[96:97], v[98:99] offset0:58 offset1:59
	ds_write2_b64 v202, v[92:93], v[94:95] offset0:60 offset1:61
	ds_write2_b64 v202, v[88:89], v[90:91] offset0:62 offset1:63
	ds_write2_b64 v202, v[84:85], v[86:87] offset0:64 offset1:65
	ds_write2_b64 v202, v[80:81], v[82:83] offset0:66 offset1:67
	ds_write2_b64 v202, v[76:77], v[78:79] offset0:68 offset1:69
	ds_write2_b64 v202, v[72:73], v[74:75] offset0:70 offset1:71
	ds_write2_b64 v202, v[68:69], v[70:71] offset0:72 offset1:73
	ds_write2_b64 v202, v[64:65], v[66:67] offset0:74 offset1:75
	s_waitcnt vmcnt(44)
	ds_write2_b64 v202, v[60:61], v[62:63] offset0:76 offset1:77
	s_waitcnt vmcnt(43)
	ds_write2_b64 v202, v[56:57], v[58:59] offset0:78 offset1:79
	;; [unrolled: 2-line block ×12, first 2 shown]
	ds_write2_b64 v202, v[12:13], v[14:15] offset0:100 offset1:101
	ds_write2_b64 v202, v[8:9], v[10:11] offset0:102 offset1:103
	;; [unrolled: 1-line block ×3, first 2 shown]
	s_waitcnt vmcnt(32)
	ds_write2_b64 v202, v[0:1], v[2:3] offset0:106 offset1:107
	s_waitcnt vmcnt(29)
	ds_write2_b64 v202, v[216:217], v[218:219] offset0:108 offset1:109
	ds_read2_b64 v[208:211], v201 offset1:1
	s_waitcnt lgkmcnt(0)
	v_cmp_neq_f64_e32 vcc, 0, v[208:209]
	v_cmp_neq_f64_e64 s[2:3], 0, v[210:211]
	s_or_b64 s[2:3], vcc, s[2:3]
	s_and_b64 exec, exec, s[2:3]
	s_cbranch_execz .LBB109_134
; %bb.129:
	v_cmp_ngt_f64_e64 s[2:3], |v[208:209]|, |v[210:211]|
                                        ; implicit-def: $vgpr204_vgpr205
	s_and_saveexec_b64 s[10:11], s[2:3]
	s_xor_b64 s[2:3], exec, s[10:11]
                                        ; implicit-def: $vgpr206_vgpr207
	s_cbranch_execz .LBB109_131
; %bb.130:
	v_div_scale_f64 v[204:205], s[10:11], v[210:211], v[210:211], v[208:209]
	v_rcp_f64_e32 v[206:207], v[204:205]
	v_div_scale_f64 v[212:213], vcc, v[208:209], v[210:211], v[208:209]
	v_fma_f64 v[214:215], -v[204:205], v[206:207], 1.0
	v_fmac_f64_e32 v[206:207], v[206:207], v[214:215]
	v_fma_f64 v[214:215], -v[204:205], v[206:207], 1.0
	v_fmac_f64_e32 v[206:207], v[206:207], v[214:215]
	v_mul_f64 v[214:215], v[212:213], v[206:207]
	v_fma_f64 v[204:205], -v[204:205], v[214:215], v[212:213]
	v_div_fmas_f64 v[204:205], v[204:205], v[206:207], v[214:215]
	v_div_fixup_f64 v[204:205], v[204:205], v[210:211], v[208:209]
	v_fmac_f64_e32 v[210:211], v[208:209], v[204:205]
	v_div_scale_f64 v[206:207], s[10:11], v[210:211], v[210:211], 1.0
	v_rcp_f64_e32 v[208:209], v[206:207]
	s_nop 0
	v_fma_f64 v[212:213], -v[206:207], v[208:209], 1.0
	v_fmac_f64_e32 v[208:209], v[208:209], v[212:213]
	v_fma_f64 v[212:213], -v[206:207], v[208:209], 1.0
	v_fmac_f64_e32 v[208:209], v[208:209], v[212:213]
	v_div_scale_f64 v[212:213], vcc, 1.0, v[210:211], 1.0
	v_mul_f64 v[214:215], v[212:213], v[208:209]
	v_fma_f64 v[206:207], -v[206:207], v[214:215], v[212:213]
	s_nop 1
	v_div_fmas_f64 v[206:207], v[206:207], v[208:209], v[214:215]
	v_div_fixup_f64 v[206:207], v[206:207], v[210:211], 1.0
	v_mul_f64 v[204:205], v[204:205], v[206:207]
	v_xor_b32_e32 v207, 0x80000000, v207
                                        ; implicit-def: $vgpr208_vgpr209
.LBB109_131:
	s_andn2_saveexec_b64 s[2:3], s[2:3]
	s_cbranch_execz .LBB109_133
; %bb.132:
	v_div_scale_f64 v[204:205], s[10:11], v[208:209], v[208:209], v[210:211]
	v_rcp_f64_e32 v[206:207], v[204:205]
	v_div_scale_f64 v[212:213], vcc, v[210:211], v[208:209], v[210:211]
	v_fma_f64 v[214:215], -v[204:205], v[206:207], 1.0
	v_fmac_f64_e32 v[206:207], v[206:207], v[214:215]
	v_fma_f64 v[214:215], -v[204:205], v[206:207], 1.0
	v_fmac_f64_e32 v[206:207], v[206:207], v[214:215]
	v_mul_f64 v[214:215], v[212:213], v[206:207]
	v_fma_f64 v[204:205], -v[204:205], v[214:215], v[212:213]
	v_div_fmas_f64 v[204:205], v[204:205], v[206:207], v[214:215]
	v_div_fixup_f64 v[206:207], v[204:205], v[208:209], v[210:211]
	v_fmac_f64_e32 v[208:209], v[210:211], v[206:207]
	v_div_scale_f64 v[204:205], s[10:11], v[208:209], v[208:209], 1.0
	v_rcp_f64_e32 v[210:211], v[204:205]
	s_nop 0
	v_fma_f64 v[212:213], -v[204:205], v[210:211], 1.0
	v_fmac_f64_e32 v[210:211], v[210:211], v[212:213]
	v_fma_f64 v[212:213], -v[204:205], v[210:211], 1.0
	v_fmac_f64_e32 v[210:211], v[210:211], v[212:213]
	v_div_scale_f64 v[212:213], vcc, 1.0, v[208:209], 1.0
	v_mul_f64 v[214:215], v[212:213], v[210:211]
	v_fma_f64 v[204:205], -v[204:205], v[214:215], v[212:213]
	s_nop 1
	v_div_fmas_f64 v[204:205], v[204:205], v[210:211], v[214:215]
	v_div_fixup_f64 v[204:205], v[204:205], v[208:209], 1.0
	v_mul_f64 v[206:207], v[206:207], -v[204:205]
.LBB109_133:
	s_or_b64 exec, exec, s[2:3]
	ds_write2_b64 v201, v[204:205], v[206:207] offset1:1
.LBB109_134:
	s_or_b64 exec, exec, s[4:5]
	s_waitcnt lgkmcnt(0)
	s_barrier
	ds_read2_b64 v[192:195], v201 offset1:1
	v_cmp_lt_u32_e32 vcc, 14, v200
	s_waitcnt lgkmcnt(0)
	scratch_store_dwordx4 off, v[192:195], off offset:744 ; 16-byte Folded Spill
	s_and_saveexec_b64 s[2:3], vcc
	s_cbranch_execz .LBB109_136
; %bb.135:
	scratch_load_dwordx4 v[192:195], off, off offset:744 ; 16-byte Folded Reload
	s_waitcnt vmcnt(0)
	v_mul_f64 v[204:205], v[194:195], v[158:159]
	v_fma_f64 v[208:209], v[192:193], v[156:157], -v[204:205]
	ds_read2_b64 v[204:207], v202 offset0:30 offset1:31
	v_mul_f64 v[158:159], v[192:193], v[158:159]
	v_fmac_f64_e32 v[158:159], v[194:195], v[156:157]
	s_waitcnt lgkmcnt(0)
	v_mul_f64 v[156:157], v[206:207], v[158:159]
	v_fma_f64 v[156:157], v[204:205], v[208:209], -v[156:157]
	v_mul_f64 v[204:205], v[204:205], v[158:159]
	v_fmac_f64_e32 v[204:205], v[206:207], v[208:209]
	v_add_f64 v[154:155], v[154:155], -v[204:205]
	ds_read2_b64 v[204:207], v202 offset0:32 offset1:33
	v_add_f64 v[152:153], v[152:153], -v[156:157]
	s_waitcnt lgkmcnt(0)
	v_mul_f64 v[156:157], v[206:207], v[158:159]
	v_fma_f64 v[156:157], v[204:205], v[208:209], -v[156:157]
	v_mul_f64 v[204:205], v[204:205], v[158:159]
	v_fmac_f64_e32 v[204:205], v[206:207], v[208:209]
	v_add_f64 v[150:151], v[150:151], -v[204:205]
	ds_read2_b64 v[204:207], v202 offset0:34 offset1:35
	v_add_f64 v[148:149], v[148:149], -v[156:157]
	s_waitcnt lgkmcnt(0)
	v_mul_f64 v[156:157], v[206:207], v[158:159]
	v_fma_f64 v[156:157], v[204:205], v[208:209], -v[156:157]
	v_mul_f64 v[204:205], v[204:205], v[158:159]
	v_fmac_f64_e32 v[204:205], v[206:207], v[208:209]
	v_add_f64 v[146:147], v[146:147], -v[204:205]
	ds_read2_b64 v[204:207], v202 offset0:36 offset1:37
	v_add_f64 v[144:145], v[144:145], -v[156:157]
	s_waitcnt lgkmcnt(0)
	v_mul_f64 v[156:157], v[206:207], v[158:159]
	v_fma_f64 v[156:157], v[204:205], v[208:209], -v[156:157]
	v_mul_f64 v[204:205], v[204:205], v[158:159]
	v_fmac_f64_e32 v[204:205], v[206:207], v[208:209]
	v_add_f64 v[142:143], v[142:143], -v[204:205]
	ds_read2_b64 v[204:207], v202 offset0:38 offset1:39
	v_add_f64 v[140:141], v[140:141], -v[156:157]
	s_waitcnt lgkmcnt(0)
	v_mul_f64 v[156:157], v[206:207], v[158:159]
	v_fma_f64 v[156:157], v[204:205], v[208:209], -v[156:157]
	v_mul_f64 v[204:205], v[204:205], v[158:159]
	v_fmac_f64_e32 v[204:205], v[206:207], v[208:209]
	v_add_f64 v[138:139], v[138:139], -v[204:205]
	ds_read2_b64 v[204:207], v202 offset0:40 offset1:41
	v_add_f64 v[136:137], v[136:137], -v[156:157]
	s_waitcnt lgkmcnt(0)
	v_mul_f64 v[156:157], v[206:207], v[158:159]
	v_fma_f64 v[156:157], v[204:205], v[208:209], -v[156:157]
	v_mul_f64 v[204:205], v[204:205], v[158:159]
	v_fmac_f64_e32 v[204:205], v[206:207], v[208:209]
	v_add_f64 v[134:135], v[134:135], -v[204:205]
	ds_read2_b64 v[204:207], v202 offset0:42 offset1:43
	v_add_f64 v[132:133], v[132:133], -v[156:157]
	s_waitcnt lgkmcnt(0)
	v_mul_f64 v[156:157], v[206:207], v[158:159]
	v_fma_f64 v[156:157], v[204:205], v[208:209], -v[156:157]
	v_mul_f64 v[204:205], v[204:205], v[158:159]
	v_fmac_f64_e32 v[204:205], v[206:207], v[208:209]
	v_add_f64 v[130:131], v[130:131], -v[204:205]
	ds_read2_b64 v[204:207], v202 offset0:44 offset1:45
	v_add_f64 v[128:129], v[128:129], -v[156:157]
	s_waitcnt lgkmcnt(0)
	v_mul_f64 v[156:157], v[206:207], v[158:159]
	v_fma_f64 v[156:157], v[204:205], v[208:209], -v[156:157]
	v_mul_f64 v[204:205], v[204:205], v[158:159]
	v_fmac_f64_e32 v[204:205], v[206:207], v[208:209]
	v_add_f64 v[126:127], v[126:127], -v[204:205]
	ds_read2_b64 v[204:207], v202 offset0:46 offset1:47
	v_add_f64 v[124:125], v[124:125], -v[156:157]
	s_waitcnt lgkmcnt(0)
	v_mul_f64 v[156:157], v[206:207], v[158:159]
	v_fma_f64 v[156:157], v[204:205], v[208:209], -v[156:157]
	v_mul_f64 v[204:205], v[204:205], v[158:159]
	v_fmac_f64_e32 v[204:205], v[206:207], v[208:209]
	v_add_f64 v[122:123], v[122:123], -v[204:205]
	ds_read2_b64 v[204:207], v202 offset0:48 offset1:49
	v_add_f64 v[120:121], v[120:121], -v[156:157]
	s_waitcnt lgkmcnt(0)
	v_mul_f64 v[156:157], v[206:207], v[158:159]
	v_fma_f64 v[156:157], v[204:205], v[208:209], -v[156:157]
	v_mul_f64 v[204:205], v[204:205], v[158:159]
	v_fmac_f64_e32 v[204:205], v[206:207], v[208:209]
	v_add_f64 v[118:119], v[118:119], -v[204:205]
	ds_read2_b64 v[204:207], v202 offset0:50 offset1:51
	v_add_f64 v[116:117], v[116:117], -v[156:157]
	s_waitcnt lgkmcnt(0)
	v_mul_f64 v[156:157], v[206:207], v[158:159]
	v_fma_f64 v[156:157], v[204:205], v[208:209], -v[156:157]
	v_mul_f64 v[204:205], v[204:205], v[158:159]
	v_fmac_f64_e32 v[204:205], v[206:207], v[208:209]
	v_add_f64 v[114:115], v[114:115], -v[204:205]
	ds_read2_b64 v[204:207], v202 offset0:52 offset1:53
	v_add_f64 v[112:113], v[112:113], -v[156:157]
	s_waitcnt lgkmcnt(0)
	v_mul_f64 v[156:157], v[206:207], v[158:159]
	v_fma_f64 v[156:157], v[204:205], v[208:209], -v[156:157]
	v_mul_f64 v[204:205], v[204:205], v[158:159]
	v_fmac_f64_e32 v[204:205], v[206:207], v[208:209]
	v_add_f64 v[110:111], v[110:111], -v[204:205]
	ds_read2_b64 v[204:207], v202 offset0:54 offset1:55
	v_add_f64 v[108:109], v[108:109], -v[156:157]
	s_waitcnt lgkmcnt(0)
	v_mul_f64 v[156:157], v[206:207], v[158:159]
	v_fma_f64 v[156:157], v[204:205], v[208:209], -v[156:157]
	v_mul_f64 v[204:205], v[204:205], v[158:159]
	v_fmac_f64_e32 v[204:205], v[206:207], v[208:209]
	v_add_f64 v[106:107], v[106:107], -v[204:205]
	ds_read2_b64 v[204:207], v202 offset0:56 offset1:57
	v_add_f64 v[104:105], v[104:105], -v[156:157]
	s_waitcnt lgkmcnt(0)
	v_mul_f64 v[156:157], v[206:207], v[158:159]
	v_fma_f64 v[156:157], v[204:205], v[208:209], -v[156:157]
	v_mul_f64 v[204:205], v[204:205], v[158:159]
	v_fmac_f64_e32 v[204:205], v[206:207], v[208:209]
	v_add_f64 v[102:103], v[102:103], -v[204:205]
	ds_read2_b64 v[204:207], v202 offset0:58 offset1:59
	v_add_f64 v[100:101], v[100:101], -v[156:157]
	s_waitcnt lgkmcnt(0)
	v_mul_f64 v[156:157], v[206:207], v[158:159]
	v_fma_f64 v[156:157], v[204:205], v[208:209], -v[156:157]
	v_mul_f64 v[204:205], v[204:205], v[158:159]
	v_fmac_f64_e32 v[204:205], v[206:207], v[208:209]
	v_add_f64 v[98:99], v[98:99], -v[204:205]
	ds_read2_b64 v[204:207], v202 offset0:60 offset1:61
	v_add_f64 v[96:97], v[96:97], -v[156:157]
	s_waitcnt lgkmcnt(0)
	v_mul_f64 v[156:157], v[206:207], v[158:159]
	v_fma_f64 v[156:157], v[204:205], v[208:209], -v[156:157]
	v_mul_f64 v[204:205], v[204:205], v[158:159]
	v_fmac_f64_e32 v[204:205], v[206:207], v[208:209]
	v_add_f64 v[94:95], v[94:95], -v[204:205]
	ds_read2_b64 v[204:207], v202 offset0:62 offset1:63
	v_add_f64 v[92:93], v[92:93], -v[156:157]
	s_waitcnt lgkmcnt(0)
	v_mul_f64 v[156:157], v[206:207], v[158:159]
	v_fma_f64 v[156:157], v[204:205], v[208:209], -v[156:157]
	v_mul_f64 v[204:205], v[204:205], v[158:159]
	v_fmac_f64_e32 v[204:205], v[206:207], v[208:209]
	v_add_f64 v[90:91], v[90:91], -v[204:205]
	ds_read2_b64 v[204:207], v202 offset0:64 offset1:65
	v_add_f64 v[88:89], v[88:89], -v[156:157]
	s_waitcnt lgkmcnt(0)
	v_mul_f64 v[156:157], v[206:207], v[158:159]
	v_fma_f64 v[156:157], v[204:205], v[208:209], -v[156:157]
	v_mul_f64 v[204:205], v[204:205], v[158:159]
	v_fmac_f64_e32 v[204:205], v[206:207], v[208:209]
	v_add_f64 v[86:87], v[86:87], -v[204:205]
	ds_read2_b64 v[204:207], v202 offset0:66 offset1:67
	v_add_f64 v[84:85], v[84:85], -v[156:157]
	s_waitcnt lgkmcnt(0)
	v_mul_f64 v[156:157], v[206:207], v[158:159]
	v_fma_f64 v[156:157], v[204:205], v[208:209], -v[156:157]
	v_mul_f64 v[204:205], v[204:205], v[158:159]
	v_fmac_f64_e32 v[204:205], v[206:207], v[208:209]
	v_add_f64 v[82:83], v[82:83], -v[204:205]
	ds_read2_b64 v[204:207], v202 offset0:68 offset1:69
	v_add_f64 v[80:81], v[80:81], -v[156:157]
	s_waitcnt lgkmcnt(0)
	v_mul_f64 v[156:157], v[206:207], v[158:159]
	v_fma_f64 v[156:157], v[204:205], v[208:209], -v[156:157]
	v_mul_f64 v[204:205], v[204:205], v[158:159]
	v_fmac_f64_e32 v[204:205], v[206:207], v[208:209]
	v_add_f64 v[78:79], v[78:79], -v[204:205]
	ds_read2_b64 v[204:207], v202 offset0:70 offset1:71
	v_add_f64 v[76:77], v[76:77], -v[156:157]
	s_waitcnt lgkmcnt(0)
	v_mul_f64 v[156:157], v[206:207], v[158:159]
	v_fma_f64 v[156:157], v[204:205], v[208:209], -v[156:157]
	v_mul_f64 v[204:205], v[204:205], v[158:159]
	v_fmac_f64_e32 v[204:205], v[206:207], v[208:209]
	v_add_f64 v[74:75], v[74:75], -v[204:205]
	ds_read2_b64 v[204:207], v202 offset0:72 offset1:73
	v_add_f64 v[72:73], v[72:73], -v[156:157]
	s_waitcnt lgkmcnt(0)
	v_mul_f64 v[156:157], v[206:207], v[158:159]
	v_fma_f64 v[156:157], v[204:205], v[208:209], -v[156:157]
	v_mul_f64 v[204:205], v[204:205], v[158:159]
	v_fmac_f64_e32 v[204:205], v[206:207], v[208:209]
	v_add_f64 v[70:71], v[70:71], -v[204:205]
	ds_read2_b64 v[204:207], v202 offset0:74 offset1:75
	v_add_f64 v[68:69], v[68:69], -v[156:157]
	s_waitcnt lgkmcnt(0)
	v_mul_f64 v[156:157], v[206:207], v[158:159]
	v_fma_f64 v[156:157], v[204:205], v[208:209], -v[156:157]
	v_mul_f64 v[204:205], v[204:205], v[158:159]
	v_fmac_f64_e32 v[204:205], v[206:207], v[208:209]
	v_add_f64 v[66:67], v[66:67], -v[204:205]
	ds_read2_b64 v[204:207], v202 offset0:76 offset1:77
	v_add_f64 v[64:65], v[64:65], -v[156:157]
	s_waitcnt lgkmcnt(0)
	v_mul_f64 v[156:157], v[206:207], v[158:159]
	v_fma_f64 v[156:157], v[204:205], v[208:209], -v[156:157]
	v_mul_f64 v[204:205], v[204:205], v[158:159]
	v_fmac_f64_e32 v[204:205], v[206:207], v[208:209]
	v_add_f64 v[62:63], v[62:63], -v[204:205]
	ds_read2_b64 v[204:207], v202 offset0:78 offset1:79
	v_add_f64 v[60:61], v[60:61], -v[156:157]
	s_waitcnt lgkmcnt(0)
	v_mul_f64 v[156:157], v[206:207], v[158:159]
	v_fma_f64 v[156:157], v[204:205], v[208:209], -v[156:157]
	v_mul_f64 v[204:205], v[204:205], v[158:159]
	v_fmac_f64_e32 v[204:205], v[206:207], v[208:209]
	v_add_f64 v[58:59], v[58:59], -v[204:205]
	ds_read2_b64 v[204:207], v202 offset0:80 offset1:81
	v_add_f64 v[56:57], v[56:57], -v[156:157]
	s_waitcnt lgkmcnt(0)
	v_mul_f64 v[156:157], v[206:207], v[158:159]
	v_fma_f64 v[156:157], v[204:205], v[208:209], -v[156:157]
	v_mul_f64 v[204:205], v[204:205], v[158:159]
	v_fmac_f64_e32 v[204:205], v[206:207], v[208:209]
	v_add_f64 v[54:55], v[54:55], -v[204:205]
	ds_read2_b64 v[204:207], v202 offset0:82 offset1:83
	v_add_f64 v[52:53], v[52:53], -v[156:157]
	s_waitcnt lgkmcnt(0)
	v_mul_f64 v[156:157], v[206:207], v[158:159]
	v_fma_f64 v[156:157], v[204:205], v[208:209], -v[156:157]
	v_mul_f64 v[204:205], v[204:205], v[158:159]
	v_fmac_f64_e32 v[204:205], v[206:207], v[208:209]
	v_add_f64 v[50:51], v[50:51], -v[204:205]
	ds_read2_b64 v[204:207], v202 offset0:84 offset1:85
	v_add_f64 v[48:49], v[48:49], -v[156:157]
	s_waitcnt lgkmcnt(0)
	v_mul_f64 v[156:157], v[206:207], v[158:159]
	v_fma_f64 v[156:157], v[204:205], v[208:209], -v[156:157]
	v_mul_f64 v[204:205], v[204:205], v[158:159]
	v_fmac_f64_e32 v[204:205], v[206:207], v[208:209]
	v_add_f64 v[46:47], v[46:47], -v[204:205]
	ds_read2_b64 v[204:207], v202 offset0:86 offset1:87
	v_add_f64 v[44:45], v[44:45], -v[156:157]
	s_waitcnt lgkmcnt(0)
	v_mul_f64 v[156:157], v[206:207], v[158:159]
	v_fma_f64 v[156:157], v[204:205], v[208:209], -v[156:157]
	v_mul_f64 v[204:205], v[204:205], v[158:159]
	v_fmac_f64_e32 v[204:205], v[206:207], v[208:209]
	v_add_f64 v[42:43], v[42:43], -v[204:205]
	ds_read2_b64 v[204:207], v202 offset0:88 offset1:89
	v_add_f64 v[40:41], v[40:41], -v[156:157]
	s_waitcnt lgkmcnt(0)
	v_mul_f64 v[156:157], v[206:207], v[158:159]
	v_fma_f64 v[156:157], v[204:205], v[208:209], -v[156:157]
	v_mul_f64 v[204:205], v[204:205], v[158:159]
	v_fmac_f64_e32 v[204:205], v[206:207], v[208:209]
	v_add_f64 v[38:39], v[38:39], -v[204:205]
	ds_read2_b64 v[204:207], v202 offset0:90 offset1:91
	v_add_f64 v[36:37], v[36:37], -v[156:157]
	s_waitcnt lgkmcnt(0)
	v_mul_f64 v[156:157], v[206:207], v[158:159]
	v_fma_f64 v[156:157], v[204:205], v[208:209], -v[156:157]
	v_mul_f64 v[204:205], v[204:205], v[158:159]
	v_fmac_f64_e32 v[204:205], v[206:207], v[208:209]
	v_add_f64 v[34:35], v[34:35], -v[204:205]
	ds_read2_b64 v[204:207], v202 offset0:92 offset1:93
	v_add_f64 v[32:33], v[32:33], -v[156:157]
	s_waitcnt lgkmcnt(0)
	v_mul_f64 v[156:157], v[206:207], v[158:159]
	v_fma_f64 v[156:157], v[204:205], v[208:209], -v[156:157]
	v_mul_f64 v[204:205], v[204:205], v[158:159]
	v_fmac_f64_e32 v[204:205], v[206:207], v[208:209]
	v_add_f64 v[30:31], v[30:31], -v[204:205]
	ds_read2_b64 v[204:207], v202 offset0:94 offset1:95
	v_add_f64 v[28:29], v[28:29], -v[156:157]
	s_waitcnt lgkmcnt(0)
	v_mul_f64 v[156:157], v[206:207], v[158:159]
	v_fma_f64 v[156:157], v[204:205], v[208:209], -v[156:157]
	v_mul_f64 v[204:205], v[204:205], v[158:159]
	v_fmac_f64_e32 v[204:205], v[206:207], v[208:209]
	v_add_f64 v[26:27], v[26:27], -v[204:205]
	ds_read2_b64 v[204:207], v202 offset0:96 offset1:97
	v_add_f64 v[24:25], v[24:25], -v[156:157]
	s_waitcnt lgkmcnt(0)
	v_mul_f64 v[156:157], v[206:207], v[158:159]
	v_fma_f64 v[156:157], v[204:205], v[208:209], -v[156:157]
	v_mul_f64 v[204:205], v[204:205], v[158:159]
	v_fmac_f64_e32 v[204:205], v[206:207], v[208:209]
	v_add_f64 v[22:23], v[22:23], -v[204:205]
	ds_read2_b64 v[204:207], v202 offset0:98 offset1:99
	v_add_f64 v[20:21], v[20:21], -v[156:157]
	s_waitcnt lgkmcnt(0)
	v_mul_f64 v[156:157], v[206:207], v[158:159]
	v_fma_f64 v[156:157], v[204:205], v[208:209], -v[156:157]
	v_mul_f64 v[204:205], v[204:205], v[158:159]
	v_fmac_f64_e32 v[204:205], v[206:207], v[208:209]
	v_add_f64 v[18:19], v[18:19], -v[204:205]
	ds_read2_b64 v[204:207], v202 offset0:100 offset1:101
	v_add_f64 v[16:17], v[16:17], -v[156:157]
	s_waitcnt lgkmcnt(0)
	v_mul_f64 v[156:157], v[206:207], v[158:159]
	v_fma_f64 v[156:157], v[204:205], v[208:209], -v[156:157]
	v_mul_f64 v[204:205], v[204:205], v[158:159]
	v_fmac_f64_e32 v[204:205], v[206:207], v[208:209]
	v_add_f64 v[14:15], v[14:15], -v[204:205]
	ds_read2_b64 v[204:207], v202 offset0:102 offset1:103
	v_add_f64 v[12:13], v[12:13], -v[156:157]
	s_waitcnt lgkmcnt(0)
	v_mul_f64 v[156:157], v[206:207], v[158:159]
	v_fma_f64 v[156:157], v[204:205], v[208:209], -v[156:157]
	v_mul_f64 v[204:205], v[204:205], v[158:159]
	v_fmac_f64_e32 v[204:205], v[206:207], v[208:209]
	v_add_f64 v[10:11], v[10:11], -v[204:205]
	ds_read2_b64 v[204:207], v202 offset0:104 offset1:105
	v_add_f64 v[8:9], v[8:9], -v[156:157]
	s_waitcnt lgkmcnt(0)
	v_mul_f64 v[156:157], v[206:207], v[158:159]
	v_fma_f64 v[156:157], v[204:205], v[208:209], -v[156:157]
	v_mul_f64 v[204:205], v[204:205], v[158:159]
	v_fmac_f64_e32 v[204:205], v[206:207], v[208:209]
	v_add_f64 v[6:7], v[6:7], -v[204:205]
	ds_read2_b64 v[204:207], v202 offset0:106 offset1:107
	v_add_f64 v[4:5], v[4:5], -v[156:157]
	s_waitcnt lgkmcnt(0)
	v_mul_f64 v[156:157], v[206:207], v[158:159]
	v_fma_f64 v[156:157], v[204:205], v[208:209], -v[156:157]
	v_mul_f64 v[204:205], v[204:205], v[158:159]
	v_fmac_f64_e32 v[204:205], v[206:207], v[208:209]
	v_add_f64 v[2:3], v[2:3], -v[204:205]
	ds_read2_b64 v[204:207], v202 offset0:108 offset1:109
	v_add_f64 v[0:1], v[0:1], -v[156:157]
	s_waitcnt lgkmcnt(0)
	v_mul_f64 v[156:157], v[206:207], v[158:159]
	v_fma_f64 v[156:157], v[204:205], v[208:209], -v[156:157]
	v_mul_f64 v[204:205], v[204:205], v[158:159]
	v_fmac_f64_e32 v[204:205], v[206:207], v[208:209]
	v_add_f64 v[216:217], v[216:217], -v[156:157]
	v_add_f64 v[218:219], v[218:219], -v[204:205]
	v_mov_b64_e32 v[156:157], v[208:209]
.LBB109_136:
	s_or_b64 exec, exec, s[2:3]
	v_cmp_eq_u32_e32 vcc, 15, v200
	s_waitcnt vmcnt(63) expcnt(7) lgkmcnt(15)
	s_barrier
	s_and_saveexec_b64 s[4:5], vcc
	s_cbranch_execz .LBB109_143
; %bb.137:
	ds_write2_b64 v201, v[152:153], v[154:155] offset1:1
	ds_write2_b64 v202, v[148:149], v[150:151] offset0:32 offset1:33
	ds_write2_b64 v202, v[144:145], v[146:147] offset0:34 offset1:35
	ds_write2_b64 v202, v[140:141], v[142:143] offset0:36 offset1:37
	ds_write2_b64 v202, v[136:137], v[138:139] offset0:38 offset1:39
	ds_write2_b64 v202, v[132:133], v[134:135] offset0:40 offset1:41
	ds_write2_b64 v202, v[128:129], v[130:131] offset0:42 offset1:43
	ds_write2_b64 v202, v[124:125], v[126:127] offset0:44 offset1:45
	ds_write2_b64 v202, v[120:121], v[122:123] offset0:46 offset1:47
	ds_write2_b64 v202, v[116:117], v[118:119] offset0:48 offset1:49
	ds_write2_b64 v202, v[112:113], v[114:115] offset0:50 offset1:51
	ds_write2_b64 v202, v[108:109], v[110:111] offset0:52 offset1:53
	ds_write2_b64 v202, v[104:105], v[106:107] offset0:54 offset1:55
	ds_write2_b64 v202, v[100:101], v[102:103] offset0:56 offset1:57
	ds_write2_b64 v202, v[96:97], v[98:99] offset0:58 offset1:59
	ds_write2_b64 v202, v[92:93], v[94:95] offset0:60 offset1:61
	ds_write2_b64 v202, v[88:89], v[90:91] offset0:62 offset1:63
	ds_write2_b64 v202, v[84:85], v[86:87] offset0:64 offset1:65
	ds_write2_b64 v202, v[80:81], v[82:83] offset0:66 offset1:67
	ds_write2_b64 v202, v[76:77], v[78:79] offset0:68 offset1:69
	ds_write2_b64 v202, v[72:73], v[74:75] offset0:70 offset1:71
	ds_write2_b64 v202, v[68:69], v[70:71] offset0:72 offset1:73
	ds_write2_b64 v202, v[64:65], v[66:67] offset0:74 offset1:75
	s_waitcnt vmcnt(45)
	ds_write2_b64 v202, v[60:61], v[62:63] offset0:76 offset1:77
	s_waitcnt vmcnt(44)
	ds_write2_b64 v202, v[56:57], v[58:59] offset0:78 offset1:79
	;; [unrolled: 2-line block ×12, first 2 shown]
	ds_write2_b64 v202, v[12:13], v[14:15] offset0:100 offset1:101
	ds_write2_b64 v202, v[8:9], v[10:11] offset0:102 offset1:103
	;; [unrolled: 1-line block ×3, first 2 shown]
	s_waitcnt vmcnt(33)
	ds_write2_b64 v202, v[0:1], v[2:3] offset0:106 offset1:107
	s_waitcnt vmcnt(30)
	ds_write2_b64 v202, v[216:217], v[218:219] offset0:108 offset1:109
	ds_read2_b64 v[208:211], v201 offset1:1
	s_waitcnt lgkmcnt(0)
	v_cmp_neq_f64_e32 vcc, 0, v[208:209]
	v_cmp_neq_f64_e64 s[2:3], 0, v[210:211]
	s_or_b64 s[2:3], vcc, s[2:3]
	s_and_b64 exec, exec, s[2:3]
	s_cbranch_execz .LBB109_143
; %bb.138:
	v_cmp_ngt_f64_e64 s[2:3], |v[208:209]|, |v[210:211]|
                                        ; implicit-def: $vgpr204_vgpr205
	s_and_saveexec_b64 s[10:11], s[2:3]
	s_xor_b64 s[2:3], exec, s[10:11]
                                        ; implicit-def: $vgpr206_vgpr207
	s_cbranch_execz .LBB109_140
; %bb.139:
	v_div_scale_f64 v[204:205], s[10:11], v[210:211], v[210:211], v[208:209]
	v_rcp_f64_e32 v[206:207], v[204:205]
	v_div_scale_f64 v[212:213], vcc, v[208:209], v[210:211], v[208:209]
	v_fma_f64 v[214:215], -v[204:205], v[206:207], 1.0
	v_fmac_f64_e32 v[206:207], v[206:207], v[214:215]
	v_fma_f64 v[214:215], -v[204:205], v[206:207], 1.0
	v_fmac_f64_e32 v[206:207], v[206:207], v[214:215]
	v_mul_f64 v[214:215], v[212:213], v[206:207]
	v_fma_f64 v[204:205], -v[204:205], v[214:215], v[212:213]
	v_div_fmas_f64 v[204:205], v[204:205], v[206:207], v[214:215]
	v_div_fixup_f64 v[204:205], v[204:205], v[210:211], v[208:209]
	v_fmac_f64_e32 v[210:211], v[208:209], v[204:205]
	v_div_scale_f64 v[206:207], s[10:11], v[210:211], v[210:211], 1.0
	v_rcp_f64_e32 v[208:209], v[206:207]
	s_nop 0
	v_fma_f64 v[212:213], -v[206:207], v[208:209], 1.0
	v_fmac_f64_e32 v[208:209], v[208:209], v[212:213]
	v_fma_f64 v[212:213], -v[206:207], v[208:209], 1.0
	v_fmac_f64_e32 v[208:209], v[208:209], v[212:213]
	v_div_scale_f64 v[212:213], vcc, 1.0, v[210:211], 1.0
	v_mul_f64 v[214:215], v[212:213], v[208:209]
	v_fma_f64 v[206:207], -v[206:207], v[214:215], v[212:213]
	s_nop 1
	v_div_fmas_f64 v[206:207], v[206:207], v[208:209], v[214:215]
	v_div_fixup_f64 v[206:207], v[206:207], v[210:211], 1.0
	v_mul_f64 v[204:205], v[204:205], v[206:207]
	v_xor_b32_e32 v207, 0x80000000, v207
                                        ; implicit-def: $vgpr208_vgpr209
.LBB109_140:
	s_andn2_saveexec_b64 s[2:3], s[2:3]
	s_cbranch_execz .LBB109_142
; %bb.141:
	v_div_scale_f64 v[204:205], s[10:11], v[208:209], v[208:209], v[210:211]
	v_rcp_f64_e32 v[206:207], v[204:205]
	v_div_scale_f64 v[212:213], vcc, v[210:211], v[208:209], v[210:211]
	v_fma_f64 v[214:215], -v[204:205], v[206:207], 1.0
	v_fmac_f64_e32 v[206:207], v[206:207], v[214:215]
	v_fma_f64 v[214:215], -v[204:205], v[206:207], 1.0
	v_fmac_f64_e32 v[206:207], v[206:207], v[214:215]
	v_mul_f64 v[214:215], v[212:213], v[206:207]
	v_fma_f64 v[204:205], -v[204:205], v[214:215], v[212:213]
	v_div_fmas_f64 v[204:205], v[204:205], v[206:207], v[214:215]
	v_div_fixup_f64 v[206:207], v[204:205], v[208:209], v[210:211]
	v_fmac_f64_e32 v[208:209], v[210:211], v[206:207]
	v_div_scale_f64 v[204:205], s[10:11], v[208:209], v[208:209], 1.0
	v_rcp_f64_e32 v[210:211], v[204:205]
	s_nop 0
	v_fma_f64 v[212:213], -v[204:205], v[210:211], 1.0
	v_fmac_f64_e32 v[210:211], v[210:211], v[212:213]
	v_fma_f64 v[212:213], -v[204:205], v[210:211], 1.0
	v_fmac_f64_e32 v[210:211], v[210:211], v[212:213]
	v_div_scale_f64 v[212:213], vcc, 1.0, v[208:209], 1.0
	v_mul_f64 v[214:215], v[212:213], v[210:211]
	v_fma_f64 v[204:205], -v[204:205], v[214:215], v[212:213]
	s_nop 1
	v_div_fmas_f64 v[204:205], v[204:205], v[210:211], v[214:215]
	v_div_fixup_f64 v[204:205], v[204:205], v[208:209], 1.0
	v_mul_f64 v[206:207], v[206:207], -v[204:205]
.LBB109_142:
	s_or_b64 exec, exec, s[2:3]
	ds_write2_b64 v201, v[204:205], v[206:207] offset1:1
.LBB109_143:
	s_or_b64 exec, exec, s[4:5]
	s_waitcnt lgkmcnt(0)
	s_barrier
	ds_read2_b64 v[192:195], v201 offset1:1
	v_cmp_lt_u32_e32 vcc, 15, v200
	s_waitcnt lgkmcnt(0)
	scratch_store_dwordx4 off, v[192:195], off offset:760 ; 16-byte Folded Spill
	s_and_saveexec_b64 s[2:3], vcc
	s_cbranch_execz .LBB109_145
; %bb.144:
	scratch_load_dwordx4 v[192:195], off, off offset:760 ; 16-byte Folded Reload
	s_waitcnt vmcnt(0)
	v_mul_f64 v[204:205], v[194:195], v[154:155]
	v_fma_f64 v[208:209], v[192:193], v[152:153], -v[204:205]
	ds_read2_b64 v[204:207], v202 offset0:32 offset1:33
	v_mul_f64 v[154:155], v[192:193], v[154:155]
	v_fmac_f64_e32 v[154:155], v[194:195], v[152:153]
	s_waitcnt lgkmcnt(0)
	v_mul_f64 v[152:153], v[206:207], v[154:155]
	v_fma_f64 v[152:153], v[204:205], v[208:209], -v[152:153]
	v_mul_f64 v[204:205], v[204:205], v[154:155]
	v_fmac_f64_e32 v[204:205], v[206:207], v[208:209]
	v_add_f64 v[150:151], v[150:151], -v[204:205]
	ds_read2_b64 v[204:207], v202 offset0:34 offset1:35
	v_add_f64 v[148:149], v[148:149], -v[152:153]
	s_waitcnt lgkmcnt(0)
	v_mul_f64 v[152:153], v[206:207], v[154:155]
	v_fma_f64 v[152:153], v[204:205], v[208:209], -v[152:153]
	v_mul_f64 v[204:205], v[204:205], v[154:155]
	v_fmac_f64_e32 v[204:205], v[206:207], v[208:209]
	v_add_f64 v[146:147], v[146:147], -v[204:205]
	ds_read2_b64 v[204:207], v202 offset0:36 offset1:37
	v_add_f64 v[144:145], v[144:145], -v[152:153]
	;; [unrolled: 8-line block ×38, first 2 shown]
	s_waitcnt lgkmcnt(0)
	v_mul_f64 v[152:153], v[206:207], v[154:155]
	v_fma_f64 v[152:153], v[204:205], v[208:209], -v[152:153]
	v_mul_f64 v[204:205], v[204:205], v[154:155]
	v_fmac_f64_e32 v[204:205], v[206:207], v[208:209]
	v_add_f64 v[216:217], v[216:217], -v[152:153]
	v_add_f64 v[218:219], v[218:219], -v[204:205]
	v_mov_b64_e32 v[152:153], v[208:209]
.LBB109_145:
	s_or_b64 exec, exec, s[2:3]
	v_cmp_eq_u32_e32 vcc, 16, v200
	s_waitcnt vmcnt(63) expcnt(7) lgkmcnt(15)
	s_barrier
	s_and_saveexec_b64 s[4:5], vcc
	s_cbranch_execz .LBB109_152
; %bb.146:
	ds_write2_b64 v201, v[148:149], v[150:151] offset1:1
	ds_write2_b64 v202, v[144:145], v[146:147] offset0:34 offset1:35
	ds_write2_b64 v202, v[140:141], v[142:143] offset0:36 offset1:37
	;; [unrolled: 1-line block ×21, first 2 shown]
	s_waitcnt vmcnt(46)
	ds_write2_b64 v202, v[60:61], v[62:63] offset0:76 offset1:77
	s_waitcnt vmcnt(45)
	ds_write2_b64 v202, v[56:57], v[58:59] offset0:78 offset1:79
	;; [unrolled: 2-line block ×12, first 2 shown]
	ds_write2_b64 v202, v[12:13], v[14:15] offset0:100 offset1:101
	ds_write2_b64 v202, v[8:9], v[10:11] offset0:102 offset1:103
	;; [unrolled: 1-line block ×3, first 2 shown]
	s_waitcnt vmcnt(34)
	ds_write2_b64 v202, v[0:1], v[2:3] offset0:106 offset1:107
	s_waitcnt vmcnt(31)
	ds_write2_b64 v202, v[216:217], v[218:219] offset0:108 offset1:109
	ds_read2_b64 v[208:211], v201 offset1:1
	s_waitcnt lgkmcnt(0)
	v_cmp_neq_f64_e32 vcc, 0, v[208:209]
	v_cmp_neq_f64_e64 s[2:3], 0, v[210:211]
	s_or_b64 s[2:3], vcc, s[2:3]
	s_and_b64 exec, exec, s[2:3]
	s_cbranch_execz .LBB109_152
; %bb.147:
	v_cmp_ngt_f64_e64 s[2:3], |v[208:209]|, |v[210:211]|
                                        ; implicit-def: $vgpr204_vgpr205
	s_and_saveexec_b64 s[10:11], s[2:3]
	s_xor_b64 s[2:3], exec, s[10:11]
                                        ; implicit-def: $vgpr206_vgpr207
	s_cbranch_execz .LBB109_149
; %bb.148:
	v_div_scale_f64 v[204:205], s[10:11], v[210:211], v[210:211], v[208:209]
	v_rcp_f64_e32 v[206:207], v[204:205]
	v_div_scale_f64 v[212:213], vcc, v[208:209], v[210:211], v[208:209]
	v_fma_f64 v[214:215], -v[204:205], v[206:207], 1.0
	v_fmac_f64_e32 v[206:207], v[206:207], v[214:215]
	v_fma_f64 v[214:215], -v[204:205], v[206:207], 1.0
	v_fmac_f64_e32 v[206:207], v[206:207], v[214:215]
	v_mul_f64 v[214:215], v[212:213], v[206:207]
	v_fma_f64 v[204:205], -v[204:205], v[214:215], v[212:213]
	v_div_fmas_f64 v[204:205], v[204:205], v[206:207], v[214:215]
	v_div_fixup_f64 v[204:205], v[204:205], v[210:211], v[208:209]
	v_fmac_f64_e32 v[210:211], v[208:209], v[204:205]
	v_div_scale_f64 v[206:207], s[10:11], v[210:211], v[210:211], 1.0
	v_rcp_f64_e32 v[208:209], v[206:207]
	s_nop 0
	v_fma_f64 v[212:213], -v[206:207], v[208:209], 1.0
	v_fmac_f64_e32 v[208:209], v[208:209], v[212:213]
	v_fma_f64 v[212:213], -v[206:207], v[208:209], 1.0
	v_fmac_f64_e32 v[208:209], v[208:209], v[212:213]
	v_div_scale_f64 v[212:213], vcc, 1.0, v[210:211], 1.0
	v_mul_f64 v[214:215], v[212:213], v[208:209]
	v_fma_f64 v[206:207], -v[206:207], v[214:215], v[212:213]
	s_nop 1
	v_div_fmas_f64 v[206:207], v[206:207], v[208:209], v[214:215]
	v_div_fixup_f64 v[206:207], v[206:207], v[210:211], 1.0
	v_mul_f64 v[204:205], v[204:205], v[206:207]
	v_xor_b32_e32 v207, 0x80000000, v207
                                        ; implicit-def: $vgpr208_vgpr209
.LBB109_149:
	s_andn2_saveexec_b64 s[2:3], s[2:3]
	s_cbranch_execz .LBB109_151
; %bb.150:
	v_div_scale_f64 v[204:205], s[10:11], v[208:209], v[208:209], v[210:211]
	v_rcp_f64_e32 v[206:207], v[204:205]
	v_div_scale_f64 v[212:213], vcc, v[210:211], v[208:209], v[210:211]
	v_fma_f64 v[214:215], -v[204:205], v[206:207], 1.0
	v_fmac_f64_e32 v[206:207], v[206:207], v[214:215]
	v_fma_f64 v[214:215], -v[204:205], v[206:207], 1.0
	v_fmac_f64_e32 v[206:207], v[206:207], v[214:215]
	v_mul_f64 v[214:215], v[212:213], v[206:207]
	v_fma_f64 v[204:205], -v[204:205], v[214:215], v[212:213]
	v_div_fmas_f64 v[204:205], v[204:205], v[206:207], v[214:215]
	v_div_fixup_f64 v[206:207], v[204:205], v[208:209], v[210:211]
	v_fmac_f64_e32 v[208:209], v[210:211], v[206:207]
	v_div_scale_f64 v[204:205], s[10:11], v[208:209], v[208:209], 1.0
	v_rcp_f64_e32 v[210:211], v[204:205]
	s_nop 0
	v_fma_f64 v[212:213], -v[204:205], v[210:211], 1.0
	v_fmac_f64_e32 v[210:211], v[210:211], v[212:213]
	v_fma_f64 v[212:213], -v[204:205], v[210:211], 1.0
	v_fmac_f64_e32 v[210:211], v[210:211], v[212:213]
	v_div_scale_f64 v[212:213], vcc, 1.0, v[208:209], 1.0
	v_mul_f64 v[214:215], v[212:213], v[210:211]
	v_fma_f64 v[204:205], -v[204:205], v[214:215], v[212:213]
	s_nop 1
	v_div_fmas_f64 v[204:205], v[204:205], v[210:211], v[214:215]
	v_div_fixup_f64 v[204:205], v[204:205], v[208:209], 1.0
	v_mul_f64 v[206:207], v[206:207], -v[204:205]
.LBB109_151:
	s_or_b64 exec, exec, s[2:3]
	ds_write2_b64 v201, v[204:205], v[206:207] offset1:1
.LBB109_152:
	s_or_b64 exec, exec, s[4:5]
	s_waitcnt lgkmcnt(0)
	s_barrier
	ds_read2_b64 v[192:195], v201 offset1:1
	v_cmp_lt_u32_e32 vcc, 16, v200
	s_waitcnt lgkmcnt(0)
	scratch_store_dwordx4 off, v[192:195], off offset:776 ; 16-byte Folded Spill
	s_and_saveexec_b64 s[2:3], vcc
	s_cbranch_execz .LBB109_154
; %bb.153:
	scratch_load_dwordx4 v[192:195], off, off offset:776 ; 16-byte Folded Reload
	s_waitcnt vmcnt(0)
	v_mul_f64 v[204:205], v[194:195], v[150:151]
	v_fma_f64 v[208:209], v[192:193], v[148:149], -v[204:205]
	ds_read2_b64 v[204:207], v202 offset0:34 offset1:35
	v_mul_f64 v[150:151], v[192:193], v[150:151]
	v_fmac_f64_e32 v[150:151], v[194:195], v[148:149]
	s_waitcnt lgkmcnt(0)
	v_mul_f64 v[148:149], v[206:207], v[150:151]
	v_fma_f64 v[148:149], v[204:205], v[208:209], -v[148:149]
	v_mul_f64 v[204:205], v[204:205], v[150:151]
	v_fmac_f64_e32 v[204:205], v[206:207], v[208:209]
	v_add_f64 v[146:147], v[146:147], -v[204:205]
	ds_read2_b64 v[204:207], v202 offset0:36 offset1:37
	v_add_f64 v[144:145], v[144:145], -v[148:149]
	s_waitcnt lgkmcnt(0)
	v_mul_f64 v[148:149], v[206:207], v[150:151]
	v_fma_f64 v[148:149], v[204:205], v[208:209], -v[148:149]
	v_mul_f64 v[204:205], v[204:205], v[150:151]
	v_fmac_f64_e32 v[204:205], v[206:207], v[208:209]
	v_add_f64 v[142:143], v[142:143], -v[204:205]
	ds_read2_b64 v[204:207], v202 offset0:38 offset1:39
	v_add_f64 v[140:141], v[140:141], -v[148:149]
	;; [unrolled: 8-line block ×37, first 2 shown]
	s_waitcnt lgkmcnt(0)
	v_mul_f64 v[148:149], v[206:207], v[150:151]
	v_fma_f64 v[148:149], v[204:205], v[208:209], -v[148:149]
	v_mul_f64 v[204:205], v[204:205], v[150:151]
	v_fmac_f64_e32 v[204:205], v[206:207], v[208:209]
	v_add_f64 v[216:217], v[216:217], -v[148:149]
	v_add_f64 v[218:219], v[218:219], -v[204:205]
	v_mov_b64_e32 v[148:149], v[208:209]
.LBB109_154:
	s_or_b64 exec, exec, s[2:3]
	v_cmp_eq_u32_e32 vcc, 17, v200
	s_waitcnt vmcnt(63) expcnt(7) lgkmcnt(15)
	s_barrier
	s_and_saveexec_b64 s[4:5], vcc
	s_cbranch_execz .LBB109_161
; %bb.155:
	ds_write2_b64 v201, v[144:145], v[146:147] offset1:1
	ds_write2_b64 v202, v[140:141], v[142:143] offset0:36 offset1:37
	ds_write2_b64 v202, v[136:137], v[138:139] offset0:38 offset1:39
	ds_write2_b64 v202, v[132:133], v[134:135] offset0:40 offset1:41
	ds_write2_b64 v202, v[128:129], v[130:131] offset0:42 offset1:43
	ds_write2_b64 v202, v[124:125], v[126:127] offset0:44 offset1:45
	ds_write2_b64 v202, v[120:121], v[122:123] offset0:46 offset1:47
	ds_write2_b64 v202, v[116:117], v[118:119] offset0:48 offset1:49
	ds_write2_b64 v202, v[112:113], v[114:115] offset0:50 offset1:51
	ds_write2_b64 v202, v[108:109], v[110:111] offset0:52 offset1:53
	ds_write2_b64 v202, v[104:105], v[106:107] offset0:54 offset1:55
	ds_write2_b64 v202, v[100:101], v[102:103] offset0:56 offset1:57
	ds_write2_b64 v202, v[96:97], v[98:99] offset0:58 offset1:59
	ds_write2_b64 v202, v[92:93], v[94:95] offset0:60 offset1:61
	ds_write2_b64 v202, v[88:89], v[90:91] offset0:62 offset1:63
	ds_write2_b64 v202, v[84:85], v[86:87] offset0:64 offset1:65
	ds_write2_b64 v202, v[80:81], v[82:83] offset0:66 offset1:67
	ds_write2_b64 v202, v[76:77], v[78:79] offset0:68 offset1:69
	ds_write2_b64 v202, v[72:73], v[74:75] offset0:70 offset1:71
	ds_write2_b64 v202, v[68:69], v[70:71] offset0:72 offset1:73
	ds_write2_b64 v202, v[64:65], v[66:67] offset0:74 offset1:75
	s_waitcnt vmcnt(47)
	ds_write2_b64 v202, v[60:61], v[62:63] offset0:76 offset1:77
	s_waitcnt vmcnt(46)
	ds_write2_b64 v202, v[56:57], v[58:59] offset0:78 offset1:79
	;; [unrolled: 2-line block ×12, first 2 shown]
	ds_write2_b64 v202, v[12:13], v[14:15] offset0:100 offset1:101
	ds_write2_b64 v202, v[8:9], v[10:11] offset0:102 offset1:103
	ds_write2_b64 v202, v[4:5], v[6:7] offset0:104 offset1:105
	s_waitcnt vmcnt(35)
	ds_write2_b64 v202, v[0:1], v[2:3] offset0:106 offset1:107
	s_waitcnt vmcnt(32)
	ds_write2_b64 v202, v[216:217], v[218:219] offset0:108 offset1:109
	ds_read2_b64 v[208:211], v201 offset1:1
	s_waitcnt lgkmcnt(0)
	v_cmp_neq_f64_e32 vcc, 0, v[208:209]
	v_cmp_neq_f64_e64 s[2:3], 0, v[210:211]
	s_or_b64 s[2:3], vcc, s[2:3]
	s_and_b64 exec, exec, s[2:3]
	s_cbranch_execz .LBB109_161
; %bb.156:
	v_cmp_ngt_f64_e64 s[2:3], |v[208:209]|, |v[210:211]|
                                        ; implicit-def: $vgpr204_vgpr205
	s_and_saveexec_b64 s[10:11], s[2:3]
	s_xor_b64 s[2:3], exec, s[10:11]
                                        ; implicit-def: $vgpr206_vgpr207
	s_cbranch_execz .LBB109_158
; %bb.157:
	v_div_scale_f64 v[204:205], s[10:11], v[210:211], v[210:211], v[208:209]
	v_rcp_f64_e32 v[206:207], v[204:205]
	v_div_scale_f64 v[212:213], vcc, v[208:209], v[210:211], v[208:209]
	v_fma_f64 v[214:215], -v[204:205], v[206:207], 1.0
	v_fmac_f64_e32 v[206:207], v[206:207], v[214:215]
	v_fma_f64 v[214:215], -v[204:205], v[206:207], 1.0
	v_fmac_f64_e32 v[206:207], v[206:207], v[214:215]
	v_mul_f64 v[214:215], v[212:213], v[206:207]
	v_fma_f64 v[204:205], -v[204:205], v[214:215], v[212:213]
	v_div_fmas_f64 v[204:205], v[204:205], v[206:207], v[214:215]
	v_div_fixup_f64 v[204:205], v[204:205], v[210:211], v[208:209]
	v_fmac_f64_e32 v[210:211], v[208:209], v[204:205]
	v_div_scale_f64 v[206:207], s[10:11], v[210:211], v[210:211], 1.0
	v_rcp_f64_e32 v[208:209], v[206:207]
	s_nop 0
	v_fma_f64 v[212:213], -v[206:207], v[208:209], 1.0
	v_fmac_f64_e32 v[208:209], v[208:209], v[212:213]
	v_fma_f64 v[212:213], -v[206:207], v[208:209], 1.0
	v_fmac_f64_e32 v[208:209], v[208:209], v[212:213]
	v_div_scale_f64 v[212:213], vcc, 1.0, v[210:211], 1.0
	v_mul_f64 v[214:215], v[212:213], v[208:209]
	v_fma_f64 v[206:207], -v[206:207], v[214:215], v[212:213]
	s_nop 1
	v_div_fmas_f64 v[206:207], v[206:207], v[208:209], v[214:215]
	v_div_fixup_f64 v[206:207], v[206:207], v[210:211], 1.0
	v_mul_f64 v[204:205], v[204:205], v[206:207]
	v_xor_b32_e32 v207, 0x80000000, v207
                                        ; implicit-def: $vgpr208_vgpr209
.LBB109_158:
	s_andn2_saveexec_b64 s[2:3], s[2:3]
	s_cbranch_execz .LBB109_160
; %bb.159:
	v_div_scale_f64 v[204:205], s[10:11], v[208:209], v[208:209], v[210:211]
	v_rcp_f64_e32 v[206:207], v[204:205]
	v_div_scale_f64 v[212:213], vcc, v[210:211], v[208:209], v[210:211]
	v_fma_f64 v[214:215], -v[204:205], v[206:207], 1.0
	v_fmac_f64_e32 v[206:207], v[206:207], v[214:215]
	v_fma_f64 v[214:215], -v[204:205], v[206:207], 1.0
	v_fmac_f64_e32 v[206:207], v[206:207], v[214:215]
	v_mul_f64 v[214:215], v[212:213], v[206:207]
	v_fma_f64 v[204:205], -v[204:205], v[214:215], v[212:213]
	v_div_fmas_f64 v[204:205], v[204:205], v[206:207], v[214:215]
	v_div_fixup_f64 v[206:207], v[204:205], v[208:209], v[210:211]
	v_fmac_f64_e32 v[208:209], v[210:211], v[206:207]
	v_div_scale_f64 v[204:205], s[10:11], v[208:209], v[208:209], 1.0
	v_rcp_f64_e32 v[210:211], v[204:205]
	s_nop 0
	v_fma_f64 v[212:213], -v[204:205], v[210:211], 1.0
	v_fmac_f64_e32 v[210:211], v[210:211], v[212:213]
	v_fma_f64 v[212:213], -v[204:205], v[210:211], 1.0
	v_fmac_f64_e32 v[210:211], v[210:211], v[212:213]
	v_div_scale_f64 v[212:213], vcc, 1.0, v[208:209], 1.0
	v_mul_f64 v[214:215], v[212:213], v[210:211]
	v_fma_f64 v[204:205], -v[204:205], v[214:215], v[212:213]
	s_nop 1
	v_div_fmas_f64 v[204:205], v[204:205], v[210:211], v[214:215]
	v_div_fixup_f64 v[204:205], v[204:205], v[208:209], 1.0
	v_mul_f64 v[206:207], v[206:207], -v[204:205]
.LBB109_160:
	s_or_b64 exec, exec, s[2:3]
	ds_write2_b64 v201, v[204:205], v[206:207] offset1:1
.LBB109_161:
	s_or_b64 exec, exec, s[4:5]
	s_waitcnt lgkmcnt(0)
	s_barrier
	ds_read2_b64 v[192:195], v201 offset1:1
	v_cmp_lt_u32_e32 vcc, 17, v200
	s_waitcnt lgkmcnt(0)
	scratch_store_dwordx4 off, v[192:195], off offset:792 ; 16-byte Folded Spill
	s_and_saveexec_b64 s[2:3], vcc
	s_cbranch_execz .LBB109_163
; %bb.162:
	scratch_load_dwordx4 v[192:195], off, off offset:792 ; 16-byte Folded Reload
	s_waitcnt vmcnt(0)
	v_mul_f64 v[204:205], v[194:195], v[146:147]
	v_fma_f64 v[208:209], v[192:193], v[144:145], -v[204:205]
	ds_read2_b64 v[204:207], v202 offset0:36 offset1:37
	v_mul_f64 v[146:147], v[192:193], v[146:147]
	v_fmac_f64_e32 v[146:147], v[194:195], v[144:145]
	s_waitcnt lgkmcnt(0)
	v_mul_f64 v[144:145], v[206:207], v[146:147]
	v_fma_f64 v[144:145], v[204:205], v[208:209], -v[144:145]
	v_mul_f64 v[204:205], v[204:205], v[146:147]
	v_fmac_f64_e32 v[204:205], v[206:207], v[208:209]
	v_add_f64 v[142:143], v[142:143], -v[204:205]
	ds_read2_b64 v[204:207], v202 offset0:38 offset1:39
	v_add_f64 v[140:141], v[140:141], -v[144:145]
	s_waitcnt lgkmcnt(0)
	v_mul_f64 v[144:145], v[206:207], v[146:147]
	v_fma_f64 v[144:145], v[204:205], v[208:209], -v[144:145]
	v_mul_f64 v[204:205], v[204:205], v[146:147]
	v_fmac_f64_e32 v[204:205], v[206:207], v[208:209]
	v_add_f64 v[138:139], v[138:139], -v[204:205]
	ds_read2_b64 v[204:207], v202 offset0:40 offset1:41
	v_add_f64 v[136:137], v[136:137], -v[144:145]
	s_waitcnt lgkmcnt(0)
	v_mul_f64 v[144:145], v[206:207], v[146:147]
	v_fma_f64 v[144:145], v[204:205], v[208:209], -v[144:145]
	v_mul_f64 v[204:205], v[204:205], v[146:147]
	v_fmac_f64_e32 v[204:205], v[206:207], v[208:209]
	v_add_f64 v[134:135], v[134:135], -v[204:205]
	ds_read2_b64 v[204:207], v202 offset0:42 offset1:43
	v_add_f64 v[132:133], v[132:133], -v[144:145]
	s_waitcnt lgkmcnt(0)
	v_mul_f64 v[144:145], v[206:207], v[146:147]
	v_fma_f64 v[144:145], v[204:205], v[208:209], -v[144:145]
	v_mul_f64 v[204:205], v[204:205], v[146:147]
	v_fmac_f64_e32 v[204:205], v[206:207], v[208:209]
	v_add_f64 v[130:131], v[130:131], -v[204:205]
	ds_read2_b64 v[204:207], v202 offset0:44 offset1:45
	v_add_f64 v[128:129], v[128:129], -v[144:145]
	s_waitcnt lgkmcnt(0)
	v_mul_f64 v[144:145], v[206:207], v[146:147]
	v_fma_f64 v[144:145], v[204:205], v[208:209], -v[144:145]
	v_mul_f64 v[204:205], v[204:205], v[146:147]
	v_fmac_f64_e32 v[204:205], v[206:207], v[208:209]
	v_add_f64 v[126:127], v[126:127], -v[204:205]
	ds_read2_b64 v[204:207], v202 offset0:46 offset1:47
	v_add_f64 v[124:125], v[124:125], -v[144:145]
	s_waitcnt lgkmcnt(0)
	v_mul_f64 v[144:145], v[206:207], v[146:147]
	v_fma_f64 v[144:145], v[204:205], v[208:209], -v[144:145]
	v_mul_f64 v[204:205], v[204:205], v[146:147]
	v_fmac_f64_e32 v[204:205], v[206:207], v[208:209]
	v_add_f64 v[122:123], v[122:123], -v[204:205]
	ds_read2_b64 v[204:207], v202 offset0:48 offset1:49
	v_add_f64 v[120:121], v[120:121], -v[144:145]
	s_waitcnt lgkmcnt(0)
	v_mul_f64 v[144:145], v[206:207], v[146:147]
	v_fma_f64 v[144:145], v[204:205], v[208:209], -v[144:145]
	v_mul_f64 v[204:205], v[204:205], v[146:147]
	v_fmac_f64_e32 v[204:205], v[206:207], v[208:209]
	v_add_f64 v[118:119], v[118:119], -v[204:205]
	ds_read2_b64 v[204:207], v202 offset0:50 offset1:51
	v_add_f64 v[116:117], v[116:117], -v[144:145]
	s_waitcnt lgkmcnt(0)
	v_mul_f64 v[144:145], v[206:207], v[146:147]
	v_fma_f64 v[144:145], v[204:205], v[208:209], -v[144:145]
	v_mul_f64 v[204:205], v[204:205], v[146:147]
	v_fmac_f64_e32 v[204:205], v[206:207], v[208:209]
	v_add_f64 v[114:115], v[114:115], -v[204:205]
	ds_read2_b64 v[204:207], v202 offset0:52 offset1:53
	v_add_f64 v[112:113], v[112:113], -v[144:145]
	s_waitcnt lgkmcnt(0)
	v_mul_f64 v[144:145], v[206:207], v[146:147]
	v_fma_f64 v[144:145], v[204:205], v[208:209], -v[144:145]
	v_mul_f64 v[204:205], v[204:205], v[146:147]
	v_fmac_f64_e32 v[204:205], v[206:207], v[208:209]
	v_add_f64 v[110:111], v[110:111], -v[204:205]
	ds_read2_b64 v[204:207], v202 offset0:54 offset1:55
	v_add_f64 v[108:109], v[108:109], -v[144:145]
	s_waitcnt lgkmcnt(0)
	v_mul_f64 v[144:145], v[206:207], v[146:147]
	v_fma_f64 v[144:145], v[204:205], v[208:209], -v[144:145]
	v_mul_f64 v[204:205], v[204:205], v[146:147]
	v_fmac_f64_e32 v[204:205], v[206:207], v[208:209]
	v_add_f64 v[106:107], v[106:107], -v[204:205]
	ds_read2_b64 v[204:207], v202 offset0:56 offset1:57
	v_add_f64 v[104:105], v[104:105], -v[144:145]
	s_waitcnt lgkmcnt(0)
	v_mul_f64 v[144:145], v[206:207], v[146:147]
	v_fma_f64 v[144:145], v[204:205], v[208:209], -v[144:145]
	v_mul_f64 v[204:205], v[204:205], v[146:147]
	v_fmac_f64_e32 v[204:205], v[206:207], v[208:209]
	v_add_f64 v[102:103], v[102:103], -v[204:205]
	ds_read2_b64 v[204:207], v202 offset0:58 offset1:59
	v_add_f64 v[100:101], v[100:101], -v[144:145]
	s_waitcnt lgkmcnt(0)
	v_mul_f64 v[144:145], v[206:207], v[146:147]
	v_fma_f64 v[144:145], v[204:205], v[208:209], -v[144:145]
	v_mul_f64 v[204:205], v[204:205], v[146:147]
	v_fmac_f64_e32 v[204:205], v[206:207], v[208:209]
	v_add_f64 v[98:99], v[98:99], -v[204:205]
	ds_read2_b64 v[204:207], v202 offset0:60 offset1:61
	v_add_f64 v[96:97], v[96:97], -v[144:145]
	s_waitcnt lgkmcnt(0)
	v_mul_f64 v[144:145], v[206:207], v[146:147]
	v_fma_f64 v[144:145], v[204:205], v[208:209], -v[144:145]
	v_mul_f64 v[204:205], v[204:205], v[146:147]
	v_fmac_f64_e32 v[204:205], v[206:207], v[208:209]
	v_add_f64 v[94:95], v[94:95], -v[204:205]
	ds_read2_b64 v[204:207], v202 offset0:62 offset1:63
	v_add_f64 v[92:93], v[92:93], -v[144:145]
	s_waitcnt lgkmcnt(0)
	v_mul_f64 v[144:145], v[206:207], v[146:147]
	v_fma_f64 v[144:145], v[204:205], v[208:209], -v[144:145]
	v_mul_f64 v[204:205], v[204:205], v[146:147]
	v_fmac_f64_e32 v[204:205], v[206:207], v[208:209]
	v_add_f64 v[90:91], v[90:91], -v[204:205]
	ds_read2_b64 v[204:207], v202 offset0:64 offset1:65
	v_add_f64 v[88:89], v[88:89], -v[144:145]
	s_waitcnt lgkmcnt(0)
	v_mul_f64 v[144:145], v[206:207], v[146:147]
	v_fma_f64 v[144:145], v[204:205], v[208:209], -v[144:145]
	v_mul_f64 v[204:205], v[204:205], v[146:147]
	v_fmac_f64_e32 v[204:205], v[206:207], v[208:209]
	v_add_f64 v[86:87], v[86:87], -v[204:205]
	ds_read2_b64 v[204:207], v202 offset0:66 offset1:67
	v_add_f64 v[84:85], v[84:85], -v[144:145]
	s_waitcnt lgkmcnt(0)
	v_mul_f64 v[144:145], v[206:207], v[146:147]
	v_fma_f64 v[144:145], v[204:205], v[208:209], -v[144:145]
	v_mul_f64 v[204:205], v[204:205], v[146:147]
	v_fmac_f64_e32 v[204:205], v[206:207], v[208:209]
	v_add_f64 v[82:83], v[82:83], -v[204:205]
	ds_read2_b64 v[204:207], v202 offset0:68 offset1:69
	v_add_f64 v[80:81], v[80:81], -v[144:145]
	s_waitcnt lgkmcnt(0)
	v_mul_f64 v[144:145], v[206:207], v[146:147]
	v_fma_f64 v[144:145], v[204:205], v[208:209], -v[144:145]
	v_mul_f64 v[204:205], v[204:205], v[146:147]
	v_fmac_f64_e32 v[204:205], v[206:207], v[208:209]
	v_add_f64 v[78:79], v[78:79], -v[204:205]
	ds_read2_b64 v[204:207], v202 offset0:70 offset1:71
	v_add_f64 v[76:77], v[76:77], -v[144:145]
	s_waitcnt lgkmcnt(0)
	v_mul_f64 v[144:145], v[206:207], v[146:147]
	v_fma_f64 v[144:145], v[204:205], v[208:209], -v[144:145]
	v_mul_f64 v[204:205], v[204:205], v[146:147]
	v_fmac_f64_e32 v[204:205], v[206:207], v[208:209]
	v_add_f64 v[74:75], v[74:75], -v[204:205]
	ds_read2_b64 v[204:207], v202 offset0:72 offset1:73
	v_add_f64 v[72:73], v[72:73], -v[144:145]
	s_waitcnt lgkmcnt(0)
	v_mul_f64 v[144:145], v[206:207], v[146:147]
	v_fma_f64 v[144:145], v[204:205], v[208:209], -v[144:145]
	v_mul_f64 v[204:205], v[204:205], v[146:147]
	v_fmac_f64_e32 v[204:205], v[206:207], v[208:209]
	v_add_f64 v[70:71], v[70:71], -v[204:205]
	ds_read2_b64 v[204:207], v202 offset0:74 offset1:75
	v_add_f64 v[68:69], v[68:69], -v[144:145]
	s_waitcnt lgkmcnt(0)
	v_mul_f64 v[144:145], v[206:207], v[146:147]
	v_fma_f64 v[144:145], v[204:205], v[208:209], -v[144:145]
	v_mul_f64 v[204:205], v[204:205], v[146:147]
	v_fmac_f64_e32 v[204:205], v[206:207], v[208:209]
	v_add_f64 v[66:67], v[66:67], -v[204:205]
	ds_read2_b64 v[204:207], v202 offset0:76 offset1:77
	v_add_f64 v[64:65], v[64:65], -v[144:145]
	s_waitcnt lgkmcnt(0)
	v_mul_f64 v[144:145], v[206:207], v[146:147]
	v_fma_f64 v[144:145], v[204:205], v[208:209], -v[144:145]
	v_mul_f64 v[204:205], v[204:205], v[146:147]
	v_fmac_f64_e32 v[204:205], v[206:207], v[208:209]
	v_add_f64 v[62:63], v[62:63], -v[204:205]
	ds_read2_b64 v[204:207], v202 offset0:78 offset1:79
	v_add_f64 v[60:61], v[60:61], -v[144:145]
	s_waitcnt lgkmcnt(0)
	v_mul_f64 v[144:145], v[206:207], v[146:147]
	v_fma_f64 v[144:145], v[204:205], v[208:209], -v[144:145]
	v_mul_f64 v[204:205], v[204:205], v[146:147]
	v_fmac_f64_e32 v[204:205], v[206:207], v[208:209]
	v_add_f64 v[58:59], v[58:59], -v[204:205]
	ds_read2_b64 v[204:207], v202 offset0:80 offset1:81
	v_add_f64 v[56:57], v[56:57], -v[144:145]
	s_waitcnt lgkmcnt(0)
	v_mul_f64 v[144:145], v[206:207], v[146:147]
	v_fma_f64 v[144:145], v[204:205], v[208:209], -v[144:145]
	v_mul_f64 v[204:205], v[204:205], v[146:147]
	v_fmac_f64_e32 v[204:205], v[206:207], v[208:209]
	v_add_f64 v[54:55], v[54:55], -v[204:205]
	ds_read2_b64 v[204:207], v202 offset0:82 offset1:83
	v_add_f64 v[52:53], v[52:53], -v[144:145]
	s_waitcnt lgkmcnt(0)
	v_mul_f64 v[144:145], v[206:207], v[146:147]
	v_fma_f64 v[144:145], v[204:205], v[208:209], -v[144:145]
	v_mul_f64 v[204:205], v[204:205], v[146:147]
	v_fmac_f64_e32 v[204:205], v[206:207], v[208:209]
	v_add_f64 v[50:51], v[50:51], -v[204:205]
	ds_read2_b64 v[204:207], v202 offset0:84 offset1:85
	v_add_f64 v[48:49], v[48:49], -v[144:145]
	s_waitcnt lgkmcnt(0)
	v_mul_f64 v[144:145], v[206:207], v[146:147]
	v_fma_f64 v[144:145], v[204:205], v[208:209], -v[144:145]
	v_mul_f64 v[204:205], v[204:205], v[146:147]
	v_fmac_f64_e32 v[204:205], v[206:207], v[208:209]
	v_add_f64 v[46:47], v[46:47], -v[204:205]
	ds_read2_b64 v[204:207], v202 offset0:86 offset1:87
	v_add_f64 v[44:45], v[44:45], -v[144:145]
	s_waitcnt lgkmcnt(0)
	v_mul_f64 v[144:145], v[206:207], v[146:147]
	v_fma_f64 v[144:145], v[204:205], v[208:209], -v[144:145]
	v_mul_f64 v[204:205], v[204:205], v[146:147]
	v_fmac_f64_e32 v[204:205], v[206:207], v[208:209]
	v_add_f64 v[42:43], v[42:43], -v[204:205]
	ds_read2_b64 v[204:207], v202 offset0:88 offset1:89
	v_add_f64 v[40:41], v[40:41], -v[144:145]
	s_waitcnt lgkmcnt(0)
	v_mul_f64 v[144:145], v[206:207], v[146:147]
	v_fma_f64 v[144:145], v[204:205], v[208:209], -v[144:145]
	v_mul_f64 v[204:205], v[204:205], v[146:147]
	v_fmac_f64_e32 v[204:205], v[206:207], v[208:209]
	v_add_f64 v[38:39], v[38:39], -v[204:205]
	ds_read2_b64 v[204:207], v202 offset0:90 offset1:91
	v_add_f64 v[36:37], v[36:37], -v[144:145]
	s_waitcnt lgkmcnt(0)
	v_mul_f64 v[144:145], v[206:207], v[146:147]
	v_fma_f64 v[144:145], v[204:205], v[208:209], -v[144:145]
	v_mul_f64 v[204:205], v[204:205], v[146:147]
	v_fmac_f64_e32 v[204:205], v[206:207], v[208:209]
	v_add_f64 v[34:35], v[34:35], -v[204:205]
	ds_read2_b64 v[204:207], v202 offset0:92 offset1:93
	v_add_f64 v[32:33], v[32:33], -v[144:145]
	s_waitcnt lgkmcnt(0)
	v_mul_f64 v[144:145], v[206:207], v[146:147]
	v_fma_f64 v[144:145], v[204:205], v[208:209], -v[144:145]
	v_mul_f64 v[204:205], v[204:205], v[146:147]
	v_fmac_f64_e32 v[204:205], v[206:207], v[208:209]
	v_add_f64 v[30:31], v[30:31], -v[204:205]
	ds_read2_b64 v[204:207], v202 offset0:94 offset1:95
	v_add_f64 v[28:29], v[28:29], -v[144:145]
	s_waitcnt lgkmcnt(0)
	v_mul_f64 v[144:145], v[206:207], v[146:147]
	v_fma_f64 v[144:145], v[204:205], v[208:209], -v[144:145]
	v_mul_f64 v[204:205], v[204:205], v[146:147]
	v_fmac_f64_e32 v[204:205], v[206:207], v[208:209]
	v_add_f64 v[26:27], v[26:27], -v[204:205]
	ds_read2_b64 v[204:207], v202 offset0:96 offset1:97
	v_add_f64 v[24:25], v[24:25], -v[144:145]
	s_waitcnt lgkmcnt(0)
	v_mul_f64 v[144:145], v[206:207], v[146:147]
	v_fma_f64 v[144:145], v[204:205], v[208:209], -v[144:145]
	v_mul_f64 v[204:205], v[204:205], v[146:147]
	v_fmac_f64_e32 v[204:205], v[206:207], v[208:209]
	v_add_f64 v[22:23], v[22:23], -v[204:205]
	ds_read2_b64 v[204:207], v202 offset0:98 offset1:99
	v_add_f64 v[20:21], v[20:21], -v[144:145]
	s_waitcnt lgkmcnt(0)
	v_mul_f64 v[144:145], v[206:207], v[146:147]
	v_fma_f64 v[144:145], v[204:205], v[208:209], -v[144:145]
	v_mul_f64 v[204:205], v[204:205], v[146:147]
	v_fmac_f64_e32 v[204:205], v[206:207], v[208:209]
	v_add_f64 v[18:19], v[18:19], -v[204:205]
	ds_read2_b64 v[204:207], v202 offset0:100 offset1:101
	v_add_f64 v[16:17], v[16:17], -v[144:145]
	s_waitcnt lgkmcnt(0)
	v_mul_f64 v[144:145], v[206:207], v[146:147]
	v_fma_f64 v[144:145], v[204:205], v[208:209], -v[144:145]
	v_mul_f64 v[204:205], v[204:205], v[146:147]
	v_fmac_f64_e32 v[204:205], v[206:207], v[208:209]
	v_add_f64 v[14:15], v[14:15], -v[204:205]
	ds_read2_b64 v[204:207], v202 offset0:102 offset1:103
	v_add_f64 v[12:13], v[12:13], -v[144:145]
	s_waitcnt lgkmcnt(0)
	v_mul_f64 v[144:145], v[206:207], v[146:147]
	v_fma_f64 v[144:145], v[204:205], v[208:209], -v[144:145]
	v_mul_f64 v[204:205], v[204:205], v[146:147]
	v_fmac_f64_e32 v[204:205], v[206:207], v[208:209]
	v_add_f64 v[10:11], v[10:11], -v[204:205]
	ds_read2_b64 v[204:207], v202 offset0:104 offset1:105
	v_add_f64 v[8:9], v[8:9], -v[144:145]
	s_waitcnt lgkmcnt(0)
	v_mul_f64 v[144:145], v[206:207], v[146:147]
	v_fma_f64 v[144:145], v[204:205], v[208:209], -v[144:145]
	v_mul_f64 v[204:205], v[204:205], v[146:147]
	v_fmac_f64_e32 v[204:205], v[206:207], v[208:209]
	v_add_f64 v[6:7], v[6:7], -v[204:205]
	ds_read2_b64 v[204:207], v202 offset0:106 offset1:107
	v_add_f64 v[4:5], v[4:5], -v[144:145]
	s_waitcnt lgkmcnt(0)
	v_mul_f64 v[144:145], v[206:207], v[146:147]
	v_fma_f64 v[144:145], v[204:205], v[208:209], -v[144:145]
	v_mul_f64 v[204:205], v[204:205], v[146:147]
	v_fmac_f64_e32 v[204:205], v[206:207], v[208:209]
	v_add_f64 v[2:3], v[2:3], -v[204:205]
	ds_read2_b64 v[204:207], v202 offset0:108 offset1:109
	v_add_f64 v[0:1], v[0:1], -v[144:145]
	s_waitcnt lgkmcnt(0)
	v_mul_f64 v[144:145], v[206:207], v[146:147]
	v_fma_f64 v[144:145], v[204:205], v[208:209], -v[144:145]
	v_mul_f64 v[204:205], v[204:205], v[146:147]
	v_fmac_f64_e32 v[204:205], v[206:207], v[208:209]
	v_add_f64 v[216:217], v[216:217], -v[144:145]
	v_add_f64 v[218:219], v[218:219], -v[204:205]
	v_mov_b64_e32 v[144:145], v[208:209]
.LBB109_163:
	s_or_b64 exec, exec, s[2:3]
	v_cmp_eq_u32_e32 vcc, 18, v200
	s_waitcnt vmcnt(63) expcnt(7) lgkmcnt(15)
	s_barrier
	s_and_saveexec_b64 s[4:5], vcc
	s_cbranch_execz .LBB109_170
; %bb.164:
	ds_write2_b64 v201, v[140:141], v[142:143] offset1:1
	ds_write2_b64 v202, v[136:137], v[138:139] offset0:38 offset1:39
	ds_write2_b64 v202, v[132:133], v[134:135] offset0:40 offset1:41
	;; [unrolled: 1-line block ×19, first 2 shown]
	s_waitcnt vmcnt(48)
	ds_write2_b64 v202, v[60:61], v[62:63] offset0:76 offset1:77
	s_waitcnt vmcnt(47)
	ds_write2_b64 v202, v[56:57], v[58:59] offset0:78 offset1:79
	;; [unrolled: 2-line block ×12, first 2 shown]
	ds_write2_b64 v202, v[12:13], v[14:15] offset0:100 offset1:101
	ds_write2_b64 v202, v[8:9], v[10:11] offset0:102 offset1:103
	;; [unrolled: 1-line block ×3, first 2 shown]
	s_waitcnt vmcnt(36)
	ds_write2_b64 v202, v[0:1], v[2:3] offset0:106 offset1:107
	s_waitcnt vmcnt(33)
	ds_write2_b64 v202, v[216:217], v[218:219] offset0:108 offset1:109
	ds_read2_b64 v[208:211], v201 offset1:1
	s_waitcnt lgkmcnt(0)
	v_cmp_neq_f64_e32 vcc, 0, v[208:209]
	v_cmp_neq_f64_e64 s[2:3], 0, v[210:211]
	s_or_b64 s[2:3], vcc, s[2:3]
	s_and_b64 exec, exec, s[2:3]
	s_cbranch_execz .LBB109_170
; %bb.165:
	v_cmp_ngt_f64_e64 s[2:3], |v[208:209]|, |v[210:211]|
                                        ; implicit-def: $vgpr204_vgpr205
	s_and_saveexec_b64 s[10:11], s[2:3]
	s_xor_b64 s[2:3], exec, s[10:11]
                                        ; implicit-def: $vgpr206_vgpr207
	s_cbranch_execz .LBB109_167
; %bb.166:
	v_div_scale_f64 v[204:205], s[10:11], v[210:211], v[210:211], v[208:209]
	v_rcp_f64_e32 v[206:207], v[204:205]
	v_div_scale_f64 v[212:213], vcc, v[208:209], v[210:211], v[208:209]
	v_fma_f64 v[214:215], -v[204:205], v[206:207], 1.0
	v_fmac_f64_e32 v[206:207], v[206:207], v[214:215]
	v_fma_f64 v[214:215], -v[204:205], v[206:207], 1.0
	v_fmac_f64_e32 v[206:207], v[206:207], v[214:215]
	v_mul_f64 v[214:215], v[212:213], v[206:207]
	v_fma_f64 v[204:205], -v[204:205], v[214:215], v[212:213]
	v_div_fmas_f64 v[204:205], v[204:205], v[206:207], v[214:215]
	v_div_fixup_f64 v[204:205], v[204:205], v[210:211], v[208:209]
	v_fmac_f64_e32 v[210:211], v[208:209], v[204:205]
	v_div_scale_f64 v[206:207], s[10:11], v[210:211], v[210:211], 1.0
	v_rcp_f64_e32 v[208:209], v[206:207]
	s_nop 0
	v_fma_f64 v[212:213], -v[206:207], v[208:209], 1.0
	v_fmac_f64_e32 v[208:209], v[208:209], v[212:213]
	v_fma_f64 v[212:213], -v[206:207], v[208:209], 1.0
	v_fmac_f64_e32 v[208:209], v[208:209], v[212:213]
	v_div_scale_f64 v[212:213], vcc, 1.0, v[210:211], 1.0
	v_mul_f64 v[214:215], v[212:213], v[208:209]
	v_fma_f64 v[206:207], -v[206:207], v[214:215], v[212:213]
	s_nop 1
	v_div_fmas_f64 v[206:207], v[206:207], v[208:209], v[214:215]
	v_div_fixup_f64 v[206:207], v[206:207], v[210:211], 1.0
	v_mul_f64 v[204:205], v[204:205], v[206:207]
	v_xor_b32_e32 v207, 0x80000000, v207
                                        ; implicit-def: $vgpr208_vgpr209
.LBB109_167:
	s_andn2_saveexec_b64 s[2:3], s[2:3]
	s_cbranch_execz .LBB109_169
; %bb.168:
	v_div_scale_f64 v[204:205], s[10:11], v[208:209], v[208:209], v[210:211]
	v_rcp_f64_e32 v[206:207], v[204:205]
	v_div_scale_f64 v[212:213], vcc, v[210:211], v[208:209], v[210:211]
	v_fma_f64 v[214:215], -v[204:205], v[206:207], 1.0
	v_fmac_f64_e32 v[206:207], v[206:207], v[214:215]
	v_fma_f64 v[214:215], -v[204:205], v[206:207], 1.0
	v_fmac_f64_e32 v[206:207], v[206:207], v[214:215]
	v_mul_f64 v[214:215], v[212:213], v[206:207]
	v_fma_f64 v[204:205], -v[204:205], v[214:215], v[212:213]
	v_div_fmas_f64 v[204:205], v[204:205], v[206:207], v[214:215]
	v_div_fixup_f64 v[206:207], v[204:205], v[208:209], v[210:211]
	v_fmac_f64_e32 v[208:209], v[210:211], v[206:207]
	v_div_scale_f64 v[204:205], s[10:11], v[208:209], v[208:209], 1.0
	v_rcp_f64_e32 v[210:211], v[204:205]
	s_nop 0
	v_fma_f64 v[212:213], -v[204:205], v[210:211], 1.0
	v_fmac_f64_e32 v[210:211], v[210:211], v[212:213]
	v_fma_f64 v[212:213], -v[204:205], v[210:211], 1.0
	v_fmac_f64_e32 v[210:211], v[210:211], v[212:213]
	v_div_scale_f64 v[212:213], vcc, 1.0, v[208:209], 1.0
	v_mul_f64 v[214:215], v[212:213], v[210:211]
	v_fma_f64 v[204:205], -v[204:205], v[214:215], v[212:213]
	s_nop 1
	v_div_fmas_f64 v[204:205], v[204:205], v[210:211], v[214:215]
	v_div_fixup_f64 v[204:205], v[204:205], v[208:209], 1.0
	v_mul_f64 v[206:207], v[206:207], -v[204:205]
.LBB109_169:
	s_or_b64 exec, exec, s[2:3]
	ds_write2_b64 v201, v[204:205], v[206:207] offset1:1
.LBB109_170:
	s_or_b64 exec, exec, s[4:5]
	s_waitcnt lgkmcnt(0)
	s_barrier
	ds_read2_b64 v[192:195], v201 offset1:1
	v_cmp_lt_u32_e32 vcc, 18, v200
	s_waitcnt lgkmcnt(0)
	scratch_store_dwordx4 off, v[192:195], off offset:808 ; 16-byte Folded Spill
	s_and_saveexec_b64 s[2:3], vcc
	s_cbranch_execz .LBB109_172
; %bb.171:
	scratch_load_dwordx4 v[192:195], off, off offset:808 ; 16-byte Folded Reload
	s_waitcnt vmcnt(0)
	v_mul_f64 v[204:205], v[194:195], v[142:143]
	v_fma_f64 v[208:209], v[192:193], v[140:141], -v[204:205]
	ds_read2_b64 v[204:207], v202 offset0:38 offset1:39
	v_mul_f64 v[142:143], v[192:193], v[142:143]
	v_fmac_f64_e32 v[142:143], v[194:195], v[140:141]
	s_waitcnt lgkmcnt(0)
	v_mul_f64 v[140:141], v[206:207], v[142:143]
	v_fma_f64 v[140:141], v[204:205], v[208:209], -v[140:141]
	v_mul_f64 v[204:205], v[204:205], v[142:143]
	v_fmac_f64_e32 v[204:205], v[206:207], v[208:209]
	v_add_f64 v[138:139], v[138:139], -v[204:205]
	ds_read2_b64 v[204:207], v202 offset0:40 offset1:41
	v_add_f64 v[136:137], v[136:137], -v[140:141]
	s_waitcnt lgkmcnt(0)
	v_mul_f64 v[140:141], v[206:207], v[142:143]
	v_fma_f64 v[140:141], v[204:205], v[208:209], -v[140:141]
	v_mul_f64 v[204:205], v[204:205], v[142:143]
	v_fmac_f64_e32 v[204:205], v[206:207], v[208:209]
	v_add_f64 v[134:135], v[134:135], -v[204:205]
	ds_read2_b64 v[204:207], v202 offset0:42 offset1:43
	v_add_f64 v[132:133], v[132:133], -v[140:141]
	;; [unrolled: 8-line block ×35, first 2 shown]
	s_waitcnt lgkmcnt(0)
	v_mul_f64 v[140:141], v[206:207], v[142:143]
	v_fma_f64 v[140:141], v[204:205], v[208:209], -v[140:141]
	v_mul_f64 v[204:205], v[204:205], v[142:143]
	v_fmac_f64_e32 v[204:205], v[206:207], v[208:209]
	v_add_f64 v[216:217], v[216:217], -v[140:141]
	v_add_f64 v[218:219], v[218:219], -v[204:205]
	v_mov_b64_e32 v[140:141], v[208:209]
.LBB109_172:
	s_or_b64 exec, exec, s[2:3]
	v_cmp_eq_u32_e32 vcc, 19, v200
	s_waitcnt vmcnt(63) expcnt(7) lgkmcnt(15)
	s_barrier
	s_and_saveexec_b64 s[4:5], vcc
	s_cbranch_execz .LBB109_179
; %bb.173:
	ds_write2_b64 v201, v[136:137], v[138:139] offset1:1
	ds_write2_b64 v202, v[132:133], v[134:135] offset0:40 offset1:41
	ds_write2_b64 v202, v[128:129], v[130:131] offset0:42 offset1:43
	;; [unrolled: 1-line block ×18, first 2 shown]
	s_waitcnt vmcnt(49)
	ds_write2_b64 v202, v[60:61], v[62:63] offset0:76 offset1:77
	s_waitcnt vmcnt(48)
	ds_write2_b64 v202, v[56:57], v[58:59] offset0:78 offset1:79
	s_waitcnt vmcnt(47)
	ds_write2_b64 v202, v[52:53], v[54:55] offset0:80 offset1:81
	s_waitcnt vmcnt(46)
	ds_write2_b64 v202, v[48:49], v[50:51] offset0:82 offset1:83
	s_waitcnt vmcnt(45)
	ds_write2_b64 v202, v[44:45], v[46:47] offset0:84 offset1:85
	s_waitcnt vmcnt(44)
	ds_write2_b64 v202, v[40:41], v[42:43] offset0:86 offset1:87
	s_waitcnt vmcnt(43)
	ds_write2_b64 v202, v[36:37], v[38:39] offset0:88 offset1:89
	s_waitcnt vmcnt(42)
	ds_write2_b64 v202, v[32:33], v[34:35] offset0:90 offset1:91
	s_waitcnt vmcnt(41)
	ds_write2_b64 v202, v[28:29], v[30:31] offset0:92 offset1:93
	s_waitcnt vmcnt(40)
	ds_write2_b64 v202, v[24:25], v[26:27] offset0:94 offset1:95
	s_waitcnt vmcnt(39)
	ds_write2_b64 v202, v[20:21], v[22:23] offset0:96 offset1:97
	s_waitcnt vmcnt(38)
	ds_write2_b64 v202, v[16:17], v[18:19] offset0:98 offset1:99
	ds_write2_b64 v202, v[12:13], v[14:15] offset0:100 offset1:101
	ds_write2_b64 v202, v[8:9], v[10:11] offset0:102 offset1:103
	;; [unrolled: 1-line block ×3, first 2 shown]
	s_waitcnt vmcnt(37)
	ds_write2_b64 v202, v[0:1], v[2:3] offset0:106 offset1:107
	s_waitcnt vmcnt(34)
	ds_write2_b64 v202, v[216:217], v[218:219] offset0:108 offset1:109
	ds_read2_b64 v[208:211], v201 offset1:1
	s_waitcnt lgkmcnt(0)
	v_cmp_neq_f64_e32 vcc, 0, v[208:209]
	v_cmp_neq_f64_e64 s[2:3], 0, v[210:211]
	s_or_b64 s[2:3], vcc, s[2:3]
	s_and_b64 exec, exec, s[2:3]
	s_cbranch_execz .LBB109_179
; %bb.174:
	v_cmp_ngt_f64_e64 s[2:3], |v[208:209]|, |v[210:211]|
                                        ; implicit-def: $vgpr204_vgpr205
	s_and_saveexec_b64 s[10:11], s[2:3]
	s_xor_b64 s[2:3], exec, s[10:11]
                                        ; implicit-def: $vgpr206_vgpr207
	s_cbranch_execz .LBB109_176
; %bb.175:
	v_div_scale_f64 v[204:205], s[10:11], v[210:211], v[210:211], v[208:209]
	v_rcp_f64_e32 v[206:207], v[204:205]
	v_div_scale_f64 v[212:213], vcc, v[208:209], v[210:211], v[208:209]
	v_fma_f64 v[214:215], -v[204:205], v[206:207], 1.0
	v_fmac_f64_e32 v[206:207], v[206:207], v[214:215]
	v_fma_f64 v[214:215], -v[204:205], v[206:207], 1.0
	v_fmac_f64_e32 v[206:207], v[206:207], v[214:215]
	v_mul_f64 v[214:215], v[212:213], v[206:207]
	v_fma_f64 v[204:205], -v[204:205], v[214:215], v[212:213]
	v_div_fmas_f64 v[204:205], v[204:205], v[206:207], v[214:215]
	v_div_fixup_f64 v[204:205], v[204:205], v[210:211], v[208:209]
	v_fmac_f64_e32 v[210:211], v[208:209], v[204:205]
	v_div_scale_f64 v[206:207], s[10:11], v[210:211], v[210:211], 1.0
	v_rcp_f64_e32 v[208:209], v[206:207]
	s_nop 0
	v_fma_f64 v[212:213], -v[206:207], v[208:209], 1.0
	v_fmac_f64_e32 v[208:209], v[208:209], v[212:213]
	v_fma_f64 v[212:213], -v[206:207], v[208:209], 1.0
	v_fmac_f64_e32 v[208:209], v[208:209], v[212:213]
	v_div_scale_f64 v[212:213], vcc, 1.0, v[210:211], 1.0
	v_mul_f64 v[214:215], v[212:213], v[208:209]
	v_fma_f64 v[206:207], -v[206:207], v[214:215], v[212:213]
	s_nop 1
	v_div_fmas_f64 v[206:207], v[206:207], v[208:209], v[214:215]
	v_div_fixup_f64 v[206:207], v[206:207], v[210:211], 1.0
	v_mul_f64 v[204:205], v[204:205], v[206:207]
	v_xor_b32_e32 v207, 0x80000000, v207
                                        ; implicit-def: $vgpr208_vgpr209
.LBB109_176:
	s_andn2_saveexec_b64 s[2:3], s[2:3]
	s_cbranch_execz .LBB109_178
; %bb.177:
	v_div_scale_f64 v[204:205], s[10:11], v[208:209], v[208:209], v[210:211]
	v_rcp_f64_e32 v[206:207], v[204:205]
	v_div_scale_f64 v[212:213], vcc, v[210:211], v[208:209], v[210:211]
	v_fma_f64 v[214:215], -v[204:205], v[206:207], 1.0
	v_fmac_f64_e32 v[206:207], v[206:207], v[214:215]
	v_fma_f64 v[214:215], -v[204:205], v[206:207], 1.0
	v_fmac_f64_e32 v[206:207], v[206:207], v[214:215]
	v_mul_f64 v[214:215], v[212:213], v[206:207]
	v_fma_f64 v[204:205], -v[204:205], v[214:215], v[212:213]
	v_div_fmas_f64 v[204:205], v[204:205], v[206:207], v[214:215]
	v_div_fixup_f64 v[206:207], v[204:205], v[208:209], v[210:211]
	v_fmac_f64_e32 v[208:209], v[210:211], v[206:207]
	v_div_scale_f64 v[204:205], s[10:11], v[208:209], v[208:209], 1.0
	v_rcp_f64_e32 v[210:211], v[204:205]
	s_nop 0
	v_fma_f64 v[212:213], -v[204:205], v[210:211], 1.0
	v_fmac_f64_e32 v[210:211], v[210:211], v[212:213]
	v_fma_f64 v[212:213], -v[204:205], v[210:211], 1.0
	v_fmac_f64_e32 v[210:211], v[210:211], v[212:213]
	v_div_scale_f64 v[212:213], vcc, 1.0, v[208:209], 1.0
	v_mul_f64 v[214:215], v[212:213], v[210:211]
	v_fma_f64 v[204:205], -v[204:205], v[214:215], v[212:213]
	s_nop 1
	v_div_fmas_f64 v[204:205], v[204:205], v[210:211], v[214:215]
	v_div_fixup_f64 v[204:205], v[204:205], v[208:209], 1.0
	v_mul_f64 v[206:207], v[206:207], -v[204:205]
.LBB109_178:
	s_or_b64 exec, exec, s[2:3]
	ds_write2_b64 v201, v[204:205], v[206:207] offset1:1
.LBB109_179:
	s_or_b64 exec, exec, s[4:5]
	s_waitcnt lgkmcnt(0)
	s_barrier
	ds_read2_b64 v[192:195], v201 offset1:1
	v_cmp_lt_u32_e32 vcc, 19, v200
	s_waitcnt lgkmcnt(0)
	scratch_store_dwordx4 off, v[192:195], off offset:824 ; 16-byte Folded Spill
	s_and_saveexec_b64 s[2:3], vcc
	s_cbranch_execz .LBB109_181
; %bb.180:
	scratch_load_dwordx4 v[192:195], off, off offset:824 ; 16-byte Folded Reload
	s_waitcnt vmcnt(0)
	v_mul_f64 v[204:205], v[194:195], v[138:139]
	v_fma_f64 v[208:209], v[192:193], v[136:137], -v[204:205]
	ds_read2_b64 v[204:207], v202 offset0:40 offset1:41
	v_mul_f64 v[138:139], v[192:193], v[138:139]
	v_fmac_f64_e32 v[138:139], v[194:195], v[136:137]
	s_waitcnt lgkmcnt(0)
	v_mul_f64 v[136:137], v[206:207], v[138:139]
	v_fma_f64 v[136:137], v[204:205], v[208:209], -v[136:137]
	v_mul_f64 v[204:205], v[204:205], v[138:139]
	v_fmac_f64_e32 v[204:205], v[206:207], v[208:209]
	v_add_f64 v[134:135], v[134:135], -v[204:205]
	ds_read2_b64 v[204:207], v202 offset0:42 offset1:43
	v_add_f64 v[132:133], v[132:133], -v[136:137]
	s_waitcnt lgkmcnt(0)
	v_mul_f64 v[136:137], v[206:207], v[138:139]
	v_fma_f64 v[136:137], v[204:205], v[208:209], -v[136:137]
	v_mul_f64 v[204:205], v[204:205], v[138:139]
	v_fmac_f64_e32 v[204:205], v[206:207], v[208:209]
	v_add_f64 v[130:131], v[130:131], -v[204:205]
	ds_read2_b64 v[204:207], v202 offset0:44 offset1:45
	v_add_f64 v[128:129], v[128:129], -v[136:137]
	;; [unrolled: 8-line block ×34, first 2 shown]
	s_waitcnt lgkmcnt(0)
	v_mul_f64 v[136:137], v[206:207], v[138:139]
	v_fma_f64 v[136:137], v[204:205], v[208:209], -v[136:137]
	v_mul_f64 v[204:205], v[204:205], v[138:139]
	v_fmac_f64_e32 v[204:205], v[206:207], v[208:209]
	v_add_f64 v[216:217], v[216:217], -v[136:137]
	v_add_f64 v[218:219], v[218:219], -v[204:205]
	v_mov_b64_e32 v[136:137], v[208:209]
.LBB109_181:
	s_or_b64 exec, exec, s[2:3]
	v_cmp_eq_u32_e32 vcc, 20, v200
	s_waitcnt vmcnt(63) expcnt(7) lgkmcnt(15)
	s_barrier
	s_and_saveexec_b64 s[4:5], vcc
	s_cbranch_execz .LBB109_188
; %bb.182:
	ds_write2_b64 v201, v[132:133], v[134:135] offset1:1
	ds_write2_b64 v202, v[128:129], v[130:131] offset0:42 offset1:43
	ds_write2_b64 v202, v[124:125], v[126:127] offset0:44 offset1:45
	ds_write2_b64 v202, v[120:121], v[122:123] offset0:46 offset1:47
	ds_write2_b64 v202, v[116:117], v[118:119] offset0:48 offset1:49
	ds_write2_b64 v202, v[112:113], v[114:115] offset0:50 offset1:51
	ds_write2_b64 v202, v[108:109], v[110:111] offset0:52 offset1:53
	ds_write2_b64 v202, v[104:105], v[106:107] offset0:54 offset1:55
	ds_write2_b64 v202, v[100:101], v[102:103] offset0:56 offset1:57
	ds_write2_b64 v202, v[96:97], v[98:99] offset0:58 offset1:59
	ds_write2_b64 v202, v[92:93], v[94:95] offset0:60 offset1:61
	ds_write2_b64 v202, v[88:89], v[90:91] offset0:62 offset1:63
	ds_write2_b64 v202, v[84:85], v[86:87] offset0:64 offset1:65
	ds_write2_b64 v202, v[80:81], v[82:83] offset0:66 offset1:67
	ds_write2_b64 v202, v[76:77], v[78:79] offset0:68 offset1:69
	ds_write2_b64 v202, v[72:73], v[74:75] offset0:70 offset1:71
	ds_write2_b64 v202, v[68:69], v[70:71] offset0:72 offset1:73
	ds_write2_b64 v202, v[64:65], v[66:67] offset0:74 offset1:75
	s_waitcnt vmcnt(50)
	ds_write2_b64 v202, v[60:61], v[62:63] offset0:76 offset1:77
	s_waitcnt vmcnt(49)
	ds_write2_b64 v202, v[56:57], v[58:59] offset0:78 offset1:79
	;; [unrolled: 2-line block ×12, first 2 shown]
	ds_write2_b64 v202, v[12:13], v[14:15] offset0:100 offset1:101
	ds_write2_b64 v202, v[8:9], v[10:11] offset0:102 offset1:103
	;; [unrolled: 1-line block ×3, first 2 shown]
	s_waitcnt vmcnt(38)
	ds_write2_b64 v202, v[0:1], v[2:3] offset0:106 offset1:107
	s_waitcnt vmcnt(35)
	ds_write2_b64 v202, v[216:217], v[218:219] offset0:108 offset1:109
	ds_read2_b64 v[208:211], v201 offset1:1
	s_waitcnt lgkmcnt(0)
	v_cmp_neq_f64_e32 vcc, 0, v[208:209]
	v_cmp_neq_f64_e64 s[2:3], 0, v[210:211]
	s_or_b64 s[2:3], vcc, s[2:3]
	s_and_b64 exec, exec, s[2:3]
	s_cbranch_execz .LBB109_188
; %bb.183:
	v_cmp_ngt_f64_e64 s[2:3], |v[208:209]|, |v[210:211]|
                                        ; implicit-def: $vgpr204_vgpr205
	s_and_saveexec_b64 s[10:11], s[2:3]
	s_xor_b64 s[2:3], exec, s[10:11]
                                        ; implicit-def: $vgpr206_vgpr207
	s_cbranch_execz .LBB109_185
; %bb.184:
	v_div_scale_f64 v[204:205], s[10:11], v[210:211], v[210:211], v[208:209]
	v_rcp_f64_e32 v[206:207], v[204:205]
	v_div_scale_f64 v[212:213], vcc, v[208:209], v[210:211], v[208:209]
	v_fma_f64 v[214:215], -v[204:205], v[206:207], 1.0
	v_fmac_f64_e32 v[206:207], v[206:207], v[214:215]
	v_fma_f64 v[214:215], -v[204:205], v[206:207], 1.0
	v_fmac_f64_e32 v[206:207], v[206:207], v[214:215]
	v_mul_f64 v[214:215], v[212:213], v[206:207]
	v_fma_f64 v[204:205], -v[204:205], v[214:215], v[212:213]
	v_div_fmas_f64 v[204:205], v[204:205], v[206:207], v[214:215]
	v_div_fixup_f64 v[204:205], v[204:205], v[210:211], v[208:209]
	v_fmac_f64_e32 v[210:211], v[208:209], v[204:205]
	v_div_scale_f64 v[206:207], s[10:11], v[210:211], v[210:211], 1.0
	v_rcp_f64_e32 v[208:209], v[206:207]
	s_nop 0
	v_fma_f64 v[212:213], -v[206:207], v[208:209], 1.0
	v_fmac_f64_e32 v[208:209], v[208:209], v[212:213]
	v_fma_f64 v[212:213], -v[206:207], v[208:209], 1.0
	v_fmac_f64_e32 v[208:209], v[208:209], v[212:213]
	v_div_scale_f64 v[212:213], vcc, 1.0, v[210:211], 1.0
	v_mul_f64 v[214:215], v[212:213], v[208:209]
	v_fma_f64 v[206:207], -v[206:207], v[214:215], v[212:213]
	s_nop 1
	v_div_fmas_f64 v[206:207], v[206:207], v[208:209], v[214:215]
	v_div_fixup_f64 v[206:207], v[206:207], v[210:211], 1.0
	v_mul_f64 v[204:205], v[204:205], v[206:207]
	v_xor_b32_e32 v207, 0x80000000, v207
                                        ; implicit-def: $vgpr208_vgpr209
.LBB109_185:
	s_andn2_saveexec_b64 s[2:3], s[2:3]
	s_cbranch_execz .LBB109_187
; %bb.186:
	v_div_scale_f64 v[204:205], s[10:11], v[208:209], v[208:209], v[210:211]
	v_rcp_f64_e32 v[206:207], v[204:205]
	v_div_scale_f64 v[212:213], vcc, v[210:211], v[208:209], v[210:211]
	v_fma_f64 v[214:215], -v[204:205], v[206:207], 1.0
	v_fmac_f64_e32 v[206:207], v[206:207], v[214:215]
	v_fma_f64 v[214:215], -v[204:205], v[206:207], 1.0
	v_fmac_f64_e32 v[206:207], v[206:207], v[214:215]
	v_mul_f64 v[214:215], v[212:213], v[206:207]
	v_fma_f64 v[204:205], -v[204:205], v[214:215], v[212:213]
	v_div_fmas_f64 v[204:205], v[204:205], v[206:207], v[214:215]
	v_div_fixup_f64 v[206:207], v[204:205], v[208:209], v[210:211]
	v_fmac_f64_e32 v[208:209], v[210:211], v[206:207]
	v_div_scale_f64 v[204:205], s[10:11], v[208:209], v[208:209], 1.0
	v_rcp_f64_e32 v[210:211], v[204:205]
	s_nop 0
	v_fma_f64 v[212:213], -v[204:205], v[210:211], 1.0
	v_fmac_f64_e32 v[210:211], v[210:211], v[212:213]
	v_fma_f64 v[212:213], -v[204:205], v[210:211], 1.0
	v_fmac_f64_e32 v[210:211], v[210:211], v[212:213]
	v_div_scale_f64 v[212:213], vcc, 1.0, v[208:209], 1.0
	v_mul_f64 v[214:215], v[212:213], v[210:211]
	v_fma_f64 v[204:205], -v[204:205], v[214:215], v[212:213]
	s_nop 1
	v_div_fmas_f64 v[204:205], v[204:205], v[210:211], v[214:215]
	v_div_fixup_f64 v[204:205], v[204:205], v[208:209], 1.0
	v_mul_f64 v[206:207], v[206:207], -v[204:205]
.LBB109_187:
	s_or_b64 exec, exec, s[2:3]
	ds_write2_b64 v201, v[204:205], v[206:207] offset1:1
.LBB109_188:
	s_or_b64 exec, exec, s[4:5]
	s_waitcnt lgkmcnt(0)
	s_barrier
	ds_read2_b64 v[192:195], v201 offset1:1
	v_cmp_lt_u32_e32 vcc, 20, v200
	s_waitcnt lgkmcnt(0)
	scratch_store_dwordx4 off, v[192:195], off offset:840 ; 16-byte Folded Spill
	s_and_saveexec_b64 s[2:3], vcc
	s_cbranch_execz .LBB109_190
; %bb.189:
	scratch_load_dwordx4 v[192:195], off, off offset:840 ; 16-byte Folded Reload
	s_waitcnt vmcnt(0)
	v_mul_f64 v[204:205], v[194:195], v[134:135]
	v_fma_f64 v[208:209], v[192:193], v[132:133], -v[204:205]
	ds_read2_b64 v[204:207], v202 offset0:42 offset1:43
	v_mul_f64 v[134:135], v[192:193], v[134:135]
	v_fmac_f64_e32 v[134:135], v[194:195], v[132:133]
	s_waitcnt lgkmcnt(0)
	v_mul_f64 v[132:133], v[206:207], v[134:135]
	v_fma_f64 v[132:133], v[204:205], v[208:209], -v[132:133]
	v_mul_f64 v[204:205], v[204:205], v[134:135]
	v_fmac_f64_e32 v[204:205], v[206:207], v[208:209]
	v_add_f64 v[130:131], v[130:131], -v[204:205]
	ds_read2_b64 v[204:207], v202 offset0:44 offset1:45
	v_add_f64 v[128:129], v[128:129], -v[132:133]
	s_waitcnt lgkmcnt(0)
	v_mul_f64 v[132:133], v[206:207], v[134:135]
	v_fma_f64 v[132:133], v[204:205], v[208:209], -v[132:133]
	v_mul_f64 v[204:205], v[204:205], v[134:135]
	v_fmac_f64_e32 v[204:205], v[206:207], v[208:209]
	v_add_f64 v[126:127], v[126:127], -v[204:205]
	ds_read2_b64 v[204:207], v202 offset0:46 offset1:47
	v_add_f64 v[124:125], v[124:125], -v[132:133]
	;; [unrolled: 8-line block ×33, first 2 shown]
	s_waitcnt lgkmcnt(0)
	v_mul_f64 v[132:133], v[206:207], v[134:135]
	v_fma_f64 v[132:133], v[204:205], v[208:209], -v[132:133]
	v_mul_f64 v[204:205], v[204:205], v[134:135]
	v_fmac_f64_e32 v[204:205], v[206:207], v[208:209]
	v_add_f64 v[216:217], v[216:217], -v[132:133]
	v_add_f64 v[218:219], v[218:219], -v[204:205]
	v_mov_b64_e32 v[132:133], v[208:209]
.LBB109_190:
	s_or_b64 exec, exec, s[2:3]
	v_cmp_eq_u32_e32 vcc, 21, v200
	s_waitcnt vmcnt(63) expcnt(7) lgkmcnt(15)
	s_barrier
	s_and_saveexec_b64 s[4:5], vcc
	s_cbranch_execz .LBB109_197
; %bb.191:
	ds_write2_b64 v201, v[128:129], v[130:131] offset1:1
	ds_write2_b64 v202, v[124:125], v[126:127] offset0:44 offset1:45
	ds_write2_b64 v202, v[120:121], v[122:123] offset0:46 offset1:47
	ds_write2_b64 v202, v[116:117], v[118:119] offset0:48 offset1:49
	ds_write2_b64 v202, v[112:113], v[114:115] offset0:50 offset1:51
	ds_write2_b64 v202, v[108:109], v[110:111] offset0:52 offset1:53
	ds_write2_b64 v202, v[104:105], v[106:107] offset0:54 offset1:55
	ds_write2_b64 v202, v[100:101], v[102:103] offset0:56 offset1:57
	ds_write2_b64 v202, v[96:97], v[98:99] offset0:58 offset1:59
	ds_write2_b64 v202, v[92:93], v[94:95] offset0:60 offset1:61
	ds_write2_b64 v202, v[88:89], v[90:91] offset0:62 offset1:63
	ds_write2_b64 v202, v[84:85], v[86:87] offset0:64 offset1:65
	ds_write2_b64 v202, v[80:81], v[82:83] offset0:66 offset1:67
	ds_write2_b64 v202, v[76:77], v[78:79] offset0:68 offset1:69
	ds_write2_b64 v202, v[72:73], v[74:75] offset0:70 offset1:71
	ds_write2_b64 v202, v[68:69], v[70:71] offset0:72 offset1:73
	ds_write2_b64 v202, v[64:65], v[66:67] offset0:74 offset1:75
	s_waitcnt vmcnt(51)
	ds_write2_b64 v202, v[60:61], v[62:63] offset0:76 offset1:77
	s_waitcnt vmcnt(50)
	ds_write2_b64 v202, v[56:57], v[58:59] offset0:78 offset1:79
	;; [unrolled: 2-line block ×12, first 2 shown]
	ds_write2_b64 v202, v[12:13], v[14:15] offset0:100 offset1:101
	ds_write2_b64 v202, v[8:9], v[10:11] offset0:102 offset1:103
	;; [unrolled: 1-line block ×3, first 2 shown]
	s_waitcnt vmcnt(39)
	ds_write2_b64 v202, v[0:1], v[2:3] offset0:106 offset1:107
	s_waitcnt vmcnt(36)
	ds_write2_b64 v202, v[216:217], v[218:219] offset0:108 offset1:109
	ds_read2_b64 v[208:211], v201 offset1:1
	s_waitcnt lgkmcnt(0)
	v_cmp_neq_f64_e32 vcc, 0, v[208:209]
	v_cmp_neq_f64_e64 s[2:3], 0, v[210:211]
	s_or_b64 s[2:3], vcc, s[2:3]
	s_and_b64 exec, exec, s[2:3]
	s_cbranch_execz .LBB109_197
; %bb.192:
	v_cmp_ngt_f64_e64 s[2:3], |v[208:209]|, |v[210:211]|
                                        ; implicit-def: $vgpr204_vgpr205
	s_and_saveexec_b64 s[10:11], s[2:3]
	s_xor_b64 s[2:3], exec, s[10:11]
                                        ; implicit-def: $vgpr206_vgpr207
	s_cbranch_execz .LBB109_194
; %bb.193:
	v_div_scale_f64 v[204:205], s[10:11], v[210:211], v[210:211], v[208:209]
	v_rcp_f64_e32 v[206:207], v[204:205]
	v_div_scale_f64 v[212:213], vcc, v[208:209], v[210:211], v[208:209]
	v_fma_f64 v[214:215], -v[204:205], v[206:207], 1.0
	v_fmac_f64_e32 v[206:207], v[206:207], v[214:215]
	v_fma_f64 v[214:215], -v[204:205], v[206:207], 1.0
	v_fmac_f64_e32 v[206:207], v[206:207], v[214:215]
	v_mul_f64 v[214:215], v[212:213], v[206:207]
	v_fma_f64 v[204:205], -v[204:205], v[214:215], v[212:213]
	v_div_fmas_f64 v[204:205], v[204:205], v[206:207], v[214:215]
	v_div_fixup_f64 v[204:205], v[204:205], v[210:211], v[208:209]
	v_fmac_f64_e32 v[210:211], v[208:209], v[204:205]
	v_div_scale_f64 v[206:207], s[10:11], v[210:211], v[210:211], 1.0
	v_rcp_f64_e32 v[208:209], v[206:207]
	s_nop 0
	v_fma_f64 v[212:213], -v[206:207], v[208:209], 1.0
	v_fmac_f64_e32 v[208:209], v[208:209], v[212:213]
	v_fma_f64 v[212:213], -v[206:207], v[208:209], 1.0
	v_fmac_f64_e32 v[208:209], v[208:209], v[212:213]
	v_div_scale_f64 v[212:213], vcc, 1.0, v[210:211], 1.0
	v_mul_f64 v[214:215], v[212:213], v[208:209]
	v_fma_f64 v[206:207], -v[206:207], v[214:215], v[212:213]
	s_nop 1
	v_div_fmas_f64 v[206:207], v[206:207], v[208:209], v[214:215]
	v_div_fixup_f64 v[206:207], v[206:207], v[210:211], 1.0
	v_mul_f64 v[204:205], v[204:205], v[206:207]
	v_xor_b32_e32 v207, 0x80000000, v207
                                        ; implicit-def: $vgpr208_vgpr209
.LBB109_194:
	s_andn2_saveexec_b64 s[2:3], s[2:3]
	s_cbranch_execz .LBB109_196
; %bb.195:
	v_div_scale_f64 v[204:205], s[10:11], v[208:209], v[208:209], v[210:211]
	v_rcp_f64_e32 v[206:207], v[204:205]
	v_div_scale_f64 v[212:213], vcc, v[210:211], v[208:209], v[210:211]
	v_fma_f64 v[214:215], -v[204:205], v[206:207], 1.0
	v_fmac_f64_e32 v[206:207], v[206:207], v[214:215]
	v_fma_f64 v[214:215], -v[204:205], v[206:207], 1.0
	v_fmac_f64_e32 v[206:207], v[206:207], v[214:215]
	v_mul_f64 v[214:215], v[212:213], v[206:207]
	v_fma_f64 v[204:205], -v[204:205], v[214:215], v[212:213]
	v_div_fmas_f64 v[204:205], v[204:205], v[206:207], v[214:215]
	v_div_fixup_f64 v[206:207], v[204:205], v[208:209], v[210:211]
	v_fmac_f64_e32 v[208:209], v[210:211], v[206:207]
	v_div_scale_f64 v[204:205], s[10:11], v[208:209], v[208:209], 1.0
	v_rcp_f64_e32 v[210:211], v[204:205]
	s_nop 0
	v_fma_f64 v[212:213], -v[204:205], v[210:211], 1.0
	v_fmac_f64_e32 v[210:211], v[210:211], v[212:213]
	v_fma_f64 v[212:213], -v[204:205], v[210:211], 1.0
	v_fmac_f64_e32 v[210:211], v[210:211], v[212:213]
	v_div_scale_f64 v[212:213], vcc, 1.0, v[208:209], 1.0
	v_mul_f64 v[214:215], v[212:213], v[210:211]
	v_fma_f64 v[204:205], -v[204:205], v[214:215], v[212:213]
	s_nop 1
	v_div_fmas_f64 v[204:205], v[204:205], v[210:211], v[214:215]
	v_div_fixup_f64 v[204:205], v[204:205], v[208:209], 1.0
	v_mul_f64 v[206:207], v[206:207], -v[204:205]
.LBB109_196:
	s_or_b64 exec, exec, s[2:3]
	ds_write2_b64 v201, v[204:205], v[206:207] offset1:1
.LBB109_197:
	s_or_b64 exec, exec, s[4:5]
	s_waitcnt lgkmcnt(0)
	s_barrier
	ds_read2_b64 v[192:195], v201 offset1:1
	v_cmp_lt_u32_e32 vcc, 21, v200
	s_waitcnt lgkmcnt(0)
	scratch_store_dwordx4 off, v[192:195], off offset:856 ; 16-byte Folded Spill
	s_and_saveexec_b64 s[2:3], vcc
	s_cbranch_execz .LBB109_199
; %bb.198:
	scratch_load_dwordx4 v[192:195], off, off offset:856 ; 16-byte Folded Reload
	s_waitcnt vmcnt(0)
	v_mul_f64 v[204:205], v[194:195], v[130:131]
	v_fma_f64 v[208:209], v[192:193], v[128:129], -v[204:205]
	ds_read2_b64 v[204:207], v202 offset0:44 offset1:45
	v_mul_f64 v[130:131], v[192:193], v[130:131]
	v_fmac_f64_e32 v[130:131], v[194:195], v[128:129]
	s_waitcnt lgkmcnt(0)
	v_mul_f64 v[128:129], v[206:207], v[130:131]
	v_fma_f64 v[128:129], v[204:205], v[208:209], -v[128:129]
	v_mul_f64 v[204:205], v[204:205], v[130:131]
	v_fmac_f64_e32 v[204:205], v[206:207], v[208:209]
	v_add_f64 v[126:127], v[126:127], -v[204:205]
	ds_read2_b64 v[204:207], v202 offset0:46 offset1:47
	v_add_f64 v[124:125], v[124:125], -v[128:129]
	s_waitcnt lgkmcnt(0)
	v_mul_f64 v[128:129], v[206:207], v[130:131]
	v_fma_f64 v[128:129], v[204:205], v[208:209], -v[128:129]
	v_mul_f64 v[204:205], v[204:205], v[130:131]
	v_fmac_f64_e32 v[204:205], v[206:207], v[208:209]
	v_add_f64 v[122:123], v[122:123], -v[204:205]
	ds_read2_b64 v[204:207], v202 offset0:48 offset1:49
	v_add_f64 v[120:121], v[120:121], -v[128:129]
	;; [unrolled: 8-line block ×32, first 2 shown]
	s_waitcnt lgkmcnt(0)
	v_mul_f64 v[128:129], v[206:207], v[130:131]
	v_fma_f64 v[128:129], v[204:205], v[208:209], -v[128:129]
	v_mul_f64 v[204:205], v[204:205], v[130:131]
	v_fmac_f64_e32 v[204:205], v[206:207], v[208:209]
	v_add_f64 v[216:217], v[216:217], -v[128:129]
	v_add_f64 v[218:219], v[218:219], -v[204:205]
	v_mov_b64_e32 v[128:129], v[208:209]
.LBB109_199:
	s_or_b64 exec, exec, s[2:3]
	v_cmp_eq_u32_e32 vcc, 22, v200
	s_waitcnt vmcnt(63) expcnt(7) lgkmcnt(15)
	s_barrier
	s_and_saveexec_b64 s[4:5], vcc
	s_cbranch_execz .LBB109_206
; %bb.200:
	ds_write2_b64 v201, v[124:125], v[126:127] offset1:1
	ds_write2_b64 v202, v[120:121], v[122:123] offset0:46 offset1:47
	ds_write2_b64 v202, v[116:117], v[118:119] offset0:48 offset1:49
	;; [unrolled: 1-line block ×15, first 2 shown]
	s_waitcnt vmcnt(52)
	ds_write2_b64 v202, v[60:61], v[62:63] offset0:76 offset1:77
	s_waitcnt vmcnt(51)
	ds_write2_b64 v202, v[56:57], v[58:59] offset0:78 offset1:79
	;; [unrolled: 2-line block ×12, first 2 shown]
	ds_write2_b64 v202, v[12:13], v[14:15] offset0:100 offset1:101
	ds_write2_b64 v202, v[8:9], v[10:11] offset0:102 offset1:103
	;; [unrolled: 1-line block ×3, first 2 shown]
	s_waitcnt vmcnt(40)
	ds_write2_b64 v202, v[0:1], v[2:3] offset0:106 offset1:107
	s_waitcnt vmcnt(37)
	ds_write2_b64 v202, v[216:217], v[218:219] offset0:108 offset1:109
	ds_read2_b64 v[208:211], v201 offset1:1
	s_waitcnt lgkmcnt(0)
	v_cmp_neq_f64_e32 vcc, 0, v[208:209]
	v_cmp_neq_f64_e64 s[2:3], 0, v[210:211]
	s_or_b64 s[2:3], vcc, s[2:3]
	s_and_b64 exec, exec, s[2:3]
	s_cbranch_execz .LBB109_206
; %bb.201:
	v_cmp_ngt_f64_e64 s[2:3], |v[208:209]|, |v[210:211]|
                                        ; implicit-def: $vgpr204_vgpr205
	s_and_saveexec_b64 s[10:11], s[2:3]
	s_xor_b64 s[2:3], exec, s[10:11]
                                        ; implicit-def: $vgpr206_vgpr207
	s_cbranch_execz .LBB109_203
; %bb.202:
	v_div_scale_f64 v[204:205], s[10:11], v[210:211], v[210:211], v[208:209]
	v_rcp_f64_e32 v[206:207], v[204:205]
	v_div_scale_f64 v[212:213], vcc, v[208:209], v[210:211], v[208:209]
	v_fma_f64 v[214:215], -v[204:205], v[206:207], 1.0
	v_fmac_f64_e32 v[206:207], v[206:207], v[214:215]
	v_fma_f64 v[214:215], -v[204:205], v[206:207], 1.0
	v_fmac_f64_e32 v[206:207], v[206:207], v[214:215]
	v_mul_f64 v[214:215], v[212:213], v[206:207]
	v_fma_f64 v[204:205], -v[204:205], v[214:215], v[212:213]
	v_div_fmas_f64 v[204:205], v[204:205], v[206:207], v[214:215]
	v_div_fixup_f64 v[204:205], v[204:205], v[210:211], v[208:209]
	v_fmac_f64_e32 v[210:211], v[208:209], v[204:205]
	v_div_scale_f64 v[206:207], s[10:11], v[210:211], v[210:211], 1.0
	v_rcp_f64_e32 v[208:209], v[206:207]
	s_nop 0
	v_fma_f64 v[212:213], -v[206:207], v[208:209], 1.0
	v_fmac_f64_e32 v[208:209], v[208:209], v[212:213]
	v_fma_f64 v[212:213], -v[206:207], v[208:209], 1.0
	v_fmac_f64_e32 v[208:209], v[208:209], v[212:213]
	v_div_scale_f64 v[212:213], vcc, 1.0, v[210:211], 1.0
	v_mul_f64 v[214:215], v[212:213], v[208:209]
	v_fma_f64 v[206:207], -v[206:207], v[214:215], v[212:213]
	s_nop 1
	v_div_fmas_f64 v[206:207], v[206:207], v[208:209], v[214:215]
	v_div_fixup_f64 v[206:207], v[206:207], v[210:211], 1.0
	v_mul_f64 v[204:205], v[204:205], v[206:207]
	v_xor_b32_e32 v207, 0x80000000, v207
                                        ; implicit-def: $vgpr208_vgpr209
.LBB109_203:
	s_andn2_saveexec_b64 s[2:3], s[2:3]
	s_cbranch_execz .LBB109_205
; %bb.204:
	v_div_scale_f64 v[204:205], s[10:11], v[208:209], v[208:209], v[210:211]
	v_rcp_f64_e32 v[206:207], v[204:205]
	v_div_scale_f64 v[212:213], vcc, v[210:211], v[208:209], v[210:211]
	v_fma_f64 v[214:215], -v[204:205], v[206:207], 1.0
	v_fmac_f64_e32 v[206:207], v[206:207], v[214:215]
	v_fma_f64 v[214:215], -v[204:205], v[206:207], 1.0
	v_fmac_f64_e32 v[206:207], v[206:207], v[214:215]
	v_mul_f64 v[214:215], v[212:213], v[206:207]
	v_fma_f64 v[204:205], -v[204:205], v[214:215], v[212:213]
	v_div_fmas_f64 v[204:205], v[204:205], v[206:207], v[214:215]
	v_div_fixup_f64 v[206:207], v[204:205], v[208:209], v[210:211]
	v_fmac_f64_e32 v[208:209], v[210:211], v[206:207]
	v_div_scale_f64 v[204:205], s[10:11], v[208:209], v[208:209], 1.0
	v_rcp_f64_e32 v[210:211], v[204:205]
	s_nop 0
	v_fma_f64 v[212:213], -v[204:205], v[210:211], 1.0
	v_fmac_f64_e32 v[210:211], v[210:211], v[212:213]
	v_fma_f64 v[212:213], -v[204:205], v[210:211], 1.0
	v_fmac_f64_e32 v[210:211], v[210:211], v[212:213]
	v_div_scale_f64 v[212:213], vcc, 1.0, v[208:209], 1.0
	v_mul_f64 v[214:215], v[212:213], v[210:211]
	v_fma_f64 v[204:205], -v[204:205], v[214:215], v[212:213]
	s_nop 1
	v_div_fmas_f64 v[204:205], v[204:205], v[210:211], v[214:215]
	v_div_fixup_f64 v[204:205], v[204:205], v[208:209], 1.0
	v_mul_f64 v[206:207], v[206:207], -v[204:205]
.LBB109_205:
	s_or_b64 exec, exec, s[2:3]
	ds_write2_b64 v201, v[204:205], v[206:207] offset1:1
.LBB109_206:
	s_or_b64 exec, exec, s[4:5]
	s_waitcnt lgkmcnt(0)
	s_barrier
	ds_read2_b64 v[192:195], v201 offset1:1
	v_cmp_lt_u32_e32 vcc, 22, v200
	s_waitcnt lgkmcnt(0)
	scratch_store_dwordx4 off, v[192:195], off offset:872 ; 16-byte Folded Spill
	s_and_saveexec_b64 s[2:3], vcc
	s_cbranch_execz .LBB109_208
; %bb.207:
	scratch_load_dwordx4 v[192:195], off, off offset:872 ; 16-byte Folded Reload
	s_waitcnt vmcnt(0)
	v_mul_f64 v[204:205], v[194:195], v[126:127]
	v_fma_f64 v[208:209], v[192:193], v[124:125], -v[204:205]
	ds_read2_b64 v[204:207], v202 offset0:46 offset1:47
	v_mul_f64 v[126:127], v[192:193], v[126:127]
	v_fmac_f64_e32 v[126:127], v[194:195], v[124:125]
	s_waitcnt lgkmcnt(0)
	v_mul_f64 v[124:125], v[206:207], v[126:127]
	v_fma_f64 v[124:125], v[204:205], v[208:209], -v[124:125]
	v_mul_f64 v[204:205], v[204:205], v[126:127]
	v_fmac_f64_e32 v[204:205], v[206:207], v[208:209]
	v_add_f64 v[122:123], v[122:123], -v[204:205]
	ds_read2_b64 v[204:207], v202 offset0:48 offset1:49
	v_add_f64 v[120:121], v[120:121], -v[124:125]
	s_waitcnt lgkmcnt(0)
	v_mul_f64 v[124:125], v[206:207], v[126:127]
	v_fma_f64 v[124:125], v[204:205], v[208:209], -v[124:125]
	v_mul_f64 v[204:205], v[204:205], v[126:127]
	v_fmac_f64_e32 v[204:205], v[206:207], v[208:209]
	v_add_f64 v[118:119], v[118:119], -v[204:205]
	ds_read2_b64 v[204:207], v202 offset0:50 offset1:51
	v_add_f64 v[116:117], v[116:117], -v[124:125]
	;; [unrolled: 8-line block ×31, first 2 shown]
	s_waitcnt lgkmcnt(0)
	v_mul_f64 v[124:125], v[206:207], v[126:127]
	v_fma_f64 v[124:125], v[204:205], v[208:209], -v[124:125]
	v_mul_f64 v[204:205], v[204:205], v[126:127]
	v_fmac_f64_e32 v[204:205], v[206:207], v[208:209]
	v_add_f64 v[216:217], v[216:217], -v[124:125]
	v_add_f64 v[218:219], v[218:219], -v[204:205]
	v_mov_b64_e32 v[124:125], v[208:209]
.LBB109_208:
	s_or_b64 exec, exec, s[2:3]
	v_cmp_eq_u32_e32 vcc, 23, v200
	s_waitcnt vmcnt(63) expcnt(7) lgkmcnt(15)
	s_barrier
	s_and_saveexec_b64 s[4:5], vcc
	s_cbranch_execz .LBB109_215
; %bb.209:
	ds_write2_b64 v201, v[120:121], v[122:123] offset1:1
	ds_write2_b64 v202, v[116:117], v[118:119] offset0:48 offset1:49
	ds_write2_b64 v202, v[112:113], v[114:115] offset0:50 offset1:51
	ds_write2_b64 v202, v[108:109], v[110:111] offset0:52 offset1:53
	ds_write2_b64 v202, v[104:105], v[106:107] offset0:54 offset1:55
	ds_write2_b64 v202, v[100:101], v[102:103] offset0:56 offset1:57
	ds_write2_b64 v202, v[96:97], v[98:99] offset0:58 offset1:59
	ds_write2_b64 v202, v[92:93], v[94:95] offset0:60 offset1:61
	ds_write2_b64 v202, v[88:89], v[90:91] offset0:62 offset1:63
	ds_write2_b64 v202, v[84:85], v[86:87] offset0:64 offset1:65
	ds_write2_b64 v202, v[80:81], v[82:83] offset0:66 offset1:67
	ds_write2_b64 v202, v[76:77], v[78:79] offset0:68 offset1:69
	ds_write2_b64 v202, v[72:73], v[74:75] offset0:70 offset1:71
	ds_write2_b64 v202, v[68:69], v[70:71] offset0:72 offset1:73
	ds_write2_b64 v202, v[64:65], v[66:67] offset0:74 offset1:75
	s_waitcnt vmcnt(53)
	ds_write2_b64 v202, v[60:61], v[62:63] offset0:76 offset1:77
	s_waitcnt vmcnt(52)
	ds_write2_b64 v202, v[56:57], v[58:59] offset0:78 offset1:79
	;; [unrolled: 2-line block ×12, first 2 shown]
	ds_write2_b64 v202, v[12:13], v[14:15] offset0:100 offset1:101
	ds_write2_b64 v202, v[8:9], v[10:11] offset0:102 offset1:103
	;; [unrolled: 1-line block ×3, first 2 shown]
	s_waitcnt vmcnt(41)
	ds_write2_b64 v202, v[0:1], v[2:3] offset0:106 offset1:107
	s_waitcnt vmcnt(38)
	ds_write2_b64 v202, v[216:217], v[218:219] offset0:108 offset1:109
	ds_read2_b64 v[208:211], v201 offset1:1
	s_waitcnt lgkmcnt(0)
	v_cmp_neq_f64_e32 vcc, 0, v[208:209]
	v_cmp_neq_f64_e64 s[2:3], 0, v[210:211]
	s_or_b64 s[2:3], vcc, s[2:3]
	s_and_b64 exec, exec, s[2:3]
	s_cbranch_execz .LBB109_215
; %bb.210:
	v_cmp_ngt_f64_e64 s[2:3], |v[208:209]|, |v[210:211]|
                                        ; implicit-def: $vgpr204_vgpr205
	s_and_saveexec_b64 s[10:11], s[2:3]
	s_xor_b64 s[2:3], exec, s[10:11]
                                        ; implicit-def: $vgpr206_vgpr207
	s_cbranch_execz .LBB109_212
; %bb.211:
	v_div_scale_f64 v[204:205], s[10:11], v[210:211], v[210:211], v[208:209]
	v_rcp_f64_e32 v[206:207], v[204:205]
	v_div_scale_f64 v[212:213], vcc, v[208:209], v[210:211], v[208:209]
	v_fma_f64 v[214:215], -v[204:205], v[206:207], 1.0
	v_fmac_f64_e32 v[206:207], v[206:207], v[214:215]
	v_fma_f64 v[214:215], -v[204:205], v[206:207], 1.0
	v_fmac_f64_e32 v[206:207], v[206:207], v[214:215]
	v_mul_f64 v[214:215], v[212:213], v[206:207]
	v_fma_f64 v[204:205], -v[204:205], v[214:215], v[212:213]
	v_div_fmas_f64 v[204:205], v[204:205], v[206:207], v[214:215]
	v_div_fixup_f64 v[204:205], v[204:205], v[210:211], v[208:209]
	v_fmac_f64_e32 v[210:211], v[208:209], v[204:205]
	v_div_scale_f64 v[206:207], s[10:11], v[210:211], v[210:211], 1.0
	v_rcp_f64_e32 v[208:209], v[206:207]
	s_nop 0
	v_fma_f64 v[212:213], -v[206:207], v[208:209], 1.0
	v_fmac_f64_e32 v[208:209], v[208:209], v[212:213]
	v_fma_f64 v[212:213], -v[206:207], v[208:209], 1.0
	v_fmac_f64_e32 v[208:209], v[208:209], v[212:213]
	v_div_scale_f64 v[212:213], vcc, 1.0, v[210:211], 1.0
	v_mul_f64 v[214:215], v[212:213], v[208:209]
	v_fma_f64 v[206:207], -v[206:207], v[214:215], v[212:213]
	s_nop 1
	v_div_fmas_f64 v[206:207], v[206:207], v[208:209], v[214:215]
	v_div_fixup_f64 v[206:207], v[206:207], v[210:211], 1.0
	v_mul_f64 v[204:205], v[204:205], v[206:207]
	v_xor_b32_e32 v207, 0x80000000, v207
                                        ; implicit-def: $vgpr208_vgpr209
.LBB109_212:
	s_andn2_saveexec_b64 s[2:3], s[2:3]
	s_cbranch_execz .LBB109_214
; %bb.213:
	v_div_scale_f64 v[204:205], s[10:11], v[208:209], v[208:209], v[210:211]
	v_rcp_f64_e32 v[206:207], v[204:205]
	v_div_scale_f64 v[212:213], vcc, v[210:211], v[208:209], v[210:211]
	v_fma_f64 v[214:215], -v[204:205], v[206:207], 1.0
	v_fmac_f64_e32 v[206:207], v[206:207], v[214:215]
	v_fma_f64 v[214:215], -v[204:205], v[206:207], 1.0
	v_fmac_f64_e32 v[206:207], v[206:207], v[214:215]
	v_mul_f64 v[214:215], v[212:213], v[206:207]
	v_fma_f64 v[204:205], -v[204:205], v[214:215], v[212:213]
	v_div_fmas_f64 v[204:205], v[204:205], v[206:207], v[214:215]
	v_div_fixup_f64 v[206:207], v[204:205], v[208:209], v[210:211]
	v_fmac_f64_e32 v[208:209], v[210:211], v[206:207]
	v_div_scale_f64 v[204:205], s[10:11], v[208:209], v[208:209], 1.0
	v_rcp_f64_e32 v[210:211], v[204:205]
	s_nop 0
	v_fma_f64 v[212:213], -v[204:205], v[210:211], 1.0
	v_fmac_f64_e32 v[210:211], v[210:211], v[212:213]
	v_fma_f64 v[212:213], -v[204:205], v[210:211], 1.0
	v_fmac_f64_e32 v[210:211], v[210:211], v[212:213]
	v_div_scale_f64 v[212:213], vcc, 1.0, v[208:209], 1.0
	v_mul_f64 v[214:215], v[212:213], v[210:211]
	v_fma_f64 v[204:205], -v[204:205], v[214:215], v[212:213]
	s_nop 1
	v_div_fmas_f64 v[204:205], v[204:205], v[210:211], v[214:215]
	v_div_fixup_f64 v[204:205], v[204:205], v[208:209], 1.0
	v_mul_f64 v[206:207], v[206:207], -v[204:205]
.LBB109_214:
	s_or_b64 exec, exec, s[2:3]
	ds_write2_b64 v201, v[204:205], v[206:207] offset1:1
.LBB109_215:
	s_or_b64 exec, exec, s[4:5]
	s_waitcnt lgkmcnt(0)
	s_barrier
	ds_read2_b64 v[192:195], v201 offset1:1
	v_cmp_lt_u32_e32 vcc, 23, v200
	s_waitcnt lgkmcnt(0)
	scratch_store_dwordx4 off, v[192:195], off offset:888 ; 16-byte Folded Spill
	s_and_saveexec_b64 s[2:3], vcc
	s_cbranch_execz .LBB109_217
; %bb.216:
	scratch_load_dwordx4 v[192:195], off, off offset:888 ; 16-byte Folded Reload
	s_waitcnt vmcnt(0)
	v_mul_f64 v[204:205], v[194:195], v[122:123]
	v_fma_f64 v[208:209], v[192:193], v[120:121], -v[204:205]
	ds_read2_b64 v[204:207], v202 offset0:48 offset1:49
	v_mul_f64 v[122:123], v[192:193], v[122:123]
	v_fmac_f64_e32 v[122:123], v[194:195], v[120:121]
	s_waitcnt lgkmcnt(0)
	v_mul_f64 v[120:121], v[206:207], v[122:123]
	v_fma_f64 v[120:121], v[204:205], v[208:209], -v[120:121]
	v_mul_f64 v[204:205], v[204:205], v[122:123]
	v_fmac_f64_e32 v[204:205], v[206:207], v[208:209]
	v_add_f64 v[118:119], v[118:119], -v[204:205]
	ds_read2_b64 v[204:207], v202 offset0:50 offset1:51
	v_add_f64 v[116:117], v[116:117], -v[120:121]
	s_waitcnt lgkmcnt(0)
	v_mul_f64 v[120:121], v[206:207], v[122:123]
	v_fma_f64 v[120:121], v[204:205], v[208:209], -v[120:121]
	v_mul_f64 v[204:205], v[204:205], v[122:123]
	v_fmac_f64_e32 v[204:205], v[206:207], v[208:209]
	v_add_f64 v[114:115], v[114:115], -v[204:205]
	ds_read2_b64 v[204:207], v202 offset0:52 offset1:53
	v_add_f64 v[112:113], v[112:113], -v[120:121]
	;; [unrolled: 8-line block ×30, first 2 shown]
	s_waitcnt lgkmcnt(0)
	v_mul_f64 v[120:121], v[206:207], v[122:123]
	v_fma_f64 v[120:121], v[204:205], v[208:209], -v[120:121]
	v_mul_f64 v[204:205], v[204:205], v[122:123]
	v_fmac_f64_e32 v[204:205], v[206:207], v[208:209]
	v_add_f64 v[216:217], v[216:217], -v[120:121]
	v_add_f64 v[218:219], v[218:219], -v[204:205]
	v_mov_b64_e32 v[120:121], v[208:209]
.LBB109_217:
	s_or_b64 exec, exec, s[2:3]
	v_cmp_eq_u32_e32 vcc, 24, v200
	s_waitcnt vmcnt(63) expcnt(7) lgkmcnt(15)
	s_barrier
	s_and_saveexec_b64 s[4:5], vcc
	s_cbranch_execz .LBB109_224
; %bb.218:
	ds_write2_b64 v201, v[116:117], v[118:119] offset1:1
	ds_write2_b64 v202, v[112:113], v[114:115] offset0:50 offset1:51
	ds_write2_b64 v202, v[108:109], v[110:111] offset0:52 offset1:53
	;; [unrolled: 1-line block ×13, first 2 shown]
	s_waitcnt vmcnt(54)
	ds_write2_b64 v202, v[60:61], v[62:63] offset0:76 offset1:77
	s_waitcnt vmcnt(53)
	ds_write2_b64 v202, v[56:57], v[58:59] offset0:78 offset1:79
	;; [unrolled: 2-line block ×12, first 2 shown]
	ds_write2_b64 v202, v[12:13], v[14:15] offset0:100 offset1:101
	ds_write2_b64 v202, v[8:9], v[10:11] offset0:102 offset1:103
	;; [unrolled: 1-line block ×3, first 2 shown]
	s_waitcnt vmcnt(42)
	ds_write2_b64 v202, v[0:1], v[2:3] offset0:106 offset1:107
	s_waitcnt vmcnt(39)
	ds_write2_b64 v202, v[216:217], v[218:219] offset0:108 offset1:109
	ds_read2_b64 v[208:211], v201 offset1:1
	s_waitcnt lgkmcnt(0)
	v_cmp_neq_f64_e32 vcc, 0, v[208:209]
	v_cmp_neq_f64_e64 s[2:3], 0, v[210:211]
	s_or_b64 s[2:3], vcc, s[2:3]
	s_and_b64 exec, exec, s[2:3]
	s_cbranch_execz .LBB109_224
; %bb.219:
	v_cmp_ngt_f64_e64 s[2:3], |v[208:209]|, |v[210:211]|
                                        ; implicit-def: $vgpr204_vgpr205
	s_and_saveexec_b64 s[10:11], s[2:3]
	s_xor_b64 s[2:3], exec, s[10:11]
                                        ; implicit-def: $vgpr206_vgpr207
	s_cbranch_execz .LBB109_221
; %bb.220:
	v_div_scale_f64 v[204:205], s[10:11], v[210:211], v[210:211], v[208:209]
	v_rcp_f64_e32 v[206:207], v[204:205]
	v_div_scale_f64 v[212:213], vcc, v[208:209], v[210:211], v[208:209]
	v_fma_f64 v[214:215], -v[204:205], v[206:207], 1.0
	v_fmac_f64_e32 v[206:207], v[206:207], v[214:215]
	v_fma_f64 v[214:215], -v[204:205], v[206:207], 1.0
	v_fmac_f64_e32 v[206:207], v[206:207], v[214:215]
	v_mul_f64 v[214:215], v[212:213], v[206:207]
	v_fma_f64 v[204:205], -v[204:205], v[214:215], v[212:213]
	v_div_fmas_f64 v[204:205], v[204:205], v[206:207], v[214:215]
	v_div_fixup_f64 v[204:205], v[204:205], v[210:211], v[208:209]
	v_fmac_f64_e32 v[210:211], v[208:209], v[204:205]
	v_div_scale_f64 v[206:207], s[10:11], v[210:211], v[210:211], 1.0
	v_rcp_f64_e32 v[208:209], v[206:207]
	s_nop 0
	v_fma_f64 v[212:213], -v[206:207], v[208:209], 1.0
	v_fmac_f64_e32 v[208:209], v[208:209], v[212:213]
	v_fma_f64 v[212:213], -v[206:207], v[208:209], 1.0
	v_fmac_f64_e32 v[208:209], v[208:209], v[212:213]
	v_div_scale_f64 v[212:213], vcc, 1.0, v[210:211], 1.0
	v_mul_f64 v[214:215], v[212:213], v[208:209]
	v_fma_f64 v[206:207], -v[206:207], v[214:215], v[212:213]
	s_nop 1
	v_div_fmas_f64 v[206:207], v[206:207], v[208:209], v[214:215]
	v_div_fixup_f64 v[206:207], v[206:207], v[210:211], 1.0
	v_mul_f64 v[204:205], v[204:205], v[206:207]
	v_xor_b32_e32 v207, 0x80000000, v207
                                        ; implicit-def: $vgpr208_vgpr209
.LBB109_221:
	s_andn2_saveexec_b64 s[2:3], s[2:3]
	s_cbranch_execz .LBB109_223
; %bb.222:
	v_div_scale_f64 v[204:205], s[10:11], v[208:209], v[208:209], v[210:211]
	v_rcp_f64_e32 v[206:207], v[204:205]
	v_div_scale_f64 v[212:213], vcc, v[210:211], v[208:209], v[210:211]
	v_fma_f64 v[214:215], -v[204:205], v[206:207], 1.0
	v_fmac_f64_e32 v[206:207], v[206:207], v[214:215]
	v_fma_f64 v[214:215], -v[204:205], v[206:207], 1.0
	v_fmac_f64_e32 v[206:207], v[206:207], v[214:215]
	v_mul_f64 v[214:215], v[212:213], v[206:207]
	v_fma_f64 v[204:205], -v[204:205], v[214:215], v[212:213]
	v_div_fmas_f64 v[204:205], v[204:205], v[206:207], v[214:215]
	v_div_fixup_f64 v[206:207], v[204:205], v[208:209], v[210:211]
	v_fmac_f64_e32 v[208:209], v[210:211], v[206:207]
	v_div_scale_f64 v[204:205], s[10:11], v[208:209], v[208:209], 1.0
	v_rcp_f64_e32 v[210:211], v[204:205]
	s_nop 0
	v_fma_f64 v[212:213], -v[204:205], v[210:211], 1.0
	v_fmac_f64_e32 v[210:211], v[210:211], v[212:213]
	v_fma_f64 v[212:213], -v[204:205], v[210:211], 1.0
	v_fmac_f64_e32 v[210:211], v[210:211], v[212:213]
	v_div_scale_f64 v[212:213], vcc, 1.0, v[208:209], 1.0
	v_mul_f64 v[214:215], v[212:213], v[210:211]
	v_fma_f64 v[204:205], -v[204:205], v[214:215], v[212:213]
	s_nop 1
	v_div_fmas_f64 v[204:205], v[204:205], v[210:211], v[214:215]
	v_div_fixup_f64 v[204:205], v[204:205], v[208:209], 1.0
	v_mul_f64 v[206:207], v[206:207], -v[204:205]
.LBB109_223:
	s_or_b64 exec, exec, s[2:3]
	ds_write2_b64 v201, v[204:205], v[206:207] offset1:1
.LBB109_224:
	s_or_b64 exec, exec, s[4:5]
	s_waitcnt lgkmcnt(0)
	s_barrier
	ds_read2_b64 v[192:195], v201 offset1:1
	v_cmp_lt_u32_e32 vcc, 24, v200
	s_waitcnt lgkmcnt(0)
	scratch_store_dwordx4 off, v[192:195], off offset:904 ; 16-byte Folded Spill
	s_and_saveexec_b64 s[2:3], vcc
	s_cbranch_execz .LBB109_226
; %bb.225:
	scratch_load_dwordx4 v[192:195], off, off offset:904 ; 16-byte Folded Reload
	s_waitcnt vmcnt(0)
	v_mul_f64 v[204:205], v[194:195], v[118:119]
	v_fma_f64 v[208:209], v[192:193], v[116:117], -v[204:205]
	ds_read2_b64 v[204:207], v202 offset0:50 offset1:51
	v_mul_f64 v[118:119], v[192:193], v[118:119]
	v_fmac_f64_e32 v[118:119], v[194:195], v[116:117]
	s_waitcnt lgkmcnt(0)
	v_mul_f64 v[116:117], v[206:207], v[118:119]
	v_fma_f64 v[116:117], v[204:205], v[208:209], -v[116:117]
	v_mul_f64 v[204:205], v[204:205], v[118:119]
	v_fmac_f64_e32 v[204:205], v[206:207], v[208:209]
	v_add_f64 v[114:115], v[114:115], -v[204:205]
	ds_read2_b64 v[204:207], v202 offset0:52 offset1:53
	v_add_f64 v[112:113], v[112:113], -v[116:117]
	s_waitcnt lgkmcnt(0)
	v_mul_f64 v[116:117], v[206:207], v[118:119]
	v_fma_f64 v[116:117], v[204:205], v[208:209], -v[116:117]
	v_mul_f64 v[204:205], v[204:205], v[118:119]
	v_fmac_f64_e32 v[204:205], v[206:207], v[208:209]
	v_add_f64 v[110:111], v[110:111], -v[204:205]
	ds_read2_b64 v[204:207], v202 offset0:54 offset1:55
	v_add_f64 v[108:109], v[108:109], -v[116:117]
	;; [unrolled: 8-line block ×29, first 2 shown]
	s_waitcnt lgkmcnt(0)
	v_mul_f64 v[116:117], v[206:207], v[118:119]
	v_fma_f64 v[116:117], v[204:205], v[208:209], -v[116:117]
	v_mul_f64 v[204:205], v[204:205], v[118:119]
	v_fmac_f64_e32 v[204:205], v[206:207], v[208:209]
	v_add_f64 v[216:217], v[216:217], -v[116:117]
	v_add_f64 v[218:219], v[218:219], -v[204:205]
	v_mov_b64_e32 v[116:117], v[208:209]
.LBB109_226:
	s_or_b64 exec, exec, s[2:3]
	v_cmp_eq_u32_e32 vcc, 25, v200
	s_waitcnt vmcnt(63) expcnt(7) lgkmcnt(15)
	s_barrier
	s_and_saveexec_b64 s[4:5], vcc
	s_cbranch_execz .LBB109_233
; %bb.227:
	ds_write2_b64 v201, v[112:113], v[114:115] offset1:1
	ds_write2_b64 v202, v[108:109], v[110:111] offset0:52 offset1:53
	ds_write2_b64 v202, v[104:105], v[106:107] offset0:54 offset1:55
	;; [unrolled: 1-line block ×12, first 2 shown]
	s_waitcnt vmcnt(55)
	ds_write2_b64 v202, v[60:61], v[62:63] offset0:76 offset1:77
	s_waitcnt vmcnt(54)
	ds_write2_b64 v202, v[56:57], v[58:59] offset0:78 offset1:79
	;; [unrolled: 2-line block ×12, first 2 shown]
	ds_write2_b64 v202, v[12:13], v[14:15] offset0:100 offset1:101
	ds_write2_b64 v202, v[8:9], v[10:11] offset0:102 offset1:103
	;; [unrolled: 1-line block ×3, first 2 shown]
	s_waitcnt vmcnt(43)
	ds_write2_b64 v202, v[0:1], v[2:3] offset0:106 offset1:107
	s_waitcnt vmcnt(40)
	ds_write2_b64 v202, v[216:217], v[218:219] offset0:108 offset1:109
	ds_read2_b64 v[208:211], v201 offset1:1
	s_waitcnt lgkmcnt(0)
	v_cmp_neq_f64_e32 vcc, 0, v[208:209]
	v_cmp_neq_f64_e64 s[2:3], 0, v[210:211]
	s_or_b64 s[2:3], vcc, s[2:3]
	s_and_b64 exec, exec, s[2:3]
	s_cbranch_execz .LBB109_233
; %bb.228:
	v_cmp_ngt_f64_e64 s[2:3], |v[208:209]|, |v[210:211]|
                                        ; implicit-def: $vgpr204_vgpr205
	s_and_saveexec_b64 s[10:11], s[2:3]
	s_xor_b64 s[2:3], exec, s[10:11]
                                        ; implicit-def: $vgpr206_vgpr207
	s_cbranch_execz .LBB109_230
; %bb.229:
	v_div_scale_f64 v[204:205], s[10:11], v[210:211], v[210:211], v[208:209]
	v_rcp_f64_e32 v[206:207], v[204:205]
	v_div_scale_f64 v[212:213], vcc, v[208:209], v[210:211], v[208:209]
	v_fma_f64 v[214:215], -v[204:205], v[206:207], 1.0
	v_fmac_f64_e32 v[206:207], v[206:207], v[214:215]
	v_fma_f64 v[214:215], -v[204:205], v[206:207], 1.0
	v_fmac_f64_e32 v[206:207], v[206:207], v[214:215]
	v_mul_f64 v[214:215], v[212:213], v[206:207]
	v_fma_f64 v[204:205], -v[204:205], v[214:215], v[212:213]
	v_div_fmas_f64 v[204:205], v[204:205], v[206:207], v[214:215]
	v_div_fixup_f64 v[204:205], v[204:205], v[210:211], v[208:209]
	v_fmac_f64_e32 v[210:211], v[208:209], v[204:205]
	v_div_scale_f64 v[206:207], s[10:11], v[210:211], v[210:211], 1.0
	v_rcp_f64_e32 v[208:209], v[206:207]
	s_nop 0
	v_fma_f64 v[212:213], -v[206:207], v[208:209], 1.0
	v_fmac_f64_e32 v[208:209], v[208:209], v[212:213]
	v_fma_f64 v[212:213], -v[206:207], v[208:209], 1.0
	v_fmac_f64_e32 v[208:209], v[208:209], v[212:213]
	v_div_scale_f64 v[212:213], vcc, 1.0, v[210:211], 1.0
	v_mul_f64 v[214:215], v[212:213], v[208:209]
	v_fma_f64 v[206:207], -v[206:207], v[214:215], v[212:213]
	s_nop 1
	v_div_fmas_f64 v[206:207], v[206:207], v[208:209], v[214:215]
	v_div_fixup_f64 v[206:207], v[206:207], v[210:211], 1.0
	v_mul_f64 v[204:205], v[204:205], v[206:207]
	v_xor_b32_e32 v207, 0x80000000, v207
                                        ; implicit-def: $vgpr208_vgpr209
.LBB109_230:
	s_andn2_saveexec_b64 s[2:3], s[2:3]
	s_cbranch_execz .LBB109_232
; %bb.231:
	v_div_scale_f64 v[204:205], s[10:11], v[208:209], v[208:209], v[210:211]
	v_rcp_f64_e32 v[206:207], v[204:205]
	v_div_scale_f64 v[212:213], vcc, v[210:211], v[208:209], v[210:211]
	v_fma_f64 v[214:215], -v[204:205], v[206:207], 1.0
	v_fmac_f64_e32 v[206:207], v[206:207], v[214:215]
	v_fma_f64 v[214:215], -v[204:205], v[206:207], 1.0
	v_fmac_f64_e32 v[206:207], v[206:207], v[214:215]
	v_mul_f64 v[214:215], v[212:213], v[206:207]
	v_fma_f64 v[204:205], -v[204:205], v[214:215], v[212:213]
	v_div_fmas_f64 v[204:205], v[204:205], v[206:207], v[214:215]
	v_div_fixup_f64 v[206:207], v[204:205], v[208:209], v[210:211]
	v_fmac_f64_e32 v[208:209], v[210:211], v[206:207]
	v_div_scale_f64 v[204:205], s[10:11], v[208:209], v[208:209], 1.0
	v_rcp_f64_e32 v[210:211], v[204:205]
	s_nop 0
	v_fma_f64 v[212:213], -v[204:205], v[210:211], 1.0
	v_fmac_f64_e32 v[210:211], v[210:211], v[212:213]
	v_fma_f64 v[212:213], -v[204:205], v[210:211], 1.0
	v_fmac_f64_e32 v[210:211], v[210:211], v[212:213]
	v_div_scale_f64 v[212:213], vcc, 1.0, v[208:209], 1.0
	v_mul_f64 v[214:215], v[212:213], v[210:211]
	v_fma_f64 v[204:205], -v[204:205], v[214:215], v[212:213]
	s_nop 1
	v_div_fmas_f64 v[204:205], v[204:205], v[210:211], v[214:215]
	v_div_fixup_f64 v[204:205], v[204:205], v[208:209], 1.0
	v_mul_f64 v[206:207], v[206:207], -v[204:205]
.LBB109_232:
	s_or_b64 exec, exec, s[2:3]
	ds_write2_b64 v201, v[204:205], v[206:207] offset1:1
.LBB109_233:
	s_or_b64 exec, exec, s[4:5]
	s_waitcnt lgkmcnt(0)
	s_barrier
	ds_read2_b64 v[192:195], v201 offset1:1
	v_cmp_lt_u32_e32 vcc, 25, v200
	s_waitcnt lgkmcnt(0)
	scratch_store_dwordx4 off, v[192:195], off offset:920 ; 16-byte Folded Spill
	s_and_saveexec_b64 s[2:3], vcc
	s_cbranch_execz .LBB109_235
; %bb.234:
	scratch_load_dwordx4 v[192:195], off, off offset:920 ; 16-byte Folded Reload
	s_waitcnt vmcnt(0)
	v_mul_f64 v[204:205], v[194:195], v[114:115]
	v_fma_f64 v[208:209], v[192:193], v[112:113], -v[204:205]
	ds_read2_b64 v[204:207], v202 offset0:52 offset1:53
	v_mul_f64 v[114:115], v[192:193], v[114:115]
	v_fmac_f64_e32 v[114:115], v[194:195], v[112:113]
	s_waitcnt lgkmcnt(0)
	v_mul_f64 v[112:113], v[206:207], v[114:115]
	v_fma_f64 v[112:113], v[204:205], v[208:209], -v[112:113]
	v_mul_f64 v[204:205], v[204:205], v[114:115]
	v_fmac_f64_e32 v[204:205], v[206:207], v[208:209]
	v_add_f64 v[110:111], v[110:111], -v[204:205]
	ds_read2_b64 v[204:207], v202 offset0:54 offset1:55
	v_add_f64 v[108:109], v[108:109], -v[112:113]
	s_waitcnt lgkmcnt(0)
	v_mul_f64 v[112:113], v[206:207], v[114:115]
	v_fma_f64 v[112:113], v[204:205], v[208:209], -v[112:113]
	v_mul_f64 v[204:205], v[204:205], v[114:115]
	v_fmac_f64_e32 v[204:205], v[206:207], v[208:209]
	v_add_f64 v[106:107], v[106:107], -v[204:205]
	ds_read2_b64 v[204:207], v202 offset0:56 offset1:57
	v_add_f64 v[104:105], v[104:105], -v[112:113]
	;; [unrolled: 8-line block ×28, first 2 shown]
	s_waitcnt lgkmcnt(0)
	v_mul_f64 v[112:113], v[206:207], v[114:115]
	v_fma_f64 v[112:113], v[204:205], v[208:209], -v[112:113]
	v_mul_f64 v[204:205], v[204:205], v[114:115]
	v_fmac_f64_e32 v[204:205], v[206:207], v[208:209]
	v_add_f64 v[216:217], v[216:217], -v[112:113]
	v_add_f64 v[218:219], v[218:219], -v[204:205]
	v_mov_b64_e32 v[112:113], v[208:209]
.LBB109_235:
	s_or_b64 exec, exec, s[2:3]
	v_cmp_eq_u32_e32 vcc, 26, v200
	s_waitcnt vmcnt(63) expcnt(7) lgkmcnt(15)
	s_barrier
	s_and_saveexec_b64 s[4:5], vcc
	s_cbranch_execz .LBB109_242
; %bb.236:
	ds_write2_b64 v201, v[108:109], v[110:111] offset1:1
	ds_write2_b64 v202, v[104:105], v[106:107] offset0:54 offset1:55
	ds_write2_b64 v202, v[100:101], v[102:103] offset0:56 offset1:57
	;; [unrolled: 1-line block ×11, first 2 shown]
	s_waitcnt vmcnt(56)
	ds_write2_b64 v202, v[60:61], v[62:63] offset0:76 offset1:77
	s_waitcnt vmcnt(55)
	ds_write2_b64 v202, v[56:57], v[58:59] offset0:78 offset1:79
	;; [unrolled: 2-line block ×12, first 2 shown]
	ds_write2_b64 v202, v[12:13], v[14:15] offset0:100 offset1:101
	ds_write2_b64 v202, v[8:9], v[10:11] offset0:102 offset1:103
	;; [unrolled: 1-line block ×3, first 2 shown]
	s_waitcnt vmcnt(44)
	ds_write2_b64 v202, v[0:1], v[2:3] offset0:106 offset1:107
	s_waitcnt vmcnt(41)
	ds_write2_b64 v202, v[216:217], v[218:219] offset0:108 offset1:109
	ds_read2_b64 v[208:211], v201 offset1:1
	s_waitcnt lgkmcnt(0)
	v_cmp_neq_f64_e32 vcc, 0, v[208:209]
	v_cmp_neq_f64_e64 s[2:3], 0, v[210:211]
	s_or_b64 s[2:3], vcc, s[2:3]
	s_and_b64 exec, exec, s[2:3]
	s_cbranch_execz .LBB109_242
; %bb.237:
	v_cmp_ngt_f64_e64 s[2:3], |v[208:209]|, |v[210:211]|
                                        ; implicit-def: $vgpr204_vgpr205
	s_and_saveexec_b64 s[10:11], s[2:3]
	s_xor_b64 s[2:3], exec, s[10:11]
                                        ; implicit-def: $vgpr206_vgpr207
	s_cbranch_execz .LBB109_239
; %bb.238:
	v_div_scale_f64 v[204:205], s[10:11], v[210:211], v[210:211], v[208:209]
	v_rcp_f64_e32 v[206:207], v[204:205]
	v_div_scale_f64 v[212:213], vcc, v[208:209], v[210:211], v[208:209]
	v_fma_f64 v[214:215], -v[204:205], v[206:207], 1.0
	v_fmac_f64_e32 v[206:207], v[206:207], v[214:215]
	v_fma_f64 v[214:215], -v[204:205], v[206:207], 1.0
	v_fmac_f64_e32 v[206:207], v[206:207], v[214:215]
	v_mul_f64 v[214:215], v[212:213], v[206:207]
	v_fma_f64 v[204:205], -v[204:205], v[214:215], v[212:213]
	v_div_fmas_f64 v[204:205], v[204:205], v[206:207], v[214:215]
	v_div_fixup_f64 v[204:205], v[204:205], v[210:211], v[208:209]
	v_fmac_f64_e32 v[210:211], v[208:209], v[204:205]
	v_div_scale_f64 v[206:207], s[10:11], v[210:211], v[210:211], 1.0
	v_rcp_f64_e32 v[208:209], v[206:207]
	s_nop 0
	v_fma_f64 v[212:213], -v[206:207], v[208:209], 1.0
	v_fmac_f64_e32 v[208:209], v[208:209], v[212:213]
	v_fma_f64 v[212:213], -v[206:207], v[208:209], 1.0
	v_fmac_f64_e32 v[208:209], v[208:209], v[212:213]
	v_div_scale_f64 v[212:213], vcc, 1.0, v[210:211], 1.0
	v_mul_f64 v[214:215], v[212:213], v[208:209]
	v_fma_f64 v[206:207], -v[206:207], v[214:215], v[212:213]
	s_nop 1
	v_div_fmas_f64 v[206:207], v[206:207], v[208:209], v[214:215]
	v_div_fixup_f64 v[206:207], v[206:207], v[210:211], 1.0
	v_mul_f64 v[204:205], v[204:205], v[206:207]
	v_xor_b32_e32 v207, 0x80000000, v207
                                        ; implicit-def: $vgpr208_vgpr209
.LBB109_239:
	s_andn2_saveexec_b64 s[2:3], s[2:3]
	s_cbranch_execz .LBB109_241
; %bb.240:
	v_div_scale_f64 v[204:205], s[10:11], v[208:209], v[208:209], v[210:211]
	v_rcp_f64_e32 v[206:207], v[204:205]
	v_div_scale_f64 v[212:213], vcc, v[210:211], v[208:209], v[210:211]
	v_fma_f64 v[214:215], -v[204:205], v[206:207], 1.0
	v_fmac_f64_e32 v[206:207], v[206:207], v[214:215]
	v_fma_f64 v[214:215], -v[204:205], v[206:207], 1.0
	v_fmac_f64_e32 v[206:207], v[206:207], v[214:215]
	v_mul_f64 v[214:215], v[212:213], v[206:207]
	v_fma_f64 v[204:205], -v[204:205], v[214:215], v[212:213]
	v_div_fmas_f64 v[204:205], v[204:205], v[206:207], v[214:215]
	v_div_fixup_f64 v[206:207], v[204:205], v[208:209], v[210:211]
	v_fmac_f64_e32 v[208:209], v[210:211], v[206:207]
	v_div_scale_f64 v[204:205], s[10:11], v[208:209], v[208:209], 1.0
	v_rcp_f64_e32 v[210:211], v[204:205]
	s_nop 0
	v_fma_f64 v[212:213], -v[204:205], v[210:211], 1.0
	v_fmac_f64_e32 v[210:211], v[210:211], v[212:213]
	v_fma_f64 v[212:213], -v[204:205], v[210:211], 1.0
	v_fmac_f64_e32 v[210:211], v[210:211], v[212:213]
	v_div_scale_f64 v[212:213], vcc, 1.0, v[208:209], 1.0
	v_mul_f64 v[214:215], v[212:213], v[210:211]
	v_fma_f64 v[204:205], -v[204:205], v[214:215], v[212:213]
	s_nop 1
	v_div_fmas_f64 v[204:205], v[204:205], v[210:211], v[214:215]
	v_div_fixup_f64 v[204:205], v[204:205], v[208:209], 1.0
	v_mul_f64 v[206:207], v[206:207], -v[204:205]
.LBB109_241:
	s_or_b64 exec, exec, s[2:3]
	ds_write2_b64 v201, v[204:205], v[206:207] offset1:1
.LBB109_242:
	s_or_b64 exec, exec, s[4:5]
	s_waitcnt lgkmcnt(0)
	s_barrier
	ds_read2_b64 v[192:195], v201 offset1:1
	v_cmp_lt_u32_e32 vcc, 26, v200
	s_waitcnt lgkmcnt(0)
	scratch_store_dwordx4 off, v[192:195], off offset:936 ; 16-byte Folded Spill
	s_and_saveexec_b64 s[2:3], vcc
	s_cbranch_execz .LBB109_244
; %bb.243:
	scratch_load_dwordx4 v[192:195], off, off offset:936 ; 16-byte Folded Reload
	s_waitcnt vmcnt(0)
	v_mul_f64 v[204:205], v[194:195], v[110:111]
	v_fma_f64 v[208:209], v[192:193], v[108:109], -v[204:205]
	ds_read2_b64 v[204:207], v202 offset0:54 offset1:55
	v_mul_f64 v[110:111], v[192:193], v[110:111]
	v_fmac_f64_e32 v[110:111], v[194:195], v[108:109]
	s_waitcnt lgkmcnt(0)
	v_mul_f64 v[108:109], v[206:207], v[110:111]
	v_fma_f64 v[108:109], v[204:205], v[208:209], -v[108:109]
	v_mul_f64 v[204:205], v[204:205], v[110:111]
	v_fmac_f64_e32 v[204:205], v[206:207], v[208:209]
	v_add_f64 v[106:107], v[106:107], -v[204:205]
	ds_read2_b64 v[204:207], v202 offset0:56 offset1:57
	v_add_f64 v[104:105], v[104:105], -v[108:109]
	s_waitcnt lgkmcnt(0)
	v_mul_f64 v[108:109], v[206:207], v[110:111]
	v_fma_f64 v[108:109], v[204:205], v[208:209], -v[108:109]
	v_mul_f64 v[204:205], v[204:205], v[110:111]
	v_fmac_f64_e32 v[204:205], v[206:207], v[208:209]
	v_add_f64 v[102:103], v[102:103], -v[204:205]
	ds_read2_b64 v[204:207], v202 offset0:58 offset1:59
	v_add_f64 v[100:101], v[100:101], -v[108:109]
	;; [unrolled: 8-line block ×27, first 2 shown]
	s_waitcnt lgkmcnt(0)
	v_mul_f64 v[108:109], v[206:207], v[110:111]
	v_fma_f64 v[108:109], v[204:205], v[208:209], -v[108:109]
	v_mul_f64 v[204:205], v[204:205], v[110:111]
	v_fmac_f64_e32 v[204:205], v[206:207], v[208:209]
	v_add_f64 v[216:217], v[216:217], -v[108:109]
	v_add_f64 v[218:219], v[218:219], -v[204:205]
	v_mov_b64_e32 v[108:109], v[208:209]
.LBB109_244:
	s_or_b64 exec, exec, s[2:3]
	v_cmp_eq_u32_e32 vcc, 27, v200
	s_waitcnt vmcnt(63) expcnt(7) lgkmcnt(15)
	s_barrier
	s_and_saveexec_b64 s[4:5], vcc
	s_cbranch_execz .LBB109_251
; %bb.245:
	ds_write2_b64 v201, v[104:105], v[106:107] offset1:1
	ds_write2_b64 v202, v[100:101], v[102:103] offset0:56 offset1:57
	ds_write2_b64 v202, v[96:97], v[98:99] offset0:58 offset1:59
	;; [unrolled: 1-line block ×10, first 2 shown]
	s_waitcnt vmcnt(57)
	ds_write2_b64 v202, v[60:61], v[62:63] offset0:76 offset1:77
	s_waitcnt vmcnt(56)
	ds_write2_b64 v202, v[56:57], v[58:59] offset0:78 offset1:79
	s_waitcnt vmcnt(55)
	ds_write2_b64 v202, v[52:53], v[54:55] offset0:80 offset1:81
	s_waitcnt vmcnt(54)
	ds_write2_b64 v202, v[48:49], v[50:51] offset0:82 offset1:83
	s_waitcnt vmcnt(53)
	ds_write2_b64 v202, v[44:45], v[46:47] offset0:84 offset1:85
	s_waitcnt vmcnt(52)
	ds_write2_b64 v202, v[40:41], v[42:43] offset0:86 offset1:87
	s_waitcnt vmcnt(51)
	ds_write2_b64 v202, v[36:37], v[38:39] offset0:88 offset1:89
	s_waitcnt vmcnt(50)
	ds_write2_b64 v202, v[32:33], v[34:35] offset0:90 offset1:91
	s_waitcnt vmcnt(49)
	ds_write2_b64 v202, v[28:29], v[30:31] offset0:92 offset1:93
	s_waitcnt vmcnt(48)
	ds_write2_b64 v202, v[24:25], v[26:27] offset0:94 offset1:95
	s_waitcnt vmcnt(47)
	ds_write2_b64 v202, v[20:21], v[22:23] offset0:96 offset1:97
	s_waitcnt vmcnt(46)
	ds_write2_b64 v202, v[16:17], v[18:19] offset0:98 offset1:99
	ds_write2_b64 v202, v[12:13], v[14:15] offset0:100 offset1:101
	ds_write2_b64 v202, v[8:9], v[10:11] offset0:102 offset1:103
	ds_write2_b64 v202, v[4:5], v[6:7] offset0:104 offset1:105
	s_waitcnt vmcnt(45)
	ds_write2_b64 v202, v[0:1], v[2:3] offset0:106 offset1:107
	s_waitcnt vmcnt(42)
	ds_write2_b64 v202, v[216:217], v[218:219] offset0:108 offset1:109
	ds_read2_b64 v[208:211], v201 offset1:1
	s_waitcnt lgkmcnt(0)
	v_cmp_neq_f64_e32 vcc, 0, v[208:209]
	v_cmp_neq_f64_e64 s[2:3], 0, v[210:211]
	s_or_b64 s[2:3], vcc, s[2:3]
	s_and_b64 exec, exec, s[2:3]
	s_cbranch_execz .LBB109_251
; %bb.246:
	v_cmp_ngt_f64_e64 s[2:3], |v[208:209]|, |v[210:211]|
                                        ; implicit-def: $vgpr204_vgpr205
	s_and_saveexec_b64 s[10:11], s[2:3]
	s_xor_b64 s[2:3], exec, s[10:11]
                                        ; implicit-def: $vgpr206_vgpr207
	s_cbranch_execz .LBB109_248
; %bb.247:
	v_div_scale_f64 v[204:205], s[10:11], v[210:211], v[210:211], v[208:209]
	v_rcp_f64_e32 v[206:207], v[204:205]
	v_div_scale_f64 v[212:213], vcc, v[208:209], v[210:211], v[208:209]
	v_fma_f64 v[214:215], -v[204:205], v[206:207], 1.0
	v_fmac_f64_e32 v[206:207], v[206:207], v[214:215]
	v_fma_f64 v[214:215], -v[204:205], v[206:207], 1.0
	v_fmac_f64_e32 v[206:207], v[206:207], v[214:215]
	v_mul_f64 v[214:215], v[212:213], v[206:207]
	v_fma_f64 v[204:205], -v[204:205], v[214:215], v[212:213]
	v_div_fmas_f64 v[204:205], v[204:205], v[206:207], v[214:215]
	v_div_fixup_f64 v[204:205], v[204:205], v[210:211], v[208:209]
	v_fmac_f64_e32 v[210:211], v[208:209], v[204:205]
	v_div_scale_f64 v[206:207], s[10:11], v[210:211], v[210:211], 1.0
	v_rcp_f64_e32 v[208:209], v[206:207]
	s_nop 0
	v_fma_f64 v[212:213], -v[206:207], v[208:209], 1.0
	v_fmac_f64_e32 v[208:209], v[208:209], v[212:213]
	v_fma_f64 v[212:213], -v[206:207], v[208:209], 1.0
	v_fmac_f64_e32 v[208:209], v[208:209], v[212:213]
	v_div_scale_f64 v[212:213], vcc, 1.0, v[210:211], 1.0
	v_mul_f64 v[214:215], v[212:213], v[208:209]
	v_fma_f64 v[206:207], -v[206:207], v[214:215], v[212:213]
	s_nop 1
	v_div_fmas_f64 v[206:207], v[206:207], v[208:209], v[214:215]
	v_div_fixup_f64 v[206:207], v[206:207], v[210:211], 1.0
	v_mul_f64 v[204:205], v[204:205], v[206:207]
	v_xor_b32_e32 v207, 0x80000000, v207
                                        ; implicit-def: $vgpr208_vgpr209
.LBB109_248:
	s_andn2_saveexec_b64 s[2:3], s[2:3]
	s_cbranch_execz .LBB109_250
; %bb.249:
	v_div_scale_f64 v[204:205], s[10:11], v[208:209], v[208:209], v[210:211]
	v_rcp_f64_e32 v[206:207], v[204:205]
	v_div_scale_f64 v[212:213], vcc, v[210:211], v[208:209], v[210:211]
	v_fma_f64 v[214:215], -v[204:205], v[206:207], 1.0
	v_fmac_f64_e32 v[206:207], v[206:207], v[214:215]
	v_fma_f64 v[214:215], -v[204:205], v[206:207], 1.0
	v_fmac_f64_e32 v[206:207], v[206:207], v[214:215]
	v_mul_f64 v[214:215], v[212:213], v[206:207]
	v_fma_f64 v[204:205], -v[204:205], v[214:215], v[212:213]
	v_div_fmas_f64 v[204:205], v[204:205], v[206:207], v[214:215]
	v_div_fixup_f64 v[206:207], v[204:205], v[208:209], v[210:211]
	v_fmac_f64_e32 v[208:209], v[210:211], v[206:207]
	v_div_scale_f64 v[204:205], s[10:11], v[208:209], v[208:209], 1.0
	v_rcp_f64_e32 v[210:211], v[204:205]
	s_nop 0
	v_fma_f64 v[212:213], -v[204:205], v[210:211], 1.0
	v_fmac_f64_e32 v[210:211], v[210:211], v[212:213]
	v_fma_f64 v[212:213], -v[204:205], v[210:211], 1.0
	v_fmac_f64_e32 v[210:211], v[210:211], v[212:213]
	v_div_scale_f64 v[212:213], vcc, 1.0, v[208:209], 1.0
	v_mul_f64 v[214:215], v[212:213], v[210:211]
	v_fma_f64 v[204:205], -v[204:205], v[214:215], v[212:213]
	s_nop 1
	v_div_fmas_f64 v[204:205], v[204:205], v[210:211], v[214:215]
	v_div_fixup_f64 v[204:205], v[204:205], v[208:209], 1.0
	v_mul_f64 v[206:207], v[206:207], -v[204:205]
.LBB109_250:
	s_or_b64 exec, exec, s[2:3]
	ds_write2_b64 v201, v[204:205], v[206:207] offset1:1
.LBB109_251:
	s_or_b64 exec, exec, s[4:5]
	s_waitcnt lgkmcnt(0)
	s_barrier
	ds_read2_b64 v[192:195], v201 offset1:1
	v_cmp_lt_u32_e32 vcc, 27, v200
	s_waitcnt lgkmcnt(0)
	scratch_store_dwordx4 off, v[192:195], off offset:952 ; 16-byte Folded Spill
	s_and_saveexec_b64 s[2:3], vcc
	s_cbranch_execz .LBB109_253
; %bb.252:
	scratch_load_dwordx4 v[192:195], off, off offset:952 ; 16-byte Folded Reload
	s_waitcnt vmcnt(0)
	v_mul_f64 v[204:205], v[194:195], v[106:107]
	v_fma_f64 v[208:209], v[192:193], v[104:105], -v[204:205]
	ds_read2_b64 v[204:207], v202 offset0:56 offset1:57
	v_mul_f64 v[106:107], v[192:193], v[106:107]
	v_fmac_f64_e32 v[106:107], v[194:195], v[104:105]
	s_waitcnt lgkmcnt(0)
	v_mul_f64 v[104:105], v[206:207], v[106:107]
	v_fma_f64 v[104:105], v[204:205], v[208:209], -v[104:105]
	v_mul_f64 v[204:205], v[204:205], v[106:107]
	v_fmac_f64_e32 v[204:205], v[206:207], v[208:209]
	v_add_f64 v[102:103], v[102:103], -v[204:205]
	ds_read2_b64 v[204:207], v202 offset0:58 offset1:59
	v_add_f64 v[100:101], v[100:101], -v[104:105]
	s_waitcnt lgkmcnt(0)
	v_mul_f64 v[104:105], v[206:207], v[106:107]
	v_fma_f64 v[104:105], v[204:205], v[208:209], -v[104:105]
	v_mul_f64 v[204:205], v[204:205], v[106:107]
	v_fmac_f64_e32 v[204:205], v[206:207], v[208:209]
	v_add_f64 v[98:99], v[98:99], -v[204:205]
	ds_read2_b64 v[204:207], v202 offset0:60 offset1:61
	v_add_f64 v[96:97], v[96:97], -v[104:105]
	s_waitcnt lgkmcnt(0)
	v_mul_f64 v[104:105], v[206:207], v[106:107]
	v_fma_f64 v[104:105], v[204:205], v[208:209], -v[104:105]
	v_mul_f64 v[204:205], v[204:205], v[106:107]
	v_fmac_f64_e32 v[204:205], v[206:207], v[208:209]
	v_add_f64 v[94:95], v[94:95], -v[204:205]
	ds_read2_b64 v[204:207], v202 offset0:62 offset1:63
	v_add_f64 v[92:93], v[92:93], -v[104:105]
	s_waitcnt lgkmcnt(0)
	v_mul_f64 v[104:105], v[206:207], v[106:107]
	v_fma_f64 v[104:105], v[204:205], v[208:209], -v[104:105]
	v_mul_f64 v[204:205], v[204:205], v[106:107]
	v_fmac_f64_e32 v[204:205], v[206:207], v[208:209]
	v_add_f64 v[90:91], v[90:91], -v[204:205]
	ds_read2_b64 v[204:207], v202 offset0:64 offset1:65
	v_add_f64 v[88:89], v[88:89], -v[104:105]
	s_waitcnt lgkmcnt(0)
	v_mul_f64 v[104:105], v[206:207], v[106:107]
	v_fma_f64 v[104:105], v[204:205], v[208:209], -v[104:105]
	v_mul_f64 v[204:205], v[204:205], v[106:107]
	v_fmac_f64_e32 v[204:205], v[206:207], v[208:209]
	v_add_f64 v[86:87], v[86:87], -v[204:205]
	ds_read2_b64 v[204:207], v202 offset0:66 offset1:67
	v_add_f64 v[84:85], v[84:85], -v[104:105]
	s_waitcnt lgkmcnt(0)
	v_mul_f64 v[104:105], v[206:207], v[106:107]
	v_fma_f64 v[104:105], v[204:205], v[208:209], -v[104:105]
	v_mul_f64 v[204:205], v[204:205], v[106:107]
	v_fmac_f64_e32 v[204:205], v[206:207], v[208:209]
	v_add_f64 v[82:83], v[82:83], -v[204:205]
	ds_read2_b64 v[204:207], v202 offset0:68 offset1:69
	v_add_f64 v[80:81], v[80:81], -v[104:105]
	s_waitcnt lgkmcnt(0)
	v_mul_f64 v[104:105], v[206:207], v[106:107]
	v_fma_f64 v[104:105], v[204:205], v[208:209], -v[104:105]
	v_mul_f64 v[204:205], v[204:205], v[106:107]
	v_fmac_f64_e32 v[204:205], v[206:207], v[208:209]
	v_add_f64 v[78:79], v[78:79], -v[204:205]
	ds_read2_b64 v[204:207], v202 offset0:70 offset1:71
	v_add_f64 v[76:77], v[76:77], -v[104:105]
	s_waitcnt lgkmcnt(0)
	v_mul_f64 v[104:105], v[206:207], v[106:107]
	v_fma_f64 v[104:105], v[204:205], v[208:209], -v[104:105]
	v_mul_f64 v[204:205], v[204:205], v[106:107]
	v_fmac_f64_e32 v[204:205], v[206:207], v[208:209]
	v_add_f64 v[74:75], v[74:75], -v[204:205]
	ds_read2_b64 v[204:207], v202 offset0:72 offset1:73
	v_add_f64 v[72:73], v[72:73], -v[104:105]
	s_waitcnt lgkmcnt(0)
	v_mul_f64 v[104:105], v[206:207], v[106:107]
	v_fma_f64 v[104:105], v[204:205], v[208:209], -v[104:105]
	v_mul_f64 v[204:205], v[204:205], v[106:107]
	v_fmac_f64_e32 v[204:205], v[206:207], v[208:209]
	v_add_f64 v[70:71], v[70:71], -v[204:205]
	ds_read2_b64 v[204:207], v202 offset0:74 offset1:75
	v_add_f64 v[68:69], v[68:69], -v[104:105]
	s_waitcnt lgkmcnt(0)
	v_mul_f64 v[104:105], v[206:207], v[106:107]
	v_fma_f64 v[104:105], v[204:205], v[208:209], -v[104:105]
	v_mul_f64 v[204:205], v[204:205], v[106:107]
	v_fmac_f64_e32 v[204:205], v[206:207], v[208:209]
	v_add_f64 v[66:67], v[66:67], -v[204:205]
	ds_read2_b64 v[204:207], v202 offset0:76 offset1:77
	v_add_f64 v[64:65], v[64:65], -v[104:105]
	s_waitcnt lgkmcnt(0)
	v_mul_f64 v[104:105], v[206:207], v[106:107]
	v_fma_f64 v[104:105], v[204:205], v[208:209], -v[104:105]
	v_mul_f64 v[204:205], v[204:205], v[106:107]
	v_fmac_f64_e32 v[204:205], v[206:207], v[208:209]
	v_add_f64 v[62:63], v[62:63], -v[204:205]
	ds_read2_b64 v[204:207], v202 offset0:78 offset1:79
	v_add_f64 v[60:61], v[60:61], -v[104:105]
	s_waitcnt lgkmcnt(0)
	v_mul_f64 v[104:105], v[206:207], v[106:107]
	v_fma_f64 v[104:105], v[204:205], v[208:209], -v[104:105]
	v_mul_f64 v[204:205], v[204:205], v[106:107]
	v_fmac_f64_e32 v[204:205], v[206:207], v[208:209]
	v_add_f64 v[58:59], v[58:59], -v[204:205]
	ds_read2_b64 v[204:207], v202 offset0:80 offset1:81
	v_add_f64 v[56:57], v[56:57], -v[104:105]
	s_waitcnt lgkmcnt(0)
	v_mul_f64 v[104:105], v[206:207], v[106:107]
	v_fma_f64 v[104:105], v[204:205], v[208:209], -v[104:105]
	v_mul_f64 v[204:205], v[204:205], v[106:107]
	v_fmac_f64_e32 v[204:205], v[206:207], v[208:209]
	v_add_f64 v[54:55], v[54:55], -v[204:205]
	ds_read2_b64 v[204:207], v202 offset0:82 offset1:83
	v_add_f64 v[52:53], v[52:53], -v[104:105]
	s_waitcnt lgkmcnt(0)
	v_mul_f64 v[104:105], v[206:207], v[106:107]
	v_fma_f64 v[104:105], v[204:205], v[208:209], -v[104:105]
	v_mul_f64 v[204:205], v[204:205], v[106:107]
	v_fmac_f64_e32 v[204:205], v[206:207], v[208:209]
	v_add_f64 v[50:51], v[50:51], -v[204:205]
	ds_read2_b64 v[204:207], v202 offset0:84 offset1:85
	v_add_f64 v[48:49], v[48:49], -v[104:105]
	s_waitcnt lgkmcnt(0)
	v_mul_f64 v[104:105], v[206:207], v[106:107]
	v_fma_f64 v[104:105], v[204:205], v[208:209], -v[104:105]
	v_mul_f64 v[204:205], v[204:205], v[106:107]
	v_fmac_f64_e32 v[204:205], v[206:207], v[208:209]
	v_add_f64 v[46:47], v[46:47], -v[204:205]
	ds_read2_b64 v[204:207], v202 offset0:86 offset1:87
	v_add_f64 v[44:45], v[44:45], -v[104:105]
	s_waitcnt lgkmcnt(0)
	v_mul_f64 v[104:105], v[206:207], v[106:107]
	v_fma_f64 v[104:105], v[204:205], v[208:209], -v[104:105]
	v_mul_f64 v[204:205], v[204:205], v[106:107]
	v_fmac_f64_e32 v[204:205], v[206:207], v[208:209]
	v_add_f64 v[42:43], v[42:43], -v[204:205]
	ds_read2_b64 v[204:207], v202 offset0:88 offset1:89
	v_add_f64 v[40:41], v[40:41], -v[104:105]
	s_waitcnt lgkmcnt(0)
	v_mul_f64 v[104:105], v[206:207], v[106:107]
	v_fma_f64 v[104:105], v[204:205], v[208:209], -v[104:105]
	v_mul_f64 v[204:205], v[204:205], v[106:107]
	v_fmac_f64_e32 v[204:205], v[206:207], v[208:209]
	v_add_f64 v[38:39], v[38:39], -v[204:205]
	ds_read2_b64 v[204:207], v202 offset0:90 offset1:91
	v_add_f64 v[36:37], v[36:37], -v[104:105]
	s_waitcnt lgkmcnt(0)
	v_mul_f64 v[104:105], v[206:207], v[106:107]
	v_fma_f64 v[104:105], v[204:205], v[208:209], -v[104:105]
	v_mul_f64 v[204:205], v[204:205], v[106:107]
	v_fmac_f64_e32 v[204:205], v[206:207], v[208:209]
	v_add_f64 v[34:35], v[34:35], -v[204:205]
	ds_read2_b64 v[204:207], v202 offset0:92 offset1:93
	v_add_f64 v[32:33], v[32:33], -v[104:105]
	s_waitcnt lgkmcnt(0)
	v_mul_f64 v[104:105], v[206:207], v[106:107]
	v_fma_f64 v[104:105], v[204:205], v[208:209], -v[104:105]
	v_mul_f64 v[204:205], v[204:205], v[106:107]
	v_fmac_f64_e32 v[204:205], v[206:207], v[208:209]
	v_add_f64 v[30:31], v[30:31], -v[204:205]
	ds_read2_b64 v[204:207], v202 offset0:94 offset1:95
	v_add_f64 v[28:29], v[28:29], -v[104:105]
	s_waitcnt lgkmcnt(0)
	v_mul_f64 v[104:105], v[206:207], v[106:107]
	v_fma_f64 v[104:105], v[204:205], v[208:209], -v[104:105]
	v_mul_f64 v[204:205], v[204:205], v[106:107]
	v_fmac_f64_e32 v[204:205], v[206:207], v[208:209]
	v_add_f64 v[26:27], v[26:27], -v[204:205]
	ds_read2_b64 v[204:207], v202 offset0:96 offset1:97
	v_add_f64 v[24:25], v[24:25], -v[104:105]
	s_waitcnt lgkmcnt(0)
	v_mul_f64 v[104:105], v[206:207], v[106:107]
	v_fma_f64 v[104:105], v[204:205], v[208:209], -v[104:105]
	v_mul_f64 v[204:205], v[204:205], v[106:107]
	v_fmac_f64_e32 v[204:205], v[206:207], v[208:209]
	v_add_f64 v[22:23], v[22:23], -v[204:205]
	ds_read2_b64 v[204:207], v202 offset0:98 offset1:99
	v_add_f64 v[20:21], v[20:21], -v[104:105]
	s_waitcnt lgkmcnt(0)
	v_mul_f64 v[104:105], v[206:207], v[106:107]
	v_fma_f64 v[104:105], v[204:205], v[208:209], -v[104:105]
	v_mul_f64 v[204:205], v[204:205], v[106:107]
	v_fmac_f64_e32 v[204:205], v[206:207], v[208:209]
	v_add_f64 v[18:19], v[18:19], -v[204:205]
	ds_read2_b64 v[204:207], v202 offset0:100 offset1:101
	v_add_f64 v[16:17], v[16:17], -v[104:105]
	s_waitcnt lgkmcnt(0)
	v_mul_f64 v[104:105], v[206:207], v[106:107]
	v_fma_f64 v[104:105], v[204:205], v[208:209], -v[104:105]
	v_mul_f64 v[204:205], v[204:205], v[106:107]
	v_fmac_f64_e32 v[204:205], v[206:207], v[208:209]
	v_add_f64 v[14:15], v[14:15], -v[204:205]
	ds_read2_b64 v[204:207], v202 offset0:102 offset1:103
	v_add_f64 v[12:13], v[12:13], -v[104:105]
	s_waitcnt lgkmcnt(0)
	v_mul_f64 v[104:105], v[206:207], v[106:107]
	v_fma_f64 v[104:105], v[204:205], v[208:209], -v[104:105]
	v_mul_f64 v[204:205], v[204:205], v[106:107]
	v_fmac_f64_e32 v[204:205], v[206:207], v[208:209]
	v_add_f64 v[10:11], v[10:11], -v[204:205]
	ds_read2_b64 v[204:207], v202 offset0:104 offset1:105
	v_add_f64 v[8:9], v[8:9], -v[104:105]
	s_waitcnt lgkmcnt(0)
	v_mul_f64 v[104:105], v[206:207], v[106:107]
	v_fma_f64 v[104:105], v[204:205], v[208:209], -v[104:105]
	v_mul_f64 v[204:205], v[204:205], v[106:107]
	v_fmac_f64_e32 v[204:205], v[206:207], v[208:209]
	v_add_f64 v[6:7], v[6:7], -v[204:205]
	ds_read2_b64 v[204:207], v202 offset0:106 offset1:107
	v_add_f64 v[4:5], v[4:5], -v[104:105]
	s_waitcnt lgkmcnt(0)
	v_mul_f64 v[104:105], v[206:207], v[106:107]
	v_fma_f64 v[104:105], v[204:205], v[208:209], -v[104:105]
	v_mul_f64 v[204:205], v[204:205], v[106:107]
	v_fmac_f64_e32 v[204:205], v[206:207], v[208:209]
	v_add_f64 v[2:3], v[2:3], -v[204:205]
	ds_read2_b64 v[204:207], v202 offset0:108 offset1:109
	v_add_f64 v[0:1], v[0:1], -v[104:105]
	s_waitcnt lgkmcnt(0)
	v_mul_f64 v[104:105], v[206:207], v[106:107]
	v_fma_f64 v[104:105], v[204:205], v[208:209], -v[104:105]
	v_mul_f64 v[204:205], v[204:205], v[106:107]
	v_fmac_f64_e32 v[204:205], v[206:207], v[208:209]
	v_add_f64 v[216:217], v[216:217], -v[104:105]
	v_add_f64 v[218:219], v[218:219], -v[204:205]
	v_mov_b64_e32 v[104:105], v[208:209]
.LBB109_253:
	s_or_b64 exec, exec, s[2:3]
	v_cmp_eq_u32_e32 vcc, 28, v200
	s_waitcnt vmcnt(63) expcnt(7) lgkmcnt(15)
	s_barrier
	s_and_saveexec_b64 s[4:5], vcc
	s_cbranch_execz .LBB109_260
; %bb.254:
	ds_write2_b64 v201, v[100:101], v[102:103] offset1:1
	ds_write2_b64 v202, v[96:97], v[98:99] offset0:58 offset1:59
	ds_write2_b64 v202, v[92:93], v[94:95] offset0:60 offset1:61
	;; [unrolled: 1-line block ×9, first 2 shown]
	s_waitcnt vmcnt(58)
	ds_write2_b64 v202, v[60:61], v[62:63] offset0:76 offset1:77
	s_waitcnt vmcnt(57)
	ds_write2_b64 v202, v[56:57], v[58:59] offset0:78 offset1:79
	;; [unrolled: 2-line block ×12, first 2 shown]
	ds_write2_b64 v202, v[12:13], v[14:15] offset0:100 offset1:101
	ds_write2_b64 v202, v[8:9], v[10:11] offset0:102 offset1:103
	;; [unrolled: 1-line block ×3, first 2 shown]
	s_waitcnt vmcnt(46)
	ds_write2_b64 v202, v[0:1], v[2:3] offset0:106 offset1:107
	s_waitcnt vmcnt(43)
	ds_write2_b64 v202, v[216:217], v[218:219] offset0:108 offset1:109
	ds_read2_b64 v[208:211], v201 offset1:1
	s_waitcnt lgkmcnt(0)
	v_cmp_neq_f64_e32 vcc, 0, v[208:209]
	v_cmp_neq_f64_e64 s[2:3], 0, v[210:211]
	s_or_b64 s[2:3], vcc, s[2:3]
	s_and_b64 exec, exec, s[2:3]
	s_cbranch_execz .LBB109_260
; %bb.255:
	v_cmp_ngt_f64_e64 s[2:3], |v[208:209]|, |v[210:211]|
                                        ; implicit-def: $vgpr204_vgpr205
	s_and_saveexec_b64 s[10:11], s[2:3]
	s_xor_b64 s[2:3], exec, s[10:11]
                                        ; implicit-def: $vgpr206_vgpr207
	s_cbranch_execz .LBB109_257
; %bb.256:
	v_div_scale_f64 v[204:205], s[10:11], v[210:211], v[210:211], v[208:209]
	v_rcp_f64_e32 v[206:207], v[204:205]
	v_div_scale_f64 v[212:213], vcc, v[208:209], v[210:211], v[208:209]
	v_fma_f64 v[214:215], -v[204:205], v[206:207], 1.0
	v_fmac_f64_e32 v[206:207], v[206:207], v[214:215]
	v_fma_f64 v[214:215], -v[204:205], v[206:207], 1.0
	v_fmac_f64_e32 v[206:207], v[206:207], v[214:215]
	v_mul_f64 v[214:215], v[212:213], v[206:207]
	v_fma_f64 v[204:205], -v[204:205], v[214:215], v[212:213]
	v_div_fmas_f64 v[204:205], v[204:205], v[206:207], v[214:215]
	v_div_fixup_f64 v[204:205], v[204:205], v[210:211], v[208:209]
	v_fmac_f64_e32 v[210:211], v[208:209], v[204:205]
	v_div_scale_f64 v[206:207], s[10:11], v[210:211], v[210:211], 1.0
	v_rcp_f64_e32 v[208:209], v[206:207]
	s_nop 0
	v_fma_f64 v[212:213], -v[206:207], v[208:209], 1.0
	v_fmac_f64_e32 v[208:209], v[208:209], v[212:213]
	v_fma_f64 v[212:213], -v[206:207], v[208:209], 1.0
	v_fmac_f64_e32 v[208:209], v[208:209], v[212:213]
	v_div_scale_f64 v[212:213], vcc, 1.0, v[210:211], 1.0
	v_mul_f64 v[214:215], v[212:213], v[208:209]
	v_fma_f64 v[206:207], -v[206:207], v[214:215], v[212:213]
	s_nop 1
	v_div_fmas_f64 v[206:207], v[206:207], v[208:209], v[214:215]
	v_div_fixup_f64 v[206:207], v[206:207], v[210:211], 1.0
	v_mul_f64 v[204:205], v[204:205], v[206:207]
	v_xor_b32_e32 v207, 0x80000000, v207
                                        ; implicit-def: $vgpr208_vgpr209
.LBB109_257:
	s_andn2_saveexec_b64 s[2:3], s[2:3]
	s_cbranch_execz .LBB109_259
; %bb.258:
	v_div_scale_f64 v[204:205], s[10:11], v[208:209], v[208:209], v[210:211]
	v_rcp_f64_e32 v[206:207], v[204:205]
	v_div_scale_f64 v[212:213], vcc, v[210:211], v[208:209], v[210:211]
	v_fma_f64 v[214:215], -v[204:205], v[206:207], 1.0
	v_fmac_f64_e32 v[206:207], v[206:207], v[214:215]
	v_fma_f64 v[214:215], -v[204:205], v[206:207], 1.0
	v_fmac_f64_e32 v[206:207], v[206:207], v[214:215]
	v_mul_f64 v[214:215], v[212:213], v[206:207]
	v_fma_f64 v[204:205], -v[204:205], v[214:215], v[212:213]
	v_div_fmas_f64 v[204:205], v[204:205], v[206:207], v[214:215]
	v_div_fixup_f64 v[206:207], v[204:205], v[208:209], v[210:211]
	v_fmac_f64_e32 v[208:209], v[210:211], v[206:207]
	v_div_scale_f64 v[204:205], s[10:11], v[208:209], v[208:209], 1.0
	v_rcp_f64_e32 v[210:211], v[204:205]
	s_nop 0
	v_fma_f64 v[212:213], -v[204:205], v[210:211], 1.0
	v_fmac_f64_e32 v[210:211], v[210:211], v[212:213]
	v_fma_f64 v[212:213], -v[204:205], v[210:211], 1.0
	v_fmac_f64_e32 v[210:211], v[210:211], v[212:213]
	v_div_scale_f64 v[212:213], vcc, 1.0, v[208:209], 1.0
	v_mul_f64 v[214:215], v[212:213], v[210:211]
	v_fma_f64 v[204:205], -v[204:205], v[214:215], v[212:213]
	s_nop 1
	v_div_fmas_f64 v[204:205], v[204:205], v[210:211], v[214:215]
	v_div_fixup_f64 v[204:205], v[204:205], v[208:209], 1.0
	v_mul_f64 v[206:207], v[206:207], -v[204:205]
.LBB109_259:
	s_or_b64 exec, exec, s[2:3]
	ds_write2_b64 v201, v[204:205], v[206:207] offset1:1
.LBB109_260:
	s_or_b64 exec, exec, s[4:5]
	s_waitcnt lgkmcnt(0)
	s_barrier
	ds_read2_b64 v[192:195], v201 offset1:1
	v_cmp_lt_u32_e32 vcc, 28, v200
	s_waitcnt lgkmcnt(0)
	scratch_store_dwordx4 off, v[192:195], off offset:968 ; 16-byte Folded Spill
	s_and_saveexec_b64 s[2:3], vcc
	s_cbranch_execz .LBB109_262
; %bb.261:
	scratch_load_dwordx4 v[192:195], off, off offset:968 ; 16-byte Folded Reload
	s_waitcnt vmcnt(0)
	v_mul_f64 v[204:205], v[194:195], v[102:103]
	v_fma_f64 v[208:209], v[192:193], v[100:101], -v[204:205]
	ds_read2_b64 v[204:207], v202 offset0:58 offset1:59
	v_mul_f64 v[102:103], v[192:193], v[102:103]
	v_fmac_f64_e32 v[102:103], v[194:195], v[100:101]
	s_waitcnt lgkmcnt(0)
	v_mul_f64 v[100:101], v[206:207], v[102:103]
	v_fma_f64 v[100:101], v[204:205], v[208:209], -v[100:101]
	v_mul_f64 v[204:205], v[204:205], v[102:103]
	v_fmac_f64_e32 v[204:205], v[206:207], v[208:209]
	v_add_f64 v[98:99], v[98:99], -v[204:205]
	ds_read2_b64 v[204:207], v202 offset0:60 offset1:61
	v_add_f64 v[96:97], v[96:97], -v[100:101]
	s_waitcnt lgkmcnt(0)
	v_mul_f64 v[100:101], v[206:207], v[102:103]
	v_fma_f64 v[100:101], v[204:205], v[208:209], -v[100:101]
	v_mul_f64 v[204:205], v[204:205], v[102:103]
	v_fmac_f64_e32 v[204:205], v[206:207], v[208:209]
	v_add_f64 v[94:95], v[94:95], -v[204:205]
	ds_read2_b64 v[204:207], v202 offset0:62 offset1:63
	v_add_f64 v[92:93], v[92:93], -v[100:101]
	;; [unrolled: 8-line block ×25, first 2 shown]
	s_waitcnt lgkmcnt(0)
	v_mul_f64 v[100:101], v[206:207], v[102:103]
	v_fma_f64 v[100:101], v[204:205], v[208:209], -v[100:101]
	v_mul_f64 v[204:205], v[204:205], v[102:103]
	v_fmac_f64_e32 v[204:205], v[206:207], v[208:209]
	v_add_f64 v[216:217], v[216:217], -v[100:101]
	v_add_f64 v[218:219], v[218:219], -v[204:205]
	v_mov_b64_e32 v[100:101], v[208:209]
.LBB109_262:
	s_or_b64 exec, exec, s[2:3]
	v_cmp_eq_u32_e32 vcc, 29, v200
	s_waitcnt vmcnt(63) expcnt(7) lgkmcnt(15)
	s_barrier
	s_and_saveexec_b64 s[4:5], vcc
	s_cbranch_execz .LBB109_269
; %bb.263:
	ds_write2_b64 v201, v[96:97], v[98:99] offset1:1
	ds_write2_b64 v202, v[92:93], v[94:95] offset0:60 offset1:61
	ds_write2_b64 v202, v[88:89], v[90:91] offset0:62 offset1:63
	;; [unrolled: 1-line block ×8, first 2 shown]
	s_waitcnt vmcnt(59)
	ds_write2_b64 v202, v[60:61], v[62:63] offset0:76 offset1:77
	s_waitcnt vmcnt(58)
	ds_write2_b64 v202, v[56:57], v[58:59] offset0:78 offset1:79
	;; [unrolled: 2-line block ×12, first 2 shown]
	ds_write2_b64 v202, v[12:13], v[14:15] offset0:100 offset1:101
	ds_write2_b64 v202, v[8:9], v[10:11] offset0:102 offset1:103
	;; [unrolled: 1-line block ×3, first 2 shown]
	s_waitcnt vmcnt(47)
	ds_write2_b64 v202, v[0:1], v[2:3] offset0:106 offset1:107
	s_waitcnt vmcnt(44)
	ds_write2_b64 v202, v[216:217], v[218:219] offset0:108 offset1:109
	ds_read2_b64 v[208:211], v201 offset1:1
	s_waitcnt lgkmcnt(0)
	v_cmp_neq_f64_e32 vcc, 0, v[208:209]
	v_cmp_neq_f64_e64 s[2:3], 0, v[210:211]
	s_or_b64 s[2:3], vcc, s[2:3]
	s_and_b64 exec, exec, s[2:3]
	s_cbranch_execz .LBB109_269
; %bb.264:
	v_cmp_ngt_f64_e64 s[2:3], |v[208:209]|, |v[210:211]|
                                        ; implicit-def: $vgpr204_vgpr205
	s_and_saveexec_b64 s[10:11], s[2:3]
	s_xor_b64 s[2:3], exec, s[10:11]
                                        ; implicit-def: $vgpr206_vgpr207
	s_cbranch_execz .LBB109_266
; %bb.265:
	v_div_scale_f64 v[204:205], s[10:11], v[210:211], v[210:211], v[208:209]
	v_rcp_f64_e32 v[206:207], v[204:205]
	v_div_scale_f64 v[212:213], vcc, v[208:209], v[210:211], v[208:209]
	v_fma_f64 v[214:215], -v[204:205], v[206:207], 1.0
	v_fmac_f64_e32 v[206:207], v[206:207], v[214:215]
	v_fma_f64 v[214:215], -v[204:205], v[206:207], 1.0
	v_fmac_f64_e32 v[206:207], v[206:207], v[214:215]
	v_mul_f64 v[214:215], v[212:213], v[206:207]
	v_fma_f64 v[204:205], -v[204:205], v[214:215], v[212:213]
	v_div_fmas_f64 v[204:205], v[204:205], v[206:207], v[214:215]
	v_div_fixup_f64 v[204:205], v[204:205], v[210:211], v[208:209]
	v_fmac_f64_e32 v[210:211], v[208:209], v[204:205]
	v_div_scale_f64 v[206:207], s[10:11], v[210:211], v[210:211], 1.0
	v_rcp_f64_e32 v[208:209], v[206:207]
	s_nop 0
	v_fma_f64 v[212:213], -v[206:207], v[208:209], 1.0
	v_fmac_f64_e32 v[208:209], v[208:209], v[212:213]
	v_fma_f64 v[212:213], -v[206:207], v[208:209], 1.0
	v_fmac_f64_e32 v[208:209], v[208:209], v[212:213]
	v_div_scale_f64 v[212:213], vcc, 1.0, v[210:211], 1.0
	v_mul_f64 v[214:215], v[212:213], v[208:209]
	v_fma_f64 v[206:207], -v[206:207], v[214:215], v[212:213]
	s_nop 1
	v_div_fmas_f64 v[206:207], v[206:207], v[208:209], v[214:215]
	v_div_fixup_f64 v[206:207], v[206:207], v[210:211], 1.0
	v_mul_f64 v[204:205], v[204:205], v[206:207]
	v_xor_b32_e32 v207, 0x80000000, v207
                                        ; implicit-def: $vgpr208_vgpr209
.LBB109_266:
	s_andn2_saveexec_b64 s[2:3], s[2:3]
	s_cbranch_execz .LBB109_268
; %bb.267:
	v_div_scale_f64 v[204:205], s[10:11], v[208:209], v[208:209], v[210:211]
	v_rcp_f64_e32 v[206:207], v[204:205]
	v_div_scale_f64 v[212:213], vcc, v[210:211], v[208:209], v[210:211]
	v_fma_f64 v[214:215], -v[204:205], v[206:207], 1.0
	v_fmac_f64_e32 v[206:207], v[206:207], v[214:215]
	v_fma_f64 v[214:215], -v[204:205], v[206:207], 1.0
	v_fmac_f64_e32 v[206:207], v[206:207], v[214:215]
	v_mul_f64 v[214:215], v[212:213], v[206:207]
	v_fma_f64 v[204:205], -v[204:205], v[214:215], v[212:213]
	v_div_fmas_f64 v[204:205], v[204:205], v[206:207], v[214:215]
	v_div_fixup_f64 v[206:207], v[204:205], v[208:209], v[210:211]
	v_fmac_f64_e32 v[208:209], v[210:211], v[206:207]
	v_div_scale_f64 v[204:205], s[10:11], v[208:209], v[208:209], 1.0
	v_rcp_f64_e32 v[210:211], v[204:205]
	s_nop 0
	v_fma_f64 v[212:213], -v[204:205], v[210:211], 1.0
	v_fmac_f64_e32 v[210:211], v[210:211], v[212:213]
	v_fma_f64 v[212:213], -v[204:205], v[210:211], 1.0
	v_fmac_f64_e32 v[210:211], v[210:211], v[212:213]
	v_div_scale_f64 v[212:213], vcc, 1.0, v[208:209], 1.0
	v_mul_f64 v[214:215], v[212:213], v[210:211]
	v_fma_f64 v[204:205], -v[204:205], v[214:215], v[212:213]
	s_nop 1
	v_div_fmas_f64 v[204:205], v[204:205], v[210:211], v[214:215]
	v_div_fixup_f64 v[204:205], v[204:205], v[208:209], 1.0
	v_mul_f64 v[206:207], v[206:207], -v[204:205]
.LBB109_268:
	s_or_b64 exec, exec, s[2:3]
	ds_write2_b64 v201, v[204:205], v[206:207] offset1:1
.LBB109_269:
	s_or_b64 exec, exec, s[4:5]
	s_waitcnt lgkmcnt(0)
	s_barrier
	ds_read2_b64 v[192:195], v201 offset1:1
	v_cmp_lt_u32_e32 vcc, 29, v200
	s_waitcnt lgkmcnt(0)
	scratch_store_dwordx4 off, v[192:195], off offset:984 ; 16-byte Folded Spill
	s_and_saveexec_b64 s[2:3], vcc
	s_cbranch_execz .LBB109_271
; %bb.270:
	scratch_load_dwordx4 v[192:195], off, off offset:984 ; 16-byte Folded Reload
	s_waitcnt vmcnt(0)
	v_mul_f64 v[204:205], v[194:195], v[98:99]
	v_fma_f64 v[208:209], v[192:193], v[96:97], -v[204:205]
	ds_read2_b64 v[204:207], v202 offset0:60 offset1:61
	v_mul_f64 v[98:99], v[192:193], v[98:99]
	v_fmac_f64_e32 v[98:99], v[194:195], v[96:97]
	s_waitcnt lgkmcnt(0)
	v_mul_f64 v[96:97], v[206:207], v[98:99]
	v_fma_f64 v[96:97], v[204:205], v[208:209], -v[96:97]
	v_mul_f64 v[204:205], v[204:205], v[98:99]
	v_fmac_f64_e32 v[204:205], v[206:207], v[208:209]
	v_add_f64 v[94:95], v[94:95], -v[204:205]
	ds_read2_b64 v[204:207], v202 offset0:62 offset1:63
	v_add_f64 v[92:93], v[92:93], -v[96:97]
	s_waitcnt lgkmcnt(0)
	v_mul_f64 v[96:97], v[206:207], v[98:99]
	v_fma_f64 v[96:97], v[204:205], v[208:209], -v[96:97]
	v_mul_f64 v[204:205], v[204:205], v[98:99]
	v_fmac_f64_e32 v[204:205], v[206:207], v[208:209]
	v_add_f64 v[90:91], v[90:91], -v[204:205]
	ds_read2_b64 v[204:207], v202 offset0:64 offset1:65
	v_add_f64 v[88:89], v[88:89], -v[96:97]
	;; [unrolled: 8-line block ×24, first 2 shown]
	s_waitcnt lgkmcnt(0)
	v_mul_f64 v[96:97], v[206:207], v[98:99]
	v_fma_f64 v[96:97], v[204:205], v[208:209], -v[96:97]
	v_mul_f64 v[204:205], v[204:205], v[98:99]
	v_fmac_f64_e32 v[204:205], v[206:207], v[208:209]
	v_add_f64 v[216:217], v[216:217], -v[96:97]
	v_add_f64 v[218:219], v[218:219], -v[204:205]
	v_mov_b64_e32 v[96:97], v[208:209]
.LBB109_271:
	s_or_b64 exec, exec, s[2:3]
	v_cmp_eq_u32_e32 vcc, 30, v200
	s_waitcnt vmcnt(63) expcnt(7) lgkmcnt(15)
	s_barrier
	s_and_saveexec_b64 s[4:5], vcc
	s_cbranch_execz .LBB109_278
; %bb.272:
	ds_write2_b64 v201, v[92:93], v[94:95] offset1:1
	ds_write2_b64 v202, v[88:89], v[90:91] offset0:62 offset1:63
	ds_write2_b64 v202, v[84:85], v[86:87] offset0:64 offset1:65
	;; [unrolled: 1-line block ×7, first 2 shown]
	s_waitcnt vmcnt(60)
	ds_write2_b64 v202, v[60:61], v[62:63] offset0:76 offset1:77
	s_waitcnt vmcnt(59)
	ds_write2_b64 v202, v[56:57], v[58:59] offset0:78 offset1:79
	;; [unrolled: 2-line block ×12, first 2 shown]
	ds_write2_b64 v202, v[12:13], v[14:15] offset0:100 offset1:101
	ds_write2_b64 v202, v[8:9], v[10:11] offset0:102 offset1:103
	;; [unrolled: 1-line block ×3, first 2 shown]
	s_waitcnt vmcnt(48)
	ds_write2_b64 v202, v[0:1], v[2:3] offset0:106 offset1:107
	s_waitcnt vmcnt(45)
	ds_write2_b64 v202, v[216:217], v[218:219] offset0:108 offset1:109
	ds_read2_b64 v[208:211], v201 offset1:1
	s_waitcnt lgkmcnt(0)
	v_cmp_neq_f64_e32 vcc, 0, v[208:209]
	v_cmp_neq_f64_e64 s[2:3], 0, v[210:211]
	s_or_b64 s[2:3], vcc, s[2:3]
	s_and_b64 exec, exec, s[2:3]
	s_cbranch_execz .LBB109_278
; %bb.273:
	v_cmp_ngt_f64_e64 s[2:3], |v[208:209]|, |v[210:211]|
                                        ; implicit-def: $vgpr204_vgpr205
	s_and_saveexec_b64 s[10:11], s[2:3]
	s_xor_b64 s[2:3], exec, s[10:11]
                                        ; implicit-def: $vgpr206_vgpr207
	s_cbranch_execz .LBB109_275
; %bb.274:
	v_div_scale_f64 v[204:205], s[10:11], v[210:211], v[210:211], v[208:209]
	v_rcp_f64_e32 v[206:207], v[204:205]
	v_div_scale_f64 v[212:213], vcc, v[208:209], v[210:211], v[208:209]
	v_fma_f64 v[214:215], -v[204:205], v[206:207], 1.0
	v_fmac_f64_e32 v[206:207], v[206:207], v[214:215]
	v_fma_f64 v[214:215], -v[204:205], v[206:207], 1.0
	v_fmac_f64_e32 v[206:207], v[206:207], v[214:215]
	v_mul_f64 v[214:215], v[212:213], v[206:207]
	v_fma_f64 v[204:205], -v[204:205], v[214:215], v[212:213]
	v_div_fmas_f64 v[204:205], v[204:205], v[206:207], v[214:215]
	v_div_fixup_f64 v[204:205], v[204:205], v[210:211], v[208:209]
	v_fmac_f64_e32 v[210:211], v[208:209], v[204:205]
	v_div_scale_f64 v[206:207], s[10:11], v[210:211], v[210:211], 1.0
	v_rcp_f64_e32 v[208:209], v[206:207]
	s_nop 0
	v_fma_f64 v[212:213], -v[206:207], v[208:209], 1.0
	v_fmac_f64_e32 v[208:209], v[208:209], v[212:213]
	v_fma_f64 v[212:213], -v[206:207], v[208:209], 1.0
	v_fmac_f64_e32 v[208:209], v[208:209], v[212:213]
	v_div_scale_f64 v[212:213], vcc, 1.0, v[210:211], 1.0
	v_mul_f64 v[214:215], v[212:213], v[208:209]
	v_fma_f64 v[206:207], -v[206:207], v[214:215], v[212:213]
	s_nop 1
	v_div_fmas_f64 v[206:207], v[206:207], v[208:209], v[214:215]
	v_div_fixup_f64 v[206:207], v[206:207], v[210:211], 1.0
	v_mul_f64 v[204:205], v[204:205], v[206:207]
	v_xor_b32_e32 v207, 0x80000000, v207
                                        ; implicit-def: $vgpr208_vgpr209
.LBB109_275:
	s_andn2_saveexec_b64 s[2:3], s[2:3]
	s_cbranch_execz .LBB109_277
; %bb.276:
	v_div_scale_f64 v[204:205], s[10:11], v[208:209], v[208:209], v[210:211]
	v_rcp_f64_e32 v[206:207], v[204:205]
	v_div_scale_f64 v[212:213], vcc, v[210:211], v[208:209], v[210:211]
	v_fma_f64 v[214:215], -v[204:205], v[206:207], 1.0
	v_fmac_f64_e32 v[206:207], v[206:207], v[214:215]
	v_fma_f64 v[214:215], -v[204:205], v[206:207], 1.0
	v_fmac_f64_e32 v[206:207], v[206:207], v[214:215]
	v_mul_f64 v[214:215], v[212:213], v[206:207]
	v_fma_f64 v[204:205], -v[204:205], v[214:215], v[212:213]
	v_div_fmas_f64 v[204:205], v[204:205], v[206:207], v[214:215]
	v_div_fixup_f64 v[206:207], v[204:205], v[208:209], v[210:211]
	v_fmac_f64_e32 v[208:209], v[210:211], v[206:207]
	v_div_scale_f64 v[204:205], s[10:11], v[208:209], v[208:209], 1.0
	v_rcp_f64_e32 v[210:211], v[204:205]
	s_nop 0
	v_fma_f64 v[212:213], -v[204:205], v[210:211], 1.0
	v_fmac_f64_e32 v[210:211], v[210:211], v[212:213]
	v_fma_f64 v[212:213], -v[204:205], v[210:211], 1.0
	v_fmac_f64_e32 v[210:211], v[210:211], v[212:213]
	v_div_scale_f64 v[212:213], vcc, 1.0, v[208:209], 1.0
	v_mul_f64 v[214:215], v[212:213], v[210:211]
	v_fma_f64 v[204:205], -v[204:205], v[214:215], v[212:213]
	s_nop 1
	v_div_fmas_f64 v[204:205], v[204:205], v[210:211], v[214:215]
	v_div_fixup_f64 v[204:205], v[204:205], v[208:209], 1.0
	v_mul_f64 v[206:207], v[206:207], -v[204:205]
.LBB109_277:
	s_or_b64 exec, exec, s[2:3]
	ds_write2_b64 v201, v[204:205], v[206:207] offset1:1
.LBB109_278:
	s_or_b64 exec, exec, s[4:5]
	s_waitcnt lgkmcnt(0)
	s_barrier
	ds_read2_b64 v[192:195], v201 offset1:1
	v_cmp_lt_u32_e32 vcc, 30, v200
	s_waitcnt lgkmcnt(0)
	scratch_store_dwordx4 off, v[192:195], off offset:1000 ; 16-byte Folded Spill
	s_and_saveexec_b64 s[2:3], vcc
	s_cbranch_execz .LBB109_280
; %bb.279:
	scratch_load_dwordx4 v[192:195], off, off offset:1000 ; 16-byte Folded Reload
	s_waitcnt vmcnt(0)
	v_mul_f64 v[204:205], v[194:195], v[94:95]
	v_fma_f64 v[208:209], v[192:193], v[92:93], -v[204:205]
	ds_read2_b64 v[204:207], v202 offset0:62 offset1:63
	v_mul_f64 v[94:95], v[192:193], v[94:95]
	v_fmac_f64_e32 v[94:95], v[194:195], v[92:93]
	s_waitcnt lgkmcnt(0)
	v_mul_f64 v[92:93], v[206:207], v[94:95]
	v_fma_f64 v[92:93], v[204:205], v[208:209], -v[92:93]
	v_mul_f64 v[204:205], v[204:205], v[94:95]
	v_fmac_f64_e32 v[204:205], v[206:207], v[208:209]
	v_add_f64 v[90:91], v[90:91], -v[204:205]
	ds_read2_b64 v[204:207], v202 offset0:64 offset1:65
	v_add_f64 v[88:89], v[88:89], -v[92:93]
	s_waitcnt lgkmcnt(0)
	v_mul_f64 v[92:93], v[206:207], v[94:95]
	v_fma_f64 v[92:93], v[204:205], v[208:209], -v[92:93]
	v_mul_f64 v[204:205], v[204:205], v[94:95]
	v_fmac_f64_e32 v[204:205], v[206:207], v[208:209]
	v_add_f64 v[86:87], v[86:87], -v[204:205]
	ds_read2_b64 v[204:207], v202 offset0:66 offset1:67
	v_add_f64 v[84:85], v[84:85], -v[92:93]
	;; [unrolled: 8-line block ×23, first 2 shown]
	s_waitcnt lgkmcnt(0)
	v_mul_f64 v[92:93], v[206:207], v[94:95]
	v_fma_f64 v[92:93], v[204:205], v[208:209], -v[92:93]
	v_mul_f64 v[204:205], v[204:205], v[94:95]
	v_fmac_f64_e32 v[204:205], v[206:207], v[208:209]
	v_add_f64 v[216:217], v[216:217], -v[92:93]
	v_add_f64 v[218:219], v[218:219], -v[204:205]
	v_mov_b64_e32 v[92:93], v[208:209]
.LBB109_280:
	s_or_b64 exec, exec, s[2:3]
	v_cmp_eq_u32_e32 vcc, 31, v200
	s_waitcnt vmcnt(63) expcnt(7) lgkmcnt(15)
	s_barrier
	s_and_saveexec_b64 s[4:5], vcc
	s_cbranch_execz .LBB109_287
; %bb.281:
	ds_write2_b64 v201, v[88:89], v[90:91] offset1:1
	ds_write2_b64 v202, v[84:85], v[86:87] offset0:64 offset1:65
	ds_write2_b64 v202, v[80:81], v[82:83] offset0:66 offset1:67
	;; [unrolled: 1-line block ×6, first 2 shown]
	s_waitcnt vmcnt(61)
	ds_write2_b64 v202, v[60:61], v[62:63] offset0:76 offset1:77
	s_waitcnt vmcnt(60)
	ds_write2_b64 v202, v[56:57], v[58:59] offset0:78 offset1:79
	;; [unrolled: 2-line block ×12, first 2 shown]
	ds_write2_b64 v202, v[12:13], v[14:15] offset0:100 offset1:101
	ds_write2_b64 v202, v[8:9], v[10:11] offset0:102 offset1:103
	;; [unrolled: 1-line block ×3, first 2 shown]
	s_waitcnt vmcnt(49)
	ds_write2_b64 v202, v[0:1], v[2:3] offset0:106 offset1:107
	s_waitcnt vmcnt(46)
	ds_write2_b64 v202, v[216:217], v[218:219] offset0:108 offset1:109
	ds_read2_b64 v[208:211], v201 offset1:1
	s_waitcnt lgkmcnt(0)
	v_cmp_neq_f64_e32 vcc, 0, v[208:209]
	v_cmp_neq_f64_e64 s[2:3], 0, v[210:211]
	s_or_b64 s[2:3], vcc, s[2:3]
	s_and_b64 exec, exec, s[2:3]
	s_cbranch_execz .LBB109_287
; %bb.282:
	v_cmp_ngt_f64_e64 s[2:3], |v[208:209]|, |v[210:211]|
                                        ; implicit-def: $vgpr204_vgpr205
	s_and_saveexec_b64 s[10:11], s[2:3]
	s_xor_b64 s[2:3], exec, s[10:11]
                                        ; implicit-def: $vgpr206_vgpr207
	s_cbranch_execz .LBB109_284
; %bb.283:
	v_div_scale_f64 v[204:205], s[10:11], v[210:211], v[210:211], v[208:209]
	v_rcp_f64_e32 v[206:207], v[204:205]
	v_div_scale_f64 v[212:213], vcc, v[208:209], v[210:211], v[208:209]
	v_fma_f64 v[214:215], -v[204:205], v[206:207], 1.0
	v_fmac_f64_e32 v[206:207], v[206:207], v[214:215]
	v_fma_f64 v[214:215], -v[204:205], v[206:207], 1.0
	v_fmac_f64_e32 v[206:207], v[206:207], v[214:215]
	v_mul_f64 v[214:215], v[212:213], v[206:207]
	v_fma_f64 v[204:205], -v[204:205], v[214:215], v[212:213]
	v_div_fmas_f64 v[204:205], v[204:205], v[206:207], v[214:215]
	v_div_fixup_f64 v[204:205], v[204:205], v[210:211], v[208:209]
	v_fmac_f64_e32 v[210:211], v[208:209], v[204:205]
	v_div_scale_f64 v[206:207], s[10:11], v[210:211], v[210:211], 1.0
	v_rcp_f64_e32 v[208:209], v[206:207]
	s_nop 0
	v_fma_f64 v[212:213], -v[206:207], v[208:209], 1.0
	v_fmac_f64_e32 v[208:209], v[208:209], v[212:213]
	v_fma_f64 v[212:213], -v[206:207], v[208:209], 1.0
	v_fmac_f64_e32 v[208:209], v[208:209], v[212:213]
	v_div_scale_f64 v[212:213], vcc, 1.0, v[210:211], 1.0
	v_mul_f64 v[214:215], v[212:213], v[208:209]
	v_fma_f64 v[206:207], -v[206:207], v[214:215], v[212:213]
	s_nop 1
	v_div_fmas_f64 v[206:207], v[206:207], v[208:209], v[214:215]
	v_div_fixup_f64 v[206:207], v[206:207], v[210:211], 1.0
	v_mul_f64 v[204:205], v[204:205], v[206:207]
	v_xor_b32_e32 v207, 0x80000000, v207
                                        ; implicit-def: $vgpr208_vgpr209
.LBB109_284:
	s_andn2_saveexec_b64 s[2:3], s[2:3]
	s_cbranch_execz .LBB109_286
; %bb.285:
	v_div_scale_f64 v[204:205], s[10:11], v[208:209], v[208:209], v[210:211]
	v_rcp_f64_e32 v[206:207], v[204:205]
	v_div_scale_f64 v[212:213], vcc, v[210:211], v[208:209], v[210:211]
	v_fma_f64 v[214:215], -v[204:205], v[206:207], 1.0
	v_fmac_f64_e32 v[206:207], v[206:207], v[214:215]
	v_fma_f64 v[214:215], -v[204:205], v[206:207], 1.0
	v_fmac_f64_e32 v[206:207], v[206:207], v[214:215]
	v_mul_f64 v[214:215], v[212:213], v[206:207]
	v_fma_f64 v[204:205], -v[204:205], v[214:215], v[212:213]
	v_div_fmas_f64 v[204:205], v[204:205], v[206:207], v[214:215]
	v_div_fixup_f64 v[206:207], v[204:205], v[208:209], v[210:211]
	v_fmac_f64_e32 v[208:209], v[210:211], v[206:207]
	v_div_scale_f64 v[204:205], s[10:11], v[208:209], v[208:209], 1.0
	v_rcp_f64_e32 v[210:211], v[204:205]
	s_nop 0
	v_fma_f64 v[212:213], -v[204:205], v[210:211], 1.0
	v_fmac_f64_e32 v[210:211], v[210:211], v[212:213]
	v_fma_f64 v[212:213], -v[204:205], v[210:211], 1.0
	v_fmac_f64_e32 v[210:211], v[210:211], v[212:213]
	v_div_scale_f64 v[212:213], vcc, 1.0, v[208:209], 1.0
	v_mul_f64 v[214:215], v[212:213], v[210:211]
	v_fma_f64 v[204:205], -v[204:205], v[214:215], v[212:213]
	s_nop 1
	v_div_fmas_f64 v[204:205], v[204:205], v[210:211], v[214:215]
	v_div_fixup_f64 v[204:205], v[204:205], v[208:209], 1.0
	v_mul_f64 v[206:207], v[206:207], -v[204:205]
.LBB109_286:
	s_or_b64 exec, exec, s[2:3]
	ds_write2_b64 v201, v[204:205], v[206:207] offset1:1
.LBB109_287:
	s_or_b64 exec, exec, s[4:5]
	s_waitcnt lgkmcnt(0)
	s_barrier
	ds_read2_b64 v[192:195], v201 offset1:1
	v_cmp_lt_u32_e32 vcc, 31, v200
	s_waitcnt lgkmcnt(0)
	scratch_store_dwordx4 off, v[192:195], off offset:1016 ; 16-byte Folded Spill
	s_and_saveexec_b64 s[2:3], vcc
	s_cbranch_execz .LBB109_289
; %bb.288:
	scratch_load_dwordx4 v[192:195], off, off offset:1016 ; 16-byte Folded Reload
	s_waitcnt vmcnt(0)
	v_mul_f64 v[204:205], v[194:195], v[90:91]
	v_fma_f64 v[208:209], v[192:193], v[88:89], -v[204:205]
	ds_read2_b64 v[204:207], v202 offset0:64 offset1:65
	v_mul_f64 v[90:91], v[192:193], v[90:91]
	v_fmac_f64_e32 v[90:91], v[194:195], v[88:89]
	s_waitcnt lgkmcnt(0)
	v_mul_f64 v[88:89], v[206:207], v[90:91]
	v_fma_f64 v[88:89], v[204:205], v[208:209], -v[88:89]
	v_mul_f64 v[204:205], v[204:205], v[90:91]
	v_fmac_f64_e32 v[204:205], v[206:207], v[208:209]
	v_add_f64 v[86:87], v[86:87], -v[204:205]
	ds_read2_b64 v[204:207], v202 offset0:66 offset1:67
	v_add_f64 v[84:85], v[84:85], -v[88:89]
	s_waitcnt lgkmcnt(0)
	v_mul_f64 v[88:89], v[206:207], v[90:91]
	v_fma_f64 v[88:89], v[204:205], v[208:209], -v[88:89]
	v_mul_f64 v[204:205], v[204:205], v[90:91]
	v_fmac_f64_e32 v[204:205], v[206:207], v[208:209]
	v_add_f64 v[82:83], v[82:83], -v[204:205]
	ds_read2_b64 v[204:207], v202 offset0:68 offset1:69
	v_add_f64 v[80:81], v[80:81], -v[88:89]
	s_waitcnt lgkmcnt(0)
	v_mul_f64 v[88:89], v[206:207], v[90:91]
	v_fma_f64 v[88:89], v[204:205], v[208:209], -v[88:89]
	v_mul_f64 v[204:205], v[204:205], v[90:91]
	v_fmac_f64_e32 v[204:205], v[206:207], v[208:209]
	v_add_f64 v[78:79], v[78:79], -v[204:205]
	ds_read2_b64 v[204:207], v202 offset0:70 offset1:71
	v_add_f64 v[76:77], v[76:77], -v[88:89]
	s_waitcnt lgkmcnt(0)
	v_mul_f64 v[88:89], v[206:207], v[90:91]
	v_fma_f64 v[88:89], v[204:205], v[208:209], -v[88:89]
	v_mul_f64 v[204:205], v[204:205], v[90:91]
	v_fmac_f64_e32 v[204:205], v[206:207], v[208:209]
	v_add_f64 v[74:75], v[74:75], -v[204:205]
	ds_read2_b64 v[204:207], v202 offset0:72 offset1:73
	v_add_f64 v[72:73], v[72:73], -v[88:89]
	s_waitcnt lgkmcnt(0)
	v_mul_f64 v[88:89], v[206:207], v[90:91]
	v_fma_f64 v[88:89], v[204:205], v[208:209], -v[88:89]
	v_mul_f64 v[204:205], v[204:205], v[90:91]
	v_fmac_f64_e32 v[204:205], v[206:207], v[208:209]
	v_add_f64 v[70:71], v[70:71], -v[204:205]
	ds_read2_b64 v[204:207], v202 offset0:74 offset1:75
	v_add_f64 v[68:69], v[68:69], -v[88:89]
	s_waitcnt lgkmcnt(0)
	v_mul_f64 v[88:89], v[206:207], v[90:91]
	v_fma_f64 v[88:89], v[204:205], v[208:209], -v[88:89]
	v_mul_f64 v[204:205], v[204:205], v[90:91]
	v_fmac_f64_e32 v[204:205], v[206:207], v[208:209]
	v_add_f64 v[66:67], v[66:67], -v[204:205]
	ds_read2_b64 v[204:207], v202 offset0:76 offset1:77
	v_add_f64 v[64:65], v[64:65], -v[88:89]
	s_waitcnt lgkmcnt(0)
	v_mul_f64 v[88:89], v[206:207], v[90:91]
	v_fma_f64 v[88:89], v[204:205], v[208:209], -v[88:89]
	v_mul_f64 v[204:205], v[204:205], v[90:91]
	v_fmac_f64_e32 v[204:205], v[206:207], v[208:209]
	v_add_f64 v[62:63], v[62:63], -v[204:205]
	ds_read2_b64 v[204:207], v202 offset0:78 offset1:79
	v_add_f64 v[60:61], v[60:61], -v[88:89]
	s_waitcnt lgkmcnt(0)
	v_mul_f64 v[88:89], v[206:207], v[90:91]
	v_fma_f64 v[88:89], v[204:205], v[208:209], -v[88:89]
	v_mul_f64 v[204:205], v[204:205], v[90:91]
	v_fmac_f64_e32 v[204:205], v[206:207], v[208:209]
	v_add_f64 v[58:59], v[58:59], -v[204:205]
	ds_read2_b64 v[204:207], v202 offset0:80 offset1:81
	v_add_f64 v[56:57], v[56:57], -v[88:89]
	s_waitcnt lgkmcnt(0)
	v_mul_f64 v[88:89], v[206:207], v[90:91]
	v_fma_f64 v[88:89], v[204:205], v[208:209], -v[88:89]
	v_mul_f64 v[204:205], v[204:205], v[90:91]
	v_fmac_f64_e32 v[204:205], v[206:207], v[208:209]
	v_add_f64 v[54:55], v[54:55], -v[204:205]
	ds_read2_b64 v[204:207], v202 offset0:82 offset1:83
	v_add_f64 v[52:53], v[52:53], -v[88:89]
	s_waitcnt lgkmcnt(0)
	v_mul_f64 v[88:89], v[206:207], v[90:91]
	v_fma_f64 v[88:89], v[204:205], v[208:209], -v[88:89]
	v_mul_f64 v[204:205], v[204:205], v[90:91]
	v_fmac_f64_e32 v[204:205], v[206:207], v[208:209]
	v_add_f64 v[50:51], v[50:51], -v[204:205]
	ds_read2_b64 v[204:207], v202 offset0:84 offset1:85
	v_add_f64 v[48:49], v[48:49], -v[88:89]
	s_waitcnt lgkmcnt(0)
	v_mul_f64 v[88:89], v[206:207], v[90:91]
	v_fma_f64 v[88:89], v[204:205], v[208:209], -v[88:89]
	v_mul_f64 v[204:205], v[204:205], v[90:91]
	v_fmac_f64_e32 v[204:205], v[206:207], v[208:209]
	v_add_f64 v[46:47], v[46:47], -v[204:205]
	ds_read2_b64 v[204:207], v202 offset0:86 offset1:87
	v_add_f64 v[44:45], v[44:45], -v[88:89]
	s_waitcnt lgkmcnt(0)
	v_mul_f64 v[88:89], v[206:207], v[90:91]
	v_fma_f64 v[88:89], v[204:205], v[208:209], -v[88:89]
	v_mul_f64 v[204:205], v[204:205], v[90:91]
	v_fmac_f64_e32 v[204:205], v[206:207], v[208:209]
	v_add_f64 v[42:43], v[42:43], -v[204:205]
	ds_read2_b64 v[204:207], v202 offset0:88 offset1:89
	v_add_f64 v[40:41], v[40:41], -v[88:89]
	s_waitcnt lgkmcnt(0)
	v_mul_f64 v[88:89], v[206:207], v[90:91]
	v_fma_f64 v[88:89], v[204:205], v[208:209], -v[88:89]
	v_mul_f64 v[204:205], v[204:205], v[90:91]
	v_fmac_f64_e32 v[204:205], v[206:207], v[208:209]
	v_add_f64 v[38:39], v[38:39], -v[204:205]
	ds_read2_b64 v[204:207], v202 offset0:90 offset1:91
	v_add_f64 v[36:37], v[36:37], -v[88:89]
	s_waitcnt lgkmcnt(0)
	v_mul_f64 v[88:89], v[206:207], v[90:91]
	v_fma_f64 v[88:89], v[204:205], v[208:209], -v[88:89]
	v_mul_f64 v[204:205], v[204:205], v[90:91]
	v_fmac_f64_e32 v[204:205], v[206:207], v[208:209]
	v_add_f64 v[34:35], v[34:35], -v[204:205]
	ds_read2_b64 v[204:207], v202 offset0:92 offset1:93
	v_add_f64 v[32:33], v[32:33], -v[88:89]
	s_waitcnt lgkmcnt(0)
	v_mul_f64 v[88:89], v[206:207], v[90:91]
	v_fma_f64 v[88:89], v[204:205], v[208:209], -v[88:89]
	v_mul_f64 v[204:205], v[204:205], v[90:91]
	v_fmac_f64_e32 v[204:205], v[206:207], v[208:209]
	v_add_f64 v[30:31], v[30:31], -v[204:205]
	ds_read2_b64 v[204:207], v202 offset0:94 offset1:95
	v_add_f64 v[28:29], v[28:29], -v[88:89]
	s_waitcnt lgkmcnt(0)
	v_mul_f64 v[88:89], v[206:207], v[90:91]
	v_fma_f64 v[88:89], v[204:205], v[208:209], -v[88:89]
	v_mul_f64 v[204:205], v[204:205], v[90:91]
	v_fmac_f64_e32 v[204:205], v[206:207], v[208:209]
	v_add_f64 v[26:27], v[26:27], -v[204:205]
	ds_read2_b64 v[204:207], v202 offset0:96 offset1:97
	v_add_f64 v[24:25], v[24:25], -v[88:89]
	s_waitcnt lgkmcnt(0)
	v_mul_f64 v[88:89], v[206:207], v[90:91]
	v_fma_f64 v[88:89], v[204:205], v[208:209], -v[88:89]
	v_mul_f64 v[204:205], v[204:205], v[90:91]
	v_fmac_f64_e32 v[204:205], v[206:207], v[208:209]
	v_add_f64 v[22:23], v[22:23], -v[204:205]
	ds_read2_b64 v[204:207], v202 offset0:98 offset1:99
	v_add_f64 v[20:21], v[20:21], -v[88:89]
	s_waitcnt lgkmcnt(0)
	v_mul_f64 v[88:89], v[206:207], v[90:91]
	v_fma_f64 v[88:89], v[204:205], v[208:209], -v[88:89]
	v_mul_f64 v[204:205], v[204:205], v[90:91]
	v_fmac_f64_e32 v[204:205], v[206:207], v[208:209]
	v_add_f64 v[18:19], v[18:19], -v[204:205]
	ds_read2_b64 v[204:207], v202 offset0:100 offset1:101
	v_add_f64 v[16:17], v[16:17], -v[88:89]
	s_waitcnt lgkmcnt(0)
	v_mul_f64 v[88:89], v[206:207], v[90:91]
	v_fma_f64 v[88:89], v[204:205], v[208:209], -v[88:89]
	v_mul_f64 v[204:205], v[204:205], v[90:91]
	v_fmac_f64_e32 v[204:205], v[206:207], v[208:209]
	v_add_f64 v[14:15], v[14:15], -v[204:205]
	ds_read2_b64 v[204:207], v202 offset0:102 offset1:103
	v_add_f64 v[12:13], v[12:13], -v[88:89]
	s_waitcnt lgkmcnt(0)
	v_mul_f64 v[88:89], v[206:207], v[90:91]
	v_fma_f64 v[88:89], v[204:205], v[208:209], -v[88:89]
	v_mul_f64 v[204:205], v[204:205], v[90:91]
	v_fmac_f64_e32 v[204:205], v[206:207], v[208:209]
	v_add_f64 v[10:11], v[10:11], -v[204:205]
	ds_read2_b64 v[204:207], v202 offset0:104 offset1:105
	v_add_f64 v[8:9], v[8:9], -v[88:89]
	s_waitcnt lgkmcnt(0)
	v_mul_f64 v[88:89], v[206:207], v[90:91]
	v_fma_f64 v[88:89], v[204:205], v[208:209], -v[88:89]
	v_mul_f64 v[204:205], v[204:205], v[90:91]
	v_fmac_f64_e32 v[204:205], v[206:207], v[208:209]
	v_add_f64 v[6:7], v[6:7], -v[204:205]
	ds_read2_b64 v[204:207], v202 offset0:106 offset1:107
	v_add_f64 v[4:5], v[4:5], -v[88:89]
	s_waitcnt lgkmcnt(0)
	v_mul_f64 v[88:89], v[206:207], v[90:91]
	v_fma_f64 v[88:89], v[204:205], v[208:209], -v[88:89]
	v_mul_f64 v[204:205], v[204:205], v[90:91]
	v_fmac_f64_e32 v[204:205], v[206:207], v[208:209]
	v_add_f64 v[2:3], v[2:3], -v[204:205]
	ds_read2_b64 v[204:207], v202 offset0:108 offset1:109
	v_add_f64 v[0:1], v[0:1], -v[88:89]
	s_waitcnt lgkmcnt(0)
	v_mul_f64 v[88:89], v[206:207], v[90:91]
	v_fma_f64 v[88:89], v[204:205], v[208:209], -v[88:89]
	v_mul_f64 v[204:205], v[204:205], v[90:91]
	v_fmac_f64_e32 v[204:205], v[206:207], v[208:209]
	v_add_f64 v[216:217], v[216:217], -v[88:89]
	v_add_f64 v[218:219], v[218:219], -v[204:205]
	v_mov_b64_e32 v[88:89], v[208:209]
.LBB109_289:
	s_or_b64 exec, exec, s[2:3]
	v_cmp_eq_u32_e32 vcc, 32, v200
	s_waitcnt vmcnt(63) expcnt(7) lgkmcnt(15)
	s_barrier
	s_and_saveexec_b64 s[4:5], vcc
	s_cbranch_execz .LBB109_296
; %bb.290:
	ds_write2_b64 v201, v[84:85], v[86:87] offset1:1
	ds_write2_b64 v202, v[80:81], v[82:83] offset0:66 offset1:67
	ds_write2_b64 v202, v[76:77], v[78:79] offset0:68 offset1:69
	;; [unrolled: 1-line block ×5, first 2 shown]
	s_waitcnt vmcnt(62)
	ds_write2_b64 v202, v[60:61], v[62:63] offset0:76 offset1:77
	s_waitcnt vmcnt(61)
	ds_write2_b64 v202, v[56:57], v[58:59] offset0:78 offset1:79
	;; [unrolled: 2-line block ×12, first 2 shown]
	ds_write2_b64 v202, v[12:13], v[14:15] offset0:100 offset1:101
	ds_write2_b64 v202, v[8:9], v[10:11] offset0:102 offset1:103
	ds_write2_b64 v202, v[4:5], v[6:7] offset0:104 offset1:105
	s_waitcnt vmcnt(50)
	ds_write2_b64 v202, v[0:1], v[2:3] offset0:106 offset1:107
	s_waitcnt vmcnt(47)
	ds_write2_b64 v202, v[216:217], v[218:219] offset0:108 offset1:109
	ds_read2_b64 v[208:211], v201 offset1:1
	s_waitcnt lgkmcnt(0)
	v_cmp_neq_f64_e32 vcc, 0, v[208:209]
	v_cmp_neq_f64_e64 s[2:3], 0, v[210:211]
	s_or_b64 s[2:3], vcc, s[2:3]
	s_and_b64 exec, exec, s[2:3]
	s_cbranch_execz .LBB109_296
; %bb.291:
	v_cmp_ngt_f64_e64 s[2:3], |v[208:209]|, |v[210:211]|
                                        ; implicit-def: $vgpr204_vgpr205
	s_and_saveexec_b64 s[10:11], s[2:3]
	s_xor_b64 s[2:3], exec, s[10:11]
                                        ; implicit-def: $vgpr206_vgpr207
	s_cbranch_execz .LBB109_293
; %bb.292:
	v_div_scale_f64 v[204:205], s[10:11], v[210:211], v[210:211], v[208:209]
	v_rcp_f64_e32 v[206:207], v[204:205]
	v_div_scale_f64 v[212:213], vcc, v[208:209], v[210:211], v[208:209]
	v_fma_f64 v[214:215], -v[204:205], v[206:207], 1.0
	v_fmac_f64_e32 v[206:207], v[206:207], v[214:215]
	v_fma_f64 v[214:215], -v[204:205], v[206:207], 1.0
	v_fmac_f64_e32 v[206:207], v[206:207], v[214:215]
	v_mul_f64 v[214:215], v[212:213], v[206:207]
	v_fma_f64 v[204:205], -v[204:205], v[214:215], v[212:213]
	v_div_fmas_f64 v[204:205], v[204:205], v[206:207], v[214:215]
	v_div_fixup_f64 v[204:205], v[204:205], v[210:211], v[208:209]
	v_fmac_f64_e32 v[210:211], v[208:209], v[204:205]
	v_div_scale_f64 v[206:207], s[10:11], v[210:211], v[210:211], 1.0
	v_rcp_f64_e32 v[208:209], v[206:207]
	s_nop 0
	v_fma_f64 v[212:213], -v[206:207], v[208:209], 1.0
	v_fmac_f64_e32 v[208:209], v[208:209], v[212:213]
	v_fma_f64 v[212:213], -v[206:207], v[208:209], 1.0
	v_fmac_f64_e32 v[208:209], v[208:209], v[212:213]
	v_div_scale_f64 v[212:213], vcc, 1.0, v[210:211], 1.0
	v_mul_f64 v[214:215], v[212:213], v[208:209]
	v_fma_f64 v[206:207], -v[206:207], v[214:215], v[212:213]
	s_nop 1
	v_div_fmas_f64 v[206:207], v[206:207], v[208:209], v[214:215]
	v_div_fixup_f64 v[206:207], v[206:207], v[210:211], 1.0
	v_mul_f64 v[204:205], v[204:205], v[206:207]
	v_xor_b32_e32 v207, 0x80000000, v207
                                        ; implicit-def: $vgpr208_vgpr209
.LBB109_293:
	s_andn2_saveexec_b64 s[2:3], s[2:3]
	s_cbranch_execz .LBB109_295
; %bb.294:
	v_div_scale_f64 v[204:205], s[10:11], v[208:209], v[208:209], v[210:211]
	v_rcp_f64_e32 v[206:207], v[204:205]
	v_div_scale_f64 v[212:213], vcc, v[210:211], v[208:209], v[210:211]
	v_fma_f64 v[214:215], -v[204:205], v[206:207], 1.0
	v_fmac_f64_e32 v[206:207], v[206:207], v[214:215]
	v_fma_f64 v[214:215], -v[204:205], v[206:207], 1.0
	v_fmac_f64_e32 v[206:207], v[206:207], v[214:215]
	v_mul_f64 v[214:215], v[212:213], v[206:207]
	v_fma_f64 v[204:205], -v[204:205], v[214:215], v[212:213]
	v_div_fmas_f64 v[204:205], v[204:205], v[206:207], v[214:215]
	v_div_fixup_f64 v[206:207], v[204:205], v[208:209], v[210:211]
	v_fmac_f64_e32 v[208:209], v[210:211], v[206:207]
	v_div_scale_f64 v[204:205], s[10:11], v[208:209], v[208:209], 1.0
	v_rcp_f64_e32 v[210:211], v[204:205]
	s_nop 0
	v_fma_f64 v[212:213], -v[204:205], v[210:211], 1.0
	v_fmac_f64_e32 v[210:211], v[210:211], v[212:213]
	v_fma_f64 v[212:213], -v[204:205], v[210:211], 1.0
	v_fmac_f64_e32 v[210:211], v[210:211], v[212:213]
	v_div_scale_f64 v[212:213], vcc, 1.0, v[208:209], 1.0
	v_mul_f64 v[214:215], v[212:213], v[210:211]
	v_fma_f64 v[204:205], -v[204:205], v[214:215], v[212:213]
	s_nop 1
	v_div_fmas_f64 v[204:205], v[204:205], v[210:211], v[214:215]
	v_div_fixup_f64 v[204:205], v[204:205], v[208:209], 1.0
	v_mul_f64 v[206:207], v[206:207], -v[204:205]
.LBB109_295:
	s_or_b64 exec, exec, s[2:3]
	ds_write2_b64 v201, v[204:205], v[206:207] offset1:1
.LBB109_296:
	s_or_b64 exec, exec, s[4:5]
	s_waitcnt lgkmcnt(0)
	s_barrier
	ds_read2_b64 v[192:195], v201 offset1:1
	v_cmp_lt_u32_e32 vcc, 32, v200
	s_waitcnt lgkmcnt(0)
	scratch_store_dwordx4 off, v[192:195], off offset:1032 ; 16-byte Folded Spill
	s_and_saveexec_b64 s[2:3], vcc
	s_cbranch_execz .LBB109_298
; %bb.297:
	scratch_load_dwordx4 v[192:195], off, off offset:1032 ; 16-byte Folded Reload
	s_waitcnt vmcnt(0)
	v_mul_f64 v[204:205], v[194:195], v[86:87]
	v_fma_f64 v[208:209], v[192:193], v[84:85], -v[204:205]
	ds_read2_b64 v[204:207], v202 offset0:66 offset1:67
	v_mul_f64 v[86:87], v[192:193], v[86:87]
	v_fmac_f64_e32 v[86:87], v[194:195], v[84:85]
	s_waitcnt lgkmcnt(0)
	v_mul_f64 v[84:85], v[206:207], v[86:87]
	v_fma_f64 v[84:85], v[204:205], v[208:209], -v[84:85]
	v_mul_f64 v[204:205], v[204:205], v[86:87]
	v_fmac_f64_e32 v[204:205], v[206:207], v[208:209]
	v_add_f64 v[82:83], v[82:83], -v[204:205]
	ds_read2_b64 v[204:207], v202 offset0:68 offset1:69
	v_add_f64 v[80:81], v[80:81], -v[84:85]
	s_waitcnt lgkmcnt(0)
	v_mul_f64 v[84:85], v[206:207], v[86:87]
	v_fma_f64 v[84:85], v[204:205], v[208:209], -v[84:85]
	v_mul_f64 v[204:205], v[204:205], v[86:87]
	v_fmac_f64_e32 v[204:205], v[206:207], v[208:209]
	v_add_f64 v[78:79], v[78:79], -v[204:205]
	ds_read2_b64 v[204:207], v202 offset0:70 offset1:71
	v_add_f64 v[76:77], v[76:77], -v[84:85]
	;; [unrolled: 8-line block ×21, first 2 shown]
	s_waitcnt lgkmcnt(0)
	v_mul_f64 v[84:85], v[206:207], v[86:87]
	v_fma_f64 v[84:85], v[204:205], v[208:209], -v[84:85]
	v_mul_f64 v[204:205], v[204:205], v[86:87]
	v_fmac_f64_e32 v[204:205], v[206:207], v[208:209]
	v_add_f64 v[216:217], v[216:217], -v[84:85]
	v_add_f64 v[218:219], v[218:219], -v[204:205]
	v_mov_b64_e32 v[84:85], v[208:209]
.LBB109_298:
	s_or_b64 exec, exec, s[2:3]
	v_cmp_eq_u32_e32 vcc, 33, v200
	s_waitcnt vmcnt(63) expcnt(7) lgkmcnt(15)
	s_barrier
	s_and_saveexec_b64 s[4:5], vcc
	s_cbranch_execz .LBB109_305
; %bb.299:
	ds_write2_b64 v201, v[80:81], v[82:83] offset1:1
	ds_write2_b64 v202, v[76:77], v[78:79] offset0:68 offset1:69
	ds_write2_b64 v202, v[72:73], v[74:75] offset0:70 offset1:71
	;; [unrolled: 1-line block ×5, first 2 shown]
	s_waitcnt vmcnt(62)
	ds_write2_b64 v202, v[56:57], v[58:59] offset0:78 offset1:79
	s_waitcnt vmcnt(61)
	ds_write2_b64 v202, v[52:53], v[54:55] offset0:80 offset1:81
	;; [unrolled: 2-line block ×11, first 2 shown]
	ds_write2_b64 v202, v[12:13], v[14:15] offset0:100 offset1:101
	ds_write2_b64 v202, v[8:9], v[10:11] offset0:102 offset1:103
	;; [unrolled: 1-line block ×3, first 2 shown]
	s_waitcnt vmcnt(51)
	ds_write2_b64 v202, v[0:1], v[2:3] offset0:106 offset1:107
	s_waitcnt vmcnt(48)
	ds_write2_b64 v202, v[216:217], v[218:219] offset0:108 offset1:109
	ds_read2_b64 v[208:211], v201 offset1:1
	s_waitcnt lgkmcnt(0)
	v_cmp_neq_f64_e32 vcc, 0, v[208:209]
	v_cmp_neq_f64_e64 s[2:3], 0, v[210:211]
	s_or_b64 s[2:3], vcc, s[2:3]
	s_and_b64 exec, exec, s[2:3]
	s_cbranch_execz .LBB109_305
; %bb.300:
	v_cmp_ngt_f64_e64 s[2:3], |v[208:209]|, |v[210:211]|
                                        ; implicit-def: $vgpr204_vgpr205
	s_and_saveexec_b64 s[10:11], s[2:3]
	s_xor_b64 s[2:3], exec, s[10:11]
                                        ; implicit-def: $vgpr206_vgpr207
	s_cbranch_execz .LBB109_302
; %bb.301:
	v_div_scale_f64 v[204:205], s[10:11], v[210:211], v[210:211], v[208:209]
	v_rcp_f64_e32 v[206:207], v[204:205]
	v_div_scale_f64 v[212:213], vcc, v[208:209], v[210:211], v[208:209]
	v_fma_f64 v[214:215], -v[204:205], v[206:207], 1.0
	v_fmac_f64_e32 v[206:207], v[206:207], v[214:215]
	v_fma_f64 v[214:215], -v[204:205], v[206:207], 1.0
	v_fmac_f64_e32 v[206:207], v[206:207], v[214:215]
	v_mul_f64 v[214:215], v[212:213], v[206:207]
	v_fma_f64 v[204:205], -v[204:205], v[214:215], v[212:213]
	v_div_fmas_f64 v[204:205], v[204:205], v[206:207], v[214:215]
	v_div_fixup_f64 v[204:205], v[204:205], v[210:211], v[208:209]
	v_fmac_f64_e32 v[210:211], v[208:209], v[204:205]
	v_div_scale_f64 v[206:207], s[10:11], v[210:211], v[210:211], 1.0
	v_rcp_f64_e32 v[208:209], v[206:207]
	s_nop 0
	v_fma_f64 v[212:213], -v[206:207], v[208:209], 1.0
	v_fmac_f64_e32 v[208:209], v[208:209], v[212:213]
	v_fma_f64 v[212:213], -v[206:207], v[208:209], 1.0
	v_fmac_f64_e32 v[208:209], v[208:209], v[212:213]
	v_div_scale_f64 v[212:213], vcc, 1.0, v[210:211], 1.0
	v_mul_f64 v[214:215], v[212:213], v[208:209]
	v_fma_f64 v[206:207], -v[206:207], v[214:215], v[212:213]
	s_nop 1
	v_div_fmas_f64 v[206:207], v[206:207], v[208:209], v[214:215]
	v_div_fixup_f64 v[206:207], v[206:207], v[210:211], 1.0
	v_mul_f64 v[204:205], v[204:205], v[206:207]
	v_xor_b32_e32 v207, 0x80000000, v207
                                        ; implicit-def: $vgpr208_vgpr209
.LBB109_302:
	s_andn2_saveexec_b64 s[2:3], s[2:3]
	s_cbranch_execz .LBB109_304
; %bb.303:
	v_div_scale_f64 v[204:205], s[10:11], v[208:209], v[208:209], v[210:211]
	v_rcp_f64_e32 v[206:207], v[204:205]
	v_div_scale_f64 v[212:213], vcc, v[210:211], v[208:209], v[210:211]
	v_fma_f64 v[214:215], -v[204:205], v[206:207], 1.0
	v_fmac_f64_e32 v[206:207], v[206:207], v[214:215]
	v_fma_f64 v[214:215], -v[204:205], v[206:207], 1.0
	v_fmac_f64_e32 v[206:207], v[206:207], v[214:215]
	v_mul_f64 v[214:215], v[212:213], v[206:207]
	v_fma_f64 v[204:205], -v[204:205], v[214:215], v[212:213]
	v_div_fmas_f64 v[204:205], v[204:205], v[206:207], v[214:215]
	v_div_fixup_f64 v[206:207], v[204:205], v[208:209], v[210:211]
	v_fmac_f64_e32 v[208:209], v[210:211], v[206:207]
	v_div_scale_f64 v[204:205], s[10:11], v[208:209], v[208:209], 1.0
	v_rcp_f64_e32 v[210:211], v[204:205]
	s_nop 0
	v_fma_f64 v[212:213], -v[204:205], v[210:211], 1.0
	v_fmac_f64_e32 v[210:211], v[210:211], v[212:213]
	v_fma_f64 v[212:213], -v[204:205], v[210:211], 1.0
	v_fmac_f64_e32 v[210:211], v[210:211], v[212:213]
	v_div_scale_f64 v[212:213], vcc, 1.0, v[208:209], 1.0
	v_mul_f64 v[214:215], v[212:213], v[210:211]
	v_fma_f64 v[204:205], -v[204:205], v[214:215], v[212:213]
	s_nop 1
	v_div_fmas_f64 v[204:205], v[204:205], v[210:211], v[214:215]
	v_div_fixup_f64 v[204:205], v[204:205], v[208:209], 1.0
	v_mul_f64 v[206:207], v[206:207], -v[204:205]
.LBB109_304:
	s_or_b64 exec, exec, s[2:3]
	ds_write2_b64 v201, v[204:205], v[206:207] offset1:1
.LBB109_305:
	s_or_b64 exec, exec, s[4:5]
	s_waitcnt lgkmcnt(0)
	s_barrier
	ds_read2_b64 v[192:195], v201 offset1:1
	v_cmp_lt_u32_e32 vcc, 33, v200
	s_waitcnt lgkmcnt(0)
	scratch_store_dwordx4 off, v[192:195], off offset:1048 ; 16-byte Folded Spill
	s_and_saveexec_b64 s[2:3], vcc
	s_cbranch_execz .LBB109_307
; %bb.306:
	scratch_load_dwordx4 v[192:195], off, off offset:1048 ; 16-byte Folded Reload
	s_waitcnt vmcnt(0)
	v_mul_f64 v[204:205], v[194:195], v[82:83]
	v_fma_f64 v[208:209], v[192:193], v[80:81], -v[204:205]
	ds_read2_b64 v[204:207], v202 offset0:68 offset1:69
	v_mul_f64 v[82:83], v[192:193], v[82:83]
	v_fmac_f64_e32 v[82:83], v[194:195], v[80:81]
	s_waitcnt lgkmcnt(0)
	v_mul_f64 v[80:81], v[206:207], v[82:83]
	v_fma_f64 v[80:81], v[204:205], v[208:209], -v[80:81]
	v_mul_f64 v[204:205], v[204:205], v[82:83]
	v_fmac_f64_e32 v[204:205], v[206:207], v[208:209]
	v_add_f64 v[78:79], v[78:79], -v[204:205]
	ds_read2_b64 v[204:207], v202 offset0:70 offset1:71
	v_add_f64 v[76:77], v[76:77], -v[80:81]
	s_waitcnt lgkmcnt(0)
	v_mul_f64 v[80:81], v[206:207], v[82:83]
	v_fma_f64 v[80:81], v[204:205], v[208:209], -v[80:81]
	v_mul_f64 v[204:205], v[204:205], v[82:83]
	v_fmac_f64_e32 v[204:205], v[206:207], v[208:209]
	v_add_f64 v[74:75], v[74:75], -v[204:205]
	ds_read2_b64 v[204:207], v202 offset0:72 offset1:73
	v_add_f64 v[72:73], v[72:73], -v[80:81]
	;; [unrolled: 8-line block ×20, first 2 shown]
	s_waitcnt lgkmcnt(0)
	v_mul_f64 v[80:81], v[206:207], v[82:83]
	v_fma_f64 v[80:81], v[204:205], v[208:209], -v[80:81]
	v_mul_f64 v[204:205], v[204:205], v[82:83]
	v_fmac_f64_e32 v[204:205], v[206:207], v[208:209]
	v_add_f64 v[216:217], v[216:217], -v[80:81]
	v_add_f64 v[218:219], v[218:219], -v[204:205]
	v_mov_b64_e32 v[80:81], v[208:209]
.LBB109_307:
	s_or_b64 exec, exec, s[2:3]
	v_cmp_eq_u32_e32 vcc, 34, v200
	s_waitcnt vmcnt(63) expcnt(7) lgkmcnt(15)
	s_barrier
	s_and_saveexec_b64 s[4:5], vcc
	s_cbranch_execz .LBB109_314
; %bb.308:
	ds_write2_b64 v201, v[76:77], v[78:79] offset1:1
	ds_write2_b64 v202, v[72:73], v[74:75] offset0:70 offset1:71
	ds_write2_b64 v202, v[68:69], v[70:71] offset0:72 offset1:73
	;; [unrolled: 1-line block ×5, first 2 shown]
	s_waitcnt vmcnt(62)
	ds_write2_b64 v202, v[52:53], v[54:55] offset0:80 offset1:81
	s_waitcnt vmcnt(61)
	ds_write2_b64 v202, v[48:49], v[50:51] offset0:82 offset1:83
	;; [unrolled: 2-line block ×10, first 2 shown]
	ds_write2_b64 v202, v[12:13], v[14:15] offset0:100 offset1:101
	ds_write2_b64 v202, v[8:9], v[10:11] offset0:102 offset1:103
	;; [unrolled: 1-line block ×3, first 2 shown]
	s_waitcnt vmcnt(52)
	ds_write2_b64 v202, v[0:1], v[2:3] offset0:106 offset1:107
	s_waitcnt vmcnt(49)
	ds_write2_b64 v202, v[216:217], v[218:219] offset0:108 offset1:109
	ds_read2_b64 v[208:211], v201 offset1:1
	s_waitcnt lgkmcnt(0)
	v_cmp_neq_f64_e32 vcc, 0, v[208:209]
	v_cmp_neq_f64_e64 s[2:3], 0, v[210:211]
	s_or_b64 s[2:3], vcc, s[2:3]
	s_and_b64 exec, exec, s[2:3]
	s_cbranch_execz .LBB109_314
; %bb.309:
	v_cmp_ngt_f64_e64 s[2:3], |v[208:209]|, |v[210:211]|
                                        ; implicit-def: $vgpr204_vgpr205
	s_and_saveexec_b64 s[10:11], s[2:3]
	s_xor_b64 s[2:3], exec, s[10:11]
                                        ; implicit-def: $vgpr206_vgpr207
	s_cbranch_execz .LBB109_311
; %bb.310:
	v_div_scale_f64 v[204:205], s[10:11], v[210:211], v[210:211], v[208:209]
	v_rcp_f64_e32 v[206:207], v[204:205]
	v_div_scale_f64 v[212:213], vcc, v[208:209], v[210:211], v[208:209]
	v_fma_f64 v[214:215], -v[204:205], v[206:207], 1.0
	v_fmac_f64_e32 v[206:207], v[206:207], v[214:215]
	v_fma_f64 v[214:215], -v[204:205], v[206:207], 1.0
	v_fmac_f64_e32 v[206:207], v[206:207], v[214:215]
	v_mul_f64 v[214:215], v[212:213], v[206:207]
	v_fma_f64 v[204:205], -v[204:205], v[214:215], v[212:213]
	v_div_fmas_f64 v[204:205], v[204:205], v[206:207], v[214:215]
	v_div_fixup_f64 v[204:205], v[204:205], v[210:211], v[208:209]
	v_fmac_f64_e32 v[210:211], v[208:209], v[204:205]
	v_div_scale_f64 v[206:207], s[10:11], v[210:211], v[210:211], 1.0
	v_rcp_f64_e32 v[208:209], v[206:207]
	s_nop 0
	v_fma_f64 v[212:213], -v[206:207], v[208:209], 1.0
	v_fmac_f64_e32 v[208:209], v[208:209], v[212:213]
	v_fma_f64 v[212:213], -v[206:207], v[208:209], 1.0
	v_fmac_f64_e32 v[208:209], v[208:209], v[212:213]
	v_div_scale_f64 v[212:213], vcc, 1.0, v[210:211], 1.0
	v_mul_f64 v[214:215], v[212:213], v[208:209]
	v_fma_f64 v[206:207], -v[206:207], v[214:215], v[212:213]
	s_nop 1
	v_div_fmas_f64 v[206:207], v[206:207], v[208:209], v[214:215]
	v_div_fixup_f64 v[206:207], v[206:207], v[210:211], 1.0
	v_mul_f64 v[204:205], v[204:205], v[206:207]
	v_xor_b32_e32 v207, 0x80000000, v207
                                        ; implicit-def: $vgpr208_vgpr209
.LBB109_311:
	s_andn2_saveexec_b64 s[2:3], s[2:3]
	s_cbranch_execz .LBB109_313
; %bb.312:
	v_div_scale_f64 v[204:205], s[10:11], v[208:209], v[208:209], v[210:211]
	v_rcp_f64_e32 v[206:207], v[204:205]
	v_div_scale_f64 v[212:213], vcc, v[210:211], v[208:209], v[210:211]
	v_fma_f64 v[214:215], -v[204:205], v[206:207], 1.0
	v_fmac_f64_e32 v[206:207], v[206:207], v[214:215]
	v_fma_f64 v[214:215], -v[204:205], v[206:207], 1.0
	v_fmac_f64_e32 v[206:207], v[206:207], v[214:215]
	v_mul_f64 v[214:215], v[212:213], v[206:207]
	v_fma_f64 v[204:205], -v[204:205], v[214:215], v[212:213]
	v_div_fmas_f64 v[204:205], v[204:205], v[206:207], v[214:215]
	v_div_fixup_f64 v[206:207], v[204:205], v[208:209], v[210:211]
	v_fmac_f64_e32 v[208:209], v[210:211], v[206:207]
	v_div_scale_f64 v[204:205], s[10:11], v[208:209], v[208:209], 1.0
	v_rcp_f64_e32 v[210:211], v[204:205]
	s_nop 0
	v_fma_f64 v[212:213], -v[204:205], v[210:211], 1.0
	v_fmac_f64_e32 v[210:211], v[210:211], v[212:213]
	v_fma_f64 v[212:213], -v[204:205], v[210:211], 1.0
	v_fmac_f64_e32 v[210:211], v[210:211], v[212:213]
	v_div_scale_f64 v[212:213], vcc, 1.0, v[208:209], 1.0
	v_mul_f64 v[214:215], v[212:213], v[210:211]
	v_fma_f64 v[204:205], -v[204:205], v[214:215], v[212:213]
	s_nop 1
	v_div_fmas_f64 v[204:205], v[204:205], v[210:211], v[214:215]
	v_div_fixup_f64 v[204:205], v[204:205], v[208:209], 1.0
	v_mul_f64 v[206:207], v[206:207], -v[204:205]
.LBB109_313:
	s_or_b64 exec, exec, s[2:3]
	ds_write2_b64 v201, v[204:205], v[206:207] offset1:1
.LBB109_314:
	s_or_b64 exec, exec, s[4:5]
	s_waitcnt lgkmcnt(0)
	s_barrier
	ds_read2_b64 v[192:195], v201 offset1:1
	v_cmp_lt_u32_e32 vcc, 34, v200
	s_waitcnt lgkmcnt(0)
	scratch_store_dwordx4 off, v[192:195], off offset:1064 ; 16-byte Folded Spill
	s_and_saveexec_b64 s[2:3], vcc
	s_cbranch_execz .LBB109_316
; %bb.315:
	scratch_load_dwordx4 v[192:195], off, off offset:1064 ; 16-byte Folded Reload
	s_waitcnt vmcnt(0)
	v_mul_f64 v[204:205], v[194:195], v[78:79]
	v_fma_f64 v[208:209], v[192:193], v[76:77], -v[204:205]
	ds_read2_b64 v[204:207], v202 offset0:70 offset1:71
	v_mul_f64 v[78:79], v[192:193], v[78:79]
	v_fmac_f64_e32 v[78:79], v[194:195], v[76:77]
	s_waitcnt lgkmcnt(0)
	v_mul_f64 v[76:77], v[206:207], v[78:79]
	v_fma_f64 v[76:77], v[204:205], v[208:209], -v[76:77]
	v_mul_f64 v[204:205], v[204:205], v[78:79]
	v_fmac_f64_e32 v[204:205], v[206:207], v[208:209]
	v_add_f64 v[74:75], v[74:75], -v[204:205]
	ds_read2_b64 v[204:207], v202 offset0:72 offset1:73
	v_add_f64 v[72:73], v[72:73], -v[76:77]
	s_waitcnt lgkmcnt(0)
	v_mul_f64 v[76:77], v[206:207], v[78:79]
	v_fma_f64 v[76:77], v[204:205], v[208:209], -v[76:77]
	v_mul_f64 v[204:205], v[204:205], v[78:79]
	v_fmac_f64_e32 v[204:205], v[206:207], v[208:209]
	v_add_f64 v[70:71], v[70:71], -v[204:205]
	ds_read2_b64 v[204:207], v202 offset0:74 offset1:75
	v_add_f64 v[68:69], v[68:69], -v[76:77]
	;; [unrolled: 8-line block ×19, first 2 shown]
	s_waitcnt lgkmcnt(0)
	v_mul_f64 v[76:77], v[206:207], v[78:79]
	v_fma_f64 v[76:77], v[204:205], v[208:209], -v[76:77]
	v_mul_f64 v[204:205], v[204:205], v[78:79]
	v_fmac_f64_e32 v[204:205], v[206:207], v[208:209]
	v_add_f64 v[216:217], v[216:217], -v[76:77]
	v_add_f64 v[218:219], v[218:219], -v[204:205]
	v_mov_b64_e32 v[76:77], v[208:209]
.LBB109_316:
	s_or_b64 exec, exec, s[2:3]
	v_cmp_eq_u32_e32 vcc, 35, v200
	s_waitcnt vmcnt(63) expcnt(7) lgkmcnt(15)
	s_barrier
	s_and_saveexec_b64 s[4:5], vcc
	s_cbranch_execz .LBB109_323
; %bb.317:
	ds_write2_b64 v201, v[72:73], v[74:75] offset1:1
	ds_write2_b64 v202, v[68:69], v[70:71] offset0:72 offset1:73
	ds_write2_b64 v202, v[64:65], v[66:67] offset0:74 offset1:75
	ds_write2_b64 v202, v[60:61], v[62:63] offset0:76 offset1:77
	ds_write2_b64 v202, v[56:57], v[58:59] offset0:78 offset1:79
	ds_write2_b64 v202, v[52:53], v[54:55] offset0:80 offset1:81
	s_waitcnt vmcnt(62)
	ds_write2_b64 v202, v[48:49], v[50:51] offset0:82 offset1:83
	s_waitcnt vmcnt(61)
	ds_write2_b64 v202, v[44:45], v[46:47] offset0:84 offset1:85
	;; [unrolled: 2-line block ×9, first 2 shown]
	ds_write2_b64 v202, v[12:13], v[14:15] offset0:100 offset1:101
	ds_write2_b64 v202, v[8:9], v[10:11] offset0:102 offset1:103
	;; [unrolled: 1-line block ×3, first 2 shown]
	s_waitcnt vmcnt(53)
	ds_write2_b64 v202, v[0:1], v[2:3] offset0:106 offset1:107
	s_waitcnt vmcnt(50)
	ds_write2_b64 v202, v[216:217], v[218:219] offset0:108 offset1:109
	ds_read2_b64 v[208:211], v201 offset1:1
	s_waitcnt lgkmcnt(0)
	v_cmp_neq_f64_e32 vcc, 0, v[208:209]
	v_cmp_neq_f64_e64 s[2:3], 0, v[210:211]
	s_or_b64 s[2:3], vcc, s[2:3]
	s_and_b64 exec, exec, s[2:3]
	s_cbranch_execz .LBB109_323
; %bb.318:
	v_cmp_ngt_f64_e64 s[2:3], |v[208:209]|, |v[210:211]|
                                        ; implicit-def: $vgpr204_vgpr205
	s_and_saveexec_b64 s[10:11], s[2:3]
	s_xor_b64 s[2:3], exec, s[10:11]
                                        ; implicit-def: $vgpr206_vgpr207
	s_cbranch_execz .LBB109_320
; %bb.319:
	v_div_scale_f64 v[204:205], s[10:11], v[210:211], v[210:211], v[208:209]
	v_rcp_f64_e32 v[206:207], v[204:205]
	v_div_scale_f64 v[212:213], vcc, v[208:209], v[210:211], v[208:209]
	v_fma_f64 v[214:215], -v[204:205], v[206:207], 1.0
	v_fmac_f64_e32 v[206:207], v[206:207], v[214:215]
	v_fma_f64 v[214:215], -v[204:205], v[206:207], 1.0
	v_fmac_f64_e32 v[206:207], v[206:207], v[214:215]
	v_mul_f64 v[214:215], v[212:213], v[206:207]
	v_fma_f64 v[204:205], -v[204:205], v[214:215], v[212:213]
	v_div_fmas_f64 v[204:205], v[204:205], v[206:207], v[214:215]
	v_div_fixup_f64 v[204:205], v[204:205], v[210:211], v[208:209]
	v_fmac_f64_e32 v[210:211], v[208:209], v[204:205]
	v_div_scale_f64 v[206:207], s[10:11], v[210:211], v[210:211], 1.0
	v_rcp_f64_e32 v[208:209], v[206:207]
	s_nop 0
	v_fma_f64 v[212:213], -v[206:207], v[208:209], 1.0
	v_fmac_f64_e32 v[208:209], v[208:209], v[212:213]
	v_fma_f64 v[212:213], -v[206:207], v[208:209], 1.0
	v_fmac_f64_e32 v[208:209], v[208:209], v[212:213]
	v_div_scale_f64 v[212:213], vcc, 1.0, v[210:211], 1.0
	v_mul_f64 v[214:215], v[212:213], v[208:209]
	v_fma_f64 v[206:207], -v[206:207], v[214:215], v[212:213]
	s_nop 1
	v_div_fmas_f64 v[206:207], v[206:207], v[208:209], v[214:215]
	v_div_fixup_f64 v[206:207], v[206:207], v[210:211], 1.0
	v_mul_f64 v[204:205], v[204:205], v[206:207]
	v_xor_b32_e32 v207, 0x80000000, v207
                                        ; implicit-def: $vgpr208_vgpr209
.LBB109_320:
	s_andn2_saveexec_b64 s[2:3], s[2:3]
	s_cbranch_execz .LBB109_322
; %bb.321:
	v_div_scale_f64 v[204:205], s[10:11], v[208:209], v[208:209], v[210:211]
	v_rcp_f64_e32 v[206:207], v[204:205]
	v_div_scale_f64 v[212:213], vcc, v[210:211], v[208:209], v[210:211]
	v_fma_f64 v[214:215], -v[204:205], v[206:207], 1.0
	v_fmac_f64_e32 v[206:207], v[206:207], v[214:215]
	v_fma_f64 v[214:215], -v[204:205], v[206:207], 1.0
	v_fmac_f64_e32 v[206:207], v[206:207], v[214:215]
	v_mul_f64 v[214:215], v[212:213], v[206:207]
	v_fma_f64 v[204:205], -v[204:205], v[214:215], v[212:213]
	v_div_fmas_f64 v[204:205], v[204:205], v[206:207], v[214:215]
	v_div_fixup_f64 v[206:207], v[204:205], v[208:209], v[210:211]
	v_fmac_f64_e32 v[208:209], v[210:211], v[206:207]
	v_div_scale_f64 v[204:205], s[10:11], v[208:209], v[208:209], 1.0
	v_rcp_f64_e32 v[210:211], v[204:205]
	s_nop 0
	v_fma_f64 v[212:213], -v[204:205], v[210:211], 1.0
	v_fmac_f64_e32 v[210:211], v[210:211], v[212:213]
	v_fma_f64 v[212:213], -v[204:205], v[210:211], 1.0
	v_fmac_f64_e32 v[210:211], v[210:211], v[212:213]
	v_div_scale_f64 v[212:213], vcc, 1.0, v[208:209], 1.0
	v_mul_f64 v[214:215], v[212:213], v[210:211]
	v_fma_f64 v[204:205], -v[204:205], v[214:215], v[212:213]
	s_nop 1
	v_div_fmas_f64 v[204:205], v[204:205], v[210:211], v[214:215]
	v_div_fixup_f64 v[204:205], v[204:205], v[208:209], 1.0
	v_mul_f64 v[206:207], v[206:207], -v[204:205]
.LBB109_322:
	s_or_b64 exec, exec, s[2:3]
	ds_write2_b64 v201, v[204:205], v[206:207] offset1:1
.LBB109_323:
	s_or_b64 exec, exec, s[4:5]
	s_waitcnt lgkmcnt(0)
	s_barrier
	ds_read2_b64 v[192:195], v201 offset1:1
	v_cmp_lt_u32_e32 vcc, 35, v200
	s_waitcnt lgkmcnt(0)
	scratch_store_dwordx4 off, v[192:195], off offset:1080 ; 16-byte Folded Spill
	s_and_saveexec_b64 s[2:3], vcc
	s_cbranch_execz .LBB109_325
; %bb.324:
	scratch_load_dwordx4 v[192:195], off, off offset:1080 ; 16-byte Folded Reload
	s_waitcnt vmcnt(0)
	v_mul_f64 v[204:205], v[194:195], v[74:75]
	v_fma_f64 v[208:209], v[192:193], v[72:73], -v[204:205]
	ds_read2_b64 v[204:207], v202 offset0:72 offset1:73
	v_mul_f64 v[74:75], v[192:193], v[74:75]
	v_fmac_f64_e32 v[74:75], v[194:195], v[72:73]
	s_waitcnt lgkmcnt(0)
	v_mul_f64 v[72:73], v[206:207], v[74:75]
	v_fma_f64 v[72:73], v[204:205], v[208:209], -v[72:73]
	v_mul_f64 v[204:205], v[204:205], v[74:75]
	v_fmac_f64_e32 v[204:205], v[206:207], v[208:209]
	v_add_f64 v[70:71], v[70:71], -v[204:205]
	ds_read2_b64 v[204:207], v202 offset0:74 offset1:75
	v_add_f64 v[68:69], v[68:69], -v[72:73]
	s_waitcnt lgkmcnt(0)
	v_mul_f64 v[72:73], v[206:207], v[74:75]
	v_fma_f64 v[72:73], v[204:205], v[208:209], -v[72:73]
	v_mul_f64 v[204:205], v[204:205], v[74:75]
	v_fmac_f64_e32 v[204:205], v[206:207], v[208:209]
	v_add_f64 v[66:67], v[66:67], -v[204:205]
	ds_read2_b64 v[204:207], v202 offset0:76 offset1:77
	v_add_f64 v[64:65], v[64:65], -v[72:73]
	;; [unrolled: 8-line block ×18, first 2 shown]
	s_waitcnt lgkmcnt(0)
	v_mul_f64 v[72:73], v[206:207], v[74:75]
	v_fma_f64 v[72:73], v[204:205], v[208:209], -v[72:73]
	v_mul_f64 v[204:205], v[204:205], v[74:75]
	v_fmac_f64_e32 v[204:205], v[206:207], v[208:209]
	v_add_f64 v[216:217], v[216:217], -v[72:73]
	v_add_f64 v[218:219], v[218:219], -v[204:205]
	v_mov_b64_e32 v[72:73], v[208:209]
.LBB109_325:
	s_or_b64 exec, exec, s[2:3]
	v_cmp_eq_u32_e32 vcc, 36, v200
	s_waitcnt vmcnt(63) expcnt(7) lgkmcnt(15)
	s_barrier
	s_and_saveexec_b64 s[4:5], vcc
	s_cbranch_execz .LBB109_332
; %bb.326:
	ds_write2_b64 v201, v[68:69], v[70:71] offset1:1
	ds_write2_b64 v202, v[64:65], v[66:67] offset0:74 offset1:75
	ds_write2_b64 v202, v[60:61], v[62:63] offset0:76 offset1:77
	;; [unrolled: 1-line block ×5, first 2 shown]
	s_waitcnt vmcnt(62)
	ds_write2_b64 v202, v[44:45], v[46:47] offset0:84 offset1:85
	s_waitcnt vmcnt(61)
	ds_write2_b64 v202, v[40:41], v[42:43] offset0:86 offset1:87
	;; [unrolled: 2-line block ×8, first 2 shown]
	ds_write2_b64 v202, v[12:13], v[14:15] offset0:100 offset1:101
	ds_write2_b64 v202, v[8:9], v[10:11] offset0:102 offset1:103
	;; [unrolled: 1-line block ×3, first 2 shown]
	s_waitcnt vmcnt(54)
	ds_write2_b64 v202, v[0:1], v[2:3] offset0:106 offset1:107
	s_waitcnt vmcnt(51)
	ds_write2_b64 v202, v[216:217], v[218:219] offset0:108 offset1:109
	ds_read2_b64 v[208:211], v201 offset1:1
	s_waitcnt lgkmcnt(0)
	v_cmp_neq_f64_e32 vcc, 0, v[208:209]
	v_cmp_neq_f64_e64 s[2:3], 0, v[210:211]
	s_or_b64 s[2:3], vcc, s[2:3]
	s_and_b64 exec, exec, s[2:3]
	s_cbranch_execz .LBB109_332
; %bb.327:
	v_cmp_ngt_f64_e64 s[2:3], |v[208:209]|, |v[210:211]|
                                        ; implicit-def: $vgpr204_vgpr205
	s_and_saveexec_b64 s[10:11], s[2:3]
	s_xor_b64 s[2:3], exec, s[10:11]
                                        ; implicit-def: $vgpr206_vgpr207
	s_cbranch_execz .LBB109_329
; %bb.328:
	v_div_scale_f64 v[204:205], s[10:11], v[210:211], v[210:211], v[208:209]
	v_rcp_f64_e32 v[206:207], v[204:205]
	v_div_scale_f64 v[212:213], vcc, v[208:209], v[210:211], v[208:209]
	v_fma_f64 v[214:215], -v[204:205], v[206:207], 1.0
	v_fmac_f64_e32 v[206:207], v[206:207], v[214:215]
	v_fma_f64 v[214:215], -v[204:205], v[206:207], 1.0
	v_fmac_f64_e32 v[206:207], v[206:207], v[214:215]
	v_mul_f64 v[214:215], v[212:213], v[206:207]
	v_fma_f64 v[204:205], -v[204:205], v[214:215], v[212:213]
	v_div_fmas_f64 v[204:205], v[204:205], v[206:207], v[214:215]
	v_div_fixup_f64 v[204:205], v[204:205], v[210:211], v[208:209]
	v_fmac_f64_e32 v[210:211], v[208:209], v[204:205]
	v_div_scale_f64 v[206:207], s[10:11], v[210:211], v[210:211], 1.0
	v_rcp_f64_e32 v[208:209], v[206:207]
	s_nop 0
	v_fma_f64 v[212:213], -v[206:207], v[208:209], 1.0
	v_fmac_f64_e32 v[208:209], v[208:209], v[212:213]
	v_fma_f64 v[212:213], -v[206:207], v[208:209], 1.0
	v_fmac_f64_e32 v[208:209], v[208:209], v[212:213]
	v_div_scale_f64 v[212:213], vcc, 1.0, v[210:211], 1.0
	v_mul_f64 v[214:215], v[212:213], v[208:209]
	v_fma_f64 v[206:207], -v[206:207], v[214:215], v[212:213]
	s_nop 1
	v_div_fmas_f64 v[206:207], v[206:207], v[208:209], v[214:215]
	v_div_fixup_f64 v[206:207], v[206:207], v[210:211], 1.0
	v_mul_f64 v[204:205], v[204:205], v[206:207]
	v_xor_b32_e32 v207, 0x80000000, v207
                                        ; implicit-def: $vgpr208_vgpr209
.LBB109_329:
	s_andn2_saveexec_b64 s[2:3], s[2:3]
	s_cbranch_execz .LBB109_331
; %bb.330:
	v_div_scale_f64 v[204:205], s[10:11], v[208:209], v[208:209], v[210:211]
	v_rcp_f64_e32 v[206:207], v[204:205]
	v_div_scale_f64 v[212:213], vcc, v[210:211], v[208:209], v[210:211]
	v_fma_f64 v[214:215], -v[204:205], v[206:207], 1.0
	v_fmac_f64_e32 v[206:207], v[206:207], v[214:215]
	v_fma_f64 v[214:215], -v[204:205], v[206:207], 1.0
	v_fmac_f64_e32 v[206:207], v[206:207], v[214:215]
	v_mul_f64 v[214:215], v[212:213], v[206:207]
	v_fma_f64 v[204:205], -v[204:205], v[214:215], v[212:213]
	v_div_fmas_f64 v[204:205], v[204:205], v[206:207], v[214:215]
	v_div_fixup_f64 v[206:207], v[204:205], v[208:209], v[210:211]
	v_fmac_f64_e32 v[208:209], v[210:211], v[206:207]
	v_div_scale_f64 v[204:205], s[10:11], v[208:209], v[208:209], 1.0
	v_rcp_f64_e32 v[210:211], v[204:205]
	s_nop 0
	v_fma_f64 v[212:213], -v[204:205], v[210:211], 1.0
	v_fmac_f64_e32 v[210:211], v[210:211], v[212:213]
	v_fma_f64 v[212:213], -v[204:205], v[210:211], 1.0
	v_fmac_f64_e32 v[210:211], v[210:211], v[212:213]
	v_div_scale_f64 v[212:213], vcc, 1.0, v[208:209], 1.0
	v_mul_f64 v[214:215], v[212:213], v[210:211]
	v_fma_f64 v[204:205], -v[204:205], v[214:215], v[212:213]
	s_nop 1
	v_div_fmas_f64 v[204:205], v[204:205], v[210:211], v[214:215]
	v_div_fixup_f64 v[204:205], v[204:205], v[208:209], 1.0
	v_mul_f64 v[206:207], v[206:207], -v[204:205]
.LBB109_331:
	s_or_b64 exec, exec, s[2:3]
	ds_write2_b64 v201, v[204:205], v[206:207] offset1:1
.LBB109_332:
	s_or_b64 exec, exec, s[4:5]
	s_waitcnt lgkmcnt(0)
	s_barrier
	ds_read2_b64 v[192:195], v201 offset1:1
	v_cmp_lt_u32_e32 vcc, 36, v200
	s_waitcnt lgkmcnt(0)
	scratch_store_dwordx4 off, v[192:195], off offset:1096 ; 16-byte Folded Spill
	s_and_saveexec_b64 s[2:3], vcc
	s_cbranch_execz .LBB109_334
; %bb.333:
	scratch_load_dwordx4 v[192:195], off, off offset:1096 ; 16-byte Folded Reload
	s_waitcnt vmcnt(0)
	v_mul_f64 v[204:205], v[194:195], v[70:71]
	v_fma_f64 v[208:209], v[192:193], v[68:69], -v[204:205]
	ds_read2_b64 v[204:207], v202 offset0:74 offset1:75
	v_mul_f64 v[70:71], v[192:193], v[70:71]
	v_fmac_f64_e32 v[70:71], v[194:195], v[68:69]
	s_waitcnt lgkmcnt(0)
	v_mul_f64 v[68:69], v[206:207], v[70:71]
	v_fma_f64 v[68:69], v[204:205], v[208:209], -v[68:69]
	v_mul_f64 v[204:205], v[204:205], v[70:71]
	v_fmac_f64_e32 v[204:205], v[206:207], v[208:209]
	v_add_f64 v[66:67], v[66:67], -v[204:205]
	ds_read2_b64 v[204:207], v202 offset0:76 offset1:77
	v_add_f64 v[64:65], v[64:65], -v[68:69]
	s_waitcnt lgkmcnt(0)
	v_mul_f64 v[68:69], v[206:207], v[70:71]
	v_fma_f64 v[68:69], v[204:205], v[208:209], -v[68:69]
	v_mul_f64 v[204:205], v[204:205], v[70:71]
	v_fmac_f64_e32 v[204:205], v[206:207], v[208:209]
	v_add_f64 v[62:63], v[62:63], -v[204:205]
	ds_read2_b64 v[204:207], v202 offset0:78 offset1:79
	v_add_f64 v[60:61], v[60:61], -v[68:69]
	;; [unrolled: 8-line block ×17, first 2 shown]
	s_waitcnt lgkmcnt(0)
	v_mul_f64 v[68:69], v[206:207], v[70:71]
	v_fma_f64 v[68:69], v[204:205], v[208:209], -v[68:69]
	v_mul_f64 v[204:205], v[204:205], v[70:71]
	v_fmac_f64_e32 v[204:205], v[206:207], v[208:209]
	v_add_f64 v[216:217], v[216:217], -v[68:69]
	v_add_f64 v[218:219], v[218:219], -v[204:205]
	v_mov_b64_e32 v[68:69], v[208:209]
.LBB109_334:
	s_or_b64 exec, exec, s[2:3]
	v_cmp_eq_u32_e32 vcc, 37, v200
	s_waitcnt vmcnt(63) expcnt(7) lgkmcnt(15)
	s_barrier
	s_and_saveexec_b64 s[4:5], vcc
	s_cbranch_execz .LBB109_341
; %bb.335:
	ds_write2_b64 v201, v[64:65], v[66:67] offset1:1
	ds_write2_b64 v202, v[60:61], v[62:63] offset0:76 offset1:77
	ds_write2_b64 v202, v[56:57], v[58:59] offset0:78 offset1:79
	;; [unrolled: 1-line block ×5, first 2 shown]
	s_waitcnt vmcnt(62)
	ds_write2_b64 v202, v[40:41], v[42:43] offset0:86 offset1:87
	s_waitcnt vmcnt(61)
	ds_write2_b64 v202, v[36:37], v[38:39] offset0:88 offset1:89
	;; [unrolled: 2-line block ×7, first 2 shown]
	ds_write2_b64 v202, v[12:13], v[14:15] offset0:100 offset1:101
	ds_write2_b64 v202, v[8:9], v[10:11] offset0:102 offset1:103
	;; [unrolled: 1-line block ×3, first 2 shown]
	s_waitcnt vmcnt(55)
	ds_write2_b64 v202, v[0:1], v[2:3] offset0:106 offset1:107
	s_waitcnt vmcnt(52)
	ds_write2_b64 v202, v[216:217], v[218:219] offset0:108 offset1:109
	ds_read2_b64 v[208:211], v201 offset1:1
	s_waitcnt lgkmcnt(0)
	v_cmp_neq_f64_e32 vcc, 0, v[208:209]
	v_cmp_neq_f64_e64 s[2:3], 0, v[210:211]
	s_or_b64 s[2:3], vcc, s[2:3]
	s_and_b64 exec, exec, s[2:3]
	s_cbranch_execz .LBB109_341
; %bb.336:
	v_cmp_ngt_f64_e64 s[2:3], |v[208:209]|, |v[210:211]|
                                        ; implicit-def: $vgpr204_vgpr205
	s_and_saveexec_b64 s[10:11], s[2:3]
	s_xor_b64 s[2:3], exec, s[10:11]
                                        ; implicit-def: $vgpr206_vgpr207
	s_cbranch_execz .LBB109_338
; %bb.337:
	v_div_scale_f64 v[204:205], s[10:11], v[210:211], v[210:211], v[208:209]
	v_rcp_f64_e32 v[206:207], v[204:205]
	v_div_scale_f64 v[212:213], vcc, v[208:209], v[210:211], v[208:209]
	v_fma_f64 v[214:215], -v[204:205], v[206:207], 1.0
	v_fmac_f64_e32 v[206:207], v[206:207], v[214:215]
	v_fma_f64 v[214:215], -v[204:205], v[206:207], 1.0
	v_fmac_f64_e32 v[206:207], v[206:207], v[214:215]
	v_mul_f64 v[214:215], v[212:213], v[206:207]
	v_fma_f64 v[204:205], -v[204:205], v[214:215], v[212:213]
	v_div_fmas_f64 v[204:205], v[204:205], v[206:207], v[214:215]
	v_div_fixup_f64 v[204:205], v[204:205], v[210:211], v[208:209]
	v_fmac_f64_e32 v[210:211], v[208:209], v[204:205]
	v_div_scale_f64 v[206:207], s[10:11], v[210:211], v[210:211], 1.0
	v_rcp_f64_e32 v[208:209], v[206:207]
	s_nop 0
	v_fma_f64 v[212:213], -v[206:207], v[208:209], 1.0
	v_fmac_f64_e32 v[208:209], v[208:209], v[212:213]
	v_fma_f64 v[212:213], -v[206:207], v[208:209], 1.0
	v_fmac_f64_e32 v[208:209], v[208:209], v[212:213]
	v_div_scale_f64 v[212:213], vcc, 1.0, v[210:211], 1.0
	v_mul_f64 v[214:215], v[212:213], v[208:209]
	v_fma_f64 v[206:207], -v[206:207], v[214:215], v[212:213]
	s_nop 1
	v_div_fmas_f64 v[206:207], v[206:207], v[208:209], v[214:215]
	v_div_fixup_f64 v[206:207], v[206:207], v[210:211], 1.0
	v_mul_f64 v[204:205], v[204:205], v[206:207]
	v_xor_b32_e32 v207, 0x80000000, v207
                                        ; implicit-def: $vgpr208_vgpr209
.LBB109_338:
	s_andn2_saveexec_b64 s[2:3], s[2:3]
	s_cbranch_execz .LBB109_340
; %bb.339:
	v_div_scale_f64 v[204:205], s[10:11], v[208:209], v[208:209], v[210:211]
	v_rcp_f64_e32 v[206:207], v[204:205]
	v_div_scale_f64 v[212:213], vcc, v[210:211], v[208:209], v[210:211]
	v_fma_f64 v[214:215], -v[204:205], v[206:207], 1.0
	v_fmac_f64_e32 v[206:207], v[206:207], v[214:215]
	v_fma_f64 v[214:215], -v[204:205], v[206:207], 1.0
	v_fmac_f64_e32 v[206:207], v[206:207], v[214:215]
	v_mul_f64 v[214:215], v[212:213], v[206:207]
	v_fma_f64 v[204:205], -v[204:205], v[214:215], v[212:213]
	v_div_fmas_f64 v[204:205], v[204:205], v[206:207], v[214:215]
	v_div_fixup_f64 v[206:207], v[204:205], v[208:209], v[210:211]
	v_fmac_f64_e32 v[208:209], v[210:211], v[206:207]
	v_div_scale_f64 v[204:205], s[10:11], v[208:209], v[208:209], 1.0
	v_rcp_f64_e32 v[210:211], v[204:205]
	s_nop 0
	v_fma_f64 v[212:213], -v[204:205], v[210:211], 1.0
	v_fmac_f64_e32 v[210:211], v[210:211], v[212:213]
	v_fma_f64 v[212:213], -v[204:205], v[210:211], 1.0
	v_fmac_f64_e32 v[210:211], v[210:211], v[212:213]
	v_div_scale_f64 v[212:213], vcc, 1.0, v[208:209], 1.0
	v_mul_f64 v[214:215], v[212:213], v[210:211]
	v_fma_f64 v[204:205], -v[204:205], v[214:215], v[212:213]
	s_nop 1
	v_div_fmas_f64 v[204:205], v[204:205], v[210:211], v[214:215]
	v_div_fixup_f64 v[204:205], v[204:205], v[208:209], 1.0
	v_mul_f64 v[206:207], v[206:207], -v[204:205]
.LBB109_340:
	s_or_b64 exec, exec, s[2:3]
	ds_write2_b64 v201, v[204:205], v[206:207] offset1:1
.LBB109_341:
	s_or_b64 exec, exec, s[4:5]
	s_waitcnt lgkmcnt(0)
	s_barrier
	ds_read2_b64 v[192:195], v201 offset1:1
	v_cmp_lt_u32_e32 vcc, 37, v200
	s_waitcnt lgkmcnt(0)
	scratch_store_dwordx4 off, v[192:195], off offset:1112 ; 16-byte Folded Spill
	s_and_saveexec_b64 s[2:3], vcc
	s_cbranch_execz .LBB109_343
; %bb.342:
	scratch_load_dwordx4 v[192:195], off, off offset:1112 ; 16-byte Folded Reload
	s_waitcnt vmcnt(0)
	v_mul_f64 v[204:205], v[194:195], v[66:67]
	v_fma_f64 v[208:209], v[192:193], v[64:65], -v[204:205]
	ds_read2_b64 v[204:207], v202 offset0:76 offset1:77
	v_mul_f64 v[66:67], v[192:193], v[66:67]
	v_fmac_f64_e32 v[66:67], v[194:195], v[64:65]
	s_waitcnt lgkmcnt(0)
	v_mul_f64 v[64:65], v[206:207], v[66:67]
	v_fma_f64 v[64:65], v[204:205], v[208:209], -v[64:65]
	v_mul_f64 v[204:205], v[204:205], v[66:67]
	v_fmac_f64_e32 v[204:205], v[206:207], v[208:209]
	v_add_f64 v[62:63], v[62:63], -v[204:205]
	ds_read2_b64 v[204:207], v202 offset0:78 offset1:79
	v_add_f64 v[60:61], v[60:61], -v[64:65]
	s_waitcnt lgkmcnt(0)
	v_mul_f64 v[64:65], v[206:207], v[66:67]
	v_fma_f64 v[64:65], v[204:205], v[208:209], -v[64:65]
	v_mul_f64 v[204:205], v[204:205], v[66:67]
	v_fmac_f64_e32 v[204:205], v[206:207], v[208:209]
	v_add_f64 v[58:59], v[58:59], -v[204:205]
	ds_read2_b64 v[204:207], v202 offset0:80 offset1:81
	v_add_f64 v[56:57], v[56:57], -v[64:65]
	;; [unrolled: 8-line block ×16, first 2 shown]
	s_waitcnt lgkmcnt(0)
	v_mul_f64 v[64:65], v[206:207], v[66:67]
	v_fma_f64 v[64:65], v[204:205], v[208:209], -v[64:65]
	v_mul_f64 v[204:205], v[204:205], v[66:67]
	v_fmac_f64_e32 v[204:205], v[206:207], v[208:209]
	v_add_f64 v[216:217], v[216:217], -v[64:65]
	v_add_f64 v[218:219], v[218:219], -v[204:205]
	v_mov_b64_e32 v[64:65], v[208:209]
.LBB109_343:
	s_or_b64 exec, exec, s[2:3]
	v_cmp_eq_u32_e32 vcc, 38, v200
	s_waitcnt vmcnt(63) expcnt(7) lgkmcnt(15)
	s_barrier
	s_and_saveexec_b64 s[4:5], vcc
	s_cbranch_execz .LBB109_350
; %bb.344:
	ds_write2_b64 v201, v[60:61], v[62:63] offset1:1
	ds_write2_b64 v202, v[56:57], v[58:59] offset0:78 offset1:79
	ds_write2_b64 v202, v[52:53], v[54:55] offset0:80 offset1:81
	;; [unrolled: 1-line block ×5, first 2 shown]
	s_waitcnt vmcnt(62)
	ds_write2_b64 v202, v[36:37], v[38:39] offset0:88 offset1:89
	s_waitcnt vmcnt(61)
	ds_write2_b64 v202, v[32:33], v[34:35] offset0:90 offset1:91
	;; [unrolled: 2-line block ×6, first 2 shown]
	ds_write2_b64 v202, v[12:13], v[14:15] offset0:100 offset1:101
	ds_write2_b64 v202, v[8:9], v[10:11] offset0:102 offset1:103
	;; [unrolled: 1-line block ×3, first 2 shown]
	s_waitcnt vmcnt(56)
	ds_write2_b64 v202, v[0:1], v[2:3] offset0:106 offset1:107
	s_waitcnt vmcnt(53)
	ds_write2_b64 v202, v[216:217], v[218:219] offset0:108 offset1:109
	ds_read2_b64 v[208:211], v201 offset1:1
	s_waitcnt lgkmcnt(0)
	v_cmp_neq_f64_e32 vcc, 0, v[208:209]
	v_cmp_neq_f64_e64 s[2:3], 0, v[210:211]
	s_or_b64 s[2:3], vcc, s[2:3]
	s_and_b64 exec, exec, s[2:3]
	s_cbranch_execz .LBB109_350
; %bb.345:
	v_cmp_ngt_f64_e64 s[2:3], |v[208:209]|, |v[210:211]|
                                        ; implicit-def: $vgpr204_vgpr205
	s_and_saveexec_b64 s[10:11], s[2:3]
	s_xor_b64 s[2:3], exec, s[10:11]
                                        ; implicit-def: $vgpr206_vgpr207
	s_cbranch_execz .LBB109_347
; %bb.346:
	v_div_scale_f64 v[204:205], s[10:11], v[210:211], v[210:211], v[208:209]
	v_rcp_f64_e32 v[206:207], v[204:205]
	v_div_scale_f64 v[212:213], vcc, v[208:209], v[210:211], v[208:209]
	v_fma_f64 v[214:215], -v[204:205], v[206:207], 1.0
	v_fmac_f64_e32 v[206:207], v[206:207], v[214:215]
	v_fma_f64 v[214:215], -v[204:205], v[206:207], 1.0
	v_fmac_f64_e32 v[206:207], v[206:207], v[214:215]
	v_mul_f64 v[214:215], v[212:213], v[206:207]
	v_fma_f64 v[204:205], -v[204:205], v[214:215], v[212:213]
	v_div_fmas_f64 v[204:205], v[204:205], v[206:207], v[214:215]
	v_div_fixup_f64 v[204:205], v[204:205], v[210:211], v[208:209]
	v_fmac_f64_e32 v[210:211], v[208:209], v[204:205]
	v_div_scale_f64 v[206:207], s[10:11], v[210:211], v[210:211], 1.0
	v_rcp_f64_e32 v[208:209], v[206:207]
	s_nop 0
	v_fma_f64 v[212:213], -v[206:207], v[208:209], 1.0
	v_fmac_f64_e32 v[208:209], v[208:209], v[212:213]
	v_fma_f64 v[212:213], -v[206:207], v[208:209], 1.0
	v_fmac_f64_e32 v[208:209], v[208:209], v[212:213]
	v_div_scale_f64 v[212:213], vcc, 1.0, v[210:211], 1.0
	v_mul_f64 v[214:215], v[212:213], v[208:209]
	v_fma_f64 v[206:207], -v[206:207], v[214:215], v[212:213]
	s_nop 1
	v_div_fmas_f64 v[206:207], v[206:207], v[208:209], v[214:215]
	v_div_fixup_f64 v[206:207], v[206:207], v[210:211], 1.0
	v_mul_f64 v[204:205], v[204:205], v[206:207]
	v_xor_b32_e32 v207, 0x80000000, v207
                                        ; implicit-def: $vgpr208_vgpr209
.LBB109_347:
	s_andn2_saveexec_b64 s[2:3], s[2:3]
	s_cbranch_execz .LBB109_349
; %bb.348:
	v_div_scale_f64 v[204:205], s[10:11], v[208:209], v[208:209], v[210:211]
	v_rcp_f64_e32 v[206:207], v[204:205]
	v_div_scale_f64 v[212:213], vcc, v[210:211], v[208:209], v[210:211]
	v_fma_f64 v[214:215], -v[204:205], v[206:207], 1.0
	v_fmac_f64_e32 v[206:207], v[206:207], v[214:215]
	v_fma_f64 v[214:215], -v[204:205], v[206:207], 1.0
	v_fmac_f64_e32 v[206:207], v[206:207], v[214:215]
	v_mul_f64 v[214:215], v[212:213], v[206:207]
	v_fma_f64 v[204:205], -v[204:205], v[214:215], v[212:213]
	v_div_fmas_f64 v[204:205], v[204:205], v[206:207], v[214:215]
	v_div_fixup_f64 v[206:207], v[204:205], v[208:209], v[210:211]
	v_fmac_f64_e32 v[208:209], v[210:211], v[206:207]
	v_div_scale_f64 v[204:205], s[10:11], v[208:209], v[208:209], 1.0
	v_rcp_f64_e32 v[210:211], v[204:205]
	s_nop 0
	v_fma_f64 v[212:213], -v[204:205], v[210:211], 1.0
	v_fmac_f64_e32 v[210:211], v[210:211], v[212:213]
	v_fma_f64 v[212:213], -v[204:205], v[210:211], 1.0
	v_fmac_f64_e32 v[210:211], v[210:211], v[212:213]
	v_div_scale_f64 v[212:213], vcc, 1.0, v[208:209], 1.0
	v_mul_f64 v[214:215], v[212:213], v[210:211]
	v_fma_f64 v[204:205], -v[204:205], v[214:215], v[212:213]
	s_nop 1
	v_div_fmas_f64 v[204:205], v[204:205], v[210:211], v[214:215]
	v_div_fixup_f64 v[204:205], v[204:205], v[208:209], 1.0
	v_mul_f64 v[206:207], v[206:207], -v[204:205]
.LBB109_349:
	s_or_b64 exec, exec, s[2:3]
	ds_write2_b64 v201, v[204:205], v[206:207] offset1:1
.LBB109_350:
	s_or_b64 exec, exec, s[4:5]
	s_waitcnt lgkmcnt(0)
	s_barrier
	ds_read2_b64 v[192:195], v201 offset1:1
	v_cmp_lt_u32_e32 vcc, 38, v200
	s_waitcnt lgkmcnt(0)
	scratch_store_dwordx4 off, v[192:195], off offset:1128 ; 16-byte Folded Spill
	s_and_saveexec_b64 s[2:3], vcc
	s_cbranch_execz .LBB109_352
; %bb.351:
	scratch_load_dwordx4 v[192:195], off, off offset:1128 ; 16-byte Folded Reload
	ds_read2_b64 v[204:207], v202 offset0:78 offset1:79
	s_waitcnt vmcnt(0)
	v_mul_f64 v[208:209], v[192:193], v[62:63]
	v_fmac_f64_e32 v[208:209], v[194:195], v[60:61]
	v_mul_f64 v[62:63], v[194:195], v[62:63]
	v_fma_f64 v[60:61], v[192:193], v[60:61], -v[62:63]
	s_waitcnt lgkmcnt(0)
	v_mul_f64 v[62:63], v[206:207], v[208:209]
	v_fma_f64 v[62:63], v[204:205], v[60:61], -v[62:63]
	v_mul_f64 v[204:205], v[204:205], v[208:209]
	v_fmac_f64_e32 v[204:205], v[206:207], v[60:61]
	v_add_f64 v[58:59], v[58:59], -v[204:205]
	ds_read2_b64 v[204:207], v202 offset0:80 offset1:81
	v_add_f64 v[56:57], v[56:57], -v[62:63]
	s_waitcnt lgkmcnt(0)
	v_mul_f64 v[62:63], v[206:207], v[208:209]
	v_fma_f64 v[62:63], v[204:205], v[60:61], -v[62:63]
	v_mul_f64 v[204:205], v[204:205], v[208:209]
	v_fmac_f64_e32 v[204:205], v[206:207], v[60:61]
	v_add_f64 v[54:55], v[54:55], -v[204:205]
	ds_read2_b64 v[204:207], v202 offset0:82 offset1:83
	v_add_f64 v[52:53], v[52:53], -v[62:63]
	;; [unrolled: 8-line block ×15, first 2 shown]
	s_waitcnt lgkmcnt(0)
	v_mul_f64 v[62:63], v[206:207], v[208:209]
	v_fma_f64 v[62:63], v[204:205], v[60:61], -v[62:63]
	v_mul_f64 v[204:205], v[204:205], v[208:209]
	v_fmac_f64_e32 v[204:205], v[206:207], v[60:61]
	v_add_f64 v[216:217], v[216:217], -v[62:63]
	v_add_f64 v[218:219], v[218:219], -v[204:205]
	v_mov_b64_e32 v[62:63], v[208:209]
.LBB109_352:
	s_or_b64 exec, exec, s[2:3]
	v_cmp_eq_u32_e32 vcc, 39, v200
	s_waitcnt vmcnt(63) expcnt(7) lgkmcnt(15)
	s_barrier
	s_and_saveexec_b64 s[4:5], vcc
	s_cbranch_execz .LBB109_359
; %bb.353:
	ds_write2_b64 v201, v[56:57], v[58:59] offset1:1
	ds_write2_b64 v202, v[52:53], v[54:55] offset0:80 offset1:81
	ds_write2_b64 v202, v[48:49], v[50:51] offset0:82 offset1:83
	;; [unrolled: 1-line block ×5, first 2 shown]
	s_waitcnt vmcnt(62)
	ds_write2_b64 v202, v[32:33], v[34:35] offset0:90 offset1:91
	s_waitcnt vmcnt(61)
	ds_write2_b64 v202, v[28:29], v[30:31] offset0:92 offset1:93
	s_waitcnt vmcnt(60)
	ds_write2_b64 v202, v[24:25], v[26:27] offset0:94 offset1:95
	s_waitcnt vmcnt(59)
	ds_write2_b64 v202, v[20:21], v[22:23] offset0:96 offset1:97
	s_waitcnt vmcnt(58)
	ds_write2_b64 v202, v[16:17], v[18:19] offset0:98 offset1:99
	ds_write2_b64 v202, v[12:13], v[14:15] offset0:100 offset1:101
	ds_write2_b64 v202, v[8:9], v[10:11] offset0:102 offset1:103
	;; [unrolled: 1-line block ×3, first 2 shown]
	s_waitcnt vmcnt(57)
	ds_write2_b64 v202, v[0:1], v[2:3] offset0:106 offset1:107
	s_waitcnt vmcnt(54)
	ds_write2_b64 v202, v[216:217], v[218:219] offset0:108 offset1:109
	ds_read2_b64 v[208:211], v201 offset1:1
	s_waitcnt lgkmcnt(0)
	v_cmp_neq_f64_e32 vcc, 0, v[208:209]
	v_cmp_neq_f64_e64 s[2:3], 0, v[210:211]
	s_or_b64 s[2:3], vcc, s[2:3]
	s_and_b64 exec, exec, s[2:3]
	s_cbranch_execz .LBB109_359
; %bb.354:
	v_cmp_ngt_f64_e64 s[2:3], |v[208:209]|, |v[210:211]|
                                        ; implicit-def: $vgpr204_vgpr205
	s_and_saveexec_b64 s[10:11], s[2:3]
	s_xor_b64 s[2:3], exec, s[10:11]
                                        ; implicit-def: $vgpr206_vgpr207
	s_cbranch_execz .LBB109_356
; %bb.355:
	v_div_scale_f64 v[204:205], s[10:11], v[210:211], v[210:211], v[208:209]
	v_rcp_f64_e32 v[206:207], v[204:205]
	v_div_scale_f64 v[212:213], vcc, v[208:209], v[210:211], v[208:209]
	v_fma_f64 v[214:215], -v[204:205], v[206:207], 1.0
	v_fmac_f64_e32 v[206:207], v[206:207], v[214:215]
	v_fma_f64 v[214:215], -v[204:205], v[206:207], 1.0
	v_fmac_f64_e32 v[206:207], v[206:207], v[214:215]
	v_mul_f64 v[214:215], v[212:213], v[206:207]
	v_fma_f64 v[204:205], -v[204:205], v[214:215], v[212:213]
	v_div_fmas_f64 v[204:205], v[204:205], v[206:207], v[214:215]
	v_div_fixup_f64 v[204:205], v[204:205], v[210:211], v[208:209]
	v_fmac_f64_e32 v[210:211], v[208:209], v[204:205]
	v_div_scale_f64 v[206:207], s[10:11], v[210:211], v[210:211], 1.0
	v_rcp_f64_e32 v[208:209], v[206:207]
	s_nop 0
	v_fma_f64 v[212:213], -v[206:207], v[208:209], 1.0
	v_fmac_f64_e32 v[208:209], v[208:209], v[212:213]
	v_fma_f64 v[212:213], -v[206:207], v[208:209], 1.0
	v_fmac_f64_e32 v[208:209], v[208:209], v[212:213]
	v_div_scale_f64 v[212:213], vcc, 1.0, v[210:211], 1.0
	v_mul_f64 v[214:215], v[212:213], v[208:209]
	v_fma_f64 v[206:207], -v[206:207], v[214:215], v[212:213]
	s_nop 1
	v_div_fmas_f64 v[206:207], v[206:207], v[208:209], v[214:215]
	v_div_fixup_f64 v[206:207], v[206:207], v[210:211], 1.0
	v_mul_f64 v[204:205], v[204:205], v[206:207]
	v_xor_b32_e32 v207, 0x80000000, v207
                                        ; implicit-def: $vgpr208_vgpr209
.LBB109_356:
	s_andn2_saveexec_b64 s[2:3], s[2:3]
	s_cbranch_execz .LBB109_358
; %bb.357:
	v_div_scale_f64 v[204:205], s[10:11], v[208:209], v[208:209], v[210:211]
	v_rcp_f64_e32 v[206:207], v[204:205]
	v_div_scale_f64 v[212:213], vcc, v[210:211], v[208:209], v[210:211]
	v_fma_f64 v[214:215], -v[204:205], v[206:207], 1.0
	v_fmac_f64_e32 v[206:207], v[206:207], v[214:215]
	v_fma_f64 v[214:215], -v[204:205], v[206:207], 1.0
	v_fmac_f64_e32 v[206:207], v[206:207], v[214:215]
	v_mul_f64 v[214:215], v[212:213], v[206:207]
	v_fma_f64 v[204:205], -v[204:205], v[214:215], v[212:213]
	v_div_fmas_f64 v[204:205], v[204:205], v[206:207], v[214:215]
	v_div_fixup_f64 v[206:207], v[204:205], v[208:209], v[210:211]
	v_fmac_f64_e32 v[208:209], v[210:211], v[206:207]
	v_div_scale_f64 v[204:205], s[10:11], v[208:209], v[208:209], 1.0
	v_rcp_f64_e32 v[210:211], v[204:205]
	s_nop 0
	v_fma_f64 v[212:213], -v[204:205], v[210:211], 1.0
	v_fmac_f64_e32 v[210:211], v[210:211], v[212:213]
	v_fma_f64 v[212:213], -v[204:205], v[210:211], 1.0
	v_fmac_f64_e32 v[210:211], v[210:211], v[212:213]
	v_div_scale_f64 v[212:213], vcc, 1.0, v[208:209], 1.0
	v_mul_f64 v[214:215], v[212:213], v[210:211]
	v_fma_f64 v[204:205], -v[204:205], v[214:215], v[212:213]
	s_nop 1
	v_div_fmas_f64 v[204:205], v[204:205], v[210:211], v[214:215]
	v_div_fixup_f64 v[204:205], v[204:205], v[208:209], 1.0
	v_mul_f64 v[206:207], v[206:207], -v[204:205]
.LBB109_358:
	s_or_b64 exec, exec, s[2:3]
	ds_write2_b64 v201, v[204:205], v[206:207] offset1:1
.LBB109_359:
	s_or_b64 exec, exec, s[4:5]
	s_waitcnt lgkmcnt(0)
	s_barrier
	ds_read2_b64 v[192:195], v201 offset1:1
	v_cmp_lt_u32_e32 vcc, 39, v200
	s_waitcnt lgkmcnt(0)
	scratch_store_dwordx4 off, v[192:195], off offset:1144 ; 16-byte Folded Spill
	s_and_saveexec_b64 s[2:3], vcc
	s_cbranch_execz .LBB109_361
; %bb.360:
	scratch_load_dwordx4 v[192:195], off, off offset:1144 ; 16-byte Folded Reload
	ds_read2_b64 v[204:207], v202 offset0:80 offset1:81
	s_waitcnt vmcnt(0)
	v_mul_f64 v[208:209], v[192:193], v[58:59]
	v_fmac_f64_e32 v[208:209], v[194:195], v[56:57]
	v_mul_f64 v[58:59], v[194:195], v[58:59]
	v_fma_f64 v[56:57], v[192:193], v[56:57], -v[58:59]
	s_waitcnt lgkmcnt(0)
	v_mul_f64 v[58:59], v[206:207], v[208:209]
	v_fma_f64 v[58:59], v[204:205], v[56:57], -v[58:59]
	v_mul_f64 v[204:205], v[204:205], v[208:209]
	v_fmac_f64_e32 v[204:205], v[206:207], v[56:57]
	v_add_f64 v[54:55], v[54:55], -v[204:205]
	ds_read2_b64 v[204:207], v202 offset0:82 offset1:83
	v_add_f64 v[52:53], v[52:53], -v[58:59]
	s_waitcnt lgkmcnt(0)
	v_mul_f64 v[58:59], v[206:207], v[208:209]
	v_fma_f64 v[58:59], v[204:205], v[56:57], -v[58:59]
	v_mul_f64 v[204:205], v[204:205], v[208:209]
	v_fmac_f64_e32 v[204:205], v[206:207], v[56:57]
	v_add_f64 v[50:51], v[50:51], -v[204:205]
	ds_read2_b64 v[204:207], v202 offset0:84 offset1:85
	v_add_f64 v[48:49], v[48:49], -v[58:59]
	;; [unrolled: 8-line block ×14, first 2 shown]
	s_waitcnt lgkmcnt(0)
	v_mul_f64 v[58:59], v[206:207], v[208:209]
	v_fma_f64 v[58:59], v[204:205], v[56:57], -v[58:59]
	v_mul_f64 v[204:205], v[204:205], v[208:209]
	v_fmac_f64_e32 v[204:205], v[206:207], v[56:57]
	v_add_f64 v[216:217], v[216:217], -v[58:59]
	v_add_f64 v[218:219], v[218:219], -v[204:205]
	v_mov_b64_e32 v[58:59], v[208:209]
.LBB109_361:
	s_or_b64 exec, exec, s[2:3]
	v_cmp_eq_u32_e32 vcc, 40, v200
	s_waitcnt vmcnt(63) expcnt(7) lgkmcnt(15)
	s_barrier
	s_and_saveexec_b64 s[4:5], vcc
	s_cbranch_execz .LBB109_368
; %bb.362:
	ds_write2_b64 v201, v[52:53], v[54:55] offset1:1
	ds_write2_b64 v202, v[48:49], v[50:51] offset0:82 offset1:83
	ds_write2_b64 v202, v[44:45], v[46:47] offset0:84 offset1:85
	;; [unrolled: 1-line block ×5, first 2 shown]
	s_waitcnt vmcnt(62)
	ds_write2_b64 v202, v[28:29], v[30:31] offset0:92 offset1:93
	s_waitcnt vmcnt(61)
	ds_write2_b64 v202, v[24:25], v[26:27] offset0:94 offset1:95
	;; [unrolled: 2-line block ×4, first 2 shown]
	ds_write2_b64 v202, v[12:13], v[14:15] offset0:100 offset1:101
	ds_write2_b64 v202, v[8:9], v[10:11] offset0:102 offset1:103
	;; [unrolled: 1-line block ×3, first 2 shown]
	s_waitcnt vmcnt(58)
	ds_write2_b64 v202, v[0:1], v[2:3] offset0:106 offset1:107
	s_waitcnt vmcnt(55)
	ds_write2_b64 v202, v[216:217], v[218:219] offset0:108 offset1:109
	ds_read2_b64 v[208:211], v201 offset1:1
	s_waitcnt lgkmcnt(0)
	v_cmp_neq_f64_e32 vcc, 0, v[208:209]
	v_cmp_neq_f64_e64 s[2:3], 0, v[210:211]
	s_or_b64 s[2:3], vcc, s[2:3]
	s_and_b64 exec, exec, s[2:3]
	s_cbranch_execz .LBB109_368
; %bb.363:
	v_cmp_ngt_f64_e64 s[2:3], |v[208:209]|, |v[210:211]|
                                        ; implicit-def: $vgpr204_vgpr205
	s_and_saveexec_b64 s[10:11], s[2:3]
	s_xor_b64 s[2:3], exec, s[10:11]
                                        ; implicit-def: $vgpr206_vgpr207
	s_cbranch_execz .LBB109_365
; %bb.364:
	v_div_scale_f64 v[204:205], s[10:11], v[210:211], v[210:211], v[208:209]
	v_rcp_f64_e32 v[206:207], v[204:205]
	v_div_scale_f64 v[212:213], vcc, v[208:209], v[210:211], v[208:209]
	v_fma_f64 v[214:215], -v[204:205], v[206:207], 1.0
	v_fmac_f64_e32 v[206:207], v[206:207], v[214:215]
	v_fma_f64 v[214:215], -v[204:205], v[206:207], 1.0
	v_fmac_f64_e32 v[206:207], v[206:207], v[214:215]
	v_mul_f64 v[214:215], v[212:213], v[206:207]
	v_fma_f64 v[204:205], -v[204:205], v[214:215], v[212:213]
	v_div_fmas_f64 v[204:205], v[204:205], v[206:207], v[214:215]
	v_div_fixup_f64 v[204:205], v[204:205], v[210:211], v[208:209]
	v_fmac_f64_e32 v[210:211], v[208:209], v[204:205]
	v_div_scale_f64 v[206:207], s[10:11], v[210:211], v[210:211], 1.0
	v_rcp_f64_e32 v[208:209], v[206:207]
	s_nop 0
	v_fma_f64 v[212:213], -v[206:207], v[208:209], 1.0
	v_fmac_f64_e32 v[208:209], v[208:209], v[212:213]
	v_fma_f64 v[212:213], -v[206:207], v[208:209], 1.0
	v_fmac_f64_e32 v[208:209], v[208:209], v[212:213]
	v_div_scale_f64 v[212:213], vcc, 1.0, v[210:211], 1.0
	v_mul_f64 v[214:215], v[212:213], v[208:209]
	v_fma_f64 v[206:207], -v[206:207], v[214:215], v[212:213]
	s_nop 1
	v_div_fmas_f64 v[206:207], v[206:207], v[208:209], v[214:215]
	v_div_fixup_f64 v[206:207], v[206:207], v[210:211], 1.0
	v_mul_f64 v[204:205], v[204:205], v[206:207]
	v_xor_b32_e32 v207, 0x80000000, v207
                                        ; implicit-def: $vgpr208_vgpr209
.LBB109_365:
	s_andn2_saveexec_b64 s[2:3], s[2:3]
	s_cbranch_execz .LBB109_367
; %bb.366:
	v_div_scale_f64 v[204:205], s[10:11], v[208:209], v[208:209], v[210:211]
	v_rcp_f64_e32 v[206:207], v[204:205]
	v_div_scale_f64 v[212:213], vcc, v[210:211], v[208:209], v[210:211]
	v_fma_f64 v[214:215], -v[204:205], v[206:207], 1.0
	v_fmac_f64_e32 v[206:207], v[206:207], v[214:215]
	v_fma_f64 v[214:215], -v[204:205], v[206:207], 1.0
	v_fmac_f64_e32 v[206:207], v[206:207], v[214:215]
	v_mul_f64 v[214:215], v[212:213], v[206:207]
	v_fma_f64 v[204:205], -v[204:205], v[214:215], v[212:213]
	v_div_fmas_f64 v[204:205], v[204:205], v[206:207], v[214:215]
	v_div_fixup_f64 v[206:207], v[204:205], v[208:209], v[210:211]
	v_fmac_f64_e32 v[208:209], v[210:211], v[206:207]
	v_div_scale_f64 v[204:205], s[10:11], v[208:209], v[208:209], 1.0
	v_rcp_f64_e32 v[210:211], v[204:205]
	s_nop 0
	v_fma_f64 v[212:213], -v[204:205], v[210:211], 1.0
	v_fmac_f64_e32 v[210:211], v[210:211], v[212:213]
	v_fma_f64 v[212:213], -v[204:205], v[210:211], 1.0
	v_fmac_f64_e32 v[210:211], v[210:211], v[212:213]
	v_div_scale_f64 v[212:213], vcc, 1.0, v[208:209], 1.0
	v_mul_f64 v[214:215], v[212:213], v[210:211]
	v_fma_f64 v[204:205], -v[204:205], v[214:215], v[212:213]
	s_nop 1
	v_div_fmas_f64 v[204:205], v[204:205], v[210:211], v[214:215]
	v_div_fixup_f64 v[204:205], v[204:205], v[208:209], 1.0
	v_mul_f64 v[206:207], v[206:207], -v[204:205]
.LBB109_367:
	s_or_b64 exec, exec, s[2:3]
	ds_write2_b64 v201, v[204:205], v[206:207] offset1:1
.LBB109_368:
	s_or_b64 exec, exec, s[4:5]
	s_waitcnt lgkmcnt(0)
	s_barrier
	ds_read2_b64 v[192:195], v201 offset1:1
	v_cmp_lt_u32_e32 vcc, 40, v200
	s_waitcnt lgkmcnt(0)
	scratch_store_dwordx4 off, v[192:195], off offset:1160 ; 16-byte Folded Spill
	s_and_saveexec_b64 s[2:3], vcc
	s_cbranch_execz .LBB109_370
; %bb.369:
	scratch_load_dwordx4 v[192:195], off, off offset:1160 ; 16-byte Folded Reload
	ds_read2_b64 v[204:207], v202 offset0:82 offset1:83
	s_waitcnt vmcnt(0)
	v_mul_f64 v[208:209], v[192:193], v[54:55]
	v_fmac_f64_e32 v[208:209], v[194:195], v[52:53]
	v_mul_f64 v[54:55], v[194:195], v[54:55]
	v_fma_f64 v[52:53], v[192:193], v[52:53], -v[54:55]
	s_waitcnt lgkmcnt(0)
	v_mul_f64 v[54:55], v[206:207], v[208:209]
	v_fma_f64 v[54:55], v[204:205], v[52:53], -v[54:55]
	v_mul_f64 v[204:205], v[204:205], v[208:209]
	v_fmac_f64_e32 v[204:205], v[206:207], v[52:53]
	v_add_f64 v[50:51], v[50:51], -v[204:205]
	ds_read2_b64 v[204:207], v202 offset0:84 offset1:85
	v_add_f64 v[48:49], v[48:49], -v[54:55]
	s_waitcnt lgkmcnt(0)
	v_mul_f64 v[54:55], v[206:207], v[208:209]
	v_fma_f64 v[54:55], v[204:205], v[52:53], -v[54:55]
	v_mul_f64 v[204:205], v[204:205], v[208:209]
	v_fmac_f64_e32 v[204:205], v[206:207], v[52:53]
	v_add_f64 v[46:47], v[46:47], -v[204:205]
	ds_read2_b64 v[204:207], v202 offset0:86 offset1:87
	v_add_f64 v[44:45], v[44:45], -v[54:55]
	;; [unrolled: 8-line block ×13, first 2 shown]
	s_waitcnt lgkmcnt(0)
	v_mul_f64 v[54:55], v[206:207], v[208:209]
	v_fma_f64 v[54:55], v[204:205], v[52:53], -v[54:55]
	v_mul_f64 v[204:205], v[204:205], v[208:209]
	v_fmac_f64_e32 v[204:205], v[206:207], v[52:53]
	v_add_f64 v[216:217], v[216:217], -v[54:55]
	v_add_f64 v[218:219], v[218:219], -v[204:205]
	v_mov_b64_e32 v[54:55], v[208:209]
.LBB109_370:
	s_or_b64 exec, exec, s[2:3]
	v_cmp_eq_u32_e32 vcc, 41, v200
	s_waitcnt vmcnt(63) expcnt(7) lgkmcnt(15)
	s_barrier
	s_and_saveexec_b64 s[4:5], vcc
	s_cbranch_execz .LBB109_377
; %bb.371:
	ds_write2_b64 v201, v[48:49], v[50:51] offset1:1
	ds_write2_b64 v202, v[44:45], v[46:47] offset0:84 offset1:85
	ds_write2_b64 v202, v[40:41], v[42:43] offset0:86 offset1:87
	;; [unrolled: 1-line block ×5, first 2 shown]
	s_waitcnt vmcnt(62)
	ds_write2_b64 v202, v[24:25], v[26:27] offset0:94 offset1:95
	s_waitcnt vmcnt(61)
	ds_write2_b64 v202, v[20:21], v[22:23] offset0:96 offset1:97
	;; [unrolled: 2-line block ×3, first 2 shown]
	ds_write2_b64 v202, v[12:13], v[14:15] offset0:100 offset1:101
	ds_write2_b64 v202, v[8:9], v[10:11] offset0:102 offset1:103
	;; [unrolled: 1-line block ×3, first 2 shown]
	s_waitcnt vmcnt(59)
	ds_write2_b64 v202, v[0:1], v[2:3] offset0:106 offset1:107
	s_waitcnt vmcnt(56)
	ds_write2_b64 v202, v[216:217], v[218:219] offset0:108 offset1:109
	ds_read2_b64 v[208:211], v201 offset1:1
	s_waitcnt lgkmcnt(0)
	v_cmp_neq_f64_e32 vcc, 0, v[208:209]
	v_cmp_neq_f64_e64 s[2:3], 0, v[210:211]
	s_or_b64 s[2:3], vcc, s[2:3]
	s_and_b64 exec, exec, s[2:3]
	s_cbranch_execz .LBB109_377
; %bb.372:
	v_cmp_ngt_f64_e64 s[2:3], |v[208:209]|, |v[210:211]|
                                        ; implicit-def: $vgpr204_vgpr205
	s_and_saveexec_b64 s[10:11], s[2:3]
	s_xor_b64 s[2:3], exec, s[10:11]
                                        ; implicit-def: $vgpr206_vgpr207
	s_cbranch_execz .LBB109_374
; %bb.373:
	v_div_scale_f64 v[204:205], s[10:11], v[210:211], v[210:211], v[208:209]
	v_rcp_f64_e32 v[206:207], v[204:205]
	v_div_scale_f64 v[212:213], vcc, v[208:209], v[210:211], v[208:209]
	v_fma_f64 v[214:215], -v[204:205], v[206:207], 1.0
	v_fmac_f64_e32 v[206:207], v[206:207], v[214:215]
	v_fma_f64 v[214:215], -v[204:205], v[206:207], 1.0
	v_fmac_f64_e32 v[206:207], v[206:207], v[214:215]
	v_mul_f64 v[214:215], v[212:213], v[206:207]
	v_fma_f64 v[204:205], -v[204:205], v[214:215], v[212:213]
	v_div_fmas_f64 v[204:205], v[204:205], v[206:207], v[214:215]
	v_div_fixup_f64 v[204:205], v[204:205], v[210:211], v[208:209]
	v_fmac_f64_e32 v[210:211], v[208:209], v[204:205]
	v_div_scale_f64 v[206:207], s[10:11], v[210:211], v[210:211], 1.0
	v_rcp_f64_e32 v[208:209], v[206:207]
	s_nop 0
	v_fma_f64 v[212:213], -v[206:207], v[208:209], 1.0
	v_fmac_f64_e32 v[208:209], v[208:209], v[212:213]
	v_fma_f64 v[212:213], -v[206:207], v[208:209], 1.0
	v_fmac_f64_e32 v[208:209], v[208:209], v[212:213]
	v_div_scale_f64 v[212:213], vcc, 1.0, v[210:211], 1.0
	v_mul_f64 v[214:215], v[212:213], v[208:209]
	v_fma_f64 v[206:207], -v[206:207], v[214:215], v[212:213]
	s_nop 1
	v_div_fmas_f64 v[206:207], v[206:207], v[208:209], v[214:215]
	v_div_fixup_f64 v[206:207], v[206:207], v[210:211], 1.0
	v_mul_f64 v[204:205], v[204:205], v[206:207]
	v_xor_b32_e32 v207, 0x80000000, v207
                                        ; implicit-def: $vgpr208_vgpr209
.LBB109_374:
	s_andn2_saveexec_b64 s[2:3], s[2:3]
	s_cbranch_execz .LBB109_376
; %bb.375:
	v_div_scale_f64 v[204:205], s[10:11], v[208:209], v[208:209], v[210:211]
	v_rcp_f64_e32 v[206:207], v[204:205]
	v_div_scale_f64 v[212:213], vcc, v[210:211], v[208:209], v[210:211]
	v_fma_f64 v[214:215], -v[204:205], v[206:207], 1.0
	v_fmac_f64_e32 v[206:207], v[206:207], v[214:215]
	v_fma_f64 v[214:215], -v[204:205], v[206:207], 1.0
	v_fmac_f64_e32 v[206:207], v[206:207], v[214:215]
	v_mul_f64 v[214:215], v[212:213], v[206:207]
	v_fma_f64 v[204:205], -v[204:205], v[214:215], v[212:213]
	v_div_fmas_f64 v[204:205], v[204:205], v[206:207], v[214:215]
	v_div_fixup_f64 v[206:207], v[204:205], v[208:209], v[210:211]
	v_fmac_f64_e32 v[208:209], v[210:211], v[206:207]
	v_div_scale_f64 v[204:205], s[10:11], v[208:209], v[208:209], 1.0
	v_rcp_f64_e32 v[210:211], v[204:205]
	s_nop 0
	v_fma_f64 v[212:213], -v[204:205], v[210:211], 1.0
	v_fmac_f64_e32 v[210:211], v[210:211], v[212:213]
	v_fma_f64 v[212:213], -v[204:205], v[210:211], 1.0
	v_fmac_f64_e32 v[210:211], v[210:211], v[212:213]
	v_div_scale_f64 v[212:213], vcc, 1.0, v[208:209], 1.0
	v_mul_f64 v[214:215], v[212:213], v[210:211]
	v_fma_f64 v[204:205], -v[204:205], v[214:215], v[212:213]
	s_nop 1
	v_div_fmas_f64 v[204:205], v[204:205], v[210:211], v[214:215]
	v_div_fixup_f64 v[204:205], v[204:205], v[208:209], 1.0
	v_mul_f64 v[206:207], v[206:207], -v[204:205]
.LBB109_376:
	s_or_b64 exec, exec, s[2:3]
	ds_write2_b64 v201, v[204:205], v[206:207] offset1:1
.LBB109_377:
	s_or_b64 exec, exec, s[4:5]
	s_waitcnt lgkmcnt(0)
	s_barrier
	ds_read2_b64 v[192:195], v201 offset1:1
	v_cmp_lt_u32_e32 vcc, 41, v200
	s_waitcnt lgkmcnt(0)
	scratch_store_dwordx4 off, v[192:195], off offset:1176 ; 16-byte Folded Spill
	s_and_saveexec_b64 s[2:3], vcc
	s_cbranch_execz .LBB109_379
; %bb.378:
	scratch_load_dwordx4 v[192:195], off, off offset:1176 ; 16-byte Folded Reload
	ds_read2_b64 v[204:207], v202 offset0:84 offset1:85
	s_waitcnt vmcnt(0)
	v_mul_f64 v[208:209], v[192:193], v[50:51]
	v_fmac_f64_e32 v[208:209], v[194:195], v[48:49]
	v_mul_f64 v[50:51], v[194:195], v[50:51]
	v_fma_f64 v[48:49], v[192:193], v[48:49], -v[50:51]
	s_waitcnt lgkmcnt(0)
	v_mul_f64 v[50:51], v[206:207], v[208:209]
	v_fma_f64 v[50:51], v[204:205], v[48:49], -v[50:51]
	v_mul_f64 v[204:205], v[204:205], v[208:209]
	v_fmac_f64_e32 v[204:205], v[206:207], v[48:49]
	v_add_f64 v[46:47], v[46:47], -v[204:205]
	ds_read2_b64 v[204:207], v202 offset0:86 offset1:87
	v_add_f64 v[44:45], v[44:45], -v[50:51]
	s_waitcnt lgkmcnt(0)
	v_mul_f64 v[50:51], v[206:207], v[208:209]
	v_fma_f64 v[50:51], v[204:205], v[48:49], -v[50:51]
	v_mul_f64 v[204:205], v[204:205], v[208:209]
	v_fmac_f64_e32 v[204:205], v[206:207], v[48:49]
	v_add_f64 v[42:43], v[42:43], -v[204:205]
	ds_read2_b64 v[204:207], v202 offset0:88 offset1:89
	v_add_f64 v[40:41], v[40:41], -v[50:51]
	;; [unrolled: 8-line block ×12, first 2 shown]
	s_waitcnt lgkmcnt(0)
	v_mul_f64 v[50:51], v[206:207], v[208:209]
	v_fma_f64 v[50:51], v[204:205], v[48:49], -v[50:51]
	v_mul_f64 v[204:205], v[204:205], v[208:209]
	v_fmac_f64_e32 v[204:205], v[206:207], v[48:49]
	v_add_f64 v[216:217], v[216:217], -v[50:51]
	v_add_f64 v[218:219], v[218:219], -v[204:205]
	v_mov_b64_e32 v[50:51], v[208:209]
.LBB109_379:
	s_or_b64 exec, exec, s[2:3]
	v_cmp_eq_u32_e32 vcc, 42, v200
	s_waitcnt vmcnt(63) expcnt(7) lgkmcnt(15)
	s_barrier
	s_and_saveexec_b64 s[4:5], vcc
	s_cbranch_execz .LBB109_386
; %bb.380:
	ds_write2_b64 v201, v[44:45], v[46:47] offset1:1
	ds_write2_b64 v202, v[40:41], v[42:43] offset0:86 offset1:87
	ds_write2_b64 v202, v[36:37], v[38:39] offset0:88 offset1:89
	ds_write2_b64 v202, v[32:33], v[34:35] offset0:90 offset1:91
	ds_write2_b64 v202, v[28:29], v[30:31] offset0:92 offset1:93
	ds_write2_b64 v202, v[24:25], v[26:27] offset0:94 offset1:95
	s_waitcnt vmcnt(62)
	ds_write2_b64 v202, v[20:21], v[22:23] offset0:96 offset1:97
	s_waitcnt vmcnt(61)
	ds_write2_b64 v202, v[16:17], v[18:19] offset0:98 offset1:99
	ds_write2_b64 v202, v[12:13], v[14:15] offset0:100 offset1:101
	;; [unrolled: 1-line block ×4, first 2 shown]
	s_waitcnt vmcnt(60)
	ds_write2_b64 v202, v[0:1], v[2:3] offset0:106 offset1:107
	s_waitcnt vmcnt(57)
	ds_write2_b64 v202, v[216:217], v[218:219] offset0:108 offset1:109
	ds_read2_b64 v[208:211], v201 offset1:1
	s_waitcnt lgkmcnt(0)
	v_cmp_neq_f64_e32 vcc, 0, v[208:209]
	v_cmp_neq_f64_e64 s[2:3], 0, v[210:211]
	s_or_b64 s[2:3], vcc, s[2:3]
	s_and_b64 exec, exec, s[2:3]
	s_cbranch_execz .LBB109_386
; %bb.381:
	v_cmp_ngt_f64_e64 s[2:3], |v[208:209]|, |v[210:211]|
                                        ; implicit-def: $vgpr204_vgpr205
	s_and_saveexec_b64 s[10:11], s[2:3]
	s_xor_b64 s[2:3], exec, s[10:11]
                                        ; implicit-def: $vgpr206_vgpr207
	s_cbranch_execz .LBB109_383
; %bb.382:
	v_div_scale_f64 v[204:205], s[10:11], v[210:211], v[210:211], v[208:209]
	v_rcp_f64_e32 v[206:207], v[204:205]
	v_div_scale_f64 v[212:213], vcc, v[208:209], v[210:211], v[208:209]
	v_fma_f64 v[214:215], -v[204:205], v[206:207], 1.0
	v_fmac_f64_e32 v[206:207], v[206:207], v[214:215]
	v_fma_f64 v[214:215], -v[204:205], v[206:207], 1.0
	v_fmac_f64_e32 v[206:207], v[206:207], v[214:215]
	v_mul_f64 v[214:215], v[212:213], v[206:207]
	v_fma_f64 v[204:205], -v[204:205], v[214:215], v[212:213]
	v_div_fmas_f64 v[204:205], v[204:205], v[206:207], v[214:215]
	v_div_fixup_f64 v[204:205], v[204:205], v[210:211], v[208:209]
	v_fmac_f64_e32 v[210:211], v[208:209], v[204:205]
	v_div_scale_f64 v[206:207], s[10:11], v[210:211], v[210:211], 1.0
	v_rcp_f64_e32 v[208:209], v[206:207]
	s_nop 0
	v_fma_f64 v[212:213], -v[206:207], v[208:209], 1.0
	v_fmac_f64_e32 v[208:209], v[208:209], v[212:213]
	v_fma_f64 v[212:213], -v[206:207], v[208:209], 1.0
	v_fmac_f64_e32 v[208:209], v[208:209], v[212:213]
	v_div_scale_f64 v[212:213], vcc, 1.0, v[210:211], 1.0
	v_mul_f64 v[214:215], v[212:213], v[208:209]
	v_fma_f64 v[206:207], -v[206:207], v[214:215], v[212:213]
	s_nop 1
	v_div_fmas_f64 v[206:207], v[206:207], v[208:209], v[214:215]
	v_div_fixup_f64 v[206:207], v[206:207], v[210:211], 1.0
	v_mul_f64 v[204:205], v[204:205], v[206:207]
	v_xor_b32_e32 v207, 0x80000000, v207
                                        ; implicit-def: $vgpr208_vgpr209
.LBB109_383:
	s_andn2_saveexec_b64 s[2:3], s[2:3]
	s_cbranch_execz .LBB109_385
; %bb.384:
	v_div_scale_f64 v[204:205], s[10:11], v[208:209], v[208:209], v[210:211]
	v_rcp_f64_e32 v[206:207], v[204:205]
	v_div_scale_f64 v[212:213], vcc, v[210:211], v[208:209], v[210:211]
	v_fma_f64 v[214:215], -v[204:205], v[206:207], 1.0
	v_fmac_f64_e32 v[206:207], v[206:207], v[214:215]
	v_fma_f64 v[214:215], -v[204:205], v[206:207], 1.0
	v_fmac_f64_e32 v[206:207], v[206:207], v[214:215]
	v_mul_f64 v[214:215], v[212:213], v[206:207]
	v_fma_f64 v[204:205], -v[204:205], v[214:215], v[212:213]
	v_div_fmas_f64 v[204:205], v[204:205], v[206:207], v[214:215]
	v_div_fixup_f64 v[206:207], v[204:205], v[208:209], v[210:211]
	v_fmac_f64_e32 v[208:209], v[210:211], v[206:207]
	v_div_scale_f64 v[204:205], s[10:11], v[208:209], v[208:209], 1.0
	v_rcp_f64_e32 v[210:211], v[204:205]
	s_nop 0
	v_fma_f64 v[212:213], -v[204:205], v[210:211], 1.0
	v_fmac_f64_e32 v[210:211], v[210:211], v[212:213]
	v_fma_f64 v[212:213], -v[204:205], v[210:211], 1.0
	v_fmac_f64_e32 v[210:211], v[210:211], v[212:213]
	v_div_scale_f64 v[212:213], vcc, 1.0, v[208:209], 1.0
	v_mul_f64 v[214:215], v[212:213], v[210:211]
	v_fma_f64 v[204:205], -v[204:205], v[214:215], v[212:213]
	s_nop 1
	v_div_fmas_f64 v[204:205], v[204:205], v[210:211], v[214:215]
	v_div_fixup_f64 v[204:205], v[204:205], v[208:209], 1.0
	v_mul_f64 v[206:207], v[206:207], -v[204:205]
.LBB109_385:
	s_or_b64 exec, exec, s[2:3]
	ds_write2_b64 v201, v[204:205], v[206:207] offset1:1
.LBB109_386:
	s_or_b64 exec, exec, s[4:5]
	s_waitcnt lgkmcnt(0)
	s_barrier
	ds_read2_b64 v[192:195], v201 offset1:1
	v_cmp_lt_u32_e32 vcc, 42, v200
	s_waitcnt lgkmcnt(0)
	scratch_store_dwordx4 off, v[192:195], off offset:1192 ; 16-byte Folded Spill
	s_and_saveexec_b64 s[2:3], vcc
	s_cbranch_execz .LBB109_388
; %bb.387:
	scratch_load_dwordx4 v[192:195], off, off offset:1192 ; 16-byte Folded Reload
	ds_read2_b64 v[204:207], v202 offset0:86 offset1:87
	s_waitcnt vmcnt(0)
	v_mul_f64 v[208:209], v[192:193], v[46:47]
	v_fmac_f64_e32 v[208:209], v[194:195], v[44:45]
	v_mul_f64 v[46:47], v[194:195], v[46:47]
	v_fma_f64 v[44:45], v[192:193], v[44:45], -v[46:47]
	s_waitcnt lgkmcnt(0)
	v_mul_f64 v[46:47], v[206:207], v[208:209]
	v_fma_f64 v[46:47], v[204:205], v[44:45], -v[46:47]
	v_mul_f64 v[204:205], v[204:205], v[208:209]
	v_fmac_f64_e32 v[204:205], v[206:207], v[44:45]
	v_add_f64 v[42:43], v[42:43], -v[204:205]
	ds_read2_b64 v[204:207], v202 offset0:88 offset1:89
	v_add_f64 v[40:41], v[40:41], -v[46:47]
	s_waitcnt lgkmcnt(0)
	v_mul_f64 v[46:47], v[206:207], v[208:209]
	v_fma_f64 v[46:47], v[204:205], v[44:45], -v[46:47]
	v_mul_f64 v[204:205], v[204:205], v[208:209]
	v_fmac_f64_e32 v[204:205], v[206:207], v[44:45]
	v_add_f64 v[38:39], v[38:39], -v[204:205]
	ds_read2_b64 v[204:207], v202 offset0:90 offset1:91
	v_add_f64 v[36:37], v[36:37], -v[46:47]
	;; [unrolled: 8-line block ×11, first 2 shown]
	s_waitcnt lgkmcnt(0)
	v_mul_f64 v[46:47], v[206:207], v[208:209]
	v_fma_f64 v[46:47], v[204:205], v[44:45], -v[46:47]
	v_mul_f64 v[204:205], v[204:205], v[208:209]
	v_fmac_f64_e32 v[204:205], v[206:207], v[44:45]
	v_add_f64 v[216:217], v[216:217], -v[46:47]
	v_add_f64 v[218:219], v[218:219], -v[204:205]
	v_mov_b64_e32 v[46:47], v[208:209]
.LBB109_388:
	s_or_b64 exec, exec, s[2:3]
	v_cmp_eq_u32_e32 vcc, 43, v200
	s_waitcnt vmcnt(63) expcnt(7) lgkmcnt(15)
	s_barrier
	s_and_saveexec_b64 s[4:5], vcc
	s_cbranch_execz .LBB109_395
; %bb.389:
	ds_write2_b64 v201, v[40:41], v[42:43] offset1:1
	ds_write2_b64 v202, v[36:37], v[38:39] offset0:88 offset1:89
	ds_write2_b64 v202, v[32:33], v[34:35] offset0:90 offset1:91
	;; [unrolled: 1-line block ×5, first 2 shown]
	s_waitcnt vmcnt(62)
	ds_write2_b64 v202, v[16:17], v[18:19] offset0:98 offset1:99
	ds_write2_b64 v202, v[12:13], v[14:15] offset0:100 offset1:101
	;; [unrolled: 1-line block ×4, first 2 shown]
	s_waitcnt vmcnt(61)
	ds_write2_b64 v202, v[0:1], v[2:3] offset0:106 offset1:107
	s_waitcnt vmcnt(58)
	ds_write2_b64 v202, v[216:217], v[218:219] offset0:108 offset1:109
	ds_read2_b64 v[208:211], v201 offset1:1
	s_waitcnt lgkmcnt(0)
	v_cmp_neq_f64_e32 vcc, 0, v[208:209]
	v_cmp_neq_f64_e64 s[2:3], 0, v[210:211]
	s_or_b64 s[2:3], vcc, s[2:3]
	s_and_b64 exec, exec, s[2:3]
	s_cbranch_execz .LBB109_395
; %bb.390:
	v_cmp_ngt_f64_e64 s[2:3], |v[208:209]|, |v[210:211]|
                                        ; implicit-def: $vgpr204_vgpr205
	s_and_saveexec_b64 s[10:11], s[2:3]
	s_xor_b64 s[2:3], exec, s[10:11]
                                        ; implicit-def: $vgpr206_vgpr207
	s_cbranch_execz .LBB109_392
; %bb.391:
	v_div_scale_f64 v[204:205], s[10:11], v[210:211], v[210:211], v[208:209]
	v_rcp_f64_e32 v[206:207], v[204:205]
	v_div_scale_f64 v[212:213], vcc, v[208:209], v[210:211], v[208:209]
	v_fma_f64 v[214:215], -v[204:205], v[206:207], 1.0
	v_fmac_f64_e32 v[206:207], v[206:207], v[214:215]
	v_fma_f64 v[214:215], -v[204:205], v[206:207], 1.0
	v_fmac_f64_e32 v[206:207], v[206:207], v[214:215]
	v_mul_f64 v[214:215], v[212:213], v[206:207]
	v_fma_f64 v[204:205], -v[204:205], v[214:215], v[212:213]
	v_div_fmas_f64 v[204:205], v[204:205], v[206:207], v[214:215]
	v_div_fixup_f64 v[204:205], v[204:205], v[210:211], v[208:209]
	v_fmac_f64_e32 v[210:211], v[208:209], v[204:205]
	v_div_scale_f64 v[206:207], s[10:11], v[210:211], v[210:211], 1.0
	v_rcp_f64_e32 v[208:209], v[206:207]
	s_nop 0
	v_fma_f64 v[212:213], -v[206:207], v[208:209], 1.0
	v_fmac_f64_e32 v[208:209], v[208:209], v[212:213]
	v_fma_f64 v[212:213], -v[206:207], v[208:209], 1.0
	v_fmac_f64_e32 v[208:209], v[208:209], v[212:213]
	v_div_scale_f64 v[212:213], vcc, 1.0, v[210:211], 1.0
	v_mul_f64 v[214:215], v[212:213], v[208:209]
	v_fma_f64 v[206:207], -v[206:207], v[214:215], v[212:213]
	s_nop 1
	v_div_fmas_f64 v[206:207], v[206:207], v[208:209], v[214:215]
	v_div_fixup_f64 v[206:207], v[206:207], v[210:211], 1.0
	v_mul_f64 v[204:205], v[204:205], v[206:207]
	v_xor_b32_e32 v207, 0x80000000, v207
                                        ; implicit-def: $vgpr208_vgpr209
.LBB109_392:
	s_andn2_saveexec_b64 s[2:3], s[2:3]
	s_cbranch_execz .LBB109_394
; %bb.393:
	v_div_scale_f64 v[204:205], s[10:11], v[208:209], v[208:209], v[210:211]
	v_rcp_f64_e32 v[206:207], v[204:205]
	v_div_scale_f64 v[212:213], vcc, v[210:211], v[208:209], v[210:211]
	v_fma_f64 v[214:215], -v[204:205], v[206:207], 1.0
	v_fmac_f64_e32 v[206:207], v[206:207], v[214:215]
	v_fma_f64 v[214:215], -v[204:205], v[206:207], 1.0
	v_fmac_f64_e32 v[206:207], v[206:207], v[214:215]
	v_mul_f64 v[214:215], v[212:213], v[206:207]
	v_fma_f64 v[204:205], -v[204:205], v[214:215], v[212:213]
	v_div_fmas_f64 v[204:205], v[204:205], v[206:207], v[214:215]
	v_div_fixup_f64 v[206:207], v[204:205], v[208:209], v[210:211]
	v_fmac_f64_e32 v[208:209], v[210:211], v[206:207]
	v_div_scale_f64 v[204:205], s[10:11], v[208:209], v[208:209], 1.0
	v_rcp_f64_e32 v[210:211], v[204:205]
	s_nop 0
	v_fma_f64 v[212:213], -v[204:205], v[210:211], 1.0
	v_fmac_f64_e32 v[210:211], v[210:211], v[212:213]
	v_fma_f64 v[212:213], -v[204:205], v[210:211], 1.0
	v_fmac_f64_e32 v[210:211], v[210:211], v[212:213]
	v_div_scale_f64 v[212:213], vcc, 1.0, v[208:209], 1.0
	v_mul_f64 v[214:215], v[212:213], v[210:211]
	v_fma_f64 v[204:205], -v[204:205], v[214:215], v[212:213]
	s_nop 1
	v_div_fmas_f64 v[204:205], v[204:205], v[210:211], v[214:215]
	v_div_fixup_f64 v[204:205], v[204:205], v[208:209], 1.0
	v_mul_f64 v[206:207], v[206:207], -v[204:205]
.LBB109_394:
	s_or_b64 exec, exec, s[2:3]
	ds_write2_b64 v201, v[204:205], v[206:207] offset1:1
.LBB109_395:
	s_or_b64 exec, exec, s[4:5]
	s_waitcnt lgkmcnt(0)
	s_barrier
	ds_read2_b64 v[252:255], v201 offset1:1
	v_cmp_lt_u32_e32 vcc, 43, v200
	s_and_saveexec_b64 s[2:3], vcc
	s_cbranch_execz .LBB109_397
; %bb.396:
	ds_read2_b64 v[204:207], v202 offset0:88 offset1:89
	s_waitcnt lgkmcnt(1)
	v_mul_f64 v[208:209], v[252:253], v[42:43]
	v_fmac_f64_e32 v[208:209], v[254:255], v[40:41]
	v_mul_f64 v[42:43], v[254:255], v[42:43]
	v_fma_f64 v[40:41], v[252:253], v[40:41], -v[42:43]
	s_waitcnt lgkmcnt(0)
	v_mul_f64 v[42:43], v[206:207], v[208:209]
	v_fma_f64 v[42:43], v[204:205], v[40:41], -v[42:43]
	v_mul_f64 v[204:205], v[204:205], v[208:209]
	v_fmac_f64_e32 v[204:205], v[206:207], v[40:41]
	v_add_f64 v[38:39], v[38:39], -v[204:205]
	ds_read2_b64 v[204:207], v202 offset0:90 offset1:91
	v_add_f64 v[36:37], v[36:37], -v[42:43]
	s_waitcnt lgkmcnt(0)
	v_mul_f64 v[42:43], v[206:207], v[208:209]
	v_fma_f64 v[42:43], v[204:205], v[40:41], -v[42:43]
	v_mul_f64 v[204:205], v[204:205], v[208:209]
	v_fmac_f64_e32 v[204:205], v[206:207], v[40:41]
	v_add_f64 v[34:35], v[34:35], -v[204:205]
	ds_read2_b64 v[204:207], v202 offset0:92 offset1:93
	v_add_f64 v[32:33], v[32:33], -v[42:43]
	;; [unrolled: 8-line block ×5, first 2 shown]
	s_waitcnt lgkmcnt(0)
	v_mul_f64 v[42:43], v[206:207], v[208:209]
	v_fma_f64 v[42:43], v[204:205], v[40:41], -v[42:43]
	v_mul_f64 v[204:205], v[204:205], v[208:209]
	v_fmac_f64_e32 v[204:205], v[206:207], v[40:41]
	s_waitcnt vmcnt(62)
	v_add_f64 v[18:19], v[18:19], -v[204:205]
	ds_read2_b64 v[204:207], v202 offset0:100 offset1:101
	v_add_f64 v[16:17], v[16:17], -v[42:43]
	s_waitcnt lgkmcnt(0)
	v_mul_f64 v[42:43], v[206:207], v[208:209]
	v_fma_f64 v[42:43], v[204:205], v[40:41], -v[42:43]
	v_mul_f64 v[204:205], v[204:205], v[208:209]
	v_fmac_f64_e32 v[204:205], v[206:207], v[40:41]
	v_add_f64 v[14:15], v[14:15], -v[204:205]
	ds_read2_b64 v[204:207], v202 offset0:102 offset1:103
	v_add_f64 v[12:13], v[12:13], -v[42:43]
	s_waitcnt lgkmcnt(0)
	v_mul_f64 v[42:43], v[206:207], v[208:209]
	v_fma_f64 v[42:43], v[204:205], v[40:41], -v[42:43]
	v_mul_f64 v[204:205], v[204:205], v[208:209]
	v_fmac_f64_e32 v[204:205], v[206:207], v[40:41]
	v_add_f64 v[10:11], v[10:11], -v[204:205]
	ds_read2_b64 v[204:207], v202 offset0:104 offset1:105
	v_add_f64 v[8:9], v[8:9], -v[42:43]
	s_waitcnt lgkmcnt(0)
	v_mul_f64 v[42:43], v[206:207], v[208:209]
	v_fma_f64 v[42:43], v[204:205], v[40:41], -v[42:43]
	v_mul_f64 v[204:205], v[204:205], v[208:209]
	v_fmac_f64_e32 v[204:205], v[206:207], v[40:41]
	v_add_f64 v[6:7], v[6:7], -v[204:205]
	ds_read2_b64 v[204:207], v202 offset0:106 offset1:107
	v_add_f64 v[4:5], v[4:5], -v[42:43]
	s_waitcnt lgkmcnt(0)
	v_mul_f64 v[42:43], v[206:207], v[208:209]
	v_fma_f64 v[42:43], v[204:205], v[40:41], -v[42:43]
	v_mul_f64 v[204:205], v[204:205], v[208:209]
	v_fmac_f64_e32 v[204:205], v[206:207], v[40:41]
	s_waitcnt vmcnt(61)
	v_add_f64 v[2:3], v[2:3], -v[204:205]
	ds_read2_b64 v[204:207], v202 offset0:108 offset1:109
	v_add_f64 v[0:1], v[0:1], -v[42:43]
	s_waitcnt lgkmcnt(0)
	v_mul_f64 v[42:43], v[206:207], v[208:209]
	v_fma_f64 v[42:43], v[204:205], v[40:41], -v[42:43]
	v_mul_f64 v[204:205], v[204:205], v[208:209]
	v_fmac_f64_e32 v[204:205], v[206:207], v[40:41]
	s_waitcnt vmcnt(58)
	v_add_f64 v[216:217], v[216:217], -v[42:43]
	v_add_f64 v[218:219], v[218:219], -v[204:205]
	v_mov_b64_e32 v[42:43], v[208:209]
.LBB109_397:
	s_or_b64 exec, exec, s[2:3]
	v_cmp_eq_u32_e32 vcc, 44, v200
	s_waitcnt lgkmcnt(0)
	s_barrier
	s_and_saveexec_b64 s[4:5], vcc
	s_cbranch_execz .LBB109_404
; %bb.398:
	ds_write2_b64 v201, v[36:37], v[38:39] offset1:1
	ds_write2_b64 v202, v[32:33], v[34:35] offset0:90 offset1:91
	ds_write2_b64 v202, v[28:29], v[30:31] offset0:92 offset1:93
	;; [unrolled: 1-line block ×4, first 2 shown]
	s_waitcnt vmcnt(62)
	ds_write2_b64 v202, v[16:17], v[18:19] offset0:98 offset1:99
	ds_write2_b64 v202, v[12:13], v[14:15] offset0:100 offset1:101
	;; [unrolled: 1-line block ×4, first 2 shown]
	s_waitcnt vmcnt(61)
	ds_write2_b64 v202, v[0:1], v[2:3] offset0:106 offset1:107
	s_waitcnt vmcnt(58)
	ds_write2_b64 v202, v[216:217], v[218:219] offset0:108 offset1:109
	ds_read2_b64 v[208:211], v201 offset1:1
	s_waitcnt lgkmcnt(0)
	v_cmp_neq_f64_e32 vcc, 0, v[208:209]
	v_cmp_neq_f64_e64 s[2:3], 0, v[210:211]
	s_or_b64 s[2:3], vcc, s[2:3]
	s_and_b64 exec, exec, s[2:3]
	s_cbranch_execz .LBB109_404
; %bb.399:
	v_cmp_ngt_f64_e64 s[2:3], |v[208:209]|, |v[210:211]|
                                        ; implicit-def: $vgpr204_vgpr205
	s_and_saveexec_b64 s[10:11], s[2:3]
	s_xor_b64 s[2:3], exec, s[10:11]
                                        ; implicit-def: $vgpr206_vgpr207
	s_cbranch_execz .LBB109_401
; %bb.400:
	v_div_scale_f64 v[204:205], s[10:11], v[210:211], v[210:211], v[208:209]
	v_rcp_f64_e32 v[206:207], v[204:205]
	v_div_scale_f64 v[212:213], vcc, v[208:209], v[210:211], v[208:209]
	v_fma_f64 v[214:215], -v[204:205], v[206:207], 1.0
	v_fmac_f64_e32 v[206:207], v[206:207], v[214:215]
	v_fma_f64 v[214:215], -v[204:205], v[206:207], 1.0
	v_fmac_f64_e32 v[206:207], v[206:207], v[214:215]
	v_mul_f64 v[214:215], v[212:213], v[206:207]
	v_fma_f64 v[204:205], -v[204:205], v[214:215], v[212:213]
	v_div_fmas_f64 v[204:205], v[204:205], v[206:207], v[214:215]
	v_div_fixup_f64 v[204:205], v[204:205], v[210:211], v[208:209]
	v_fmac_f64_e32 v[210:211], v[208:209], v[204:205]
	v_div_scale_f64 v[206:207], s[10:11], v[210:211], v[210:211], 1.0
	v_rcp_f64_e32 v[208:209], v[206:207]
	s_nop 0
	v_fma_f64 v[212:213], -v[206:207], v[208:209], 1.0
	v_fmac_f64_e32 v[208:209], v[208:209], v[212:213]
	v_fma_f64 v[212:213], -v[206:207], v[208:209], 1.0
	v_fmac_f64_e32 v[208:209], v[208:209], v[212:213]
	v_div_scale_f64 v[212:213], vcc, 1.0, v[210:211], 1.0
	v_mul_f64 v[214:215], v[212:213], v[208:209]
	v_fma_f64 v[206:207], -v[206:207], v[214:215], v[212:213]
	s_nop 1
	v_div_fmas_f64 v[206:207], v[206:207], v[208:209], v[214:215]
	v_div_fixup_f64 v[206:207], v[206:207], v[210:211], 1.0
	v_mul_f64 v[204:205], v[204:205], v[206:207]
	v_xor_b32_e32 v207, 0x80000000, v207
                                        ; implicit-def: $vgpr208_vgpr209
.LBB109_401:
	s_andn2_saveexec_b64 s[2:3], s[2:3]
	s_cbranch_execz .LBB109_403
; %bb.402:
	v_div_scale_f64 v[204:205], s[10:11], v[208:209], v[208:209], v[210:211]
	v_rcp_f64_e32 v[206:207], v[204:205]
	v_div_scale_f64 v[212:213], vcc, v[210:211], v[208:209], v[210:211]
	v_fma_f64 v[214:215], -v[204:205], v[206:207], 1.0
	v_fmac_f64_e32 v[206:207], v[206:207], v[214:215]
	v_fma_f64 v[214:215], -v[204:205], v[206:207], 1.0
	v_fmac_f64_e32 v[206:207], v[206:207], v[214:215]
	v_mul_f64 v[214:215], v[212:213], v[206:207]
	v_fma_f64 v[204:205], -v[204:205], v[214:215], v[212:213]
	v_div_fmas_f64 v[204:205], v[204:205], v[206:207], v[214:215]
	v_div_fixup_f64 v[206:207], v[204:205], v[208:209], v[210:211]
	v_fmac_f64_e32 v[208:209], v[210:211], v[206:207]
	v_div_scale_f64 v[204:205], s[10:11], v[208:209], v[208:209], 1.0
	v_rcp_f64_e32 v[210:211], v[204:205]
	s_nop 0
	v_fma_f64 v[212:213], -v[204:205], v[210:211], 1.0
	v_fmac_f64_e32 v[210:211], v[210:211], v[212:213]
	v_fma_f64 v[212:213], -v[204:205], v[210:211], 1.0
	v_fmac_f64_e32 v[210:211], v[210:211], v[212:213]
	v_div_scale_f64 v[212:213], vcc, 1.0, v[208:209], 1.0
	v_mul_f64 v[214:215], v[212:213], v[210:211]
	v_fma_f64 v[204:205], -v[204:205], v[214:215], v[212:213]
	s_nop 1
	v_div_fmas_f64 v[204:205], v[204:205], v[210:211], v[214:215]
	v_div_fixup_f64 v[204:205], v[204:205], v[208:209], 1.0
	v_mul_f64 v[206:207], v[206:207], -v[204:205]
.LBB109_403:
	s_or_b64 exec, exec, s[2:3]
	ds_write2_b64 v201, v[204:205], v[206:207] offset1:1
.LBB109_404:
	s_or_b64 exec, exec, s[4:5]
	s_waitcnt lgkmcnt(0)
	s_barrier
	ds_read2_b64 v[220:223], v201 offset1:1
	v_cmp_lt_u32_e32 vcc, 44, v200
	s_and_saveexec_b64 s[2:3], vcc
	s_cbranch_execz .LBB109_406
; %bb.405:
	ds_read2_b64 v[204:207], v202 offset0:90 offset1:91
	s_waitcnt lgkmcnt(1)
	v_mul_f64 v[208:209], v[220:221], v[38:39]
	v_fmac_f64_e32 v[208:209], v[222:223], v[36:37]
	v_mul_f64 v[38:39], v[222:223], v[38:39]
	v_fma_f64 v[36:37], v[220:221], v[36:37], -v[38:39]
	s_waitcnt lgkmcnt(0)
	v_mul_f64 v[38:39], v[206:207], v[208:209]
	v_fma_f64 v[38:39], v[204:205], v[36:37], -v[38:39]
	v_mul_f64 v[204:205], v[204:205], v[208:209]
	v_fmac_f64_e32 v[204:205], v[206:207], v[36:37]
	v_add_f64 v[34:35], v[34:35], -v[204:205]
	ds_read2_b64 v[204:207], v202 offset0:92 offset1:93
	v_add_f64 v[32:33], v[32:33], -v[38:39]
	s_waitcnt lgkmcnt(0)
	v_mul_f64 v[38:39], v[206:207], v[208:209]
	v_fma_f64 v[38:39], v[204:205], v[36:37], -v[38:39]
	v_mul_f64 v[204:205], v[204:205], v[208:209]
	v_fmac_f64_e32 v[204:205], v[206:207], v[36:37]
	v_add_f64 v[30:31], v[30:31], -v[204:205]
	ds_read2_b64 v[204:207], v202 offset0:94 offset1:95
	v_add_f64 v[28:29], v[28:29], -v[38:39]
	s_waitcnt lgkmcnt(0)
	v_mul_f64 v[38:39], v[206:207], v[208:209]
	v_fma_f64 v[38:39], v[204:205], v[36:37], -v[38:39]
	v_mul_f64 v[204:205], v[204:205], v[208:209]
	v_fmac_f64_e32 v[204:205], v[206:207], v[36:37]
	v_add_f64 v[26:27], v[26:27], -v[204:205]
	ds_read2_b64 v[204:207], v202 offset0:96 offset1:97
	v_add_f64 v[24:25], v[24:25], -v[38:39]
	s_waitcnt lgkmcnt(0)
	v_mul_f64 v[38:39], v[206:207], v[208:209]
	v_fma_f64 v[38:39], v[204:205], v[36:37], -v[38:39]
	v_mul_f64 v[204:205], v[204:205], v[208:209]
	v_fmac_f64_e32 v[204:205], v[206:207], v[36:37]
	v_add_f64 v[22:23], v[22:23], -v[204:205]
	ds_read2_b64 v[204:207], v202 offset0:98 offset1:99
	v_add_f64 v[20:21], v[20:21], -v[38:39]
	s_waitcnt lgkmcnt(0)
	v_mul_f64 v[38:39], v[206:207], v[208:209]
	v_fma_f64 v[38:39], v[204:205], v[36:37], -v[38:39]
	v_mul_f64 v[204:205], v[204:205], v[208:209]
	v_fmac_f64_e32 v[204:205], v[206:207], v[36:37]
	s_waitcnt vmcnt(62)
	v_add_f64 v[18:19], v[18:19], -v[204:205]
	ds_read2_b64 v[204:207], v202 offset0:100 offset1:101
	v_add_f64 v[16:17], v[16:17], -v[38:39]
	s_waitcnt lgkmcnt(0)
	v_mul_f64 v[38:39], v[206:207], v[208:209]
	v_fma_f64 v[38:39], v[204:205], v[36:37], -v[38:39]
	v_mul_f64 v[204:205], v[204:205], v[208:209]
	v_fmac_f64_e32 v[204:205], v[206:207], v[36:37]
	v_add_f64 v[14:15], v[14:15], -v[204:205]
	ds_read2_b64 v[204:207], v202 offset0:102 offset1:103
	v_add_f64 v[12:13], v[12:13], -v[38:39]
	s_waitcnt lgkmcnt(0)
	v_mul_f64 v[38:39], v[206:207], v[208:209]
	v_fma_f64 v[38:39], v[204:205], v[36:37], -v[38:39]
	v_mul_f64 v[204:205], v[204:205], v[208:209]
	v_fmac_f64_e32 v[204:205], v[206:207], v[36:37]
	;; [unrolled: 8-line block ×4, first 2 shown]
	s_waitcnt vmcnt(61)
	v_add_f64 v[2:3], v[2:3], -v[204:205]
	ds_read2_b64 v[204:207], v202 offset0:108 offset1:109
	v_add_f64 v[0:1], v[0:1], -v[38:39]
	s_waitcnt lgkmcnt(0)
	v_mul_f64 v[38:39], v[206:207], v[208:209]
	v_fma_f64 v[38:39], v[204:205], v[36:37], -v[38:39]
	v_mul_f64 v[204:205], v[204:205], v[208:209]
	v_fmac_f64_e32 v[204:205], v[206:207], v[36:37]
	s_waitcnt vmcnt(58)
	v_add_f64 v[216:217], v[216:217], -v[38:39]
	v_add_f64 v[218:219], v[218:219], -v[204:205]
	v_mov_b64_e32 v[38:39], v[208:209]
.LBB109_406:
	s_or_b64 exec, exec, s[2:3]
	v_cmp_eq_u32_e32 vcc, 45, v200
	s_waitcnt lgkmcnt(0)
	s_barrier
	s_and_saveexec_b64 s[4:5], vcc
	s_cbranch_execz .LBB109_413
; %bb.407:
	ds_write2_b64 v201, v[32:33], v[34:35] offset1:1
	ds_write2_b64 v202, v[28:29], v[30:31] offset0:92 offset1:93
	ds_write2_b64 v202, v[24:25], v[26:27] offset0:94 offset1:95
	;; [unrolled: 1-line block ×3, first 2 shown]
	s_waitcnt vmcnt(62)
	ds_write2_b64 v202, v[16:17], v[18:19] offset0:98 offset1:99
	ds_write2_b64 v202, v[12:13], v[14:15] offset0:100 offset1:101
	;; [unrolled: 1-line block ×4, first 2 shown]
	s_waitcnt vmcnt(61)
	ds_write2_b64 v202, v[0:1], v[2:3] offset0:106 offset1:107
	s_waitcnt vmcnt(58)
	ds_write2_b64 v202, v[216:217], v[218:219] offset0:108 offset1:109
	ds_read2_b64 v[208:211], v201 offset1:1
	s_waitcnt lgkmcnt(0)
	v_cmp_neq_f64_e32 vcc, 0, v[208:209]
	v_cmp_neq_f64_e64 s[2:3], 0, v[210:211]
	s_or_b64 s[2:3], vcc, s[2:3]
	s_and_b64 exec, exec, s[2:3]
	s_cbranch_execz .LBB109_413
; %bb.408:
	v_cmp_ngt_f64_e64 s[2:3], |v[208:209]|, |v[210:211]|
                                        ; implicit-def: $vgpr204_vgpr205
	s_and_saveexec_b64 s[10:11], s[2:3]
	s_xor_b64 s[2:3], exec, s[10:11]
                                        ; implicit-def: $vgpr206_vgpr207
	s_cbranch_execz .LBB109_410
; %bb.409:
	v_div_scale_f64 v[204:205], s[10:11], v[210:211], v[210:211], v[208:209]
	v_rcp_f64_e32 v[206:207], v[204:205]
	v_div_scale_f64 v[212:213], vcc, v[208:209], v[210:211], v[208:209]
	v_fma_f64 v[214:215], -v[204:205], v[206:207], 1.0
	v_fmac_f64_e32 v[206:207], v[206:207], v[214:215]
	v_fma_f64 v[214:215], -v[204:205], v[206:207], 1.0
	v_fmac_f64_e32 v[206:207], v[206:207], v[214:215]
	v_mul_f64 v[214:215], v[212:213], v[206:207]
	v_fma_f64 v[204:205], -v[204:205], v[214:215], v[212:213]
	v_div_fmas_f64 v[204:205], v[204:205], v[206:207], v[214:215]
	v_div_fixup_f64 v[204:205], v[204:205], v[210:211], v[208:209]
	v_fmac_f64_e32 v[210:211], v[208:209], v[204:205]
	v_div_scale_f64 v[206:207], s[10:11], v[210:211], v[210:211], 1.0
	v_rcp_f64_e32 v[208:209], v[206:207]
	s_nop 0
	v_fma_f64 v[212:213], -v[206:207], v[208:209], 1.0
	v_fmac_f64_e32 v[208:209], v[208:209], v[212:213]
	v_fma_f64 v[212:213], -v[206:207], v[208:209], 1.0
	v_fmac_f64_e32 v[208:209], v[208:209], v[212:213]
	v_div_scale_f64 v[212:213], vcc, 1.0, v[210:211], 1.0
	v_mul_f64 v[214:215], v[212:213], v[208:209]
	v_fma_f64 v[206:207], -v[206:207], v[214:215], v[212:213]
	s_nop 1
	v_div_fmas_f64 v[206:207], v[206:207], v[208:209], v[214:215]
	v_div_fixup_f64 v[206:207], v[206:207], v[210:211], 1.0
	v_mul_f64 v[204:205], v[204:205], v[206:207]
	v_xor_b32_e32 v207, 0x80000000, v207
                                        ; implicit-def: $vgpr208_vgpr209
.LBB109_410:
	s_andn2_saveexec_b64 s[2:3], s[2:3]
	s_cbranch_execz .LBB109_412
; %bb.411:
	v_div_scale_f64 v[204:205], s[10:11], v[208:209], v[208:209], v[210:211]
	v_rcp_f64_e32 v[206:207], v[204:205]
	v_div_scale_f64 v[212:213], vcc, v[210:211], v[208:209], v[210:211]
	v_fma_f64 v[214:215], -v[204:205], v[206:207], 1.0
	v_fmac_f64_e32 v[206:207], v[206:207], v[214:215]
	v_fma_f64 v[214:215], -v[204:205], v[206:207], 1.0
	v_fmac_f64_e32 v[206:207], v[206:207], v[214:215]
	v_mul_f64 v[214:215], v[212:213], v[206:207]
	v_fma_f64 v[204:205], -v[204:205], v[214:215], v[212:213]
	v_div_fmas_f64 v[204:205], v[204:205], v[206:207], v[214:215]
	v_div_fixup_f64 v[206:207], v[204:205], v[208:209], v[210:211]
	v_fmac_f64_e32 v[208:209], v[210:211], v[206:207]
	v_div_scale_f64 v[204:205], s[10:11], v[208:209], v[208:209], 1.0
	v_rcp_f64_e32 v[210:211], v[204:205]
	s_nop 0
	v_fma_f64 v[212:213], -v[204:205], v[210:211], 1.0
	v_fmac_f64_e32 v[210:211], v[210:211], v[212:213]
	v_fma_f64 v[212:213], -v[204:205], v[210:211], 1.0
	v_fmac_f64_e32 v[210:211], v[210:211], v[212:213]
	v_div_scale_f64 v[212:213], vcc, 1.0, v[208:209], 1.0
	v_mul_f64 v[214:215], v[212:213], v[210:211]
	v_fma_f64 v[204:205], -v[204:205], v[214:215], v[212:213]
	s_nop 1
	v_div_fmas_f64 v[204:205], v[204:205], v[210:211], v[214:215]
	v_div_fixup_f64 v[204:205], v[204:205], v[208:209], 1.0
	v_mul_f64 v[206:207], v[206:207], -v[204:205]
.LBB109_412:
	s_or_b64 exec, exec, s[2:3]
	ds_write2_b64 v201, v[204:205], v[206:207] offset1:1
.LBB109_413:
	s_or_b64 exec, exec, s[4:5]
	s_waitcnt lgkmcnt(0)
	s_barrier
	ds_read2_b64 v[224:227], v201 offset1:1
	v_cmp_lt_u32_e32 vcc, 45, v200
	s_and_saveexec_b64 s[2:3], vcc
	s_cbranch_execz .LBB109_415
; %bb.414:
	ds_read2_b64 v[204:207], v202 offset0:92 offset1:93
	s_waitcnt lgkmcnt(1)
	v_mul_f64 v[208:209], v[224:225], v[34:35]
	v_fmac_f64_e32 v[208:209], v[226:227], v[32:33]
	v_mul_f64 v[34:35], v[226:227], v[34:35]
	v_fma_f64 v[32:33], v[224:225], v[32:33], -v[34:35]
	s_waitcnt lgkmcnt(0)
	v_mul_f64 v[34:35], v[206:207], v[208:209]
	v_fma_f64 v[34:35], v[204:205], v[32:33], -v[34:35]
	v_mul_f64 v[204:205], v[204:205], v[208:209]
	v_fmac_f64_e32 v[204:205], v[206:207], v[32:33]
	v_add_f64 v[30:31], v[30:31], -v[204:205]
	ds_read2_b64 v[204:207], v202 offset0:94 offset1:95
	v_add_f64 v[28:29], v[28:29], -v[34:35]
	s_waitcnt lgkmcnt(0)
	v_mul_f64 v[34:35], v[206:207], v[208:209]
	v_fma_f64 v[34:35], v[204:205], v[32:33], -v[34:35]
	v_mul_f64 v[204:205], v[204:205], v[208:209]
	v_fmac_f64_e32 v[204:205], v[206:207], v[32:33]
	v_add_f64 v[26:27], v[26:27], -v[204:205]
	ds_read2_b64 v[204:207], v202 offset0:96 offset1:97
	v_add_f64 v[24:25], v[24:25], -v[34:35]
	;; [unrolled: 8-line block ×3, first 2 shown]
	s_waitcnt lgkmcnt(0)
	v_mul_f64 v[34:35], v[206:207], v[208:209]
	v_fma_f64 v[34:35], v[204:205], v[32:33], -v[34:35]
	v_mul_f64 v[204:205], v[204:205], v[208:209]
	v_fmac_f64_e32 v[204:205], v[206:207], v[32:33]
	s_waitcnt vmcnt(62)
	v_add_f64 v[18:19], v[18:19], -v[204:205]
	ds_read2_b64 v[204:207], v202 offset0:100 offset1:101
	v_add_f64 v[16:17], v[16:17], -v[34:35]
	s_waitcnt lgkmcnt(0)
	v_mul_f64 v[34:35], v[206:207], v[208:209]
	v_fma_f64 v[34:35], v[204:205], v[32:33], -v[34:35]
	v_mul_f64 v[204:205], v[204:205], v[208:209]
	v_fmac_f64_e32 v[204:205], v[206:207], v[32:33]
	v_add_f64 v[14:15], v[14:15], -v[204:205]
	ds_read2_b64 v[204:207], v202 offset0:102 offset1:103
	v_add_f64 v[12:13], v[12:13], -v[34:35]
	s_waitcnt lgkmcnt(0)
	v_mul_f64 v[34:35], v[206:207], v[208:209]
	v_fma_f64 v[34:35], v[204:205], v[32:33], -v[34:35]
	v_mul_f64 v[204:205], v[204:205], v[208:209]
	v_fmac_f64_e32 v[204:205], v[206:207], v[32:33]
	;; [unrolled: 8-line block ×4, first 2 shown]
	s_waitcnt vmcnt(61)
	v_add_f64 v[2:3], v[2:3], -v[204:205]
	ds_read2_b64 v[204:207], v202 offset0:108 offset1:109
	v_add_f64 v[0:1], v[0:1], -v[34:35]
	s_waitcnt lgkmcnt(0)
	v_mul_f64 v[34:35], v[206:207], v[208:209]
	v_fma_f64 v[34:35], v[204:205], v[32:33], -v[34:35]
	v_mul_f64 v[204:205], v[204:205], v[208:209]
	v_fmac_f64_e32 v[204:205], v[206:207], v[32:33]
	s_waitcnt vmcnt(58)
	v_add_f64 v[216:217], v[216:217], -v[34:35]
	v_add_f64 v[218:219], v[218:219], -v[204:205]
	v_mov_b64_e32 v[34:35], v[208:209]
.LBB109_415:
	s_or_b64 exec, exec, s[2:3]
	v_cmp_eq_u32_e32 vcc, 46, v200
	s_waitcnt lgkmcnt(0)
	s_barrier
	s_and_saveexec_b64 s[4:5], vcc
	s_cbranch_execz .LBB109_422
; %bb.416:
	ds_write2_b64 v201, v[28:29], v[30:31] offset1:1
	ds_write2_b64 v202, v[24:25], v[26:27] offset0:94 offset1:95
	ds_write2_b64 v202, v[20:21], v[22:23] offset0:96 offset1:97
	s_waitcnt vmcnt(62)
	ds_write2_b64 v202, v[16:17], v[18:19] offset0:98 offset1:99
	ds_write2_b64 v202, v[12:13], v[14:15] offset0:100 offset1:101
	;; [unrolled: 1-line block ×4, first 2 shown]
	s_waitcnt vmcnt(61)
	ds_write2_b64 v202, v[0:1], v[2:3] offset0:106 offset1:107
	s_waitcnt vmcnt(58)
	ds_write2_b64 v202, v[216:217], v[218:219] offset0:108 offset1:109
	ds_read2_b64 v[208:211], v201 offset1:1
	s_waitcnt lgkmcnt(0)
	v_cmp_neq_f64_e32 vcc, 0, v[208:209]
	v_cmp_neq_f64_e64 s[2:3], 0, v[210:211]
	s_or_b64 s[2:3], vcc, s[2:3]
	s_and_b64 exec, exec, s[2:3]
	s_cbranch_execz .LBB109_422
; %bb.417:
	v_cmp_ngt_f64_e64 s[2:3], |v[208:209]|, |v[210:211]|
                                        ; implicit-def: $vgpr204_vgpr205
	s_and_saveexec_b64 s[10:11], s[2:3]
	s_xor_b64 s[2:3], exec, s[10:11]
                                        ; implicit-def: $vgpr206_vgpr207
	s_cbranch_execz .LBB109_419
; %bb.418:
	v_div_scale_f64 v[204:205], s[10:11], v[210:211], v[210:211], v[208:209]
	v_rcp_f64_e32 v[206:207], v[204:205]
	v_div_scale_f64 v[212:213], vcc, v[208:209], v[210:211], v[208:209]
	v_fma_f64 v[214:215], -v[204:205], v[206:207], 1.0
	v_fmac_f64_e32 v[206:207], v[206:207], v[214:215]
	v_fma_f64 v[214:215], -v[204:205], v[206:207], 1.0
	v_fmac_f64_e32 v[206:207], v[206:207], v[214:215]
	v_mul_f64 v[214:215], v[212:213], v[206:207]
	v_fma_f64 v[204:205], -v[204:205], v[214:215], v[212:213]
	v_div_fmas_f64 v[204:205], v[204:205], v[206:207], v[214:215]
	v_div_fixup_f64 v[204:205], v[204:205], v[210:211], v[208:209]
	v_fmac_f64_e32 v[210:211], v[208:209], v[204:205]
	v_div_scale_f64 v[206:207], s[10:11], v[210:211], v[210:211], 1.0
	v_rcp_f64_e32 v[208:209], v[206:207]
	s_nop 0
	v_fma_f64 v[212:213], -v[206:207], v[208:209], 1.0
	v_fmac_f64_e32 v[208:209], v[208:209], v[212:213]
	v_fma_f64 v[212:213], -v[206:207], v[208:209], 1.0
	v_fmac_f64_e32 v[208:209], v[208:209], v[212:213]
	v_div_scale_f64 v[212:213], vcc, 1.0, v[210:211], 1.0
	v_mul_f64 v[214:215], v[212:213], v[208:209]
	v_fma_f64 v[206:207], -v[206:207], v[214:215], v[212:213]
	s_nop 1
	v_div_fmas_f64 v[206:207], v[206:207], v[208:209], v[214:215]
	v_div_fixup_f64 v[206:207], v[206:207], v[210:211], 1.0
	v_mul_f64 v[204:205], v[204:205], v[206:207]
	v_xor_b32_e32 v207, 0x80000000, v207
                                        ; implicit-def: $vgpr208_vgpr209
.LBB109_419:
	s_andn2_saveexec_b64 s[2:3], s[2:3]
	s_cbranch_execz .LBB109_421
; %bb.420:
	v_div_scale_f64 v[204:205], s[10:11], v[208:209], v[208:209], v[210:211]
	v_rcp_f64_e32 v[206:207], v[204:205]
	v_div_scale_f64 v[212:213], vcc, v[210:211], v[208:209], v[210:211]
	v_fma_f64 v[214:215], -v[204:205], v[206:207], 1.0
	v_fmac_f64_e32 v[206:207], v[206:207], v[214:215]
	v_fma_f64 v[214:215], -v[204:205], v[206:207], 1.0
	v_fmac_f64_e32 v[206:207], v[206:207], v[214:215]
	v_mul_f64 v[214:215], v[212:213], v[206:207]
	v_fma_f64 v[204:205], -v[204:205], v[214:215], v[212:213]
	v_div_fmas_f64 v[204:205], v[204:205], v[206:207], v[214:215]
	v_div_fixup_f64 v[206:207], v[204:205], v[208:209], v[210:211]
	v_fmac_f64_e32 v[208:209], v[210:211], v[206:207]
	v_div_scale_f64 v[204:205], s[10:11], v[208:209], v[208:209], 1.0
	v_rcp_f64_e32 v[210:211], v[204:205]
	s_nop 0
	v_fma_f64 v[212:213], -v[204:205], v[210:211], 1.0
	v_fmac_f64_e32 v[210:211], v[210:211], v[212:213]
	v_fma_f64 v[212:213], -v[204:205], v[210:211], 1.0
	v_fmac_f64_e32 v[210:211], v[210:211], v[212:213]
	v_div_scale_f64 v[212:213], vcc, 1.0, v[208:209], 1.0
	v_mul_f64 v[214:215], v[212:213], v[210:211]
	v_fma_f64 v[204:205], -v[204:205], v[214:215], v[212:213]
	s_nop 1
	v_div_fmas_f64 v[204:205], v[204:205], v[210:211], v[214:215]
	v_div_fixup_f64 v[204:205], v[204:205], v[208:209], 1.0
	v_mul_f64 v[206:207], v[206:207], -v[204:205]
.LBB109_421:
	s_or_b64 exec, exec, s[2:3]
	ds_write2_b64 v201, v[204:205], v[206:207] offset1:1
.LBB109_422:
	s_or_b64 exec, exec, s[4:5]
	s_waitcnt lgkmcnt(0)
	s_barrier
	ds_read2_b64 v[192:195], v201 offset1:1
	v_cmp_lt_u32_e32 vcc, 46, v200
	s_waitcnt lgkmcnt(0)
	scratch_store_dwordx4 off, v[192:195], off offset:1208 ; 16-byte Folded Spill
	s_and_saveexec_b64 s[2:3], vcc
	s_cbranch_execz .LBB109_424
; %bb.423:
	scratch_load_dwordx4 v[192:195], off, off offset:1208 ; 16-byte Folded Reload
	ds_read2_b64 v[204:207], v202 offset0:94 offset1:95
	s_waitcnt vmcnt(0)
	v_mul_f64 v[208:209], v[192:193], v[30:31]
	v_fmac_f64_e32 v[208:209], v[194:195], v[28:29]
	v_mul_f64 v[30:31], v[194:195], v[30:31]
	v_fma_f64 v[28:29], v[192:193], v[28:29], -v[30:31]
	s_waitcnt lgkmcnt(0)
	v_mul_f64 v[30:31], v[206:207], v[208:209]
	v_fma_f64 v[30:31], v[204:205], v[28:29], -v[30:31]
	v_mul_f64 v[204:205], v[204:205], v[208:209]
	v_fmac_f64_e32 v[204:205], v[206:207], v[28:29]
	v_add_f64 v[26:27], v[26:27], -v[204:205]
	ds_read2_b64 v[204:207], v202 offset0:96 offset1:97
	v_add_f64 v[24:25], v[24:25], -v[30:31]
	s_waitcnt lgkmcnt(0)
	v_mul_f64 v[30:31], v[206:207], v[208:209]
	v_fma_f64 v[30:31], v[204:205], v[28:29], -v[30:31]
	v_mul_f64 v[204:205], v[204:205], v[208:209]
	v_fmac_f64_e32 v[204:205], v[206:207], v[28:29]
	v_add_f64 v[22:23], v[22:23], -v[204:205]
	ds_read2_b64 v[204:207], v202 offset0:98 offset1:99
	v_add_f64 v[20:21], v[20:21], -v[30:31]
	s_waitcnt lgkmcnt(0)
	v_mul_f64 v[30:31], v[206:207], v[208:209]
	v_fma_f64 v[30:31], v[204:205], v[28:29], -v[30:31]
	v_mul_f64 v[204:205], v[204:205], v[208:209]
	v_fmac_f64_e32 v[204:205], v[206:207], v[28:29]
	v_add_f64 v[18:19], v[18:19], -v[204:205]
	ds_read2_b64 v[204:207], v202 offset0:100 offset1:101
	v_add_f64 v[16:17], v[16:17], -v[30:31]
	s_waitcnt lgkmcnt(0)
	v_mul_f64 v[30:31], v[206:207], v[208:209]
	v_fma_f64 v[30:31], v[204:205], v[28:29], -v[30:31]
	v_mul_f64 v[204:205], v[204:205], v[208:209]
	v_fmac_f64_e32 v[204:205], v[206:207], v[28:29]
	v_add_f64 v[14:15], v[14:15], -v[204:205]
	ds_read2_b64 v[204:207], v202 offset0:102 offset1:103
	v_add_f64 v[12:13], v[12:13], -v[30:31]
	s_waitcnt lgkmcnt(0)
	v_mul_f64 v[30:31], v[206:207], v[208:209]
	v_fma_f64 v[30:31], v[204:205], v[28:29], -v[30:31]
	v_mul_f64 v[204:205], v[204:205], v[208:209]
	v_fmac_f64_e32 v[204:205], v[206:207], v[28:29]
	v_add_f64 v[10:11], v[10:11], -v[204:205]
	ds_read2_b64 v[204:207], v202 offset0:104 offset1:105
	v_add_f64 v[8:9], v[8:9], -v[30:31]
	s_waitcnt lgkmcnt(0)
	v_mul_f64 v[30:31], v[206:207], v[208:209]
	v_fma_f64 v[30:31], v[204:205], v[28:29], -v[30:31]
	v_mul_f64 v[204:205], v[204:205], v[208:209]
	v_fmac_f64_e32 v[204:205], v[206:207], v[28:29]
	v_add_f64 v[6:7], v[6:7], -v[204:205]
	ds_read2_b64 v[204:207], v202 offset0:106 offset1:107
	v_add_f64 v[4:5], v[4:5], -v[30:31]
	s_waitcnt lgkmcnt(0)
	v_mul_f64 v[30:31], v[206:207], v[208:209]
	v_fma_f64 v[30:31], v[204:205], v[28:29], -v[30:31]
	v_mul_f64 v[204:205], v[204:205], v[208:209]
	v_fmac_f64_e32 v[204:205], v[206:207], v[28:29]
	v_add_f64 v[2:3], v[2:3], -v[204:205]
	ds_read2_b64 v[204:207], v202 offset0:108 offset1:109
	v_add_f64 v[0:1], v[0:1], -v[30:31]
	s_waitcnt lgkmcnt(0)
	v_mul_f64 v[30:31], v[206:207], v[208:209]
	v_fma_f64 v[30:31], v[204:205], v[28:29], -v[30:31]
	v_mul_f64 v[204:205], v[204:205], v[208:209]
	v_fmac_f64_e32 v[204:205], v[206:207], v[28:29]
	v_add_f64 v[216:217], v[216:217], -v[30:31]
	v_add_f64 v[218:219], v[218:219], -v[204:205]
	v_mov_b64_e32 v[30:31], v[208:209]
.LBB109_424:
	s_or_b64 exec, exec, s[2:3]
	v_cmp_eq_u32_e32 vcc, 47, v200
	s_waitcnt vmcnt(63) expcnt(7) lgkmcnt(15)
	s_barrier
	s_and_saveexec_b64 s[4:5], vcc
	s_cbranch_execz .LBB109_431
; %bb.425:
	ds_write2_b64 v201, v[24:25], v[26:27] offset1:1
	ds_write2_b64 v202, v[20:21], v[22:23] offset0:96 offset1:97
	ds_write2_b64 v202, v[16:17], v[18:19] offset0:98 offset1:99
	ds_write2_b64 v202, v[12:13], v[14:15] offset0:100 offset1:101
	ds_write2_b64 v202, v[8:9], v[10:11] offset0:102 offset1:103
	ds_write2_b64 v202, v[4:5], v[6:7] offset0:104 offset1:105
	s_waitcnt vmcnt(62)
	ds_write2_b64 v202, v[0:1], v[2:3] offset0:106 offset1:107
	s_waitcnt vmcnt(59)
	ds_write2_b64 v202, v[216:217], v[218:219] offset0:108 offset1:109
	ds_read2_b64 v[208:211], v201 offset1:1
	s_waitcnt lgkmcnt(0)
	v_cmp_neq_f64_e32 vcc, 0, v[208:209]
	v_cmp_neq_f64_e64 s[2:3], 0, v[210:211]
	s_or_b64 s[2:3], vcc, s[2:3]
	s_and_b64 exec, exec, s[2:3]
	s_cbranch_execz .LBB109_431
; %bb.426:
	v_cmp_ngt_f64_e64 s[2:3], |v[208:209]|, |v[210:211]|
                                        ; implicit-def: $vgpr204_vgpr205
	s_and_saveexec_b64 s[10:11], s[2:3]
	s_xor_b64 s[2:3], exec, s[10:11]
                                        ; implicit-def: $vgpr206_vgpr207
	s_cbranch_execz .LBB109_428
; %bb.427:
	v_div_scale_f64 v[204:205], s[10:11], v[210:211], v[210:211], v[208:209]
	v_rcp_f64_e32 v[206:207], v[204:205]
	v_div_scale_f64 v[212:213], vcc, v[208:209], v[210:211], v[208:209]
	v_fma_f64 v[214:215], -v[204:205], v[206:207], 1.0
	v_fmac_f64_e32 v[206:207], v[206:207], v[214:215]
	v_fma_f64 v[214:215], -v[204:205], v[206:207], 1.0
	v_fmac_f64_e32 v[206:207], v[206:207], v[214:215]
	v_mul_f64 v[214:215], v[212:213], v[206:207]
	v_fma_f64 v[204:205], -v[204:205], v[214:215], v[212:213]
	v_div_fmas_f64 v[204:205], v[204:205], v[206:207], v[214:215]
	v_div_fixup_f64 v[204:205], v[204:205], v[210:211], v[208:209]
	v_fmac_f64_e32 v[210:211], v[208:209], v[204:205]
	v_div_scale_f64 v[206:207], s[10:11], v[210:211], v[210:211], 1.0
	v_rcp_f64_e32 v[208:209], v[206:207]
	s_nop 0
	v_fma_f64 v[212:213], -v[206:207], v[208:209], 1.0
	v_fmac_f64_e32 v[208:209], v[208:209], v[212:213]
	v_fma_f64 v[212:213], -v[206:207], v[208:209], 1.0
	v_fmac_f64_e32 v[208:209], v[208:209], v[212:213]
	v_div_scale_f64 v[212:213], vcc, 1.0, v[210:211], 1.0
	v_mul_f64 v[214:215], v[212:213], v[208:209]
	v_fma_f64 v[206:207], -v[206:207], v[214:215], v[212:213]
	s_nop 1
	v_div_fmas_f64 v[206:207], v[206:207], v[208:209], v[214:215]
	v_div_fixup_f64 v[206:207], v[206:207], v[210:211], 1.0
	v_mul_f64 v[204:205], v[204:205], v[206:207]
	v_xor_b32_e32 v207, 0x80000000, v207
                                        ; implicit-def: $vgpr208_vgpr209
.LBB109_428:
	s_andn2_saveexec_b64 s[2:3], s[2:3]
	s_cbranch_execz .LBB109_430
; %bb.429:
	v_div_scale_f64 v[204:205], s[10:11], v[208:209], v[208:209], v[210:211]
	v_rcp_f64_e32 v[206:207], v[204:205]
	v_div_scale_f64 v[212:213], vcc, v[210:211], v[208:209], v[210:211]
	v_fma_f64 v[214:215], -v[204:205], v[206:207], 1.0
	v_fmac_f64_e32 v[206:207], v[206:207], v[214:215]
	v_fma_f64 v[214:215], -v[204:205], v[206:207], 1.0
	v_fmac_f64_e32 v[206:207], v[206:207], v[214:215]
	v_mul_f64 v[214:215], v[212:213], v[206:207]
	v_fma_f64 v[204:205], -v[204:205], v[214:215], v[212:213]
	v_div_fmas_f64 v[204:205], v[204:205], v[206:207], v[214:215]
	v_div_fixup_f64 v[206:207], v[204:205], v[208:209], v[210:211]
	v_fmac_f64_e32 v[208:209], v[210:211], v[206:207]
	v_div_scale_f64 v[204:205], s[10:11], v[208:209], v[208:209], 1.0
	v_rcp_f64_e32 v[210:211], v[204:205]
	s_nop 0
	v_fma_f64 v[212:213], -v[204:205], v[210:211], 1.0
	v_fmac_f64_e32 v[210:211], v[210:211], v[212:213]
	v_fma_f64 v[212:213], -v[204:205], v[210:211], 1.0
	v_fmac_f64_e32 v[210:211], v[210:211], v[212:213]
	v_div_scale_f64 v[212:213], vcc, 1.0, v[208:209], 1.0
	v_mul_f64 v[214:215], v[212:213], v[210:211]
	v_fma_f64 v[204:205], -v[204:205], v[214:215], v[212:213]
	s_nop 1
	v_div_fmas_f64 v[204:205], v[204:205], v[210:211], v[214:215]
	v_div_fixup_f64 v[204:205], v[204:205], v[208:209], 1.0
	v_mul_f64 v[206:207], v[206:207], -v[204:205]
.LBB109_430:
	s_or_b64 exec, exec, s[2:3]
	ds_write2_b64 v201, v[204:205], v[206:207] offset1:1
.LBB109_431:
	s_or_b64 exec, exec, s[4:5]
	s_waitcnt lgkmcnt(0)
	s_barrier
	ds_read2_b64 v[228:231], v201 offset1:1
	v_cmp_lt_u32_e32 vcc, 47, v200
	s_and_saveexec_b64 s[2:3], vcc
	s_cbranch_execz .LBB109_433
; %bb.432:
	ds_read2_b64 v[204:207], v202 offset0:96 offset1:97
	s_waitcnt lgkmcnt(1)
	v_mul_f64 v[208:209], v[228:229], v[26:27]
	v_fmac_f64_e32 v[208:209], v[230:231], v[24:25]
	v_mul_f64 v[26:27], v[230:231], v[26:27]
	v_fma_f64 v[24:25], v[228:229], v[24:25], -v[26:27]
	s_waitcnt lgkmcnt(0)
	v_mul_f64 v[26:27], v[206:207], v[208:209]
	v_fma_f64 v[26:27], v[204:205], v[24:25], -v[26:27]
	v_mul_f64 v[204:205], v[204:205], v[208:209]
	v_fmac_f64_e32 v[204:205], v[206:207], v[24:25]
	v_add_f64 v[22:23], v[22:23], -v[204:205]
	ds_read2_b64 v[204:207], v202 offset0:98 offset1:99
	v_add_f64 v[20:21], v[20:21], -v[26:27]
	s_waitcnt lgkmcnt(0)
	v_mul_f64 v[26:27], v[206:207], v[208:209]
	v_fma_f64 v[26:27], v[204:205], v[24:25], -v[26:27]
	v_mul_f64 v[204:205], v[204:205], v[208:209]
	v_fmac_f64_e32 v[204:205], v[206:207], v[24:25]
	v_add_f64 v[18:19], v[18:19], -v[204:205]
	ds_read2_b64 v[204:207], v202 offset0:100 offset1:101
	v_add_f64 v[16:17], v[16:17], -v[26:27]
	;; [unrolled: 8-line block ×5, first 2 shown]
	s_waitcnt lgkmcnt(0)
	v_mul_f64 v[26:27], v[206:207], v[208:209]
	v_fma_f64 v[26:27], v[204:205], v[24:25], -v[26:27]
	v_mul_f64 v[204:205], v[204:205], v[208:209]
	v_fmac_f64_e32 v[204:205], v[206:207], v[24:25]
	s_waitcnt vmcnt(62)
	v_add_f64 v[2:3], v[2:3], -v[204:205]
	ds_read2_b64 v[204:207], v202 offset0:108 offset1:109
	v_add_f64 v[0:1], v[0:1], -v[26:27]
	s_waitcnt lgkmcnt(0)
	v_mul_f64 v[26:27], v[206:207], v[208:209]
	v_fma_f64 v[26:27], v[204:205], v[24:25], -v[26:27]
	v_mul_f64 v[204:205], v[204:205], v[208:209]
	v_fmac_f64_e32 v[204:205], v[206:207], v[24:25]
	s_waitcnt vmcnt(59)
	v_add_f64 v[216:217], v[216:217], -v[26:27]
	v_add_f64 v[218:219], v[218:219], -v[204:205]
	v_mov_b64_e32 v[26:27], v[208:209]
.LBB109_433:
	s_or_b64 exec, exec, s[2:3]
	v_cmp_eq_u32_e32 vcc, 48, v200
	s_waitcnt lgkmcnt(0)
	s_barrier
	s_and_saveexec_b64 s[4:5], vcc
	s_cbranch_execz .LBB109_440
; %bb.434:
	ds_write2_b64 v201, v[20:21], v[22:23] offset1:1
	ds_write2_b64 v202, v[16:17], v[18:19] offset0:98 offset1:99
	ds_write2_b64 v202, v[12:13], v[14:15] offset0:100 offset1:101
	;; [unrolled: 1-line block ×4, first 2 shown]
	s_waitcnt vmcnt(62)
	ds_write2_b64 v202, v[0:1], v[2:3] offset0:106 offset1:107
	s_waitcnt vmcnt(59)
	ds_write2_b64 v202, v[216:217], v[218:219] offset0:108 offset1:109
	ds_read2_b64 v[208:211], v201 offset1:1
	s_waitcnt lgkmcnt(0)
	v_cmp_neq_f64_e32 vcc, 0, v[208:209]
	v_cmp_neq_f64_e64 s[2:3], 0, v[210:211]
	s_or_b64 s[2:3], vcc, s[2:3]
	s_and_b64 exec, exec, s[2:3]
	s_cbranch_execz .LBB109_440
; %bb.435:
	v_cmp_ngt_f64_e64 s[2:3], |v[208:209]|, |v[210:211]|
                                        ; implicit-def: $vgpr204_vgpr205
	s_and_saveexec_b64 s[10:11], s[2:3]
	s_xor_b64 s[2:3], exec, s[10:11]
                                        ; implicit-def: $vgpr206_vgpr207
	s_cbranch_execz .LBB109_437
; %bb.436:
	v_div_scale_f64 v[204:205], s[10:11], v[210:211], v[210:211], v[208:209]
	v_rcp_f64_e32 v[206:207], v[204:205]
	v_div_scale_f64 v[212:213], vcc, v[208:209], v[210:211], v[208:209]
	v_fma_f64 v[214:215], -v[204:205], v[206:207], 1.0
	v_fmac_f64_e32 v[206:207], v[206:207], v[214:215]
	v_fma_f64 v[214:215], -v[204:205], v[206:207], 1.0
	v_fmac_f64_e32 v[206:207], v[206:207], v[214:215]
	v_mul_f64 v[214:215], v[212:213], v[206:207]
	v_fma_f64 v[204:205], -v[204:205], v[214:215], v[212:213]
	v_div_fmas_f64 v[204:205], v[204:205], v[206:207], v[214:215]
	v_div_fixup_f64 v[204:205], v[204:205], v[210:211], v[208:209]
	v_fmac_f64_e32 v[210:211], v[208:209], v[204:205]
	v_div_scale_f64 v[206:207], s[10:11], v[210:211], v[210:211], 1.0
	v_rcp_f64_e32 v[208:209], v[206:207]
	s_nop 0
	v_fma_f64 v[212:213], -v[206:207], v[208:209], 1.0
	v_fmac_f64_e32 v[208:209], v[208:209], v[212:213]
	v_fma_f64 v[212:213], -v[206:207], v[208:209], 1.0
	v_fmac_f64_e32 v[208:209], v[208:209], v[212:213]
	v_div_scale_f64 v[212:213], vcc, 1.0, v[210:211], 1.0
	v_mul_f64 v[214:215], v[212:213], v[208:209]
	v_fma_f64 v[206:207], -v[206:207], v[214:215], v[212:213]
	s_nop 1
	v_div_fmas_f64 v[206:207], v[206:207], v[208:209], v[214:215]
	v_div_fixup_f64 v[206:207], v[206:207], v[210:211], 1.0
	v_mul_f64 v[204:205], v[204:205], v[206:207]
	v_xor_b32_e32 v207, 0x80000000, v207
                                        ; implicit-def: $vgpr208_vgpr209
.LBB109_437:
	s_andn2_saveexec_b64 s[2:3], s[2:3]
	s_cbranch_execz .LBB109_439
; %bb.438:
	v_div_scale_f64 v[204:205], s[10:11], v[208:209], v[208:209], v[210:211]
	v_rcp_f64_e32 v[206:207], v[204:205]
	v_div_scale_f64 v[212:213], vcc, v[210:211], v[208:209], v[210:211]
	v_fma_f64 v[214:215], -v[204:205], v[206:207], 1.0
	v_fmac_f64_e32 v[206:207], v[206:207], v[214:215]
	v_fma_f64 v[214:215], -v[204:205], v[206:207], 1.0
	v_fmac_f64_e32 v[206:207], v[206:207], v[214:215]
	v_mul_f64 v[214:215], v[212:213], v[206:207]
	v_fma_f64 v[204:205], -v[204:205], v[214:215], v[212:213]
	v_div_fmas_f64 v[204:205], v[204:205], v[206:207], v[214:215]
	v_div_fixup_f64 v[206:207], v[204:205], v[208:209], v[210:211]
	v_fmac_f64_e32 v[208:209], v[210:211], v[206:207]
	v_div_scale_f64 v[204:205], s[10:11], v[208:209], v[208:209], 1.0
	v_rcp_f64_e32 v[210:211], v[204:205]
	s_nop 0
	v_fma_f64 v[212:213], -v[204:205], v[210:211], 1.0
	v_fmac_f64_e32 v[210:211], v[210:211], v[212:213]
	v_fma_f64 v[212:213], -v[204:205], v[210:211], 1.0
	v_fmac_f64_e32 v[210:211], v[210:211], v[212:213]
	v_div_scale_f64 v[212:213], vcc, 1.0, v[208:209], 1.0
	v_mul_f64 v[214:215], v[212:213], v[210:211]
	v_fma_f64 v[204:205], -v[204:205], v[214:215], v[212:213]
	s_nop 1
	v_div_fmas_f64 v[204:205], v[204:205], v[210:211], v[214:215]
	v_div_fixup_f64 v[204:205], v[204:205], v[208:209], 1.0
	v_mul_f64 v[206:207], v[206:207], -v[204:205]
.LBB109_439:
	s_or_b64 exec, exec, s[2:3]
	ds_write2_b64 v201, v[204:205], v[206:207] offset1:1
.LBB109_440:
	s_or_b64 exec, exec, s[4:5]
	s_waitcnt lgkmcnt(0)
	s_barrier
	ds_read2_b64 v[232:235], v201 offset1:1
	v_cmp_lt_u32_e32 vcc, 48, v200
	s_and_saveexec_b64 s[2:3], vcc
	s_cbranch_execz .LBB109_442
; %bb.441:
	ds_read2_b64 v[204:207], v202 offset0:98 offset1:99
	s_waitcnt lgkmcnt(1)
	v_mul_f64 v[208:209], v[232:233], v[22:23]
	v_fmac_f64_e32 v[208:209], v[234:235], v[20:21]
	v_mul_f64 v[22:23], v[234:235], v[22:23]
	v_fma_f64 v[20:21], v[232:233], v[20:21], -v[22:23]
	s_waitcnt lgkmcnt(0)
	v_mul_f64 v[22:23], v[206:207], v[208:209]
	v_fma_f64 v[22:23], v[204:205], v[20:21], -v[22:23]
	v_mul_f64 v[204:205], v[204:205], v[208:209]
	v_fmac_f64_e32 v[204:205], v[206:207], v[20:21]
	v_add_f64 v[18:19], v[18:19], -v[204:205]
	ds_read2_b64 v[204:207], v202 offset0:100 offset1:101
	v_add_f64 v[16:17], v[16:17], -v[22:23]
	s_waitcnt lgkmcnt(0)
	v_mul_f64 v[22:23], v[206:207], v[208:209]
	v_fma_f64 v[22:23], v[204:205], v[20:21], -v[22:23]
	v_mul_f64 v[204:205], v[204:205], v[208:209]
	v_fmac_f64_e32 v[204:205], v[206:207], v[20:21]
	v_add_f64 v[14:15], v[14:15], -v[204:205]
	ds_read2_b64 v[204:207], v202 offset0:102 offset1:103
	v_add_f64 v[12:13], v[12:13], -v[22:23]
	;; [unrolled: 8-line block ×4, first 2 shown]
	s_waitcnt lgkmcnt(0)
	v_mul_f64 v[22:23], v[206:207], v[208:209]
	v_fma_f64 v[22:23], v[204:205], v[20:21], -v[22:23]
	v_mul_f64 v[204:205], v[204:205], v[208:209]
	v_fmac_f64_e32 v[204:205], v[206:207], v[20:21]
	s_waitcnt vmcnt(62)
	v_add_f64 v[2:3], v[2:3], -v[204:205]
	ds_read2_b64 v[204:207], v202 offset0:108 offset1:109
	v_add_f64 v[0:1], v[0:1], -v[22:23]
	s_waitcnt lgkmcnt(0)
	v_mul_f64 v[22:23], v[206:207], v[208:209]
	v_fma_f64 v[22:23], v[204:205], v[20:21], -v[22:23]
	v_mul_f64 v[204:205], v[204:205], v[208:209]
	v_fmac_f64_e32 v[204:205], v[206:207], v[20:21]
	s_waitcnt vmcnt(59)
	v_add_f64 v[216:217], v[216:217], -v[22:23]
	v_add_f64 v[218:219], v[218:219], -v[204:205]
	v_mov_b64_e32 v[22:23], v[208:209]
.LBB109_442:
	s_or_b64 exec, exec, s[2:3]
	v_cmp_eq_u32_e32 vcc, 49, v200
	s_waitcnt lgkmcnt(0)
	s_barrier
	s_and_saveexec_b64 s[4:5], vcc
	s_cbranch_execz .LBB109_449
; %bb.443:
	ds_write2_b64 v201, v[16:17], v[18:19] offset1:1
	ds_write2_b64 v202, v[12:13], v[14:15] offset0:100 offset1:101
	ds_write2_b64 v202, v[8:9], v[10:11] offset0:102 offset1:103
	;; [unrolled: 1-line block ×3, first 2 shown]
	s_waitcnt vmcnt(62)
	ds_write2_b64 v202, v[0:1], v[2:3] offset0:106 offset1:107
	s_waitcnt vmcnt(59)
	ds_write2_b64 v202, v[216:217], v[218:219] offset0:108 offset1:109
	ds_read2_b64 v[208:211], v201 offset1:1
	s_waitcnt lgkmcnt(0)
	v_cmp_neq_f64_e32 vcc, 0, v[208:209]
	v_cmp_neq_f64_e64 s[2:3], 0, v[210:211]
	s_or_b64 s[2:3], vcc, s[2:3]
	s_and_b64 exec, exec, s[2:3]
	s_cbranch_execz .LBB109_449
; %bb.444:
	v_cmp_ngt_f64_e64 s[2:3], |v[208:209]|, |v[210:211]|
                                        ; implicit-def: $vgpr204_vgpr205
	s_and_saveexec_b64 s[10:11], s[2:3]
	s_xor_b64 s[2:3], exec, s[10:11]
                                        ; implicit-def: $vgpr206_vgpr207
	s_cbranch_execz .LBB109_446
; %bb.445:
	v_div_scale_f64 v[204:205], s[10:11], v[210:211], v[210:211], v[208:209]
	v_rcp_f64_e32 v[206:207], v[204:205]
	v_div_scale_f64 v[212:213], vcc, v[208:209], v[210:211], v[208:209]
	v_fma_f64 v[214:215], -v[204:205], v[206:207], 1.0
	v_fmac_f64_e32 v[206:207], v[206:207], v[214:215]
	v_fma_f64 v[214:215], -v[204:205], v[206:207], 1.0
	v_fmac_f64_e32 v[206:207], v[206:207], v[214:215]
	v_mul_f64 v[214:215], v[212:213], v[206:207]
	v_fma_f64 v[204:205], -v[204:205], v[214:215], v[212:213]
	v_div_fmas_f64 v[204:205], v[204:205], v[206:207], v[214:215]
	v_div_fixup_f64 v[204:205], v[204:205], v[210:211], v[208:209]
	v_fmac_f64_e32 v[210:211], v[208:209], v[204:205]
	v_div_scale_f64 v[206:207], s[10:11], v[210:211], v[210:211], 1.0
	v_rcp_f64_e32 v[208:209], v[206:207]
	s_nop 0
	v_fma_f64 v[212:213], -v[206:207], v[208:209], 1.0
	v_fmac_f64_e32 v[208:209], v[208:209], v[212:213]
	v_fma_f64 v[212:213], -v[206:207], v[208:209], 1.0
	v_fmac_f64_e32 v[208:209], v[208:209], v[212:213]
	v_div_scale_f64 v[212:213], vcc, 1.0, v[210:211], 1.0
	v_mul_f64 v[214:215], v[212:213], v[208:209]
	v_fma_f64 v[206:207], -v[206:207], v[214:215], v[212:213]
	s_nop 1
	v_div_fmas_f64 v[206:207], v[206:207], v[208:209], v[214:215]
	v_div_fixup_f64 v[206:207], v[206:207], v[210:211], 1.0
	v_mul_f64 v[204:205], v[204:205], v[206:207]
	v_xor_b32_e32 v207, 0x80000000, v207
                                        ; implicit-def: $vgpr208_vgpr209
.LBB109_446:
	s_andn2_saveexec_b64 s[2:3], s[2:3]
	s_cbranch_execz .LBB109_448
; %bb.447:
	v_div_scale_f64 v[204:205], s[10:11], v[208:209], v[208:209], v[210:211]
	v_rcp_f64_e32 v[206:207], v[204:205]
	v_div_scale_f64 v[212:213], vcc, v[210:211], v[208:209], v[210:211]
	v_fma_f64 v[214:215], -v[204:205], v[206:207], 1.0
	v_fmac_f64_e32 v[206:207], v[206:207], v[214:215]
	v_fma_f64 v[214:215], -v[204:205], v[206:207], 1.0
	v_fmac_f64_e32 v[206:207], v[206:207], v[214:215]
	v_mul_f64 v[214:215], v[212:213], v[206:207]
	v_fma_f64 v[204:205], -v[204:205], v[214:215], v[212:213]
	v_div_fmas_f64 v[204:205], v[204:205], v[206:207], v[214:215]
	v_div_fixup_f64 v[206:207], v[204:205], v[208:209], v[210:211]
	v_fmac_f64_e32 v[208:209], v[210:211], v[206:207]
	v_div_scale_f64 v[204:205], s[10:11], v[208:209], v[208:209], 1.0
	v_rcp_f64_e32 v[210:211], v[204:205]
	s_nop 0
	v_fma_f64 v[212:213], -v[204:205], v[210:211], 1.0
	v_fmac_f64_e32 v[210:211], v[210:211], v[212:213]
	v_fma_f64 v[212:213], -v[204:205], v[210:211], 1.0
	v_fmac_f64_e32 v[210:211], v[210:211], v[212:213]
	v_div_scale_f64 v[212:213], vcc, 1.0, v[208:209], 1.0
	v_mul_f64 v[214:215], v[212:213], v[210:211]
	v_fma_f64 v[204:205], -v[204:205], v[214:215], v[212:213]
	s_nop 1
	v_div_fmas_f64 v[204:205], v[204:205], v[210:211], v[214:215]
	v_div_fixup_f64 v[204:205], v[204:205], v[208:209], 1.0
	v_mul_f64 v[206:207], v[206:207], -v[204:205]
.LBB109_448:
	s_or_b64 exec, exec, s[2:3]
	ds_write2_b64 v201, v[204:205], v[206:207] offset1:1
.LBB109_449:
	s_or_b64 exec, exec, s[4:5]
	s_waitcnt lgkmcnt(0)
	s_barrier
	ds_read2_b64 v[236:239], v201 offset1:1
	v_cmp_lt_u32_e32 vcc, 49, v200
	s_and_saveexec_b64 s[2:3], vcc
	s_cbranch_execz .LBB109_451
; %bb.450:
	ds_read2_b64 v[204:207], v202 offset0:100 offset1:101
	s_waitcnt lgkmcnt(1)
	v_mul_f64 v[208:209], v[236:237], v[18:19]
	v_fmac_f64_e32 v[208:209], v[238:239], v[16:17]
	v_mul_f64 v[18:19], v[238:239], v[18:19]
	v_fma_f64 v[16:17], v[236:237], v[16:17], -v[18:19]
	s_waitcnt lgkmcnt(0)
	v_mul_f64 v[18:19], v[206:207], v[208:209]
	v_fma_f64 v[18:19], v[204:205], v[16:17], -v[18:19]
	v_mul_f64 v[204:205], v[204:205], v[208:209]
	v_fmac_f64_e32 v[204:205], v[206:207], v[16:17]
	v_add_f64 v[14:15], v[14:15], -v[204:205]
	ds_read2_b64 v[204:207], v202 offset0:102 offset1:103
	v_add_f64 v[12:13], v[12:13], -v[18:19]
	s_waitcnt lgkmcnt(0)
	v_mul_f64 v[18:19], v[206:207], v[208:209]
	v_fma_f64 v[18:19], v[204:205], v[16:17], -v[18:19]
	v_mul_f64 v[204:205], v[204:205], v[208:209]
	v_fmac_f64_e32 v[204:205], v[206:207], v[16:17]
	v_add_f64 v[10:11], v[10:11], -v[204:205]
	ds_read2_b64 v[204:207], v202 offset0:104 offset1:105
	v_add_f64 v[8:9], v[8:9], -v[18:19]
	s_waitcnt lgkmcnt(0)
	v_mul_f64 v[18:19], v[206:207], v[208:209]
	v_fma_f64 v[18:19], v[204:205], v[16:17], -v[18:19]
	v_mul_f64 v[204:205], v[204:205], v[208:209]
	v_fmac_f64_e32 v[204:205], v[206:207], v[16:17]
	v_add_f64 v[6:7], v[6:7], -v[204:205]
	ds_read2_b64 v[204:207], v202 offset0:106 offset1:107
	v_add_f64 v[4:5], v[4:5], -v[18:19]
	s_waitcnt lgkmcnt(0)
	v_mul_f64 v[18:19], v[206:207], v[208:209]
	v_fma_f64 v[18:19], v[204:205], v[16:17], -v[18:19]
	v_mul_f64 v[204:205], v[204:205], v[208:209]
	v_fmac_f64_e32 v[204:205], v[206:207], v[16:17]
	s_waitcnt vmcnt(62)
	v_add_f64 v[2:3], v[2:3], -v[204:205]
	ds_read2_b64 v[204:207], v202 offset0:108 offset1:109
	v_add_f64 v[0:1], v[0:1], -v[18:19]
	s_waitcnt lgkmcnt(0)
	v_mul_f64 v[18:19], v[206:207], v[208:209]
	v_fma_f64 v[18:19], v[204:205], v[16:17], -v[18:19]
	v_mul_f64 v[204:205], v[204:205], v[208:209]
	v_fmac_f64_e32 v[204:205], v[206:207], v[16:17]
	s_waitcnt vmcnt(59)
	v_add_f64 v[216:217], v[216:217], -v[18:19]
	v_add_f64 v[218:219], v[218:219], -v[204:205]
	v_mov_b64_e32 v[18:19], v[208:209]
.LBB109_451:
	s_or_b64 exec, exec, s[2:3]
	v_cmp_eq_u32_e32 vcc, 50, v200
	s_waitcnt lgkmcnt(0)
	s_barrier
	s_and_saveexec_b64 s[4:5], vcc
	s_cbranch_execz .LBB109_458
; %bb.452:
	ds_write2_b64 v201, v[12:13], v[14:15] offset1:1
	ds_write2_b64 v202, v[8:9], v[10:11] offset0:102 offset1:103
	ds_write2_b64 v202, v[4:5], v[6:7] offset0:104 offset1:105
	s_waitcnt vmcnt(62)
	ds_write2_b64 v202, v[0:1], v[2:3] offset0:106 offset1:107
	s_waitcnt vmcnt(59)
	ds_write2_b64 v202, v[216:217], v[218:219] offset0:108 offset1:109
	ds_read2_b64 v[208:211], v201 offset1:1
	s_waitcnt lgkmcnt(0)
	v_cmp_neq_f64_e32 vcc, 0, v[208:209]
	v_cmp_neq_f64_e64 s[2:3], 0, v[210:211]
	s_or_b64 s[2:3], vcc, s[2:3]
	s_and_b64 exec, exec, s[2:3]
	s_cbranch_execz .LBB109_458
; %bb.453:
	v_cmp_ngt_f64_e64 s[2:3], |v[208:209]|, |v[210:211]|
                                        ; implicit-def: $vgpr204_vgpr205
	s_and_saveexec_b64 s[10:11], s[2:3]
	s_xor_b64 s[2:3], exec, s[10:11]
                                        ; implicit-def: $vgpr206_vgpr207
	s_cbranch_execz .LBB109_455
; %bb.454:
	v_div_scale_f64 v[204:205], s[10:11], v[210:211], v[210:211], v[208:209]
	v_rcp_f64_e32 v[206:207], v[204:205]
	v_div_scale_f64 v[212:213], vcc, v[208:209], v[210:211], v[208:209]
	v_fma_f64 v[214:215], -v[204:205], v[206:207], 1.0
	v_fmac_f64_e32 v[206:207], v[206:207], v[214:215]
	v_fma_f64 v[214:215], -v[204:205], v[206:207], 1.0
	v_fmac_f64_e32 v[206:207], v[206:207], v[214:215]
	v_mul_f64 v[214:215], v[212:213], v[206:207]
	v_fma_f64 v[204:205], -v[204:205], v[214:215], v[212:213]
	v_div_fmas_f64 v[204:205], v[204:205], v[206:207], v[214:215]
	v_div_fixup_f64 v[204:205], v[204:205], v[210:211], v[208:209]
	v_fmac_f64_e32 v[210:211], v[208:209], v[204:205]
	v_div_scale_f64 v[206:207], s[10:11], v[210:211], v[210:211], 1.0
	v_rcp_f64_e32 v[208:209], v[206:207]
	s_nop 0
	v_fma_f64 v[212:213], -v[206:207], v[208:209], 1.0
	v_fmac_f64_e32 v[208:209], v[208:209], v[212:213]
	v_fma_f64 v[212:213], -v[206:207], v[208:209], 1.0
	v_fmac_f64_e32 v[208:209], v[208:209], v[212:213]
	v_div_scale_f64 v[212:213], vcc, 1.0, v[210:211], 1.0
	v_mul_f64 v[214:215], v[212:213], v[208:209]
	v_fma_f64 v[206:207], -v[206:207], v[214:215], v[212:213]
	s_nop 1
	v_div_fmas_f64 v[206:207], v[206:207], v[208:209], v[214:215]
	v_div_fixup_f64 v[206:207], v[206:207], v[210:211], 1.0
	v_mul_f64 v[204:205], v[204:205], v[206:207]
	v_xor_b32_e32 v207, 0x80000000, v207
                                        ; implicit-def: $vgpr208_vgpr209
.LBB109_455:
	s_andn2_saveexec_b64 s[2:3], s[2:3]
	s_cbranch_execz .LBB109_457
; %bb.456:
	v_div_scale_f64 v[204:205], s[10:11], v[208:209], v[208:209], v[210:211]
	v_rcp_f64_e32 v[206:207], v[204:205]
	v_div_scale_f64 v[212:213], vcc, v[210:211], v[208:209], v[210:211]
	v_fma_f64 v[214:215], -v[204:205], v[206:207], 1.0
	v_fmac_f64_e32 v[206:207], v[206:207], v[214:215]
	v_fma_f64 v[214:215], -v[204:205], v[206:207], 1.0
	v_fmac_f64_e32 v[206:207], v[206:207], v[214:215]
	v_mul_f64 v[214:215], v[212:213], v[206:207]
	v_fma_f64 v[204:205], -v[204:205], v[214:215], v[212:213]
	v_div_fmas_f64 v[204:205], v[204:205], v[206:207], v[214:215]
	v_div_fixup_f64 v[206:207], v[204:205], v[208:209], v[210:211]
	v_fmac_f64_e32 v[208:209], v[210:211], v[206:207]
	v_div_scale_f64 v[204:205], s[10:11], v[208:209], v[208:209], 1.0
	v_rcp_f64_e32 v[210:211], v[204:205]
	s_nop 0
	v_fma_f64 v[212:213], -v[204:205], v[210:211], 1.0
	v_fmac_f64_e32 v[210:211], v[210:211], v[212:213]
	v_fma_f64 v[212:213], -v[204:205], v[210:211], 1.0
	v_fmac_f64_e32 v[210:211], v[210:211], v[212:213]
	v_div_scale_f64 v[212:213], vcc, 1.0, v[208:209], 1.0
	v_mul_f64 v[214:215], v[212:213], v[210:211]
	v_fma_f64 v[204:205], -v[204:205], v[214:215], v[212:213]
	s_nop 1
	v_div_fmas_f64 v[204:205], v[204:205], v[210:211], v[214:215]
	v_div_fixup_f64 v[204:205], v[204:205], v[208:209], 1.0
	v_mul_f64 v[206:207], v[206:207], -v[204:205]
.LBB109_457:
	s_or_b64 exec, exec, s[2:3]
	ds_write2_b64 v201, v[204:205], v[206:207] offset1:1
.LBB109_458:
	s_or_b64 exec, exec, s[4:5]
	s_waitcnt lgkmcnt(0)
	s_barrier
	ds_read2_b64 v[240:243], v201 offset1:1
	v_cmp_lt_u32_e32 vcc, 50, v200
	s_and_saveexec_b64 s[2:3], vcc
	s_cbranch_execz .LBB109_460
; %bb.459:
	ds_read2_b64 v[204:207], v202 offset0:102 offset1:103
	s_waitcnt lgkmcnt(1)
	v_mul_f64 v[208:209], v[240:241], v[14:15]
	v_fmac_f64_e32 v[208:209], v[242:243], v[12:13]
	v_mul_f64 v[14:15], v[242:243], v[14:15]
	v_fma_f64 v[12:13], v[240:241], v[12:13], -v[14:15]
	s_waitcnt lgkmcnt(0)
	v_mul_f64 v[14:15], v[206:207], v[208:209]
	v_fma_f64 v[14:15], v[204:205], v[12:13], -v[14:15]
	v_mul_f64 v[204:205], v[204:205], v[208:209]
	v_fmac_f64_e32 v[204:205], v[206:207], v[12:13]
	v_add_f64 v[10:11], v[10:11], -v[204:205]
	ds_read2_b64 v[204:207], v202 offset0:104 offset1:105
	v_add_f64 v[8:9], v[8:9], -v[14:15]
	s_waitcnt lgkmcnt(0)
	v_mul_f64 v[14:15], v[206:207], v[208:209]
	v_fma_f64 v[14:15], v[204:205], v[12:13], -v[14:15]
	v_mul_f64 v[204:205], v[204:205], v[208:209]
	v_fmac_f64_e32 v[204:205], v[206:207], v[12:13]
	v_add_f64 v[6:7], v[6:7], -v[204:205]
	ds_read2_b64 v[204:207], v202 offset0:106 offset1:107
	v_add_f64 v[4:5], v[4:5], -v[14:15]
	s_waitcnt lgkmcnt(0)
	v_mul_f64 v[14:15], v[206:207], v[208:209]
	v_fma_f64 v[14:15], v[204:205], v[12:13], -v[14:15]
	v_mul_f64 v[204:205], v[204:205], v[208:209]
	v_fmac_f64_e32 v[204:205], v[206:207], v[12:13]
	s_waitcnt vmcnt(62)
	v_add_f64 v[2:3], v[2:3], -v[204:205]
	ds_read2_b64 v[204:207], v202 offset0:108 offset1:109
	v_add_f64 v[0:1], v[0:1], -v[14:15]
	s_waitcnt lgkmcnt(0)
	v_mul_f64 v[14:15], v[206:207], v[208:209]
	v_fma_f64 v[14:15], v[204:205], v[12:13], -v[14:15]
	v_mul_f64 v[204:205], v[204:205], v[208:209]
	v_fmac_f64_e32 v[204:205], v[206:207], v[12:13]
	s_waitcnt vmcnt(59)
	v_add_f64 v[216:217], v[216:217], -v[14:15]
	v_add_f64 v[218:219], v[218:219], -v[204:205]
	v_mov_b64_e32 v[14:15], v[208:209]
.LBB109_460:
	s_or_b64 exec, exec, s[2:3]
	v_cmp_eq_u32_e32 vcc, 51, v200
	s_waitcnt lgkmcnt(0)
	s_barrier
	s_and_saveexec_b64 s[4:5], vcc
	s_cbranch_execz .LBB109_467
; %bb.461:
	ds_write2_b64 v201, v[8:9], v[10:11] offset1:1
	ds_write2_b64 v202, v[4:5], v[6:7] offset0:104 offset1:105
	s_waitcnt vmcnt(62)
	ds_write2_b64 v202, v[0:1], v[2:3] offset0:106 offset1:107
	s_waitcnt vmcnt(59)
	ds_write2_b64 v202, v[216:217], v[218:219] offset0:108 offset1:109
	ds_read2_b64 v[208:211], v201 offset1:1
	s_waitcnt lgkmcnt(0)
	v_cmp_neq_f64_e32 vcc, 0, v[208:209]
	v_cmp_neq_f64_e64 s[2:3], 0, v[210:211]
	s_or_b64 s[2:3], vcc, s[2:3]
	s_and_b64 exec, exec, s[2:3]
	s_cbranch_execz .LBB109_467
; %bb.462:
	v_cmp_ngt_f64_e64 s[2:3], |v[208:209]|, |v[210:211]|
                                        ; implicit-def: $vgpr204_vgpr205
	s_and_saveexec_b64 s[10:11], s[2:3]
	s_xor_b64 s[2:3], exec, s[10:11]
                                        ; implicit-def: $vgpr206_vgpr207
	s_cbranch_execz .LBB109_464
; %bb.463:
	v_div_scale_f64 v[204:205], s[10:11], v[210:211], v[210:211], v[208:209]
	v_rcp_f64_e32 v[206:207], v[204:205]
	v_div_scale_f64 v[212:213], vcc, v[208:209], v[210:211], v[208:209]
	v_fma_f64 v[214:215], -v[204:205], v[206:207], 1.0
	v_fmac_f64_e32 v[206:207], v[206:207], v[214:215]
	v_fma_f64 v[214:215], -v[204:205], v[206:207], 1.0
	v_fmac_f64_e32 v[206:207], v[206:207], v[214:215]
	v_mul_f64 v[214:215], v[212:213], v[206:207]
	v_fma_f64 v[204:205], -v[204:205], v[214:215], v[212:213]
	v_div_fmas_f64 v[204:205], v[204:205], v[206:207], v[214:215]
	v_div_fixup_f64 v[204:205], v[204:205], v[210:211], v[208:209]
	v_fmac_f64_e32 v[210:211], v[208:209], v[204:205]
	v_div_scale_f64 v[206:207], s[10:11], v[210:211], v[210:211], 1.0
	v_rcp_f64_e32 v[208:209], v[206:207]
	s_nop 0
	v_fma_f64 v[212:213], -v[206:207], v[208:209], 1.0
	v_fmac_f64_e32 v[208:209], v[208:209], v[212:213]
	v_fma_f64 v[212:213], -v[206:207], v[208:209], 1.0
	v_fmac_f64_e32 v[208:209], v[208:209], v[212:213]
	v_div_scale_f64 v[212:213], vcc, 1.0, v[210:211], 1.0
	v_mul_f64 v[214:215], v[212:213], v[208:209]
	v_fma_f64 v[206:207], -v[206:207], v[214:215], v[212:213]
	s_nop 1
	v_div_fmas_f64 v[206:207], v[206:207], v[208:209], v[214:215]
	v_div_fixup_f64 v[206:207], v[206:207], v[210:211], 1.0
	v_mul_f64 v[204:205], v[204:205], v[206:207]
	v_xor_b32_e32 v207, 0x80000000, v207
                                        ; implicit-def: $vgpr208_vgpr209
.LBB109_464:
	s_andn2_saveexec_b64 s[2:3], s[2:3]
	s_cbranch_execz .LBB109_466
; %bb.465:
	v_div_scale_f64 v[204:205], s[10:11], v[208:209], v[208:209], v[210:211]
	v_rcp_f64_e32 v[206:207], v[204:205]
	v_div_scale_f64 v[212:213], vcc, v[210:211], v[208:209], v[210:211]
	v_fma_f64 v[214:215], -v[204:205], v[206:207], 1.0
	v_fmac_f64_e32 v[206:207], v[206:207], v[214:215]
	v_fma_f64 v[214:215], -v[204:205], v[206:207], 1.0
	v_fmac_f64_e32 v[206:207], v[206:207], v[214:215]
	v_mul_f64 v[214:215], v[212:213], v[206:207]
	v_fma_f64 v[204:205], -v[204:205], v[214:215], v[212:213]
	v_div_fmas_f64 v[204:205], v[204:205], v[206:207], v[214:215]
	v_div_fixup_f64 v[206:207], v[204:205], v[208:209], v[210:211]
	v_fmac_f64_e32 v[208:209], v[210:211], v[206:207]
	v_div_scale_f64 v[204:205], s[10:11], v[208:209], v[208:209], 1.0
	v_rcp_f64_e32 v[210:211], v[204:205]
	s_nop 0
	v_fma_f64 v[212:213], -v[204:205], v[210:211], 1.0
	v_fmac_f64_e32 v[210:211], v[210:211], v[212:213]
	v_fma_f64 v[212:213], -v[204:205], v[210:211], 1.0
	v_fmac_f64_e32 v[210:211], v[210:211], v[212:213]
	v_div_scale_f64 v[212:213], vcc, 1.0, v[208:209], 1.0
	v_mul_f64 v[214:215], v[212:213], v[210:211]
	v_fma_f64 v[204:205], -v[204:205], v[214:215], v[212:213]
	s_nop 1
	v_div_fmas_f64 v[204:205], v[204:205], v[210:211], v[214:215]
	v_div_fixup_f64 v[204:205], v[204:205], v[208:209], 1.0
	v_mul_f64 v[206:207], v[206:207], -v[204:205]
.LBB109_466:
	s_or_b64 exec, exec, s[2:3]
	ds_write2_b64 v201, v[204:205], v[206:207] offset1:1
.LBB109_467:
	s_or_b64 exec, exec, s[4:5]
	s_waitcnt lgkmcnt(0)
	s_barrier
	ds_read2_b64 v[244:247], v201 offset1:1
	v_cmp_lt_u32_e32 vcc, 51, v200
	s_and_saveexec_b64 s[2:3], vcc
	s_cbranch_execz .LBB109_469
; %bb.468:
	ds_read2_b64 v[204:207], v202 offset0:104 offset1:105
	s_waitcnt lgkmcnt(1)
	v_mul_f64 v[208:209], v[244:245], v[10:11]
	v_fmac_f64_e32 v[208:209], v[246:247], v[8:9]
	v_mul_f64 v[10:11], v[246:247], v[10:11]
	v_fma_f64 v[8:9], v[244:245], v[8:9], -v[10:11]
	s_waitcnt lgkmcnt(0)
	v_mul_f64 v[10:11], v[206:207], v[208:209]
	v_fma_f64 v[10:11], v[204:205], v[8:9], -v[10:11]
	v_mul_f64 v[204:205], v[204:205], v[208:209]
	v_fmac_f64_e32 v[204:205], v[206:207], v[8:9]
	v_add_f64 v[6:7], v[6:7], -v[204:205]
	ds_read2_b64 v[204:207], v202 offset0:106 offset1:107
	v_add_f64 v[4:5], v[4:5], -v[10:11]
	s_waitcnt lgkmcnt(0)
	v_mul_f64 v[10:11], v[206:207], v[208:209]
	v_fma_f64 v[10:11], v[204:205], v[8:9], -v[10:11]
	v_mul_f64 v[204:205], v[204:205], v[208:209]
	v_fmac_f64_e32 v[204:205], v[206:207], v[8:9]
	s_waitcnt vmcnt(62)
	v_add_f64 v[2:3], v[2:3], -v[204:205]
	ds_read2_b64 v[204:207], v202 offset0:108 offset1:109
	v_add_f64 v[0:1], v[0:1], -v[10:11]
	s_waitcnt lgkmcnt(0)
	v_mul_f64 v[10:11], v[206:207], v[208:209]
	v_fma_f64 v[10:11], v[204:205], v[8:9], -v[10:11]
	v_mul_f64 v[204:205], v[204:205], v[208:209]
	v_fmac_f64_e32 v[204:205], v[206:207], v[8:9]
	s_waitcnt vmcnt(59)
	v_add_f64 v[216:217], v[216:217], -v[10:11]
	v_add_f64 v[218:219], v[218:219], -v[204:205]
	v_mov_b64_e32 v[10:11], v[208:209]
.LBB109_469:
	s_or_b64 exec, exec, s[2:3]
	v_cmp_eq_u32_e32 vcc, 52, v200
	s_waitcnt lgkmcnt(0)
	s_barrier
	s_and_saveexec_b64 s[4:5], vcc
	s_cbranch_execz .LBB109_476
; %bb.470:
	ds_write2_b64 v201, v[4:5], v[6:7] offset1:1
	s_waitcnt vmcnt(62)
	ds_write2_b64 v202, v[0:1], v[2:3] offset0:106 offset1:107
	s_waitcnt vmcnt(59)
	ds_write2_b64 v202, v[216:217], v[218:219] offset0:108 offset1:109
	ds_read2_b64 v[208:211], v201 offset1:1
	s_waitcnt lgkmcnt(0)
	v_cmp_neq_f64_e32 vcc, 0, v[208:209]
	v_cmp_neq_f64_e64 s[2:3], 0, v[210:211]
	s_or_b64 s[2:3], vcc, s[2:3]
	s_and_b64 exec, exec, s[2:3]
	s_cbranch_execz .LBB109_476
; %bb.471:
	v_cmp_ngt_f64_e64 s[2:3], |v[208:209]|, |v[210:211]|
                                        ; implicit-def: $vgpr204_vgpr205
	s_and_saveexec_b64 s[10:11], s[2:3]
	s_xor_b64 s[2:3], exec, s[10:11]
                                        ; implicit-def: $vgpr206_vgpr207
	s_cbranch_execz .LBB109_473
; %bb.472:
	v_div_scale_f64 v[204:205], s[10:11], v[210:211], v[210:211], v[208:209]
	v_rcp_f64_e32 v[206:207], v[204:205]
	v_div_scale_f64 v[212:213], vcc, v[208:209], v[210:211], v[208:209]
	v_fma_f64 v[214:215], -v[204:205], v[206:207], 1.0
	v_fmac_f64_e32 v[206:207], v[206:207], v[214:215]
	v_fma_f64 v[214:215], -v[204:205], v[206:207], 1.0
	v_fmac_f64_e32 v[206:207], v[206:207], v[214:215]
	v_mul_f64 v[214:215], v[212:213], v[206:207]
	v_fma_f64 v[204:205], -v[204:205], v[214:215], v[212:213]
	v_div_fmas_f64 v[204:205], v[204:205], v[206:207], v[214:215]
	v_div_fixup_f64 v[204:205], v[204:205], v[210:211], v[208:209]
	v_fmac_f64_e32 v[210:211], v[208:209], v[204:205]
	v_div_scale_f64 v[206:207], s[10:11], v[210:211], v[210:211], 1.0
	v_rcp_f64_e32 v[208:209], v[206:207]
	s_nop 0
	v_fma_f64 v[212:213], -v[206:207], v[208:209], 1.0
	v_fmac_f64_e32 v[208:209], v[208:209], v[212:213]
	v_fma_f64 v[212:213], -v[206:207], v[208:209], 1.0
	v_fmac_f64_e32 v[208:209], v[208:209], v[212:213]
	v_div_scale_f64 v[212:213], vcc, 1.0, v[210:211], 1.0
	v_mul_f64 v[214:215], v[212:213], v[208:209]
	v_fma_f64 v[206:207], -v[206:207], v[214:215], v[212:213]
	s_nop 1
	v_div_fmas_f64 v[206:207], v[206:207], v[208:209], v[214:215]
	v_div_fixup_f64 v[206:207], v[206:207], v[210:211], 1.0
	v_mul_f64 v[204:205], v[204:205], v[206:207]
	v_xor_b32_e32 v207, 0x80000000, v207
                                        ; implicit-def: $vgpr208_vgpr209
.LBB109_473:
	s_andn2_saveexec_b64 s[2:3], s[2:3]
	s_cbranch_execz .LBB109_475
; %bb.474:
	v_div_scale_f64 v[204:205], s[10:11], v[208:209], v[208:209], v[210:211]
	v_rcp_f64_e32 v[206:207], v[204:205]
	v_div_scale_f64 v[212:213], vcc, v[210:211], v[208:209], v[210:211]
	v_fma_f64 v[214:215], -v[204:205], v[206:207], 1.0
	v_fmac_f64_e32 v[206:207], v[206:207], v[214:215]
	v_fma_f64 v[214:215], -v[204:205], v[206:207], 1.0
	v_fmac_f64_e32 v[206:207], v[206:207], v[214:215]
	v_mul_f64 v[214:215], v[212:213], v[206:207]
	v_fma_f64 v[204:205], -v[204:205], v[214:215], v[212:213]
	v_div_fmas_f64 v[204:205], v[204:205], v[206:207], v[214:215]
	v_div_fixup_f64 v[206:207], v[204:205], v[208:209], v[210:211]
	v_fmac_f64_e32 v[208:209], v[210:211], v[206:207]
	v_div_scale_f64 v[204:205], s[10:11], v[208:209], v[208:209], 1.0
	v_rcp_f64_e32 v[210:211], v[204:205]
	s_nop 0
	v_fma_f64 v[212:213], -v[204:205], v[210:211], 1.0
	v_fmac_f64_e32 v[210:211], v[210:211], v[212:213]
	v_fma_f64 v[212:213], -v[204:205], v[210:211], 1.0
	v_fmac_f64_e32 v[210:211], v[210:211], v[212:213]
	v_div_scale_f64 v[212:213], vcc, 1.0, v[208:209], 1.0
	v_mul_f64 v[214:215], v[212:213], v[210:211]
	v_fma_f64 v[204:205], -v[204:205], v[214:215], v[212:213]
	s_nop 1
	v_div_fmas_f64 v[204:205], v[204:205], v[210:211], v[214:215]
	v_div_fixup_f64 v[204:205], v[204:205], v[208:209], 1.0
	v_mul_f64 v[206:207], v[206:207], -v[204:205]
.LBB109_475:
	s_or_b64 exec, exec, s[2:3]
	ds_write2_b64 v201, v[204:205], v[206:207] offset1:1
.LBB109_476:
	s_or_b64 exec, exec, s[4:5]
	s_waitcnt lgkmcnt(0)
	s_barrier
	ds_read2_b64 v[212:215], v201 offset1:1
	v_cmp_lt_u32_e32 vcc, 52, v200
	s_and_saveexec_b64 s[2:3], vcc
	s_cbranch_execz .LBB109_478
; %bb.477:
	ds_read2_b64 v[204:207], v202 offset0:106 offset1:107
	s_waitcnt lgkmcnt(1)
	v_mul_f64 v[208:209], v[212:213], v[6:7]
	v_fmac_f64_e32 v[208:209], v[214:215], v[4:5]
	v_mul_f64 v[6:7], v[214:215], v[6:7]
	v_fma_f64 v[4:5], v[212:213], v[4:5], -v[6:7]
	s_waitcnt lgkmcnt(0)
	v_mul_f64 v[6:7], v[206:207], v[208:209]
	v_fma_f64 v[6:7], v[204:205], v[4:5], -v[6:7]
	v_mul_f64 v[204:205], v[204:205], v[208:209]
	v_fmac_f64_e32 v[204:205], v[206:207], v[4:5]
	s_waitcnt vmcnt(62)
	v_add_f64 v[2:3], v[2:3], -v[204:205]
	ds_read2_b64 v[204:207], v202 offset0:108 offset1:109
	v_add_f64 v[0:1], v[0:1], -v[6:7]
	s_waitcnt lgkmcnt(0)
	v_mul_f64 v[6:7], v[206:207], v[208:209]
	v_fma_f64 v[6:7], v[204:205], v[4:5], -v[6:7]
	v_mul_f64 v[204:205], v[204:205], v[208:209]
	v_fmac_f64_e32 v[204:205], v[206:207], v[4:5]
	s_waitcnt vmcnt(59)
	v_add_f64 v[216:217], v[216:217], -v[6:7]
	v_add_f64 v[218:219], v[218:219], -v[204:205]
	v_mov_b64_e32 v[6:7], v[208:209]
.LBB109_478:
	s_or_b64 exec, exec, s[2:3]
	v_cmp_eq_u32_e32 vcc, 53, v200
	s_waitcnt lgkmcnt(0)
	s_barrier
	s_and_saveexec_b64 s[4:5], vcc
	s_cbranch_execz .LBB109_485
; %bb.479:
	s_waitcnt vmcnt(62)
	ds_write2_b64 v201, v[0:1], v[2:3] offset1:1
	s_waitcnt vmcnt(59)
	ds_write2_b64 v202, v[216:217], v[218:219] offset0:108 offset1:109
	ds_read2_b64 v[208:211], v201 offset1:1
	s_waitcnt lgkmcnt(0)
	v_cmp_neq_f64_e32 vcc, 0, v[208:209]
	v_cmp_neq_f64_e64 s[2:3], 0, v[210:211]
	s_or_b64 s[2:3], vcc, s[2:3]
	s_and_b64 exec, exec, s[2:3]
	s_cbranch_execz .LBB109_485
; %bb.480:
	v_cmp_ngt_f64_e64 s[2:3], |v[208:209]|, |v[210:211]|
                                        ; implicit-def: $vgpr204_vgpr205
	s_and_saveexec_b64 s[10:11], s[2:3]
	s_xor_b64 s[2:3], exec, s[10:11]
                                        ; implicit-def: $vgpr206_vgpr207
	s_cbranch_execz .LBB109_482
; %bb.481:
	v_div_scale_f64 v[204:205], s[10:11], v[210:211], v[210:211], v[208:209]
	v_rcp_f64_e32 v[206:207], v[204:205]
	v_div_scale_f64 v[248:249], vcc, v[208:209], v[210:211], v[208:209]
	v_fma_f64 v[250:251], -v[204:205], v[206:207], 1.0
	v_fmac_f64_e32 v[206:207], v[206:207], v[250:251]
	v_fma_f64 v[250:251], -v[204:205], v[206:207], 1.0
	v_fmac_f64_e32 v[206:207], v[206:207], v[250:251]
	v_mul_f64 v[250:251], v[248:249], v[206:207]
	v_fma_f64 v[204:205], -v[204:205], v[250:251], v[248:249]
	v_div_fmas_f64 v[204:205], v[204:205], v[206:207], v[250:251]
	v_div_fixup_f64 v[204:205], v[204:205], v[210:211], v[208:209]
	v_fmac_f64_e32 v[210:211], v[208:209], v[204:205]
	v_div_scale_f64 v[206:207], s[10:11], v[210:211], v[210:211], 1.0
	v_rcp_f64_e32 v[208:209], v[206:207]
	s_nop 0
	v_fma_f64 v[248:249], -v[206:207], v[208:209], 1.0
	v_fmac_f64_e32 v[208:209], v[208:209], v[248:249]
	v_fma_f64 v[248:249], -v[206:207], v[208:209], 1.0
	v_fmac_f64_e32 v[208:209], v[208:209], v[248:249]
	v_div_scale_f64 v[248:249], vcc, 1.0, v[210:211], 1.0
	v_mul_f64 v[250:251], v[248:249], v[208:209]
	v_fma_f64 v[206:207], -v[206:207], v[250:251], v[248:249]
	s_nop 1
	v_div_fmas_f64 v[206:207], v[206:207], v[208:209], v[250:251]
	v_div_fixup_f64 v[206:207], v[206:207], v[210:211], 1.0
	v_mul_f64 v[204:205], v[204:205], v[206:207]
	v_xor_b32_e32 v207, 0x80000000, v207
                                        ; implicit-def: $vgpr208_vgpr209
.LBB109_482:
	s_andn2_saveexec_b64 s[2:3], s[2:3]
	s_cbranch_execz .LBB109_484
; %bb.483:
	v_div_scale_f64 v[204:205], s[10:11], v[208:209], v[208:209], v[210:211]
	v_rcp_f64_e32 v[206:207], v[204:205]
	v_div_scale_f64 v[248:249], vcc, v[210:211], v[208:209], v[210:211]
	v_fma_f64 v[250:251], -v[204:205], v[206:207], 1.0
	v_fmac_f64_e32 v[206:207], v[206:207], v[250:251]
	v_fma_f64 v[250:251], -v[204:205], v[206:207], 1.0
	v_fmac_f64_e32 v[206:207], v[206:207], v[250:251]
	v_mul_f64 v[250:251], v[248:249], v[206:207]
	v_fma_f64 v[204:205], -v[204:205], v[250:251], v[248:249]
	v_div_fmas_f64 v[204:205], v[204:205], v[206:207], v[250:251]
	v_div_fixup_f64 v[206:207], v[204:205], v[208:209], v[210:211]
	v_fmac_f64_e32 v[208:209], v[210:211], v[206:207]
	v_div_scale_f64 v[204:205], s[10:11], v[208:209], v[208:209], 1.0
	v_rcp_f64_e32 v[210:211], v[204:205]
	s_nop 0
	v_fma_f64 v[248:249], -v[204:205], v[210:211], 1.0
	v_fmac_f64_e32 v[210:211], v[210:211], v[248:249]
	v_fma_f64 v[248:249], -v[204:205], v[210:211], 1.0
	v_fmac_f64_e32 v[210:211], v[210:211], v[248:249]
	v_div_scale_f64 v[248:249], vcc, 1.0, v[208:209], 1.0
	v_mul_f64 v[250:251], v[248:249], v[210:211]
	v_fma_f64 v[204:205], -v[204:205], v[250:251], v[248:249]
	s_nop 1
	v_div_fmas_f64 v[204:205], v[204:205], v[210:211], v[250:251]
	v_div_fixup_f64 v[204:205], v[204:205], v[208:209], 1.0
	v_mul_f64 v[206:207], v[206:207], -v[204:205]
.LBB109_484:
	s_or_b64 exec, exec, s[2:3]
	ds_write2_b64 v201, v[204:205], v[206:207] offset1:1
.LBB109_485:
	s_or_b64 exec, exec, s[4:5]
	s_waitcnt lgkmcnt(0)
	s_barrier
	ds_read2_b64 v[248:251], v201 offset1:1
	v_cmp_lt_u32_e32 vcc, 53, v200
	s_and_saveexec_b64 s[2:3], vcc
	s_cbranch_execz .LBB109_487
; %bb.486:
	ds_read2_b64 v[202:205], v202 offset0:108 offset1:109
	s_waitcnt vmcnt(62) lgkmcnt(1)
	v_mul_f64 v[206:207], v[248:249], v[2:3]
	v_mul_f64 v[2:3], v[250:251], v[2:3]
	v_fmac_f64_e32 v[206:207], v[250:251], v[0:1]
	v_fma_f64 v[0:1], v[248:249], v[0:1], -v[2:3]
	s_waitcnt lgkmcnt(0)
	v_mul_f64 v[2:3], v[204:205], v[206:207]
	v_fma_f64 v[2:3], v[202:203], v[0:1], -v[2:3]
	v_mul_f64 v[202:203], v[202:203], v[206:207]
	v_fmac_f64_e32 v[202:203], v[204:205], v[0:1]
	s_waitcnt vmcnt(59)
	v_add_f64 v[216:217], v[216:217], -v[2:3]
	v_add_f64 v[218:219], v[218:219], -v[202:203]
	v_mov_b64_e32 v[2:3], v[206:207]
.LBB109_487:
	s_or_b64 exec, exec, s[2:3]
	v_cmp_eq_u32_e32 vcc, 54, v200
	s_waitcnt lgkmcnt(0)
	s_barrier
	s_and_saveexec_b64 s[4:5], vcc
	s_cbranch_execz .LBB109_494
; %bb.488:
	s_waitcnt vmcnt(59)
	v_cmp_neq_f64_e32 vcc, 0, v[216:217]
	v_cmp_neq_f64_e64 s[2:3], 0, v[218:219]
	s_or_b64 s[2:3], vcc, s[2:3]
	ds_write2_b64 v201, v[216:217], v[218:219] offset1:1
	s_and_b64 exec, exec, s[2:3]
	s_cbranch_execz .LBB109_494
; %bb.489:
	v_cmp_ngt_f64_e64 s[2:3], |v[216:217]|, |v[218:219]|
                                        ; implicit-def: $vgpr204_vgpr205
	s_and_saveexec_b64 s[10:11], s[2:3]
	s_xor_b64 s[2:3], exec, s[10:11]
                                        ; implicit-def: $vgpr206_vgpr207
	s_cbranch_execz .LBB109_491
; %bb.490:
	v_div_scale_f64 v[202:203], s[10:11], v[218:219], v[218:219], v[216:217]
	v_rcp_f64_e32 v[204:205], v[202:203]
	v_div_scale_f64 v[206:207], vcc, v[216:217], v[218:219], v[216:217]
	v_mov_b64_e32 v[192:193], v[196:197]
	v_fma_f64 v[208:209], -v[202:203], v[204:205], 1.0
	v_fmac_f64_e32 v[204:205], v[204:205], v[208:209]
	v_fma_f64 v[208:209], -v[202:203], v[204:205], 1.0
	v_fmac_f64_e32 v[204:205], v[204:205], v[208:209]
	v_mul_f64 v[208:209], v[206:207], v[204:205]
	v_fma_f64 v[202:203], -v[202:203], v[208:209], v[206:207]
	v_div_fmas_f64 v[202:203], v[202:203], v[204:205], v[208:209]
	v_div_fixup_f64 v[202:203], v[202:203], v[218:219], v[216:217]
	v_fma_f64 v[204:205], v[216:217], v[202:203], v[218:219]
	v_div_scale_f64 v[206:207], s[10:11], v[204:205], v[204:205], 1.0
	v_rcp_f64_e32 v[208:209], v[206:207]
	v_mov_b64_e32 v[194:195], v[198:199]
	v_fma_f64 v[210:211], -v[206:207], v[208:209], 1.0
	v_fmac_f64_e32 v[208:209], v[208:209], v[210:211]
	v_fma_f64 v[210:211], -v[206:207], v[208:209], 1.0
	v_fmac_f64_e32 v[208:209], v[208:209], v[210:211]
	v_div_scale_f64 v[210:211], vcc, 1.0, v[204:205], 1.0
	v_mul_f64 v[196:197], v[210:211], v[208:209]
	v_fma_f64 v[198:199], -v[206:207], v[196:197], v[210:211]
	s_nop 1
	v_div_fmas_f64 v[196:197], v[198:199], v[208:209], v[196:197]
	v_div_fixup_f64 v[206:207], v[196:197], v[204:205], 1.0
	v_mov_b64_e32 v[198:199], v[194:195]
	v_mov_b64_e32 v[196:197], v[192:193]
	v_mul_f64 v[204:205], v[202:203], v[206:207]
	v_xor_b32_e32 v207, 0x80000000, v207
.LBB109_491:
	s_andn2_saveexec_b64 s[2:3], s[2:3]
	s_cbranch_execz .LBB109_493
; %bb.492:
	v_mov_b64_e32 v[192:193], v[196:197]
	v_mov_b64_e32 v[194:195], v[198:199]
	v_div_scale_f64 v[196:197], s[10:11], v[216:217], v[216:217], v[218:219]
	v_rcp_f64_e32 v[198:199], v[196:197]
	v_div_scale_f64 v[202:203], vcc, v[218:219], v[216:217], v[218:219]
	v_fma_f64 v[204:205], -v[196:197], v[198:199], 1.0
	v_fmac_f64_e32 v[198:199], v[198:199], v[204:205]
	v_fma_f64 v[204:205], -v[196:197], v[198:199], 1.0
	v_fmac_f64_e32 v[198:199], v[198:199], v[204:205]
	v_mul_f64 v[204:205], v[202:203], v[198:199]
	v_fma_f64 v[196:197], -v[196:197], v[204:205], v[202:203]
	v_div_fmas_f64 v[196:197], v[196:197], v[198:199], v[204:205]
	v_div_fixup_f64 v[196:197], v[196:197], v[216:217], v[218:219]
	v_fma_f64 v[198:199], v[218:219], v[196:197], v[216:217]
	v_div_scale_f64 v[202:203], s[10:11], v[198:199], v[198:199], 1.0
	v_rcp_f64_e32 v[204:205], v[202:203]
	s_nop 0
	v_fma_f64 v[206:207], -v[202:203], v[204:205], 1.0
	v_fmac_f64_e32 v[204:205], v[204:205], v[206:207]
	v_fma_f64 v[206:207], -v[202:203], v[204:205], 1.0
	v_fmac_f64_e32 v[204:205], v[204:205], v[206:207]
	v_div_scale_f64 v[206:207], vcc, 1.0, v[198:199], 1.0
	v_mul_f64 v[208:209], v[206:207], v[204:205]
	v_fma_f64 v[202:203], -v[202:203], v[208:209], v[206:207]
	s_nop 1
	v_div_fmas_f64 v[202:203], v[202:203], v[204:205], v[208:209]
	v_div_fixup_f64 v[204:205], v[202:203], v[198:199], 1.0
	v_mul_f64 v[206:207], v[196:197], -v[204:205]
	v_mov_b64_e32 v[198:199], v[194:195]
	v_mov_b64_e32 v[196:197], v[192:193]
.LBB109_493:
	s_or_b64 exec, exec, s[2:3]
	ds_write2_b64 v201, v[204:205], v[206:207] offset1:1
.LBB109_494:
	s_or_b64 exec, exec, s[4:5]
	s_waitcnt lgkmcnt(0)
	s_barrier
	ds_read2_b64 v[208:211], v201 offset1:1
	v_mov_b64_e32 v[192:193], v[196:197]
	v_mov_b64_e32 v[194:195], v[198:199]
	s_waitcnt lgkmcnt(0)
	s_barrier
	s_and_saveexec_b64 s[2:3], s[0:1]
	s_cbranch_execz .LBB109_497
; %bb.495:
	scratch_load_dwordx4 v[196:199], off, off offset:520 ; 16-byte Folded Reload
	scratch_load_dwordx4 v[202:205], off, off offset:536 ; 16-byte Folded Reload
	s_waitcnt vmcnt(1)
	v_cmp_eq_f64_e32 vcc, 0, v[196:197]
	v_cmp_eq_f64_e64 s[0:1], 0, v[198:199]
	s_and_b64 s[4:5], vcc, s[0:1]
	s_waitcnt vmcnt(0)
	v_cmp_neq_f64_e32 vcc, 0, v[202:203]
	v_cmp_neq_f64_e64 s[0:1], 0, v[204:205]
	scratch_load_dwordx4 v[202:205], off, off offset:552 ; 16-byte Folded Reload
	s_or_b64 s[0:1], vcc, s[0:1]
	v_cndmask_b32_e64 v196, 0, 1, s[4:5]
	s_or_b64 vcc, s[0:1], s[4:5]
	v_cndmask_b32_e32 v196, 2, v196, vcc
	v_mov_b32_e32 v197, s7
	s_waitcnt vmcnt(0)
	v_cmp_eq_f64_e32 vcc, 0, v[202:203]
	v_cmp_eq_f64_e64 s[0:1], 0, v[204:205]
	scratch_load_dwordx4 v[202:205], off, off offset:568 ; 16-byte Folded Reload
	s_and_b64 s[0:1], vcc, s[0:1]
	v_cmp_eq_u32_e32 vcc, 0, v196
	s_and_b64 s[0:1], s[0:1], vcc
	v_cndmask_b32_e64 v196, v196, 3, s[0:1]
	s_waitcnt vmcnt(0)
	v_cmp_eq_f64_e32 vcc, 0, v[202:203]
	v_cmp_eq_f64_e64 s[0:1], 0, v[204:205]
	scratch_load_dwordx4 v[202:205], off, off offset:584 ; 16-byte Folded Reload
	s_and_b64 s[0:1], vcc, s[0:1]
	v_cmp_eq_u32_e32 vcc, 0, v196
	s_and_b64 s[0:1], s[0:1], vcc
	v_cndmask_b32_e64 v196, v196, 4, s[0:1]
	;; [unrolled: 8-line block ×39, first 2 shown]
	v_mov_b32_e32 v196, s6
	s_waitcnt vmcnt(0)
	v_cmp_eq_f64_e32 vcc, 0, v[202:203]
	scratch_load_dwordx2 v[202:203], off, off offset:1224 ; 8-byte Folded Reload
	v_cmp_eq_f64_e64 s[0:1], 0, v[204:205]
	s_and_b64 s[0:1], vcc, s[0:1]
	v_cmp_eq_u32_e32 vcc, 0, v198
	s_and_b64 s[0:1], s[0:1], vcc
	s_waitcnt vmcnt(0)
	v_lshl_add_u64 v[204:205], v[202:203], 2, v[196:197]
	v_cndmask_b32_e64 v197, v198, 42, s[0:1]
	v_mov_b32_e32 v202, v200
	v_mov_b64_e32 v[200:201], v[78:79]
	v_mov_b64_e32 v[198:199], v[76:77]
	;; [unrolled: 1-line block ×58, first 2 shown]
	scratch_load_dwordx4 v[188:191], off, off offset:1192 ; 16-byte Folded Reload
	global_load_dword v196, v[204:205], off
	s_waitcnt vmcnt(1)
	v_cmp_eq_f64_e32 vcc, 0, v[188:189]
	v_cmp_eq_f64_e64 s[0:1], 0, v[190:191]
	s_and_b64 s[0:1], vcc, s[0:1]
	v_cmp_eq_u32_e32 vcc, 0, v197
	s_and_b64 s[0:1], s[0:1], vcc
	v_cndmask_b32_e64 v197, v197, 43, s[0:1]
	v_cmp_eq_f64_e32 vcc, 0, v[252:253]
	v_cmp_eq_f64_e64 s[0:1], 0, v[254:255]
	s_and_b64 s[0:1], vcc, s[0:1]
	v_cmp_eq_u32_e32 vcc, 0, v197
	s_and_b64 s[0:1], s[0:1], vcc
	v_cndmask_b32_e64 v197, v197, 44, s[0:1]
	v_cmp_eq_f64_e32 vcc, 0, v[220:221]
	v_cmp_eq_f64_e64 s[0:1], 0, v[222:223]
	scratch_load_dwordx4 v[220:223], off, off offset:1208 ; 16-byte Folded Reload
	s_and_b64 s[0:1], vcc, s[0:1]
	v_cmp_eq_u32_e32 vcc, 0, v197
	s_and_b64 s[0:1], s[0:1], vcc
	v_cndmask_b32_e64 v197, v197, 45, s[0:1]
	v_cmp_eq_f64_e32 vcc, 0, v[224:225]
	v_cmp_eq_f64_e64 s[0:1], 0, v[226:227]
	v_mov_b64_e32 v[190:191], v[186:187]
	s_and_b64 s[0:1], vcc, s[0:1]
	v_cmp_eq_u32_e32 vcc, 0, v197
	v_mov_b64_e32 v[188:189], v[184:185]
	v_mov_b64_e32 v[186:187], v[182:183]
	s_and_b64 s[0:1], s[0:1], vcc
	v_mov_b64_e32 v[184:185], v[180:181]
	v_mov_b64_e32 v[182:183], v[178:179]
	v_cndmask_b32_e64 v197, v197, 46, s[0:1]
	v_mov_b64_e32 v[180:181], v[176:177]
	v_mov_b64_e32 v[178:179], v[174:175]
	;; [unrolled: 1-line block ×53, first 2 shown]
	v_mov_b32_e32 v200, v202
	s_waitcnt vmcnt(0)
	v_cmp_eq_f64_e32 vcc, 0, v[220:221]
	v_cmp_eq_f64_e64 s[0:1], 0, v[222:223]
	s_and_b64 s[0:1], vcc, s[0:1]
	v_cmp_eq_u32_e32 vcc, 0, v197
	s_and_b64 s[0:1], s[0:1], vcc
	v_cndmask_b32_e64 v197, v197, 47, s[0:1]
	v_cmp_eq_f64_e32 vcc, 0, v[228:229]
	v_cmp_eq_f64_e64 s[0:1], 0, v[230:231]
	s_and_b64 s[0:1], vcc, s[0:1]
	v_cmp_eq_u32_e32 vcc, 0, v197
	s_and_b64 s[0:1], s[0:1], vcc
	v_cndmask_b32_e64 v197, v197, 48, s[0:1]
	;; [unrolled: 6-line block ×9, first 2 shown]
	v_cmp_eq_u32_e32 vcc, 0, v196
	v_cmp_ne_u32_e64 s[0:1], 0, v201
	s_and_b64 s[0:1], vcc, s[0:1]
	s_and_b64 exec, exec, s[0:1]
	s_cbranch_execz .LBB109_497
; %bb.496:
	v_add_u32_e32 v196, s9, v201
	global_store_dword v[204:205], v196, off
.LBB109_497:
	s_or_b64 exec, exec, s[2:3]
	s_waitcnt vmcnt(59)
	v_mul_f64 v[196:197], v[210:211], v[218:219]
	v_mul_f64 v[198:199], v[208:209], v[218:219]
	v_cmp_lt_u32_e32 vcc, 54, v200
	v_fma_f64 v[196:197], v[208:209], v[216:217], -v[196:197]
	v_fmac_f64_e32 v[198:199], v[210:211], v[216:217]
	v_cndmask_b32_e32 v211, v219, v199, vcc
	v_cndmask_b32_e32 v210, v218, v198, vcc
	;; [unrolled: 1-line block ×4, first 2 shown]
	scratch_load_dwordx2 v[196:197], off, off offset:80 ; 8-byte Folded Reload
	scratch_load_dwordx4 v[198:201], off, off offset:64 ; 16-byte Folded Reload
	s_waitcnt vmcnt(0)
	global_store_dwordx4 v[196:197], v[198:201], off
	scratch_load_dwordx2 v[196:197], off, off offset:512 ; 8-byte Folded Reload
	s_nop 0
	scratch_load_dwordx4 v[198:201], off, off offset:48 ; 16-byte Folded Reload
	s_waitcnt vmcnt(0)
	global_store_dwordx4 v[196:197], v[198:201], off
	scratch_load_dwordx2 v[196:197], off, off offset:88 ; 8-byte Folded Reload
	s_nop 0
	;; [unrolled: 5-line block ×3, first 2 shown]
	scratch_load_dwordx4 v[198:201], off, off offset:16 ; 16-byte Folded Reload
	s_waitcnt vmcnt(0)
	global_store_dwordx4 v[196:197], v[198:201], off
	scratch_load_dwordx2 v[196:197], off, off offset:104 ; 8-byte Folded Reload
	s_waitcnt vmcnt(0)
	global_store_dwordx4 v[196:197], v[192:195], off
	scratch_load_dwordx2 v[196:197], off, off offset:112 ; 8-byte Folded Reload
	s_nop 0
	scratch_load_dwordx4 v[192:195], off, off ; 16-byte Folded Reload
	s_waitcnt vmcnt(0)
	global_store_dwordx4 v[196:197], v[192:195], off
	scratch_load_dwordx2 v[192:193], off, off offset:120 ; 8-byte Folded Reload
	s_waitcnt vmcnt(0)
	global_store_dwordx4 v[192:193], v[188:191], off
	scratch_load_dwordx2 v[188:189], off, off offset:128 ; 8-byte Folded Reload
	;; [unrolled: 3-line block ×49, first 2 shown]
	s_waitcnt vmcnt(0)
	global_store_dwordx4 v[0:1], v[208:211], off
.LBB109_498:
	s_endpgm
	.section	.rodata,"a",@progbits
	.p2align	6, 0x0
	.amdhsa_kernel _ZN9rocsolver6v33100L23getf2_npvt_small_kernelILi55E19rocblas_complex_numIdEiiPS3_EEvT1_T3_lS5_lPT2_S5_S5_
		.amdhsa_group_segment_fixed_size 0
		.amdhsa_private_segment_fixed_size 1236
		.amdhsa_kernarg_size 312
		.amdhsa_user_sgpr_count 2
		.amdhsa_user_sgpr_dispatch_ptr 0
		.amdhsa_user_sgpr_queue_ptr 0
		.amdhsa_user_sgpr_kernarg_segment_ptr 1
		.amdhsa_user_sgpr_dispatch_id 0
		.amdhsa_user_sgpr_kernarg_preload_length 0
		.amdhsa_user_sgpr_kernarg_preload_offset 0
		.amdhsa_user_sgpr_private_segment_size 0
		.amdhsa_uses_dynamic_stack 0
		.amdhsa_enable_private_segment 1
		.amdhsa_system_sgpr_workgroup_id_x 1
		.amdhsa_system_sgpr_workgroup_id_y 1
		.amdhsa_system_sgpr_workgroup_id_z 0
		.amdhsa_system_sgpr_workgroup_info 0
		.amdhsa_system_vgpr_workitem_id 1
		.amdhsa_next_free_vgpr 256
		.amdhsa_next_free_sgpr 18
		.amdhsa_accum_offset 256
		.amdhsa_reserve_vcc 1
		.amdhsa_float_round_mode_32 0
		.amdhsa_float_round_mode_16_64 0
		.amdhsa_float_denorm_mode_32 3
		.amdhsa_float_denorm_mode_16_64 3
		.amdhsa_dx10_clamp 1
		.amdhsa_ieee_mode 1
		.amdhsa_fp16_overflow 0
		.amdhsa_tg_split 0
		.amdhsa_exception_fp_ieee_invalid_op 0
		.amdhsa_exception_fp_denorm_src 0
		.amdhsa_exception_fp_ieee_div_zero 0
		.amdhsa_exception_fp_ieee_overflow 0
		.amdhsa_exception_fp_ieee_underflow 0
		.amdhsa_exception_fp_ieee_inexact 0
		.amdhsa_exception_int_div_zero 0
	.end_amdhsa_kernel
	.section	.text._ZN9rocsolver6v33100L23getf2_npvt_small_kernelILi55E19rocblas_complex_numIdEiiPS3_EEvT1_T3_lS5_lPT2_S5_S5_,"axG",@progbits,_ZN9rocsolver6v33100L23getf2_npvt_small_kernelILi55E19rocblas_complex_numIdEiiPS3_EEvT1_T3_lS5_lPT2_S5_S5_,comdat
.Lfunc_end109:
	.size	_ZN9rocsolver6v33100L23getf2_npvt_small_kernelILi55E19rocblas_complex_numIdEiiPS3_EEvT1_T3_lS5_lPT2_S5_S5_, .Lfunc_end109-_ZN9rocsolver6v33100L23getf2_npvt_small_kernelILi55E19rocblas_complex_numIdEiiPS3_EEvT1_T3_lS5_lPT2_S5_S5_
                                        ; -- End function
	.set _ZN9rocsolver6v33100L23getf2_npvt_small_kernelILi55E19rocblas_complex_numIdEiiPS3_EEvT1_T3_lS5_lPT2_S5_S5_.num_vgpr, 256
	.set _ZN9rocsolver6v33100L23getf2_npvt_small_kernelILi55E19rocblas_complex_numIdEiiPS3_EEvT1_T3_lS5_lPT2_S5_S5_.num_agpr, 0
	.set _ZN9rocsolver6v33100L23getf2_npvt_small_kernelILi55E19rocblas_complex_numIdEiiPS3_EEvT1_T3_lS5_lPT2_S5_S5_.numbered_sgpr, 18
	.set _ZN9rocsolver6v33100L23getf2_npvt_small_kernelILi55E19rocblas_complex_numIdEiiPS3_EEvT1_T3_lS5_lPT2_S5_S5_.num_named_barrier, 0
	.set _ZN9rocsolver6v33100L23getf2_npvt_small_kernelILi55E19rocblas_complex_numIdEiiPS3_EEvT1_T3_lS5_lPT2_S5_S5_.private_seg_size, 1236
	.set _ZN9rocsolver6v33100L23getf2_npvt_small_kernelILi55E19rocblas_complex_numIdEiiPS3_EEvT1_T3_lS5_lPT2_S5_S5_.uses_vcc, 1
	.set _ZN9rocsolver6v33100L23getf2_npvt_small_kernelILi55E19rocblas_complex_numIdEiiPS3_EEvT1_T3_lS5_lPT2_S5_S5_.uses_flat_scratch, 0
	.set _ZN9rocsolver6v33100L23getf2_npvt_small_kernelILi55E19rocblas_complex_numIdEiiPS3_EEvT1_T3_lS5_lPT2_S5_S5_.has_dyn_sized_stack, 0
	.set _ZN9rocsolver6v33100L23getf2_npvt_small_kernelILi55E19rocblas_complex_numIdEiiPS3_EEvT1_T3_lS5_lPT2_S5_S5_.has_recursion, 0
	.set _ZN9rocsolver6v33100L23getf2_npvt_small_kernelILi55E19rocblas_complex_numIdEiiPS3_EEvT1_T3_lS5_lPT2_S5_S5_.has_indirect_call, 0
	.section	.AMDGPU.csdata,"",@progbits
; Kernel info:
; codeLenInByte = 133608
; TotalNumSgprs: 24
; NumVgprs: 256
; NumAgprs: 0
; TotalNumVgprs: 256
; ScratchSize: 1236
; MemoryBound: 1
; FloatMode: 240
; IeeeMode: 1
; LDSByteSize: 0 bytes/workgroup (compile time only)
; SGPRBlocks: 2
; VGPRBlocks: 31
; NumSGPRsForWavesPerEU: 24
; NumVGPRsForWavesPerEU: 256
; AccumOffset: 256
; Occupancy: 2
; WaveLimiterHint : 0
; COMPUTE_PGM_RSRC2:SCRATCH_EN: 1
; COMPUTE_PGM_RSRC2:USER_SGPR: 2
; COMPUTE_PGM_RSRC2:TRAP_HANDLER: 0
; COMPUTE_PGM_RSRC2:TGID_X_EN: 1
; COMPUTE_PGM_RSRC2:TGID_Y_EN: 1
; COMPUTE_PGM_RSRC2:TGID_Z_EN: 0
; COMPUTE_PGM_RSRC2:TIDIG_COMP_CNT: 1
; COMPUTE_PGM_RSRC3_GFX90A:ACCUM_OFFSET: 63
; COMPUTE_PGM_RSRC3_GFX90A:TG_SPLIT: 0
	.section	.text._ZN9rocsolver6v33100L18getf2_small_kernelILi56E19rocblas_complex_numIdEiiPS3_EEvT1_T3_lS5_lPS5_llPT2_S5_S5_S7_l,"axG",@progbits,_ZN9rocsolver6v33100L18getf2_small_kernelILi56E19rocblas_complex_numIdEiiPS3_EEvT1_T3_lS5_lPS5_llPT2_S5_S5_S7_l,comdat
	.globl	_ZN9rocsolver6v33100L18getf2_small_kernelILi56E19rocblas_complex_numIdEiiPS3_EEvT1_T3_lS5_lPS5_llPT2_S5_S5_S7_l ; -- Begin function _ZN9rocsolver6v33100L18getf2_small_kernelILi56E19rocblas_complex_numIdEiiPS3_EEvT1_T3_lS5_lPS5_llPT2_S5_S5_S7_l
	.p2align	8
	.type	_ZN9rocsolver6v33100L18getf2_small_kernelILi56E19rocblas_complex_numIdEiiPS3_EEvT1_T3_lS5_lPS5_llPT2_S5_S5_S7_l,@function
_ZN9rocsolver6v33100L18getf2_small_kernelILi56E19rocblas_complex_numIdEiiPS3_EEvT1_T3_lS5_lPS5_llPT2_S5_S5_S7_l: ; @_ZN9rocsolver6v33100L18getf2_small_kernelILi56E19rocblas_complex_numIdEiiPS3_EEvT1_T3_lS5_lPS5_llPT2_S5_S5_S7_l
; %bb.0:
	s_load_dword s2, s[0:1], 0x6c
	s_load_dwordx2 s[12:13], s[0:1], 0x48
	v_bfe_u32 v224, v0, 10, 10
	s_waitcnt lgkmcnt(0)
	s_lshr_b32 s2, s2, 16
	s_mul_i32 s3, s3, s2
	v_add_u32_e32 v8, s3, v224
	v_cmp_gt_i32_e32 vcc, s12, v8
	s_and_saveexec_b64 s[2:3], vcc
	s_cbranch_execnz .LBB110_1
; %bb.1178:
	s_getpc_b64 s[24:25]
.Lpost_getpc7:
	s_add_u32 s24, s24, (.LBB110_1177-.Lpost_getpc7)&4294967295
	s_addc_u32 s25, s25, (.LBB110_1177-.Lpost_getpc7)>>32
	s_setpc_b64 s[24:25]
.LBB110_1:
	s_load_dwordx4 s[4:7], s[0:1], 0x50
	v_ashrrev_i32_e32 v9, 31, v8
	v_mov_b64_e32 v[2:3], 0
	s_waitcnt lgkmcnt(0)
	s_cmp_eq_u64 s[4:5], 0
	s_cselect_b64 s[14:15], -1, 0
	s_and_b64 vcc, exec, s[14:15]
	s_cbranch_vccnz .LBB110_3
; %bb.2:
	v_mul_lo_u32 v1, s7, v8
	v_mul_lo_u32 v4, s6, v9
	v_mad_u64_u32 v[2:3], s[2:3], s6, v8, 0
	v_add3_u32 v3, v3, v4, v1
	v_lshl_add_u64 v[2:3], v[2:3], 2, s[4:5]
.LBB110_3:
	scratch_store_dwordx2 off, v[2:3], off offset:24 ; 8-byte Folded Spill
	s_load_dwordx4 s[16:19], s[0:1], 0x8
	s_load_dwordx8 s[4:11], s[0:1], 0x20
	s_load_dword s2, s[0:1], 0x18
	s_load_dword s20, s[0:1], 0x0
	v_and_b32_e32 v218, 0x3ff, v0
	s_waitcnt lgkmcnt(0)
	v_mov_b32_e32 v2, s16
	v_mul_lo_u32 v1, s5, v8
	v_mul_lo_u32 v6, s4, v9
	v_mad_u64_u32 v[4:5], s[4:5], s4, v8, 0
	v_mov_b32_e32 v3, s17
	v_add3_u32 v5, v5, v6, v1
	v_lshl_add_u64 v[2:3], v[4:5], 4, v[2:3]
	v_lshl_add_u64 v[72:73], s[18:19], 4, v[2:3]
	v_lshlrev_b32_e32 v234, 4, v218
	v_mov_b32_e32 v235, 0
	v_lshl_add_u64 v[0:1], v[72:73], 0, v[234:235]
	global_load_dwordx4 v[14:17], v[0:1], off
	s_ashr_i32 s3, s2, 31
	v_lshl_add_u64 v[10:11], s[2:3], 4, v[0:1]
	s_add_i32 s12, s2, s2
	v_add_u32_e32 v2, s12, v218
	v_add_u32_e32 v4, s2, v2
	;; [unrolled: 1-line block ×3, first 2 shown]
	v_mov_b64_e32 v[228:229], v[8:9]
	v_add_u32_e32 v8, s2, v6
	v_ashrrev_i32_e32 v9, 31, v8
	v_add_u32_e32 v12, s2, v8
                                        ; kill: killed $vgpr0_vgpr1
	v_lshl_add_u64 v[0:1], v[8:9], 4, v[72:73]
	v_ashrrev_i32_e32 v13, 31, v12
	v_add_u32_e32 v8, s2, v12
                                        ; kill: killed $vgpr10_vgpr11
	v_ashrrev_i32_e32 v3, 31, v2
	v_ashrrev_i32_e32 v5, 31, v4
	v_lshl_add_u64 v[2:3], v[2:3], 4, v[72:73]
	v_ashrrev_i32_e32 v7, 31, v6
	v_ashrrev_i32_e32 v9, 31, v8
	v_lshl_add_u64 v[4:5], v[4:5], 4, v[72:73]
	v_lshl_add_u64 v[6:7], v[6:7], 4, v[72:73]
	scratch_store_dwordx2 off, v[72:73], off offset:16 ; 8-byte Folded Spill
	s_load_dwordx2 s[4:5], s[0:1], 0x40
	s_max_i32 s0, s20, 56
	s_cmp_lt_i32 s20, 2
	s_waitcnt vmcnt(1)
	scratch_store_dwordx4 off, v[14:17], off offset:48 ; 16-byte Folded Spill
	global_load_dwordx4 v[14:17], v[10:11], off
	v_lshl_add_u64 v[10:11], v[12:13], 4, v[72:73]
	v_add_u32_e32 v12, s2, v8
	v_ashrrev_i32_e32 v13, 31, v12
	v_lshl_add_u64 v[8:9], v[8:9], 4, v[72:73]
	s_waitcnt vmcnt(0)
	scratch_store_dwordx4 off, v[14:17], off offset:32 ; 16-byte Folded Spill
	s_nop 1
	v_add_u32_e32 v14, s2, v12
	v_add_u32_e32 v16, s2, v14
	;; [unrolled: 1-line block ×14, first 2 shown]
	v_ashrrev_i32_e32 v41, 31, v40
	v_lshl_add_u64 v[42:43], v[40:41], 4, v[72:73]
	v_add_u32_e32 v40, s2, v40
	v_ashrrev_i32_e32 v41, 31, v40
	v_lshl_add_u64 v[44:45], v[40:41], 4, v[72:73]
	v_add_u32_e32 v40, s2, v40
	;; [unrolled: 3-line block ×33, first 2 shown]
	v_ashrrev_i32_e32 v15, 31, v14
	v_ashrrev_i32_e32 v17, 31, v16
	;; [unrolled: 1-line block ×14, first 2 shown]
	v_lshl_add_u64 v[12:13], v[12:13], 4, v[72:73]
	v_lshl_add_u64 v[14:15], v[14:15], 4, v[72:73]
	;; [unrolled: 1-line block ×15, first 2 shown]
	global_load_dwordx4 v[72:75], v[2:3], off
	s_waitcnt vmcnt(0)
	scratch_store_dwordx4 off, v[72:75], off ; 16-byte Folded Spill
	global_load_dwordx4 v[214:217], v[4:5], off
	global_load_dwordx4 v[208:211], v[6:7], off
	global_load_dwordx4 v[204:207], v[0:1], off
	global_load_dwordx4 v[200:203], v[10:11], off
	global_load_dwordx4 v[196:199], v[8:9], off
	global_load_dwordx4 v[192:195], v[12:13], off
	global_load_dwordx4 v[188:191], v[14:15], off
	global_load_dwordx4 v[184:187], v[16:17], off
	global_load_dwordx4 v[180:183], v[18:19], off
	global_load_dwordx4 v[176:179], v[20:21], off
	global_load_dwordx4 v[172:175], v[22:23], off
	global_load_dwordx4 v[168:171], v[24:25], off
	global_load_dwordx4 v[164:167], v[26:27], off
	global_load_dwordx4 v[160:163], v[28:29], off
	global_load_dwordx4 v[156:159], v[30:31], off
	global_load_dwordx4 v[148:151], v[32:33], off
	global_load_dwordx4 v[140:143], v[34:35], off
	global_load_dwordx4 v[136:139], v[36:37], off
	global_load_dwordx4 v[132:135], v[38:39], off
	global_load_dwordx4 v[128:131], v[42:43], off
	global_load_dwordx4 v[124:127], v[44:45], off
	global_load_dwordx4 v[120:123], v[46:47], off
	global_load_dwordx4 v[116:119], v[48:49], off
	global_load_dwordx4 v[112:115], v[50:51], off
	global_load_dwordx4 v[108:111], v[52:53], off
	global_load_dwordx4 v[104:107], v[54:55], off
	global_load_dwordx4 v[100:103], v[56:57], off
	global_load_dwordx4 v[96:99], v[58:59], off
	global_load_dwordx4 v[92:95], v[60:61], off
	global_load_dwordx4 v[88:91], v[62:63], off
	global_load_dwordx4 v[84:87], v[64:65], off
	global_load_dwordx4 v[80:83], v[66:67], off
	global_load_dwordx4 v[76:79], v[68:69], off
	global_load_dwordx4 v[72:75], v[70:71], off
	s_nop 0
	global_load_dwordx4 v[68:71], v[220:221], off
	global_load_dwordx4 v[64:67], v[222:223], off
	;; [unrolled: 1-line block ×11, first 2 shown]
	s_nop 0
	scratch_load_dwordx4 v[250:253], off, off offset:48 ; 16-byte Folded Reload
	global_load_dwordx4 v[24:27], v[254:255], off
	global_load_dwordx4 v[20:23], v[230:231], off
	global_load_dwordx4 v[16:19], v[238:239], off
	global_load_dwordx4 v[12:15], v[232:233], off
	global_load_dwordx4 v[8:11], v[152:153], off
	global_load_dwordx4 v[4:7], v[154:155], off
	global_load_dwordx4 v[0:3], v[144:145], off
	global_load_dwordx4 v[220:223], v[146:147], off
	v_mul_lo_u32 v144, s0, v224
	v_lshl_add_u32 v236, v144, 4, 0
	v_add_u32_e32 v145, v236, v234
	v_lshlrev_b32_e32 v240, 4, v144
	s_waitcnt vmcnt(8)
	ds_write2_b64 v145, v[250:251], v[252:253] offset1:1
	s_waitcnt lgkmcnt(0)
	s_barrier
	ds_read2_b64 v[224:227], v236 offset1:1
	s_cbranch_scc1 .LBB110_6
; %bb.4:
	v_add3_u32 v234, v240, 0, 16
	s_mov_b32 s16, 1
	v_mov_b32_e32 v235, 0
.LBB110_5:                              ; =>This Inner Loop Header: Depth=1
	ds_read2_b64 v[242:245], v234 offset1:1
	s_waitcnt lgkmcnt(1)
	v_xor_b32_e32 v145, 0x80000000, v225
	v_xor_b32_e32 v147, 0x80000000, v227
	v_cmp_gt_f64_e32 vcc, 0, v[226:227]
	v_cmp_gt_f64_e64 s[0:1], 0, v[224:225]
	v_mov_b32_e32 v144, v224
	v_mov_b32_e32 v146, v226
	v_cndmask_b32_e64 v145, v225, v145, s[0:1]
	v_cndmask_b32_e32 v147, v227, v147, vcc
	v_add_f64 v[144:145], v[144:145], v[146:147]
	s_waitcnt lgkmcnt(0)
	v_xor_b32_e32 v147, 0x80000000, v243
	v_xor_b32_e32 v153, 0x80000000, v245
	v_cmp_gt_f64_e32 vcc, 0, v[244:245]
	v_cmp_gt_f64_e64 s[0:1], 0, v[242:243]
	v_mov_b32_e32 v146, v242
	v_mov_b32_e32 v152, v244
	v_cndmask_b32_e64 v147, v243, v147, s[0:1]
	v_cndmask_b32_e32 v153, v245, v153, vcc
	v_add_f64 v[146:147], v[146:147], v[152:153]
	v_mov_b32_e32 v154, s16
	s_add_i32 s16, s16, 1
	v_cmp_lt_f64_e32 vcc, v[144:145], v[146:147]
	v_add_u32_e32 v234, 16, v234
	s_cmp_eq_u32 s20, s16
	v_cndmask_b32_e32 v225, v225, v243, vcc
	v_cndmask_b32_e32 v224, v224, v242, vcc
	;; [unrolled: 1-line block ×5, first 2 shown]
	s_cbranch_scc0 .LBB110_5
.LBB110_6:
	scratch_load_dwordx4 v[246:249], off, off offset:32 ; 16-byte Folded Reload
	scratch_load_dwordx2 v[212:213], off, off offset:24 ; 8-byte Folded Reload
	s_waitcnt lgkmcnt(0)
	v_cmp_neq_f64_e32 vcc, 0, v[224:225]
	v_cmp_neq_f64_e64 s[0:1], 0, v[226:227]
	s_or_b64 s[16:17], vcc, s[0:1]
	v_mov_b32_e32 v238, 1
	v_mov_b32_e32 v241, 1
	s_and_saveexec_b64 s[0:1], s[16:17]
	s_cbranch_execz .LBB110_12
; %bb.7:
	v_cmp_ngt_f64_e64 s[16:17], |v[224:225]|, |v[226:227]|
	s_and_saveexec_b64 s[18:19], s[16:17]
	s_xor_b64 s[16:17], exec, s[18:19]
	s_cbranch_execz .LBB110_9
; %bb.8:
	v_div_scale_f64 v[144:145], s[18:19], v[226:227], v[226:227], v[224:225]
	v_rcp_f64_e32 v[146:147], v[144:145]
	v_div_scale_f64 v[152:153], vcc, v[224:225], v[226:227], v[224:225]
	v_fma_f64 v[154:155], -v[144:145], v[146:147], 1.0
	v_fmac_f64_e32 v[146:147], v[146:147], v[154:155]
	v_fma_f64 v[154:155], -v[144:145], v[146:147], 1.0
	v_fmac_f64_e32 v[146:147], v[146:147], v[154:155]
	v_mul_f64 v[154:155], v[152:153], v[146:147]
	v_fma_f64 v[144:145], -v[144:145], v[154:155], v[152:153]
	v_div_fmas_f64 v[144:145], v[144:145], v[146:147], v[154:155]
	v_div_fixup_f64 v[144:145], v[144:145], v[226:227], v[224:225]
	v_fmac_f64_e32 v[226:227], v[224:225], v[144:145]
	v_div_scale_f64 v[146:147], s[18:19], v[226:227], v[226:227], 1.0
	v_rcp_f64_e32 v[152:153], v[146:147]
	s_nop 0
	v_fma_f64 v[154:155], -v[146:147], v[152:153], 1.0
	v_fmac_f64_e32 v[152:153], v[152:153], v[154:155]
	v_fma_f64 v[154:155], -v[146:147], v[152:153], 1.0
	v_fmac_f64_e32 v[152:153], v[152:153], v[154:155]
	v_div_scale_f64 v[154:155], vcc, 1.0, v[226:227], 1.0
	v_mul_f64 v[224:225], v[154:155], v[152:153]
	v_fma_f64 v[146:147], -v[146:147], v[224:225], v[154:155]
	s_nop 1
	v_div_fmas_f64 v[146:147], v[146:147], v[152:153], v[224:225]
	v_div_fixup_f64 v[226:227], v[146:147], v[226:227], 1.0
	v_mul_f64 v[224:225], v[144:145], v[226:227]
	v_xor_b32_e32 v227, 0x80000000, v227
.LBB110_9:
	s_andn2_saveexec_b64 s[16:17], s[16:17]
	s_cbranch_execz .LBB110_11
; %bb.10:
	v_div_scale_f64 v[144:145], s[18:19], v[224:225], v[224:225], v[226:227]
	v_rcp_f64_e32 v[146:147], v[144:145]
	v_div_scale_f64 v[152:153], vcc, v[226:227], v[224:225], v[226:227]
	v_fma_f64 v[154:155], -v[144:145], v[146:147], 1.0
	v_fmac_f64_e32 v[146:147], v[146:147], v[154:155]
	v_fma_f64 v[154:155], -v[144:145], v[146:147], 1.0
	v_fmac_f64_e32 v[146:147], v[146:147], v[154:155]
	v_mul_f64 v[154:155], v[152:153], v[146:147]
	v_fma_f64 v[144:145], -v[144:145], v[154:155], v[152:153]
	v_div_fmas_f64 v[144:145], v[144:145], v[146:147], v[154:155]
	v_div_fixup_f64 v[144:145], v[144:145], v[224:225], v[226:227]
	v_fmac_f64_e32 v[224:225], v[226:227], v[144:145]
	v_div_scale_f64 v[146:147], s[18:19], v[224:225], v[224:225], 1.0
	v_rcp_f64_e32 v[152:153], v[146:147]
	s_nop 0
	v_fma_f64 v[154:155], -v[146:147], v[152:153], 1.0
	v_fmac_f64_e32 v[152:153], v[152:153], v[154:155]
	v_fma_f64 v[154:155], -v[146:147], v[152:153], 1.0
	v_fmac_f64_e32 v[152:153], v[152:153], v[154:155]
	v_div_scale_f64 v[154:155], vcc, 1.0, v[224:225], 1.0
	v_mul_f64 v[226:227], v[154:155], v[152:153]
	v_fma_f64 v[146:147], -v[146:147], v[226:227], v[154:155]
	s_nop 1
	v_div_fmas_f64 v[146:147], v[146:147], v[152:153], v[226:227]
	v_div_fixup_f64 v[224:225], v[146:147], v[224:225], 1.0
	v_mul_f64 v[226:227], v[144:145], -v[224:225]
.LBB110_11:
	s_or_b64 exec, exec, s[16:17]
	v_mov_b32_e32 v241, 0
	v_mov_b32_e32 v238, 2
.LBB110_12:
	s_or_b64 exec, exec, s[0:1]
	v_cmp_ne_u32_e32 vcc, v218, v235
	s_and_saveexec_b64 s[0:1], vcc
	s_xor_b64 s[0:1], exec, s[0:1]
	s_cbranch_execz .LBB110_18
; %bb.13:
	v_cmp_eq_u32_e32 vcc, 0, v218
	s_and_saveexec_b64 s[16:17], vcc
	s_cbranch_execz .LBB110_17
; %bb.14:
	v_cmp_ne_u32_e32 vcc, 0, v235
	s_xor_b64 s[18:19], s[14:15], -1
	s_and_b64 s[22:23], s[18:19], vcc
	s_and_saveexec_b64 s[18:19], s[22:23]
	s_cbranch_execz .LBB110_16
; %bb.15:
	v_ashrrev_i32_e32 v145, 31, v235
	v_mov_b32_e32 v144, v235
	s_waitcnt vmcnt(0)
	v_lshl_add_u64 v[144:145], v[144:145], 2, v[212:213]
	global_load_dword v146, v[144:145], off
	global_load_dword v147, v[212:213], off
	s_waitcnt vmcnt(1)
	global_store_dword v[212:213], v146, off
	s_waitcnt vmcnt(1)
	global_store_dword v[144:145], v147, off
.LBB110_16:
	s_or_b64 exec, exec, s[18:19]
	v_mov_b32_e32 v218, v235
.LBB110_17:
	s_or_b64 exec, exec, s[16:17]
.LBB110_18:
	s_or_saveexec_b64 s[0:1], s[0:1]
	v_mov_b32_e32 v237, v218
	s_xor_b64 exec, exec, s[0:1]
	s_cbranch_execz .LBB110_20
; %bb.19:
	scratch_load_dwordx4 v[144:147], off, off ; 16-byte Folded Reload
	v_mov_b32_e32 v237, 0
	s_waitcnt vmcnt(2)
	ds_write2_b64 v236, v[246:247], v[248:249] offset0:2 offset1:3
	s_waitcnt vmcnt(0)
	ds_write2_b64 v236, v[144:145], v[146:147] offset0:4 offset1:5
	ds_write2_b64 v236, v[214:215], v[216:217] offset0:6 offset1:7
	;; [unrolled: 1-line block ×54, first 2 shown]
.LBB110_20:
	s_or_b64 exec, exec, s[0:1]
	v_cmp_lt_i32_e32 vcc, 0, v237
	s_waitcnt lgkmcnt(0)
	s_barrier
	s_and_saveexec_b64 s[0:1], vcc
	s_cbranch_execz .LBB110_22
; %bb.21:
	scratch_load_dwordx4 v[152:155], off, off ; 16-byte Folded Reload
	ds_read2_b64 v[242:245], v236 offset0:2 offset1:3
	v_mul_f64 v[144:145], v[226:227], v[252:253]
	v_mul_f64 v[252:253], v[224:225], v[252:253]
	v_fma_f64 v[234:235], v[224:225], v[250:251], -v[144:145]
	v_fmac_f64_e32 v[252:253], v[226:227], v[250:251]
	ds_read2_b64 v[224:227], v236 offset0:4 offset1:5
	s_waitcnt lgkmcnt(1)
	v_mul_f64 v[144:145], v[244:245], v[252:253]
	v_mul_f64 v[146:147], v[242:243], v[252:253]
	v_fma_f64 v[144:145], v[242:243], v[234:235], -v[144:145]
	v_fmac_f64_e32 v[146:147], v[244:245], v[234:235]
	ds_read2_b64 v[242:245], v236 offset0:6 offset1:7
	s_waitcnt vmcnt(2)
	v_add_f64 v[246:247], v[246:247], -v[144:145]
	v_add_f64 v[248:249], v[248:249], -v[146:147]
	s_waitcnt lgkmcnt(1)
	v_mul_f64 v[144:145], v[226:227], v[252:253]
	v_mul_f64 v[146:147], v[224:225], v[252:253]
	v_fma_f64 v[144:145], v[224:225], v[234:235], -v[144:145]
	v_fmac_f64_e32 v[146:147], v[226:227], v[234:235]
	ds_read2_b64 v[224:227], v236 offset0:8 offset1:9
	v_mov_b64_e32 v[250:251], v[234:235]
	s_waitcnt vmcnt(0)
	v_add_f64 v[152:153], v[152:153], -v[144:145]
	v_add_f64 v[154:155], v[154:155], -v[146:147]
	s_waitcnt lgkmcnt(1)
	v_mul_f64 v[144:145], v[244:245], v[252:253]
	v_mul_f64 v[146:147], v[242:243], v[252:253]
	v_fma_f64 v[144:145], v[242:243], v[234:235], -v[144:145]
	v_fmac_f64_e32 v[146:147], v[244:245], v[234:235]
	ds_read2_b64 v[242:245], v236 offset0:10 offset1:11
	v_add_f64 v[214:215], v[214:215], -v[144:145]
	v_add_f64 v[216:217], v[216:217], -v[146:147]
	s_waitcnt lgkmcnt(1)
	v_mul_f64 v[144:145], v[226:227], v[252:253]
	v_mul_f64 v[146:147], v[224:225], v[252:253]
	v_fma_f64 v[144:145], v[224:225], v[234:235], -v[144:145]
	v_fmac_f64_e32 v[146:147], v[226:227], v[234:235]
	ds_read2_b64 v[224:227], v236 offset0:12 offset1:13
	;; [unrolled: 8-line block ×51, first 2 shown]
	v_add_f64 v[4:5], v[4:5], -v[144:145]
	v_add_f64 v[6:7], v[6:7], -v[146:147]
	s_waitcnt lgkmcnt(1)
	v_mul_f64 v[144:145], v[226:227], v[252:253]
	v_mul_f64 v[146:147], v[224:225], v[252:253]
	v_fma_f64 v[144:145], v[224:225], v[234:235], -v[144:145]
	v_fmac_f64_e32 v[146:147], v[226:227], v[234:235]
	v_add_f64 v[0:1], v[0:1], -v[144:145]
	v_add_f64 v[2:3], v[2:3], -v[146:147]
	s_waitcnt lgkmcnt(0)
	v_mul_f64 v[144:145], v[244:245], v[252:253]
	v_mul_f64 v[146:147], v[242:243], v[252:253]
	v_fma_f64 v[144:145], v[242:243], v[234:235], -v[144:145]
	v_fmac_f64_e32 v[146:147], v[244:245], v[234:235]
	v_add_f64 v[220:221], v[220:221], -v[144:145]
	v_add_f64 v[222:223], v[222:223], -v[146:147]
	scratch_store_dwordx4 off, v[152:155], off ; 16-byte Folded Spill
.LBB110_22:
	s_or_b64 exec, exec, s[0:1]
	v_lshl_add_u32 v144, v237, 4, v236
	s_barrier
	s_waitcnt vmcnt(1)
	ds_write2_b64 v144, v[246:247], v[248:249] offset1:1
	s_waitcnt lgkmcnt(0)
	s_barrier
	ds_read2_b64 v[224:227], v236 offset0:2 offset1:3
	s_cmp_lt_i32 s20, 3
	v_mov_b32_e32 v234, 1
	s_cbranch_scc1 .LBB110_25
; %bb.23:
	v_add3_u32 v235, v240, 0, 32
	s_mov_b32 s16, 2
	v_mov_b32_e32 v234, 1
.LBB110_24:                             ; =>This Inner Loop Header: Depth=1
	ds_read2_b64 v[242:245], v235 offset1:1
	s_waitcnt lgkmcnt(1)
	v_xor_b32_e32 v145, 0x80000000, v225
	v_xor_b32_e32 v147, 0x80000000, v227
	v_cmp_gt_f64_e32 vcc, 0, v[226:227]
	v_cmp_gt_f64_e64 s[0:1], 0, v[224:225]
	v_mov_b32_e32 v144, v224
	v_mov_b32_e32 v146, v226
	v_cndmask_b32_e64 v145, v225, v145, s[0:1]
	v_cndmask_b32_e32 v147, v227, v147, vcc
	v_add_f64 v[144:145], v[144:145], v[146:147]
	s_waitcnt lgkmcnt(0)
	v_xor_b32_e32 v147, 0x80000000, v243
	v_xor_b32_e32 v153, 0x80000000, v245
	v_cmp_gt_f64_e32 vcc, 0, v[244:245]
	v_cmp_gt_f64_e64 s[0:1], 0, v[242:243]
	v_mov_b32_e32 v146, v242
	v_mov_b32_e32 v152, v244
	v_cndmask_b32_e64 v147, v243, v147, s[0:1]
	v_cndmask_b32_e32 v153, v245, v153, vcc
	v_add_f64 v[146:147], v[146:147], v[152:153]
	v_mov_b32_e32 v154, s16
	s_add_i32 s16, s16, 1
	v_cmp_lt_f64_e32 vcc, v[144:145], v[146:147]
	v_add_u32_e32 v235, 16, v235
	s_cmp_lg_u32 s20, s16
	v_cndmask_b32_e32 v225, v225, v243, vcc
	v_cndmask_b32_e32 v224, v224, v242, vcc
	;; [unrolled: 1-line block ×5, first 2 shown]
	s_cbranch_scc1 .LBB110_24
.LBB110_25:
	s_waitcnt lgkmcnt(0)
	v_cmp_neq_f64_e32 vcc, 0, v[224:225]
	v_cmp_neq_f64_e64 s[0:1], 0, v[226:227]
	s_or_b64 s[16:17], vcc, s[0:1]
	s_and_saveexec_b64 s[0:1], s[16:17]
	s_cbranch_execz .LBB110_31
; %bb.26:
	v_cmp_ngt_f64_e64 s[16:17], |v[224:225]|, |v[226:227]|
	s_and_saveexec_b64 s[18:19], s[16:17]
	s_xor_b64 s[16:17], exec, s[18:19]
	s_cbranch_execz .LBB110_28
; %bb.27:
	v_div_scale_f64 v[144:145], s[18:19], v[226:227], v[226:227], v[224:225]
	v_rcp_f64_e32 v[146:147], v[144:145]
	v_div_scale_f64 v[152:153], vcc, v[224:225], v[226:227], v[224:225]
	v_fma_f64 v[154:155], -v[144:145], v[146:147], 1.0
	v_fmac_f64_e32 v[146:147], v[146:147], v[154:155]
	v_fma_f64 v[154:155], -v[144:145], v[146:147], 1.0
	v_fmac_f64_e32 v[146:147], v[146:147], v[154:155]
	v_mul_f64 v[154:155], v[152:153], v[146:147]
	v_fma_f64 v[144:145], -v[144:145], v[154:155], v[152:153]
	v_div_fmas_f64 v[144:145], v[144:145], v[146:147], v[154:155]
	v_div_fixup_f64 v[144:145], v[144:145], v[226:227], v[224:225]
	v_fmac_f64_e32 v[226:227], v[224:225], v[144:145]
	v_div_scale_f64 v[146:147], s[18:19], v[226:227], v[226:227], 1.0
	v_rcp_f64_e32 v[152:153], v[146:147]
	s_nop 0
	v_fma_f64 v[154:155], -v[146:147], v[152:153], 1.0
	v_fmac_f64_e32 v[152:153], v[152:153], v[154:155]
	v_fma_f64 v[154:155], -v[146:147], v[152:153], 1.0
	v_fmac_f64_e32 v[152:153], v[152:153], v[154:155]
	v_div_scale_f64 v[154:155], vcc, 1.0, v[226:227], 1.0
	v_mul_f64 v[224:225], v[154:155], v[152:153]
	v_fma_f64 v[146:147], -v[146:147], v[224:225], v[154:155]
	s_nop 1
	v_div_fmas_f64 v[146:147], v[146:147], v[152:153], v[224:225]
	v_div_fixup_f64 v[226:227], v[146:147], v[226:227], 1.0
	v_mul_f64 v[224:225], v[144:145], v[226:227]
	v_xor_b32_e32 v227, 0x80000000, v227
.LBB110_28:
	s_andn2_saveexec_b64 s[16:17], s[16:17]
	s_cbranch_execz .LBB110_30
; %bb.29:
	v_div_scale_f64 v[144:145], s[18:19], v[224:225], v[224:225], v[226:227]
	v_rcp_f64_e32 v[146:147], v[144:145]
	v_div_scale_f64 v[152:153], vcc, v[226:227], v[224:225], v[226:227]
	v_fma_f64 v[154:155], -v[144:145], v[146:147], 1.0
	v_fmac_f64_e32 v[146:147], v[146:147], v[154:155]
	v_fma_f64 v[154:155], -v[144:145], v[146:147], 1.0
	v_fmac_f64_e32 v[146:147], v[146:147], v[154:155]
	v_mul_f64 v[154:155], v[152:153], v[146:147]
	v_fma_f64 v[144:145], -v[144:145], v[154:155], v[152:153]
	v_div_fmas_f64 v[144:145], v[144:145], v[146:147], v[154:155]
	v_div_fixup_f64 v[144:145], v[144:145], v[224:225], v[226:227]
	v_fmac_f64_e32 v[224:225], v[226:227], v[144:145]
	v_div_scale_f64 v[146:147], s[18:19], v[224:225], v[224:225], 1.0
	v_rcp_f64_e32 v[152:153], v[146:147]
	s_nop 0
	v_fma_f64 v[154:155], -v[146:147], v[152:153], 1.0
	v_fmac_f64_e32 v[152:153], v[152:153], v[154:155]
	v_fma_f64 v[154:155], -v[146:147], v[152:153], 1.0
	v_fmac_f64_e32 v[152:153], v[152:153], v[154:155]
	v_div_scale_f64 v[154:155], vcc, 1.0, v[224:225], 1.0
	v_mul_f64 v[226:227], v[154:155], v[152:153]
	v_fma_f64 v[146:147], -v[146:147], v[226:227], v[154:155]
	s_nop 1
	v_div_fmas_f64 v[146:147], v[146:147], v[152:153], v[226:227]
	v_div_fixup_f64 v[224:225], v[146:147], v[224:225], 1.0
	v_mul_f64 v[226:227], v[144:145], -v[224:225]
.LBB110_30:
	s_or_b64 exec, exec, s[16:17]
	v_mov_b32_e32 v238, v241
.LBB110_31:
	s_or_b64 exec, exec, s[0:1]
	v_cmp_ne_u32_e32 vcc, v237, v234
	s_and_saveexec_b64 s[0:1], vcc
	s_xor_b64 s[0:1], exec, s[0:1]
	s_cbranch_execz .LBB110_37
; %bb.32:
	v_cmp_eq_u32_e32 vcc, 1, v237
	s_and_saveexec_b64 s[16:17], vcc
	s_cbranch_execz .LBB110_36
; %bb.33:
	v_cmp_ne_u32_e32 vcc, 1, v234
	s_xor_b64 s[18:19], s[14:15], -1
	s_and_b64 s[22:23], s[18:19], vcc
	s_and_saveexec_b64 s[18:19], s[22:23]
	s_cbranch_execz .LBB110_35
; %bb.34:
	v_ashrrev_i32_e32 v235, 31, v234
	s_waitcnt vmcnt(0)
	v_lshl_add_u64 v[144:145], v[234:235], 2, v[212:213]
	global_load_dword v146, v[144:145], off
	global_load_dword v147, v[212:213], off offset:4
	s_waitcnt vmcnt(1)
	global_store_dword v[212:213], v146, off offset:4
	s_waitcnt vmcnt(1)
	global_store_dword v[144:145], v147, off
.LBB110_35:
	s_or_b64 exec, exec, s[18:19]
	v_mov_b32_e32 v237, v234
	v_mov_b32_e32 v218, v234
.LBB110_36:
	s_or_b64 exec, exec, s[16:17]
.LBB110_37:
	s_andn2_saveexec_b64 s[0:1], s[0:1]
	s_cbranch_execz .LBB110_39
; %bb.38:
	scratch_load_dwordx4 v[144:147], off, off ; 16-byte Folded Reload
	v_mov_b32_e32 v237, 1
	s_waitcnt vmcnt(0)
	ds_write2_b64 v236, v[144:145], v[146:147] offset0:4 offset1:5
	ds_write2_b64 v236, v[214:215], v[216:217] offset0:6 offset1:7
	;; [unrolled: 1-line block ×54, first 2 shown]
.LBB110_39:
	s_or_b64 exec, exec, s[0:1]
	v_cmp_lt_i32_e32 vcc, 1, v237
	s_waitcnt lgkmcnt(0)
	s_barrier
	s_and_saveexec_b64 s[0:1], vcc
	s_cbranch_execz .LBB110_41
; %bb.40:
	scratch_load_dwordx4 v[152:155], off, off ; 16-byte Folded Reload
	ds_read2_b64 v[242:245], v236 offset0:4 offset1:5
	v_mul_f64 v[144:145], v[226:227], v[248:249]
	v_mul_f64 v[248:249], v[224:225], v[248:249]
	v_fma_f64 v[234:235], v[224:225], v[246:247], -v[144:145]
	v_fmac_f64_e32 v[248:249], v[226:227], v[246:247]
	ds_read2_b64 v[224:227], v236 offset0:6 offset1:7
	s_waitcnt lgkmcnt(1)
	v_mul_f64 v[144:145], v[244:245], v[248:249]
	v_mul_f64 v[146:147], v[242:243], v[248:249]
	v_fma_f64 v[144:145], v[242:243], v[234:235], -v[144:145]
	v_fmac_f64_e32 v[146:147], v[244:245], v[234:235]
	ds_read2_b64 v[242:245], v236 offset0:8 offset1:9
	v_mov_b64_e32 v[246:247], v[234:235]
	s_waitcnt vmcnt(0)
	v_add_f64 v[152:153], v[152:153], -v[144:145]
	v_add_f64 v[154:155], v[154:155], -v[146:147]
	s_waitcnt lgkmcnt(1)
	v_mul_f64 v[144:145], v[226:227], v[248:249]
	v_mul_f64 v[146:147], v[224:225], v[248:249]
	v_fma_f64 v[144:145], v[224:225], v[234:235], -v[144:145]
	v_fmac_f64_e32 v[146:147], v[226:227], v[234:235]
	ds_read2_b64 v[224:227], v236 offset0:10 offset1:11
	v_add_f64 v[214:215], v[214:215], -v[144:145]
	v_add_f64 v[216:217], v[216:217], -v[146:147]
	s_waitcnt lgkmcnt(1)
	v_mul_f64 v[144:145], v[244:245], v[248:249]
	v_mul_f64 v[146:147], v[242:243], v[248:249]
	v_fma_f64 v[144:145], v[242:243], v[234:235], -v[144:145]
	v_fmac_f64_e32 v[146:147], v[244:245], v[234:235]
	ds_read2_b64 v[242:245], v236 offset0:12 offset1:13
	;; [unrolled: 8-line block ×51, first 2 shown]
	v_add_f64 v[4:5], v[4:5], -v[144:145]
	v_add_f64 v[6:7], v[6:7], -v[146:147]
	s_waitcnt lgkmcnt(1)
	v_mul_f64 v[144:145], v[244:245], v[248:249]
	v_mul_f64 v[146:147], v[242:243], v[248:249]
	v_fma_f64 v[144:145], v[242:243], v[234:235], -v[144:145]
	v_fmac_f64_e32 v[146:147], v[244:245], v[234:235]
	v_add_f64 v[0:1], v[0:1], -v[144:145]
	v_add_f64 v[2:3], v[2:3], -v[146:147]
	s_waitcnt lgkmcnt(0)
	v_mul_f64 v[144:145], v[226:227], v[248:249]
	v_mul_f64 v[146:147], v[224:225], v[248:249]
	v_fma_f64 v[144:145], v[224:225], v[234:235], -v[144:145]
	v_fmac_f64_e32 v[146:147], v[226:227], v[234:235]
	v_add_f64 v[220:221], v[220:221], -v[144:145]
	v_add_f64 v[222:223], v[222:223], -v[146:147]
	scratch_store_dwordx4 off, v[152:155], off ; 16-byte Folded Spill
.LBB110_41:
	s_or_b64 exec, exec, s[0:1]
	s_barrier
	scratch_load_dwordx4 v[152:155], off, off ; 16-byte Folded Reload
	v_lshl_add_u32 v144, v237, 4, v236
	s_cmp_lt_i32 s20, 4
	v_mov_b32_e32 v234, 2
	s_waitcnt vmcnt(0)
	ds_write2_b64 v144, v[152:153], v[154:155] offset1:1
	s_waitcnt lgkmcnt(0)
	s_barrier
	ds_read2_b64 v[224:227], v236 offset0:4 offset1:5
	s_cbranch_scc1 .LBB110_44
; %bb.42:
	v_add3_u32 v235, v240, 0, 48
	s_mov_b32 s16, 3
	v_mov_b32_e32 v234, 2
.LBB110_43:                             ; =>This Inner Loop Header: Depth=1
	ds_read2_b64 v[242:245], v235 offset1:1
	s_waitcnt lgkmcnt(1)
	v_xor_b32_e32 v145, 0x80000000, v225
	v_xor_b32_e32 v147, 0x80000000, v227
	v_cmp_gt_f64_e32 vcc, 0, v[226:227]
	v_cmp_gt_f64_e64 s[0:1], 0, v[224:225]
	v_mov_b32_e32 v144, v224
	v_mov_b32_e32 v146, v226
	v_cndmask_b32_e64 v145, v225, v145, s[0:1]
	v_cndmask_b32_e32 v147, v227, v147, vcc
	v_add_f64 v[144:145], v[144:145], v[146:147]
	s_waitcnt lgkmcnt(0)
	v_xor_b32_e32 v147, 0x80000000, v243
	v_xor_b32_e32 v153, 0x80000000, v245
	v_cmp_gt_f64_e32 vcc, 0, v[244:245]
	v_cmp_gt_f64_e64 s[0:1], 0, v[242:243]
	v_mov_b32_e32 v146, v242
	v_mov_b32_e32 v152, v244
	v_cndmask_b32_e64 v147, v243, v147, s[0:1]
	v_cndmask_b32_e32 v153, v245, v153, vcc
	v_add_f64 v[146:147], v[146:147], v[152:153]
	v_mov_b32_e32 v154, s16
	s_add_i32 s16, s16, 1
	v_cmp_lt_f64_e32 vcc, v[144:145], v[146:147]
	v_add_u32_e32 v235, 16, v235
	s_cmp_lg_u32 s20, s16
	v_cndmask_b32_e32 v225, v225, v243, vcc
	v_cndmask_b32_e32 v224, v224, v242, vcc
	;; [unrolled: 1-line block ×5, first 2 shown]
	s_cbranch_scc1 .LBB110_43
.LBB110_44:
	s_waitcnt lgkmcnt(0)
	v_cmp_eq_f64_e32 vcc, 0, v[224:225]
	v_cmp_eq_f64_e64 s[0:1], 0, v[226:227]
	s_and_b64 s[0:1], vcc, s[0:1]
	s_and_saveexec_b64 s[16:17], s[0:1]
	s_xor_b64 s[0:1], exec, s[16:17]
; %bb.45:
	v_cmp_ne_u32_e32 vcc, 0, v238
	s_nop 1
	v_cndmask_b32_e32 v238, 3, v238, vcc
; %bb.46:
	s_andn2_saveexec_b64 s[0:1], s[0:1]
	s_cbranch_execz .LBB110_52
; %bb.47:
	v_cmp_ngt_f64_e64 s[16:17], |v[224:225]|, |v[226:227]|
	s_and_saveexec_b64 s[18:19], s[16:17]
	s_xor_b64 s[16:17], exec, s[18:19]
	s_cbranch_execz .LBB110_49
; %bb.48:
	v_div_scale_f64 v[144:145], s[18:19], v[226:227], v[226:227], v[224:225]
	v_rcp_f64_e32 v[146:147], v[144:145]
	v_div_scale_f64 v[152:153], vcc, v[224:225], v[226:227], v[224:225]
	v_fma_f64 v[154:155], -v[144:145], v[146:147], 1.0
	v_fmac_f64_e32 v[146:147], v[146:147], v[154:155]
	v_fma_f64 v[154:155], -v[144:145], v[146:147], 1.0
	v_fmac_f64_e32 v[146:147], v[146:147], v[154:155]
	v_mul_f64 v[154:155], v[152:153], v[146:147]
	v_fma_f64 v[144:145], -v[144:145], v[154:155], v[152:153]
	v_div_fmas_f64 v[144:145], v[144:145], v[146:147], v[154:155]
	v_div_fixup_f64 v[144:145], v[144:145], v[226:227], v[224:225]
	v_fmac_f64_e32 v[226:227], v[224:225], v[144:145]
	v_div_scale_f64 v[146:147], s[18:19], v[226:227], v[226:227], 1.0
	v_rcp_f64_e32 v[152:153], v[146:147]
	s_nop 0
	v_fma_f64 v[154:155], -v[146:147], v[152:153], 1.0
	v_fmac_f64_e32 v[152:153], v[152:153], v[154:155]
	v_fma_f64 v[154:155], -v[146:147], v[152:153], 1.0
	v_fmac_f64_e32 v[152:153], v[152:153], v[154:155]
	v_div_scale_f64 v[154:155], vcc, 1.0, v[226:227], 1.0
	v_mul_f64 v[224:225], v[154:155], v[152:153]
	v_fma_f64 v[146:147], -v[146:147], v[224:225], v[154:155]
	s_nop 1
	v_div_fmas_f64 v[146:147], v[146:147], v[152:153], v[224:225]
	v_div_fixup_f64 v[226:227], v[146:147], v[226:227], 1.0
	v_mul_f64 v[224:225], v[144:145], v[226:227]
	v_xor_b32_e32 v227, 0x80000000, v227
.LBB110_49:
	s_andn2_saveexec_b64 s[16:17], s[16:17]
	s_cbranch_execz .LBB110_51
; %bb.50:
	v_div_scale_f64 v[144:145], s[18:19], v[224:225], v[224:225], v[226:227]
	v_rcp_f64_e32 v[146:147], v[144:145]
	v_div_scale_f64 v[152:153], vcc, v[226:227], v[224:225], v[226:227]
	v_fma_f64 v[154:155], -v[144:145], v[146:147], 1.0
	v_fmac_f64_e32 v[146:147], v[146:147], v[154:155]
	v_fma_f64 v[154:155], -v[144:145], v[146:147], 1.0
	v_fmac_f64_e32 v[146:147], v[146:147], v[154:155]
	v_mul_f64 v[154:155], v[152:153], v[146:147]
	v_fma_f64 v[144:145], -v[144:145], v[154:155], v[152:153]
	v_div_fmas_f64 v[144:145], v[144:145], v[146:147], v[154:155]
	v_div_fixup_f64 v[144:145], v[144:145], v[224:225], v[226:227]
	v_fmac_f64_e32 v[224:225], v[226:227], v[144:145]
	v_div_scale_f64 v[146:147], s[18:19], v[224:225], v[224:225], 1.0
	v_rcp_f64_e32 v[152:153], v[146:147]
	s_nop 0
	v_fma_f64 v[154:155], -v[146:147], v[152:153], 1.0
	v_fmac_f64_e32 v[152:153], v[152:153], v[154:155]
	v_fma_f64 v[154:155], -v[146:147], v[152:153], 1.0
	v_fmac_f64_e32 v[152:153], v[152:153], v[154:155]
	v_div_scale_f64 v[154:155], vcc, 1.0, v[224:225], 1.0
	v_mul_f64 v[226:227], v[154:155], v[152:153]
	v_fma_f64 v[146:147], -v[146:147], v[226:227], v[154:155]
	s_nop 1
	v_div_fmas_f64 v[146:147], v[146:147], v[152:153], v[226:227]
	v_div_fixup_f64 v[224:225], v[146:147], v[224:225], 1.0
	v_mul_f64 v[226:227], v[144:145], -v[224:225]
.LBB110_51:
	s_or_b64 exec, exec, s[16:17]
.LBB110_52:
	s_or_b64 exec, exec, s[0:1]
	v_cmp_ne_u32_e32 vcc, v237, v234
	s_and_saveexec_b64 s[0:1], vcc
	s_xor_b64 s[0:1], exec, s[0:1]
	s_cbranch_execz .LBB110_58
; %bb.53:
	v_cmp_eq_u32_e32 vcc, 2, v237
	s_and_saveexec_b64 s[16:17], vcc
	s_cbranch_execz .LBB110_57
; %bb.54:
	v_cmp_ne_u32_e32 vcc, 2, v234
	s_xor_b64 s[18:19], s[14:15], -1
	s_and_b64 s[22:23], s[18:19], vcc
	s_and_saveexec_b64 s[18:19], s[22:23]
	s_cbranch_execz .LBB110_56
; %bb.55:
	v_ashrrev_i32_e32 v235, 31, v234
	v_lshl_add_u64 v[144:145], v[234:235], 2, v[212:213]
	global_load_dword v146, v[144:145], off
	global_load_dword v147, v[212:213], off offset:8
	s_waitcnt vmcnt(1)
	global_store_dword v[212:213], v146, off offset:8
	s_waitcnt vmcnt(1)
	global_store_dword v[144:145], v147, off
.LBB110_56:
	s_or_b64 exec, exec, s[18:19]
	v_mov_b32_e32 v237, v234
	v_mov_b32_e32 v218, v234
.LBB110_57:
	s_or_b64 exec, exec, s[16:17]
.LBB110_58:
	s_andn2_saveexec_b64 s[0:1], s[0:1]
	s_cbranch_execz .LBB110_60
; %bb.59:
	v_mov_b32_e32 v237, 2
	ds_write2_b64 v236, v[214:215], v[216:217] offset0:6 offset1:7
	ds_write2_b64 v236, v[208:209], v[210:211] offset0:8 offset1:9
	;; [unrolled: 1-line block ×53, first 2 shown]
.LBB110_60:
	s_or_b64 exec, exec, s[0:1]
	v_cmp_lt_i32_e32 vcc, 2, v237
	s_waitcnt lgkmcnt(0)
	s_barrier
	s_and_saveexec_b64 s[0:1], vcc
	s_cbranch_execz .LBB110_62
; %bb.61:
	scratch_load_dwordx4 v[152:155], off, off ; 16-byte Folded Reload
	ds_read2_b64 v[242:245], v236 offset0:6 offset1:7
	s_waitcnt vmcnt(0)
	v_mul_f64 v[144:145], v[226:227], v[154:155]
	v_mul_f64 v[154:155], v[224:225], v[154:155]
	v_fma_f64 v[234:235], v[224:225], v[152:153], -v[144:145]
	v_fmac_f64_e32 v[154:155], v[226:227], v[152:153]
	ds_read2_b64 v[224:227], v236 offset0:8 offset1:9
	s_waitcnt lgkmcnt(1)
	v_mul_f64 v[144:145], v[244:245], v[154:155]
	v_mul_f64 v[146:147], v[242:243], v[154:155]
	v_fma_f64 v[144:145], v[242:243], v[234:235], -v[144:145]
	v_fmac_f64_e32 v[146:147], v[244:245], v[234:235]
	ds_read2_b64 v[242:245], v236 offset0:10 offset1:11
	v_add_f64 v[214:215], v[214:215], -v[144:145]
	v_add_f64 v[216:217], v[216:217], -v[146:147]
	s_waitcnt lgkmcnt(1)
	v_mul_f64 v[144:145], v[226:227], v[154:155]
	v_mul_f64 v[146:147], v[224:225], v[154:155]
	v_fma_f64 v[144:145], v[224:225], v[234:235], -v[144:145]
	v_fmac_f64_e32 v[146:147], v[226:227], v[234:235]
	ds_read2_b64 v[224:227], v236 offset0:12 offset1:13
	v_add_f64 v[208:209], v[208:209], -v[144:145]
	v_add_f64 v[210:211], v[210:211], -v[146:147]
	;; [unrolled: 8-line block ×51, first 2 shown]
	s_waitcnt lgkmcnt(1)
	v_mul_f64 v[144:145], v[226:227], v[154:155]
	v_mul_f64 v[146:147], v[224:225], v[154:155]
	v_fma_f64 v[144:145], v[224:225], v[234:235], -v[144:145]
	v_fmac_f64_e32 v[146:147], v[226:227], v[234:235]
	v_add_f64 v[0:1], v[0:1], -v[144:145]
	v_add_f64 v[2:3], v[2:3], -v[146:147]
	s_waitcnt lgkmcnt(0)
	v_mul_f64 v[144:145], v[244:245], v[154:155]
	v_mul_f64 v[146:147], v[242:243], v[154:155]
	v_fma_f64 v[144:145], v[242:243], v[234:235], -v[144:145]
	v_fmac_f64_e32 v[146:147], v[244:245], v[234:235]
	v_add_f64 v[220:221], v[220:221], -v[144:145]
	v_add_f64 v[222:223], v[222:223], -v[146:147]
	v_mov_b64_e32 v[152:153], v[234:235]
	scratch_store_dwordx4 off, v[152:155], off ; 16-byte Folded Spill
.LBB110_62:
	s_or_b64 exec, exec, s[0:1]
	v_lshl_add_u32 v144, v237, 4, v236
	s_barrier
	ds_write2_b64 v144, v[214:215], v[216:217] offset1:1
	s_waitcnt lgkmcnt(0)
	s_barrier
	ds_read2_b64 v[224:227], v236 offset0:6 offset1:7
	s_mov_b32 s16, 4
	s_cmp_lt_i32 s20, 5
	v_mov_b32_e32 v234, 3
	s_cbranch_scc1 .LBB110_65
; %bb.63:
	v_add3_u32 v235, v240, 0, 64
	v_mov_b32_e32 v234, 3
.LBB110_64:                             ; =>This Inner Loop Header: Depth=1
	ds_read2_b64 v[240:243], v235 offset1:1
	s_waitcnt lgkmcnt(1)
	v_xor_b32_e32 v145, 0x80000000, v225
	v_xor_b32_e32 v147, 0x80000000, v227
	v_cmp_gt_f64_e32 vcc, 0, v[226:227]
	v_cmp_gt_f64_e64 s[0:1], 0, v[224:225]
	v_mov_b32_e32 v144, v224
	v_mov_b32_e32 v146, v226
	v_cndmask_b32_e64 v145, v225, v145, s[0:1]
	v_cndmask_b32_e32 v147, v227, v147, vcc
	v_add_f64 v[144:145], v[144:145], v[146:147]
	s_waitcnt lgkmcnt(0)
	v_xor_b32_e32 v147, 0x80000000, v241
	v_xor_b32_e32 v153, 0x80000000, v243
	v_cmp_gt_f64_e32 vcc, 0, v[242:243]
	v_cmp_gt_f64_e64 s[0:1], 0, v[240:241]
	v_mov_b32_e32 v146, v240
	v_mov_b32_e32 v152, v242
	v_cndmask_b32_e64 v147, v241, v147, s[0:1]
	v_cndmask_b32_e32 v153, v243, v153, vcc
	v_add_f64 v[146:147], v[146:147], v[152:153]
	v_mov_b32_e32 v154, s16
	s_add_i32 s16, s16, 1
	v_cmp_lt_f64_e32 vcc, v[144:145], v[146:147]
	v_add_u32_e32 v235, 16, v235
	s_cmp_lg_u32 s20, s16
	v_cndmask_b32_e32 v225, v225, v241, vcc
	v_cndmask_b32_e32 v224, v224, v240, vcc
	;; [unrolled: 1-line block ×5, first 2 shown]
	s_cbranch_scc1 .LBB110_64
.LBB110_65:
	s_waitcnt lgkmcnt(0)
	v_cmp_eq_f64_e32 vcc, 0, v[224:225]
	v_cmp_eq_f64_e64 s[0:1], 0, v[226:227]
	s_and_b64 s[0:1], vcc, s[0:1]
	s_and_saveexec_b64 s[16:17], s[0:1]
	s_xor_b64 s[0:1], exec, s[16:17]
; %bb.66:
	v_cmp_ne_u32_e32 vcc, 0, v238
	s_nop 1
	v_cndmask_b32_e32 v238, 4, v238, vcc
; %bb.67:
	s_andn2_saveexec_b64 s[0:1], s[0:1]
	s_cbranch_execz .LBB110_73
; %bb.68:
	v_cmp_ngt_f64_e64 s[16:17], |v[224:225]|, |v[226:227]|
	s_and_saveexec_b64 s[18:19], s[16:17]
	s_xor_b64 s[16:17], exec, s[18:19]
	s_cbranch_execz .LBB110_70
; %bb.69:
	v_div_scale_f64 v[144:145], s[18:19], v[226:227], v[226:227], v[224:225]
	v_rcp_f64_e32 v[146:147], v[144:145]
	v_div_scale_f64 v[152:153], vcc, v[224:225], v[226:227], v[224:225]
	v_fma_f64 v[154:155], -v[144:145], v[146:147], 1.0
	v_fmac_f64_e32 v[146:147], v[146:147], v[154:155]
	v_fma_f64 v[154:155], -v[144:145], v[146:147], 1.0
	v_fmac_f64_e32 v[146:147], v[146:147], v[154:155]
	v_mul_f64 v[154:155], v[152:153], v[146:147]
	v_fma_f64 v[144:145], -v[144:145], v[154:155], v[152:153]
	v_div_fmas_f64 v[144:145], v[144:145], v[146:147], v[154:155]
	v_div_fixup_f64 v[144:145], v[144:145], v[226:227], v[224:225]
	v_fmac_f64_e32 v[226:227], v[224:225], v[144:145]
	v_div_scale_f64 v[146:147], s[18:19], v[226:227], v[226:227], 1.0
	v_rcp_f64_e32 v[152:153], v[146:147]
	s_nop 0
	v_fma_f64 v[154:155], -v[146:147], v[152:153], 1.0
	v_fmac_f64_e32 v[152:153], v[152:153], v[154:155]
	v_fma_f64 v[154:155], -v[146:147], v[152:153], 1.0
	v_fmac_f64_e32 v[152:153], v[152:153], v[154:155]
	v_div_scale_f64 v[154:155], vcc, 1.0, v[226:227], 1.0
	v_mul_f64 v[224:225], v[154:155], v[152:153]
	v_fma_f64 v[146:147], -v[146:147], v[224:225], v[154:155]
	s_nop 1
	v_div_fmas_f64 v[146:147], v[146:147], v[152:153], v[224:225]
	v_div_fixup_f64 v[226:227], v[146:147], v[226:227], 1.0
	v_mul_f64 v[224:225], v[144:145], v[226:227]
	v_xor_b32_e32 v227, 0x80000000, v227
.LBB110_70:
	s_andn2_saveexec_b64 s[16:17], s[16:17]
	s_cbranch_execz .LBB110_72
; %bb.71:
	v_div_scale_f64 v[144:145], s[18:19], v[224:225], v[224:225], v[226:227]
	v_rcp_f64_e32 v[146:147], v[144:145]
	v_div_scale_f64 v[152:153], vcc, v[226:227], v[224:225], v[226:227]
	v_fma_f64 v[154:155], -v[144:145], v[146:147], 1.0
	v_fmac_f64_e32 v[146:147], v[146:147], v[154:155]
	v_fma_f64 v[154:155], -v[144:145], v[146:147], 1.0
	v_fmac_f64_e32 v[146:147], v[146:147], v[154:155]
	v_mul_f64 v[154:155], v[152:153], v[146:147]
	v_fma_f64 v[144:145], -v[144:145], v[154:155], v[152:153]
	v_div_fmas_f64 v[144:145], v[144:145], v[146:147], v[154:155]
	v_div_fixup_f64 v[144:145], v[144:145], v[224:225], v[226:227]
	v_fmac_f64_e32 v[224:225], v[226:227], v[144:145]
	v_div_scale_f64 v[146:147], s[18:19], v[224:225], v[224:225], 1.0
	v_rcp_f64_e32 v[152:153], v[146:147]
	s_nop 0
	v_fma_f64 v[154:155], -v[146:147], v[152:153], 1.0
	v_fmac_f64_e32 v[152:153], v[152:153], v[154:155]
	v_fma_f64 v[154:155], -v[146:147], v[152:153], 1.0
	v_fmac_f64_e32 v[152:153], v[152:153], v[154:155]
	v_div_scale_f64 v[154:155], vcc, 1.0, v[224:225], 1.0
	v_mul_f64 v[226:227], v[154:155], v[152:153]
	v_fma_f64 v[146:147], -v[146:147], v[226:227], v[154:155]
	s_nop 1
	v_div_fmas_f64 v[146:147], v[146:147], v[152:153], v[226:227]
	v_div_fixup_f64 v[224:225], v[146:147], v[224:225], 1.0
	v_mul_f64 v[226:227], v[144:145], -v[224:225]
.LBB110_72:
	s_or_b64 exec, exec, s[16:17]
.LBB110_73:
	s_or_b64 exec, exec, s[0:1]
	v_cmp_ne_u32_e32 vcc, v237, v234
	s_and_saveexec_b64 s[0:1], vcc
	s_xor_b64 s[0:1], exec, s[0:1]
	s_cbranch_execz .LBB110_79
; %bb.74:
	v_cmp_eq_u32_e32 vcc, 3, v237
	s_and_saveexec_b64 s[16:17], vcc
	s_cbranch_execz .LBB110_78
; %bb.75:
	v_cmp_ne_u32_e32 vcc, 3, v234
	s_xor_b64 s[18:19], s[14:15], -1
	s_and_b64 s[22:23], s[18:19], vcc
	s_and_saveexec_b64 s[18:19], s[22:23]
	s_cbranch_execz .LBB110_77
; %bb.76:
	v_ashrrev_i32_e32 v235, 31, v234
	v_lshl_add_u64 v[144:145], v[234:235], 2, v[212:213]
	global_load_dword v146, v[144:145], off
	global_load_dword v147, v[212:213], off offset:12
	s_waitcnt vmcnt(1)
	global_store_dword v[212:213], v146, off offset:12
	s_waitcnt vmcnt(1)
	global_store_dword v[144:145], v147, off
.LBB110_77:
	s_or_b64 exec, exec, s[18:19]
	v_mov_b32_e32 v237, v234
	v_mov_b32_e32 v218, v234
.LBB110_78:
	s_or_b64 exec, exec, s[16:17]
.LBB110_79:
	s_andn2_saveexec_b64 s[0:1], s[0:1]
	s_cbranch_execz .LBB110_81
; %bb.80:
	v_mov_b32_e32 v237, 3
	ds_write2_b64 v236, v[208:209], v[210:211] offset0:8 offset1:9
	ds_write2_b64 v236, v[204:205], v[206:207] offset0:10 offset1:11
	;; [unrolled: 1-line block ×52, first 2 shown]
.LBB110_81:
	s_or_b64 exec, exec, s[0:1]
	v_cmp_lt_i32_e32 vcc, 3, v237
	s_waitcnt lgkmcnt(0)
	s_barrier
	s_and_saveexec_b64 s[0:1], vcc
	s_cbranch_execz .LBB110_83
; %bb.82:
	ds_read2_b64 v[240:243], v236 offset0:8 offset1:9
	v_mul_f64 v[144:145], v[226:227], v[216:217]
	v_mul_f64 v[216:217], v[224:225], v[216:217]
	v_fma_f64 v[234:235], v[224:225], v[214:215], -v[144:145]
	v_fmac_f64_e32 v[216:217], v[226:227], v[214:215]
	ds_read2_b64 v[224:227], v236 offset0:10 offset1:11
	s_waitcnt lgkmcnt(1)
	v_mul_f64 v[144:145], v[242:243], v[216:217]
	v_mul_f64 v[146:147], v[240:241], v[216:217]
	v_fma_f64 v[144:145], v[240:241], v[234:235], -v[144:145]
	v_fmac_f64_e32 v[146:147], v[242:243], v[234:235]
	ds_read2_b64 v[240:243], v236 offset0:12 offset1:13
	v_add_f64 v[208:209], v[208:209], -v[144:145]
	v_add_f64 v[210:211], v[210:211], -v[146:147]
	s_waitcnt lgkmcnt(1)
	v_mul_f64 v[144:145], v[226:227], v[216:217]
	v_mul_f64 v[146:147], v[224:225], v[216:217]
	v_fma_f64 v[144:145], v[224:225], v[234:235], -v[144:145]
	v_fmac_f64_e32 v[146:147], v[226:227], v[234:235]
	ds_read2_b64 v[224:227], v236 offset0:14 offset1:15
	v_add_f64 v[204:205], v[204:205], -v[144:145]
	v_add_f64 v[206:207], v[206:207], -v[146:147]
	;; [unrolled: 8-line block ×50, first 2 shown]
	s_waitcnt lgkmcnt(1)
	v_mul_f64 v[144:145], v[242:243], v[216:217]
	v_mul_f64 v[146:147], v[240:241], v[216:217]
	v_fma_f64 v[144:145], v[240:241], v[234:235], -v[144:145]
	v_fmac_f64_e32 v[146:147], v[242:243], v[234:235]
	v_add_f64 v[0:1], v[0:1], -v[144:145]
	v_add_f64 v[2:3], v[2:3], -v[146:147]
	s_waitcnt lgkmcnt(0)
	v_mul_f64 v[144:145], v[226:227], v[216:217]
	v_mul_f64 v[146:147], v[224:225], v[216:217]
	v_fma_f64 v[144:145], v[224:225], v[234:235], -v[144:145]
	v_fmac_f64_e32 v[146:147], v[226:227], v[234:235]
	v_add_f64 v[220:221], v[220:221], -v[144:145]
	v_add_f64 v[222:223], v[222:223], -v[146:147]
	v_mov_b64_e32 v[214:215], v[234:235]
.LBB110_83:
	s_or_b64 exec, exec, s[0:1]
	v_lshl_add_u32 v144, v237, 4, v236
	s_barrier
	ds_write2_b64 v144, v[208:209], v[210:211] offset1:1
	s_waitcnt lgkmcnt(0)
	s_barrier
	ds_read2_b64 v[224:227], v236 offset0:8 offset1:9
	s_cmp_lt_i32 s20, 6
	v_mov_b32_e32 v234, 4
	s_cbranch_scc1 .LBB110_86
; %bb.84:
	v_mov_b32_e32 v234, 4
	v_add_u32_e32 v235, 0x50, v236
	s_mov_b32 s16, 5
.LBB110_85:                             ; =>This Inner Loop Header: Depth=1
	ds_read2_b64 v[240:243], v235 offset1:1
	s_waitcnt lgkmcnt(1)
	v_xor_b32_e32 v145, 0x80000000, v225
	v_xor_b32_e32 v147, 0x80000000, v227
	v_cmp_gt_f64_e32 vcc, 0, v[226:227]
	v_cmp_gt_f64_e64 s[0:1], 0, v[224:225]
	v_mov_b32_e32 v144, v224
	v_mov_b32_e32 v146, v226
	v_cndmask_b32_e64 v145, v225, v145, s[0:1]
	v_cndmask_b32_e32 v147, v227, v147, vcc
	v_add_f64 v[144:145], v[144:145], v[146:147]
	s_waitcnt lgkmcnt(0)
	v_xor_b32_e32 v147, 0x80000000, v241
	v_xor_b32_e32 v153, 0x80000000, v243
	v_cmp_gt_f64_e32 vcc, 0, v[242:243]
	v_cmp_gt_f64_e64 s[0:1], 0, v[240:241]
	v_mov_b32_e32 v146, v240
	v_mov_b32_e32 v152, v242
	v_cndmask_b32_e64 v147, v241, v147, s[0:1]
	v_cndmask_b32_e32 v153, v243, v153, vcc
	v_add_f64 v[146:147], v[146:147], v[152:153]
	v_mov_b32_e32 v154, s16
	s_add_i32 s16, s16, 1
	v_cmp_lt_f64_e32 vcc, v[144:145], v[146:147]
	v_add_u32_e32 v235, 16, v235
	s_cmp_lg_u32 s20, s16
	v_cndmask_b32_e32 v225, v225, v241, vcc
	v_cndmask_b32_e32 v224, v224, v240, vcc
	;; [unrolled: 1-line block ×5, first 2 shown]
	s_cbranch_scc1 .LBB110_85
.LBB110_86:
	s_waitcnt lgkmcnt(0)
	v_cmp_eq_f64_e32 vcc, 0, v[224:225]
	v_cmp_eq_f64_e64 s[0:1], 0, v[226:227]
	s_and_b64 s[0:1], vcc, s[0:1]
	s_and_saveexec_b64 s[16:17], s[0:1]
	s_xor_b64 s[0:1], exec, s[16:17]
; %bb.87:
	v_cmp_ne_u32_e32 vcc, 0, v238
	s_nop 1
	v_cndmask_b32_e32 v238, 5, v238, vcc
; %bb.88:
	s_andn2_saveexec_b64 s[0:1], s[0:1]
	s_cbranch_execz .LBB110_94
; %bb.89:
	v_cmp_ngt_f64_e64 s[16:17], |v[224:225]|, |v[226:227]|
	s_and_saveexec_b64 s[18:19], s[16:17]
	s_xor_b64 s[16:17], exec, s[18:19]
	s_cbranch_execz .LBB110_91
; %bb.90:
	v_div_scale_f64 v[144:145], s[18:19], v[226:227], v[226:227], v[224:225]
	v_rcp_f64_e32 v[146:147], v[144:145]
	v_div_scale_f64 v[152:153], vcc, v[224:225], v[226:227], v[224:225]
	v_fma_f64 v[154:155], -v[144:145], v[146:147], 1.0
	v_fmac_f64_e32 v[146:147], v[146:147], v[154:155]
	v_fma_f64 v[154:155], -v[144:145], v[146:147], 1.0
	v_fmac_f64_e32 v[146:147], v[146:147], v[154:155]
	v_mul_f64 v[154:155], v[152:153], v[146:147]
	v_fma_f64 v[144:145], -v[144:145], v[154:155], v[152:153]
	v_div_fmas_f64 v[144:145], v[144:145], v[146:147], v[154:155]
	v_div_fixup_f64 v[144:145], v[144:145], v[226:227], v[224:225]
	v_fmac_f64_e32 v[226:227], v[224:225], v[144:145]
	v_div_scale_f64 v[146:147], s[18:19], v[226:227], v[226:227], 1.0
	v_rcp_f64_e32 v[152:153], v[146:147]
	s_nop 0
	v_fma_f64 v[154:155], -v[146:147], v[152:153], 1.0
	v_fmac_f64_e32 v[152:153], v[152:153], v[154:155]
	v_fma_f64 v[154:155], -v[146:147], v[152:153], 1.0
	v_fmac_f64_e32 v[152:153], v[152:153], v[154:155]
	v_div_scale_f64 v[154:155], vcc, 1.0, v[226:227], 1.0
	v_mul_f64 v[224:225], v[154:155], v[152:153]
	v_fma_f64 v[146:147], -v[146:147], v[224:225], v[154:155]
	s_nop 1
	v_div_fmas_f64 v[146:147], v[146:147], v[152:153], v[224:225]
	v_div_fixup_f64 v[226:227], v[146:147], v[226:227], 1.0
	v_mul_f64 v[224:225], v[144:145], v[226:227]
	v_xor_b32_e32 v227, 0x80000000, v227
.LBB110_91:
	s_andn2_saveexec_b64 s[16:17], s[16:17]
	s_cbranch_execz .LBB110_93
; %bb.92:
	v_div_scale_f64 v[144:145], s[18:19], v[224:225], v[224:225], v[226:227]
	v_rcp_f64_e32 v[146:147], v[144:145]
	v_div_scale_f64 v[152:153], vcc, v[226:227], v[224:225], v[226:227]
	v_fma_f64 v[154:155], -v[144:145], v[146:147], 1.0
	v_fmac_f64_e32 v[146:147], v[146:147], v[154:155]
	v_fma_f64 v[154:155], -v[144:145], v[146:147], 1.0
	v_fmac_f64_e32 v[146:147], v[146:147], v[154:155]
	v_mul_f64 v[154:155], v[152:153], v[146:147]
	v_fma_f64 v[144:145], -v[144:145], v[154:155], v[152:153]
	v_div_fmas_f64 v[144:145], v[144:145], v[146:147], v[154:155]
	v_div_fixup_f64 v[144:145], v[144:145], v[224:225], v[226:227]
	v_fmac_f64_e32 v[224:225], v[226:227], v[144:145]
	v_div_scale_f64 v[146:147], s[18:19], v[224:225], v[224:225], 1.0
	v_rcp_f64_e32 v[152:153], v[146:147]
	s_nop 0
	v_fma_f64 v[154:155], -v[146:147], v[152:153], 1.0
	v_fmac_f64_e32 v[152:153], v[152:153], v[154:155]
	v_fma_f64 v[154:155], -v[146:147], v[152:153], 1.0
	v_fmac_f64_e32 v[152:153], v[152:153], v[154:155]
	v_div_scale_f64 v[154:155], vcc, 1.0, v[224:225], 1.0
	v_mul_f64 v[226:227], v[154:155], v[152:153]
	v_fma_f64 v[146:147], -v[146:147], v[226:227], v[154:155]
	s_nop 1
	v_div_fmas_f64 v[146:147], v[146:147], v[152:153], v[226:227]
	v_div_fixup_f64 v[224:225], v[146:147], v[224:225], 1.0
	v_mul_f64 v[226:227], v[144:145], -v[224:225]
.LBB110_93:
	s_or_b64 exec, exec, s[16:17]
.LBB110_94:
	s_or_b64 exec, exec, s[0:1]
	v_cmp_ne_u32_e32 vcc, v237, v234
	s_and_saveexec_b64 s[0:1], vcc
	s_xor_b64 s[0:1], exec, s[0:1]
	s_cbranch_execz .LBB110_100
; %bb.95:
	v_cmp_eq_u32_e32 vcc, 4, v237
	s_and_saveexec_b64 s[16:17], vcc
	s_cbranch_execz .LBB110_99
; %bb.96:
	v_cmp_ne_u32_e32 vcc, 4, v234
	s_xor_b64 s[18:19], s[14:15], -1
	s_and_b64 s[22:23], s[18:19], vcc
	s_and_saveexec_b64 s[18:19], s[22:23]
	s_cbranch_execz .LBB110_98
; %bb.97:
	v_ashrrev_i32_e32 v235, 31, v234
	v_lshl_add_u64 v[144:145], v[234:235], 2, v[212:213]
	global_load_dword v146, v[144:145], off
	global_load_dword v147, v[212:213], off offset:16
	s_waitcnt vmcnt(1)
	global_store_dword v[212:213], v146, off offset:16
	s_waitcnt vmcnt(1)
	global_store_dword v[144:145], v147, off
.LBB110_98:
	s_or_b64 exec, exec, s[18:19]
	v_mov_b32_e32 v237, v234
	v_mov_b32_e32 v218, v234
.LBB110_99:
	s_or_b64 exec, exec, s[16:17]
.LBB110_100:
	s_andn2_saveexec_b64 s[0:1], s[0:1]
	s_cbranch_execz .LBB110_102
; %bb.101:
	v_mov_b32_e32 v237, 4
	ds_write2_b64 v236, v[204:205], v[206:207] offset0:10 offset1:11
	ds_write2_b64 v236, v[200:201], v[202:203] offset0:12 offset1:13
	;; [unrolled: 1-line block ×51, first 2 shown]
.LBB110_102:
	s_or_b64 exec, exec, s[0:1]
	v_cmp_lt_i32_e32 vcc, 4, v237
	s_waitcnt lgkmcnt(0)
	s_barrier
	s_and_saveexec_b64 s[0:1], vcc
	s_cbranch_execz .LBB110_104
; %bb.103:
	ds_read2_b64 v[240:243], v236 offset0:10 offset1:11
	v_mul_f64 v[144:145], v[226:227], v[210:211]
	v_mul_f64 v[210:211], v[224:225], v[210:211]
	v_fma_f64 v[234:235], v[224:225], v[208:209], -v[144:145]
	v_fmac_f64_e32 v[210:211], v[226:227], v[208:209]
	ds_read2_b64 v[224:227], v236 offset0:12 offset1:13
	s_waitcnt lgkmcnt(1)
	v_mul_f64 v[144:145], v[242:243], v[210:211]
	v_mul_f64 v[146:147], v[240:241], v[210:211]
	v_fma_f64 v[144:145], v[240:241], v[234:235], -v[144:145]
	v_fmac_f64_e32 v[146:147], v[242:243], v[234:235]
	ds_read2_b64 v[240:243], v236 offset0:14 offset1:15
	v_add_f64 v[204:205], v[204:205], -v[144:145]
	v_add_f64 v[206:207], v[206:207], -v[146:147]
	s_waitcnt lgkmcnt(1)
	v_mul_f64 v[144:145], v[226:227], v[210:211]
	v_mul_f64 v[146:147], v[224:225], v[210:211]
	v_fma_f64 v[144:145], v[224:225], v[234:235], -v[144:145]
	v_fmac_f64_e32 v[146:147], v[226:227], v[234:235]
	ds_read2_b64 v[224:227], v236 offset0:16 offset1:17
	v_add_f64 v[200:201], v[200:201], -v[144:145]
	v_add_f64 v[202:203], v[202:203], -v[146:147]
	s_waitcnt lgkmcnt(1)
	v_mul_f64 v[144:145], v[242:243], v[210:211]
	v_mul_f64 v[146:147], v[240:241], v[210:211]
	v_fma_f64 v[144:145], v[240:241], v[234:235], -v[144:145]
	v_fmac_f64_e32 v[146:147], v[242:243], v[234:235]
	ds_read2_b64 v[240:243], v236 offset0:18 offset1:19
	v_add_f64 v[196:197], v[196:197], -v[144:145]
	v_add_f64 v[198:199], v[198:199], -v[146:147]
	s_waitcnt lgkmcnt(1)
	v_mul_f64 v[144:145], v[226:227], v[210:211]
	v_mul_f64 v[146:147], v[224:225], v[210:211]
	v_fma_f64 v[144:145], v[224:225], v[234:235], -v[144:145]
	v_fmac_f64_e32 v[146:147], v[226:227], v[234:235]
	ds_read2_b64 v[224:227], v236 offset0:20 offset1:21
	v_add_f64 v[192:193], v[192:193], -v[144:145]
	v_add_f64 v[194:195], v[194:195], -v[146:147]
	s_waitcnt lgkmcnt(1)
	v_mul_f64 v[144:145], v[242:243], v[210:211]
	v_mul_f64 v[146:147], v[240:241], v[210:211]
	v_fma_f64 v[144:145], v[240:241], v[234:235], -v[144:145]
	v_fmac_f64_e32 v[146:147], v[242:243], v[234:235]
	ds_read2_b64 v[240:243], v236 offset0:22 offset1:23
	v_add_f64 v[188:189], v[188:189], -v[144:145]
	v_add_f64 v[190:191], v[190:191], -v[146:147]
	s_waitcnt lgkmcnt(1)
	v_mul_f64 v[144:145], v[226:227], v[210:211]
	v_mul_f64 v[146:147], v[224:225], v[210:211]
	v_fma_f64 v[144:145], v[224:225], v[234:235], -v[144:145]
	v_fmac_f64_e32 v[146:147], v[226:227], v[234:235]
	ds_read2_b64 v[224:227], v236 offset0:24 offset1:25
	v_add_f64 v[184:185], v[184:185], -v[144:145]
	v_add_f64 v[186:187], v[186:187], -v[146:147]
	s_waitcnt lgkmcnt(1)
	v_mul_f64 v[144:145], v[242:243], v[210:211]
	v_mul_f64 v[146:147], v[240:241], v[210:211]
	v_fma_f64 v[144:145], v[240:241], v[234:235], -v[144:145]
	v_fmac_f64_e32 v[146:147], v[242:243], v[234:235]
	ds_read2_b64 v[240:243], v236 offset0:26 offset1:27
	v_add_f64 v[180:181], v[180:181], -v[144:145]
	v_add_f64 v[182:183], v[182:183], -v[146:147]
	s_waitcnt lgkmcnt(1)
	v_mul_f64 v[144:145], v[226:227], v[210:211]
	v_mul_f64 v[146:147], v[224:225], v[210:211]
	v_fma_f64 v[144:145], v[224:225], v[234:235], -v[144:145]
	v_fmac_f64_e32 v[146:147], v[226:227], v[234:235]
	ds_read2_b64 v[224:227], v236 offset0:28 offset1:29
	v_add_f64 v[176:177], v[176:177], -v[144:145]
	v_add_f64 v[178:179], v[178:179], -v[146:147]
	s_waitcnt lgkmcnt(1)
	v_mul_f64 v[144:145], v[242:243], v[210:211]
	v_mul_f64 v[146:147], v[240:241], v[210:211]
	v_fma_f64 v[144:145], v[240:241], v[234:235], -v[144:145]
	v_fmac_f64_e32 v[146:147], v[242:243], v[234:235]
	ds_read2_b64 v[240:243], v236 offset0:30 offset1:31
	v_add_f64 v[172:173], v[172:173], -v[144:145]
	v_add_f64 v[174:175], v[174:175], -v[146:147]
	s_waitcnt lgkmcnt(1)
	v_mul_f64 v[144:145], v[226:227], v[210:211]
	v_mul_f64 v[146:147], v[224:225], v[210:211]
	v_fma_f64 v[144:145], v[224:225], v[234:235], -v[144:145]
	v_fmac_f64_e32 v[146:147], v[226:227], v[234:235]
	ds_read2_b64 v[224:227], v236 offset0:32 offset1:33
	v_add_f64 v[168:169], v[168:169], -v[144:145]
	v_add_f64 v[170:171], v[170:171], -v[146:147]
	s_waitcnt lgkmcnt(1)
	v_mul_f64 v[144:145], v[242:243], v[210:211]
	v_mul_f64 v[146:147], v[240:241], v[210:211]
	v_fma_f64 v[144:145], v[240:241], v[234:235], -v[144:145]
	v_fmac_f64_e32 v[146:147], v[242:243], v[234:235]
	ds_read2_b64 v[240:243], v236 offset0:34 offset1:35
	v_add_f64 v[164:165], v[164:165], -v[144:145]
	v_add_f64 v[166:167], v[166:167], -v[146:147]
	s_waitcnt lgkmcnt(1)
	v_mul_f64 v[144:145], v[226:227], v[210:211]
	v_mul_f64 v[146:147], v[224:225], v[210:211]
	v_fma_f64 v[144:145], v[224:225], v[234:235], -v[144:145]
	v_fmac_f64_e32 v[146:147], v[226:227], v[234:235]
	ds_read2_b64 v[224:227], v236 offset0:36 offset1:37
	v_add_f64 v[160:161], v[160:161], -v[144:145]
	v_add_f64 v[162:163], v[162:163], -v[146:147]
	s_waitcnt lgkmcnt(1)
	v_mul_f64 v[144:145], v[242:243], v[210:211]
	v_mul_f64 v[146:147], v[240:241], v[210:211]
	v_fma_f64 v[144:145], v[240:241], v[234:235], -v[144:145]
	v_fmac_f64_e32 v[146:147], v[242:243], v[234:235]
	ds_read2_b64 v[240:243], v236 offset0:38 offset1:39
	v_add_f64 v[156:157], v[156:157], -v[144:145]
	v_add_f64 v[158:159], v[158:159], -v[146:147]
	s_waitcnt lgkmcnt(1)
	v_mul_f64 v[144:145], v[226:227], v[210:211]
	v_mul_f64 v[146:147], v[224:225], v[210:211]
	v_fma_f64 v[144:145], v[224:225], v[234:235], -v[144:145]
	v_fmac_f64_e32 v[146:147], v[226:227], v[234:235]
	ds_read2_b64 v[224:227], v236 offset0:40 offset1:41
	v_add_f64 v[148:149], v[148:149], -v[144:145]
	v_add_f64 v[150:151], v[150:151], -v[146:147]
	s_waitcnt lgkmcnt(1)
	v_mul_f64 v[144:145], v[242:243], v[210:211]
	v_mul_f64 v[146:147], v[240:241], v[210:211]
	v_fma_f64 v[144:145], v[240:241], v[234:235], -v[144:145]
	v_fmac_f64_e32 v[146:147], v[242:243], v[234:235]
	ds_read2_b64 v[240:243], v236 offset0:42 offset1:43
	v_add_f64 v[140:141], v[140:141], -v[144:145]
	v_add_f64 v[142:143], v[142:143], -v[146:147]
	s_waitcnt lgkmcnt(1)
	v_mul_f64 v[144:145], v[226:227], v[210:211]
	v_mul_f64 v[146:147], v[224:225], v[210:211]
	v_fma_f64 v[144:145], v[224:225], v[234:235], -v[144:145]
	v_fmac_f64_e32 v[146:147], v[226:227], v[234:235]
	ds_read2_b64 v[224:227], v236 offset0:44 offset1:45
	v_add_f64 v[136:137], v[136:137], -v[144:145]
	v_add_f64 v[138:139], v[138:139], -v[146:147]
	s_waitcnt lgkmcnt(1)
	v_mul_f64 v[144:145], v[242:243], v[210:211]
	v_mul_f64 v[146:147], v[240:241], v[210:211]
	v_fma_f64 v[144:145], v[240:241], v[234:235], -v[144:145]
	v_fmac_f64_e32 v[146:147], v[242:243], v[234:235]
	ds_read2_b64 v[240:243], v236 offset0:46 offset1:47
	v_add_f64 v[132:133], v[132:133], -v[144:145]
	v_add_f64 v[134:135], v[134:135], -v[146:147]
	s_waitcnt lgkmcnt(1)
	v_mul_f64 v[144:145], v[226:227], v[210:211]
	v_mul_f64 v[146:147], v[224:225], v[210:211]
	v_fma_f64 v[144:145], v[224:225], v[234:235], -v[144:145]
	v_fmac_f64_e32 v[146:147], v[226:227], v[234:235]
	ds_read2_b64 v[224:227], v236 offset0:48 offset1:49
	v_add_f64 v[128:129], v[128:129], -v[144:145]
	v_add_f64 v[130:131], v[130:131], -v[146:147]
	s_waitcnt lgkmcnt(1)
	v_mul_f64 v[144:145], v[242:243], v[210:211]
	v_mul_f64 v[146:147], v[240:241], v[210:211]
	v_fma_f64 v[144:145], v[240:241], v[234:235], -v[144:145]
	v_fmac_f64_e32 v[146:147], v[242:243], v[234:235]
	ds_read2_b64 v[240:243], v236 offset0:50 offset1:51
	v_add_f64 v[124:125], v[124:125], -v[144:145]
	v_add_f64 v[126:127], v[126:127], -v[146:147]
	s_waitcnt lgkmcnt(1)
	v_mul_f64 v[144:145], v[226:227], v[210:211]
	v_mul_f64 v[146:147], v[224:225], v[210:211]
	v_fma_f64 v[144:145], v[224:225], v[234:235], -v[144:145]
	v_fmac_f64_e32 v[146:147], v[226:227], v[234:235]
	ds_read2_b64 v[224:227], v236 offset0:52 offset1:53
	v_add_f64 v[120:121], v[120:121], -v[144:145]
	v_add_f64 v[122:123], v[122:123], -v[146:147]
	s_waitcnt lgkmcnt(1)
	v_mul_f64 v[144:145], v[242:243], v[210:211]
	v_mul_f64 v[146:147], v[240:241], v[210:211]
	v_fma_f64 v[144:145], v[240:241], v[234:235], -v[144:145]
	v_fmac_f64_e32 v[146:147], v[242:243], v[234:235]
	ds_read2_b64 v[240:243], v236 offset0:54 offset1:55
	v_add_f64 v[116:117], v[116:117], -v[144:145]
	v_add_f64 v[118:119], v[118:119], -v[146:147]
	s_waitcnt lgkmcnt(1)
	v_mul_f64 v[144:145], v[226:227], v[210:211]
	v_mul_f64 v[146:147], v[224:225], v[210:211]
	v_fma_f64 v[144:145], v[224:225], v[234:235], -v[144:145]
	v_fmac_f64_e32 v[146:147], v[226:227], v[234:235]
	ds_read2_b64 v[224:227], v236 offset0:56 offset1:57
	v_add_f64 v[112:113], v[112:113], -v[144:145]
	v_add_f64 v[114:115], v[114:115], -v[146:147]
	s_waitcnt lgkmcnt(1)
	v_mul_f64 v[144:145], v[242:243], v[210:211]
	v_mul_f64 v[146:147], v[240:241], v[210:211]
	v_fma_f64 v[144:145], v[240:241], v[234:235], -v[144:145]
	v_fmac_f64_e32 v[146:147], v[242:243], v[234:235]
	ds_read2_b64 v[240:243], v236 offset0:58 offset1:59
	v_add_f64 v[108:109], v[108:109], -v[144:145]
	v_add_f64 v[110:111], v[110:111], -v[146:147]
	s_waitcnt lgkmcnt(1)
	v_mul_f64 v[144:145], v[226:227], v[210:211]
	v_mul_f64 v[146:147], v[224:225], v[210:211]
	v_fma_f64 v[144:145], v[224:225], v[234:235], -v[144:145]
	v_fmac_f64_e32 v[146:147], v[226:227], v[234:235]
	ds_read2_b64 v[224:227], v236 offset0:60 offset1:61
	v_add_f64 v[104:105], v[104:105], -v[144:145]
	v_add_f64 v[106:107], v[106:107], -v[146:147]
	s_waitcnt lgkmcnt(1)
	v_mul_f64 v[144:145], v[242:243], v[210:211]
	v_mul_f64 v[146:147], v[240:241], v[210:211]
	v_fma_f64 v[144:145], v[240:241], v[234:235], -v[144:145]
	v_fmac_f64_e32 v[146:147], v[242:243], v[234:235]
	ds_read2_b64 v[240:243], v236 offset0:62 offset1:63
	v_add_f64 v[100:101], v[100:101], -v[144:145]
	v_add_f64 v[102:103], v[102:103], -v[146:147]
	s_waitcnt lgkmcnt(1)
	v_mul_f64 v[144:145], v[226:227], v[210:211]
	v_mul_f64 v[146:147], v[224:225], v[210:211]
	v_fma_f64 v[144:145], v[224:225], v[234:235], -v[144:145]
	v_fmac_f64_e32 v[146:147], v[226:227], v[234:235]
	ds_read2_b64 v[224:227], v236 offset0:64 offset1:65
	v_add_f64 v[96:97], v[96:97], -v[144:145]
	v_add_f64 v[98:99], v[98:99], -v[146:147]
	s_waitcnt lgkmcnt(1)
	v_mul_f64 v[144:145], v[242:243], v[210:211]
	v_mul_f64 v[146:147], v[240:241], v[210:211]
	v_fma_f64 v[144:145], v[240:241], v[234:235], -v[144:145]
	v_fmac_f64_e32 v[146:147], v[242:243], v[234:235]
	ds_read2_b64 v[240:243], v236 offset0:66 offset1:67
	v_add_f64 v[92:93], v[92:93], -v[144:145]
	v_add_f64 v[94:95], v[94:95], -v[146:147]
	s_waitcnt lgkmcnt(1)
	v_mul_f64 v[144:145], v[226:227], v[210:211]
	v_mul_f64 v[146:147], v[224:225], v[210:211]
	v_fma_f64 v[144:145], v[224:225], v[234:235], -v[144:145]
	v_fmac_f64_e32 v[146:147], v[226:227], v[234:235]
	ds_read2_b64 v[224:227], v236 offset0:68 offset1:69
	v_add_f64 v[88:89], v[88:89], -v[144:145]
	v_add_f64 v[90:91], v[90:91], -v[146:147]
	s_waitcnt lgkmcnt(1)
	v_mul_f64 v[144:145], v[242:243], v[210:211]
	v_mul_f64 v[146:147], v[240:241], v[210:211]
	v_fma_f64 v[144:145], v[240:241], v[234:235], -v[144:145]
	v_fmac_f64_e32 v[146:147], v[242:243], v[234:235]
	ds_read2_b64 v[240:243], v236 offset0:70 offset1:71
	v_add_f64 v[84:85], v[84:85], -v[144:145]
	v_add_f64 v[86:87], v[86:87], -v[146:147]
	s_waitcnt lgkmcnt(1)
	v_mul_f64 v[144:145], v[226:227], v[210:211]
	v_mul_f64 v[146:147], v[224:225], v[210:211]
	v_fma_f64 v[144:145], v[224:225], v[234:235], -v[144:145]
	v_fmac_f64_e32 v[146:147], v[226:227], v[234:235]
	ds_read2_b64 v[224:227], v236 offset0:72 offset1:73
	v_add_f64 v[80:81], v[80:81], -v[144:145]
	v_add_f64 v[82:83], v[82:83], -v[146:147]
	s_waitcnt lgkmcnt(1)
	v_mul_f64 v[144:145], v[242:243], v[210:211]
	v_mul_f64 v[146:147], v[240:241], v[210:211]
	v_fma_f64 v[144:145], v[240:241], v[234:235], -v[144:145]
	v_fmac_f64_e32 v[146:147], v[242:243], v[234:235]
	ds_read2_b64 v[240:243], v236 offset0:74 offset1:75
	v_add_f64 v[76:77], v[76:77], -v[144:145]
	v_add_f64 v[78:79], v[78:79], -v[146:147]
	s_waitcnt lgkmcnt(1)
	v_mul_f64 v[144:145], v[226:227], v[210:211]
	v_mul_f64 v[146:147], v[224:225], v[210:211]
	v_fma_f64 v[144:145], v[224:225], v[234:235], -v[144:145]
	v_fmac_f64_e32 v[146:147], v[226:227], v[234:235]
	ds_read2_b64 v[224:227], v236 offset0:76 offset1:77
	v_add_f64 v[72:73], v[72:73], -v[144:145]
	v_add_f64 v[74:75], v[74:75], -v[146:147]
	s_waitcnt lgkmcnt(1)
	v_mul_f64 v[144:145], v[242:243], v[210:211]
	v_mul_f64 v[146:147], v[240:241], v[210:211]
	v_fma_f64 v[144:145], v[240:241], v[234:235], -v[144:145]
	v_fmac_f64_e32 v[146:147], v[242:243], v[234:235]
	ds_read2_b64 v[240:243], v236 offset0:78 offset1:79
	v_add_f64 v[68:69], v[68:69], -v[144:145]
	v_add_f64 v[70:71], v[70:71], -v[146:147]
	s_waitcnt lgkmcnt(1)
	v_mul_f64 v[144:145], v[226:227], v[210:211]
	v_mul_f64 v[146:147], v[224:225], v[210:211]
	v_fma_f64 v[144:145], v[224:225], v[234:235], -v[144:145]
	v_fmac_f64_e32 v[146:147], v[226:227], v[234:235]
	ds_read2_b64 v[224:227], v236 offset0:80 offset1:81
	v_add_f64 v[64:65], v[64:65], -v[144:145]
	v_add_f64 v[66:67], v[66:67], -v[146:147]
	s_waitcnt lgkmcnt(1)
	v_mul_f64 v[144:145], v[242:243], v[210:211]
	v_mul_f64 v[146:147], v[240:241], v[210:211]
	v_fma_f64 v[144:145], v[240:241], v[234:235], -v[144:145]
	v_fmac_f64_e32 v[146:147], v[242:243], v[234:235]
	ds_read2_b64 v[240:243], v236 offset0:82 offset1:83
	v_add_f64 v[60:61], v[60:61], -v[144:145]
	v_add_f64 v[62:63], v[62:63], -v[146:147]
	s_waitcnt lgkmcnt(1)
	v_mul_f64 v[144:145], v[226:227], v[210:211]
	v_mul_f64 v[146:147], v[224:225], v[210:211]
	v_fma_f64 v[144:145], v[224:225], v[234:235], -v[144:145]
	v_fmac_f64_e32 v[146:147], v[226:227], v[234:235]
	ds_read2_b64 v[224:227], v236 offset0:84 offset1:85
	v_add_f64 v[56:57], v[56:57], -v[144:145]
	v_add_f64 v[58:59], v[58:59], -v[146:147]
	s_waitcnt lgkmcnt(1)
	v_mul_f64 v[144:145], v[242:243], v[210:211]
	v_mul_f64 v[146:147], v[240:241], v[210:211]
	v_fma_f64 v[144:145], v[240:241], v[234:235], -v[144:145]
	v_fmac_f64_e32 v[146:147], v[242:243], v[234:235]
	ds_read2_b64 v[240:243], v236 offset0:86 offset1:87
	v_add_f64 v[52:53], v[52:53], -v[144:145]
	v_add_f64 v[54:55], v[54:55], -v[146:147]
	s_waitcnt lgkmcnt(1)
	v_mul_f64 v[144:145], v[226:227], v[210:211]
	v_mul_f64 v[146:147], v[224:225], v[210:211]
	v_fma_f64 v[144:145], v[224:225], v[234:235], -v[144:145]
	v_fmac_f64_e32 v[146:147], v[226:227], v[234:235]
	ds_read2_b64 v[224:227], v236 offset0:88 offset1:89
	v_add_f64 v[48:49], v[48:49], -v[144:145]
	v_add_f64 v[50:51], v[50:51], -v[146:147]
	s_waitcnt lgkmcnt(1)
	v_mul_f64 v[144:145], v[242:243], v[210:211]
	v_mul_f64 v[146:147], v[240:241], v[210:211]
	v_fma_f64 v[144:145], v[240:241], v[234:235], -v[144:145]
	v_fmac_f64_e32 v[146:147], v[242:243], v[234:235]
	ds_read2_b64 v[240:243], v236 offset0:90 offset1:91
	v_add_f64 v[44:45], v[44:45], -v[144:145]
	v_add_f64 v[46:47], v[46:47], -v[146:147]
	s_waitcnt lgkmcnt(1)
	v_mul_f64 v[144:145], v[226:227], v[210:211]
	v_mul_f64 v[146:147], v[224:225], v[210:211]
	v_fma_f64 v[144:145], v[224:225], v[234:235], -v[144:145]
	v_fmac_f64_e32 v[146:147], v[226:227], v[234:235]
	ds_read2_b64 v[224:227], v236 offset0:92 offset1:93
	v_add_f64 v[40:41], v[40:41], -v[144:145]
	v_add_f64 v[42:43], v[42:43], -v[146:147]
	s_waitcnt lgkmcnt(1)
	v_mul_f64 v[144:145], v[242:243], v[210:211]
	v_mul_f64 v[146:147], v[240:241], v[210:211]
	v_fma_f64 v[144:145], v[240:241], v[234:235], -v[144:145]
	v_fmac_f64_e32 v[146:147], v[242:243], v[234:235]
	ds_read2_b64 v[240:243], v236 offset0:94 offset1:95
	v_add_f64 v[36:37], v[36:37], -v[144:145]
	v_add_f64 v[38:39], v[38:39], -v[146:147]
	s_waitcnt lgkmcnt(1)
	v_mul_f64 v[144:145], v[226:227], v[210:211]
	v_mul_f64 v[146:147], v[224:225], v[210:211]
	v_fma_f64 v[144:145], v[224:225], v[234:235], -v[144:145]
	v_fmac_f64_e32 v[146:147], v[226:227], v[234:235]
	ds_read2_b64 v[224:227], v236 offset0:96 offset1:97
	v_add_f64 v[32:33], v[32:33], -v[144:145]
	v_add_f64 v[34:35], v[34:35], -v[146:147]
	s_waitcnt lgkmcnt(1)
	v_mul_f64 v[144:145], v[242:243], v[210:211]
	v_mul_f64 v[146:147], v[240:241], v[210:211]
	v_fma_f64 v[144:145], v[240:241], v[234:235], -v[144:145]
	v_fmac_f64_e32 v[146:147], v[242:243], v[234:235]
	ds_read2_b64 v[240:243], v236 offset0:98 offset1:99
	v_add_f64 v[28:29], v[28:29], -v[144:145]
	v_add_f64 v[30:31], v[30:31], -v[146:147]
	s_waitcnt lgkmcnt(1)
	v_mul_f64 v[144:145], v[226:227], v[210:211]
	v_mul_f64 v[146:147], v[224:225], v[210:211]
	v_fma_f64 v[144:145], v[224:225], v[234:235], -v[144:145]
	v_fmac_f64_e32 v[146:147], v[226:227], v[234:235]
	ds_read2_b64 v[224:227], v236 offset0:100 offset1:101
	v_add_f64 v[24:25], v[24:25], -v[144:145]
	v_add_f64 v[26:27], v[26:27], -v[146:147]
	s_waitcnt lgkmcnt(1)
	v_mul_f64 v[144:145], v[242:243], v[210:211]
	v_mul_f64 v[146:147], v[240:241], v[210:211]
	v_fma_f64 v[144:145], v[240:241], v[234:235], -v[144:145]
	v_fmac_f64_e32 v[146:147], v[242:243], v[234:235]
	ds_read2_b64 v[240:243], v236 offset0:102 offset1:103
	v_add_f64 v[20:21], v[20:21], -v[144:145]
	v_add_f64 v[22:23], v[22:23], -v[146:147]
	s_waitcnt lgkmcnt(1)
	v_mul_f64 v[144:145], v[226:227], v[210:211]
	v_mul_f64 v[146:147], v[224:225], v[210:211]
	v_fma_f64 v[144:145], v[224:225], v[234:235], -v[144:145]
	v_fmac_f64_e32 v[146:147], v[226:227], v[234:235]
	ds_read2_b64 v[224:227], v236 offset0:104 offset1:105
	v_add_f64 v[16:17], v[16:17], -v[144:145]
	v_add_f64 v[18:19], v[18:19], -v[146:147]
	s_waitcnt lgkmcnt(1)
	v_mul_f64 v[144:145], v[242:243], v[210:211]
	v_mul_f64 v[146:147], v[240:241], v[210:211]
	v_fma_f64 v[144:145], v[240:241], v[234:235], -v[144:145]
	v_fmac_f64_e32 v[146:147], v[242:243], v[234:235]
	ds_read2_b64 v[240:243], v236 offset0:106 offset1:107
	v_add_f64 v[12:13], v[12:13], -v[144:145]
	v_add_f64 v[14:15], v[14:15], -v[146:147]
	s_waitcnt lgkmcnt(1)
	v_mul_f64 v[144:145], v[226:227], v[210:211]
	v_mul_f64 v[146:147], v[224:225], v[210:211]
	v_fma_f64 v[144:145], v[224:225], v[234:235], -v[144:145]
	v_fmac_f64_e32 v[146:147], v[226:227], v[234:235]
	ds_read2_b64 v[224:227], v236 offset0:108 offset1:109
	v_add_f64 v[8:9], v[8:9], -v[144:145]
	v_add_f64 v[10:11], v[10:11], -v[146:147]
	s_waitcnt lgkmcnt(1)
	v_mul_f64 v[144:145], v[242:243], v[210:211]
	v_mul_f64 v[146:147], v[240:241], v[210:211]
	v_fma_f64 v[144:145], v[240:241], v[234:235], -v[144:145]
	v_fmac_f64_e32 v[146:147], v[242:243], v[234:235]
	ds_read2_b64 v[240:243], v236 offset0:110 offset1:111
	v_add_f64 v[4:5], v[4:5], -v[144:145]
	v_add_f64 v[6:7], v[6:7], -v[146:147]
	s_waitcnt lgkmcnt(1)
	v_mul_f64 v[144:145], v[226:227], v[210:211]
	v_mul_f64 v[146:147], v[224:225], v[210:211]
	v_fma_f64 v[144:145], v[224:225], v[234:235], -v[144:145]
	v_fmac_f64_e32 v[146:147], v[226:227], v[234:235]
	v_add_f64 v[0:1], v[0:1], -v[144:145]
	v_add_f64 v[2:3], v[2:3], -v[146:147]
	s_waitcnt lgkmcnt(0)
	v_mul_f64 v[144:145], v[242:243], v[210:211]
	v_mul_f64 v[146:147], v[240:241], v[210:211]
	v_fma_f64 v[144:145], v[240:241], v[234:235], -v[144:145]
	v_fmac_f64_e32 v[146:147], v[242:243], v[234:235]
	v_add_f64 v[220:221], v[220:221], -v[144:145]
	v_add_f64 v[222:223], v[222:223], -v[146:147]
	v_mov_b64_e32 v[208:209], v[234:235]
.LBB110_104:
	s_or_b64 exec, exec, s[0:1]
	v_lshl_add_u32 v144, v237, 4, v236
	s_barrier
	ds_write2_b64 v144, v[204:205], v[206:207] offset1:1
	s_waitcnt lgkmcnt(0)
	s_barrier
	ds_read2_b64 v[224:227], v236 offset0:10 offset1:11
	s_cmp_lt_i32 s20, 7
	v_mov_b32_e32 v234, 5
	s_cbranch_scc1 .LBB110_107
; %bb.105:
	v_add_u32_e32 v235, 0x60, v236
	s_mov_b32 s16, 6
	v_mov_b32_e32 v234, 5
.LBB110_106:                            ; =>This Inner Loop Header: Depth=1
	ds_read2_b64 v[240:243], v235 offset1:1
	s_waitcnt lgkmcnt(1)
	v_xor_b32_e32 v145, 0x80000000, v225
	v_xor_b32_e32 v147, 0x80000000, v227
	v_cmp_gt_f64_e32 vcc, 0, v[226:227]
	v_cmp_gt_f64_e64 s[0:1], 0, v[224:225]
	v_mov_b32_e32 v144, v224
	v_mov_b32_e32 v146, v226
	v_cndmask_b32_e64 v145, v225, v145, s[0:1]
	v_cndmask_b32_e32 v147, v227, v147, vcc
	v_add_f64 v[144:145], v[144:145], v[146:147]
	s_waitcnt lgkmcnt(0)
	v_xor_b32_e32 v147, 0x80000000, v241
	v_xor_b32_e32 v153, 0x80000000, v243
	v_cmp_gt_f64_e32 vcc, 0, v[242:243]
	v_cmp_gt_f64_e64 s[0:1], 0, v[240:241]
	v_mov_b32_e32 v146, v240
	v_mov_b32_e32 v152, v242
	v_cndmask_b32_e64 v147, v241, v147, s[0:1]
	v_cndmask_b32_e32 v153, v243, v153, vcc
	v_add_f64 v[146:147], v[146:147], v[152:153]
	v_mov_b32_e32 v154, s16
	s_add_i32 s16, s16, 1
	v_cmp_lt_f64_e32 vcc, v[144:145], v[146:147]
	v_add_u32_e32 v235, 16, v235
	s_cmp_lg_u32 s20, s16
	v_cndmask_b32_e32 v225, v225, v241, vcc
	v_cndmask_b32_e32 v224, v224, v240, vcc
	;; [unrolled: 1-line block ×5, first 2 shown]
	s_cbranch_scc1 .LBB110_106
.LBB110_107:
	s_waitcnt lgkmcnt(0)
	v_cmp_eq_f64_e32 vcc, 0, v[224:225]
	v_cmp_eq_f64_e64 s[0:1], 0, v[226:227]
	s_and_b64 s[0:1], vcc, s[0:1]
	s_and_saveexec_b64 s[16:17], s[0:1]
	s_xor_b64 s[0:1], exec, s[16:17]
; %bb.108:
	v_cmp_ne_u32_e32 vcc, 0, v238
	s_nop 1
	v_cndmask_b32_e32 v238, 6, v238, vcc
; %bb.109:
	s_andn2_saveexec_b64 s[0:1], s[0:1]
	s_cbranch_execz .LBB110_115
; %bb.110:
	v_cmp_ngt_f64_e64 s[16:17], |v[224:225]|, |v[226:227]|
	s_and_saveexec_b64 s[18:19], s[16:17]
	s_xor_b64 s[16:17], exec, s[18:19]
	s_cbranch_execz .LBB110_112
; %bb.111:
	v_div_scale_f64 v[144:145], s[18:19], v[226:227], v[226:227], v[224:225]
	v_rcp_f64_e32 v[146:147], v[144:145]
	v_div_scale_f64 v[152:153], vcc, v[224:225], v[226:227], v[224:225]
	v_fma_f64 v[154:155], -v[144:145], v[146:147], 1.0
	v_fmac_f64_e32 v[146:147], v[146:147], v[154:155]
	v_fma_f64 v[154:155], -v[144:145], v[146:147], 1.0
	v_fmac_f64_e32 v[146:147], v[146:147], v[154:155]
	v_mul_f64 v[154:155], v[152:153], v[146:147]
	v_fma_f64 v[144:145], -v[144:145], v[154:155], v[152:153]
	v_div_fmas_f64 v[144:145], v[144:145], v[146:147], v[154:155]
	v_div_fixup_f64 v[144:145], v[144:145], v[226:227], v[224:225]
	v_fmac_f64_e32 v[226:227], v[224:225], v[144:145]
	v_div_scale_f64 v[146:147], s[18:19], v[226:227], v[226:227], 1.0
	v_rcp_f64_e32 v[152:153], v[146:147]
	s_nop 0
	v_fma_f64 v[154:155], -v[146:147], v[152:153], 1.0
	v_fmac_f64_e32 v[152:153], v[152:153], v[154:155]
	v_fma_f64 v[154:155], -v[146:147], v[152:153], 1.0
	v_fmac_f64_e32 v[152:153], v[152:153], v[154:155]
	v_div_scale_f64 v[154:155], vcc, 1.0, v[226:227], 1.0
	v_mul_f64 v[224:225], v[154:155], v[152:153]
	v_fma_f64 v[146:147], -v[146:147], v[224:225], v[154:155]
	s_nop 1
	v_div_fmas_f64 v[146:147], v[146:147], v[152:153], v[224:225]
	v_div_fixup_f64 v[226:227], v[146:147], v[226:227], 1.0
	v_mul_f64 v[224:225], v[144:145], v[226:227]
	v_xor_b32_e32 v227, 0x80000000, v227
.LBB110_112:
	s_andn2_saveexec_b64 s[16:17], s[16:17]
	s_cbranch_execz .LBB110_114
; %bb.113:
	v_div_scale_f64 v[144:145], s[18:19], v[224:225], v[224:225], v[226:227]
	v_rcp_f64_e32 v[146:147], v[144:145]
	v_div_scale_f64 v[152:153], vcc, v[226:227], v[224:225], v[226:227]
	v_fma_f64 v[154:155], -v[144:145], v[146:147], 1.0
	v_fmac_f64_e32 v[146:147], v[146:147], v[154:155]
	v_fma_f64 v[154:155], -v[144:145], v[146:147], 1.0
	v_fmac_f64_e32 v[146:147], v[146:147], v[154:155]
	v_mul_f64 v[154:155], v[152:153], v[146:147]
	v_fma_f64 v[144:145], -v[144:145], v[154:155], v[152:153]
	v_div_fmas_f64 v[144:145], v[144:145], v[146:147], v[154:155]
	v_div_fixup_f64 v[144:145], v[144:145], v[224:225], v[226:227]
	v_fmac_f64_e32 v[224:225], v[226:227], v[144:145]
	v_div_scale_f64 v[146:147], s[18:19], v[224:225], v[224:225], 1.0
	v_rcp_f64_e32 v[152:153], v[146:147]
	s_nop 0
	v_fma_f64 v[154:155], -v[146:147], v[152:153], 1.0
	v_fmac_f64_e32 v[152:153], v[152:153], v[154:155]
	v_fma_f64 v[154:155], -v[146:147], v[152:153], 1.0
	v_fmac_f64_e32 v[152:153], v[152:153], v[154:155]
	v_div_scale_f64 v[154:155], vcc, 1.0, v[224:225], 1.0
	v_mul_f64 v[226:227], v[154:155], v[152:153]
	v_fma_f64 v[146:147], -v[146:147], v[226:227], v[154:155]
	s_nop 1
	v_div_fmas_f64 v[146:147], v[146:147], v[152:153], v[226:227]
	v_div_fixup_f64 v[224:225], v[146:147], v[224:225], 1.0
	v_mul_f64 v[226:227], v[144:145], -v[224:225]
.LBB110_114:
	s_or_b64 exec, exec, s[16:17]
.LBB110_115:
	s_or_b64 exec, exec, s[0:1]
	v_cmp_ne_u32_e32 vcc, v237, v234
	s_and_saveexec_b64 s[0:1], vcc
	s_xor_b64 s[0:1], exec, s[0:1]
	s_cbranch_execz .LBB110_121
; %bb.116:
	v_cmp_eq_u32_e32 vcc, 5, v237
	s_and_saveexec_b64 s[16:17], vcc
	s_cbranch_execz .LBB110_120
; %bb.117:
	v_cmp_ne_u32_e32 vcc, 5, v234
	s_xor_b64 s[18:19], s[14:15], -1
	s_and_b64 s[22:23], s[18:19], vcc
	s_and_saveexec_b64 s[18:19], s[22:23]
	s_cbranch_execz .LBB110_119
; %bb.118:
	v_ashrrev_i32_e32 v235, 31, v234
	v_lshl_add_u64 v[144:145], v[234:235], 2, v[212:213]
	global_load_dword v146, v[144:145], off
	global_load_dword v147, v[212:213], off offset:20
	s_waitcnt vmcnt(1)
	global_store_dword v[212:213], v146, off offset:20
	s_waitcnt vmcnt(1)
	global_store_dword v[144:145], v147, off
.LBB110_119:
	s_or_b64 exec, exec, s[18:19]
	v_mov_b32_e32 v237, v234
	v_mov_b32_e32 v218, v234
.LBB110_120:
	s_or_b64 exec, exec, s[16:17]
.LBB110_121:
	s_andn2_saveexec_b64 s[0:1], s[0:1]
	s_cbranch_execz .LBB110_123
; %bb.122:
	v_mov_b32_e32 v237, 5
	ds_write2_b64 v236, v[200:201], v[202:203] offset0:12 offset1:13
	ds_write2_b64 v236, v[196:197], v[198:199] offset0:14 offset1:15
	;; [unrolled: 1-line block ×50, first 2 shown]
.LBB110_123:
	s_or_b64 exec, exec, s[0:1]
	v_cmp_lt_i32_e32 vcc, 5, v237
	s_waitcnt lgkmcnt(0)
	s_barrier
	s_and_saveexec_b64 s[0:1], vcc
	s_cbranch_execz .LBB110_125
; %bb.124:
	ds_read2_b64 v[240:243], v236 offset0:12 offset1:13
	v_mul_f64 v[144:145], v[226:227], v[206:207]
	v_mul_f64 v[206:207], v[224:225], v[206:207]
	v_fma_f64 v[234:235], v[224:225], v[204:205], -v[144:145]
	v_fmac_f64_e32 v[206:207], v[226:227], v[204:205]
	ds_read2_b64 v[224:227], v236 offset0:14 offset1:15
	s_waitcnt lgkmcnt(1)
	v_mul_f64 v[144:145], v[242:243], v[206:207]
	v_mul_f64 v[146:147], v[240:241], v[206:207]
	v_fma_f64 v[144:145], v[240:241], v[234:235], -v[144:145]
	v_fmac_f64_e32 v[146:147], v[242:243], v[234:235]
	ds_read2_b64 v[240:243], v236 offset0:16 offset1:17
	v_add_f64 v[200:201], v[200:201], -v[144:145]
	v_add_f64 v[202:203], v[202:203], -v[146:147]
	s_waitcnt lgkmcnt(1)
	v_mul_f64 v[144:145], v[226:227], v[206:207]
	v_mul_f64 v[146:147], v[224:225], v[206:207]
	v_fma_f64 v[144:145], v[224:225], v[234:235], -v[144:145]
	v_fmac_f64_e32 v[146:147], v[226:227], v[234:235]
	ds_read2_b64 v[224:227], v236 offset0:18 offset1:19
	v_add_f64 v[196:197], v[196:197], -v[144:145]
	v_add_f64 v[198:199], v[198:199], -v[146:147]
	s_waitcnt lgkmcnt(1)
	v_mul_f64 v[144:145], v[242:243], v[206:207]
	v_mul_f64 v[146:147], v[240:241], v[206:207]
	v_fma_f64 v[144:145], v[240:241], v[234:235], -v[144:145]
	v_fmac_f64_e32 v[146:147], v[242:243], v[234:235]
	ds_read2_b64 v[240:243], v236 offset0:20 offset1:21
	v_add_f64 v[192:193], v[192:193], -v[144:145]
	v_add_f64 v[194:195], v[194:195], -v[146:147]
	s_waitcnt lgkmcnt(1)
	v_mul_f64 v[144:145], v[226:227], v[206:207]
	v_mul_f64 v[146:147], v[224:225], v[206:207]
	v_fma_f64 v[144:145], v[224:225], v[234:235], -v[144:145]
	v_fmac_f64_e32 v[146:147], v[226:227], v[234:235]
	ds_read2_b64 v[224:227], v236 offset0:22 offset1:23
	v_add_f64 v[188:189], v[188:189], -v[144:145]
	v_add_f64 v[190:191], v[190:191], -v[146:147]
	s_waitcnt lgkmcnt(1)
	v_mul_f64 v[144:145], v[242:243], v[206:207]
	v_mul_f64 v[146:147], v[240:241], v[206:207]
	v_fma_f64 v[144:145], v[240:241], v[234:235], -v[144:145]
	v_fmac_f64_e32 v[146:147], v[242:243], v[234:235]
	ds_read2_b64 v[240:243], v236 offset0:24 offset1:25
	v_add_f64 v[184:185], v[184:185], -v[144:145]
	v_add_f64 v[186:187], v[186:187], -v[146:147]
	s_waitcnt lgkmcnt(1)
	v_mul_f64 v[144:145], v[226:227], v[206:207]
	v_mul_f64 v[146:147], v[224:225], v[206:207]
	v_fma_f64 v[144:145], v[224:225], v[234:235], -v[144:145]
	v_fmac_f64_e32 v[146:147], v[226:227], v[234:235]
	ds_read2_b64 v[224:227], v236 offset0:26 offset1:27
	v_add_f64 v[180:181], v[180:181], -v[144:145]
	v_add_f64 v[182:183], v[182:183], -v[146:147]
	s_waitcnt lgkmcnt(1)
	v_mul_f64 v[144:145], v[242:243], v[206:207]
	v_mul_f64 v[146:147], v[240:241], v[206:207]
	v_fma_f64 v[144:145], v[240:241], v[234:235], -v[144:145]
	v_fmac_f64_e32 v[146:147], v[242:243], v[234:235]
	ds_read2_b64 v[240:243], v236 offset0:28 offset1:29
	v_add_f64 v[176:177], v[176:177], -v[144:145]
	v_add_f64 v[178:179], v[178:179], -v[146:147]
	s_waitcnt lgkmcnt(1)
	v_mul_f64 v[144:145], v[226:227], v[206:207]
	v_mul_f64 v[146:147], v[224:225], v[206:207]
	v_fma_f64 v[144:145], v[224:225], v[234:235], -v[144:145]
	v_fmac_f64_e32 v[146:147], v[226:227], v[234:235]
	ds_read2_b64 v[224:227], v236 offset0:30 offset1:31
	v_add_f64 v[172:173], v[172:173], -v[144:145]
	v_add_f64 v[174:175], v[174:175], -v[146:147]
	s_waitcnt lgkmcnt(1)
	v_mul_f64 v[144:145], v[242:243], v[206:207]
	v_mul_f64 v[146:147], v[240:241], v[206:207]
	v_fma_f64 v[144:145], v[240:241], v[234:235], -v[144:145]
	v_fmac_f64_e32 v[146:147], v[242:243], v[234:235]
	ds_read2_b64 v[240:243], v236 offset0:32 offset1:33
	v_add_f64 v[168:169], v[168:169], -v[144:145]
	v_add_f64 v[170:171], v[170:171], -v[146:147]
	s_waitcnt lgkmcnt(1)
	v_mul_f64 v[144:145], v[226:227], v[206:207]
	v_mul_f64 v[146:147], v[224:225], v[206:207]
	v_fma_f64 v[144:145], v[224:225], v[234:235], -v[144:145]
	v_fmac_f64_e32 v[146:147], v[226:227], v[234:235]
	ds_read2_b64 v[224:227], v236 offset0:34 offset1:35
	v_add_f64 v[164:165], v[164:165], -v[144:145]
	v_add_f64 v[166:167], v[166:167], -v[146:147]
	s_waitcnt lgkmcnt(1)
	v_mul_f64 v[144:145], v[242:243], v[206:207]
	v_mul_f64 v[146:147], v[240:241], v[206:207]
	v_fma_f64 v[144:145], v[240:241], v[234:235], -v[144:145]
	v_fmac_f64_e32 v[146:147], v[242:243], v[234:235]
	ds_read2_b64 v[240:243], v236 offset0:36 offset1:37
	v_add_f64 v[160:161], v[160:161], -v[144:145]
	v_add_f64 v[162:163], v[162:163], -v[146:147]
	s_waitcnt lgkmcnt(1)
	v_mul_f64 v[144:145], v[226:227], v[206:207]
	v_mul_f64 v[146:147], v[224:225], v[206:207]
	v_fma_f64 v[144:145], v[224:225], v[234:235], -v[144:145]
	v_fmac_f64_e32 v[146:147], v[226:227], v[234:235]
	ds_read2_b64 v[224:227], v236 offset0:38 offset1:39
	v_add_f64 v[156:157], v[156:157], -v[144:145]
	v_add_f64 v[158:159], v[158:159], -v[146:147]
	s_waitcnt lgkmcnt(1)
	v_mul_f64 v[144:145], v[242:243], v[206:207]
	v_mul_f64 v[146:147], v[240:241], v[206:207]
	v_fma_f64 v[144:145], v[240:241], v[234:235], -v[144:145]
	v_fmac_f64_e32 v[146:147], v[242:243], v[234:235]
	ds_read2_b64 v[240:243], v236 offset0:40 offset1:41
	v_add_f64 v[148:149], v[148:149], -v[144:145]
	v_add_f64 v[150:151], v[150:151], -v[146:147]
	s_waitcnt lgkmcnt(1)
	v_mul_f64 v[144:145], v[226:227], v[206:207]
	v_mul_f64 v[146:147], v[224:225], v[206:207]
	v_fma_f64 v[144:145], v[224:225], v[234:235], -v[144:145]
	v_fmac_f64_e32 v[146:147], v[226:227], v[234:235]
	ds_read2_b64 v[224:227], v236 offset0:42 offset1:43
	v_add_f64 v[140:141], v[140:141], -v[144:145]
	v_add_f64 v[142:143], v[142:143], -v[146:147]
	s_waitcnt lgkmcnt(1)
	v_mul_f64 v[144:145], v[242:243], v[206:207]
	v_mul_f64 v[146:147], v[240:241], v[206:207]
	v_fma_f64 v[144:145], v[240:241], v[234:235], -v[144:145]
	v_fmac_f64_e32 v[146:147], v[242:243], v[234:235]
	ds_read2_b64 v[240:243], v236 offset0:44 offset1:45
	v_add_f64 v[136:137], v[136:137], -v[144:145]
	v_add_f64 v[138:139], v[138:139], -v[146:147]
	s_waitcnt lgkmcnt(1)
	v_mul_f64 v[144:145], v[226:227], v[206:207]
	v_mul_f64 v[146:147], v[224:225], v[206:207]
	v_fma_f64 v[144:145], v[224:225], v[234:235], -v[144:145]
	v_fmac_f64_e32 v[146:147], v[226:227], v[234:235]
	ds_read2_b64 v[224:227], v236 offset0:46 offset1:47
	v_add_f64 v[132:133], v[132:133], -v[144:145]
	v_add_f64 v[134:135], v[134:135], -v[146:147]
	s_waitcnt lgkmcnt(1)
	v_mul_f64 v[144:145], v[242:243], v[206:207]
	v_mul_f64 v[146:147], v[240:241], v[206:207]
	v_fma_f64 v[144:145], v[240:241], v[234:235], -v[144:145]
	v_fmac_f64_e32 v[146:147], v[242:243], v[234:235]
	ds_read2_b64 v[240:243], v236 offset0:48 offset1:49
	v_add_f64 v[128:129], v[128:129], -v[144:145]
	v_add_f64 v[130:131], v[130:131], -v[146:147]
	s_waitcnt lgkmcnt(1)
	v_mul_f64 v[144:145], v[226:227], v[206:207]
	v_mul_f64 v[146:147], v[224:225], v[206:207]
	v_fma_f64 v[144:145], v[224:225], v[234:235], -v[144:145]
	v_fmac_f64_e32 v[146:147], v[226:227], v[234:235]
	ds_read2_b64 v[224:227], v236 offset0:50 offset1:51
	v_add_f64 v[124:125], v[124:125], -v[144:145]
	v_add_f64 v[126:127], v[126:127], -v[146:147]
	s_waitcnt lgkmcnt(1)
	v_mul_f64 v[144:145], v[242:243], v[206:207]
	v_mul_f64 v[146:147], v[240:241], v[206:207]
	v_fma_f64 v[144:145], v[240:241], v[234:235], -v[144:145]
	v_fmac_f64_e32 v[146:147], v[242:243], v[234:235]
	ds_read2_b64 v[240:243], v236 offset0:52 offset1:53
	v_add_f64 v[120:121], v[120:121], -v[144:145]
	v_add_f64 v[122:123], v[122:123], -v[146:147]
	s_waitcnt lgkmcnt(1)
	v_mul_f64 v[144:145], v[226:227], v[206:207]
	v_mul_f64 v[146:147], v[224:225], v[206:207]
	v_fma_f64 v[144:145], v[224:225], v[234:235], -v[144:145]
	v_fmac_f64_e32 v[146:147], v[226:227], v[234:235]
	ds_read2_b64 v[224:227], v236 offset0:54 offset1:55
	v_add_f64 v[116:117], v[116:117], -v[144:145]
	v_add_f64 v[118:119], v[118:119], -v[146:147]
	s_waitcnt lgkmcnt(1)
	v_mul_f64 v[144:145], v[242:243], v[206:207]
	v_mul_f64 v[146:147], v[240:241], v[206:207]
	v_fma_f64 v[144:145], v[240:241], v[234:235], -v[144:145]
	v_fmac_f64_e32 v[146:147], v[242:243], v[234:235]
	ds_read2_b64 v[240:243], v236 offset0:56 offset1:57
	v_add_f64 v[112:113], v[112:113], -v[144:145]
	v_add_f64 v[114:115], v[114:115], -v[146:147]
	s_waitcnt lgkmcnt(1)
	v_mul_f64 v[144:145], v[226:227], v[206:207]
	v_mul_f64 v[146:147], v[224:225], v[206:207]
	v_fma_f64 v[144:145], v[224:225], v[234:235], -v[144:145]
	v_fmac_f64_e32 v[146:147], v[226:227], v[234:235]
	ds_read2_b64 v[224:227], v236 offset0:58 offset1:59
	v_add_f64 v[108:109], v[108:109], -v[144:145]
	v_add_f64 v[110:111], v[110:111], -v[146:147]
	s_waitcnt lgkmcnt(1)
	v_mul_f64 v[144:145], v[242:243], v[206:207]
	v_mul_f64 v[146:147], v[240:241], v[206:207]
	v_fma_f64 v[144:145], v[240:241], v[234:235], -v[144:145]
	v_fmac_f64_e32 v[146:147], v[242:243], v[234:235]
	ds_read2_b64 v[240:243], v236 offset0:60 offset1:61
	v_add_f64 v[104:105], v[104:105], -v[144:145]
	v_add_f64 v[106:107], v[106:107], -v[146:147]
	s_waitcnt lgkmcnt(1)
	v_mul_f64 v[144:145], v[226:227], v[206:207]
	v_mul_f64 v[146:147], v[224:225], v[206:207]
	v_fma_f64 v[144:145], v[224:225], v[234:235], -v[144:145]
	v_fmac_f64_e32 v[146:147], v[226:227], v[234:235]
	ds_read2_b64 v[224:227], v236 offset0:62 offset1:63
	v_add_f64 v[100:101], v[100:101], -v[144:145]
	v_add_f64 v[102:103], v[102:103], -v[146:147]
	s_waitcnt lgkmcnt(1)
	v_mul_f64 v[144:145], v[242:243], v[206:207]
	v_mul_f64 v[146:147], v[240:241], v[206:207]
	v_fma_f64 v[144:145], v[240:241], v[234:235], -v[144:145]
	v_fmac_f64_e32 v[146:147], v[242:243], v[234:235]
	ds_read2_b64 v[240:243], v236 offset0:64 offset1:65
	v_add_f64 v[96:97], v[96:97], -v[144:145]
	v_add_f64 v[98:99], v[98:99], -v[146:147]
	s_waitcnt lgkmcnt(1)
	v_mul_f64 v[144:145], v[226:227], v[206:207]
	v_mul_f64 v[146:147], v[224:225], v[206:207]
	v_fma_f64 v[144:145], v[224:225], v[234:235], -v[144:145]
	v_fmac_f64_e32 v[146:147], v[226:227], v[234:235]
	ds_read2_b64 v[224:227], v236 offset0:66 offset1:67
	v_add_f64 v[92:93], v[92:93], -v[144:145]
	v_add_f64 v[94:95], v[94:95], -v[146:147]
	s_waitcnt lgkmcnt(1)
	v_mul_f64 v[144:145], v[242:243], v[206:207]
	v_mul_f64 v[146:147], v[240:241], v[206:207]
	v_fma_f64 v[144:145], v[240:241], v[234:235], -v[144:145]
	v_fmac_f64_e32 v[146:147], v[242:243], v[234:235]
	ds_read2_b64 v[240:243], v236 offset0:68 offset1:69
	v_add_f64 v[88:89], v[88:89], -v[144:145]
	v_add_f64 v[90:91], v[90:91], -v[146:147]
	s_waitcnt lgkmcnt(1)
	v_mul_f64 v[144:145], v[226:227], v[206:207]
	v_mul_f64 v[146:147], v[224:225], v[206:207]
	v_fma_f64 v[144:145], v[224:225], v[234:235], -v[144:145]
	v_fmac_f64_e32 v[146:147], v[226:227], v[234:235]
	ds_read2_b64 v[224:227], v236 offset0:70 offset1:71
	v_add_f64 v[84:85], v[84:85], -v[144:145]
	v_add_f64 v[86:87], v[86:87], -v[146:147]
	s_waitcnt lgkmcnt(1)
	v_mul_f64 v[144:145], v[242:243], v[206:207]
	v_mul_f64 v[146:147], v[240:241], v[206:207]
	v_fma_f64 v[144:145], v[240:241], v[234:235], -v[144:145]
	v_fmac_f64_e32 v[146:147], v[242:243], v[234:235]
	ds_read2_b64 v[240:243], v236 offset0:72 offset1:73
	v_add_f64 v[80:81], v[80:81], -v[144:145]
	v_add_f64 v[82:83], v[82:83], -v[146:147]
	s_waitcnt lgkmcnt(1)
	v_mul_f64 v[144:145], v[226:227], v[206:207]
	v_mul_f64 v[146:147], v[224:225], v[206:207]
	v_fma_f64 v[144:145], v[224:225], v[234:235], -v[144:145]
	v_fmac_f64_e32 v[146:147], v[226:227], v[234:235]
	ds_read2_b64 v[224:227], v236 offset0:74 offset1:75
	v_add_f64 v[76:77], v[76:77], -v[144:145]
	v_add_f64 v[78:79], v[78:79], -v[146:147]
	s_waitcnt lgkmcnt(1)
	v_mul_f64 v[144:145], v[242:243], v[206:207]
	v_mul_f64 v[146:147], v[240:241], v[206:207]
	v_fma_f64 v[144:145], v[240:241], v[234:235], -v[144:145]
	v_fmac_f64_e32 v[146:147], v[242:243], v[234:235]
	ds_read2_b64 v[240:243], v236 offset0:76 offset1:77
	v_add_f64 v[72:73], v[72:73], -v[144:145]
	v_add_f64 v[74:75], v[74:75], -v[146:147]
	s_waitcnt lgkmcnt(1)
	v_mul_f64 v[144:145], v[226:227], v[206:207]
	v_mul_f64 v[146:147], v[224:225], v[206:207]
	v_fma_f64 v[144:145], v[224:225], v[234:235], -v[144:145]
	v_fmac_f64_e32 v[146:147], v[226:227], v[234:235]
	ds_read2_b64 v[224:227], v236 offset0:78 offset1:79
	v_add_f64 v[68:69], v[68:69], -v[144:145]
	v_add_f64 v[70:71], v[70:71], -v[146:147]
	s_waitcnt lgkmcnt(1)
	v_mul_f64 v[144:145], v[242:243], v[206:207]
	v_mul_f64 v[146:147], v[240:241], v[206:207]
	v_fma_f64 v[144:145], v[240:241], v[234:235], -v[144:145]
	v_fmac_f64_e32 v[146:147], v[242:243], v[234:235]
	ds_read2_b64 v[240:243], v236 offset0:80 offset1:81
	v_add_f64 v[64:65], v[64:65], -v[144:145]
	v_add_f64 v[66:67], v[66:67], -v[146:147]
	s_waitcnt lgkmcnt(1)
	v_mul_f64 v[144:145], v[226:227], v[206:207]
	v_mul_f64 v[146:147], v[224:225], v[206:207]
	v_fma_f64 v[144:145], v[224:225], v[234:235], -v[144:145]
	v_fmac_f64_e32 v[146:147], v[226:227], v[234:235]
	ds_read2_b64 v[224:227], v236 offset0:82 offset1:83
	v_add_f64 v[60:61], v[60:61], -v[144:145]
	v_add_f64 v[62:63], v[62:63], -v[146:147]
	s_waitcnt lgkmcnt(1)
	v_mul_f64 v[144:145], v[242:243], v[206:207]
	v_mul_f64 v[146:147], v[240:241], v[206:207]
	v_fma_f64 v[144:145], v[240:241], v[234:235], -v[144:145]
	v_fmac_f64_e32 v[146:147], v[242:243], v[234:235]
	ds_read2_b64 v[240:243], v236 offset0:84 offset1:85
	v_add_f64 v[56:57], v[56:57], -v[144:145]
	v_add_f64 v[58:59], v[58:59], -v[146:147]
	s_waitcnt lgkmcnt(1)
	v_mul_f64 v[144:145], v[226:227], v[206:207]
	v_mul_f64 v[146:147], v[224:225], v[206:207]
	v_fma_f64 v[144:145], v[224:225], v[234:235], -v[144:145]
	v_fmac_f64_e32 v[146:147], v[226:227], v[234:235]
	ds_read2_b64 v[224:227], v236 offset0:86 offset1:87
	v_add_f64 v[52:53], v[52:53], -v[144:145]
	v_add_f64 v[54:55], v[54:55], -v[146:147]
	s_waitcnt lgkmcnt(1)
	v_mul_f64 v[144:145], v[242:243], v[206:207]
	v_mul_f64 v[146:147], v[240:241], v[206:207]
	v_fma_f64 v[144:145], v[240:241], v[234:235], -v[144:145]
	v_fmac_f64_e32 v[146:147], v[242:243], v[234:235]
	ds_read2_b64 v[240:243], v236 offset0:88 offset1:89
	v_add_f64 v[48:49], v[48:49], -v[144:145]
	v_add_f64 v[50:51], v[50:51], -v[146:147]
	s_waitcnt lgkmcnt(1)
	v_mul_f64 v[144:145], v[226:227], v[206:207]
	v_mul_f64 v[146:147], v[224:225], v[206:207]
	v_fma_f64 v[144:145], v[224:225], v[234:235], -v[144:145]
	v_fmac_f64_e32 v[146:147], v[226:227], v[234:235]
	ds_read2_b64 v[224:227], v236 offset0:90 offset1:91
	v_add_f64 v[44:45], v[44:45], -v[144:145]
	v_add_f64 v[46:47], v[46:47], -v[146:147]
	s_waitcnt lgkmcnt(1)
	v_mul_f64 v[144:145], v[242:243], v[206:207]
	v_mul_f64 v[146:147], v[240:241], v[206:207]
	v_fma_f64 v[144:145], v[240:241], v[234:235], -v[144:145]
	v_fmac_f64_e32 v[146:147], v[242:243], v[234:235]
	ds_read2_b64 v[240:243], v236 offset0:92 offset1:93
	v_add_f64 v[40:41], v[40:41], -v[144:145]
	v_add_f64 v[42:43], v[42:43], -v[146:147]
	s_waitcnt lgkmcnt(1)
	v_mul_f64 v[144:145], v[226:227], v[206:207]
	v_mul_f64 v[146:147], v[224:225], v[206:207]
	v_fma_f64 v[144:145], v[224:225], v[234:235], -v[144:145]
	v_fmac_f64_e32 v[146:147], v[226:227], v[234:235]
	ds_read2_b64 v[224:227], v236 offset0:94 offset1:95
	v_add_f64 v[36:37], v[36:37], -v[144:145]
	v_add_f64 v[38:39], v[38:39], -v[146:147]
	s_waitcnt lgkmcnt(1)
	v_mul_f64 v[144:145], v[242:243], v[206:207]
	v_mul_f64 v[146:147], v[240:241], v[206:207]
	v_fma_f64 v[144:145], v[240:241], v[234:235], -v[144:145]
	v_fmac_f64_e32 v[146:147], v[242:243], v[234:235]
	ds_read2_b64 v[240:243], v236 offset0:96 offset1:97
	v_add_f64 v[32:33], v[32:33], -v[144:145]
	v_add_f64 v[34:35], v[34:35], -v[146:147]
	s_waitcnt lgkmcnt(1)
	v_mul_f64 v[144:145], v[226:227], v[206:207]
	v_mul_f64 v[146:147], v[224:225], v[206:207]
	v_fma_f64 v[144:145], v[224:225], v[234:235], -v[144:145]
	v_fmac_f64_e32 v[146:147], v[226:227], v[234:235]
	ds_read2_b64 v[224:227], v236 offset0:98 offset1:99
	v_add_f64 v[28:29], v[28:29], -v[144:145]
	v_add_f64 v[30:31], v[30:31], -v[146:147]
	s_waitcnt lgkmcnt(1)
	v_mul_f64 v[144:145], v[242:243], v[206:207]
	v_mul_f64 v[146:147], v[240:241], v[206:207]
	v_fma_f64 v[144:145], v[240:241], v[234:235], -v[144:145]
	v_fmac_f64_e32 v[146:147], v[242:243], v[234:235]
	ds_read2_b64 v[240:243], v236 offset0:100 offset1:101
	v_add_f64 v[24:25], v[24:25], -v[144:145]
	v_add_f64 v[26:27], v[26:27], -v[146:147]
	s_waitcnt lgkmcnt(1)
	v_mul_f64 v[144:145], v[226:227], v[206:207]
	v_mul_f64 v[146:147], v[224:225], v[206:207]
	v_fma_f64 v[144:145], v[224:225], v[234:235], -v[144:145]
	v_fmac_f64_e32 v[146:147], v[226:227], v[234:235]
	ds_read2_b64 v[224:227], v236 offset0:102 offset1:103
	v_add_f64 v[20:21], v[20:21], -v[144:145]
	v_add_f64 v[22:23], v[22:23], -v[146:147]
	s_waitcnt lgkmcnt(1)
	v_mul_f64 v[144:145], v[242:243], v[206:207]
	v_mul_f64 v[146:147], v[240:241], v[206:207]
	v_fma_f64 v[144:145], v[240:241], v[234:235], -v[144:145]
	v_fmac_f64_e32 v[146:147], v[242:243], v[234:235]
	ds_read2_b64 v[240:243], v236 offset0:104 offset1:105
	v_add_f64 v[16:17], v[16:17], -v[144:145]
	v_add_f64 v[18:19], v[18:19], -v[146:147]
	s_waitcnt lgkmcnt(1)
	v_mul_f64 v[144:145], v[226:227], v[206:207]
	v_mul_f64 v[146:147], v[224:225], v[206:207]
	v_fma_f64 v[144:145], v[224:225], v[234:235], -v[144:145]
	v_fmac_f64_e32 v[146:147], v[226:227], v[234:235]
	ds_read2_b64 v[224:227], v236 offset0:106 offset1:107
	v_add_f64 v[12:13], v[12:13], -v[144:145]
	v_add_f64 v[14:15], v[14:15], -v[146:147]
	s_waitcnt lgkmcnt(1)
	v_mul_f64 v[144:145], v[242:243], v[206:207]
	v_mul_f64 v[146:147], v[240:241], v[206:207]
	v_fma_f64 v[144:145], v[240:241], v[234:235], -v[144:145]
	v_fmac_f64_e32 v[146:147], v[242:243], v[234:235]
	ds_read2_b64 v[240:243], v236 offset0:108 offset1:109
	v_add_f64 v[8:9], v[8:9], -v[144:145]
	v_add_f64 v[10:11], v[10:11], -v[146:147]
	s_waitcnt lgkmcnt(1)
	v_mul_f64 v[144:145], v[226:227], v[206:207]
	v_mul_f64 v[146:147], v[224:225], v[206:207]
	v_fma_f64 v[144:145], v[224:225], v[234:235], -v[144:145]
	v_fmac_f64_e32 v[146:147], v[226:227], v[234:235]
	ds_read2_b64 v[224:227], v236 offset0:110 offset1:111
	v_add_f64 v[4:5], v[4:5], -v[144:145]
	v_add_f64 v[6:7], v[6:7], -v[146:147]
	s_waitcnt lgkmcnt(1)
	v_mul_f64 v[144:145], v[242:243], v[206:207]
	v_mul_f64 v[146:147], v[240:241], v[206:207]
	v_fma_f64 v[144:145], v[240:241], v[234:235], -v[144:145]
	v_fmac_f64_e32 v[146:147], v[242:243], v[234:235]
	v_add_f64 v[0:1], v[0:1], -v[144:145]
	v_add_f64 v[2:3], v[2:3], -v[146:147]
	s_waitcnt lgkmcnt(0)
	v_mul_f64 v[144:145], v[226:227], v[206:207]
	v_mul_f64 v[146:147], v[224:225], v[206:207]
	v_fma_f64 v[144:145], v[224:225], v[234:235], -v[144:145]
	v_fmac_f64_e32 v[146:147], v[226:227], v[234:235]
	v_add_f64 v[220:221], v[220:221], -v[144:145]
	v_add_f64 v[222:223], v[222:223], -v[146:147]
	v_mov_b64_e32 v[204:205], v[234:235]
.LBB110_125:
	s_or_b64 exec, exec, s[0:1]
	v_lshl_add_u32 v144, v237, 4, v236
	s_barrier
	ds_write2_b64 v144, v[200:201], v[202:203] offset1:1
	s_waitcnt lgkmcnt(0)
	s_barrier
	ds_read2_b64 v[224:227], v236 offset0:12 offset1:13
	s_cmp_lt_i32 s20, 8
	v_mov_b32_e32 v234, 6
	s_cbranch_scc1 .LBB110_128
; %bb.126:
	v_add_u32_e32 v235, 0x70, v236
	s_mov_b32 s16, 7
	v_mov_b32_e32 v234, 6
.LBB110_127:                            ; =>This Inner Loop Header: Depth=1
	ds_read2_b64 v[240:243], v235 offset1:1
	s_waitcnt lgkmcnt(1)
	v_xor_b32_e32 v145, 0x80000000, v225
	v_xor_b32_e32 v147, 0x80000000, v227
	v_cmp_gt_f64_e32 vcc, 0, v[226:227]
	v_cmp_gt_f64_e64 s[0:1], 0, v[224:225]
	v_mov_b32_e32 v144, v224
	v_mov_b32_e32 v146, v226
	v_cndmask_b32_e64 v145, v225, v145, s[0:1]
	v_cndmask_b32_e32 v147, v227, v147, vcc
	v_add_f64 v[144:145], v[144:145], v[146:147]
	s_waitcnt lgkmcnt(0)
	v_xor_b32_e32 v147, 0x80000000, v241
	v_xor_b32_e32 v153, 0x80000000, v243
	v_cmp_gt_f64_e32 vcc, 0, v[242:243]
	v_cmp_gt_f64_e64 s[0:1], 0, v[240:241]
	v_mov_b32_e32 v146, v240
	v_mov_b32_e32 v152, v242
	v_cndmask_b32_e64 v147, v241, v147, s[0:1]
	v_cndmask_b32_e32 v153, v243, v153, vcc
	v_add_f64 v[146:147], v[146:147], v[152:153]
	v_mov_b32_e32 v154, s16
	s_add_i32 s16, s16, 1
	v_cmp_lt_f64_e32 vcc, v[144:145], v[146:147]
	v_add_u32_e32 v235, 16, v235
	s_cmp_lg_u32 s20, s16
	v_cndmask_b32_e32 v225, v225, v241, vcc
	v_cndmask_b32_e32 v224, v224, v240, vcc
	;; [unrolled: 1-line block ×5, first 2 shown]
	s_cbranch_scc1 .LBB110_127
.LBB110_128:
	s_waitcnt lgkmcnt(0)
	v_cmp_eq_f64_e32 vcc, 0, v[224:225]
	v_cmp_eq_f64_e64 s[0:1], 0, v[226:227]
	s_and_b64 s[0:1], vcc, s[0:1]
	s_and_saveexec_b64 s[16:17], s[0:1]
	s_xor_b64 s[0:1], exec, s[16:17]
; %bb.129:
	v_cmp_ne_u32_e32 vcc, 0, v238
	s_nop 1
	v_cndmask_b32_e32 v238, 7, v238, vcc
; %bb.130:
	s_andn2_saveexec_b64 s[0:1], s[0:1]
	s_cbranch_execz .LBB110_136
; %bb.131:
	v_cmp_ngt_f64_e64 s[16:17], |v[224:225]|, |v[226:227]|
	s_and_saveexec_b64 s[18:19], s[16:17]
	s_xor_b64 s[16:17], exec, s[18:19]
	s_cbranch_execz .LBB110_133
; %bb.132:
	v_div_scale_f64 v[144:145], s[18:19], v[226:227], v[226:227], v[224:225]
	v_rcp_f64_e32 v[146:147], v[144:145]
	v_div_scale_f64 v[152:153], vcc, v[224:225], v[226:227], v[224:225]
	v_fma_f64 v[154:155], -v[144:145], v[146:147], 1.0
	v_fmac_f64_e32 v[146:147], v[146:147], v[154:155]
	v_fma_f64 v[154:155], -v[144:145], v[146:147], 1.0
	v_fmac_f64_e32 v[146:147], v[146:147], v[154:155]
	v_mul_f64 v[154:155], v[152:153], v[146:147]
	v_fma_f64 v[144:145], -v[144:145], v[154:155], v[152:153]
	v_div_fmas_f64 v[144:145], v[144:145], v[146:147], v[154:155]
	v_div_fixup_f64 v[144:145], v[144:145], v[226:227], v[224:225]
	v_fmac_f64_e32 v[226:227], v[224:225], v[144:145]
	v_div_scale_f64 v[146:147], s[18:19], v[226:227], v[226:227], 1.0
	v_rcp_f64_e32 v[152:153], v[146:147]
	s_nop 0
	v_fma_f64 v[154:155], -v[146:147], v[152:153], 1.0
	v_fmac_f64_e32 v[152:153], v[152:153], v[154:155]
	v_fma_f64 v[154:155], -v[146:147], v[152:153], 1.0
	v_fmac_f64_e32 v[152:153], v[152:153], v[154:155]
	v_div_scale_f64 v[154:155], vcc, 1.0, v[226:227], 1.0
	v_mul_f64 v[224:225], v[154:155], v[152:153]
	v_fma_f64 v[146:147], -v[146:147], v[224:225], v[154:155]
	s_nop 1
	v_div_fmas_f64 v[146:147], v[146:147], v[152:153], v[224:225]
	v_div_fixup_f64 v[226:227], v[146:147], v[226:227], 1.0
	v_mul_f64 v[224:225], v[144:145], v[226:227]
	v_xor_b32_e32 v227, 0x80000000, v227
.LBB110_133:
	s_andn2_saveexec_b64 s[16:17], s[16:17]
	s_cbranch_execz .LBB110_135
; %bb.134:
	v_div_scale_f64 v[144:145], s[18:19], v[224:225], v[224:225], v[226:227]
	v_rcp_f64_e32 v[146:147], v[144:145]
	v_div_scale_f64 v[152:153], vcc, v[226:227], v[224:225], v[226:227]
	v_fma_f64 v[154:155], -v[144:145], v[146:147], 1.0
	v_fmac_f64_e32 v[146:147], v[146:147], v[154:155]
	v_fma_f64 v[154:155], -v[144:145], v[146:147], 1.0
	v_fmac_f64_e32 v[146:147], v[146:147], v[154:155]
	v_mul_f64 v[154:155], v[152:153], v[146:147]
	v_fma_f64 v[144:145], -v[144:145], v[154:155], v[152:153]
	v_div_fmas_f64 v[144:145], v[144:145], v[146:147], v[154:155]
	v_div_fixup_f64 v[144:145], v[144:145], v[224:225], v[226:227]
	v_fmac_f64_e32 v[224:225], v[226:227], v[144:145]
	v_div_scale_f64 v[146:147], s[18:19], v[224:225], v[224:225], 1.0
	v_rcp_f64_e32 v[152:153], v[146:147]
	s_nop 0
	v_fma_f64 v[154:155], -v[146:147], v[152:153], 1.0
	v_fmac_f64_e32 v[152:153], v[152:153], v[154:155]
	v_fma_f64 v[154:155], -v[146:147], v[152:153], 1.0
	v_fmac_f64_e32 v[152:153], v[152:153], v[154:155]
	v_div_scale_f64 v[154:155], vcc, 1.0, v[224:225], 1.0
	v_mul_f64 v[226:227], v[154:155], v[152:153]
	v_fma_f64 v[146:147], -v[146:147], v[226:227], v[154:155]
	s_nop 1
	v_div_fmas_f64 v[146:147], v[146:147], v[152:153], v[226:227]
	v_div_fixup_f64 v[224:225], v[146:147], v[224:225], 1.0
	v_mul_f64 v[226:227], v[144:145], -v[224:225]
.LBB110_135:
	s_or_b64 exec, exec, s[16:17]
.LBB110_136:
	s_or_b64 exec, exec, s[0:1]
	v_cmp_ne_u32_e32 vcc, v237, v234
	s_and_saveexec_b64 s[0:1], vcc
	s_xor_b64 s[0:1], exec, s[0:1]
	s_cbranch_execz .LBB110_142
; %bb.137:
	v_cmp_eq_u32_e32 vcc, 6, v237
	s_and_saveexec_b64 s[16:17], vcc
	s_cbranch_execz .LBB110_141
; %bb.138:
	v_cmp_ne_u32_e32 vcc, 6, v234
	s_xor_b64 s[18:19], s[14:15], -1
	s_and_b64 s[22:23], s[18:19], vcc
	s_and_saveexec_b64 s[18:19], s[22:23]
	s_cbranch_execz .LBB110_140
; %bb.139:
	v_ashrrev_i32_e32 v235, 31, v234
	v_lshl_add_u64 v[144:145], v[234:235], 2, v[212:213]
	global_load_dword v146, v[144:145], off
	global_load_dword v147, v[212:213], off offset:24
	s_waitcnt vmcnt(1)
	global_store_dword v[212:213], v146, off offset:24
	s_waitcnt vmcnt(1)
	global_store_dword v[144:145], v147, off
.LBB110_140:
	s_or_b64 exec, exec, s[18:19]
	v_mov_b32_e32 v237, v234
	v_mov_b32_e32 v218, v234
.LBB110_141:
	s_or_b64 exec, exec, s[16:17]
.LBB110_142:
	s_andn2_saveexec_b64 s[0:1], s[0:1]
	s_cbranch_execz .LBB110_144
; %bb.143:
	v_mov_b32_e32 v237, 6
	ds_write2_b64 v236, v[196:197], v[198:199] offset0:14 offset1:15
	ds_write2_b64 v236, v[192:193], v[194:195] offset0:16 offset1:17
	;; [unrolled: 1-line block ×49, first 2 shown]
.LBB110_144:
	s_or_b64 exec, exec, s[0:1]
	v_cmp_lt_i32_e32 vcc, 6, v237
	s_waitcnt lgkmcnt(0)
	s_barrier
	s_and_saveexec_b64 s[0:1], vcc
	s_cbranch_execz .LBB110_146
; %bb.145:
	ds_read2_b64 v[240:243], v236 offset0:14 offset1:15
	v_mul_f64 v[144:145], v[226:227], v[202:203]
	v_mul_f64 v[202:203], v[224:225], v[202:203]
	v_fma_f64 v[234:235], v[224:225], v[200:201], -v[144:145]
	v_fmac_f64_e32 v[202:203], v[226:227], v[200:201]
	ds_read2_b64 v[224:227], v236 offset0:16 offset1:17
	s_waitcnt lgkmcnt(1)
	v_mul_f64 v[144:145], v[242:243], v[202:203]
	v_mul_f64 v[146:147], v[240:241], v[202:203]
	v_fma_f64 v[144:145], v[240:241], v[234:235], -v[144:145]
	v_fmac_f64_e32 v[146:147], v[242:243], v[234:235]
	ds_read2_b64 v[240:243], v236 offset0:18 offset1:19
	v_add_f64 v[196:197], v[196:197], -v[144:145]
	v_add_f64 v[198:199], v[198:199], -v[146:147]
	s_waitcnt lgkmcnt(1)
	v_mul_f64 v[144:145], v[226:227], v[202:203]
	v_mul_f64 v[146:147], v[224:225], v[202:203]
	v_fma_f64 v[144:145], v[224:225], v[234:235], -v[144:145]
	v_fmac_f64_e32 v[146:147], v[226:227], v[234:235]
	ds_read2_b64 v[224:227], v236 offset0:20 offset1:21
	v_add_f64 v[192:193], v[192:193], -v[144:145]
	v_add_f64 v[194:195], v[194:195], -v[146:147]
	;; [unrolled: 8-line block ×47, first 2 shown]
	s_waitcnt lgkmcnt(1)
	v_mul_f64 v[144:145], v[226:227], v[202:203]
	v_mul_f64 v[146:147], v[224:225], v[202:203]
	v_fma_f64 v[144:145], v[224:225], v[234:235], -v[144:145]
	v_fmac_f64_e32 v[146:147], v[226:227], v[234:235]
	v_add_f64 v[0:1], v[0:1], -v[144:145]
	v_add_f64 v[2:3], v[2:3], -v[146:147]
	s_waitcnt lgkmcnt(0)
	v_mul_f64 v[144:145], v[242:243], v[202:203]
	v_mul_f64 v[146:147], v[240:241], v[202:203]
	v_fma_f64 v[144:145], v[240:241], v[234:235], -v[144:145]
	v_fmac_f64_e32 v[146:147], v[242:243], v[234:235]
	v_add_f64 v[220:221], v[220:221], -v[144:145]
	v_add_f64 v[222:223], v[222:223], -v[146:147]
	v_mov_b64_e32 v[200:201], v[234:235]
.LBB110_146:
	s_or_b64 exec, exec, s[0:1]
	v_lshl_add_u32 v144, v237, 4, v236
	s_barrier
	ds_write2_b64 v144, v[196:197], v[198:199] offset1:1
	s_waitcnt lgkmcnt(0)
	s_barrier
	ds_read2_b64 v[224:227], v236 offset0:14 offset1:15
	s_cmp_lt_i32 s20, 9
	v_mov_b32_e32 v234, 7
	s_cbranch_scc1 .LBB110_149
; %bb.147:
	v_add_u32_e32 v235, 0x80, v236
	s_mov_b32 s16, 8
	v_mov_b32_e32 v234, 7
.LBB110_148:                            ; =>This Inner Loop Header: Depth=1
	ds_read2_b64 v[240:243], v235 offset1:1
	s_waitcnt lgkmcnt(1)
	v_xor_b32_e32 v145, 0x80000000, v225
	v_xor_b32_e32 v147, 0x80000000, v227
	v_cmp_gt_f64_e32 vcc, 0, v[226:227]
	v_cmp_gt_f64_e64 s[0:1], 0, v[224:225]
	v_mov_b32_e32 v144, v224
	v_mov_b32_e32 v146, v226
	v_cndmask_b32_e64 v145, v225, v145, s[0:1]
	v_cndmask_b32_e32 v147, v227, v147, vcc
	v_add_f64 v[144:145], v[144:145], v[146:147]
	s_waitcnt lgkmcnt(0)
	v_xor_b32_e32 v147, 0x80000000, v241
	v_xor_b32_e32 v153, 0x80000000, v243
	v_cmp_gt_f64_e32 vcc, 0, v[242:243]
	v_cmp_gt_f64_e64 s[0:1], 0, v[240:241]
	v_mov_b32_e32 v146, v240
	v_mov_b32_e32 v152, v242
	v_cndmask_b32_e64 v147, v241, v147, s[0:1]
	v_cndmask_b32_e32 v153, v243, v153, vcc
	v_add_f64 v[146:147], v[146:147], v[152:153]
	v_mov_b32_e32 v154, s16
	s_add_i32 s16, s16, 1
	v_cmp_lt_f64_e32 vcc, v[144:145], v[146:147]
	v_add_u32_e32 v235, 16, v235
	s_cmp_lg_u32 s20, s16
	v_cndmask_b32_e32 v225, v225, v241, vcc
	v_cndmask_b32_e32 v224, v224, v240, vcc
	;; [unrolled: 1-line block ×5, first 2 shown]
	s_cbranch_scc1 .LBB110_148
.LBB110_149:
	s_waitcnt lgkmcnt(0)
	v_cmp_eq_f64_e32 vcc, 0, v[224:225]
	v_cmp_eq_f64_e64 s[0:1], 0, v[226:227]
	s_and_b64 s[0:1], vcc, s[0:1]
	s_and_saveexec_b64 s[16:17], s[0:1]
	s_xor_b64 s[0:1], exec, s[16:17]
; %bb.150:
	v_cmp_ne_u32_e32 vcc, 0, v238
	s_nop 1
	v_cndmask_b32_e32 v238, 8, v238, vcc
; %bb.151:
	s_andn2_saveexec_b64 s[0:1], s[0:1]
	s_cbranch_execz .LBB110_157
; %bb.152:
	v_cmp_ngt_f64_e64 s[16:17], |v[224:225]|, |v[226:227]|
	s_and_saveexec_b64 s[18:19], s[16:17]
	s_xor_b64 s[16:17], exec, s[18:19]
	s_cbranch_execz .LBB110_154
; %bb.153:
	v_div_scale_f64 v[144:145], s[18:19], v[226:227], v[226:227], v[224:225]
	v_rcp_f64_e32 v[146:147], v[144:145]
	v_div_scale_f64 v[152:153], vcc, v[224:225], v[226:227], v[224:225]
	v_fma_f64 v[154:155], -v[144:145], v[146:147], 1.0
	v_fmac_f64_e32 v[146:147], v[146:147], v[154:155]
	v_fma_f64 v[154:155], -v[144:145], v[146:147], 1.0
	v_fmac_f64_e32 v[146:147], v[146:147], v[154:155]
	v_mul_f64 v[154:155], v[152:153], v[146:147]
	v_fma_f64 v[144:145], -v[144:145], v[154:155], v[152:153]
	v_div_fmas_f64 v[144:145], v[144:145], v[146:147], v[154:155]
	v_div_fixup_f64 v[144:145], v[144:145], v[226:227], v[224:225]
	v_fmac_f64_e32 v[226:227], v[224:225], v[144:145]
	v_div_scale_f64 v[146:147], s[18:19], v[226:227], v[226:227], 1.0
	v_rcp_f64_e32 v[152:153], v[146:147]
	s_nop 0
	v_fma_f64 v[154:155], -v[146:147], v[152:153], 1.0
	v_fmac_f64_e32 v[152:153], v[152:153], v[154:155]
	v_fma_f64 v[154:155], -v[146:147], v[152:153], 1.0
	v_fmac_f64_e32 v[152:153], v[152:153], v[154:155]
	v_div_scale_f64 v[154:155], vcc, 1.0, v[226:227], 1.0
	v_mul_f64 v[224:225], v[154:155], v[152:153]
	v_fma_f64 v[146:147], -v[146:147], v[224:225], v[154:155]
	s_nop 1
	v_div_fmas_f64 v[146:147], v[146:147], v[152:153], v[224:225]
	v_div_fixup_f64 v[226:227], v[146:147], v[226:227], 1.0
	v_mul_f64 v[224:225], v[144:145], v[226:227]
	v_xor_b32_e32 v227, 0x80000000, v227
.LBB110_154:
	s_andn2_saveexec_b64 s[16:17], s[16:17]
	s_cbranch_execz .LBB110_156
; %bb.155:
	v_div_scale_f64 v[144:145], s[18:19], v[224:225], v[224:225], v[226:227]
	v_rcp_f64_e32 v[146:147], v[144:145]
	v_div_scale_f64 v[152:153], vcc, v[226:227], v[224:225], v[226:227]
	v_fma_f64 v[154:155], -v[144:145], v[146:147], 1.0
	v_fmac_f64_e32 v[146:147], v[146:147], v[154:155]
	v_fma_f64 v[154:155], -v[144:145], v[146:147], 1.0
	v_fmac_f64_e32 v[146:147], v[146:147], v[154:155]
	v_mul_f64 v[154:155], v[152:153], v[146:147]
	v_fma_f64 v[144:145], -v[144:145], v[154:155], v[152:153]
	v_div_fmas_f64 v[144:145], v[144:145], v[146:147], v[154:155]
	v_div_fixup_f64 v[144:145], v[144:145], v[224:225], v[226:227]
	v_fmac_f64_e32 v[224:225], v[226:227], v[144:145]
	v_div_scale_f64 v[146:147], s[18:19], v[224:225], v[224:225], 1.0
	v_rcp_f64_e32 v[152:153], v[146:147]
	s_nop 0
	v_fma_f64 v[154:155], -v[146:147], v[152:153], 1.0
	v_fmac_f64_e32 v[152:153], v[152:153], v[154:155]
	v_fma_f64 v[154:155], -v[146:147], v[152:153], 1.0
	v_fmac_f64_e32 v[152:153], v[152:153], v[154:155]
	v_div_scale_f64 v[154:155], vcc, 1.0, v[224:225], 1.0
	v_mul_f64 v[226:227], v[154:155], v[152:153]
	v_fma_f64 v[146:147], -v[146:147], v[226:227], v[154:155]
	s_nop 1
	v_div_fmas_f64 v[146:147], v[146:147], v[152:153], v[226:227]
	v_div_fixup_f64 v[224:225], v[146:147], v[224:225], 1.0
	v_mul_f64 v[226:227], v[144:145], -v[224:225]
.LBB110_156:
	s_or_b64 exec, exec, s[16:17]
.LBB110_157:
	s_or_b64 exec, exec, s[0:1]
	v_cmp_ne_u32_e32 vcc, v237, v234
	s_and_saveexec_b64 s[0:1], vcc
	s_xor_b64 s[0:1], exec, s[0:1]
	s_cbranch_execz .LBB110_163
; %bb.158:
	v_cmp_eq_u32_e32 vcc, 7, v237
	s_and_saveexec_b64 s[16:17], vcc
	s_cbranch_execz .LBB110_162
; %bb.159:
	v_cmp_ne_u32_e32 vcc, 7, v234
	s_xor_b64 s[18:19], s[14:15], -1
	s_and_b64 s[22:23], s[18:19], vcc
	s_and_saveexec_b64 s[18:19], s[22:23]
	s_cbranch_execz .LBB110_161
; %bb.160:
	v_ashrrev_i32_e32 v235, 31, v234
	v_lshl_add_u64 v[144:145], v[234:235], 2, v[212:213]
	global_load_dword v146, v[144:145], off
	global_load_dword v147, v[212:213], off offset:28
	s_waitcnt vmcnt(1)
	global_store_dword v[212:213], v146, off offset:28
	s_waitcnt vmcnt(1)
	global_store_dword v[144:145], v147, off
.LBB110_161:
	s_or_b64 exec, exec, s[18:19]
	v_mov_b32_e32 v237, v234
	v_mov_b32_e32 v218, v234
.LBB110_162:
	s_or_b64 exec, exec, s[16:17]
.LBB110_163:
	s_andn2_saveexec_b64 s[0:1], s[0:1]
	s_cbranch_execz .LBB110_165
; %bb.164:
	v_mov_b32_e32 v237, 7
	ds_write2_b64 v236, v[192:193], v[194:195] offset0:16 offset1:17
	ds_write2_b64 v236, v[188:189], v[190:191] offset0:18 offset1:19
	;; [unrolled: 1-line block ×48, first 2 shown]
.LBB110_165:
	s_or_b64 exec, exec, s[0:1]
	v_cmp_lt_i32_e32 vcc, 7, v237
	s_waitcnt lgkmcnt(0)
	s_barrier
	s_and_saveexec_b64 s[0:1], vcc
	s_cbranch_execz .LBB110_167
; %bb.166:
	ds_read2_b64 v[240:243], v236 offset0:16 offset1:17
	v_mul_f64 v[144:145], v[226:227], v[198:199]
	v_mul_f64 v[198:199], v[224:225], v[198:199]
	v_fma_f64 v[234:235], v[224:225], v[196:197], -v[144:145]
	v_fmac_f64_e32 v[198:199], v[226:227], v[196:197]
	ds_read2_b64 v[224:227], v236 offset0:18 offset1:19
	s_waitcnt lgkmcnt(1)
	v_mul_f64 v[144:145], v[242:243], v[198:199]
	v_mul_f64 v[146:147], v[240:241], v[198:199]
	v_fma_f64 v[144:145], v[240:241], v[234:235], -v[144:145]
	v_fmac_f64_e32 v[146:147], v[242:243], v[234:235]
	ds_read2_b64 v[240:243], v236 offset0:20 offset1:21
	v_add_f64 v[192:193], v[192:193], -v[144:145]
	v_add_f64 v[194:195], v[194:195], -v[146:147]
	s_waitcnt lgkmcnt(1)
	v_mul_f64 v[144:145], v[226:227], v[198:199]
	v_mul_f64 v[146:147], v[224:225], v[198:199]
	v_fma_f64 v[144:145], v[224:225], v[234:235], -v[144:145]
	v_fmac_f64_e32 v[146:147], v[226:227], v[234:235]
	ds_read2_b64 v[224:227], v236 offset0:22 offset1:23
	v_add_f64 v[188:189], v[188:189], -v[144:145]
	v_add_f64 v[190:191], v[190:191], -v[146:147]
	;; [unrolled: 8-line block ×46, first 2 shown]
	s_waitcnt lgkmcnt(1)
	v_mul_f64 v[144:145], v[242:243], v[198:199]
	v_mul_f64 v[146:147], v[240:241], v[198:199]
	v_fma_f64 v[144:145], v[240:241], v[234:235], -v[144:145]
	v_fmac_f64_e32 v[146:147], v[242:243], v[234:235]
	v_add_f64 v[0:1], v[0:1], -v[144:145]
	v_add_f64 v[2:3], v[2:3], -v[146:147]
	s_waitcnt lgkmcnt(0)
	v_mul_f64 v[144:145], v[226:227], v[198:199]
	v_mul_f64 v[146:147], v[224:225], v[198:199]
	v_fma_f64 v[144:145], v[224:225], v[234:235], -v[144:145]
	v_fmac_f64_e32 v[146:147], v[226:227], v[234:235]
	v_add_f64 v[220:221], v[220:221], -v[144:145]
	v_add_f64 v[222:223], v[222:223], -v[146:147]
	v_mov_b64_e32 v[196:197], v[234:235]
.LBB110_167:
	s_or_b64 exec, exec, s[0:1]
	v_lshl_add_u32 v144, v237, 4, v236
	s_barrier
	ds_write2_b64 v144, v[192:193], v[194:195] offset1:1
	s_waitcnt lgkmcnt(0)
	s_barrier
	ds_read2_b64 v[224:227], v236 offset0:16 offset1:17
	s_cmp_lt_i32 s20, 10
	v_mov_b32_e32 v234, 8
	s_cbranch_scc1 .LBB110_170
; %bb.168:
	v_add_u32_e32 v235, 0x90, v236
	s_mov_b32 s16, 9
	v_mov_b32_e32 v234, 8
.LBB110_169:                            ; =>This Inner Loop Header: Depth=1
	ds_read2_b64 v[240:243], v235 offset1:1
	s_waitcnt lgkmcnt(1)
	v_xor_b32_e32 v145, 0x80000000, v225
	v_xor_b32_e32 v147, 0x80000000, v227
	v_cmp_gt_f64_e32 vcc, 0, v[226:227]
	v_cmp_gt_f64_e64 s[0:1], 0, v[224:225]
	v_mov_b32_e32 v144, v224
	v_mov_b32_e32 v146, v226
	v_cndmask_b32_e64 v145, v225, v145, s[0:1]
	v_cndmask_b32_e32 v147, v227, v147, vcc
	v_add_f64 v[144:145], v[144:145], v[146:147]
	s_waitcnt lgkmcnt(0)
	v_xor_b32_e32 v147, 0x80000000, v241
	v_xor_b32_e32 v153, 0x80000000, v243
	v_cmp_gt_f64_e32 vcc, 0, v[242:243]
	v_cmp_gt_f64_e64 s[0:1], 0, v[240:241]
	v_mov_b32_e32 v146, v240
	v_mov_b32_e32 v152, v242
	v_cndmask_b32_e64 v147, v241, v147, s[0:1]
	v_cndmask_b32_e32 v153, v243, v153, vcc
	v_add_f64 v[146:147], v[146:147], v[152:153]
	v_mov_b32_e32 v154, s16
	s_add_i32 s16, s16, 1
	v_cmp_lt_f64_e32 vcc, v[144:145], v[146:147]
	v_add_u32_e32 v235, 16, v235
	s_cmp_lg_u32 s20, s16
	v_cndmask_b32_e32 v225, v225, v241, vcc
	v_cndmask_b32_e32 v224, v224, v240, vcc
	;; [unrolled: 1-line block ×5, first 2 shown]
	s_cbranch_scc1 .LBB110_169
.LBB110_170:
	s_waitcnt lgkmcnt(0)
	v_cmp_eq_f64_e32 vcc, 0, v[224:225]
	v_cmp_eq_f64_e64 s[0:1], 0, v[226:227]
	s_and_b64 s[0:1], vcc, s[0:1]
	s_and_saveexec_b64 s[16:17], s[0:1]
	s_xor_b64 s[0:1], exec, s[16:17]
; %bb.171:
	v_cmp_ne_u32_e32 vcc, 0, v238
	s_nop 1
	v_cndmask_b32_e32 v238, 9, v238, vcc
; %bb.172:
	s_andn2_saveexec_b64 s[0:1], s[0:1]
	s_cbranch_execz .LBB110_178
; %bb.173:
	v_cmp_ngt_f64_e64 s[16:17], |v[224:225]|, |v[226:227]|
	s_and_saveexec_b64 s[18:19], s[16:17]
	s_xor_b64 s[16:17], exec, s[18:19]
	s_cbranch_execz .LBB110_175
; %bb.174:
	v_div_scale_f64 v[144:145], s[18:19], v[226:227], v[226:227], v[224:225]
	v_rcp_f64_e32 v[146:147], v[144:145]
	v_div_scale_f64 v[152:153], vcc, v[224:225], v[226:227], v[224:225]
	v_fma_f64 v[154:155], -v[144:145], v[146:147], 1.0
	v_fmac_f64_e32 v[146:147], v[146:147], v[154:155]
	v_fma_f64 v[154:155], -v[144:145], v[146:147], 1.0
	v_fmac_f64_e32 v[146:147], v[146:147], v[154:155]
	v_mul_f64 v[154:155], v[152:153], v[146:147]
	v_fma_f64 v[144:145], -v[144:145], v[154:155], v[152:153]
	v_div_fmas_f64 v[144:145], v[144:145], v[146:147], v[154:155]
	v_div_fixup_f64 v[144:145], v[144:145], v[226:227], v[224:225]
	v_fmac_f64_e32 v[226:227], v[224:225], v[144:145]
	v_div_scale_f64 v[146:147], s[18:19], v[226:227], v[226:227], 1.0
	v_rcp_f64_e32 v[152:153], v[146:147]
	s_nop 0
	v_fma_f64 v[154:155], -v[146:147], v[152:153], 1.0
	v_fmac_f64_e32 v[152:153], v[152:153], v[154:155]
	v_fma_f64 v[154:155], -v[146:147], v[152:153], 1.0
	v_fmac_f64_e32 v[152:153], v[152:153], v[154:155]
	v_div_scale_f64 v[154:155], vcc, 1.0, v[226:227], 1.0
	v_mul_f64 v[224:225], v[154:155], v[152:153]
	v_fma_f64 v[146:147], -v[146:147], v[224:225], v[154:155]
	s_nop 1
	v_div_fmas_f64 v[146:147], v[146:147], v[152:153], v[224:225]
	v_div_fixup_f64 v[226:227], v[146:147], v[226:227], 1.0
	v_mul_f64 v[224:225], v[144:145], v[226:227]
	v_xor_b32_e32 v227, 0x80000000, v227
.LBB110_175:
	s_andn2_saveexec_b64 s[16:17], s[16:17]
	s_cbranch_execz .LBB110_177
; %bb.176:
	v_div_scale_f64 v[144:145], s[18:19], v[224:225], v[224:225], v[226:227]
	v_rcp_f64_e32 v[146:147], v[144:145]
	v_div_scale_f64 v[152:153], vcc, v[226:227], v[224:225], v[226:227]
	v_fma_f64 v[154:155], -v[144:145], v[146:147], 1.0
	v_fmac_f64_e32 v[146:147], v[146:147], v[154:155]
	v_fma_f64 v[154:155], -v[144:145], v[146:147], 1.0
	v_fmac_f64_e32 v[146:147], v[146:147], v[154:155]
	v_mul_f64 v[154:155], v[152:153], v[146:147]
	v_fma_f64 v[144:145], -v[144:145], v[154:155], v[152:153]
	v_div_fmas_f64 v[144:145], v[144:145], v[146:147], v[154:155]
	v_div_fixup_f64 v[144:145], v[144:145], v[224:225], v[226:227]
	v_fmac_f64_e32 v[224:225], v[226:227], v[144:145]
	v_div_scale_f64 v[146:147], s[18:19], v[224:225], v[224:225], 1.0
	v_rcp_f64_e32 v[152:153], v[146:147]
	s_nop 0
	v_fma_f64 v[154:155], -v[146:147], v[152:153], 1.0
	v_fmac_f64_e32 v[152:153], v[152:153], v[154:155]
	v_fma_f64 v[154:155], -v[146:147], v[152:153], 1.0
	v_fmac_f64_e32 v[152:153], v[152:153], v[154:155]
	v_div_scale_f64 v[154:155], vcc, 1.0, v[224:225], 1.0
	v_mul_f64 v[226:227], v[154:155], v[152:153]
	v_fma_f64 v[146:147], -v[146:147], v[226:227], v[154:155]
	s_nop 1
	v_div_fmas_f64 v[146:147], v[146:147], v[152:153], v[226:227]
	v_div_fixup_f64 v[224:225], v[146:147], v[224:225], 1.0
	v_mul_f64 v[226:227], v[144:145], -v[224:225]
.LBB110_177:
	s_or_b64 exec, exec, s[16:17]
.LBB110_178:
	s_or_b64 exec, exec, s[0:1]
	v_cmp_ne_u32_e32 vcc, v237, v234
	s_and_saveexec_b64 s[0:1], vcc
	s_xor_b64 s[0:1], exec, s[0:1]
	s_cbranch_execz .LBB110_184
; %bb.179:
	v_cmp_eq_u32_e32 vcc, 8, v237
	s_and_saveexec_b64 s[16:17], vcc
	s_cbranch_execz .LBB110_183
; %bb.180:
	v_cmp_ne_u32_e32 vcc, 8, v234
	s_xor_b64 s[18:19], s[14:15], -1
	s_and_b64 s[22:23], s[18:19], vcc
	s_and_saveexec_b64 s[18:19], s[22:23]
	s_cbranch_execz .LBB110_182
; %bb.181:
	v_ashrrev_i32_e32 v235, 31, v234
	v_lshl_add_u64 v[144:145], v[234:235], 2, v[212:213]
	global_load_dword v146, v[144:145], off
	global_load_dword v147, v[212:213], off offset:32
	s_waitcnt vmcnt(1)
	global_store_dword v[212:213], v146, off offset:32
	s_waitcnt vmcnt(1)
	global_store_dword v[144:145], v147, off
.LBB110_182:
	s_or_b64 exec, exec, s[18:19]
	v_mov_b32_e32 v237, v234
	v_mov_b32_e32 v218, v234
.LBB110_183:
	s_or_b64 exec, exec, s[16:17]
.LBB110_184:
	s_andn2_saveexec_b64 s[0:1], s[0:1]
	s_cbranch_execz .LBB110_186
; %bb.185:
	v_mov_b32_e32 v237, 8
	ds_write2_b64 v236, v[188:189], v[190:191] offset0:18 offset1:19
	ds_write2_b64 v236, v[184:185], v[186:187] offset0:20 offset1:21
	;; [unrolled: 1-line block ×47, first 2 shown]
.LBB110_186:
	s_or_b64 exec, exec, s[0:1]
	v_cmp_lt_i32_e32 vcc, 8, v237
	s_waitcnt lgkmcnt(0)
	s_barrier
	s_and_saveexec_b64 s[0:1], vcc
	s_cbranch_execz .LBB110_188
; %bb.187:
	ds_read2_b64 v[240:243], v236 offset0:18 offset1:19
	v_mul_f64 v[144:145], v[226:227], v[194:195]
	v_mul_f64 v[194:195], v[224:225], v[194:195]
	v_fma_f64 v[234:235], v[224:225], v[192:193], -v[144:145]
	v_fmac_f64_e32 v[194:195], v[226:227], v[192:193]
	ds_read2_b64 v[224:227], v236 offset0:20 offset1:21
	s_waitcnt lgkmcnt(1)
	v_mul_f64 v[144:145], v[242:243], v[194:195]
	v_mul_f64 v[146:147], v[240:241], v[194:195]
	v_fma_f64 v[144:145], v[240:241], v[234:235], -v[144:145]
	v_fmac_f64_e32 v[146:147], v[242:243], v[234:235]
	ds_read2_b64 v[240:243], v236 offset0:22 offset1:23
	v_add_f64 v[188:189], v[188:189], -v[144:145]
	v_add_f64 v[190:191], v[190:191], -v[146:147]
	s_waitcnt lgkmcnt(1)
	v_mul_f64 v[144:145], v[226:227], v[194:195]
	v_mul_f64 v[146:147], v[224:225], v[194:195]
	v_fma_f64 v[144:145], v[224:225], v[234:235], -v[144:145]
	v_fmac_f64_e32 v[146:147], v[226:227], v[234:235]
	ds_read2_b64 v[224:227], v236 offset0:24 offset1:25
	v_add_f64 v[184:185], v[184:185], -v[144:145]
	v_add_f64 v[186:187], v[186:187], -v[146:147]
	;; [unrolled: 8-line block ×45, first 2 shown]
	s_waitcnt lgkmcnt(1)
	v_mul_f64 v[144:145], v[226:227], v[194:195]
	v_mul_f64 v[146:147], v[224:225], v[194:195]
	v_fma_f64 v[144:145], v[224:225], v[234:235], -v[144:145]
	v_fmac_f64_e32 v[146:147], v[226:227], v[234:235]
	v_add_f64 v[0:1], v[0:1], -v[144:145]
	v_add_f64 v[2:3], v[2:3], -v[146:147]
	s_waitcnt lgkmcnt(0)
	v_mul_f64 v[144:145], v[242:243], v[194:195]
	v_mul_f64 v[146:147], v[240:241], v[194:195]
	v_fma_f64 v[144:145], v[240:241], v[234:235], -v[144:145]
	v_fmac_f64_e32 v[146:147], v[242:243], v[234:235]
	v_add_f64 v[220:221], v[220:221], -v[144:145]
	v_add_f64 v[222:223], v[222:223], -v[146:147]
	v_mov_b64_e32 v[192:193], v[234:235]
.LBB110_188:
	s_or_b64 exec, exec, s[0:1]
	v_lshl_add_u32 v144, v237, 4, v236
	s_barrier
	ds_write2_b64 v144, v[188:189], v[190:191] offset1:1
	s_waitcnt lgkmcnt(0)
	s_barrier
	ds_read2_b64 v[224:227], v236 offset0:18 offset1:19
	s_cmp_lt_i32 s20, 11
	v_mov_b32_e32 v234, 9
	s_cbranch_scc1 .LBB110_191
; %bb.189:
	v_add_u32_e32 v235, 0xa0, v236
	s_mov_b32 s16, 10
	v_mov_b32_e32 v234, 9
.LBB110_190:                            ; =>This Inner Loop Header: Depth=1
	ds_read2_b64 v[240:243], v235 offset1:1
	s_waitcnt lgkmcnt(1)
	v_xor_b32_e32 v145, 0x80000000, v225
	v_xor_b32_e32 v147, 0x80000000, v227
	v_cmp_gt_f64_e32 vcc, 0, v[226:227]
	v_cmp_gt_f64_e64 s[0:1], 0, v[224:225]
	v_mov_b32_e32 v144, v224
	v_mov_b32_e32 v146, v226
	v_cndmask_b32_e64 v145, v225, v145, s[0:1]
	v_cndmask_b32_e32 v147, v227, v147, vcc
	v_add_f64 v[144:145], v[144:145], v[146:147]
	s_waitcnt lgkmcnt(0)
	v_xor_b32_e32 v147, 0x80000000, v241
	v_xor_b32_e32 v153, 0x80000000, v243
	v_cmp_gt_f64_e32 vcc, 0, v[242:243]
	v_cmp_gt_f64_e64 s[0:1], 0, v[240:241]
	v_mov_b32_e32 v146, v240
	v_mov_b32_e32 v152, v242
	v_cndmask_b32_e64 v147, v241, v147, s[0:1]
	v_cndmask_b32_e32 v153, v243, v153, vcc
	v_add_f64 v[146:147], v[146:147], v[152:153]
	v_mov_b32_e32 v154, s16
	s_add_i32 s16, s16, 1
	v_cmp_lt_f64_e32 vcc, v[144:145], v[146:147]
	v_add_u32_e32 v235, 16, v235
	s_cmp_lg_u32 s20, s16
	v_cndmask_b32_e32 v225, v225, v241, vcc
	v_cndmask_b32_e32 v224, v224, v240, vcc
	;; [unrolled: 1-line block ×5, first 2 shown]
	s_cbranch_scc1 .LBB110_190
.LBB110_191:
	s_waitcnt lgkmcnt(0)
	v_cmp_eq_f64_e32 vcc, 0, v[224:225]
	v_cmp_eq_f64_e64 s[0:1], 0, v[226:227]
	s_and_b64 s[0:1], vcc, s[0:1]
	s_and_saveexec_b64 s[16:17], s[0:1]
	s_xor_b64 s[0:1], exec, s[16:17]
; %bb.192:
	v_cmp_ne_u32_e32 vcc, 0, v238
	s_nop 1
	v_cndmask_b32_e32 v238, 10, v238, vcc
; %bb.193:
	s_andn2_saveexec_b64 s[0:1], s[0:1]
	s_cbranch_execz .LBB110_199
; %bb.194:
	v_cmp_ngt_f64_e64 s[16:17], |v[224:225]|, |v[226:227]|
	s_and_saveexec_b64 s[18:19], s[16:17]
	s_xor_b64 s[16:17], exec, s[18:19]
	s_cbranch_execz .LBB110_196
; %bb.195:
	v_div_scale_f64 v[144:145], s[18:19], v[226:227], v[226:227], v[224:225]
	v_rcp_f64_e32 v[146:147], v[144:145]
	v_div_scale_f64 v[152:153], vcc, v[224:225], v[226:227], v[224:225]
	v_fma_f64 v[154:155], -v[144:145], v[146:147], 1.0
	v_fmac_f64_e32 v[146:147], v[146:147], v[154:155]
	v_fma_f64 v[154:155], -v[144:145], v[146:147], 1.0
	v_fmac_f64_e32 v[146:147], v[146:147], v[154:155]
	v_mul_f64 v[154:155], v[152:153], v[146:147]
	v_fma_f64 v[144:145], -v[144:145], v[154:155], v[152:153]
	v_div_fmas_f64 v[144:145], v[144:145], v[146:147], v[154:155]
	v_div_fixup_f64 v[144:145], v[144:145], v[226:227], v[224:225]
	v_fmac_f64_e32 v[226:227], v[224:225], v[144:145]
	v_div_scale_f64 v[146:147], s[18:19], v[226:227], v[226:227], 1.0
	v_rcp_f64_e32 v[152:153], v[146:147]
	s_nop 0
	v_fma_f64 v[154:155], -v[146:147], v[152:153], 1.0
	v_fmac_f64_e32 v[152:153], v[152:153], v[154:155]
	v_fma_f64 v[154:155], -v[146:147], v[152:153], 1.0
	v_fmac_f64_e32 v[152:153], v[152:153], v[154:155]
	v_div_scale_f64 v[154:155], vcc, 1.0, v[226:227], 1.0
	v_mul_f64 v[224:225], v[154:155], v[152:153]
	v_fma_f64 v[146:147], -v[146:147], v[224:225], v[154:155]
	s_nop 1
	v_div_fmas_f64 v[146:147], v[146:147], v[152:153], v[224:225]
	v_div_fixup_f64 v[226:227], v[146:147], v[226:227], 1.0
	v_mul_f64 v[224:225], v[144:145], v[226:227]
	v_xor_b32_e32 v227, 0x80000000, v227
.LBB110_196:
	s_andn2_saveexec_b64 s[16:17], s[16:17]
	s_cbranch_execz .LBB110_198
; %bb.197:
	v_div_scale_f64 v[144:145], s[18:19], v[224:225], v[224:225], v[226:227]
	v_rcp_f64_e32 v[146:147], v[144:145]
	v_div_scale_f64 v[152:153], vcc, v[226:227], v[224:225], v[226:227]
	v_fma_f64 v[154:155], -v[144:145], v[146:147], 1.0
	v_fmac_f64_e32 v[146:147], v[146:147], v[154:155]
	v_fma_f64 v[154:155], -v[144:145], v[146:147], 1.0
	v_fmac_f64_e32 v[146:147], v[146:147], v[154:155]
	v_mul_f64 v[154:155], v[152:153], v[146:147]
	v_fma_f64 v[144:145], -v[144:145], v[154:155], v[152:153]
	v_div_fmas_f64 v[144:145], v[144:145], v[146:147], v[154:155]
	v_div_fixup_f64 v[144:145], v[144:145], v[224:225], v[226:227]
	v_fmac_f64_e32 v[224:225], v[226:227], v[144:145]
	v_div_scale_f64 v[146:147], s[18:19], v[224:225], v[224:225], 1.0
	v_rcp_f64_e32 v[152:153], v[146:147]
	s_nop 0
	v_fma_f64 v[154:155], -v[146:147], v[152:153], 1.0
	v_fmac_f64_e32 v[152:153], v[152:153], v[154:155]
	v_fma_f64 v[154:155], -v[146:147], v[152:153], 1.0
	v_fmac_f64_e32 v[152:153], v[152:153], v[154:155]
	v_div_scale_f64 v[154:155], vcc, 1.0, v[224:225], 1.0
	v_mul_f64 v[226:227], v[154:155], v[152:153]
	v_fma_f64 v[146:147], -v[146:147], v[226:227], v[154:155]
	s_nop 1
	v_div_fmas_f64 v[146:147], v[146:147], v[152:153], v[226:227]
	v_div_fixup_f64 v[224:225], v[146:147], v[224:225], 1.0
	v_mul_f64 v[226:227], v[144:145], -v[224:225]
.LBB110_198:
	s_or_b64 exec, exec, s[16:17]
.LBB110_199:
	s_or_b64 exec, exec, s[0:1]
	v_cmp_ne_u32_e32 vcc, v237, v234
	s_and_saveexec_b64 s[0:1], vcc
	s_xor_b64 s[0:1], exec, s[0:1]
	s_cbranch_execz .LBB110_205
; %bb.200:
	v_cmp_eq_u32_e32 vcc, 9, v237
	s_and_saveexec_b64 s[16:17], vcc
	s_cbranch_execz .LBB110_204
; %bb.201:
	v_cmp_ne_u32_e32 vcc, 9, v234
	s_xor_b64 s[18:19], s[14:15], -1
	s_and_b64 s[22:23], s[18:19], vcc
	s_and_saveexec_b64 s[18:19], s[22:23]
	s_cbranch_execz .LBB110_203
; %bb.202:
	v_ashrrev_i32_e32 v235, 31, v234
	v_lshl_add_u64 v[144:145], v[234:235], 2, v[212:213]
	global_load_dword v146, v[144:145], off
	global_load_dword v147, v[212:213], off offset:36
	s_waitcnt vmcnt(1)
	global_store_dword v[212:213], v146, off offset:36
	s_waitcnt vmcnt(1)
	global_store_dword v[144:145], v147, off
.LBB110_203:
	s_or_b64 exec, exec, s[18:19]
	v_mov_b32_e32 v237, v234
	v_mov_b32_e32 v218, v234
.LBB110_204:
	s_or_b64 exec, exec, s[16:17]
.LBB110_205:
	s_andn2_saveexec_b64 s[0:1], s[0:1]
	s_cbranch_execz .LBB110_207
; %bb.206:
	v_mov_b32_e32 v237, 9
	ds_write2_b64 v236, v[184:185], v[186:187] offset0:20 offset1:21
	ds_write2_b64 v236, v[180:181], v[182:183] offset0:22 offset1:23
	ds_write2_b64 v236, v[176:177], v[178:179] offset0:24 offset1:25
	ds_write2_b64 v236, v[172:173], v[174:175] offset0:26 offset1:27
	ds_write2_b64 v236, v[168:169], v[170:171] offset0:28 offset1:29
	ds_write2_b64 v236, v[164:165], v[166:167] offset0:30 offset1:31
	ds_write2_b64 v236, v[160:161], v[162:163] offset0:32 offset1:33
	ds_write2_b64 v236, v[156:157], v[158:159] offset0:34 offset1:35
	ds_write2_b64 v236, v[148:149], v[150:151] offset0:36 offset1:37
	ds_write2_b64 v236, v[140:141], v[142:143] offset0:38 offset1:39
	ds_write2_b64 v236, v[136:137], v[138:139] offset0:40 offset1:41
	ds_write2_b64 v236, v[132:133], v[134:135] offset0:42 offset1:43
	ds_write2_b64 v236, v[128:129], v[130:131] offset0:44 offset1:45
	ds_write2_b64 v236, v[124:125], v[126:127] offset0:46 offset1:47
	ds_write2_b64 v236, v[120:121], v[122:123] offset0:48 offset1:49
	ds_write2_b64 v236, v[116:117], v[118:119] offset0:50 offset1:51
	ds_write2_b64 v236, v[112:113], v[114:115] offset0:52 offset1:53
	ds_write2_b64 v236, v[108:109], v[110:111] offset0:54 offset1:55
	ds_write2_b64 v236, v[104:105], v[106:107] offset0:56 offset1:57
	ds_write2_b64 v236, v[100:101], v[102:103] offset0:58 offset1:59
	ds_write2_b64 v236, v[96:97], v[98:99] offset0:60 offset1:61
	ds_write2_b64 v236, v[92:93], v[94:95] offset0:62 offset1:63
	ds_write2_b64 v236, v[88:89], v[90:91] offset0:64 offset1:65
	ds_write2_b64 v236, v[84:85], v[86:87] offset0:66 offset1:67
	ds_write2_b64 v236, v[80:81], v[82:83] offset0:68 offset1:69
	ds_write2_b64 v236, v[76:77], v[78:79] offset0:70 offset1:71
	ds_write2_b64 v236, v[72:73], v[74:75] offset0:72 offset1:73
	ds_write2_b64 v236, v[68:69], v[70:71] offset0:74 offset1:75
	ds_write2_b64 v236, v[64:65], v[66:67] offset0:76 offset1:77
	ds_write2_b64 v236, v[60:61], v[62:63] offset0:78 offset1:79
	ds_write2_b64 v236, v[56:57], v[58:59] offset0:80 offset1:81
	ds_write2_b64 v236, v[52:53], v[54:55] offset0:82 offset1:83
	ds_write2_b64 v236, v[48:49], v[50:51] offset0:84 offset1:85
	ds_write2_b64 v236, v[44:45], v[46:47] offset0:86 offset1:87
	ds_write2_b64 v236, v[40:41], v[42:43] offset0:88 offset1:89
	ds_write2_b64 v236, v[36:37], v[38:39] offset0:90 offset1:91
	ds_write2_b64 v236, v[32:33], v[34:35] offset0:92 offset1:93
	ds_write2_b64 v236, v[28:29], v[30:31] offset0:94 offset1:95
	ds_write2_b64 v236, v[24:25], v[26:27] offset0:96 offset1:97
	ds_write2_b64 v236, v[20:21], v[22:23] offset0:98 offset1:99
	ds_write2_b64 v236, v[16:17], v[18:19] offset0:100 offset1:101
	ds_write2_b64 v236, v[12:13], v[14:15] offset0:102 offset1:103
	ds_write2_b64 v236, v[8:9], v[10:11] offset0:104 offset1:105
	ds_write2_b64 v236, v[4:5], v[6:7] offset0:106 offset1:107
	ds_write2_b64 v236, v[0:1], v[2:3] offset0:108 offset1:109
	ds_write2_b64 v236, v[220:221], v[222:223] offset0:110 offset1:111
.LBB110_207:
	s_or_b64 exec, exec, s[0:1]
	v_cmp_lt_i32_e32 vcc, 9, v237
	s_waitcnt lgkmcnt(0)
	s_barrier
	s_and_saveexec_b64 s[0:1], vcc
	s_cbranch_execz .LBB110_209
; %bb.208:
	ds_read2_b64 v[240:243], v236 offset0:20 offset1:21
	v_mul_f64 v[144:145], v[226:227], v[190:191]
	v_mul_f64 v[190:191], v[224:225], v[190:191]
	v_fma_f64 v[234:235], v[224:225], v[188:189], -v[144:145]
	v_fmac_f64_e32 v[190:191], v[226:227], v[188:189]
	ds_read2_b64 v[224:227], v236 offset0:22 offset1:23
	s_waitcnt lgkmcnt(1)
	v_mul_f64 v[144:145], v[242:243], v[190:191]
	v_mul_f64 v[146:147], v[240:241], v[190:191]
	v_fma_f64 v[144:145], v[240:241], v[234:235], -v[144:145]
	v_fmac_f64_e32 v[146:147], v[242:243], v[234:235]
	ds_read2_b64 v[240:243], v236 offset0:24 offset1:25
	v_add_f64 v[184:185], v[184:185], -v[144:145]
	v_add_f64 v[186:187], v[186:187], -v[146:147]
	s_waitcnt lgkmcnt(1)
	v_mul_f64 v[144:145], v[226:227], v[190:191]
	v_mul_f64 v[146:147], v[224:225], v[190:191]
	v_fma_f64 v[144:145], v[224:225], v[234:235], -v[144:145]
	v_fmac_f64_e32 v[146:147], v[226:227], v[234:235]
	ds_read2_b64 v[224:227], v236 offset0:26 offset1:27
	v_add_f64 v[180:181], v[180:181], -v[144:145]
	v_add_f64 v[182:183], v[182:183], -v[146:147]
	;; [unrolled: 8-line block ×44, first 2 shown]
	s_waitcnt lgkmcnt(1)
	v_mul_f64 v[144:145], v[242:243], v[190:191]
	v_mul_f64 v[146:147], v[240:241], v[190:191]
	v_fma_f64 v[144:145], v[240:241], v[234:235], -v[144:145]
	v_fmac_f64_e32 v[146:147], v[242:243], v[234:235]
	v_add_f64 v[0:1], v[0:1], -v[144:145]
	v_add_f64 v[2:3], v[2:3], -v[146:147]
	s_waitcnt lgkmcnt(0)
	v_mul_f64 v[144:145], v[226:227], v[190:191]
	v_mul_f64 v[146:147], v[224:225], v[190:191]
	v_fma_f64 v[144:145], v[224:225], v[234:235], -v[144:145]
	v_fmac_f64_e32 v[146:147], v[226:227], v[234:235]
	v_add_f64 v[220:221], v[220:221], -v[144:145]
	v_add_f64 v[222:223], v[222:223], -v[146:147]
	v_mov_b64_e32 v[188:189], v[234:235]
.LBB110_209:
	s_or_b64 exec, exec, s[0:1]
	v_lshl_add_u32 v144, v237, 4, v236
	s_barrier
	ds_write2_b64 v144, v[184:185], v[186:187] offset1:1
	s_waitcnt lgkmcnt(0)
	s_barrier
	ds_read2_b64 v[224:227], v236 offset0:20 offset1:21
	s_cmp_lt_i32 s20, 12
	v_mov_b32_e32 v234, 10
	s_cbranch_scc1 .LBB110_212
; %bb.210:
	v_add_u32_e32 v235, 0xb0, v236
	s_mov_b32 s16, 11
	v_mov_b32_e32 v234, 10
.LBB110_211:                            ; =>This Inner Loop Header: Depth=1
	ds_read2_b64 v[240:243], v235 offset1:1
	s_waitcnt lgkmcnt(1)
	v_xor_b32_e32 v145, 0x80000000, v225
	v_xor_b32_e32 v147, 0x80000000, v227
	v_cmp_gt_f64_e32 vcc, 0, v[226:227]
	v_cmp_gt_f64_e64 s[0:1], 0, v[224:225]
	v_mov_b32_e32 v144, v224
	v_mov_b32_e32 v146, v226
	v_cndmask_b32_e64 v145, v225, v145, s[0:1]
	v_cndmask_b32_e32 v147, v227, v147, vcc
	v_add_f64 v[144:145], v[144:145], v[146:147]
	s_waitcnt lgkmcnt(0)
	v_xor_b32_e32 v147, 0x80000000, v241
	v_xor_b32_e32 v153, 0x80000000, v243
	v_cmp_gt_f64_e32 vcc, 0, v[242:243]
	v_cmp_gt_f64_e64 s[0:1], 0, v[240:241]
	v_mov_b32_e32 v146, v240
	v_mov_b32_e32 v152, v242
	v_cndmask_b32_e64 v147, v241, v147, s[0:1]
	v_cndmask_b32_e32 v153, v243, v153, vcc
	v_add_f64 v[146:147], v[146:147], v[152:153]
	v_mov_b32_e32 v154, s16
	s_add_i32 s16, s16, 1
	v_cmp_lt_f64_e32 vcc, v[144:145], v[146:147]
	v_add_u32_e32 v235, 16, v235
	s_cmp_lg_u32 s20, s16
	v_cndmask_b32_e32 v225, v225, v241, vcc
	v_cndmask_b32_e32 v224, v224, v240, vcc
	;; [unrolled: 1-line block ×5, first 2 shown]
	s_cbranch_scc1 .LBB110_211
.LBB110_212:
	s_waitcnt lgkmcnt(0)
	v_cmp_eq_f64_e32 vcc, 0, v[224:225]
	v_cmp_eq_f64_e64 s[0:1], 0, v[226:227]
	s_and_b64 s[0:1], vcc, s[0:1]
	s_and_saveexec_b64 s[16:17], s[0:1]
	s_xor_b64 s[0:1], exec, s[16:17]
; %bb.213:
	v_cmp_ne_u32_e32 vcc, 0, v238
	s_nop 1
	v_cndmask_b32_e32 v238, 11, v238, vcc
; %bb.214:
	s_andn2_saveexec_b64 s[0:1], s[0:1]
	s_cbranch_execz .LBB110_220
; %bb.215:
	v_cmp_ngt_f64_e64 s[16:17], |v[224:225]|, |v[226:227]|
	s_and_saveexec_b64 s[18:19], s[16:17]
	s_xor_b64 s[16:17], exec, s[18:19]
	s_cbranch_execz .LBB110_217
; %bb.216:
	v_div_scale_f64 v[144:145], s[18:19], v[226:227], v[226:227], v[224:225]
	v_rcp_f64_e32 v[146:147], v[144:145]
	v_div_scale_f64 v[152:153], vcc, v[224:225], v[226:227], v[224:225]
	v_fma_f64 v[154:155], -v[144:145], v[146:147], 1.0
	v_fmac_f64_e32 v[146:147], v[146:147], v[154:155]
	v_fma_f64 v[154:155], -v[144:145], v[146:147], 1.0
	v_fmac_f64_e32 v[146:147], v[146:147], v[154:155]
	v_mul_f64 v[154:155], v[152:153], v[146:147]
	v_fma_f64 v[144:145], -v[144:145], v[154:155], v[152:153]
	v_div_fmas_f64 v[144:145], v[144:145], v[146:147], v[154:155]
	v_div_fixup_f64 v[144:145], v[144:145], v[226:227], v[224:225]
	v_fmac_f64_e32 v[226:227], v[224:225], v[144:145]
	v_div_scale_f64 v[146:147], s[18:19], v[226:227], v[226:227], 1.0
	v_rcp_f64_e32 v[152:153], v[146:147]
	s_nop 0
	v_fma_f64 v[154:155], -v[146:147], v[152:153], 1.0
	v_fmac_f64_e32 v[152:153], v[152:153], v[154:155]
	v_fma_f64 v[154:155], -v[146:147], v[152:153], 1.0
	v_fmac_f64_e32 v[152:153], v[152:153], v[154:155]
	v_div_scale_f64 v[154:155], vcc, 1.0, v[226:227], 1.0
	v_mul_f64 v[224:225], v[154:155], v[152:153]
	v_fma_f64 v[146:147], -v[146:147], v[224:225], v[154:155]
	s_nop 1
	v_div_fmas_f64 v[146:147], v[146:147], v[152:153], v[224:225]
	v_div_fixup_f64 v[226:227], v[146:147], v[226:227], 1.0
	v_mul_f64 v[224:225], v[144:145], v[226:227]
	v_xor_b32_e32 v227, 0x80000000, v227
.LBB110_217:
	s_andn2_saveexec_b64 s[16:17], s[16:17]
	s_cbranch_execz .LBB110_219
; %bb.218:
	v_div_scale_f64 v[144:145], s[18:19], v[224:225], v[224:225], v[226:227]
	v_rcp_f64_e32 v[146:147], v[144:145]
	v_div_scale_f64 v[152:153], vcc, v[226:227], v[224:225], v[226:227]
	v_fma_f64 v[154:155], -v[144:145], v[146:147], 1.0
	v_fmac_f64_e32 v[146:147], v[146:147], v[154:155]
	v_fma_f64 v[154:155], -v[144:145], v[146:147], 1.0
	v_fmac_f64_e32 v[146:147], v[146:147], v[154:155]
	v_mul_f64 v[154:155], v[152:153], v[146:147]
	v_fma_f64 v[144:145], -v[144:145], v[154:155], v[152:153]
	v_div_fmas_f64 v[144:145], v[144:145], v[146:147], v[154:155]
	v_div_fixup_f64 v[144:145], v[144:145], v[224:225], v[226:227]
	v_fmac_f64_e32 v[224:225], v[226:227], v[144:145]
	v_div_scale_f64 v[146:147], s[18:19], v[224:225], v[224:225], 1.0
	v_rcp_f64_e32 v[152:153], v[146:147]
	s_nop 0
	v_fma_f64 v[154:155], -v[146:147], v[152:153], 1.0
	v_fmac_f64_e32 v[152:153], v[152:153], v[154:155]
	v_fma_f64 v[154:155], -v[146:147], v[152:153], 1.0
	v_fmac_f64_e32 v[152:153], v[152:153], v[154:155]
	v_div_scale_f64 v[154:155], vcc, 1.0, v[224:225], 1.0
	v_mul_f64 v[226:227], v[154:155], v[152:153]
	v_fma_f64 v[146:147], -v[146:147], v[226:227], v[154:155]
	s_nop 1
	v_div_fmas_f64 v[146:147], v[146:147], v[152:153], v[226:227]
	v_div_fixup_f64 v[224:225], v[146:147], v[224:225], 1.0
	v_mul_f64 v[226:227], v[144:145], -v[224:225]
.LBB110_219:
	s_or_b64 exec, exec, s[16:17]
.LBB110_220:
	s_or_b64 exec, exec, s[0:1]
	v_cmp_ne_u32_e32 vcc, v237, v234
	s_and_saveexec_b64 s[0:1], vcc
	s_xor_b64 s[0:1], exec, s[0:1]
	s_cbranch_execz .LBB110_226
; %bb.221:
	v_cmp_eq_u32_e32 vcc, 10, v237
	s_and_saveexec_b64 s[16:17], vcc
	s_cbranch_execz .LBB110_225
; %bb.222:
	v_cmp_ne_u32_e32 vcc, 10, v234
	s_xor_b64 s[18:19], s[14:15], -1
	s_and_b64 s[22:23], s[18:19], vcc
	s_and_saveexec_b64 s[18:19], s[22:23]
	s_cbranch_execz .LBB110_224
; %bb.223:
	v_ashrrev_i32_e32 v235, 31, v234
	v_lshl_add_u64 v[144:145], v[234:235], 2, v[212:213]
	global_load_dword v146, v[144:145], off
	global_load_dword v147, v[212:213], off offset:40
	s_waitcnt vmcnt(1)
	global_store_dword v[212:213], v146, off offset:40
	s_waitcnt vmcnt(1)
	global_store_dword v[144:145], v147, off
.LBB110_224:
	s_or_b64 exec, exec, s[18:19]
	v_mov_b32_e32 v237, v234
	v_mov_b32_e32 v218, v234
.LBB110_225:
	s_or_b64 exec, exec, s[16:17]
.LBB110_226:
	s_andn2_saveexec_b64 s[0:1], s[0:1]
	s_cbranch_execz .LBB110_228
; %bb.227:
	v_mov_b32_e32 v237, 10
	ds_write2_b64 v236, v[180:181], v[182:183] offset0:22 offset1:23
	ds_write2_b64 v236, v[176:177], v[178:179] offset0:24 offset1:25
	;; [unrolled: 1-line block ×45, first 2 shown]
.LBB110_228:
	s_or_b64 exec, exec, s[0:1]
	v_cmp_lt_i32_e32 vcc, 10, v237
	s_waitcnt lgkmcnt(0)
	s_barrier
	s_and_saveexec_b64 s[0:1], vcc
	s_cbranch_execz .LBB110_230
; %bb.229:
	ds_read2_b64 v[240:243], v236 offset0:22 offset1:23
	v_mul_f64 v[144:145], v[226:227], v[186:187]
	v_mul_f64 v[186:187], v[224:225], v[186:187]
	v_fma_f64 v[234:235], v[224:225], v[184:185], -v[144:145]
	v_fmac_f64_e32 v[186:187], v[226:227], v[184:185]
	ds_read2_b64 v[224:227], v236 offset0:24 offset1:25
	s_waitcnt lgkmcnt(1)
	v_mul_f64 v[144:145], v[242:243], v[186:187]
	v_mul_f64 v[146:147], v[240:241], v[186:187]
	v_fma_f64 v[144:145], v[240:241], v[234:235], -v[144:145]
	v_fmac_f64_e32 v[146:147], v[242:243], v[234:235]
	ds_read2_b64 v[240:243], v236 offset0:26 offset1:27
	v_add_f64 v[180:181], v[180:181], -v[144:145]
	v_add_f64 v[182:183], v[182:183], -v[146:147]
	s_waitcnt lgkmcnt(1)
	v_mul_f64 v[144:145], v[226:227], v[186:187]
	v_mul_f64 v[146:147], v[224:225], v[186:187]
	v_fma_f64 v[144:145], v[224:225], v[234:235], -v[144:145]
	v_fmac_f64_e32 v[146:147], v[226:227], v[234:235]
	ds_read2_b64 v[224:227], v236 offset0:28 offset1:29
	v_add_f64 v[176:177], v[176:177], -v[144:145]
	v_add_f64 v[178:179], v[178:179], -v[146:147]
	;; [unrolled: 8-line block ×43, first 2 shown]
	s_waitcnt lgkmcnt(1)
	v_mul_f64 v[144:145], v[226:227], v[186:187]
	v_mul_f64 v[146:147], v[224:225], v[186:187]
	v_fma_f64 v[144:145], v[224:225], v[234:235], -v[144:145]
	v_fmac_f64_e32 v[146:147], v[226:227], v[234:235]
	v_add_f64 v[0:1], v[0:1], -v[144:145]
	v_add_f64 v[2:3], v[2:3], -v[146:147]
	s_waitcnt lgkmcnt(0)
	v_mul_f64 v[144:145], v[242:243], v[186:187]
	v_mul_f64 v[146:147], v[240:241], v[186:187]
	v_fma_f64 v[144:145], v[240:241], v[234:235], -v[144:145]
	v_fmac_f64_e32 v[146:147], v[242:243], v[234:235]
	v_add_f64 v[220:221], v[220:221], -v[144:145]
	v_add_f64 v[222:223], v[222:223], -v[146:147]
	v_mov_b64_e32 v[184:185], v[234:235]
.LBB110_230:
	s_or_b64 exec, exec, s[0:1]
	v_lshl_add_u32 v144, v237, 4, v236
	s_barrier
	ds_write2_b64 v144, v[180:181], v[182:183] offset1:1
	s_waitcnt lgkmcnt(0)
	s_barrier
	ds_read2_b64 v[224:227], v236 offset0:22 offset1:23
	s_cmp_lt_i32 s20, 13
	v_mov_b32_e32 v234, 11
	s_cbranch_scc1 .LBB110_233
; %bb.231:
	v_add_u32_e32 v235, 0xc0, v236
	s_mov_b32 s16, 12
	v_mov_b32_e32 v234, 11
.LBB110_232:                            ; =>This Inner Loop Header: Depth=1
	ds_read2_b64 v[240:243], v235 offset1:1
	s_waitcnt lgkmcnt(1)
	v_xor_b32_e32 v145, 0x80000000, v225
	v_xor_b32_e32 v147, 0x80000000, v227
	v_cmp_gt_f64_e32 vcc, 0, v[226:227]
	v_cmp_gt_f64_e64 s[0:1], 0, v[224:225]
	v_mov_b32_e32 v144, v224
	v_mov_b32_e32 v146, v226
	v_cndmask_b32_e64 v145, v225, v145, s[0:1]
	v_cndmask_b32_e32 v147, v227, v147, vcc
	v_add_f64 v[144:145], v[144:145], v[146:147]
	s_waitcnt lgkmcnt(0)
	v_xor_b32_e32 v147, 0x80000000, v241
	v_xor_b32_e32 v153, 0x80000000, v243
	v_cmp_gt_f64_e32 vcc, 0, v[242:243]
	v_cmp_gt_f64_e64 s[0:1], 0, v[240:241]
	v_mov_b32_e32 v146, v240
	v_mov_b32_e32 v152, v242
	v_cndmask_b32_e64 v147, v241, v147, s[0:1]
	v_cndmask_b32_e32 v153, v243, v153, vcc
	v_add_f64 v[146:147], v[146:147], v[152:153]
	v_mov_b32_e32 v154, s16
	s_add_i32 s16, s16, 1
	v_cmp_lt_f64_e32 vcc, v[144:145], v[146:147]
	v_add_u32_e32 v235, 16, v235
	s_cmp_lg_u32 s20, s16
	v_cndmask_b32_e32 v225, v225, v241, vcc
	v_cndmask_b32_e32 v224, v224, v240, vcc
	;; [unrolled: 1-line block ×5, first 2 shown]
	s_cbranch_scc1 .LBB110_232
.LBB110_233:
	s_waitcnt lgkmcnt(0)
	v_cmp_eq_f64_e32 vcc, 0, v[224:225]
	v_cmp_eq_f64_e64 s[0:1], 0, v[226:227]
	s_and_b64 s[0:1], vcc, s[0:1]
	s_and_saveexec_b64 s[16:17], s[0:1]
	s_xor_b64 s[0:1], exec, s[16:17]
; %bb.234:
	v_cmp_ne_u32_e32 vcc, 0, v238
	s_nop 1
	v_cndmask_b32_e32 v238, 12, v238, vcc
; %bb.235:
	s_andn2_saveexec_b64 s[0:1], s[0:1]
	s_cbranch_execz .LBB110_241
; %bb.236:
	v_cmp_ngt_f64_e64 s[16:17], |v[224:225]|, |v[226:227]|
	s_and_saveexec_b64 s[18:19], s[16:17]
	s_xor_b64 s[16:17], exec, s[18:19]
	s_cbranch_execz .LBB110_238
; %bb.237:
	v_div_scale_f64 v[144:145], s[18:19], v[226:227], v[226:227], v[224:225]
	v_rcp_f64_e32 v[146:147], v[144:145]
	v_div_scale_f64 v[152:153], vcc, v[224:225], v[226:227], v[224:225]
	v_fma_f64 v[154:155], -v[144:145], v[146:147], 1.0
	v_fmac_f64_e32 v[146:147], v[146:147], v[154:155]
	v_fma_f64 v[154:155], -v[144:145], v[146:147], 1.0
	v_fmac_f64_e32 v[146:147], v[146:147], v[154:155]
	v_mul_f64 v[154:155], v[152:153], v[146:147]
	v_fma_f64 v[144:145], -v[144:145], v[154:155], v[152:153]
	v_div_fmas_f64 v[144:145], v[144:145], v[146:147], v[154:155]
	v_div_fixup_f64 v[144:145], v[144:145], v[226:227], v[224:225]
	v_fmac_f64_e32 v[226:227], v[224:225], v[144:145]
	v_div_scale_f64 v[146:147], s[18:19], v[226:227], v[226:227], 1.0
	v_rcp_f64_e32 v[152:153], v[146:147]
	s_nop 0
	v_fma_f64 v[154:155], -v[146:147], v[152:153], 1.0
	v_fmac_f64_e32 v[152:153], v[152:153], v[154:155]
	v_fma_f64 v[154:155], -v[146:147], v[152:153], 1.0
	v_fmac_f64_e32 v[152:153], v[152:153], v[154:155]
	v_div_scale_f64 v[154:155], vcc, 1.0, v[226:227], 1.0
	v_mul_f64 v[224:225], v[154:155], v[152:153]
	v_fma_f64 v[146:147], -v[146:147], v[224:225], v[154:155]
	s_nop 1
	v_div_fmas_f64 v[146:147], v[146:147], v[152:153], v[224:225]
	v_div_fixup_f64 v[226:227], v[146:147], v[226:227], 1.0
	v_mul_f64 v[224:225], v[144:145], v[226:227]
	v_xor_b32_e32 v227, 0x80000000, v227
.LBB110_238:
	s_andn2_saveexec_b64 s[16:17], s[16:17]
	s_cbranch_execz .LBB110_240
; %bb.239:
	v_div_scale_f64 v[144:145], s[18:19], v[224:225], v[224:225], v[226:227]
	v_rcp_f64_e32 v[146:147], v[144:145]
	v_div_scale_f64 v[152:153], vcc, v[226:227], v[224:225], v[226:227]
	v_fma_f64 v[154:155], -v[144:145], v[146:147], 1.0
	v_fmac_f64_e32 v[146:147], v[146:147], v[154:155]
	v_fma_f64 v[154:155], -v[144:145], v[146:147], 1.0
	v_fmac_f64_e32 v[146:147], v[146:147], v[154:155]
	v_mul_f64 v[154:155], v[152:153], v[146:147]
	v_fma_f64 v[144:145], -v[144:145], v[154:155], v[152:153]
	v_div_fmas_f64 v[144:145], v[144:145], v[146:147], v[154:155]
	v_div_fixup_f64 v[144:145], v[144:145], v[224:225], v[226:227]
	v_fmac_f64_e32 v[224:225], v[226:227], v[144:145]
	v_div_scale_f64 v[146:147], s[18:19], v[224:225], v[224:225], 1.0
	v_rcp_f64_e32 v[152:153], v[146:147]
	s_nop 0
	v_fma_f64 v[154:155], -v[146:147], v[152:153], 1.0
	v_fmac_f64_e32 v[152:153], v[152:153], v[154:155]
	v_fma_f64 v[154:155], -v[146:147], v[152:153], 1.0
	v_fmac_f64_e32 v[152:153], v[152:153], v[154:155]
	v_div_scale_f64 v[154:155], vcc, 1.0, v[224:225], 1.0
	v_mul_f64 v[226:227], v[154:155], v[152:153]
	v_fma_f64 v[146:147], -v[146:147], v[226:227], v[154:155]
	s_nop 1
	v_div_fmas_f64 v[146:147], v[146:147], v[152:153], v[226:227]
	v_div_fixup_f64 v[224:225], v[146:147], v[224:225], 1.0
	v_mul_f64 v[226:227], v[144:145], -v[224:225]
.LBB110_240:
	s_or_b64 exec, exec, s[16:17]
.LBB110_241:
	s_or_b64 exec, exec, s[0:1]
	v_cmp_ne_u32_e32 vcc, v237, v234
	s_and_saveexec_b64 s[0:1], vcc
	s_xor_b64 s[0:1], exec, s[0:1]
	s_cbranch_execz .LBB110_247
; %bb.242:
	v_cmp_eq_u32_e32 vcc, 11, v237
	s_and_saveexec_b64 s[16:17], vcc
	s_cbranch_execz .LBB110_246
; %bb.243:
	v_cmp_ne_u32_e32 vcc, 11, v234
	s_xor_b64 s[18:19], s[14:15], -1
	s_and_b64 s[22:23], s[18:19], vcc
	s_and_saveexec_b64 s[18:19], s[22:23]
	s_cbranch_execz .LBB110_245
; %bb.244:
	v_ashrrev_i32_e32 v235, 31, v234
	v_lshl_add_u64 v[144:145], v[234:235], 2, v[212:213]
	global_load_dword v146, v[144:145], off
	global_load_dword v147, v[212:213], off offset:44
	s_waitcnt vmcnt(1)
	global_store_dword v[212:213], v146, off offset:44
	s_waitcnt vmcnt(1)
	global_store_dword v[144:145], v147, off
.LBB110_245:
	s_or_b64 exec, exec, s[18:19]
	v_mov_b32_e32 v237, v234
	v_mov_b32_e32 v218, v234
.LBB110_246:
	s_or_b64 exec, exec, s[16:17]
.LBB110_247:
	s_andn2_saveexec_b64 s[0:1], s[0:1]
	s_cbranch_execz .LBB110_249
; %bb.248:
	v_mov_b32_e32 v237, 11
	ds_write2_b64 v236, v[176:177], v[178:179] offset0:24 offset1:25
	ds_write2_b64 v236, v[172:173], v[174:175] offset0:26 offset1:27
	;; [unrolled: 1-line block ×44, first 2 shown]
.LBB110_249:
	s_or_b64 exec, exec, s[0:1]
	v_cmp_lt_i32_e32 vcc, 11, v237
	s_waitcnt lgkmcnt(0)
	s_barrier
	s_and_saveexec_b64 s[0:1], vcc
	s_cbranch_execz .LBB110_251
; %bb.250:
	ds_read2_b64 v[240:243], v236 offset0:24 offset1:25
	v_mul_f64 v[144:145], v[226:227], v[182:183]
	v_mul_f64 v[182:183], v[224:225], v[182:183]
	v_fma_f64 v[234:235], v[224:225], v[180:181], -v[144:145]
	v_fmac_f64_e32 v[182:183], v[226:227], v[180:181]
	ds_read2_b64 v[224:227], v236 offset0:26 offset1:27
	s_waitcnt lgkmcnt(1)
	v_mul_f64 v[144:145], v[242:243], v[182:183]
	v_mul_f64 v[146:147], v[240:241], v[182:183]
	v_fma_f64 v[144:145], v[240:241], v[234:235], -v[144:145]
	v_fmac_f64_e32 v[146:147], v[242:243], v[234:235]
	ds_read2_b64 v[240:243], v236 offset0:28 offset1:29
	v_add_f64 v[176:177], v[176:177], -v[144:145]
	v_add_f64 v[178:179], v[178:179], -v[146:147]
	s_waitcnt lgkmcnt(1)
	v_mul_f64 v[144:145], v[226:227], v[182:183]
	v_mul_f64 v[146:147], v[224:225], v[182:183]
	v_fma_f64 v[144:145], v[224:225], v[234:235], -v[144:145]
	v_fmac_f64_e32 v[146:147], v[226:227], v[234:235]
	ds_read2_b64 v[224:227], v236 offset0:30 offset1:31
	v_add_f64 v[172:173], v[172:173], -v[144:145]
	v_add_f64 v[174:175], v[174:175], -v[146:147]
	;; [unrolled: 8-line block ×42, first 2 shown]
	s_waitcnt lgkmcnt(1)
	v_mul_f64 v[144:145], v[242:243], v[182:183]
	v_mul_f64 v[146:147], v[240:241], v[182:183]
	v_fma_f64 v[144:145], v[240:241], v[234:235], -v[144:145]
	v_fmac_f64_e32 v[146:147], v[242:243], v[234:235]
	v_add_f64 v[0:1], v[0:1], -v[144:145]
	v_add_f64 v[2:3], v[2:3], -v[146:147]
	s_waitcnt lgkmcnt(0)
	v_mul_f64 v[144:145], v[226:227], v[182:183]
	v_mul_f64 v[146:147], v[224:225], v[182:183]
	v_fma_f64 v[144:145], v[224:225], v[234:235], -v[144:145]
	v_fmac_f64_e32 v[146:147], v[226:227], v[234:235]
	v_add_f64 v[220:221], v[220:221], -v[144:145]
	v_add_f64 v[222:223], v[222:223], -v[146:147]
	v_mov_b64_e32 v[180:181], v[234:235]
.LBB110_251:
	s_or_b64 exec, exec, s[0:1]
	v_lshl_add_u32 v144, v237, 4, v236
	s_barrier
	ds_write2_b64 v144, v[176:177], v[178:179] offset1:1
	s_waitcnt lgkmcnt(0)
	s_barrier
	ds_read2_b64 v[224:227], v236 offset0:24 offset1:25
	s_cmp_lt_i32 s20, 14
	v_mov_b32_e32 v234, 12
	s_cbranch_scc1 .LBB110_254
; %bb.252:
	v_add_u32_e32 v235, 0xd0, v236
	s_mov_b32 s16, 13
	v_mov_b32_e32 v234, 12
.LBB110_253:                            ; =>This Inner Loop Header: Depth=1
	ds_read2_b64 v[240:243], v235 offset1:1
	s_waitcnt lgkmcnt(1)
	v_xor_b32_e32 v145, 0x80000000, v225
	v_xor_b32_e32 v147, 0x80000000, v227
	v_cmp_gt_f64_e32 vcc, 0, v[226:227]
	v_cmp_gt_f64_e64 s[0:1], 0, v[224:225]
	v_mov_b32_e32 v144, v224
	v_mov_b32_e32 v146, v226
	v_cndmask_b32_e64 v145, v225, v145, s[0:1]
	v_cndmask_b32_e32 v147, v227, v147, vcc
	v_add_f64 v[144:145], v[144:145], v[146:147]
	s_waitcnt lgkmcnt(0)
	v_xor_b32_e32 v147, 0x80000000, v241
	v_xor_b32_e32 v153, 0x80000000, v243
	v_cmp_gt_f64_e32 vcc, 0, v[242:243]
	v_cmp_gt_f64_e64 s[0:1], 0, v[240:241]
	v_mov_b32_e32 v146, v240
	v_mov_b32_e32 v152, v242
	v_cndmask_b32_e64 v147, v241, v147, s[0:1]
	v_cndmask_b32_e32 v153, v243, v153, vcc
	v_add_f64 v[146:147], v[146:147], v[152:153]
	v_mov_b32_e32 v154, s16
	s_add_i32 s16, s16, 1
	v_cmp_lt_f64_e32 vcc, v[144:145], v[146:147]
	v_add_u32_e32 v235, 16, v235
	s_cmp_lg_u32 s20, s16
	v_cndmask_b32_e32 v225, v225, v241, vcc
	v_cndmask_b32_e32 v224, v224, v240, vcc
	;; [unrolled: 1-line block ×5, first 2 shown]
	s_cbranch_scc1 .LBB110_253
.LBB110_254:
	s_waitcnt lgkmcnt(0)
	v_cmp_eq_f64_e32 vcc, 0, v[224:225]
	v_cmp_eq_f64_e64 s[0:1], 0, v[226:227]
	s_and_b64 s[0:1], vcc, s[0:1]
	s_and_saveexec_b64 s[16:17], s[0:1]
	s_xor_b64 s[0:1], exec, s[16:17]
; %bb.255:
	v_cmp_ne_u32_e32 vcc, 0, v238
	s_nop 1
	v_cndmask_b32_e32 v238, 13, v238, vcc
; %bb.256:
	s_andn2_saveexec_b64 s[0:1], s[0:1]
	s_cbranch_execz .LBB110_262
; %bb.257:
	v_cmp_ngt_f64_e64 s[16:17], |v[224:225]|, |v[226:227]|
	s_and_saveexec_b64 s[18:19], s[16:17]
	s_xor_b64 s[16:17], exec, s[18:19]
	s_cbranch_execz .LBB110_259
; %bb.258:
	v_div_scale_f64 v[144:145], s[18:19], v[226:227], v[226:227], v[224:225]
	v_rcp_f64_e32 v[146:147], v[144:145]
	v_div_scale_f64 v[152:153], vcc, v[224:225], v[226:227], v[224:225]
	v_fma_f64 v[154:155], -v[144:145], v[146:147], 1.0
	v_fmac_f64_e32 v[146:147], v[146:147], v[154:155]
	v_fma_f64 v[154:155], -v[144:145], v[146:147], 1.0
	v_fmac_f64_e32 v[146:147], v[146:147], v[154:155]
	v_mul_f64 v[154:155], v[152:153], v[146:147]
	v_fma_f64 v[144:145], -v[144:145], v[154:155], v[152:153]
	v_div_fmas_f64 v[144:145], v[144:145], v[146:147], v[154:155]
	v_div_fixup_f64 v[144:145], v[144:145], v[226:227], v[224:225]
	v_fmac_f64_e32 v[226:227], v[224:225], v[144:145]
	v_div_scale_f64 v[146:147], s[18:19], v[226:227], v[226:227], 1.0
	v_rcp_f64_e32 v[152:153], v[146:147]
	s_nop 0
	v_fma_f64 v[154:155], -v[146:147], v[152:153], 1.0
	v_fmac_f64_e32 v[152:153], v[152:153], v[154:155]
	v_fma_f64 v[154:155], -v[146:147], v[152:153], 1.0
	v_fmac_f64_e32 v[152:153], v[152:153], v[154:155]
	v_div_scale_f64 v[154:155], vcc, 1.0, v[226:227], 1.0
	v_mul_f64 v[224:225], v[154:155], v[152:153]
	v_fma_f64 v[146:147], -v[146:147], v[224:225], v[154:155]
	s_nop 1
	v_div_fmas_f64 v[146:147], v[146:147], v[152:153], v[224:225]
	v_div_fixup_f64 v[226:227], v[146:147], v[226:227], 1.0
	v_mul_f64 v[224:225], v[144:145], v[226:227]
	v_xor_b32_e32 v227, 0x80000000, v227
.LBB110_259:
	s_andn2_saveexec_b64 s[16:17], s[16:17]
	s_cbranch_execz .LBB110_261
; %bb.260:
	v_div_scale_f64 v[144:145], s[18:19], v[224:225], v[224:225], v[226:227]
	v_rcp_f64_e32 v[146:147], v[144:145]
	v_div_scale_f64 v[152:153], vcc, v[226:227], v[224:225], v[226:227]
	v_fma_f64 v[154:155], -v[144:145], v[146:147], 1.0
	v_fmac_f64_e32 v[146:147], v[146:147], v[154:155]
	v_fma_f64 v[154:155], -v[144:145], v[146:147], 1.0
	v_fmac_f64_e32 v[146:147], v[146:147], v[154:155]
	v_mul_f64 v[154:155], v[152:153], v[146:147]
	v_fma_f64 v[144:145], -v[144:145], v[154:155], v[152:153]
	v_div_fmas_f64 v[144:145], v[144:145], v[146:147], v[154:155]
	v_div_fixup_f64 v[144:145], v[144:145], v[224:225], v[226:227]
	v_fmac_f64_e32 v[224:225], v[226:227], v[144:145]
	v_div_scale_f64 v[146:147], s[18:19], v[224:225], v[224:225], 1.0
	v_rcp_f64_e32 v[152:153], v[146:147]
	s_nop 0
	v_fma_f64 v[154:155], -v[146:147], v[152:153], 1.0
	v_fmac_f64_e32 v[152:153], v[152:153], v[154:155]
	v_fma_f64 v[154:155], -v[146:147], v[152:153], 1.0
	v_fmac_f64_e32 v[152:153], v[152:153], v[154:155]
	v_div_scale_f64 v[154:155], vcc, 1.0, v[224:225], 1.0
	v_mul_f64 v[226:227], v[154:155], v[152:153]
	v_fma_f64 v[146:147], -v[146:147], v[226:227], v[154:155]
	s_nop 1
	v_div_fmas_f64 v[146:147], v[146:147], v[152:153], v[226:227]
	v_div_fixup_f64 v[224:225], v[146:147], v[224:225], 1.0
	v_mul_f64 v[226:227], v[144:145], -v[224:225]
.LBB110_261:
	s_or_b64 exec, exec, s[16:17]
.LBB110_262:
	s_or_b64 exec, exec, s[0:1]
	v_cmp_ne_u32_e32 vcc, v237, v234
	s_and_saveexec_b64 s[0:1], vcc
	s_xor_b64 s[0:1], exec, s[0:1]
	s_cbranch_execz .LBB110_268
; %bb.263:
	v_cmp_eq_u32_e32 vcc, 12, v237
	s_and_saveexec_b64 s[16:17], vcc
	s_cbranch_execz .LBB110_267
; %bb.264:
	v_cmp_ne_u32_e32 vcc, 12, v234
	s_xor_b64 s[18:19], s[14:15], -1
	s_and_b64 s[22:23], s[18:19], vcc
	s_and_saveexec_b64 s[18:19], s[22:23]
	s_cbranch_execz .LBB110_266
; %bb.265:
	v_ashrrev_i32_e32 v235, 31, v234
	v_lshl_add_u64 v[144:145], v[234:235], 2, v[212:213]
	global_load_dword v146, v[144:145], off
	global_load_dword v147, v[212:213], off offset:48
	s_waitcnt vmcnt(1)
	global_store_dword v[212:213], v146, off offset:48
	s_waitcnt vmcnt(1)
	global_store_dword v[144:145], v147, off
.LBB110_266:
	s_or_b64 exec, exec, s[18:19]
	v_mov_b32_e32 v237, v234
	v_mov_b32_e32 v218, v234
.LBB110_267:
	s_or_b64 exec, exec, s[16:17]
.LBB110_268:
	s_andn2_saveexec_b64 s[0:1], s[0:1]
	s_cbranch_execz .LBB110_270
; %bb.269:
	v_mov_b32_e32 v237, 12
	ds_write2_b64 v236, v[172:173], v[174:175] offset0:26 offset1:27
	ds_write2_b64 v236, v[168:169], v[170:171] offset0:28 offset1:29
	;; [unrolled: 1-line block ×43, first 2 shown]
.LBB110_270:
	s_or_b64 exec, exec, s[0:1]
	v_cmp_lt_i32_e32 vcc, 12, v237
	s_waitcnt lgkmcnt(0)
	s_barrier
	s_and_saveexec_b64 s[0:1], vcc
	s_cbranch_execz .LBB110_272
; %bb.271:
	ds_read2_b64 v[240:243], v236 offset0:26 offset1:27
	v_mul_f64 v[144:145], v[226:227], v[178:179]
	v_mul_f64 v[178:179], v[224:225], v[178:179]
	v_fma_f64 v[234:235], v[224:225], v[176:177], -v[144:145]
	v_fmac_f64_e32 v[178:179], v[226:227], v[176:177]
	ds_read2_b64 v[224:227], v236 offset0:28 offset1:29
	s_waitcnt lgkmcnt(1)
	v_mul_f64 v[144:145], v[242:243], v[178:179]
	v_mul_f64 v[146:147], v[240:241], v[178:179]
	v_fma_f64 v[144:145], v[240:241], v[234:235], -v[144:145]
	v_fmac_f64_e32 v[146:147], v[242:243], v[234:235]
	ds_read2_b64 v[240:243], v236 offset0:30 offset1:31
	v_add_f64 v[172:173], v[172:173], -v[144:145]
	v_add_f64 v[174:175], v[174:175], -v[146:147]
	s_waitcnt lgkmcnt(1)
	v_mul_f64 v[144:145], v[226:227], v[178:179]
	v_mul_f64 v[146:147], v[224:225], v[178:179]
	v_fma_f64 v[144:145], v[224:225], v[234:235], -v[144:145]
	v_fmac_f64_e32 v[146:147], v[226:227], v[234:235]
	ds_read2_b64 v[224:227], v236 offset0:32 offset1:33
	v_add_f64 v[168:169], v[168:169], -v[144:145]
	v_add_f64 v[170:171], v[170:171], -v[146:147]
	;; [unrolled: 8-line block ×41, first 2 shown]
	s_waitcnt lgkmcnt(1)
	v_mul_f64 v[144:145], v[226:227], v[178:179]
	v_mul_f64 v[146:147], v[224:225], v[178:179]
	v_fma_f64 v[144:145], v[224:225], v[234:235], -v[144:145]
	v_fmac_f64_e32 v[146:147], v[226:227], v[234:235]
	v_add_f64 v[0:1], v[0:1], -v[144:145]
	v_add_f64 v[2:3], v[2:3], -v[146:147]
	s_waitcnt lgkmcnt(0)
	v_mul_f64 v[144:145], v[242:243], v[178:179]
	v_mul_f64 v[146:147], v[240:241], v[178:179]
	v_fma_f64 v[144:145], v[240:241], v[234:235], -v[144:145]
	v_fmac_f64_e32 v[146:147], v[242:243], v[234:235]
	v_add_f64 v[220:221], v[220:221], -v[144:145]
	v_add_f64 v[222:223], v[222:223], -v[146:147]
	v_mov_b64_e32 v[176:177], v[234:235]
.LBB110_272:
	s_or_b64 exec, exec, s[0:1]
	v_lshl_add_u32 v144, v237, 4, v236
	s_barrier
	ds_write2_b64 v144, v[172:173], v[174:175] offset1:1
	s_waitcnt lgkmcnt(0)
	s_barrier
	ds_read2_b64 v[224:227], v236 offset0:26 offset1:27
	s_cmp_lt_i32 s20, 15
	v_mov_b32_e32 v234, 13
	s_cbranch_scc1 .LBB110_275
; %bb.273:
	v_add_u32_e32 v235, 0xe0, v236
	s_mov_b32 s16, 14
	v_mov_b32_e32 v234, 13
.LBB110_274:                            ; =>This Inner Loop Header: Depth=1
	ds_read2_b64 v[240:243], v235 offset1:1
	s_waitcnt lgkmcnt(1)
	v_xor_b32_e32 v145, 0x80000000, v225
	v_xor_b32_e32 v147, 0x80000000, v227
	v_cmp_gt_f64_e32 vcc, 0, v[226:227]
	v_cmp_gt_f64_e64 s[0:1], 0, v[224:225]
	v_mov_b32_e32 v144, v224
	v_mov_b32_e32 v146, v226
	v_cndmask_b32_e64 v145, v225, v145, s[0:1]
	v_cndmask_b32_e32 v147, v227, v147, vcc
	v_add_f64 v[144:145], v[144:145], v[146:147]
	s_waitcnt lgkmcnt(0)
	v_xor_b32_e32 v147, 0x80000000, v241
	v_xor_b32_e32 v153, 0x80000000, v243
	v_cmp_gt_f64_e32 vcc, 0, v[242:243]
	v_cmp_gt_f64_e64 s[0:1], 0, v[240:241]
	v_mov_b32_e32 v146, v240
	v_mov_b32_e32 v152, v242
	v_cndmask_b32_e64 v147, v241, v147, s[0:1]
	v_cndmask_b32_e32 v153, v243, v153, vcc
	v_add_f64 v[146:147], v[146:147], v[152:153]
	v_mov_b32_e32 v154, s16
	s_add_i32 s16, s16, 1
	v_cmp_lt_f64_e32 vcc, v[144:145], v[146:147]
	v_add_u32_e32 v235, 16, v235
	s_cmp_lg_u32 s20, s16
	v_cndmask_b32_e32 v225, v225, v241, vcc
	v_cndmask_b32_e32 v224, v224, v240, vcc
	v_cndmask_b32_e32 v227, v227, v243, vcc
	v_cndmask_b32_e32 v226, v226, v242, vcc
	v_cndmask_b32_e32 v234, v234, v154, vcc
	s_cbranch_scc1 .LBB110_274
.LBB110_275:
	s_waitcnt lgkmcnt(0)
	v_cmp_eq_f64_e32 vcc, 0, v[224:225]
	v_cmp_eq_f64_e64 s[0:1], 0, v[226:227]
	s_and_b64 s[0:1], vcc, s[0:1]
	s_and_saveexec_b64 s[16:17], s[0:1]
	s_xor_b64 s[0:1], exec, s[16:17]
; %bb.276:
	v_cmp_ne_u32_e32 vcc, 0, v238
	s_nop 1
	v_cndmask_b32_e32 v238, 14, v238, vcc
; %bb.277:
	s_andn2_saveexec_b64 s[0:1], s[0:1]
	s_cbranch_execz .LBB110_283
; %bb.278:
	v_cmp_ngt_f64_e64 s[16:17], |v[224:225]|, |v[226:227]|
	s_and_saveexec_b64 s[18:19], s[16:17]
	s_xor_b64 s[16:17], exec, s[18:19]
	s_cbranch_execz .LBB110_280
; %bb.279:
	v_div_scale_f64 v[144:145], s[18:19], v[226:227], v[226:227], v[224:225]
	v_rcp_f64_e32 v[146:147], v[144:145]
	v_div_scale_f64 v[152:153], vcc, v[224:225], v[226:227], v[224:225]
	v_fma_f64 v[154:155], -v[144:145], v[146:147], 1.0
	v_fmac_f64_e32 v[146:147], v[146:147], v[154:155]
	v_fma_f64 v[154:155], -v[144:145], v[146:147], 1.0
	v_fmac_f64_e32 v[146:147], v[146:147], v[154:155]
	v_mul_f64 v[154:155], v[152:153], v[146:147]
	v_fma_f64 v[144:145], -v[144:145], v[154:155], v[152:153]
	v_div_fmas_f64 v[144:145], v[144:145], v[146:147], v[154:155]
	v_div_fixup_f64 v[144:145], v[144:145], v[226:227], v[224:225]
	v_fmac_f64_e32 v[226:227], v[224:225], v[144:145]
	v_div_scale_f64 v[146:147], s[18:19], v[226:227], v[226:227], 1.0
	v_rcp_f64_e32 v[152:153], v[146:147]
	s_nop 0
	v_fma_f64 v[154:155], -v[146:147], v[152:153], 1.0
	v_fmac_f64_e32 v[152:153], v[152:153], v[154:155]
	v_fma_f64 v[154:155], -v[146:147], v[152:153], 1.0
	v_fmac_f64_e32 v[152:153], v[152:153], v[154:155]
	v_div_scale_f64 v[154:155], vcc, 1.0, v[226:227], 1.0
	v_mul_f64 v[224:225], v[154:155], v[152:153]
	v_fma_f64 v[146:147], -v[146:147], v[224:225], v[154:155]
	s_nop 1
	v_div_fmas_f64 v[146:147], v[146:147], v[152:153], v[224:225]
	v_div_fixup_f64 v[226:227], v[146:147], v[226:227], 1.0
	v_mul_f64 v[224:225], v[144:145], v[226:227]
	v_xor_b32_e32 v227, 0x80000000, v227
.LBB110_280:
	s_andn2_saveexec_b64 s[16:17], s[16:17]
	s_cbranch_execz .LBB110_282
; %bb.281:
	v_div_scale_f64 v[144:145], s[18:19], v[224:225], v[224:225], v[226:227]
	v_rcp_f64_e32 v[146:147], v[144:145]
	v_div_scale_f64 v[152:153], vcc, v[226:227], v[224:225], v[226:227]
	v_fma_f64 v[154:155], -v[144:145], v[146:147], 1.0
	v_fmac_f64_e32 v[146:147], v[146:147], v[154:155]
	v_fma_f64 v[154:155], -v[144:145], v[146:147], 1.0
	v_fmac_f64_e32 v[146:147], v[146:147], v[154:155]
	v_mul_f64 v[154:155], v[152:153], v[146:147]
	v_fma_f64 v[144:145], -v[144:145], v[154:155], v[152:153]
	v_div_fmas_f64 v[144:145], v[144:145], v[146:147], v[154:155]
	v_div_fixup_f64 v[144:145], v[144:145], v[224:225], v[226:227]
	v_fmac_f64_e32 v[224:225], v[226:227], v[144:145]
	v_div_scale_f64 v[146:147], s[18:19], v[224:225], v[224:225], 1.0
	v_rcp_f64_e32 v[152:153], v[146:147]
	s_nop 0
	v_fma_f64 v[154:155], -v[146:147], v[152:153], 1.0
	v_fmac_f64_e32 v[152:153], v[152:153], v[154:155]
	v_fma_f64 v[154:155], -v[146:147], v[152:153], 1.0
	v_fmac_f64_e32 v[152:153], v[152:153], v[154:155]
	v_div_scale_f64 v[154:155], vcc, 1.0, v[224:225], 1.0
	v_mul_f64 v[226:227], v[154:155], v[152:153]
	v_fma_f64 v[146:147], -v[146:147], v[226:227], v[154:155]
	s_nop 1
	v_div_fmas_f64 v[146:147], v[146:147], v[152:153], v[226:227]
	v_div_fixup_f64 v[224:225], v[146:147], v[224:225], 1.0
	v_mul_f64 v[226:227], v[144:145], -v[224:225]
.LBB110_282:
	s_or_b64 exec, exec, s[16:17]
.LBB110_283:
	s_or_b64 exec, exec, s[0:1]
	v_cmp_ne_u32_e32 vcc, v237, v234
	s_and_saveexec_b64 s[0:1], vcc
	s_xor_b64 s[0:1], exec, s[0:1]
	s_cbranch_execz .LBB110_289
; %bb.284:
	v_cmp_eq_u32_e32 vcc, 13, v237
	s_and_saveexec_b64 s[16:17], vcc
	s_cbranch_execz .LBB110_288
; %bb.285:
	v_cmp_ne_u32_e32 vcc, 13, v234
	s_xor_b64 s[18:19], s[14:15], -1
	s_and_b64 s[22:23], s[18:19], vcc
	s_and_saveexec_b64 s[18:19], s[22:23]
	s_cbranch_execz .LBB110_287
; %bb.286:
	v_ashrrev_i32_e32 v235, 31, v234
	v_lshl_add_u64 v[144:145], v[234:235], 2, v[212:213]
	global_load_dword v146, v[144:145], off
	global_load_dword v147, v[212:213], off offset:52
	s_waitcnt vmcnt(1)
	global_store_dword v[212:213], v146, off offset:52
	s_waitcnt vmcnt(1)
	global_store_dword v[144:145], v147, off
.LBB110_287:
	s_or_b64 exec, exec, s[18:19]
	v_mov_b32_e32 v237, v234
	v_mov_b32_e32 v218, v234
.LBB110_288:
	s_or_b64 exec, exec, s[16:17]
.LBB110_289:
	s_andn2_saveexec_b64 s[0:1], s[0:1]
	s_cbranch_execz .LBB110_291
; %bb.290:
	v_mov_b32_e32 v237, 13
	ds_write2_b64 v236, v[168:169], v[170:171] offset0:28 offset1:29
	ds_write2_b64 v236, v[164:165], v[166:167] offset0:30 offset1:31
	;; [unrolled: 1-line block ×42, first 2 shown]
.LBB110_291:
	s_or_b64 exec, exec, s[0:1]
	v_cmp_lt_i32_e32 vcc, 13, v237
	s_waitcnt lgkmcnt(0)
	s_barrier
	s_and_saveexec_b64 s[0:1], vcc
	s_cbranch_execz .LBB110_293
; %bb.292:
	ds_read2_b64 v[240:243], v236 offset0:28 offset1:29
	v_mul_f64 v[144:145], v[226:227], v[174:175]
	v_mul_f64 v[174:175], v[224:225], v[174:175]
	v_fma_f64 v[234:235], v[224:225], v[172:173], -v[144:145]
	v_fmac_f64_e32 v[174:175], v[226:227], v[172:173]
	ds_read2_b64 v[224:227], v236 offset0:30 offset1:31
	s_waitcnt lgkmcnt(1)
	v_mul_f64 v[144:145], v[242:243], v[174:175]
	v_mul_f64 v[146:147], v[240:241], v[174:175]
	v_fma_f64 v[144:145], v[240:241], v[234:235], -v[144:145]
	v_fmac_f64_e32 v[146:147], v[242:243], v[234:235]
	ds_read2_b64 v[240:243], v236 offset0:32 offset1:33
	v_add_f64 v[168:169], v[168:169], -v[144:145]
	v_add_f64 v[170:171], v[170:171], -v[146:147]
	s_waitcnt lgkmcnt(1)
	v_mul_f64 v[144:145], v[226:227], v[174:175]
	v_mul_f64 v[146:147], v[224:225], v[174:175]
	v_fma_f64 v[144:145], v[224:225], v[234:235], -v[144:145]
	v_fmac_f64_e32 v[146:147], v[226:227], v[234:235]
	ds_read2_b64 v[224:227], v236 offset0:34 offset1:35
	v_add_f64 v[164:165], v[164:165], -v[144:145]
	v_add_f64 v[166:167], v[166:167], -v[146:147]
	;; [unrolled: 8-line block ×40, first 2 shown]
	s_waitcnt lgkmcnt(1)
	v_mul_f64 v[144:145], v[242:243], v[174:175]
	v_mul_f64 v[146:147], v[240:241], v[174:175]
	v_fma_f64 v[144:145], v[240:241], v[234:235], -v[144:145]
	v_fmac_f64_e32 v[146:147], v[242:243], v[234:235]
	v_add_f64 v[0:1], v[0:1], -v[144:145]
	v_add_f64 v[2:3], v[2:3], -v[146:147]
	s_waitcnt lgkmcnt(0)
	v_mul_f64 v[144:145], v[226:227], v[174:175]
	v_mul_f64 v[146:147], v[224:225], v[174:175]
	v_fma_f64 v[144:145], v[224:225], v[234:235], -v[144:145]
	v_fmac_f64_e32 v[146:147], v[226:227], v[234:235]
	v_add_f64 v[220:221], v[220:221], -v[144:145]
	v_add_f64 v[222:223], v[222:223], -v[146:147]
	v_mov_b64_e32 v[172:173], v[234:235]
.LBB110_293:
	s_or_b64 exec, exec, s[0:1]
	v_lshl_add_u32 v144, v237, 4, v236
	s_barrier
	ds_write2_b64 v144, v[168:169], v[170:171] offset1:1
	s_waitcnt lgkmcnt(0)
	s_barrier
	ds_read2_b64 v[224:227], v236 offset0:28 offset1:29
	s_cmp_lt_i32 s20, 16
	v_mov_b32_e32 v234, 14
	s_cbranch_scc1 .LBB110_296
; %bb.294:
	v_add_u32_e32 v235, 0xf0, v236
	s_mov_b32 s16, 15
	v_mov_b32_e32 v234, 14
.LBB110_295:                            ; =>This Inner Loop Header: Depth=1
	ds_read2_b64 v[240:243], v235 offset1:1
	s_waitcnt lgkmcnt(1)
	v_xor_b32_e32 v145, 0x80000000, v225
	v_xor_b32_e32 v147, 0x80000000, v227
	v_cmp_gt_f64_e32 vcc, 0, v[226:227]
	v_cmp_gt_f64_e64 s[0:1], 0, v[224:225]
	v_mov_b32_e32 v144, v224
	v_mov_b32_e32 v146, v226
	v_cndmask_b32_e64 v145, v225, v145, s[0:1]
	v_cndmask_b32_e32 v147, v227, v147, vcc
	v_add_f64 v[144:145], v[144:145], v[146:147]
	s_waitcnt lgkmcnt(0)
	v_xor_b32_e32 v147, 0x80000000, v241
	v_xor_b32_e32 v153, 0x80000000, v243
	v_cmp_gt_f64_e32 vcc, 0, v[242:243]
	v_cmp_gt_f64_e64 s[0:1], 0, v[240:241]
	v_mov_b32_e32 v146, v240
	v_mov_b32_e32 v152, v242
	v_cndmask_b32_e64 v147, v241, v147, s[0:1]
	v_cndmask_b32_e32 v153, v243, v153, vcc
	v_add_f64 v[146:147], v[146:147], v[152:153]
	v_mov_b32_e32 v154, s16
	s_add_i32 s16, s16, 1
	v_cmp_lt_f64_e32 vcc, v[144:145], v[146:147]
	v_add_u32_e32 v235, 16, v235
	s_cmp_lg_u32 s20, s16
	v_cndmask_b32_e32 v225, v225, v241, vcc
	v_cndmask_b32_e32 v224, v224, v240, vcc
	v_cndmask_b32_e32 v227, v227, v243, vcc
	v_cndmask_b32_e32 v226, v226, v242, vcc
	v_cndmask_b32_e32 v234, v234, v154, vcc
	s_cbranch_scc1 .LBB110_295
.LBB110_296:
	s_waitcnt lgkmcnt(0)
	v_cmp_eq_f64_e32 vcc, 0, v[224:225]
	v_cmp_eq_f64_e64 s[0:1], 0, v[226:227]
	s_and_b64 s[0:1], vcc, s[0:1]
	s_and_saveexec_b64 s[16:17], s[0:1]
	s_xor_b64 s[0:1], exec, s[16:17]
; %bb.297:
	v_cmp_ne_u32_e32 vcc, 0, v238
	s_nop 1
	v_cndmask_b32_e32 v238, 15, v238, vcc
; %bb.298:
	s_andn2_saveexec_b64 s[0:1], s[0:1]
	s_cbranch_execz .LBB110_304
; %bb.299:
	v_cmp_ngt_f64_e64 s[16:17], |v[224:225]|, |v[226:227]|
	s_and_saveexec_b64 s[18:19], s[16:17]
	s_xor_b64 s[16:17], exec, s[18:19]
	s_cbranch_execz .LBB110_301
; %bb.300:
	v_div_scale_f64 v[144:145], s[18:19], v[226:227], v[226:227], v[224:225]
	v_rcp_f64_e32 v[146:147], v[144:145]
	v_div_scale_f64 v[152:153], vcc, v[224:225], v[226:227], v[224:225]
	v_fma_f64 v[154:155], -v[144:145], v[146:147], 1.0
	v_fmac_f64_e32 v[146:147], v[146:147], v[154:155]
	v_fma_f64 v[154:155], -v[144:145], v[146:147], 1.0
	v_fmac_f64_e32 v[146:147], v[146:147], v[154:155]
	v_mul_f64 v[154:155], v[152:153], v[146:147]
	v_fma_f64 v[144:145], -v[144:145], v[154:155], v[152:153]
	v_div_fmas_f64 v[144:145], v[144:145], v[146:147], v[154:155]
	v_div_fixup_f64 v[144:145], v[144:145], v[226:227], v[224:225]
	v_fmac_f64_e32 v[226:227], v[224:225], v[144:145]
	v_div_scale_f64 v[146:147], s[18:19], v[226:227], v[226:227], 1.0
	v_rcp_f64_e32 v[152:153], v[146:147]
	s_nop 0
	v_fma_f64 v[154:155], -v[146:147], v[152:153], 1.0
	v_fmac_f64_e32 v[152:153], v[152:153], v[154:155]
	v_fma_f64 v[154:155], -v[146:147], v[152:153], 1.0
	v_fmac_f64_e32 v[152:153], v[152:153], v[154:155]
	v_div_scale_f64 v[154:155], vcc, 1.0, v[226:227], 1.0
	v_mul_f64 v[224:225], v[154:155], v[152:153]
	v_fma_f64 v[146:147], -v[146:147], v[224:225], v[154:155]
	s_nop 1
	v_div_fmas_f64 v[146:147], v[146:147], v[152:153], v[224:225]
	v_div_fixup_f64 v[226:227], v[146:147], v[226:227], 1.0
	v_mul_f64 v[224:225], v[144:145], v[226:227]
	v_xor_b32_e32 v227, 0x80000000, v227
.LBB110_301:
	s_andn2_saveexec_b64 s[16:17], s[16:17]
	s_cbranch_execz .LBB110_303
; %bb.302:
	v_div_scale_f64 v[144:145], s[18:19], v[224:225], v[224:225], v[226:227]
	v_rcp_f64_e32 v[146:147], v[144:145]
	v_div_scale_f64 v[152:153], vcc, v[226:227], v[224:225], v[226:227]
	v_fma_f64 v[154:155], -v[144:145], v[146:147], 1.0
	v_fmac_f64_e32 v[146:147], v[146:147], v[154:155]
	v_fma_f64 v[154:155], -v[144:145], v[146:147], 1.0
	v_fmac_f64_e32 v[146:147], v[146:147], v[154:155]
	v_mul_f64 v[154:155], v[152:153], v[146:147]
	v_fma_f64 v[144:145], -v[144:145], v[154:155], v[152:153]
	v_div_fmas_f64 v[144:145], v[144:145], v[146:147], v[154:155]
	v_div_fixup_f64 v[144:145], v[144:145], v[224:225], v[226:227]
	v_fmac_f64_e32 v[224:225], v[226:227], v[144:145]
	v_div_scale_f64 v[146:147], s[18:19], v[224:225], v[224:225], 1.0
	v_rcp_f64_e32 v[152:153], v[146:147]
	s_nop 0
	v_fma_f64 v[154:155], -v[146:147], v[152:153], 1.0
	v_fmac_f64_e32 v[152:153], v[152:153], v[154:155]
	v_fma_f64 v[154:155], -v[146:147], v[152:153], 1.0
	v_fmac_f64_e32 v[152:153], v[152:153], v[154:155]
	v_div_scale_f64 v[154:155], vcc, 1.0, v[224:225], 1.0
	v_mul_f64 v[226:227], v[154:155], v[152:153]
	v_fma_f64 v[146:147], -v[146:147], v[226:227], v[154:155]
	s_nop 1
	v_div_fmas_f64 v[146:147], v[146:147], v[152:153], v[226:227]
	v_div_fixup_f64 v[224:225], v[146:147], v[224:225], 1.0
	v_mul_f64 v[226:227], v[144:145], -v[224:225]
.LBB110_303:
	s_or_b64 exec, exec, s[16:17]
.LBB110_304:
	s_or_b64 exec, exec, s[0:1]
	v_cmp_ne_u32_e32 vcc, v237, v234
	s_and_saveexec_b64 s[0:1], vcc
	s_xor_b64 s[0:1], exec, s[0:1]
	s_cbranch_execz .LBB110_310
; %bb.305:
	v_cmp_eq_u32_e32 vcc, 14, v237
	s_and_saveexec_b64 s[16:17], vcc
	s_cbranch_execz .LBB110_309
; %bb.306:
	v_cmp_ne_u32_e32 vcc, 14, v234
	s_xor_b64 s[18:19], s[14:15], -1
	s_and_b64 s[22:23], s[18:19], vcc
	s_and_saveexec_b64 s[18:19], s[22:23]
	s_cbranch_execz .LBB110_308
; %bb.307:
	v_ashrrev_i32_e32 v235, 31, v234
	v_lshl_add_u64 v[144:145], v[234:235], 2, v[212:213]
	global_load_dword v146, v[144:145], off
	global_load_dword v147, v[212:213], off offset:56
	s_waitcnt vmcnt(1)
	global_store_dword v[212:213], v146, off offset:56
	s_waitcnt vmcnt(1)
	global_store_dword v[144:145], v147, off
.LBB110_308:
	s_or_b64 exec, exec, s[18:19]
	v_mov_b32_e32 v237, v234
	v_mov_b32_e32 v218, v234
.LBB110_309:
	s_or_b64 exec, exec, s[16:17]
.LBB110_310:
	s_andn2_saveexec_b64 s[0:1], s[0:1]
	s_cbranch_execz .LBB110_312
; %bb.311:
	v_mov_b32_e32 v237, 14
	ds_write2_b64 v236, v[164:165], v[166:167] offset0:30 offset1:31
	ds_write2_b64 v236, v[160:161], v[162:163] offset0:32 offset1:33
	;; [unrolled: 1-line block ×41, first 2 shown]
.LBB110_312:
	s_or_b64 exec, exec, s[0:1]
	v_cmp_lt_i32_e32 vcc, 14, v237
	s_waitcnt lgkmcnt(0)
	s_barrier
	s_and_saveexec_b64 s[0:1], vcc
	s_cbranch_execz .LBB110_314
; %bb.313:
	ds_read2_b64 v[240:243], v236 offset0:30 offset1:31
	v_mul_f64 v[144:145], v[226:227], v[170:171]
	v_mul_f64 v[170:171], v[224:225], v[170:171]
	v_fma_f64 v[234:235], v[224:225], v[168:169], -v[144:145]
	v_fmac_f64_e32 v[170:171], v[226:227], v[168:169]
	ds_read2_b64 v[224:227], v236 offset0:32 offset1:33
	s_waitcnt lgkmcnt(1)
	v_mul_f64 v[144:145], v[242:243], v[170:171]
	v_mul_f64 v[146:147], v[240:241], v[170:171]
	v_fma_f64 v[144:145], v[240:241], v[234:235], -v[144:145]
	v_fmac_f64_e32 v[146:147], v[242:243], v[234:235]
	ds_read2_b64 v[240:243], v236 offset0:34 offset1:35
	v_add_f64 v[164:165], v[164:165], -v[144:145]
	v_add_f64 v[166:167], v[166:167], -v[146:147]
	s_waitcnt lgkmcnt(1)
	v_mul_f64 v[144:145], v[226:227], v[170:171]
	v_mul_f64 v[146:147], v[224:225], v[170:171]
	v_fma_f64 v[144:145], v[224:225], v[234:235], -v[144:145]
	v_fmac_f64_e32 v[146:147], v[226:227], v[234:235]
	ds_read2_b64 v[224:227], v236 offset0:36 offset1:37
	v_add_f64 v[160:161], v[160:161], -v[144:145]
	v_add_f64 v[162:163], v[162:163], -v[146:147]
	;; [unrolled: 8-line block ×39, first 2 shown]
	s_waitcnt lgkmcnt(1)
	v_mul_f64 v[144:145], v[226:227], v[170:171]
	v_mul_f64 v[146:147], v[224:225], v[170:171]
	v_fma_f64 v[144:145], v[224:225], v[234:235], -v[144:145]
	v_fmac_f64_e32 v[146:147], v[226:227], v[234:235]
	v_add_f64 v[0:1], v[0:1], -v[144:145]
	v_add_f64 v[2:3], v[2:3], -v[146:147]
	s_waitcnt lgkmcnt(0)
	v_mul_f64 v[144:145], v[242:243], v[170:171]
	v_mul_f64 v[146:147], v[240:241], v[170:171]
	v_fma_f64 v[144:145], v[240:241], v[234:235], -v[144:145]
	v_fmac_f64_e32 v[146:147], v[242:243], v[234:235]
	v_add_f64 v[220:221], v[220:221], -v[144:145]
	v_add_f64 v[222:223], v[222:223], -v[146:147]
	v_mov_b64_e32 v[168:169], v[234:235]
.LBB110_314:
	s_or_b64 exec, exec, s[0:1]
	v_lshl_add_u32 v144, v237, 4, v236
	s_barrier
	ds_write2_b64 v144, v[164:165], v[166:167] offset1:1
	s_waitcnt lgkmcnt(0)
	s_barrier
	ds_read2_b64 v[224:227], v236 offset0:30 offset1:31
	s_cmp_lt_i32 s20, 17
	v_mov_b32_e32 v234, 15
	s_cbranch_scc1 .LBB110_317
; %bb.315:
	v_add_u32_e32 v235, 0x100, v236
	s_mov_b32 s16, 16
	v_mov_b32_e32 v234, 15
.LBB110_316:                            ; =>This Inner Loop Header: Depth=1
	ds_read2_b64 v[240:243], v235 offset1:1
	s_waitcnt lgkmcnt(1)
	v_xor_b32_e32 v145, 0x80000000, v225
	v_xor_b32_e32 v147, 0x80000000, v227
	v_cmp_gt_f64_e32 vcc, 0, v[226:227]
	v_cmp_gt_f64_e64 s[0:1], 0, v[224:225]
	v_mov_b32_e32 v144, v224
	v_mov_b32_e32 v146, v226
	v_cndmask_b32_e64 v145, v225, v145, s[0:1]
	v_cndmask_b32_e32 v147, v227, v147, vcc
	v_add_f64 v[144:145], v[144:145], v[146:147]
	s_waitcnt lgkmcnt(0)
	v_xor_b32_e32 v147, 0x80000000, v241
	v_xor_b32_e32 v153, 0x80000000, v243
	v_cmp_gt_f64_e32 vcc, 0, v[242:243]
	v_cmp_gt_f64_e64 s[0:1], 0, v[240:241]
	v_mov_b32_e32 v146, v240
	v_mov_b32_e32 v152, v242
	v_cndmask_b32_e64 v147, v241, v147, s[0:1]
	v_cndmask_b32_e32 v153, v243, v153, vcc
	v_add_f64 v[146:147], v[146:147], v[152:153]
	v_mov_b32_e32 v154, s16
	s_add_i32 s16, s16, 1
	v_cmp_lt_f64_e32 vcc, v[144:145], v[146:147]
	v_add_u32_e32 v235, 16, v235
	s_cmp_lg_u32 s20, s16
	v_cndmask_b32_e32 v225, v225, v241, vcc
	v_cndmask_b32_e32 v224, v224, v240, vcc
	;; [unrolled: 1-line block ×5, first 2 shown]
	s_cbranch_scc1 .LBB110_316
.LBB110_317:
	s_waitcnt lgkmcnt(0)
	v_cmp_eq_f64_e32 vcc, 0, v[224:225]
	v_cmp_eq_f64_e64 s[0:1], 0, v[226:227]
	s_and_b64 s[0:1], vcc, s[0:1]
	s_and_saveexec_b64 s[16:17], s[0:1]
	s_xor_b64 s[0:1], exec, s[16:17]
; %bb.318:
	v_cmp_ne_u32_e32 vcc, 0, v238
	s_nop 1
	v_cndmask_b32_e32 v238, 16, v238, vcc
; %bb.319:
	s_andn2_saveexec_b64 s[0:1], s[0:1]
	s_cbranch_execz .LBB110_325
; %bb.320:
	v_cmp_ngt_f64_e64 s[16:17], |v[224:225]|, |v[226:227]|
	s_and_saveexec_b64 s[18:19], s[16:17]
	s_xor_b64 s[16:17], exec, s[18:19]
	s_cbranch_execz .LBB110_322
; %bb.321:
	v_div_scale_f64 v[144:145], s[18:19], v[226:227], v[226:227], v[224:225]
	v_rcp_f64_e32 v[146:147], v[144:145]
	v_div_scale_f64 v[152:153], vcc, v[224:225], v[226:227], v[224:225]
	v_fma_f64 v[154:155], -v[144:145], v[146:147], 1.0
	v_fmac_f64_e32 v[146:147], v[146:147], v[154:155]
	v_fma_f64 v[154:155], -v[144:145], v[146:147], 1.0
	v_fmac_f64_e32 v[146:147], v[146:147], v[154:155]
	v_mul_f64 v[154:155], v[152:153], v[146:147]
	v_fma_f64 v[144:145], -v[144:145], v[154:155], v[152:153]
	v_div_fmas_f64 v[144:145], v[144:145], v[146:147], v[154:155]
	v_div_fixup_f64 v[144:145], v[144:145], v[226:227], v[224:225]
	v_fmac_f64_e32 v[226:227], v[224:225], v[144:145]
	v_div_scale_f64 v[146:147], s[18:19], v[226:227], v[226:227], 1.0
	v_rcp_f64_e32 v[152:153], v[146:147]
	s_nop 0
	v_fma_f64 v[154:155], -v[146:147], v[152:153], 1.0
	v_fmac_f64_e32 v[152:153], v[152:153], v[154:155]
	v_fma_f64 v[154:155], -v[146:147], v[152:153], 1.0
	v_fmac_f64_e32 v[152:153], v[152:153], v[154:155]
	v_div_scale_f64 v[154:155], vcc, 1.0, v[226:227], 1.0
	v_mul_f64 v[224:225], v[154:155], v[152:153]
	v_fma_f64 v[146:147], -v[146:147], v[224:225], v[154:155]
	s_nop 1
	v_div_fmas_f64 v[146:147], v[146:147], v[152:153], v[224:225]
	v_div_fixup_f64 v[226:227], v[146:147], v[226:227], 1.0
	v_mul_f64 v[224:225], v[144:145], v[226:227]
	v_xor_b32_e32 v227, 0x80000000, v227
.LBB110_322:
	s_andn2_saveexec_b64 s[16:17], s[16:17]
	s_cbranch_execz .LBB110_324
; %bb.323:
	v_div_scale_f64 v[144:145], s[18:19], v[224:225], v[224:225], v[226:227]
	v_rcp_f64_e32 v[146:147], v[144:145]
	v_div_scale_f64 v[152:153], vcc, v[226:227], v[224:225], v[226:227]
	v_fma_f64 v[154:155], -v[144:145], v[146:147], 1.0
	v_fmac_f64_e32 v[146:147], v[146:147], v[154:155]
	v_fma_f64 v[154:155], -v[144:145], v[146:147], 1.0
	v_fmac_f64_e32 v[146:147], v[146:147], v[154:155]
	v_mul_f64 v[154:155], v[152:153], v[146:147]
	v_fma_f64 v[144:145], -v[144:145], v[154:155], v[152:153]
	v_div_fmas_f64 v[144:145], v[144:145], v[146:147], v[154:155]
	v_div_fixup_f64 v[144:145], v[144:145], v[224:225], v[226:227]
	v_fmac_f64_e32 v[224:225], v[226:227], v[144:145]
	v_div_scale_f64 v[146:147], s[18:19], v[224:225], v[224:225], 1.0
	v_rcp_f64_e32 v[152:153], v[146:147]
	s_nop 0
	v_fma_f64 v[154:155], -v[146:147], v[152:153], 1.0
	v_fmac_f64_e32 v[152:153], v[152:153], v[154:155]
	v_fma_f64 v[154:155], -v[146:147], v[152:153], 1.0
	v_fmac_f64_e32 v[152:153], v[152:153], v[154:155]
	v_div_scale_f64 v[154:155], vcc, 1.0, v[224:225], 1.0
	v_mul_f64 v[226:227], v[154:155], v[152:153]
	v_fma_f64 v[146:147], -v[146:147], v[226:227], v[154:155]
	s_nop 1
	v_div_fmas_f64 v[146:147], v[146:147], v[152:153], v[226:227]
	v_div_fixup_f64 v[224:225], v[146:147], v[224:225], 1.0
	v_mul_f64 v[226:227], v[144:145], -v[224:225]
.LBB110_324:
	s_or_b64 exec, exec, s[16:17]
.LBB110_325:
	s_or_b64 exec, exec, s[0:1]
	v_cmp_ne_u32_e32 vcc, v237, v234
	s_and_saveexec_b64 s[0:1], vcc
	s_xor_b64 s[0:1], exec, s[0:1]
	s_cbranch_execz .LBB110_331
; %bb.326:
	v_cmp_eq_u32_e32 vcc, 15, v237
	s_and_saveexec_b64 s[16:17], vcc
	s_cbranch_execz .LBB110_330
; %bb.327:
	v_cmp_ne_u32_e32 vcc, 15, v234
	s_xor_b64 s[18:19], s[14:15], -1
	s_and_b64 s[22:23], s[18:19], vcc
	s_and_saveexec_b64 s[18:19], s[22:23]
	s_cbranch_execz .LBB110_329
; %bb.328:
	v_ashrrev_i32_e32 v235, 31, v234
	v_lshl_add_u64 v[144:145], v[234:235], 2, v[212:213]
	global_load_dword v146, v[144:145], off
	global_load_dword v147, v[212:213], off offset:60
	s_waitcnt vmcnt(1)
	global_store_dword v[212:213], v146, off offset:60
	s_waitcnt vmcnt(1)
	global_store_dword v[144:145], v147, off
.LBB110_329:
	s_or_b64 exec, exec, s[18:19]
	v_mov_b32_e32 v237, v234
	v_mov_b32_e32 v218, v234
.LBB110_330:
	s_or_b64 exec, exec, s[16:17]
.LBB110_331:
	s_andn2_saveexec_b64 s[0:1], s[0:1]
	s_cbranch_execz .LBB110_333
; %bb.332:
	v_mov_b32_e32 v237, 15
	ds_write2_b64 v236, v[160:161], v[162:163] offset0:32 offset1:33
	ds_write2_b64 v236, v[156:157], v[158:159] offset0:34 offset1:35
	;; [unrolled: 1-line block ×40, first 2 shown]
.LBB110_333:
	s_or_b64 exec, exec, s[0:1]
	v_cmp_lt_i32_e32 vcc, 15, v237
	s_waitcnt lgkmcnt(0)
	s_barrier
	s_and_saveexec_b64 s[0:1], vcc
	s_cbranch_execz .LBB110_335
; %bb.334:
	ds_read2_b64 v[240:243], v236 offset0:32 offset1:33
	v_mul_f64 v[144:145], v[226:227], v[166:167]
	v_mul_f64 v[166:167], v[224:225], v[166:167]
	v_fma_f64 v[234:235], v[224:225], v[164:165], -v[144:145]
	v_fmac_f64_e32 v[166:167], v[226:227], v[164:165]
	ds_read2_b64 v[224:227], v236 offset0:34 offset1:35
	s_waitcnt lgkmcnt(1)
	v_mul_f64 v[144:145], v[242:243], v[166:167]
	v_mul_f64 v[146:147], v[240:241], v[166:167]
	v_fma_f64 v[144:145], v[240:241], v[234:235], -v[144:145]
	v_fmac_f64_e32 v[146:147], v[242:243], v[234:235]
	ds_read2_b64 v[240:243], v236 offset0:36 offset1:37
	v_add_f64 v[160:161], v[160:161], -v[144:145]
	v_add_f64 v[162:163], v[162:163], -v[146:147]
	s_waitcnt lgkmcnt(1)
	v_mul_f64 v[144:145], v[226:227], v[166:167]
	v_mul_f64 v[146:147], v[224:225], v[166:167]
	v_fma_f64 v[144:145], v[224:225], v[234:235], -v[144:145]
	v_fmac_f64_e32 v[146:147], v[226:227], v[234:235]
	ds_read2_b64 v[224:227], v236 offset0:38 offset1:39
	v_add_f64 v[156:157], v[156:157], -v[144:145]
	v_add_f64 v[158:159], v[158:159], -v[146:147]
	;; [unrolled: 8-line block ×38, first 2 shown]
	s_waitcnt lgkmcnt(1)
	v_mul_f64 v[144:145], v[242:243], v[166:167]
	v_mul_f64 v[146:147], v[240:241], v[166:167]
	v_fma_f64 v[144:145], v[240:241], v[234:235], -v[144:145]
	v_fmac_f64_e32 v[146:147], v[242:243], v[234:235]
	v_add_f64 v[0:1], v[0:1], -v[144:145]
	v_add_f64 v[2:3], v[2:3], -v[146:147]
	s_waitcnt lgkmcnt(0)
	v_mul_f64 v[144:145], v[226:227], v[166:167]
	v_mul_f64 v[146:147], v[224:225], v[166:167]
	v_fma_f64 v[144:145], v[224:225], v[234:235], -v[144:145]
	v_fmac_f64_e32 v[146:147], v[226:227], v[234:235]
	v_add_f64 v[220:221], v[220:221], -v[144:145]
	v_add_f64 v[222:223], v[222:223], -v[146:147]
	v_mov_b64_e32 v[164:165], v[234:235]
.LBB110_335:
	s_or_b64 exec, exec, s[0:1]
	v_lshl_add_u32 v144, v237, 4, v236
	s_barrier
	ds_write2_b64 v144, v[160:161], v[162:163] offset1:1
	s_waitcnt lgkmcnt(0)
	s_barrier
	ds_read2_b64 v[224:227], v236 offset0:32 offset1:33
	s_cmp_lt_i32 s20, 18
	v_mov_b32_e32 v234, 16
	s_cbranch_scc1 .LBB110_338
; %bb.336:
	v_add_u32_e32 v235, 0x110, v236
	s_mov_b32 s16, 17
	v_mov_b32_e32 v234, 16
.LBB110_337:                            ; =>This Inner Loop Header: Depth=1
	ds_read2_b64 v[240:243], v235 offset1:1
	s_waitcnt lgkmcnt(1)
	v_xor_b32_e32 v145, 0x80000000, v225
	v_xor_b32_e32 v147, 0x80000000, v227
	v_cmp_gt_f64_e32 vcc, 0, v[226:227]
	v_cmp_gt_f64_e64 s[0:1], 0, v[224:225]
	v_mov_b32_e32 v144, v224
	v_mov_b32_e32 v146, v226
	v_cndmask_b32_e64 v145, v225, v145, s[0:1]
	v_cndmask_b32_e32 v147, v227, v147, vcc
	v_add_f64 v[144:145], v[144:145], v[146:147]
	s_waitcnt lgkmcnt(0)
	v_xor_b32_e32 v147, 0x80000000, v241
	v_xor_b32_e32 v153, 0x80000000, v243
	v_cmp_gt_f64_e32 vcc, 0, v[242:243]
	v_cmp_gt_f64_e64 s[0:1], 0, v[240:241]
	v_mov_b32_e32 v146, v240
	v_mov_b32_e32 v152, v242
	v_cndmask_b32_e64 v147, v241, v147, s[0:1]
	v_cndmask_b32_e32 v153, v243, v153, vcc
	v_add_f64 v[146:147], v[146:147], v[152:153]
	v_mov_b32_e32 v154, s16
	s_add_i32 s16, s16, 1
	v_cmp_lt_f64_e32 vcc, v[144:145], v[146:147]
	v_add_u32_e32 v235, 16, v235
	s_cmp_lg_u32 s20, s16
	v_cndmask_b32_e32 v225, v225, v241, vcc
	v_cndmask_b32_e32 v224, v224, v240, vcc
	;; [unrolled: 1-line block ×5, first 2 shown]
	s_cbranch_scc1 .LBB110_337
.LBB110_338:
	s_waitcnt lgkmcnt(0)
	v_cmp_eq_f64_e32 vcc, 0, v[224:225]
	v_cmp_eq_f64_e64 s[0:1], 0, v[226:227]
	s_and_b64 s[0:1], vcc, s[0:1]
	s_and_saveexec_b64 s[16:17], s[0:1]
	s_xor_b64 s[0:1], exec, s[16:17]
; %bb.339:
	v_cmp_ne_u32_e32 vcc, 0, v238
	s_nop 1
	v_cndmask_b32_e32 v238, 17, v238, vcc
; %bb.340:
	s_andn2_saveexec_b64 s[0:1], s[0:1]
	s_cbranch_execz .LBB110_346
; %bb.341:
	v_cmp_ngt_f64_e64 s[16:17], |v[224:225]|, |v[226:227]|
	s_and_saveexec_b64 s[18:19], s[16:17]
	s_xor_b64 s[16:17], exec, s[18:19]
	s_cbranch_execz .LBB110_343
; %bb.342:
	v_div_scale_f64 v[144:145], s[18:19], v[226:227], v[226:227], v[224:225]
	v_rcp_f64_e32 v[146:147], v[144:145]
	v_div_scale_f64 v[152:153], vcc, v[224:225], v[226:227], v[224:225]
	v_fma_f64 v[154:155], -v[144:145], v[146:147], 1.0
	v_fmac_f64_e32 v[146:147], v[146:147], v[154:155]
	v_fma_f64 v[154:155], -v[144:145], v[146:147], 1.0
	v_fmac_f64_e32 v[146:147], v[146:147], v[154:155]
	v_mul_f64 v[154:155], v[152:153], v[146:147]
	v_fma_f64 v[144:145], -v[144:145], v[154:155], v[152:153]
	v_div_fmas_f64 v[144:145], v[144:145], v[146:147], v[154:155]
	v_div_fixup_f64 v[144:145], v[144:145], v[226:227], v[224:225]
	v_fmac_f64_e32 v[226:227], v[224:225], v[144:145]
	v_div_scale_f64 v[146:147], s[18:19], v[226:227], v[226:227], 1.0
	v_rcp_f64_e32 v[152:153], v[146:147]
	s_nop 0
	v_fma_f64 v[154:155], -v[146:147], v[152:153], 1.0
	v_fmac_f64_e32 v[152:153], v[152:153], v[154:155]
	v_fma_f64 v[154:155], -v[146:147], v[152:153], 1.0
	v_fmac_f64_e32 v[152:153], v[152:153], v[154:155]
	v_div_scale_f64 v[154:155], vcc, 1.0, v[226:227], 1.0
	v_mul_f64 v[224:225], v[154:155], v[152:153]
	v_fma_f64 v[146:147], -v[146:147], v[224:225], v[154:155]
	s_nop 1
	v_div_fmas_f64 v[146:147], v[146:147], v[152:153], v[224:225]
	v_div_fixup_f64 v[226:227], v[146:147], v[226:227], 1.0
	v_mul_f64 v[224:225], v[144:145], v[226:227]
	v_xor_b32_e32 v227, 0x80000000, v227
.LBB110_343:
	s_andn2_saveexec_b64 s[16:17], s[16:17]
	s_cbranch_execz .LBB110_345
; %bb.344:
	v_div_scale_f64 v[144:145], s[18:19], v[224:225], v[224:225], v[226:227]
	v_rcp_f64_e32 v[146:147], v[144:145]
	v_div_scale_f64 v[152:153], vcc, v[226:227], v[224:225], v[226:227]
	v_fma_f64 v[154:155], -v[144:145], v[146:147], 1.0
	v_fmac_f64_e32 v[146:147], v[146:147], v[154:155]
	v_fma_f64 v[154:155], -v[144:145], v[146:147], 1.0
	v_fmac_f64_e32 v[146:147], v[146:147], v[154:155]
	v_mul_f64 v[154:155], v[152:153], v[146:147]
	v_fma_f64 v[144:145], -v[144:145], v[154:155], v[152:153]
	v_div_fmas_f64 v[144:145], v[144:145], v[146:147], v[154:155]
	v_div_fixup_f64 v[144:145], v[144:145], v[224:225], v[226:227]
	v_fmac_f64_e32 v[224:225], v[226:227], v[144:145]
	v_div_scale_f64 v[146:147], s[18:19], v[224:225], v[224:225], 1.0
	v_rcp_f64_e32 v[152:153], v[146:147]
	s_nop 0
	v_fma_f64 v[154:155], -v[146:147], v[152:153], 1.0
	v_fmac_f64_e32 v[152:153], v[152:153], v[154:155]
	v_fma_f64 v[154:155], -v[146:147], v[152:153], 1.0
	v_fmac_f64_e32 v[152:153], v[152:153], v[154:155]
	v_div_scale_f64 v[154:155], vcc, 1.0, v[224:225], 1.0
	v_mul_f64 v[226:227], v[154:155], v[152:153]
	v_fma_f64 v[146:147], -v[146:147], v[226:227], v[154:155]
	s_nop 1
	v_div_fmas_f64 v[146:147], v[146:147], v[152:153], v[226:227]
	v_div_fixup_f64 v[224:225], v[146:147], v[224:225], 1.0
	v_mul_f64 v[226:227], v[144:145], -v[224:225]
.LBB110_345:
	s_or_b64 exec, exec, s[16:17]
.LBB110_346:
	s_or_b64 exec, exec, s[0:1]
	v_cmp_ne_u32_e32 vcc, v237, v234
	s_and_saveexec_b64 s[0:1], vcc
	s_xor_b64 s[0:1], exec, s[0:1]
	s_cbranch_execz .LBB110_352
; %bb.347:
	v_cmp_eq_u32_e32 vcc, 16, v237
	s_and_saveexec_b64 s[16:17], vcc
	s_cbranch_execz .LBB110_351
; %bb.348:
	v_cmp_ne_u32_e32 vcc, 16, v234
	s_xor_b64 s[18:19], s[14:15], -1
	s_and_b64 s[22:23], s[18:19], vcc
	s_and_saveexec_b64 s[18:19], s[22:23]
	s_cbranch_execz .LBB110_350
; %bb.349:
	v_ashrrev_i32_e32 v235, 31, v234
	v_lshl_add_u64 v[144:145], v[234:235], 2, v[212:213]
	global_load_dword v146, v[144:145], off
	global_load_dword v147, v[212:213], off offset:64
	s_waitcnt vmcnt(1)
	global_store_dword v[212:213], v146, off offset:64
	s_waitcnt vmcnt(1)
	global_store_dword v[144:145], v147, off
.LBB110_350:
	s_or_b64 exec, exec, s[18:19]
	v_mov_b32_e32 v237, v234
	v_mov_b32_e32 v218, v234
.LBB110_351:
	s_or_b64 exec, exec, s[16:17]
.LBB110_352:
	s_andn2_saveexec_b64 s[0:1], s[0:1]
	s_cbranch_execz .LBB110_354
; %bb.353:
	v_mov_b32_e32 v237, 16
	ds_write2_b64 v236, v[156:157], v[158:159] offset0:34 offset1:35
	ds_write2_b64 v236, v[148:149], v[150:151] offset0:36 offset1:37
	;; [unrolled: 1-line block ×39, first 2 shown]
.LBB110_354:
	s_or_b64 exec, exec, s[0:1]
	v_cmp_lt_i32_e32 vcc, 16, v237
	s_waitcnt lgkmcnt(0)
	s_barrier
	s_and_saveexec_b64 s[0:1], vcc
	s_cbranch_execz .LBB110_356
; %bb.355:
	ds_read2_b64 v[240:243], v236 offset0:34 offset1:35
	v_mul_f64 v[144:145], v[226:227], v[162:163]
	v_mul_f64 v[162:163], v[224:225], v[162:163]
	v_fma_f64 v[234:235], v[224:225], v[160:161], -v[144:145]
	v_fmac_f64_e32 v[162:163], v[226:227], v[160:161]
	ds_read2_b64 v[224:227], v236 offset0:36 offset1:37
	s_waitcnt lgkmcnt(1)
	v_mul_f64 v[144:145], v[242:243], v[162:163]
	v_mul_f64 v[146:147], v[240:241], v[162:163]
	v_fma_f64 v[144:145], v[240:241], v[234:235], -v[144:145]
	v_fmac_f64_e32 v[146:147], v[242:243], v[234:235]
	ds_read2_b64 v[240:243], v236 offset0:38 offset1:39
	v_add_f64 v[156:157], v[156:157], -v[144:145]
	v_add_f64 v[158:159], v[158:159], -v[146:147]
	s_waitcnt lgkmcnt(1)
	v_mul_f64 v[144:145], v[226:227], v[162:163]
	v_mul_f64 v[146:147], v[224:225], v[162:163]
	v_fma_f64 v[144:145], v[224:225], v[234:235], -v[144:145]
	v_fmac_f64_e32 v[146:147], v[226:227], v[234:235]
	ds_read2_b64 v[224:227], v236 offset0:40 offset1:41
	v_add_f64 v[148:149], v[148:149], -v[144:145]
	v_add_f64 v[150:151], v[150:151], -v[146:147]
	;; [unrolled: 8-line block ×37, first 2 shown]
	s_waitcnt lgkmcnt(1)
	v_mul_f64 v[144:145], v[226:227], v[162:163]
	v_mul_f64 v[146:147], v[224:225], v[162:163]
	v_fma_f64 v[144:145], v[224:225], v[234:235], -v[144:145]
	v_fmac_f64_e32 v[146:147], v[226:227], v[234:235]
	v_add_f64 v[0:1], v[0:1], -v[144:145]
	v_add_f64 v[2:3], v[2:3], -v[146:147]
	s_waitcnt lgkmcnt(0)
	v_mul_f64 v[144:145], v[242:243], v[162:163]
	v_mul_f64 v[146:147], v[240:241], v[162:163]
	v_fma_f64 v[144:145], v[240:241], v[234:235], -v[144:145]
	v_fmac_f64_e32 v[146:147], v[242:243], v[234:235]
	v_add_f64 v[220:221], v[220:221], -v[144:145]
	v_add_f64 v[222:223], v[222:223], -v[146:147]
	v_mov_b64_e32 v[160:161], v[234:235]
.LBB110_356:
	s_or_b64 exec, exec, s[0:1]
	v_lshl_add_u32 v144, v237, 4, v236
	s_barrier
	ds_write2_b64 v144, v[156:157], v[158:159] offset1:1
	s_waitcnt lgkmcnt(0)
	s_barrier
	ds_read2_b64 v[224:227], v236 offset0:34 offset1:35
	s_cmp_lt_i32 s20, 19
	v_mov_b32_e32 v234, 17
	s_cbranch_scc1 .LBB110_359
; %bb.357:
	v_add_u32_e32 v235, 0x120, v236
	s_mov_b32 s16, 18
	v_mov_b32_e32 v234, 17
.LBB110_358:                            ; =>This Inner Loop Header: Depth=1
	ds_read2_b64 v[240:243], v235 offset1:1
	s_waitcnt lgkmcnt(1)
	v_xor_b32_e32 v145, 0x80000000, v225
	v_xor_b32_e32 v147, 0x80000000, v227
	v_cmp_gt_f64_e32 vcc, 0, v[226:227]
	v_cmp_gt_f64_e64 s[0:1], 0, v[224:225]
	v_mov_b32_e32 v144, v224
	v_mov_b32_e32 v146, v226
	v_cndmask_b32_e64 v145, v225, v145, s[0:1]
	v_cndmask_b32_e32 v147, v227, v147, vcc
	v_add_f64 v[144:145], v[144:145], v[146:147]
	s_waitcnt lgkmcnt(0)
	v_xor_b32_e32 v147, 0x80000000, v241
	v_xor_b32_e32 v153, 0x80000000, v243
	v_cmp_gt_f64_e32 vcc, 0, v[242:243]
	v_cmp_gt_f64_e64 s[0:1], 0, v[240:241]
	v_mov_b32_e32 v146, v240
	v_mov_b32_e32 v152, v242
	v_cndmask_b32_e64 v147, v241, v147, s[0:1]
	v_cndmask_b32_e32 v153, v243, v153, vcc
	v_add_f64 v[146:147], v[146:147], v[152:153]
	v_mov_b32_e32 v154, s16
	s_add_i32 s16, s16, 1
	v_cmp_lt_f64_e32 vcc, v[144:145], v[146:147]
	v_add_u32_e32 v235, 16, v235
	s_cmp_lg_u32 s20, s16
	v_cndmask_b32_e32 v225, v225, v241, vcc
	v_cndmask_b32_e32 v224, v224, v240, vcc
	;; [unrolled: 1-line block ×5, first 2 shown]
	s_cbranch_scc1 .LBB110_358
.LBB110_359:
	s_waitcnt lgkmcnt(0)
	v_cmp_eq_f64_e32 vcc, 0, v[224:225]
	v_cmp_eq_f64_e64 s[0:1], 0, v[226:227]
	s_and_b64 s[0:1], vcc, s[0:1]
	s_and_saveexec_b64 s[16:17], s[0:1]
	s_xor_b64 s[0:1], exec, s[16:17]
; %bb.360:
	v_cmp_ne_u32_e32 vcc, 0, v238
	s_nop 1
	v_cndmask_b32_e32 v238, 18, v238, vcc
; %bb.361:
	s_andn2_saveexec_b64 s[0:1], s[0:1]
	s_cbranch_execz .LBB110_367
; %bb.362:
	v_cmp_ngt_f64_e64 s[16:17], |v[224:225]|, |v[226:227]|
	s_and_saveexec_b64 s[18:19], s[16:17]
	s_xor_b64 s[16:17], exec, s[18:19]
	s_cbranch_execz .LBB110_364
; %bb.363:
	v_div_scale_f64 v[144:145], s[18:19], v[226:227], v[226:227], v[224:225]
	v_rcp_f64_e32 v[146:147], v[144:145]
	v_div_scale_f64 v[152:153], vcc, v[224:225], v[226:227], v[224:225]
	v_fma_f64 v[154:155], -v[144:145], v[146:147], 1.0
	v_fmac_f64_e32 v[146:147], v[146:147], v[154:155]
	v_fma_f64 v[154:155], -v[144:145], v[146:147], 1.0
	v_fmac_f64_e32 v[146:147], v[146:147], v[154:155]
	v_mul_f64 v[154:155], v[152:153], v[146:147]
	v_fma_f64 v[144:145], -v[144:145], v[154:155], v[152:153]
	v_div_fmas_f64 v[144:145], v[144:145], v[146:147], v[154:155]
	v_div_fixup_f64 v[144:145], v[144:145], v[226:227], v[224:225]
	v_fmac_f64_e32 v[226:227], v[224:225], v[144:145]
	v_div_scale_f64 v[146:147], s[18:19], v[226:227], v[226:227], 1.0
	v_rcp_f64_e32 v[152:153], v[146:147]
	s_nop 0
	v_fma_f64 v[154:155], -v[146:147], v[152:153], 1.0
	v_fmac_f64_e32 v[152:153], v[152:153], v[154:155]
	v_fma_f64 v[154:155], -v[146:147], v[152:153], 1.0
	v_fmac_f64_e32 v[152:153], v[152:153], v[154:155]
	v_div_scale_f64 v[154:155], vcc, 1.0, v[226:227], 1.0
	v_mul_f64 v[224:225], v[154:155], v[152:153]
	v_fma_f64 v[146:147], -v[146:147], v[224:225], v[154:155]
	s_nop 1
	v_div_fmas_f64 v[146:147], v[146:147], v[152:153], v[224:225]
	v_div_fixup_f64 v[226:227], v[146:147], v[226:227], 1.0
	v_mul_f64 v[224:225], v[144:145], v[226:227]
	v_xor_b32_e32 v227, 0x80000000, v227
.LBB110_364:
	s_andn2_saveexec_b64 s[16:17], s[16:17]
	s_cbranch_execz .LBB110_366
; %bb.365:
	v_div_scale_f64 v[144:145], s[18:19], v[224:225], v[224:225], v[226:227]
	v_rcp_f64_e32 v[146:147], v[144:145]
	v_div_scale_f64 v[152:153], vcc, v[226:227], v[224:225], v[226:227]
	v_fma_f64 v[154:155], -v[144:145], v[146:147], 1.0
	v_fmac_f64_e32 v[146:147], v[146:147], v[154:155]
	v_fma_f64 v[154:155], -v[144:145], v[146:147], 1.0
	v_fmac_f64_e32 v[146:147], v[146:147], v[154:155]
	v_mul_f64 v[154:155], v[152:153], v[146:147]
	v_fma_f64 v[144:145], -v[144:145], v[154:155], v[152:153]
	v_div_fmas_f64 v[144:145], v[144:145], v[146:147], v[154:155]
	v_div_fixup_f64 v[144:145], v[144:145], v[224:225], v[226:227]
	v_fmac_f64_e32 v[224:225], v[226:227], v[144:145]
	v_div_scale_f64 v[146:147], s[18:19], v[224:225], v[224:225], 1.0
	v_rcp_f64_e32 v[152:153], v[146:147]
	s_nop 0
	v_fma_f64 v[154:155], -v[146:147], v[152:153], 1.0
	v_fmac_f64_e32 v[152:153], v[152:153], v[154:155]
	v_fma_f64 v[154:155], -v[146:147], v[152:153], 1.0
	v_fmac_f64_e32 v[152:153], v[152:153], v[154:155]
	v_div_scale_f64 v[154:155], vcc, 1.0, v[224:225], 1.0
	v_mul_f64 v[226:227], v[154:155], v[152:153]
	v_fma_f64 v[146:147], -v[146:147], v[226:227], v[154:155]
	s_nop 1
	v_div_fmas_f64 v[146:147], v[146:147], v[152:153], v[226:227]
	v_div_fixup_f64 v[224:225], v[146:147], v[224:225], 1.0
	v_mul_f64 v[226:227], v[144:145], -v[224:225]
.LBB110_366:
	s_or_b64 exec, exec, s[16:17]
.LBB110_367:
	s_or_b64 exec, exec, s[0:1]
	v_cmp_ne_u32_e32 vcc, v237, v234
	s_and_saveexec_b64 s[0:1], vcc
	s_xor_b64 s[0:1], exec, s[0:1]
	s_cbranch_execz .LBB110_373
; %bb.368:
	v_cmp_eq_u32_e32 vcc, 17, v237
	s_and_saveexec_b64 s[16:17], vcc
	s_cbranch_execz .LBB110_372
; %bb.369:
	v_cmp_ne_u32_e32 vcc, 17, v234
	s_xor_b64 s[18:19], s[14:15], -1
	s_and_b64 s[22:23], s[18:19], vcc
	s_and_saveexec_b64 s[18:19], s[22:23]
	s_cbranch_execz .LBB110_371
; %bb.370:
	v_ashrrev_i32_e32 v235, 31, v234
	v_lshl_add_u64 v[144:145], v[234:235], 2, v[212:213]
	global_load_dword v146, v[144:145], off
	global_load_dword v147, v[212:213], off offset:68
	s_waitcnt vmcnt(1)
	global_store_dword v[212:213], v146, off offset:68
	s_waitcnt vmcnt(1)
	global_store_dword v[144:145], v147, off
.LBB110_371:
	s_or_b64 exec, exec, s[18:19]
	v_mov_b32_e32 v237, v234
	v_mov_b32_e32 v218, v234
.LBB110_372:
	s_or_b64 exec, exec, s[16:17]
.LBB110_373:
	s_andn2_saveexec_b64 s[0:1], s[0:1]
	s_cbranch_execz .LBB110_375
; %bb.374:
	v_mov_b32_e32 v237, 17
	ds_write2_b64 v236, v[148:149], v[150:151] offset0:36 offset1:37
	ds_write2_b64 v236, v[140:141], v[142:143] offset0:38 offset1:39
	;; [unrolled: 1-line block ×38, first 2 shown]
.LBB110_375:
	s_or_b64 exec, exec, s[0:1]
	v_cmp_lt_i32_e32 vcc, 17, v237
	s_waitcnt lgkmcnt(0)
	s_barrier
	s_and_saveexec_b64 s[0:1], vcc
	s_cbranch_execz .LBB110_377
; %bb.376:
	ds_read2_b64 v[240:243], v236 offset0:36 offset1:37
	v_mul_f64 v[144:145], v[226:227], v[158:159]
	v_mul_f64 v[158:159], v[224:225], v[158:159]
	v_fma_f64 v[234:235], v[224:225], v[156:157], -v[144:145]
	v_fmac_f64_e32 v[158:159], v[226:227], v[156:157]
	ds_read2_b64 v[224:227], v236 offset0:38 offset1:39
	s_waitcnt lgkmcnt(1)
	v_mul_f64 v[144:145], v[242:243], v[158:159]
	v_mul_f64 v[146:147], v[240:241], v[158:159]
	v_fma_f64 v[144:145], v[240:241], v[234:235], -v[144:145]
	v_fmac_f64_e32 v[146:147], v[242:243], v[234:235]
	ds_read2_b64 v[240:243], v236 offset0:40 offset1:41
	v_add_f64 v[148:149], v[148:149], -v[144:145]
	v_add_f64 v[150:151], v[150:151], -v[146:147]
	s_waitcnt lgkmcnt(1)
	v_mul_f64 v[144:145], v[226:227], v[158:159]
	v_mul_f64 v[146:147], v[224:225], v[158:159]
	v_fma_f64 v[144:145], v[224:225], v[234:235], -v[144:145]
	v_fmac_f64_e32 v[146:147], v[226:227], v[234:235]
	ds_read2_b64 v[224:227], v236 offset0:42 offset1:43
	v_add_f64 v[140:141], v[140:141], -v[144:145]
	v_add_f64 v[142:143], v[142:143], -v[146:147]
	;; [unrolled: 8-line block ×36, first 2 shown]
	s_waitcnt lgkmcnt(1)
	v_mul_f64 v[144:145], v[242:243], v[158:159]
	v_mul_f64 v[146:147], v[240:241], v[158:159]
	v_fma_f64 v[144:145], v[240:241], v[234:235], -v[144:145]
	v_fmac_f64_e32 v[146:147], v[242:243], v[234:235]
	v_add_f64 v[0:1], v[0:1], -v[144:145]
	v_add_f64 v[2:3], v[2:3], -v[146:147]
	s_waitcnt lgkmcnt(0)
	v_mul_f64 v[144:145], v[226:227], v[158:159]
	v_mul_f64 v[146:147], v[224:225], v[158:159]
	v_fma_f64 v[144:145], v[224:225], v[234:235], -v[144:145]
	v_fmac_f64_e32 v[146:147], v[226:227], v[234:235]
	v_add_f64 v[220:221], v[220:221], -v[144:145]
	v_add_f64 v[222:223], v[222:223], -v[146:147]
	v_mov_b64_e32 v[156:157], v[234:235]
.LBB110_377:
	s_or_b64 exec, exec, s[0:1]
	v_lshl_add_u32 v144, v237, 4, v236
	s_barrier
	ds_write2_b64 v144, v[148:149], v[150:151] offset1:1
	s_waitcnt lgkmcnt(0)
	s_barrier
	ds_read2_b64 v[224:227], v236 offset0:36 offset1:37
	s_cmp_lt_i32 s20, 20
	v_mov_b32_e32 v234, 18
	s_cbranch_scc1 .LBB110_380
; %bb.378:
	v_add_u32_e32 v235, 0x130, v236
	s_mov_b32 s16, 19
	v_mov_b32_e32 v234, 18
.LBB110_379:                            ; =>This Inner Loop Header: Depth=1
	ds_read2_b64 v[240:243], v235 offset1:1
	s_waitcnt lgkmcnt(1)
	v_xor_b32_e32 v145, 0x80000000, v225
	v_xor_b32_e32 v147, 0x80000000, v227
	v_cmp_gt_f64_e32 vcc, 0, v[226:227]
	v_cmp_gt_f64_e64 s[0:1], 0, v[224:225]
	v_mov_b32_e32 v144, v224
	v_mov_b32_e32 v146, v226
	v_cndmask_b32_e64 v145, v225, v145, s[0:1]
	v_cndmask_b32_e32 v147, v227, v147, vcc
	v_add_f64 v[144:145], v[144:145], v[146:147]
	s_waitcnt lgkmcnt(0)
	v_xor_b32_e32 v147, 0x80000000, v241
	v_xor_b32_e32 v153, 0x80000000, v243
	v_cmp_gt_f64_e32 vcc, 0, v[242:243]
	v_cmp_gt_f64_e64 s[0:1], 0, v[240:241]
	v_mov_b32_e32 v146, v240
	v_mov_b32_e32 v152, v242
	v_cndmask_b32_e64 v147, v241, v147, s[0:1]
	v_cndmask_b32_e32 v153, v243, v153, vcc
	v_add_f64 v[146:147], v[146:147], v[152:153]
	v_mov_b32_e32 v154, s16
	s_add_i32 s16, s16, 1
	v_cmp_lt_f64_e32 vcc, v[144:145], v[146:147]
	v_add_u32_e32 v235, 16, v235
	s_cmp_lg_u32 s20, s16
	v_cndmask_b32_e32 v225, v225, v241, vcc
	v_cndmask_b32_e32 v224, v224, v240, vcc
	;; [unrolled: 1-line block ×5, first 2 shown]
	s_cbranch_scc1 .LBB110_379
.LBB110_380:
	s_waitcnt lgkmcnt(0)
	v_cmp_eq_f64_e32 vcc, 0, v[224:225]
	v_cmp_eq_f64_e64 s[0:1], 0, v[226:227]
	s_and_b64 s[0:1], vcc, s[0:1]
	s_and_saveexec_b64 s[16:17], s[0:1]
	s_xor_b64 s[0:1], exec, s[16:17]
; %bb.381:
	v_cmp_ne_u32_e32 vcc, 0, v238
	s_nop 1
	v_cndmask_b32_e32 v238, 19, v238, vcc
; %bb.382:
	s_andn2_saveexec_b64 s[0:1], s[0:1]
	s_cbranch_execz .LBB110_388
; %bb.383:
	v_cmp_ngt_f64_e64 s[16:17], |v[224:225]|, |v[226:227]|
	s_and_saveexec_b64 s[18:19], s[16:17]
	s_xor_b64 s[16:17], exec, s[18:19]
	s_cbranch_execz .LBB110_385
; %bb.384:
	v_div_scale_f64 v[144:145], s[18:19], v[226:227], v[226:227], v[224:225]
	v_rcp_f64_e32 v[146:147], v[144:145]
	v_div_scale_f64 v[152:153], vcc, v[224:225], v[226:227], v[224:225]
	v_fma_f64 v[154:155], -v[144:145], v[146:147], 1.0
	v_fmac_f64_e32 v[146:147], v[146:147], v[154:155]
	v_fma_f64 v[154:155], -v[144:145], v[146:147], 1.0
	v_fmac_f64_e32 v[146:147], v[146:147], v[154:155]
	v_mul_f64 v[154:155], v[152:153], v[146:147]
	v_fma_f64 v[144:145], -v[144:145], v[154:155], v[152:153]
	v_div_fmas_f64 v[144:145], v[144:145], v[146:147], v[154:155]
	v_div_fixup_f64 v[144:145], v[144:145], v[226:227], v[224:225]
	v_fmac_f64_e32 v[226:227], v[224:225], v[144:145]
	v_div_scale_f64 v[146:147], s[18:19], v[226:227], v[226:227], 1.0
	v_rcp_f64_e32 v[152:153], v[146:147]
	s_nop 0
	v_fma_f64 v[154:155], -v[146:147], v[152:153], 1.0
	v_fmac_f64_e32 v[152:153], v[152:153], v[154:155]
	v_fma_f64 v[154:155], -v[146:147], v[152:153], 1.0
	v_fmac_f64_e32 v[152:153], v[152:153], v[154:155]
	v_div_scale_f64 v[154:155], vcc, 1.0, v[226:227], 1.0
	v_mul_f64 v[224:225], v[154:155], v[152:153]
	v_fma_f64 v[146:147], -v[146:147], v[224:225], v[154:155]
	s_nop 1
	v_div_fmas_f64 v[146:147], v[146:147], v[152:153], v[224:225]
	v_div_fixup_f64 v[226:227], v[146:147], v[226:227], 1.0
	v_mul_f64 v[224:225], v[144:145], v[226:227]
	v_xor_b32_e32 v227, 0x80000000, v227
.LBB110_385:
	s_andn2_saveexec_b64 s[16:17], s[16:17]
	s_cbranch_execz .LBB110_387
; %bb.386:
	v_div_scale_f64 v[144:145], s[18:19], v[224:225], v[224:225], v[226:227]
	v_rcp_f64_e32 v[146:147], v[144:145]
	v_div_scale_f64 v[152:153], vcc, v[226:227], v[224:225], v[226:227]
	v_fma_f64 v[154:155], -v[144:145], v[146:147], 1.0
	v_fmac_f64_e32 v[146:147], v[146:147], v[154:155]
	v_fma_f64 v[154:155], -v[144:145], v[146:147], 1.0
	v_fmac_f64_e32 v[146:147], v[146:147], v[154:155]
	v_mul_f64 v[154:155], v[152:153], v[146:147]
	v_fma_f64 v[144:145], -v[144:145], v[154:155], v[152:153]
	v_div_fmas_f64 v[144:145], v[144:145], v[146:147], v[154:155]
	v_div_fixup_f64 v[144:145], v[144:145], v[224:225], v[226:227]
	v_fmac_f64_e32 v[224:225], v[226:227], v[144:145]
	v_div_scale_f64 v[146:147], s[18:19], v[224:225], v[224:225], 1.0
	v_rcp_f64_e32 v[152:153], v[146:147]
	s_nop 0
	v_fma_f64 v[154:155], -v[146:147], v[152:153], 1.0
	v_fmac_f64_e32 v[152:153], v[152:153], v[154:155]
	v_fma_f64 v[154:155], -v[146:147], v[152:153], 1.0
	v_fmac_f64_e32 v[152:153], v[152:153], v[154:155]
	v_div_scale_f64 v[154:155], vcc, 1.0, v[224:225], 1.0
	v_mul_f64 v[226:227], v[154:155], v[152:153]
	v_fma_f64 v[146:147], -v[146:147], v[226:227], v[154:155]
	s_nop 1
	v_div_fmas_f64 v[146:147], v[146:147], v[152:153], v[226:227]
	v_div_fixup_f64 v[224:225], v[146:147], v[224:225], 1.0
	v_mul_f64 v[226:227], v[144:145], -v[224:225]
.LBB110_387:
	s_or_b64 exec, exec, s[16:17]
.LBB110_388:
	s_or_b64 exec, exec, s[0:1]
	v_cmp_ne_u32_e32 vcc, v237, v234
	s_and_saveexec_b64 s[0:1], vcc
	s_xor_b64 s[0:1], exec, s[0:1]
	s_cbranch_execz .LBB110_394
; %bb.389:
	v_cmp_eq_u32_e32 vcc, 18, v237
	s_and_saveexec_b64 s[16:17], vcc
	s_cbranch_execz .LBB110_393
; %bb.390:
	v_cmp_ne_u32_e32 vcc, 18, v234
	s_xor_b64 s[18:19], s[14:15], -1
	s_and_b64 s[22:23], s[18:19], vcc
	s_and_saveexec_b64 s[18:19], s[22:23]
	s_cbranch_execz .LBB110_392
; %bb.391:
	v_ashrrev_i32_e32 v235, 31, v234
	v_lshl_add_u64 v[144:145], v[234:235], 2, v[212:213]
	global_load_dword v146, v[144:145], off
	global_load_dword v147, v[212:213], off offset:72
	s_waitcnt vmcnt(1)
	global_store_dword v[212:213], v146, off offset:72
	s_waitcnt vmcnt(1)
	global_store_dword v[144:145], v147, off
.LBB110_392:
	s_or_b64 exec, exec, s[18:19]
	v_mov_b32_e32 v237, v234
	v_mov_b32_e32 v218, v234
.LBB110_393:
	s_or_b64 exec, exec, s[16:17]
.LBB110_394:
	s_andn2_saveexec_b64 s[0:1], s[0:1]
	s_cbranch_execz .LBB110_396
; %bb.395:
	v_mov_b32_e32 v237, 18
	ds_write2_b64 v236, v[140:141], v[142:143] offset0:38 offset1:39
	ds_write2_b64 v236, v[136:137], v[138:139] offset0:40 offset1:41
	;; [unrolled: 1-line block ×37, first 2 shown]
.LBB110_396:
	s_or_b64 exec, exec, s[0:1]
	v_cmp_lt_i32_e32 vcc, 18, v237
	s_waitcnt lgkmcnt(0)
	s_barrier
	s_and_saveexec_b64 s[0:1], vcc
	s_cbranch_execz .LBB110_398
; %bb.397:
	ds_read2_b64 v[240:243], v236 offset0:38 offset1:39
	v_mul_f64 v[144:145], v[226:227], v[150:151]
	v_mul_f64 v[150:151], v[224:225], v[150:151]
	v_fma_f64 v[234:235], v[224:225], v[148:149], -v[144:145]
	v_fmac_f64_e32 v[150:151], v[226:227], v[148:149]
	ds_read2_b64 v[224:227], v236 offset0:40 offset1:41
	s_waitcnt lgkmcnt(1)
	v_mul_f64 v[144:145], v[242:243], v[150:151]
	v_mul_f64 v[146:147], v[240:241], v[150:151]
	v_fma_f64 v[144:145], v[240:241], v[234:235], -v[144:145]
	v_fmac_f64_e32 v[146:147], v[242:243], v[234:235]
	ds_read2_b64 v[240:243], v236 offset0:42 offset1:43
	v_add_f64 v[140:141], v[140:141], -v[144:145]
	v_add_f64 v[142:143], v[142:143], -v[146:147]
	s_waitcnt lgkmcnt(1)
	v_mul_f64 v[144:145], v[226:227], v[150:151]
	v_mul_f64 v[146:147], v[224:225], v[150:151]
	v_fma_f64 v[144:145], v[224:225], v[234:235], -v[144:145]
	v_fmac_f64_e32 v[146:147], v[226:227], v[234:235]
	ds_read2_b64 v[224:227], v236 offset0:44 offset1:45
	v_add_f64 v[136:137], v[136:137], -v[144:145]
	v_add_f64 v[138:139], v[138:139], -v[146:147]
	s_waitcnt lgkmcnt(1)
	v_mul_f64 v[144:145], v[242:243], v[150:151]
	v_mul_f64 v[146:147], v[240:241], v[150:151]
	v_fma_f64 v[144:145], v[240:241], v[234:235], -v[144:145]
	v_fmac_f64_e32 v[146:147], v[242:243], v[234:235]
	ds_read2_b64 v[240:243], v236 offset0:46 offset1:47
	v_add_f64 v[132:133], v[132:133], -v[144:145]
	v_add_f64 v[134:135], v[134:135], -v[146:147]
	s_waitcnt lgkmcnt(1)
	v_mul_f64 v[144:145], v[226:227], v[150:151]
	v_mul_f64 v[146:147], v[224:225], v[150:151]
	v_fma_f64 v[144:145], v[224:225], v[234:235], -v[144:145]
	v_fmac_f64_e32 v[146:147], v[226:227], v[234:235]
	ds_read2_b64 v[224:227], v236 offset0:48 offset1:49
	v_add_f64 v[128:129], v[128:129], -v[144:145]
	v_add_f64 v[130:131], v[130:131], -v[146:147]
	s_waitcnt lgkmcnt(1)
	v_mul_f64 v[144:145], v[242:243], v[150:151]
	v_mul_f64 v[146:147], v[240:241], v[150:151]
	v_fma_f64 v[144:145], v[240:241], v[234:235], -v[144:145]
	v_fmac_f64_e32 v[146:147], v[242:243], v[234:235]
	ds_read2_b64 v[240:243], v236 offset0:50 offset1:51
	v_add_f64 v[124:125], v[124:125], -v[144:145]
	v_add_f64 v[126:127], v[126:127], -v[146:147]
	s_waitcnt lgkmcnt(1)
	v_mul_f64 v[144:145], v[226:227], v[150:151]
	v_mul_f64 v[146:147], v[224:225], v[150:151]
	v_fma_f64 v[144:145], v[224:225], v[234:235], -v[144:145]
	v_fmac_f64_e32 v[146:147], v[226:227], v[234:235]
	ds_read2_b64 v[224:227], v236 offset0:52 offset1:53
	v_add_f64 v[120:121], v[120:121], -v[144:145]
	v_add_f64 v[122:123], v[122:123], -v[146:147]
	s_waitcnt lgkmcnt(1)
	v_mul_f64 v[144:145], v[242:243], v[150:151]
	v_mul_f64 v[146:147], v[240:241], v[150:151]
	v_fma_f64 v[144:145], v[240:241], v[234:235], -v[144:145]
	v_fmac_f64_e32 v[146:147], v[242:243], v[234:235]
	ds_read2_b64 v[240:243], v236 offset0:54 offset1:55
	v_add_f64 v[116:117], v[116:117], -v[144:145]
	v_add_f64 v[118:119], v[118:119], -v[146:147]
	s_waitcnt lgkmcnt(1)
	v_mul_f64 v[144:145], v[226:227], v[150:151]
	v_mul_f64 v[146:147], v[224:225], v[150:151]
	v_fma_f64 v[144:145], v[224:225], v[234:235], -v[144:145]
	v_fmac_f64_e32 v[146:147], v[226:227], v[234:235]
	ds_read2_b64 v[224:227], v236 offset0:56 offset1:57
	v_add_f64 v[112:113], v[112:113], -v[144:145]
	v_add_f64 v[114:115], v[114:115], -v[146:147]
	s_waitcnt lgkmcnt(1)
	v_mul_f64 v[144:145], v[242:243], v[150:151]
	v_mul_f64 v[146:147], v[240:241], v[150:151]
	v_fma_f64 v[144:145], v[240:241], v[234:235], -v[144:145]
	v_fmac_f64_e32 v[146:147], v[242:243], v[234:235]
	ds_read2_b64 v[240:243], v236 offset0:58 offset1:59
	v_add_f64 v[108:109], v[108:109], -v[144:145]
	v_add_f64 v[110:111], v[110:111], -v[146:147]
	s_waitcnt lgkmcnt(1)
	v_mul_f64 v[144:145], v[226:227], v[150:151]
	v_mul_f64 v[146:147], v[224:225], v[150:151]
	v_fma_f64 v[144:145], v[224:225], v[234:235], -v[144:145]
	v_fmac_f64_e32 v[146:147], v[226:227], v[234:235]
	ds_read2_b64 v[224:227], v236 offset0:60 offset1:61
	v_add_f64 v[104:105], v[104:105], -v[144:145]
	v_add_f64 v[106:107], v[106:107], -v[146:147]
	s_waitcnt lgkmcnt(1)
	v_mul_f64 v[144:145], v[242:243], v[150:151]
	v_mul_f64 v[146:147], v[240:241], v[150:151]
	v_fma_f64 v[144:145], v[240:241], v[234:235], -v[144:145]
	v_fmac_f64_e32 v[146:147], v[242:243], v[234:235]
	ds_read2_b64 v[240:243], v236 offset0:62 offset1:63
	v_add_f64 v[100:101], v[100:101], -v[144:145]
	v_add_f64 v[102:103], v[102:103], -v[146:147]
	s_waitcnt lgkmcnt(1)
	v_mul_f64 v[144:145], v[226:227], v[150:151]
	v_mul_f64 v[146:147], v[224:225], v[150:151]
	v_fma_f64 v[144:145], v[224:225], v[234:235], -v[144:145]
	v_fmac_f64_e32 v[146:147], v[226:227], v[234:235]
	ds_read2_b64 v[224:227], v236 offset0:64 offset1:65
	v_add_f64 v[96:97], v[96:97], -v[144:145]
	v_add_f64 v[98:99], v[98:99], -v[146:147]
	s_waitcnt lgkmcnt(1)
	v_mul_f64 v[144:145], v[242:243], v[150:151]
	v_mul_f64 v[146:147], v[240:241], v[150:151]
	v_fma_f64 v[144:145], v[240:241], v[234:235], -v[144:145]
	v_fmac_f64_e32 v[146:147], v[242:243], v[234:235]
	ds_read2_b64 v[240:243], v236 offset0:66 offset1:67
	v_add_f64 v[92:93], v[92:93], -v[144:145]
	v_add_f64 v[94:95], v[94:95], -v[146:147]
	s_waitcnt lgkmcnt(1)
	v_mul_f64 v[144:145], v[226:227], v[150:151]
	v_mul_f64 v[146:147], v[224:225], v[150:151]
	v_fma_f64 v[144:145], v[224:225], v[234:235], -v[144:145]
	v_fmac_f64_e32 v[146:147], v[226:227], v[234:235]
	ds_read2_b64 v[224:227], v236 offset0:68 offset1:69
	v_add_f64 v[88:89], v[88:89], -v[144:145]
	v_add_f64 v[90:91], v[90:91], -v[146:147]
	s_waitcnt lgkmcnt(1)
	v_mul_f64 v[144:145], v[242:243], v[150:151]
	v_mul_f64 v[146:147], v[240:241], v[150:151]
	v_fma_f64 v[144:145], v[240:241], v[234:235], -v[144:145]
	v_fmac_f64_e32 v[146:147], v[242:243], v[234:235]
	ds_read2_b64 v[240:243], v236 offset0:70 offset1:71
	v_add_f64 v[84:85], v[84:85], -v[144:145]
	v_add_f64 v[86:87], v[86:87], -v[146:147]
	s_waitcnt lgkmcnt(1)
	v_mul_f64 v[144:145], v[226:227], v[150:151]
	v_mul_f64 v[146:147], v[224:225], v[150:151]
	v_fma_f64 v[144:145], v[224:225], v[234:235], -v[144:145]
	v_fmac_f64_e32 v[146:147], v[226:227], v[234:235]
	ds_read2_b64 v[224:227], v236 offset0:72 offset1:73
	v_add_f64 v[80:81], v[80:81], -v[144:145]
	v_add_f64 v[82:83], v[82:83], -v[146:147]
	s_waitcnt lgkmcnt(1)
	v_mul_f64 v[144:145], v[242:243], v[150:151]
	v_mul_f64 v[146:147], v[240:241], v[150:151]
	v_fma_f64 v[144:145], v[240:241], v[234:235], -v[144:145]
	v_fmac_f64_e32 v[146:147], v[242:243], v[234:235]
	ds_read2_b64 v[240:243], v236 offset0:74 offset1:75
	v_add_f64 v[76:77], v[76:77], -v[144:145]
	v_add_f64 v[78:79], v[78:79], -v[146:147]
	s_waitcnt lgkmcnt(1)
	v_mul_f64 v[144:145], v[226:227], v[150:151]
	v_mul_f64 v[146:147], v[224:225], v[150:151]
	v_fma_f64 v[144:145], v[224:225], v[234:235], -v[144:145]
	v_fmac_f64_e32 v[146:147], v[226:227], v[234:235]
	ds_read2_b64 v[224:227], v236 offset0:76 offset1:77
	v_add_f64 v[72:73], v[72:73], -v[144:145]
	v_add_f64 v[74:75], v[74:75], -v[146:147]
	s_waitcnt lgkmcnt(1)
	v_mul_f64 v[144:145], v[242:243], v[150:151]
	v_mul_f64 v[146:147], v[240:241], v[150:151]
	v_fma_f64 v[144:145], v[240:241], v[234:235], -v[144:145]
	v_fmac_f64_e32 v[146:147], v[242:243], v[234:235]
	ds_read2_b64 v[240:243], v236 offset0:78 offset1:79
	v_add_f64 v[68:69], v[68:69], -v[144:145]
	v_add_f64 v[70:71], v[70:71], -v[146:147]
	s_waitcnt lgkmcnt(1)
	v_mul_f64 v[144:145], v[226:227], v[150:151]
	v_mul_f64 v[146:147], v[224:225], v[150:151]
	v_fma_f64 v[144:145], v[224:225], v[234:235], -v[144:145]
	v_fmac_f64_e32 v[146:147], v[226:227], v[234:235]
	ds_read2_b64 v[224:227], v236 offset0:80 offset1:81
	v_add_f64 v[64:65], v[64:65], -v[144:145]
	v_add_f64 v[66:67], v[66:67], -v[146:147]
	s_waitcnt lgkmcnt(1)
	v_mul_f64 v[144:145], v[242:243], v[150:151]
	v_mul_f64 v[146:147], v[240:241], v[150:151]
	v_fma_f64 v[144:145], v[240:241], v[234:235], -v[144:145]
	v_fmac_f64_e32 v[146:147], v[242:243], v[234:235]
	ds_read2_b64 v[240:243], v236 offset0:82 offset1:83
	v_add_f64 v[60:61], v[60:61], -v[144:145]
	v_add_f64 v[62:63], v[62:63], -v[146:147]
	s_waitcnt lgkmcnt(1)
	v_mul_f64 v[144:145], v[226:227], v[150:151]
	v_mul_f64 v[146:147], v[224:225], v[150:151]
	v_fma_f64 v[144:145], v[224:225], v[234:235], -v[144:145]
	v_fmac_f64_e32 v[146:147], v[226:227], v[234:235]
	ds_read2_b64 v[224:227], v236 offset0:84 offset1:85
	v_add_f64 v[56:57], v[56:57], -v[144:145]
	v_add_f64 v[58:59], v[58:59], -v[146:147]
	s_waitcnt lgkmcnt(1)
	v_mul_f64 v[144:145], v[242:243], v[150:151]
	v_mul_f64 v[146:147], v[240:241], v[150:151]
	v_fma_f64 v[144:145], v[240:241], v[234:235], -v[144:145]
	v_fmac_f64_e32 v[146:147], v[242:243], v[234:235]
	ds_read2_b64 v[240:243], v236 offset0:86 offset1:87
	v_add_f64 v[52:53], v[52:53], -v[144:145]
	v_add_f64 v[54:55], v[54:55], -v[146:147]
	s_waitcnt lgkmcnt(1)
	v_mul_f64 v[144:145], v[226:227], v[150:151]
	v_mul_f64 v[146:147], v[224:225], v[150:151]
	v_fma_f64 v[144:145], v[224:225], v[234:235], -v[144:145]
	v_fmac_f64_e32 v[146:147], v[226:227], v[234:235]
	ds_read2_b64 v[224:227], v236 offset0:88 offset1:89
	v_add_f64 v[48:49], v[48:49], -v[144:145]
	v_add_f64 v[50:51], v[50:51], -v[146:147]
	s_waitcnt lgkmcnt(1)
	v_mul_f64 v[144:145], v[242:243], v[150:151]
	v_mul_f64 v[146:147], v[240:241], v[150:151]
	v_fma_f64 v[144:145], v[240:241], v[234:235], -v[144:145]
	v_fmac_f64_e32 v[146:147], v[242:243], v[234:235]
	ds_read2_b64 v[240:243], v236 offset0:90 offset1:91
	v_add_f64 v[44:45], v[44:45], -v[144:145]
	v_add_f64 v[46:47], v[46:47], -v[146:147]
	s_waitcnt lgkmcnt(1)
	v_mul_f64 v[144:145], v[226:227], v[150:151]
	v_mul_f64 v[146:147], v[224:225], v[150:151]
	v_fma_f64 v[144:145], v[224:225], v[234:235], -v[144:145]
	v_fmac_f64_e32 v[146:147], v[226:227], v[234:235]
	ds_read2_b64 v[224:227], v236 offset0:92 offset1:93
	v_add_f64 v[40:41], v[40:41], -v[144:145]
	v_add_f64 v[42:43], v[42:43], -v[146:147]
	s_waitcnt lgkmcnt(1)
	v_mul_f64 v[144:145], v[242:243], v[150:151]
	v_mul_f64 v[146:147], v[240:241], v[150:151]
	v_fma_f64 v[144:145], v[240:241], v[234:235], -v[144:145]
	v_fmac_f64_e32 v[146:147], v[242:243], v[234:235]
	ds_read2_b64 v[240:243], v236 offset0:94 offset1:95
	v_add_f64 v[36:37], v[36:37], -v[144:145]
	v_add_f64 v[38:39], v[38:39], -v[146:147]
	s_waitcnt lgkmcnt(1)
	v_mul_f64 v[144:145], v[226:227], v[150:151]
	v_mul_f64 v[146:147], v[224:225], v[150:151]
	v_fma_f64 v[144:145], v[224:225], v[234:235], -v[144:145]
	v_fmac_f64_e32 v[146:147], v[226:227], v[234:235]
	ds_read2_b64 v[224:227], v236 offset0:96 offset1:97
	v_add_f64 v[32:33], v[32:33], -v[144:145]
	v_add_f64 v[34:35], v[34:35], -v[146:147]
	s_waitcnt lgkmcnt(1)
	v_mul_f64 v[144:145], v[242:243], v[150:151]
	v_mul_f64 v[146:147], v[240:241], v[150:151]
	v_fma_f64 v[144:145], v[240:241], v[234:235], -v[144:145]
	v_fmac_f64_e32 v[146:147], v[242:243], v[234:235]
	ds_read2_b64 v[240:243], v236 offset0:98 offset1:99
	v_add_f64 v[28:29], v[28:29], -v[144:145]
	v_add_f64 v[30:31], v[30:31], -v[146:147]
	s_waitcnt lgkmcnt(1)
	v_mul_f64 v[144:145], v[226:227], v[150:151]
	v_mul_f64 v[146:147], v[224:225], v[150:151]
	v_fma_f64 v[144:145], v[224:225], v[234:235], -v[144:145]
	v_fmac_f64_e32 v[146:147], v[226:227], v[234:235]
	ds_read2_b64 v[224:227], v236 offset0:100 offset1:101
	v_add_f64 v[24:25], v[24:25], -v[144:145]
	v_add_f64 v[26:27], v[26:27], -v[146:147]
	s_waitcnt lgkmcnt(1)
	v_mul_f64 v[144:145], v[242:243], v[150:151]
	v_mul_f64 v[146:147], v[240:241], v[150:151]
	v_fma_f64 v[144:145], v[240:241], v[234:235], -v[144:145]
	v_fmac_f64_e32 v[146:147], v[242:243], v[234:235]
	ds_read2_b64 v[240:243], v236 offset0:102 offset1:103
	v_add_f64 v[20:21], v[20:21], -v[144:145]
	v_add_f64 v[22:23], v[22:23], -v[146:147]
	s_waitcnt lgkmcnt(1)
	v_mul_f64 v[144:145], v[226:227], v[150:151]
	v_mul_f64 v[146:147], v[224:225], v[150:151]
	v_fma_f64 v[144:145], v[224:225], v[234:235], -v[144:145]
	v_fmac_f64_e32 v[146:147], v[226:227], v[234:235]
	ds_read2_b64 v[224:227], v236 offset0:104 offset1:105
	v_add_f64 v[16:17], v[16:17], -v[144:145]
	v_add_f64 v[18:19], v[18:19], -v[146:147]
	s_waitcnt lgkmcnt(1)
	v_mul_f64 v[144:145], v[242:243], v[150:151]
	v_mul_f64 v[146:147], v[240:241], v[150:151]
	v_fma_f64 v[144:145], v[240:241], v[234:235], -v[144:145]
	v_fmac_f64_e32 v[146:147], v[242:243], v[234:235]
	ds_read2_b64 v[240:243], v236 offset0:106 offset1:107
	v_add_f64 v[12:13], v[12:13], -v[144:145]
	v_add_f64 v[14:15], v[14:15], -v[146:147]
	s_waitcnt lgkmcnt(1)
	v_mul_f64 v[144:145], v[226:227], v[150:151]
	v_mul_f64 v[146:147], v[224:225], v[150:151]
	v_fma_f64 v[144:145], v[224:225], v[234:235], -v[144:145]
	v_fmac_f64_e32 v[146:147], v[226:227], v[234:235]
	ds_read2_b64 v[224:227], v236 offset0:108 offset1:109
	v_add_f64 v[8:9], v[8:9], -v[144:145]
	v_add_f64 v[10:11], v[10:11], -v[146:147]
	s_waitcnt lgkmcnt(1)
	v_mul_f64 v[144:145], v[242:243], v[150:151]
	v_mul_f64 v[146:147], v[240:241], v[150:151]
	v_fma_f64 v[144:145], v[240:241], v[234:235], -v[144:145]
	v_fmac_f64_e32 v[146:147], v[242:243], v[234:235]
	ds_read2_b64 v[240:243], v236 offset0:110 offset1:111
	v_add_f64 v[4:5], v[4:5], -v[144:145]
	v_add_f64 v[6:7], v[6:7], -v[146:147]
	s_waitcnt lgkmcnt(1)
	v_mul_f64 v[144:145], v[226:227], v[150:151]
	v_mul_f64 v[146:147], v[224:225], v[150:151]
	v_fma_f64 v[144:145], v[224:225], v[234:235], -v[144:145]
	v_fmac_f64_e32 v[146:147], v[226:227], v[234:235]
	v_add_f64 v[0:1], v[0:1], -v[144:145]
	v_add_f64 v[2:3], v[2:3], -v[146:147]
	s_waitcnt lgkmcnt(0)
	v_mul_f64 v[144:145], v[242:243], v[150:151]
	v_mul_f64 v[146:147], v[240:241], v[150:151]
	v_fma_f64 v[144:145], v[240:241], v[234:235], -v[144:145]
	v_fmac_f64_e32 v[146:147], v[242:243], v[234:235]
	v_add_f64 v[220:221], v[220:221], -v[144:145]
	v_add_f64 v[222:223], v[222:223], -v[146:147]
	v_mov_b64_e32 v[148:149], v[234:235]
.LBB110_398:
	s_or_b64 exec, exec, s[0:1]
	v_lshl_add_u32 v144, v237, 4, v236
	s_barrier
	ds_write2_b64 v144, v[140:141], v[142:143] offset1:1
	s_waitcnt lgkmcnt(0)
	s_barrier
	ds_read2_b64 v[224:227], v236 offset0:38 offset1:39
	s_cmp_lt_i32 s20, 21
	v_mov_b32_e32 v234, 19
	s_cbranch_scc1 .LBB110_401
; %bb.399:
	v_add_u32_e32 v235, 0x140, v236
	s_mov_b32 s16, 20
	v_mov_b32_e32 v234, 19
.LBB110_400:                            ; =>This Inner Loop Header: Depth=1
	ds_read2_b64 v[240:243], v235 offset1:1
	s_waitcnt lgkmcnt(1)
	v_xor_b32_e32 v145, 0x80000000, v225
	v_xor_b32_e32 v147, 0x80000000, v227
	v_cmp_gt_f64_e32 vcc, 0, v[226:227]
	v_cmp_gt_f64_e64 s[0:1], 0, v[224:225]
	v_mov_b32_e32 v144, v224
	v_mov_b32_e32 v146, v226
	v_cndmask_b32_e64 v145, v225, v145, s[0:1]
	v_cndmask_b32_e32 v147, v227, v147, vcc
	v_add_f64 v[144:145], v[144:145], v[146:147]
	s_waitcnt lgkmcnt(0)
	v_xor_b32_e32 v147, 0x80000000, v241
	v_xor_b32_e32 v153, 0x80000000, v243
	v_cmp_gt_f64_e32 vcc, 0, v[242:243]
	v_cmp_gt_f64_e64 s[0:1], 0, v[240:241]
	v_mov_b32_e32 v146, v240
	v_mov_b32_e32 v152, v242
	v_cndmask_b32_e64 v147, v241, v147, s[0:1]
	v_cndmask_b32_e32 v153, v243, v153, vcc
	v_add_f64 v[146:147], v[146:147], v[152:153]
	v_mov_b32_e32 v154, s16
	s_add_i32 s16, s16, 1
	v_cmp_lt_f64_e32 vcc, v[144:145], v[146:147]
	v_add_u32_e32 v235, 16, v235
	s_cmp_lg_u32 s20, s16
	v_cndmask_b32_e32 v225, v225, v241, vcc
	v_cndmask_b32_e32 v224, v224, v240, vcc
	;; [unrolled: 1-line block ×5, first 2 shown]
	s_cbranch_scc1 .LBB110_400
.LBB110_401:
	s_waitcnt lgkmcnt(0)
	v_cmp_eq_f64_e32 vcc, 0, v[224:225]
	v_cmp_eq_f64_e64 s[0:1], 0, v[226:227]
	s_and_b64 s[0:1], vcc, s[0:1]
	s_and_saveexec_b64 s[16:17], s[0:1]
	s_xor_b64 s[0:1], exec, s[16:17]
; %bb.402:
	v_cmp_ne_u32_e32 vcc, 0, v238
	s_nop 1
	v_cndmask_b32_e32 v238, 20, v238, vcc
; %bb.403:
	s_andn2_saveexec_b64 s[0:1], s[0:1]
	s_cbranch_execz .LBB110_409
; %bb.404:
	v_cmp_ngt_f64_e64 s[16:17], |v[224:225]|, |v[226:227]|
	s_and_saveexec_b64 s[18:19], s[16:17]
	s_xor_b64 s[16:17], exec, s[18:19]
	s_cbranch_execz .LBB110_406
; %bb.405:
	v_div_scale_f64 v[144:145], s[18:19], v[226:227], v[226:227], v[224:225]
	v_rcp_f64_e32 v[146:147], v[144:145]
	v_div_scale_f64 v[152:153], vcc, v[224:225], v[226:227], v[224:225]
	v_fma_f64 v[154:155], -v[144:145], v[146:147], 1.0
	v_fmac_f64_e32 v[146:147], v[146:147], v[154:155]
	v_fma_f64 v[154:155], -v[144:145], v[146:147], 1.0
	v_fmac_f64_e32 v[146:147], v[146:147], v[154:155]
	v_mul_f64 v[154:155], v[152:153], v[146:147]
	v_fma_f64 v[144:145], -v[144:145], v[154:155], v[152:153]
	v_div_fmas_f64 v[144:145], v[144:145], v[146:147], v[154:155]
	v_div_fixup_f64 v[144:145], v[144:145], v[226:227], v[224:225]
	v_fmac_f64_e32 v[226:227], v[224:225], v[144:145]
	v_div_scale_f64 v[146:147], s[18:19], v[226:227], v[226:227], 1.0
	v_rcp_f64_e32 v[152:153], v[146:147]
	s_nop 0
	v_fma_f64 v[154:155], -v[146:147], v[152:153], 1.0
	v_fmac_f64_e32 v[152:153], v[152:153], v[154:155]
	v_fma_f64 v[154:155], -v[146:147], v[152:153], 1.0
	v_fmac_f64_e32 v[152:153], v[152:153], v[154:155]
	v_div_scale_f64 v[154:155], vcc, 1.0, v[226:227], 1.0
	v_mul_f64 v[224:225], v[154:155], v[152:153]
	v_fma_f64 v[146:147], -v[146:147], v[224:225], v[154:155]
	s_nop 1
	v_div_fmas_f64 v[146:147], v[146:147], v[152:153], v[224:225]
	v_div_fixup_f64 v[226:227], v[146:147], v[226:227], 1.0
	v_mul_f64 v[224:225], v[144:145], v[226:227]
	v_xor_b32_e32 v227, 0x80000000, v227
.LBB110_406:
	s_andn2_saveexec_b64 s[16:17], s[16:17]
	s_cbranch_execz .LBB110_408
; %bb.407:
	v_div_scale_f64 v[144:145], s[18:19], v[224:225], v[224:225], v[226:227]
	v_rcp_f64_e32 v[146:147], v[144:145]
	v_div_scale_f64 v[152:153], vcc, v[226:227], v[224:225], v[226:227]
	v_fma_f64 v[154:155], -v[144:145], v[146:147], 1.0
	v_fmac_f64_e32 v[146:147], v[146:147], v[154:155]
	v_fma_f64 v[154:155], -v[144:145], v[146:147], 1.0
	v_fmac_f64_e32 v[146:147], v[146:147], v[154:155]
	v_mul_f64 v[154:155], v[152:153], v[146:147]
	v_fma_f64 v[144:145], -v[144:145], v[154:155], v[152:153]
	v_div_fmas_f64 v[144:145], v[144:145], v[146:147], v[154:155]
	v_div_fixup_f64 v[144:145], v[144:145], v[224:225], v[226:227]
	v_fmac_f64_e32 v[224:225], v[226:227], v[144:145]
	v_div_scale_f64 v[146:147], s[18:19], v[224:225], v[224:225], 1.0
	v_rcp_f64_e32 v[152:153], v[146:147]
	s_nop 0
	v_fma_f64 v[154:155], -v[146:147], v[152:153], 1.0
	v_fmac_f64_e32 v[152:153], v[152:153], v[154:155]
	v_fma_f64 v[154:155], -v[146:147], v[152:153], 1.0
	v_fmac_f64_e32 v[152:153], v[152:153], v[154:155]
	v_div_scale_f64 v[154:155], vcc, 1.0, v[224:225], 1.0
	v_mul_f64 v[226:227], v[154:155], v[152:153]
	v_fma_f64 v[146:147], -v[146:147], v[226:227], v[154:155]
	s_nop 1
	v_div_fmas_f64 v[146:147], v[146:147], v[152:153], v[226:227]
	v_div_fixup_f64 v[224:225], v[146:147], v[224:225], 1.0
	v_mul_f64 v[226:227], v[144:145], -v[224:225]
.LBB110_408:
	s_or_b64 exec, exec, s[16:17]
.LBB110_409:
	s_or_b64 exec, exec, s[0:1]
	v_cmp_ne_u32_e32 vcc, v237, v234
	s_and_saveexec_b64 s[0:1], vcc
	s_xor_b64 s[0:1], exec, s[0:1]
	s_cbranch_execz .LBB110_415
; %bb.410:
	v_cmp_eq_u32_e32 vcc, 19, v237
	s_and_saveexec_b64 s[16:17], vcc
	s_cbranch_execz .LBB110_414
; %bb.411:
	v_cmp_ne_u32_e32 vcc, 19, v234
	s_xor_b64 s[18:19], s[14:15], -1
	s_and_b64 s[22:23], s[18:19], vcc
	s_and_saveexec_b64 s[18:19], s[22:23]
	s_cbranch_execz .LBB110_413
; %bb.412:
	v_ashrrev_i32_e32 v235, 31, v234
	v_lshl_add_u64 v[144:145], v[234:235], 2, v[212:213]
	global_load_dword v146, v[144:145], off
	global_load_dword v147, v[212:213], off offset:76
	s_waitcnt vmcnt(1)
	global_store_dword v[212:213], v146, off offset:76
	s_waitcnt vmcnt(1)
	global_store_dword v[144:145], v147, off
.LBB110_413:
	s_or_b64 exec, exec, s[18:19]
	v_mov_b32_e32 v237, v234
	v_mov_b32_e32 v218, v234
.LBB110_414:
	s_or_b64 exec, exec, s[16:17]
.LBB110_415:
	s_andn2_saveexec_b64 s[0:1], s[0:1]
	s_cbranch_execz .LBB110_417
; %bb.416:
	v_mov_b32_e32 v237, 19
	ds_write2_b64 v236, v[136:137], v[138:139] offset0:40 offset1:41
	ds_write2_b64 v236, v[132:133], v[134:135] offset0:42 offset1:43
	;; [unrolled: 1-line block ×36, first 2 shown]
.LBB110_417:
	s_or_b64 exec, exec, s[0:1]
	v_cmp_lt_i32_e32 vcc, 19, v237
	s_waitcnt lgkmcnt(0)
	s_barrier
	s_and_saveexec_b64 s[0:1], vcc
	s_cbranch_execz .LBB110_419
; %bb.418:
	ds_read2_b64 v[240:243], v236 offset0:40 offset1:41
	v_mul_f64 v[144:145], v[226:227], v[142:143]
	v_mul_f64 v[142:143], v[224:225], v[142:143]
	v_fma_f64 v[234:235], v[224:225], v[140:141], -v[144:145]
	v_fmac_f64_e32 v[142:143], v[226:227], v[140:141]
	ds_read2_b64 v[224:227], v236 offset0:42 offset1:43
	s_waitcnt lgkmcnt(1)
	v_mul_f64 v[140:141], v[242:243], v[142:143]
	v_mul_f64 v[144:145], v[240:241], v[142:143]
	v_fma_f64 v[140:141], v[240:241], v[234:235], -v[140:141]
	v_fmac_f64_e32 v[144:145], v[242:243], v[234:235]
	ds_read2_b64 v[240:243], v236 offset0:44 offset1:45
	v_add_f64 v[136:137], v[136:137], -v[140:141]
	v_add_f64 v[138:139], v[138:139], -v[144:145]
	s_waitcnt lgkmcnt(1)
	v_mul_f64 v[140:141], v[226:227], v[142:143]
	v_mul_f64 v[144:145], v[224:225], v[142:143]
	v_fma_f64 v[140:141], v[224:225], v[234:235], -v[140:141]
	v_fmac_f64_e32 v[144:145], v[226:227], v[234:235]
	ds_read2_b64 v[224:227], v236 offset0:46 offset1:47
	v_add_f64 v[132:133], v[132:133], -v[140:141]
	v_add_f64 v[134:135], v[134:135], -v[144:145]
	;; [unrolled: 8-line block ×34, first 2 shown]
	s_waitcnt lgkmcnt(1)
	v_mul_f64 v[140:141], v[242:243], v[142:143]
	v_mul_f64 v[144:145], v[240:241], v[142:143]
	v_fma_f64 v[140:141], v[240:241], v[234:235], -v[140:141]
	v_fmac_f64_e32 v[144:145], v[242:243], v[234:235]
	v_add_f64 v[0:1], v[0:1], -v[140:141]
	v_add_f64 v[2:3], v[2:3], -v[144:145]
	s_waitcnt lgkmcnt(0)
	v_mul_f64 v[140:141], v[226:227], v[142:143]
	v_mul_f64 v[144:145], v[224:225], v[142:143]
	v_fma_f64 v[140:141], v[224:225], v[234:235], -v[140:141]
	v_fmac_f64_e32 v[144:145], v[226:227], v[234:235]
	v_add_f64 v[220:221], v[220:221], -v[140:141]
	v_add_f64 v[222:223], v[222:223], -v[144:145]
	v_mov_b64_e32 v[140:141], v[234:235]
.LBB110_419:
	s_or_b64 exec, exec, s[0:1]
	v_lshl_add_u32 v144, v237, 4, v236
	s_barrier
	ds_write2_b64 v144, v[136:137], v[138:139] offset1:1
	s_waitcnt lgkmcnt(0)
	s_barrier
	ds_read2_b64 v[224:227], v236 offset0:40 offset1:41
	s_cmp_lt_i32 s20, 22
	v_mov_b32_e32 v234, 20
	s_cbranch_scc1 .LBB110_422
; %bb.420:
	v_add_u32_e32 v235, 0x150, v236
	s_mov_b32 s16, 21
	v_mov_b32_e32 v234, 20
.LBB110_421:                            ; =>This Inner Loop Header: Depth=1
	ds_read2_b64 v[240:243], v235 offset1:1
	s_waitcnt lgkmcnt(1)
	v_xor_b32_e32 v145, 0x80000000, v225
	v_xor_b32_e32 v147, 0x80000000, v227
	v_cmp_gt_f64_e32 vcc, 0, v[226:227]
	v_cmp_gt_f64_e64 s[0:1], 0, v[224:225]
	v_mov_b32_e32 v144, v224
	v_mov_b32_e32 v146, v226
	v_cndmask_b32_e64 v145, v225, v145, s[0:1]
	v_cndmask_b32_e32 v147, v227, v147, vcc
	v_add_f64 v[144:145], v[144:145], v[146:147]
	s_waitcnt lgkmcnt(0)
	v_xor_b32_e32 v147, 0x80000000, v241
	v_xor_b32_e32 v153, 0x80000000, v243
	v_cmp_gt_f64_e32 vcc, 0, v[242:243]
	v_cmp_gt_f64_e64 s[0:1], 0, v[240:241]
	v_mov_b32_e32 v146, v240
	v_mov_b32_e32 v152, v242
	v_cndmask_b32_e64 v147, v241, v147, s[0:1]
	v_cndmask_b32_e32 v153, v243, v153, vcc
	v_add_f64 v[146:147], v[146:147], v[152:153]
	v_mov_b32_e32 v154, s16
	s_add_i32 s16, s16, 1
	v_cmp_lt_f64_e32 vcc, v[144:145], v[146:147]
	v_add_u32_e32 v235, 16, v235
	s_cmp_lg_u32 s20, s16
	v_cndmask_b32_e32 v225, v225, v241, vcc
	v_cndmask_b32_e32 v224, v224, v240, vcc
	;; [unrolled: 1-line block ×5, first 2 shown]
	s_cbranch_scc1 .LBB110_421
.LBB110_422:
	s_waitcnt lgkmcnt(0)
	v_cmp_eq_f64_e32 vcc, 0, v[224:225]
	v_cmp_eq_f64_e64 s[0:1], 0, v[226:227]
	s_and_b64 s[0:1], vcc, s[0:1]
	s_and_saveexec_b64 s[16:17], s[0:1]
	s_xor_b64 s[0:1], exec, s[16:17]
; %bb.423:
	v_cmp_ne_u32_e32 vcc, 0, v238
	s_nop 1
	v_cndmask_b32_e32 v238, 21, v238, vcc
; %bb.424:
	s_andn2_saveexec_b64 s[0:1], s[0:1]
	s_cbranch_execz .LBB110_430
; %bb.425:
	v_cmp_ngt_f64_e64 s[16:17], |v[224:225]|, |v[226:227]|
	s_and_saveexec_b64 s[18:19], s[16:17]
	s_xor_b64 s[16:17], exec, s[18:19]
	s_cbranch_execz .LBB110_427
; %bb.426:
	v_div_scale_f64 v[144:145], s[18:19], v[226:227], v[226:227], v[224:225]
	v_rcp_f64_e32 v[146:147], v[144:145]
	v_div_scale_f64 v[152:153], vcc, v[224:225], v[226:227], v[224:225]
	v_fma_f64 v[154:155], -v[144:145], v[146:147], 1.0
	v_fmac_f64_e32 v[146:147], v[146:147], v[154:155]
	v_fma_f64 v[154:155], -v[144:145], v[146:147], 1.0
	v_fmac_f64_e32 v[146:147], v[146:147], v[154:155]
	v_mul_f64 v[154:155], v[152:153], v[146:147]
	v_fma_f64 v[144:145], -v[144:145], v[154:155], v[152:153]
	v_div_fmas_f64 v[144:145], v[144:145], v[146:147], v[154:155]
	v_div_fixup_f64 v[144:145], v[144:145], v[226:227], v[224:225]
	v_fmac_f64_e32 v[226:227], v[224:225], v[144:145]
	v_div_scale_f64 v[146:147], s[18:19], v[226:227], v[226:227], 1.0
	v_rcp_f64_e32 v[152:153], v[146:147]
	s_nop 0
	v_fma_f64 v[154:155], -v[146:147], v[152:153], 1.0
	v_fmac_f64_e32 v[152:153], v[152:153], v[154:155]
	v_fma_f64 v[154:155], -v[146:147], v[152:153], 1.0
	v_fmac_f64_e32 v[152:153], v[152:153], v[154:155]
	v_div_scale_f64 v[154:155], vcc, 1.0, v[226:227], 1.0
	v_mul_f64 v[224:225], v[154:155], v[152:153]
	v_fma_f64 v[146:147], -v[146:147], v[224:225], v[154:155]
	s_nop 1
	v_div_fmas_f64 v[146:147], v[146:147], v[152:153], v[224:225]
	v_div_fixup_f64 v[226:227], v[146:147], v[226:227], 1.0
	v_mul_f64 v[224:225], v[144:145], v[226:227]
	v_xor_b32_e32 v227, 0x80000000, v227
.LBB110_427:
	s_andn2_saveexec_b64 s[16:17], s[16:17]
	s_cbranch_execz .LBB110_429
; %bb.428:
	v_div_scale_f64 v[144:145], s[18:19], v[224:225], v[224:225], v[226:227]
	v_rcp_f64_e32 v[146:147], v[144:145]
	v_div_scale_f64 v[152:153], vcc, v[226:227], v[224:225], v[226:227]
	v_fma_f64 v[154:155], -v[144:145], v[146:147], 1.0
	v_fmac_f64_e32 v[146:147], v[146:147], v[154:155]
	v_fma_f64 v[154:155], -v[144:145], v[146:147], 1.0
	v_fmac_f64_e32 v[146:147], v[146:147], v[154:155]
	v_mul_f64 v[154:155], v[152:153], v[146:147]
	v_fma_f64 v[144:145], -v[144:145], v[154:155], v[152:153]
	v_div_fmas_f64 v[144:145], v[144:145], v[146:147], v[154:155]
	v_div_fixup_f64 v[144:145], v[144:145], v[224:225], v[226:227]
	v_fmac_f64_e32 v[224:225], v[226:227], v[144:145]
	v_div_scale_f64 v[146:147], s[18:19], v[224:225], v[224:225], 1.0
	v_rcp_f64_e32 v[152:153], v[146:147]
	s_nop 0
	v_fma_f64 v[154:155], -v[146:147], v[152:153], 1.0
	v_fmac_f64_e32 v[152:153], v[152:153], v[154:155]
	v_fma_f64 v[154:155], -v[146:147], v[152:153], 1.0
	v_fmac_f64_e32 v[152:153], v[152:153], v[154:155]
	v_div_scale_f64 v[154:155], vcc, 1.0, v[224:225], 1.0
	v_mul_f64 v[226:227], v[154:155], v[152:153]
	v_fma_f64 v[146:147], -v[146:147], v[226:227], v[154:155]
	s_nop 1
	v_div_fmas_f64 v[146:147], v[146:147], v[152:153], v[226:227]
	v_div_fixup_f64 v[224:225], v[146:147], v[224:225], 1.0
	v_mul_f64 v[226:227], v[144:145], -v[224:225]
.LBB110_429:
	s_or_b64 exec, exec, s[16:17]
.LBB110_430:
	s_or_b64 exec, exec, s[0:1]
	v_cmp_ne_u32_e32 vcc, v237, v234
	s_and_saveexec_b64 s[0:1], vcc
	s_xor_b64 s[0:1], exec, s[0:1]
	s_cbranch_execz .LBB110_436
; %bb.431:
	v_cmp_eq_u32_e32 vcc, 20, v237
	s_and_saveexec_b64 s[16:17], vcc
	s_cbranch_execz .LBB110_435
; %bb.432:
	v_cmp_ne_u32_e32 vcc, 20, v234
	s_xor_b64 s[18:19], s[14:15], -1
	s_and_b64 s[22:23], s[18:19], vcc
	s_and_saveexec_b64 s[18:19], s[22:23]
	s_cbranch_execz .LBB110_434
; %bb.433:
	v_ashrrev_i32_e32 v235, 31, v234
	v_lshl_add_u64 v[144:145], v[234:235], 2, v[212:213]
	global_load_dword v146, v[144:145], off
	global_load_dword v147, v[212:213], off offset:80
	s_waitcnt vmcnt(1)
	global_store_dword v[212:213], v146, off offset:80
	s_waitcnt vmcnt(1)
	global_store_dword v[144:145], v147, off
.LBB110_434:
	s_or_b64 exec, exec, s[18:19]
	v_mov_b32_e32 v237, v234
	v_mov_b32_e32 v218, v234
.LBB110_435:
	s_or_b64 exec, exec, s[16:17]
.LBB110_436:
	s_andn2_saveexec_b64 s[0:1], s[0:1]
	s_cbranch_execz .LBB110_438
; %bb.437:
	v_mov_b32_e32 v237, 20
	ds_write2_b64 v236, v[132:133], v[134:135] offset0:42 offset1:43
	ds_write2_b64 v236, v[128:129], v[130:131] offset0:44 offset1:45
	;; [unrolled: 1-line block ×35, first 2 shown]
.LBB110_438:
	s_or_b64 exec, exec, s[0:1]
	v_cmp_lt_i32_e32 vcc, 20, v237
	s_waitcnt lgkmcnt(0)
	s_barrier
	s_and_saveexec_b64 s[0:1], vcc
	s_cbranch_execz .LBB110_440
; %bb.439:
	ds_read2_b64 v[240:243], v236 offset0:42 offset1:43
	v_mul_f64 v[144:145], v[226:227], v[138:139]
	v_mul_f64 v[138:139], v[224:225], v[138:139]
	v_fma_f64 v[234:235], v[224:225], v[136:137], -v[144:145]
	v_fmac_f64_e32 v[138:139], v[226:227], v[136:137]
	ds_read2_b64 v[224:227], v236 offset0:44 offset1:45
	s_waitcnt lgkmcnt(1)
	v_mul_f64 v[136:137], v[242:243], v[138:139]
	v_mul_f64 v[144:145], v[240:241], v[138:139]
	v_fma_f64 v[136:137], v[240:241], v[234:235], -v[136:137]
	v_fmac_f64_e32 v[144:145], v[242:243], v[234:235]
	ds_read2_b64 v[240:243], v236 offset0:46 offset1:47
	v_add_f64 v[132:133], v[132:133], -v[136:137]
	v_add_f64 v[134:135], v[134:135], -v[144:145]
	s_waitcnt lgkmcnt(1)
	v_mul_f64 v[136:137], v[226:227], v[138:139]
	v_mul_f64 v[144:145], v[224:225], v[138:139]
	v_fma_f64 v[136:137], v[224:225], v[234:235], -v[136:137]
	v_fmac_f64_e32 v[144:145], v[226:227], v[234:235]
	ds_read2_b64 v[224:227], v236 offset0:48 offset1:49
	v_add_f64 v[128:129], v[128:129], -v[136:137]
	v_add_f64 v[130:131], v[130:131], -v[144:145]
	;; [unrolled: 8-line block ×33, first 2 shown]
	s_waitcnt lgkmcnt(1)
	v_mul_f64 v[136:137], v[226:227], v[138:139]
	v_mul_f64 v[144:145], v[224:225], v[138:139]
	v_fma_f64 v[136:137], v[224:225], v[234:235], -v[136:137]
	v_fmac_f64_e32 v[144:145], v[226:227], v[234:235]
	v_add_f64 v[0:1], v[0:1], -v[136:137]
	v_add_f64 v[2:3], v[2:3], -v[144:145]
	s_waitcnt lgkmcnt(0)
	v_mul_f64 v[136:137], v[242:243], v[138:139]
	v_mul_f64 v[144:145], v[240:241], v[138:139]
	v_fma_f64 v[136:137], v[240:241], v[234:235], -v[136:137]
	v_fmac_f64_e32 v[144:145], v[242:243], v[234:235]
	v_add_f64 v[220:221], v[220:221], -v[136:137]
	v_add_f64 v[222:223], v[222:223], -v[144:145]
	v_mov_b64_e32 v[136:137], v[234:235]
.LBB110_440:
	s_or_b64 exec, exec, s[0:1]
	v_lshl_add_u32 v144, v237, 4, v236
	s_barrier
	ds_write2_b64 v144, v[132:133], v[134:135] offset1:1
	s_waitcnt lgkmcnt(0)
	s_barrier
	ds_read2_b64 v[224:227], v236 offset0:42 offset1:43
	s_cmp_lt_i32 s20, 23
	v_mov_b32_e32 v234, 21
	s_cbranch_scc1 .LBB110_443
; %bb.441:
	v_add_u32_e32 v235, 0x160, v236
	s_mov_b32 s16, 22
	v_mov_b32_e32 v234, 21
.LBB110_442:                            ; =>This Inner Loop Header: Depth=1
	ds_read2_b64 v[240:243], v235 offset1:1
	s_waitcnt lgkmcnt(1)
	v_xor_b32_e32 v145, 0x80000000, v225
	v_xor_b32_e32 v147, 0x80000000, v227
	v_cmp_gt_f64_e32 vcc, 0, v[226:227]
	v_cmp_gt_f64_e64 s[0:1], 0, v[224:225]
	v_mov_b32_e32 v144, v224
	v_mov_b32_e32 v146, v226
	v_cndmask_b32_e64 v145, v225, v145, s[0:1]
	v_cndmask_b32_e32 v147, v227, v147, vcc
	v_add_f64 v[144:145], v[144:145], v[146:147]
	s_waitcnt lgkmcnt(0)
	v_xor_b32_e32 v147, 0x80000000, v241
	v_xor_b32_e32 v153, 0x80000000, v243
	v_cmp_gt_f64_e32 vcc, 0, v[242:243]
	v_cmp_gt_f64_e64 s[0:1], 0, v[240:241]
	v_mov_b32_e32 v146, v240
	v_mov_b32_e32 v152, v242
	v_cndmask_b32_e64 v147, v241, v147, s[0:1]
	v_cndmask_b32_e32 v153, v243, v153, vcc
	v_add_f64 v[146:147], v[146:147], v[152:153]
	v_mov_b32_e32 v154, s16
	s_add_i32 s16, s16, 1
	v_cmp_lt_f64_e32 vcc, v[144:145], v[146:147]
	v_add_u32_e32 v235, 16, v235
	s_cmp_lg_u32 s20, s16
	v_cndmask_b32_e32 v225, v225, v241, vcc
	v_cndmask_b32_e32 v224, v224, v240, vcc
	;; [unrolled: 1-line block ×5, first 2 shown]
	s_cbranch_scc1 .LBB110_442
.LBB110_443:
	s_waitcnt lgkmcnt(0)
	v_cmp_eq_f64_e32 vcc, 0, v[224:225]
	v_cmp_eq_f64_e64 s[0:1], 0, v[226:227]
	s_and_b64 s[0:1], vcc, s[0:1]
	s_and_saveexec_b64 s[16:17], s[0:1]
	s_xor_b64 s[0:1], exec, s[16:17]
; %bb.444:
	v_cmp_ne_u32_e32 vcc, 0, v238
	s_nop 1
	v_cndmask_b32_e32 v238, 22, v238, vcc
; %bb.445:
	s_andn2_saveexec_b64 s[0:1], s[0:1]
	s_cbranch_execz .LBB110_451
; %bb.446:
	v_cmp_ngt_f64_e64 s[16:17], |v[224:225]|, |v[226:227]|
	s_and_saveexec_b64 s[18:19], s[16:17]
	s_xor_b64 s[16:17], exec, s[18:19]
	s_cbranch_execz .LBB110_448
; %bb.447:
	v_div_scale_f64 v[144:145], s[18:19], v[226:227], v[226:227], v[224:225]
	v_rcp_f64_e32 v[146:147], v[144:145]
	v_div_scale_f64 v[152:153], vcc, v[224:225], v[226:227], v[224:225]
	v_fma_f64 v[154:155], -v[144:145], v[146:147], 1.0
	v_fmac_f64_e32 v[146:147], v[146:147], v[154:155]
	v_fma_f64 v[154:155], -v[144:145], v[146:147], 1.0
	v_fmac_f64_e32 v[146:147], v[146:147], v[154:155]
	v_mul_f64 v[154:155], v[152:153], v[146:147]
	v_fma_f64 v[144:145], -v[144:145], v[154:155], v[152:153]
	v_div_fmas_f64 v[144:145], v[144:145], v[146:147], v[154:155]
	v_div_fixup_f64 v[144:145], v[144:145], v[226:227], v[224:225]
	v_fmac_f64_e32 v[226:227], v[224:225], v[144:145]
	v_div_scale_f64 v[146:147], s[18:19], v[226:227], v[226:227], 1.0
	v_rcp_f64_e32 v[152:153], v[146:147]
	s_nop 0
	v_fma_f64 v[154:155], -v[146:147], v[152:153], 1.0
	v_fmac_f64_e32 v[152:153], v[152:153], v[154:155]
	v_fma_f64 v[154:155], -v[146:147], v[152:153], 1.0
	v_fmac_f64_e32 v[152:153], v[152:153], v[154:155]
	v_div_scale_f64 v[154:155], vcc, 1.0, v[226:227], 1.0
	v_mul_f64 v[224:225], v[154:155], v[152:153]
	v_fma_f64 v[146:147], -v[146:147], v[224:225], v[154:155]
	s_nop 1
	v_div_fmas_f64 v[146:147], v[146:147], v[152:153], v[224:225]
	v_div_fixup_f64 v[226:227], v[146:147], v[226:227], 1.0
	v_mul_f64 v[224:225], v[144:145], v[226:227]
	v_xor_b32_e32 v227, 0x80000000, v227
.LBB110_448:
	s_andn2_saveexec_b64 s[16:17], s[16:17]
	s_cbranch_execz .LBB110_450
; %bb.449:
	v_div_scale_f64 v[144:145], s[18:19], v[224:225], v[224:225], v[226:227]
	v_rcp_f64_e32 v[146:147], v[144:145]
	v_div_scale_f64 v[152:153], vcc, v[226:227], v[224:225], v[226:227]
	v_fma_f64 v[154:155], -v[144:145], v[146:147], 1.0
	v_fmac_f64_e32 v[146:147], v[146:147], v[154:155]
	v_fma_f64 v[154:155], -v[144:145], v[146:147], 1.0
	v_fmac_f64_e32 v[146:147], v[146:147], v[154:155]
	v_mul_f64 v[154:155], v[152:153], v[146:147]
	v_fma_f64 v[144:145], -v[144:145], v[154:155], v[152:153]
	v_div_fmas_f64 v[144:145], v[144:145], v[146:147], v[154:155]
	v_div_fixup_f64 v[144:145], v[144:145], v[224:225], v[226:227]
	v_fmac_f64_e32 v[224:225], v[226:227], v[144:145]
	v_div_scale_f64 v[146:147], s[18:19], v[224:225], v[224:225], 1.0
	v_rcp_f64_e32 v[152:153], v[146:147]
	s_nop 0
	v_fma_f64 v[154:155], -v[146:147], v[152:153], 1.0
	v_fmac_f64_e32 v[152:153], v[152:153], v[154:155]
	v_fma_f64 v[154:155], -v[146:147], v[152:153], 1.0
	v_fmac_f64_e32 v[152:153], v[152:153], v[154:155]
	v_div_scale_f64 v[154:155], vcc, 1.0, v[224:225], 1.0
	v_mul_f64 v[226:227], v[154:155], v[152:153]
	v_fma_f64 v[146:147], -v[146:147], v[226:227], v[154:155]
	s_nop 1
	v_div_fmas_f64 v[146:147], v[146:147], v[152:153], v[226:227]
	v_div_fixup_f64 v[224:225], v[146:147], v[224:225], 1.0
	v_mul_f64 v[226:227], v[144:145], -v[224:225]
.LBB110_450:
	s_or_b64 exec, exec, s[16:17]
.LBB110_451:
	s_or_b64 exec, exec, s[0:1]
	v_cmp_ne_u32_e32 vcc, v237, v234
	s_and_saveexec_b64 s[0:1], vcc
	s_xor_b64 s[0:1], exec, s[0:1]
	s_cbranch_execz .LBB110_457
; %bb.452:
	v_cmp_eq_u32_e32 vcc, 21, v237
	s_and_saveexec_b64 s[16:17], vcc
	s_cbranch_execz .LBB110_456
; %bb.453:
	v_cmp_ne_u32_e32 vcc, 21, v234
	s_xor_b64 s[18:19], s[14:15], -1
	s_and_b64 s[22:23], s[18:19], vcc
	s_and_saveexec_b64 s[18:19], s[22:23]
	s_cbranch_execz .LBB110_455
; %bb.454:
	v_ashrrev_i32_e32 v235, 31, v234
	v_lshl_add_u64 v[144:145], v[234:235], 2, v[212:213]
	global_load_dword v146, v[144:145], off
	global_load_dword v147, v[212:213], off offset:84
	s_waitcnt vmcnt(1)
	global_store_dword v[212:213], v146, off offset:84
	s_waitcnt vmcnt(1)
	global_store_dword v[144:145], v147, off
.LBB110_455:
	s_or_b64 exec, exec, s[18:19]
	v_mov_b32_e32 v237, v234
	v_mov_b32_e32 v218, v234
.LBB110_456:
	s_or_b64 exec, exec, s[16:17]
.LBB110_457:
	s_andn2_saveexec_b64 s[0:1], s[0:1]
	s_cbranch_execz .LBB110_459
; %bb.458:
	v_mov_b32_e32 v237, 21
	ds_write2_b64 v236, v[128:129], v[130:131] offset0:44 offset1:45
	ds_write2_b64 v236, v[124:125], v[126:127] offset0:46 offset1:47
	;; [unrolled: 1-line block ×34, first 2 shown]
.LBB110_459:
	s_or_b64 exec, exec, s[0:1]
	v_cmp_lt_i32_e32 vcc, 21, v237
	s_waitcnt lgkmcnt(0)
	s_barrier
	s_and_saveexec_b64 s[0:1], vcc
	s_cbranch_execz .LBB110_461
; %bb.460:
	ds_read2_b64 v[240:243], v236 offset0:44 offset1:45
	v_mul_f64 v[144:145], v[226:227], v[134:135]
	v_mul_f64 v[134:135], v[224:225], v[134:135]
	v_fma_f64 v[234:235], v[224:225], v[132:133], -v[144:145]
	v_fmac_f64_e32 v[134:135], v[226:227], v[132:133]
	ds_read2_b64 v[224:227], v236 offset0:46 offset1:47
	s_waitcnt lgkmcnt(1)
	v_mul_f64 v[132:133], v[242:243], v[134:135]
	v_mul_f64 v[144:145], v[240:241], v[134:135]
	v_fma_f64 v[132:133], v[240:241], v[234:235], -v[132:133]
	v_fmac_f64_e32 v[144:145], v[242:243], v[234:235]
	ds_read2_b64 v[240:243], v236 offset0:48 offset1:49
	v_add_f64 v[128:129], v[128:129], -v[132:133]
	v_add_f64 v[130:131], v[130:131], -v[144:145]
	s_waitcnt lgkmcnt(1)
	v_mul_f64 v[132:133], v[226:227], v[134:135]
	v_mul_f64 v[144:145], v[224:225], v[134:135]
	v_fma_f64 v[132:133], v[224:225], v[234:235], -v[132:133]
	v_fmac_f64_e32 v[144:145], v[226:227], v[234:235]
	ds_read2_b64 v[224:227], v236 offset0:50 offset1:51
	v_add_f64 v[124:125], v[124:125], -v[132:133]
	v_add_f64 v[126:127], v[126:127], -v[144:145]
	;; [unrolled: 8-line block ×32, first 2 shown]
	s_waitcnt lgkmcnt(1)
	v_mul_f64 v[132:133], v[242:243], v[134:135]
	v_mul_f64 v[144:145], v[240:241], v[134:135]
	v_fma_f64 v[132:133], v[240:241], v[234:235], -v[132:133]
	v_fmac_f64_e32 v[144:145], v[242:243], v[234:235]
	v_add_f64 v[0:1], v[0:1], -v[132:133]
	v_add_f64 v[2:3], v[2:3], -v[144:145]
	s_waitcnt lgkmcnt(0)
	v_mul_f64 v[132:133], v[226:227], v[134:135]
	v_mul_f64 v[144:145], v[224:225], v[134:135]
	v_fma_f64 v[132:133], v[224:225], v[234:235], -v[132:133]
	v_fmac_f64_e32 v[144:145], v[226:227], v[234:235]
	v_add_f64 v[220:221], v[220:221], -v[132:133]
	v_add_f64 v[222:223], v[222:223], -v[144:145]
	v_mov_b64_e32 v[132:133], v[234:235]
.LBB110_461:
	s_or_b64 exec, exec, s[0:1]
	v_lshl_add_u32 v144, v237, 4, v236
	s_barrier
	ds_write2_b64 v144, v[128:129], v[130:131] offset1:1
	s_waitcnt lgkmcnt(0)
	s_barrier
	ds_read2_b64 v[224:227], v236 offset0:44 offset1:45
	s_cmp_lt_i32 s20, 24
	v_mov_b32_e32 v234, 22
	s_cbranch_scc1 .LBB110_464
; %bb.462:
	v_add_u32_e32 v235, 0x170, v236
	s_mov_b32 s16, 23
	v_mov_b32_e32 v234, 22
.LBB110_463:                            ; =>This Inner Loop Header: Depth=1
	ds_read2_b64 v[240:243], v235 offset1:1
	s_waitcnt lgkmcnt(1)
	v_xor_b32_e32 v145, 0x80000000, v225
	v_xor_b32_e32 v147, 0x80000000, v227
	v_cmp_gt_f64_e32 vcc, 0, v[226:227]
	v_cmp_gt_f64_e64 s[0:1], 0, v[224:225]
	v_mov_b32_e32 v144, v224
	v_mov_b32_e32 v146, v226
	v_cndmask_b32_e64 v145, v225, v145, s[0:1]
	v_cndmask_b32_e32 v147, v227, v147, vcc
	v_add_f64 v[144:145], v[144:145], v[146:147]
	s_waitcnt lgkmcnt(0)
	v_xor_b32_e32 v147, 0x80000000, v241
	v_xor_b32_e32 v153, 0x80000000, v243
	v_cmp_gt_f64_e32 vcc, 0, v[242:243]
	v_cmp_gt_f64_e64 s[0:1], 0, v[240:241]
	v_mov_b32_e32 v146, v240
	v_mov_b32_e32 v152, v242
	v_cndmask_b32_e64 v147, v241, v147, s[0:1]
	v_cndmask_b32_e32 v153, v243, v153, vcc
	v_add_f64 v[146:147], v[146:147], v[152:153]
	v_mov_b32_e32 v154, s16
	s_add_i32 s16, s16, 1
	v_cmp_lt_f64_e32 vcc, v[144:145], v[146:147]
	v_add_u32_e32 v235, 16, v235
	s_cmp_lg_u32 s20, s16
	v_cndmask_b32_e32 v225, v225, v241, vcc
	v_cndmask_b32_e32 v224, v224, v240, vcc
	;; [unrolled: 1-line block ×5, first 2 shown]
	s_cbranch_scc1 .LBB110_463
.LBB110_464:
	s_waitcnt lgkmcnt(0)
	v_cmp_eq_f64_e32 vcc, 0, v[224:225]
	v_cmp_eq_f64_e64 s[0:1], 0, v[226:227]
	s_and_b64 s[0:1], vcc, s[0:1]
	s_and_saveexec_b64 s[16:17], s[0:1]
	s_xor_b64 s[0:1], exec, s[16:17]
; %bb.465:
	v_cmp_ne_u32_e32 vcc, 0, v238
	s_nop 1
	v_cndmask_b32_e32 v238, 23, v238, vcc
; %bb.466:
	s_andn2_saveexec_b64 s[0:1], s[0:1]
	s_cbranch_execz .LBB110_472
; %bb.467:
	v_cmp_ngt_f64_e64 s[16:17], |v[224:225]|, |v[226:227]|
	s_and_saveexec_b64 s[18:19], s[16:17]
	s_xor_b64 s[16:17], exec, s[18:19]
	s_cbranch_execz .LBB110_469
; %bb.468:
	v_div_scale_f64 v[144:145], s[18:19], v[226:227], v[226:227], v[224:225]
	v_rcp_f64_e32 v[146:147], v[144:145]
	v_div_scale_f64 v[152:153], vcc, v[224:225], v[226:227], v[224:225]
	v_fma_f64 v[154:155], -v[144:145], v[146:147], 1.0
	v_fmac_f64_e32 v[146:147], v[146:147], v[154:155]
	v_fma_f64 v[154:155], -v[144:145], v[146:147], 1.0
	v_fmac_f64_e32 v[146:147], v[146:147], v[154:155]
	v_mul_f64 v[154:155], v[152:153], v[146:147]
	v_fma_f64 v[144:145], -v[144:145], v[154:155], v[152:153]
	v_div_fmas_f64 v[144:145], v[144:145], v[146:147], v[154:155]
	v_div_fixup_f64 v[144:145], v[144:145], v[226:227], v[224:225]
	v_fmac_f64_e32 v[226:227], v[224:225], v[144:145]
	v_div_scale_f64 v[146:147], s[18:19], v[226:227], v[226:227], 1.0
	v_rcp_f64_e32 v[152:153], v[146:147]
	s_nop 0
	v_fma_f64 v[154:155], -v[146:147], v[152:153], 1.0
	v_fmac_f64_e32 v[152:153], v[152:153], v[154:155]
	v_fma_f64 v[154:155], -v[146:147], v[152:153], 1.0
	v_fmac_f64_e32 v[152:153], v[152:153], v[154:155]
	v_div_scale_f64 v[154:155], vcc, 1.0, v[226:227], 1.0
	v_mul_f64 v[224:225], v[154:155], v[152:153]
	v_fma_f64 v[146:147], -v[146:147], v[224:225], v[154:155]
	s_nop 1
	v_div_fmas_f64 v[146:147], v[146:147], v[152:153], v[224:225]
	v_div_fixup_f64 v[226:227], v[146:147], v[226:227], 1.0
	v_mul_f64 v[224:225], v[144:145], v[226:227]
	v_xor_b32_e32 v227, 0x80000000, v227
.LBB110_469:
	s_andn2_saveexec_b64 s[16:17], s[16:17]
	s_cbranch_execz .LBB110_471
; %bb.470:
	v_div_scale_f64 v[144:145], s[18:19], v[224:225], v[224:225], v[226:227]
	v_rcp_f64_e32 v[146:147], v[144:145]
	v_div_scale_f64 v[152:153], vcc, v[226:227], v[224:225], v[226:227]
	v_fma_f64 v[154:155], -v[144:145], v[146:147], 1.0
	v_fmac_f64_e32 v[146:147], v[146:147], v[154:155]
	v_fma_f64 v[154:155], -v[144:145], v[146:147], 1.0
	v_fmac_f64_e32 v[146:147], v[146:147], v[154:155]
	v_mul_f64 v[154:155], v[152:153], v[146:147]
	v_fma_f64 v[144:145], -v[144:145], v[154:155], v[152:153]
	v_div_fmas_f64 v[144:145], v[144:145], v[146:147], v[154:155]
	v_div_fixup_f64 v[144:145], v[144:145], v[224:225], v[226:227]
	v_fmac_f64_e32 v[224:225], v[226:227], v[144:145]
	v_div_scale_f64 v[146:147], s[18:19], v[224:225], v[224:225], 1.0
	v_rcp_f64_e32 v[152:153], v[146:147]
	s_nop 0
	v_fma_f64 v[154:155], -v[146:147], v[152:153], 1.0
	v_fmac_f64_e32 v[152:153], v[152:153], v[154:155]
	v_fma_f64 v[154:155], -v[146:147], v[152:153], 1.0
	v_fmac_f64_e32 v[152:153], v[152:153], v[154:155]
	v_div_scale_f64 v[154:155], vcc, 1.0, v[224:225], 1.0
	v_mul_f64 v[226:227], v[154:155], v[152:153]
	v_fma_f64 v[146:147], -v[146:147], v[226:227], v[154:155]
	s_nop 1
	v_div_fmas_f64 v[146:147], v[146:147], v[152:153], v[226:227]
	v_div_fixup_f64 v[224:225], v[146:147], v[224:225], 1.0
	v_mul_f64 v[226:227], v[144:145], -v[224:225]
.LBB110_471:
	s_or_b64 exec, exec, s[16:17]
.LBB110_472:
	s_or_b64 exec, exec, s[0:1]
	v_cmp_ne_u32_e32 vcc, v237, v234
	s_and_saveexec_b64 s[0:1], vcc
	s_xor_b64 s[0:1], exec, s[0:1]
	s_cbranch_execz .LBB110_478
; %bb.473:
	v_cmp_eq_u32_e32 vcc, 22, v237
	s_and_saveexec_b64 s[16:17], vcc
	s_cbranch_execz .LBB110_477
; %bb.474:
	v_cmp_ne_u32_e32 vcc, 22, v234
	s_xor_b64 s[18:19], s[14:15], -1
	s_and_b64 s[22:23], s[18:19], vcc
	s_and_saveexec_b64 s[18:19], s[22:23]
	s_cbranch_execz .LBB110_476
; %bb.475:
	v_ashrrev_i32_e32 v235, 31, v234
	v_lshl_add_u64 v[144:145], v[234:235], 2, v[212:213]
	global_load_dword v146, v[144:145], off
	global_load_dword v147, v[212:213], off offset:88
	s_waitcnt vmcnt(1)
	global_store_dword v[212:213], v146, off offset:88
	s_waitcnt vmcnt(1)
	global_store_dword v[144:145], v147, off
.LBB110_476:
	s_or_b64 exec, exec, s[18:19]
	v_mov_b32_e32 v237, v234
	v_mov_b32_e32 v218, v234
.LBB110_477:
	s_or_b64 exec, exec, s[16:17]
.LBB110_478:
	s_andn2_saveexec_b64 s[0:1], s[0:1]
	s_cbranch_execz .LBB110_480
; %bb.479:
	v_mov_b32_e32 v237, 22
	ds_write2_b64 v236, v[124:125], v[126:127] offset0:46 offset1:47
	ds_write2_b64 v236, v[120:121], v[122:123] offset0:48 offset1:49
	;; [unrolled: 1-line block ×33, first 2 shown]
.LBB110_480:
	s_or_b64 exec, exec, s[0:1]
	v_cmp_lt_i32_e32 vcc, 22, v237
	s_waitcnt lgkmcnt(0)
	s_barrier
	s_and_saveexec_b64 s[0:1], vcc
	s_cbranch_execz .LBB110_482
; %bb.481:
	ds_read2_b64 v[240:243], v236 offset0:46 offset1:47
	v_mul_f64 v[144:145], v[226:227], v[130:131]
	v_mul_f64 v[130:131], v[224:225], v[130:131]
	v_fma_f64 v[234:235], v[224:225], v[128:129], -v[144:145]
	v_fmac_f64_e32 v[130:131], v[226:227], v[128:129]
	ds_read2_b64 v[224:227], v236 offset0:48 offset1:49
	s_waitcnt lgkmcnt(1)
	v_mul_f64 v[128:129], v[242:243], v[130:131]
	v_mul_f64 v[144:145], v[240:241], v[130:131]
	v_fma_f64 v[128:129], v[240:241], v[234:235], -v[128:129]
	v_fmac_f64_e32 v[144:145], v[242:243], v[234:235]
	ds_read2_b64 v[240:243], v236 offset0:50 offset1:51
	v_add_f64 v[124:125], v[124:125], -v[128:129]
	v_add_f64 v[126:127], v[126:127], -v[144:145]
	s_waitcnt lgkmcnt(1)
	v_mul_f64 v[128:129], v[226:227], v[130:131]
	v_mul_f64 v[144:145], v[224:225], v[130:131]
	v_fma_f64 v[128:129], v[224:225], v[234:235], -v[128:129]
	v_fmac_f64_e32 v[144:145], v[226:227], v[234:235]
	ds_read2_b64 v[224:227], v236 offset0:52 offset1:53
	v_add_f64 v[120:121], v[120:121], -v[128:129]
	v_add_f64 v[122:123], v[122:123], -v[144:145]
	;; [unrolled: 8-line block ×31, first 2 shown]
	s_waitcnt lgkmcnt(1)
	v_mul_f64 v[128:129], v[226:227], v[130:131]
	v_mul_f64 v[144:145], v[224:225], v[130:131]
	v_fma_f64 v[128:129], v[224:225], v[234:235], -v[128:129]
	v_fmac_f64_e32 v[144:145], v[226:227], v[234:235]
	v_add_f64 v[0:1], v[0:1], -v[128:129]
	v_add_f64 v[2:3], v[2:3], -v[144:145]
	s_waitcnt lgkmcnt(0)
	v_mul_f64 v[128:129], v[242:243], v[130:131]
	v_mul_f64 v[144:145], v[240:241], v[130:131]
	v_fma_f64 v[128:129], v[240:241], v[234:235], -v[128:129]
	v_fmac_f64_e32 v[144:145], v[242:243], v[234:235]
	v_add_f64 v[220:221], v[220:221], -v[128:129]
	v_add_f64 v[222:223], v[222:223], -v[144:145]
	v_mov_b64_e32 v[128:129], v[234:235]
.LBB110_482:
	s_or_b64 exec, exec, s[0:1]
	v_lshl_add_u32 v144, v237, 4, v236
	s_barrier
	ds_write2_b64 v144, v[124:125], v[126:127] offset1:1
	s_waitcnt lgkmcnt(0)
	s_barrier
	ds_read2_b64 v[224:227], v236 offset0:46 offset1:47
	s_cmp_lt_i32 s20, 25
	v_mov_b32_e32 v234, 23
	s_cbranch_scc1 .LBB110_485
; %bb.483:
	v_add_u32_e32 v235, 0x180, v236
	s_mov_b32 s16, 24
	v_mov_b32_e32 v234, 23
.LBB110_484:                            ; =>This Inner Loop Header: Depth=1
	ds_read2_b64 v[240:243], v235 offset1:1
	s_waitcnt lgkmcnt(1)
	v_xor_b32_e32 v145, 0x80000000, v225
	v_xor_b32_e32 v147, 0x80000000, v227
	v_cmp_gt_f64_e32 vcc, 0, v[226:227]
	v_cmp_gt_f64_e64 s[0:1], 0, v[224:225]
	v_mov_b32_e32 v144, v224
	v_mov_b32_e32 v146, v226
	v_cndmask_b32_e64 v145, v225, v145, s[0:1]
	v_cndmask_b32_e32 v147, v227, v147, vcc
	v_add_f64 v[144:145], v[144:145], v[146:147]
	s_waitcnt lgkmcnt(0)
	v_xor_b32_e32 v147, 0x80000000, v241
	v_xor_b32_e32 v153, 0x80000000, v243
	v_cmp_gt_f64_e32 vcc, 0, v[242:243]
	v_cmp_gt_f64_e64 s[0:1], 0, v[240:241]
	v_mov_b32_e32 v146, v240
	v_mov_b32_e32 v152, v242
	v_cndmask_b32_e64 v147, v241, v147, s[0:1]
	v_cndmask_b32_e32 v153, v243, v153, vcc
	v_add_f64 v[146:147], v[146:147], v[152:153]
	v_mov_b32_e32 v154, s16
	s_add_i32 s16, s16, 1
	v_cmp_lt_f64_e32 vcc, v[144:145], v[146:147]
	v_add_u32_e32 v235, 16, v235
	s_cmp_lg_u32 s20, s16
	v_cndmask_b32_e32 v225, v225, v241, vcc
	v_cndmask_b32_e32 v224, v224, v240, vcc
	v_cndmask_b32_e32 v227, v227, v243, vcc
	v_cndmask_b32_e32 v226, v226, v242, vcc
	v_cndmask_b32_e32 v234, v234, v154, vcc
	s_cbranch_scc1 .LBB110_484
.LBB110_485:
	s_waitcnt lgkmcnt(0)
	v_cmp_eq_f64_e32 vcc, 0, v[224:225]
	v_cmp_eq_f64_e64 s[0:1], 0, v[226:227]
	s_and_b64 s[0:1], vcc, s[0:1]
	s_and_saveexec_b64 s[16:17], s[0:1]
	s_xor_b64 s[0:1], exec, s[16:17]
; %bb.486:
	v_cmp_ne_u32_e32 vcc, 0, v238
	s_nop 1
	v_cndmask_b32_e32 v238, 24, v238, vcc
; %bb.487:
	s_andn2_saveexec_b64 s[0:1], s[0:1]
	s_cbranch_execz .LBB110_493
; %bb.488:
	v_cmp_ngt_f64_e64 s[16:17], |v[224:225]|, |v[226:227]|
	s_and_saveexec_b64 s[18:19], s[16:17]
	s_xor_b64 s[16:17], exec, s[18:19]
	s_cbranch_execz .LBB110_490
; %bb.489:
	v_div_scale_f64 v[144:145], s[18:19], v[226:227], v[226:227], v[224:225]
	v_rcp_f64_e32 v[146:147], v[144:145]
	v_div_scale_f64 v[152:153], vcc, v[224:225], v[226:227], v[224:225]
	v_fma_f64 v[154:155], -v[144:145], v[146:147], 1.0
	v_fmac_f64_e32 v[146:147], v[146:147], v[154:155]
	v_fma_f64 v[154:155], -v[144:145], v[146:147], 1.0
	v_fmac_f64_e32 v[146:147], v[146:147], v[154:155]
	v_mul_f64 v[154:155], v[152:153], v[146:147]
	v_fma_f64 v[144:145], -v[144:145], v[154:155], v[152:153]
	v_div_fmas_f64 v[144:145], v[144:145], v[146:147], v[154:155]
	v_div_fixup_f64 v[144:145], v[144:145], v[226:227], v[224:225]
	v_fmac_f64_e32 v[226:227], v[224:225], v[144:145]
	v_div_scale_f64 v[146:147], s[18:19], v[226:227], v[226:227], 1.0
	v_rcp_f64_e32 v[152:153], v[146:147]
	s_nop 0
	v_fma_f64 v[154:155], -v[146:147], v[152:153], 1.0
	v_fmac_f64_e32 v[152:153], v[152:153], v[154:155]
	v_fma_f64 v[154:155], -v[146:147], v[152:153], 1.0
	v_fmac_f64_e32 v[152:153], v[152:153], v[154:155]
	v_div_scale_f64 v[154:155], vcc, 1.0, v[226:227], 1.0
	v_mul_f64 v[224:225], v[154:155], v[152:153]
	v_fma_f64 v[146:147], -v[146:147], v[224:225], v[154:155]
	s_nop 1
	v_div_fmas_f64 v[146:147], v[146:147], v[152:153], v[224:225]
	v_div_fixup_f64 v[226:227], v[146:147], v[226:227], 1.0
	v_mul_f64 v[224:225], v[144:145], v[226:227]
	v_xor_b32_e32 v227, 0x80000000, v227
.LBB110_490:
	s_andn2_saveexec_b64 s[16:17], s[16:17]
	s_cbranch_execz .LBB110_492
; %bb.491:
	v_div_scale_f64 v[144:145], s[18:19], v[224:225], v[224:225], v[226:227]
	v_rcp_f64_e32 v[146:147], v[144:145]
	v_div_scale_f64 v[152:153], vcc, v[226:227], v[224:225], v[226:227]
	v_fma_f64 v[154:155], -v[144:145], v[146:147], 1.0
	v_fmac_f64_e32 v[146:147], v[146:147], v[154:155]
	v_fma_f64 v[154:155], -v[144:145], v[146:147], 1.0
	v_fmac_f64_e32 v[146:147], v[146:147], v[154:155]
	v_mul_f64 v[154:155], v[152:153], v[146:147]
	v_fma_f64 v[144:145], -v[144:145], v[154:155], v[152:153]
	v_div_fmas_f64 v[144:145], v[144:145], v[146:147], v[154:155]
	v_div_fixup_f64 v[144:145], v[144:145], v[224:225], v[226:227]
	v_fmac_f64_e32 v[224:225], v[226:227], v[144:145]
	v_div_scale_f64 v[146:147], s[18:19], v[224:225], v[224:225], 1.0
	v_rcp_f64_e32 v[152:153], v[146:147]
	s_nop 0
	v_fma_f64 v[154:155], -v[146:147], v[152:153], 1.0
	v_fmac_f64_e32 v[152:153], v[152:153], v[154:155]
	v_fma_f64 v[154:155], -v[146:147], v[152:153], 1.0
	v_fmac_f64_e32 v[152:153], v[152:153], v[154:155]
	v_div_scale_f64 v[154:155], vcc, 1.0, v[224:225], 1.0
	v_mul_f64 v[226:227], v[154:155], v[152:153]
	v_fma_f64 v[146:147], -v[146:147], v[226:227], v[154:155]
	s_nop 1
	v_div_fmas_f64 v[146:147], v[146:147], v[152:153], v[226:227]
	v_div_fixup_f64 v[224:225], v[146:147], v[224:225], 1.0
	v_mul_f64 v[226:227], v[144:145], -v[224:225]
.LBB110_492:
	s_or_b64 exec, exec, s[16:17]
.LBB110_493:
	s_or_b64 exec, exec, s[0:1]
	v_cmp_ne_u32_e32 vcc, v237, v234
	s_and_saveexec_b64 s[0:1], vcc
	s_xor_b64 s[0:1], exec, s[0:1]
	s_cbranch_execz .LBB110_499
; %bb.494:
	v_cmp_eq_u32_e32 vcc, 23, v237
	s_and_saveexec_b64 s[16:17], vcc
	s_cbranch_execz .LBB110_498
; %bb.495:
	v_cmp_ne_u32_e32 vcc, 23, v234
	s_xor_b64 s[18:19], s[14:15], -1
	s_and_b64 s[22:23], s[18:19], vcc
	s_and_saveexec_b64 s[18:19], s[22:23]
	s_cbranch_execz .LBB110_497
; %bb.496:
	v_ashrrev_i32_e32 v235, 31, v234
	v_lshl_add_u64 v[144:145], v[234:235], 2, v[212:213]
	global_load_dword v146, v[144:145], off
	global_load_dword v147, v[212:213], off offset:92
	s_waitcnt vmcnt(1)
	global_store_dword v[212:213], v146, off offset:92
	s_waitcnt vmcnt(1)
	global_store_dword v[144:145], v147, off
.LBB110_497:
	s_or_b64 exec, exec, s[18:19]
	v_mov_b32_e32 v237, v234
	v_mov_b32_e32 v218, v234
.LBB110_498:
	s_or_b64 exec, exec, s[16:17]
.LBB110_499:
	s_andn2_saveexec_b64 s[0:1], s[0:1]
	s_cbranch_execz .LBB110_501
; %bb.500:
	v_mov_b32_e32 v237, 23
	ds_write2_b64 v236, v[120:121], v[122:123] offset0:48 offset1:49
	ds_write2_b64 v236, v[116:117], v[118:119] offset0:50 offset1:51
	ds_write2_b64 v236, v[112:113], v[114:115] offset0:52 offset1:53
	ds_write2_b64 v236, v[108:109], v[110:111] offset0:54 offset1:55
	ds_write2_b64 v236, v[104:105], v[106:107] offset0:56 offset1:57
	ds_write2_b64 v236, v[100:101], v[102:103] offset0:58 offset1:59
	ds_write2_b64 v236, v[96:97], v[98:99] offset0:60 offset1:61
	ds_write2_b64 v236, v[92:93], v[94:95] offset0:62 offset1:63
	ds_write2_b64 v236, v[88:89], v[90:91] offset0:64 offset1:65
	ds_write2_b64 v236, v[84:85], v[86:87] offset0:66 offset1:67
	ds_write2_b64 v236, v[80:81], v[82:83] offset0:68 offset1:69
	ds_write2_b64 v236, v[76:77], v[78:79] offset0:70 offset1:71
	ds_write2_b64 v236, v[72:73], v[74:75] offset0:72 offset1:73
	ds_write2_b64 v236, v[68:69], v[70:71] offset0:74 offset1:75
	ds_write2_b64 v236, v[64:65], v[66:67] offset0:76 offset1:77
	ds_write2_b64 v236, v[60:61], v[62:63] offset0:78 offset1:79
	ds_write2_b64 v236, v[56:57], v[58:59] offset0:80 offset1:81
	ds_write2_b64 v236, v[52:53], v[54:55] offset0:82 offset1:83
	ds_write2_b64 v236, v[48:49], v[50:51] offset0:84 offset1:85
	ds_write2_b64 v236, v[44:45], v[46:47] offset0:86 offset1:87
	ds_write2_b64 v236, v[40:41], v[42:43] offset0:88 offset1:89
	ds_write2_b64 v236, v[36:37], v[38:39] offset0:90 offset1:91
	ds_write2_b64 v236, v[32:33], v[34:35] offset0:92 offset1:93
	ds_write2_b64 v236, v[28:29], v[30:31] offset0:94 offset1:95
	ds_write2_b64 v236, v[24:25], v[26:27] offset0:96 offset1:97
	ds_write2_b64 v236, v[20:21], v[22:23] offset0:98 offset1:99
	ds_write2_b64 v236, v[16:17], v[18:19] offset0:100 offset1:101
	ds_write2_b64 v236, v[12:13], v[14:15] offset0:102 offset1:103
	ds_write2_b64 v236, v[8:9], v[10:11] offset0:104 offset1:105
	ds_write2_b64 v236, v[4:5], v[6:7] offset0:106 offset1:107
	ds_write2_b64 v236, v[0:1], v[2:3] offset0:108 offset1:109
	ds_write2_b64 v236, v[220:221], v[222:223] offset0:110 offset1:111
.LBB110_501:
	s_or_b64 exec, exec, s[0:1]
	v_cmp_lt_i32_e32 vcc, 23, v237
	s_waitcnt lgkmcnt(0)
	s_barrier
	s_and_saveexec_b64 s[0:1], vcc
	s_cbranch_execz .LBB110_503
; %bb.502:
	ds_read2_b64 v[240:243], v236 offset0:48 offset1:49
	v_mul_f64 v[144:145], v[226:227], v[126:127]
	v_mul_f64 v[126:127], v[224:225], v[126:127]
	v_fma_f64 v[234:235], v[224:225], v[124:125], -v[144:145]
	v_fmac_f64_e32 v[126:127], v[226:227], v[124:125]
	ds_read2_b64 v[224:227], v236 offset0:50 offset1:51
	s_waitcnt lgkmcnt(1)
	v_mul_f64 v[124:125], v[242:243], v[126:127]
	v_mul_f64 v[144:145], v[240:241], v[126:127]
	v_fma_f64 v[124:125], v[240:241], v[234:235], -v[124:125]
	v_fmac_f64_e32 v[144:145], v[242:243], v[234:235]
	ds_read2_b64 v[240:243], v236 offset0:52 offset1:53
	v_add_f64 v[120:121], v[120:121], -v[124:125]
	v_add_f64 v[122:123], v[122:123], -v[144:145]
	s_waitcnt lgkmcnt(1)
	v_mul_f64 v[124:125], v[226:227], v[126:127]
	v_mul_f64 v[144:145], v[224:225], v[126:127]
	v_fma_f64 v[124:125], v[224:225], v[234:235], -v[124:125]
	v_fmac_f64_e32 v[144:145], v[226:227], v[234:235]
	ds_read2_b64 v[224:227], v236 offset0:54 offset1:55
	v_add_f64 v[116:117], v[116:117], -v[124:125]
	v_add_f64 v[118:119], v[118:119], -v[144:145]
	;; [unrolled: 8-line block ×30, first 2 shown]
	s_waitcnt lgkmcnt(1)
	v_mul_f64 v[124:125], v[242:243], v[126:127]
	v_mul_f64 v[144:145], v[240:241], v[126:127]
	v_fma_f64 v[124:125], v[240:241], v[234:235], -v[124:125]
	v_fmac_f64_e32 v[144:145], v[242:243], v[234:235]
	v_add_f64 v[0:1], v[0:1], -v[124:125]
	v_add_f64 v[2:3], v[2:3], -v[144:145]
	s_waitcnt lgkmcnt(0)
	v_mul_f64 v[124:125], v[226:227], v[126:127]
	v_mul_f64 v[144:145], v[224:225], v[126:127]
	v_fma_f64 v[124:125], v[224:225], v[234:235], -v[124:125]
	v_fmac_f64_e32 v[144:145], v[226:227], v[234:235]
	v_add_f64 v[220:221], v[220:221], -v[124:125]
	v_add_f64 v[222:223], v[222:223], -v[144:145]
	v_mov_b64_e32 v[124:125], v[234:235]
.LBB110_503:
	s_or_b64 exec, exec, s[0:1]
	v_lshl_add_u32 v144, v237, 4, v236
	s_barrier
	ds_write2_b64 v144, v[120:121], v[122:123] offset1:1
	s_waitcnt lgkmcnt(0)
	s_barrier
	ds_read2_b64 v[224:227], v236 offset0:48 offset1:49
	s_cmp_lt_i32 s20, 26
	v_mov_b32_e32 v234, 24
	s_cbranch_scc1 .LBB110_506
; %bb.504:
	v_add_u32_e32 v235, 0x190, v236
	s_mov_b32 s16, 25
	v_mov_b32_e32 v234, 24
.LBB110_505:                            ; =>This Inner Loop Header: Depth=1
	ds_read2_b64 v[240:243], v235 offset1:1
	s_waitcnt lgkmcnt(1)
	v_xor_b32_e32 v145, 0x80000000, v225
	v_xor_b32_e32 v147, 0x80000000, v227
	v_cmp_gt_f64_e32 vcc, 0, v[226:227]
	v_cmp_gt_f64_e64 s[0:1], 0, v[224:225]
	v_mov_b32_e32 v144, v224
	v_mov_b32_e32 v146, v226
	v_cndmask_b32_e64 v145, v225, v145, s[0:1]
	v_cndmask_b32_e32 v147, v227, v147, vcc
	v_add_f64 v[144:145], v[144:145], v[146:147]
	s_waitcnt lgkmcnt(0)
	v_xor_b32_e32 v147, 0x80000000, v241
	v_xor_b32_e32 v153, 0x80000000, v243
	v_cmp_gt_f64_e32 vcc, 0, v[242:243]
	v_cmp_gt_f64_e64 s[0:1], 0, v[240:241]
	v_mov_b32_e32 v146, v240
	v_mov_b32_e32 v152, v242
	v_cndmask_b32_e64 v147, v241, v147, s[0:1]
	v_cndmask_b32_e32 v153, v243, v153, vcc
	v_add_f64 v[146:147], v[146:147], v[152:153]
	v_mov_b32_e32 v154, s16
	s_add_i32 s16, s16, 1
	v_cmp_lt_f64_e32 vcc, v[144:145], v[146:147]
	v_add_u32_e32 v235, 16, v235
	s_cmp_lg_u32 s20, s16
	v_cndmask_b32_e32 v225, v225, v241, vcc
	v_cndmask_b32_e32 v224, v224, v240, vcc
	;; [unrolled: 1-line block ×5, first 2 shown]
	s_cbranch_scc1 .LBB110_505
.LBB110_506:
	s_waitcnt lgkmcnt(0)
	v_cmp_eq_f64_e32 vcc, 0, v[224:225]
	v_cmp_eq_f64_e64 s[0:1], 0, v[226:227]
	s_and_b64 s[0:1], vcc, s[0:1]
	s_and_saveexec_b64 s[16:17], s[0:1]
	s_xor_b64 s[0:1], exec, s[16:17]
; %bb.507:
	v_cmp_ne_u32_e32 vcc, 0, v238
	s_nop 1
	v_cndmask_b32_e32 v238, 25, v238, vcc
; %bb.508:
	s_andn2_saveexec_b64 s[0:1], s[0:1]
	s_cbranch_execz .LBB110_514
; %bb.509:
	v_cmp_ngt_f64_e64 s[16:17], |v[224:225]|, |v[226:227]|
	s_and_saveexec_b64 s[18:19], s[16:17]
	s_xor_b64 s[16:17], exec, s[18:19]
	s_cbranch_execz .LBB110_511
; %bb.510:
	v_div_scale_f64 v[144:145], s[18:19], v[226:227], v[226:227], v[224:225]
	v_rcp_f64_e32 v[146:147], v[144:145]
	v_div_scale_f64 v[152:153], vcc, v[224:225], v[226:227], v[224:225]
	v_fma_f64 v[154:155], -v[144:145], v[146:147], 1.0
	v_fmac_f64_e32 v[146:147], v[146:147], v[154:155]
	v_fma_f64 v[154:155], -v[144:145], v[146:147], 1.0
	v_fmac_f64_e32 v[146:147], v[146:147], v[154:155]
	v_mul_f64 v[154:155], v[152:153], v[146:147]
	v_fma_f64 v[144:145], -v[144:145], v[154:155], v[152:153]
	v_div_fmas_f64 v[144:145], v[144:145], v[146:147], v[154:155]
	v_div_fixup_f64 v[144:145], v[144:145], v[226:227], v[224:225]
	v_fmac_f64_e32 v[226:227], v[224:225], v[144:145]
	v_div_scale_f64 v[146:147], s[18:19], v[226:227], v[226:227], 1.0
	v_rcp_f64_e32 v[152:153], v[146:147]
	s_nop 0
	v_fma_f64 v[154:155], -v[146:147], v[152:153], 1.0
	v_fmac_f64_e32 v[152:153], v[152:153], v[154:155]
	v_fma_f64 v[154:155], -v[146:147], v[152:153], 1.0
	v_fmac_f64_e32 v[152:153], v[152:153], v[154:155]
	v_div_scale_f64 v[154:155], vcc, 1.0, v[226:227], 1.0
	v_mul_f64 v[224:225], v[154:155], v[152:153]
	v_fma_f64 v[146:147], -v[146:147], v[224:225], v[154:155]
	s_nop 1
	v_div_fmas_f64 v[146:147], v[146:147], v[152:153], v[224:225]
	v_div_fixup_f64 v[226:227], v[146:147], v[226:227], 1.0
	v_mul_f64 v[224:225], v[144:145], v[226:227]
	v_xor_b32_e32 v227, 0x80000000, v227
.LBB110_511:
	s_andn2_saveexec_b64 s[16:17], s[16:17]
	s_cbranch_execz .LBB110_513
; %bb.512:
	v_div_scale_f64 v[144:145], s[18:19], v[224:225], v[224:225], v[226:227]
	v_rcp_f64_e32 v[146:147], v[144:145]
	v_div_scale_f64 v[152:153], vcc, v[226:227], v[224:225], v[226:227]
	v_fma_f64 v[154:155], -v[144:145], v[146:147], 1.0
	v_fmac_f64_e32 v[146:147], v[146:147], v[154:155]
	v_fma_f64 v[154:155], -v[144:145], v[146:147], 1.0
	v_fmac_f64_e32 v[146:147], v[146:147], v[154:155]
	v_mul_f64 v[154:155], v[152:153], v[146:147]
	v_fma_f64 v[144:145], -v[144:145], v[154:155], v[152:153]
	v_div_fmas_f64 v[144:145], v[144:145], v[146:147], v[154:155]
	v_div_fixup_f64 v[144:145], v[144:145], v[224:225], v[226:227]
	v_fmac_f64_e32 v[224:225], v[226:227], v[144:145]
	v_div_scale_f64 v[146:147], s[18:19], v[224:225], v[224:225], 1.0
	v_rcp_f64_e32 v[152:153], v[146:147]
	s_nop 0
	v_fma_f64 v[154:155], -v[146:147], v[152:153], 1.0
	v_fmac_f64_e32 v[152:153], v[152:153], v[154:155]
	v_fma_f64 v[154:155], -v[146:147], v[152:153], 1.0
	v_fmac_f64_e32 v[152:153], v[152:153], v[154:155]
	v_div_scale_f64 v[154:155], vcc, 1.0, v[224:225], 1.0
	v_mul_f64 v[226:227], v[154:155], v[152:153]
	v_fma_f64 v[146:147], -v[146:147], v[226:227], v[154:155]
	s_nop 1
	v_div_fmas_f64 v[146:147], v[146:147], v[152:153], v[226:227]
	v_div_fixup_f64 v[224:225], v[146:147], v[224:225], 1.0
	v_mul_f64 v[226:227], v[144:145], -v[224:225]
.LBB110_513:
	s_or_b64 exec, exec, s[16:17]
.LBB110_514:
	s_or_b64 exec, exec, s[0:1]
	v_cmp_ne_u32_e32 vcc, v237, v234
	s_and_saveexec_b64 s[0:1], vcc
	s_xor_b64 s[0:1], exec, s[0:1]
	s_cbranch_execz .LBB110_520
; %bb.515:
	v_cmp_eq_u32_e32 vcc, 24, v237
	s_and_saveexec_b64 s[16:17], vcc
	s_cbranch_execz .LBB110_519
; %bb.516:
	v_cmp_ne_u32_e32 vcc, 24, v234
	s_xor_b64 s[18:19], s[14:15], -1
	s_and_b64 s[22:23], s[18:19], vcc
	s_and_saveexec_b64 s[18:19], s[22:23]
	s_cbranch_execz .LBB110_518
; %bb.517:
	v_ashrrev_i32_e32 v235, 31, v234
	v_lshl_add_u64 v[144:145], v[234:235], 2, v[212:213]
	global_load_dword v146, v[144:145], off
	global_load_dword v147, v[212:213], off offset:96
	s_waitcnt vmcnt(1)
	global_store_dword v[212:213], v146, off offset:96
	s_waitcnt vmcnt(1)
	global_store_dword v[144:145], v147, off
.LBB110_518:
	s_or_b64 exec, exec, s[18:19]
	v_mov_b32_e32 v237, v234
	v_mov_b32_e32 v218, v234
.LBB110_519:
	s_or_b64 exec, exec, s[16:17]
.LBB110_520:
	s_andn2_saveexec_b64 s[0:1], s[0:1]
	s_cbranch_execz .LBB110_522
; %bb.521:
	v_mov_b32_e32 v237, 24
	ds_write2_b64 v236, v[116:117], v[118:119] offset0:50 offset1:51
	ds_write2_b64 v236, v[112:113], v[114:115] offset0:52 offset1:53
	;; [unrolled: 1-line block ×31, first 2 shown]
.LBB110_522:
	s_or_b64 exec, exec, s[0:1]
	v_cmp_lt_i32_e32 vcc, 24, v237
	s_waitcnt lgkmcnt(0)
	s_barrier
	s_and_saveexec_b64 s[0:1], vcc
	s_cbranch_execz .LBB110_524
; %bb.523:
	ds_read2_b64 v[240:243], v236 offset0:50 offset1:51
	v_mul_f64 v[144:145], v[226:227], v[122:123]
	v_mul_f64 v[122:123], v[224:225], v[122:123]
	v_fma_f64 v[234:235], v[224:225], v[120:121], -v[144:145]
	v_fmac_f64_e32 v[122:123], v[226:227], v[120:121]
	ds_read2_b64 v[224:227], v236 offset0:52 offset1:53
	s_waitcnt lgkmcnt(1)
	v_mul_f64 v[120:121], v[242:243], v[122:123]
	v_mul_f64 v[144:145], v[240:241], v[122:123]
	v_fma_f64 v[120:121], v[240:241], v[234:235], -v[120:121]
	v_fmac_f64_e32 v[144:145], v[242:243], v[234:235]
	ds_read2_b64 v[240:243], v236 offset0:54 offset1:55
	v_add_f64 v[116:117], v[116:117], -v[120:121]
	v_add_f64 v[118:119], v[118:119], -v[144:145]
	s_waitcnt lgkmcnt(1)
	v_mul_f64 v[120:121], v[226:227], v[122:123]
	v_mul_f64 v[144:145], v[224:225], v[122:123]
	v_fma_f64 v[120:121], v[224:225], v[234:235], -v[120:121]
	v_fmac_f64_e32 v[144:145], v[226:227], v[234:235]
	ds_read2_b64 v[224:227], v236 offset0:56 offset1:57
	v_add_f64 v[112:113], v[112:113], -v[120:121]
	v_add_f64 v[114:115], v[114:115], -v[144:145]
	;; [unrolled: 8-line block ×29, first 2 shown]
	s_waitcnt lgkmcnt(1)
	v_mul_f64 v[120:121], v[226:227], v[122:123]
	v_mul_f64 v[144:145], v[224:225], v[122:123]
	v_fma_f64 v[120:121], v[224:225], v[234:235], -v[120:121]
	v_fmac_f64_e32 v[144:145], v[226:227], v[234:235]
	v_add_f64 v[0:1], v[0:1], -v[120:121]
	v_add_f64 v[2:3], v[2:3], -v[144:145]
	s_waitcnt lgkmcnt(0)
	v_mul_f64 v[120:121], v[242:243], v[122:123]
	v_mul_f64 v[144:145], v[240:241], v[122:123]
	v_fma_f64 v[120:121], v[240:241], v[234:235], -v[120:121]
	v_fmac_f64_e32 v[144:145], v[242:243], v[234:235]
	v_add_f64 v[220:221], v[220:221], -v[120:121]
	v_add_f64 v[222:223], v[222:223], -v[144:145]
	v_mov_b64_e32 v[120:121], v[234:235]
.LBB110_524:
	s_or_b64 exec, exec, s[0:1]
	v_lshl_add_u32 v144, v237, 4, v236
	s_barrier
	ds_write2_b64 v144, v[116:117], v[118:119] offset1:1
	s_waitcnt lgkmcnt(0)
	s_barrier
	ds_read2_b64 v[224:227], v236 offset0:50 offset1:51
	s_cmp_lt_i32 s20, 27
	v_mov_b32_e32 v234, 25
	s_cbranch_scc1 .LBB110_527
; %bb.525:
	v_add_u32_e32 v235, 0x1a0, v236
	s_mov_b32 s16, 26
	v_mov_b32_e32 v234, 25
.LBB110_526:                            ; =>This Inner Loop Header: Depth=1
	ds_read2_b64 v[240:243], v235 offset1:1
	s_waitcnt lgkmcnt(1)
	v_xor_b32_e32 v145, 0x80000000, v225
	v_xor_b32_e32 v147, 0x80000000, v227
	v_cmp_gt_f64_e32 vcc, 0, v[226:227]
	v_cmp_gt_f64_e64 s[0:1], 0, v[224:225]
	v_mov_b32_e32 v144, v224
	v_mov_b32_e32 v146, v226
	v_cndmask_b32_e64 v145, v225, v145, s[0:1]
	v_cndmask_b32_e32 v147, v227, v147, vcc
	v_add_f64 v[144:145], v[144:145], v[146:147]
	s_waitcnt lgkmcnt(0)
	v_xor_b32_e32 v147, 0x80000000, v241
	v_xor_b32_e32 v153, 0x80000000, v243
	v_cmp_gt_f64_e32 vcc, 0, v[242:243]
	v_cmp_gt_f64_e64 s[0:1], 0, v[240:241]
	v_mov_b32_e32 v146, v240
	v_mov_b32_e32 v152, v242
	v_cndmask_b32_e64 v147, v241, v147, s[0:1]
	v_cndmask_b32_e32 v153, v243, v153, vcc
	v_add_f64 v[146:147], v[146:147], v[152:153]
	v_mov_b32_e32 v154, s16
	s_add_i32 s16, s16, 1
	v_cmp_lt_f64_e32 vcc, v[144:145], v[146:147]
	v_add_u32_e32 v235, 16, v235
	s_cmp_lg_u32 s20, s16
	v_cndmask_b32_e32 v225, v225, v241, vcc
	v_cndmask_b32_e32 v224, v224, v240, vcc
	;; [unrolled: 1-line block ×5, first 2 shown]
	s_cbranch_scc1 .LBB110_526
.LBB110_527:
	s_waitcnt lgkmcnt(0)
	v_cmp_eq_f64_e32 vcc, 0, v[224:225]
	v_cmp_eq_f64_e64 s[0:1], 0, v[226:227]
	s_and_b64 s[0:1], vcc, s[0:1]
	s_and_saveexec_b64 s[16:17], s[0:1]
	s_xor_b64 s[0:1], exec, s[16:17]
; %bb.528:
	v_cmp_ne_u32_e32 vcc, 0, v238
	s_nop 1
	v_cndmask_b32_e32 v238, 26, v238, vcc
; %bb.529:
	s_andn2_saveexec_b64 s[0:1], s[0:1]
	s_cbranch_execz .LBB110_535
; %bb.530:
	v_cmp_ngt_f64_e64 s[16:17], |v[224:225]|, |v[226:227]|
	s_and_saveexec_b64 s[18:19], s[16:17]
	s_xor_b64 s[16:17], exec, s[18:19]
	s_cbranch_execz .LBB110_532
; %bb.531:
	v_div_scale_f64 v[144:145], s[18:19], v[226:227], v[226:227], v[224:225]
	v_rcp_f64_e32 v[146:147], v[144:145]
	v_div_scale_f64 v[152:153], vcc, v[224:225], v[226:227], v[224:225]
	v_fma_f64 v[154:155], -v[144:145], v[146:147], 1.0
	v_fmac_f64_e32 v[146:147], v[146:147], v[154:155]
	v_fma_f64 v[154:155], -v[144:145], v[146:147], 1.0
	v_fmac_f64_e32 v[146:147], v[146:147], v[154:155]
	v_mul_f64 v[154:155], v[152:153], v[146:147]
	v_fma_f64 v[144:145], -v[144:145], v[154:155], v[152:153]
	v_div_fmas_f64 v[144:145], v[144:145], v[146:147], v[154:155]
	v_div_fixup_f64 v[144:145], v[144:145], v[226:227], v[224:225]
	v_fmac_f64_e32 v[226:227], v[224:225], v[144:145]
	v_div_scale_f64 v[146:147], s[18:19], v[226:227], v[226:227], 1.0
	v_rcp_f64_e32 v[152:153], v[146:147]
	s_nop 0
	v_fma_f64 v[154:155], -v[146:147], v[152:153], 1.0
	v_fmac_f64_e32 v[152:153], v[152:153], v[154:155]
	v_fma_f64 v[154:155], -v[146:147], v[152:153], 1.0
	v_fmac_f64_e32 v[152:153], v[152:153], v[154:155]
	v_div_scale_f64 v[154:155], vcc, 1.0, v[226:227], 1.0
	v_mul_f64 v[224:225], v[154:155], v[152:153]
	v_fma_f64 v[146:147], -v[146:147], v[224:225], v[154:155]
	s_nop 1
	v_div_fmas_f64 v[146:147], v[146:147], v[152:153], v[224:225]
	v_div_fixup_f64 v[226:227], v[146:147], v[226:227], 1.0
	v_mul_f64 v[224:225], v[144:145], v[226:227]
	v_xor_b32_e32 v227, 0x80000000, v227
.LBB110_532:
	s_andn2_saveexec_b64 s[16:17], s[16:17]
	s_cbranch_execz .LBB110_534
; %bb.533:
	v_div_scale_f64 v[144:145], s[18:19], v[224:225], v[224:225], v[226:227]
	v_rcp_f64_e32 v[146:147], v[144:145]
	v_div_scale_f64 v[152:153], vcc, v[226:227], v[224:225], v[226:227]
	v_fma_f64 v[154:155], -v[144:145], v[146:147], 1.0
	v_fmac_f64_e32 v[146:147], v[146:147], v[154:155]
	v_fma_f64 v[154:155], -v[144:145], v[146:147], 1.0
	v_fmac_f64_e32 v[146:147], v[146:147], v[154:155]
	v_mul_f64 v[154:155], v[152:153], v[146:147]
	v_fma_f64 v[144:145], -v[144:145], v[154:155], v[152:153]
	v_div_fmas_f64 v[144:145], v[144:145], v[146:147], v[154:155]
	v_div_fixup_f64 v[144:145], v[144:145], v[224:225], v[226:227]
	v_fmac_f64_e32 v[224:225], v[226:227], v[144:145]
	v_div_scale_f64 v[146:147], s[18:19], v[224:225], v[224:225], 1.0
	v_rcp_f64_e32 v[152:153], v[146:147]
	s_nop 0
	v_fma_f64 v[154:155], -v[146:147], v[152:153], 1.0
	v_fmac_f64_e32 v[152:153], v[152:153], v[154:155]
	v_fma_f64 v[154:155], -v[146:147], v[152:153], 1.0
	v_fmac_f64_e32 v[152:153], v[152:153], v[154:155]
	v_div_scale_f64 v[154:155], vcc, 1.0, v[224:225], 1.0
	v_mul_f64 v[226:227], v[154:155], v[152:153]
	v_fma_f64 v[146:147], -v[146:147], v[226:227], v[154:155]
	s_nop 1
	v_div_fmas_f64 v[146:147], v[146:147], v[152:153], v[226:227]
	v_div_fixup_f64 v[224:225], v[146:147], v[224:225], 1.0
	v_mul_f64 v[226:227], v[144:145], -v[224:225]
.LBB110_534:
	s_or_b64 exec, exec, s[16:17]
.LBB110_535:
	s_or_b64 exec, exec, s[0:1]
	v_cmp_ne_u32_e32 vcc, v237, v234
	s_and_saveexec_b64 s[0:1], vcc
	s_xor_b64 s[0:1], exec, s[0:1]
	s_cbranch_execz .LBB110_541
; %bb.536:
	v_cmp_eq_u32_e32 vcc, 25, v237
	s_and_saveexec_b64 s[16:17], vcc
	s_cbranch_execz .LBB110_540
; %bb.537:
	v_cmp_ne_u32_e32 vcc, 25, v234
	s_xor_b64 s[18:19], s[14:15], -1
	s_and_b64 s[22:23], s[18:19], vcc
	s_and_saveexec_b64 s[18:19], s[22:23]
	s_cbranch_execz .LBB110_539
; %bb.538:
	v_ashrrev_i32_e32 v235, 31, v234
	v_lshl_add_u64 v[144:145], v[234:235], 2, v[212:213]
	global_load_dword v146, v[144:145], off
	global_load_dword v147, v[212:213], off offset:100
	s_waitcnt vmcnt(1)
	global_store_dword v[212:213], v146, off offset:100
	s_waitcnt vmcnt(1)
	global_store_dword v[144:145], v147, off
.LBB110_539:
	s_or_b64 exec, exec, s[18:19]
	v_mov_b32_e32 v237, v234
	v_mov_b32_e32 v218, v234
.LBB110_540:
	s_or_b64 exec, exec, s[16:17]
.LBB110_541:
	s_andn2_saveexec_b64 s[0:1], s[0:1]
	s_cbranch_execz .LBB110_543
; %bb.542:
	v_mov_b32_e32 v237, 25
	ds_write2_b64 v236, v[112:113], v[114:115] offset0:52 offset1:53
	ds_write2_b64 v236, v[108:109], v[110:111] offset0:54 offset1:55
	;; [unrolled: 1-line block ×30, first 2 shown]
.LBB110_543:
	s_or_b64 exec, exec, s[0:1]
	v_cmp_lt_i32_e32 vcc, 25, v237
	s_waitcnt lgkmcnt(0)
	s_barrier
	s_and_saveexec_b64 s[0:1], vcc
	s_cbranch_execz .LBB110_545
; %bb.544:
	ds_read2_b64 v[240:243], v236 offset0:52 offset1:53
	v_mul_f64 v[144:145], v[226:227], v[118:119]
	v_mul_f64 v[118:119], v[224:225], v[118:119]
	v_fma_f64 v[234:235], v[224:225], v[116:117], -v[144:145]
	v_fmac_f64_e32 v[118:119], v[226:227], v[116:117]
	ds_read2_b64 v[224:227], v236 offset0:54 offset1:55
	s_waitcnt lgkmcnt(1)
	v_mul_f64 v[116:117], v[242:243], v[118:119]
	v_mul_f64 v[144:145], v[240:241], v[118:119]
	v_fma_f64 v[116:117], v[240:241], v[234:235], -v[116:117]
	v_fmac_f64_e32 v[144:145], v[242:243], v[234:235]
	ds_read2_b64 v[240:243], v236 offset0:56 offset1:57
	v_add_f64 v[112:113], v[112:113], -v[116:117]
	v_add_f64 v[114:115], v[114:115], -v[144:145]
	s_waitcnt lgkmcnt(1)
	v_mul_f64 v[116:117], v[226:227], v[118:119]
	v_mul_f64 v[144:145], v[224:225], v[118:119]
	v_fma_f64 v[116:117], v[224:225], v[234:235], -v[116:117]
	v_fmac_f64_e32 v[144:145], v[226:227], v[234:235]
	ds_read2_b64 v[224:227], v236 offset0:58 offset1:59
	v_add_f64 v[108:109], v[108:109], -v[116:117]
	v_add_f64 v[110:111], v[110:111], -v[144:145]
	;; [unrolled: 8-line block ×28, first 2 shown]
	s_waitcnt lgkmcnt(1)
	v_mul_f64 v[116:117], v[242:243], v[118:119]
	v_mul_f64 v[144:145], v[240:241], v[118:119]
	v_fma_f64 v[116:117], v[240:241], v[234:235], -v[116:117]
	v_fmac_f64_e32 v[144:145], v[242:243], v[234:235]
	v_add_f64 v[0:1], v[0:1], -v[116:117]
	v_add_f64 v[2:3], v[2:3], -v[144:145]
	s_waitcnt lgkmcnt(0)
	v_mul_f64 v[116:117], v[226:227], v[118:119]
	v_mul_f64 v[144:145], v[224:225], v[118:119]
	v_fma_f64 v[116:117], v[224:225], v[234:235], -v[116:117]
	v_fmac_f64_e32 v[144:145], v[226:227], v[234:235]
	v_add_f64 v[220:221], v[220:221], -v[116:117]
	v_add_f64 v[222:223], v[222:223], -v[144:145]
	v_mov_b64_e32 v[116:117], v[234:235]
.LBB110_545:
	s_or_b64 exec, exec, s[0:1]
	v_lshl_add_u32 v144, v237, 4, v236
	s_barrier
	ds_write2_b64 v144, v[112:113], v[114:115] offset1:1
	s_waitcnt lgkmcnt(0)
	s_barrier
	ds_read2_b64 v[224:227], v236 offset0:52 offset1:53
	s_cmp_lt_i32 s20, 28
	v_mov_b32_e32 v234, 26
	s_cbranch_scc1 .LBB110_548
; %bb.546:
	v_add_u32_e32 v235, 0x1b0, v236
	s_mov_b32 s16, 27
	v_mov_b32_e32 v234, 26
.LBB110_547:                            ; =>This Inner Loop Header: Depth=1
	ds_read2_b64 v[240:243], v235 offset1:1
	s_waitcnt lgkmcnt(1)
	v_xor_b32_e32 v145, 0x80000000, v225
	v_xor_b32_e32 v147, 0x80000000, v227
	v_cmp_gt_f64_e32 vcc, 0, v[226:227]
	v_cmp_gt_f64_e64 s[0:1], 0, v[224:225]
	v_mov_b32_e32 v144, v224
	v_mov_b32_e32 v146, v226
	v_cndmask_b32_e64 v145, v225, v145, s[0:1]
	v_cndmask_b32_e32 v147, v227, v147, vcc
	v_add_f64 v[144:145], v[144:145], v[146:147]
	s_waitcnt lgkmcnt(0)
	v_xor_b32_e32 v147, 0x80000000, v241
	v_xor_b32_e32 v153, 0x80000000, v243
	v_cmp_gt_f64_e32 vcc, 0, v[242:243]
	v_cmp_gt_f64_e64 s[0:1], 0, v[240:241]
	v_mov_b32_e32 v146, v240
	v_mov_b32_e32 v152, v242
	v_cndmask_b32_e64 v147, v241, v147, s[0:1]
	v_cndmask_b32_e32 v153, v243, v153, vcc
	v_add_f64 v[146:147], v[146:147], v[152:153]
	v_mov_b32_e32 v154, s16
	s_add_i32 s16, s16, 1
	v_cmp_lt_f64_e32 vcc, v[144:145], v[146:147]
	v_add_u32_e32 v235, 16, v235
	s_cmp_lg_u32 s20, s16
	v_cndmask_b32_e32 v225, v225, v241, vcc
	v_cndmask_b32_e32 v224, v224, v240, vcc
	;; [unrolled: 1-line block ×5, first 2 shown]
	s_cbranch_scc1 .LBB110_547
.LBB110_548:
	s_waitcnt lgkmcnt(0)
	v_cmp_eq_f64_e32 vcc, 0, v[224:225]
	v_cmp_eq_f64_e64 s[0:1], 0, v[226:227]
	s_and_b64 s[0:1], vcc, s[0:1]
	s_and_saveexec_b64 s[16:17], s[0:1]
	s_xor_b64 s[0:1], exec, s[16:17]
; %bb.549:
	v_cmp_ne_u32_e32 vcc, 0, v238
	s_nop 1
	v_cndmask_b32_e32 v238, 27, v238, vcc
; %bb.550:
	s_andn2_saveexec_b64 s[0:1], s[0:1]
	s_cbranch_execz .LBB110_556
; %bb.551:
	v_cmp_ngt_f64_e64 s[16:17], |v[224:225]|, |v[226:227]|
	s_and_saveexec_b64 s[18:19], s[16:17]
	s_xor_b64 s[16:17], exec, s[18:19]
	s_cbranch_execz .LBB110_553
; %bb.552:
	v_div_scale_f64 v[144:145], s[18:19], v[226:227], v[226:227], v[224:225]
	v_rcp_f64_e32 v[146:147], v[144:145]
	v_div_scale_f64 v[152:153], vcc, v[224:225], v[226:227], v[224:225]
	v_fma_f64 v[154:155], -v[144:145], v[146:147], 1.0
	v_fmac_f64_e32 v[146:147], v[146:147], v[154:155]
	v_fma_f64 v[154:155], -v[144:145], v[146:147], 1.0
	v_fmac_f64_e32 v[146:147], v[146:147], v[154:155]
	v_mul_f64 v[154:155], v[152:153], v[146:147]
	v_fma_f64 v[144:145], -v[144:145], v[154:155], v[152:153]
	v_div_fmas_f64 v[144:145], v[144:145], v[146:147], v[154:155]
	v_div_fixup_f64 v[144:145], v[144:145], v[226:227], v[224:225]
	v_fmac_f64_e32 v[226:227], v[224:225], v[144:145]
	v_div_scale_f64 v[146:147], s[18:19], v[226:227], v[226:227], 1.0
	v_rcp_f64_e32 v[152:153], v[146:147]
	s_nop 0
	v_fma_f64 v[154:155], -v[146:147], v[152:153], 1.0
	v_fmac_f64_e32 v[152:153], v[152:153], v[154:155]
	v_fma_f64 v[154:155], -v[146:147], v[152:153], 1.0
	v_fmac_f64_e32 v[152:153], v[152:153], v[154:155]
	v_div_scale_f64 v[154:155], vcc, 1.0, v[226:227], 1.0
	v_mul_f64 v[224:225], v[154:155], v[152:153]
	v_fma_f64 v[146:147], -v[146:147], v[224:225], v[154:155]
	s_nop 1
	v_div_fmas_f64 v[146:147], v[146:147], v[152:153], v[224:225]
	v_div_fixup_f64 v[226:227], v[146:147], v[226:227], 1.0
	v_mul_f64 v[224:225], v[144:145], v[226:227]
	v_xor_b32_e32 v227, 0x80000000, v227
.LBB110_553:
	s_andn2_saveexec_b64 s[16:17], s[16:17]
	s_cbranch_execz .LBB110_555
; %bb.554:
	v_div_scale_f64 v[144:145], s[18:19], v[224:225], v[224:225], v[226:227]
	v_rcp_f64_e32 v[146:147], v[144:145]
	v_div_scale_f64 v[152:153], vcc, v[226:227], v[224:225], v[226:227]
	v_fma_f64 v[154:155], -v[144:145], v[146:147], 1.0
	v_fmac_f64_e32 v[146:147], v[146:147], v[154:155]
	v_fma_f64 v[154:155], -v[144:145], v[146:147], 1.0
	v_fmac_f64_e32 v[146:147], v[146:147], v[154:155]
	v_mul_f64 v[154:155], v[152:153], v[146:147]
	v_fma_f64 v[144:145], -v[144:145], v[154:155], v[152:153]
	v_div_fmas_f64 v[144:145], v[144:145], v[146:147], v[154:155]
	v_div_fixup_f64 v[144:145], v[144:145], v[224:225], v[226:227]
	v_fmac_f64_e32 v[224:225], v[226:227], v[144:145]
	v_div_scale_f64 v[146:147], s[18:19], v[224:225], v[224:225], 1.0
	v_rcp_f64_e32 v[152:153], v[146:147]
	s_nop 0
	v_fma_f64 v[154:155], -v[146:147], v[152:153], 1.0
	v_fmac_f64_e32 v[152:153], v[152:153], v[154:155]
	v_fma_f64 v[154:155], -v[146:147], v[152:153], 1.0
	v_fmac_f64_e32 v[152:153], v[152:153], v[154:155]
	v_div_scale_f64 v[154:155], vcc, 1.0, v[224:225], 1.0
	v_mul_f64 v[226:227], v[154:155], v[152:153]
	v_fma_f64 v[146:147], -v[146:147], v[226:227], v[154:155]
	s_nop 1
	v_div_fmas_f64 v[146:147], v[146:147], v[152:153], v[226:227]
	v_div_fixup_f64 v[224:225], v[146:147], v[224:225], 1.0
	v_mul_f64 v[226:227], v[144:145], -v[224:225]
.LBB110_555:
	s_or_b64 exec, exec, s[16:17]
.LBB110_556:
	s_or_b64 exec, exec, s[0:1]
	v_cmp_ne_u32_e32 vcc, v237, v234
	s_and_saveexec_b64 s[0:1], vcc
	s_xor_b64 s[0:1], exec, s[0:1]
	s_cbranch_execz .LBB110_562
; %bb.557:
	v_cmp_eq_u32_e32 vcc, 26, v237
	s_and_saveexec_b64 s[16:17], vcc
	s_cbranch_execz .LBB110_561
; %bb.558:
	v_cmp_ne_u32_e32 vcc, 26, v234
	s_xor_b64 s[18:19], s[14:15], -1
	s_and_b64 s[22:23], s[18:19], vcc
	s_and_saveexec_b64 s[18:19], s[22:23]
	s_cbranch_execz .LBB110_560
; %bb.559:
	v_ashrrev_i32_e32 v235, 31, v234
	v_lshl_add_u64 v[144:145], v[234:235], 2, v[212:213]
	global_load_dword v146, v[144:145], off
	global_load_dword v147, v[212:213], off offset:104
	s_waitcnt vmcnt(1)
	global_store_dword v[212:213], v146, off offset:104
	s_waitcnt vmcnt(1)
	global_store_dword v[144:145], v147, off
.LBB110_560:
	s_or_b64 exec, exec, s[18:19]
	v_mov_b32_e32 v237, v234
	v_mov_b32_e32 v218, v234
.LBB110_561:
	s_or_b64 exec, exec, s[16:17]
.LBB110_562:
	s_andn2_saveexec_b64 s[0:1], s[0:1]
	s_cbranch_execz .LBB110_564
; %bb.563:
	v_mov_b32_e32 v237, 26
	ds_write2_b64 v236, v[108:109], v[110:111] offset0:54 offset1:55
	ds_write2_b64 v236, v[104:105], v[106:107] offset0:56 offset1:57
	;; [unrolled: 1-line block ×29, first 2 shown]
.LBB110_564:
	s_or_b64 exec, exec, s[0:1]
	v_cmp_lt_i32_e32 vcc, 26, v237
	s_waitcnt lgkmcnt(0)
	s_barrier
	s_and_saveexec_b64 s[0:1], vcc
	s_cbranch_execz .LBB110_566
; %bb.565:
	ds_read2_b64 v[240:243], v236 offset0:54 offset1:55
	v_mul_f64 v[144:145], v[226:227], v[114:115]
	v_mul_f64 v[114:115], v[224:225], v[114:115]
	v_fma_f64 v[234:235], v[224:225], v[112:113], -v[144:145]
	v_fmac_f64_e32 v[114:115], v[226:227], v[112:113]
	ds_read2_b64 v[224:227], v236 offset0:56 offset1:57
	s_waitcnt lgkmcnt(1)
	v_mul_f64 v[112:113], v[242:243], v[114:115]
	v_mul_f64 v[144:145], v[240:241], v[114:115]
	v_fma_f64 v[112:113], v[240:241], v[234:235], -v[112:113]
	v_fmac_f64_e32 v[144:145], v[242:243], v[234:235]
	ds_read2_b64 v[240:243], v236 offset0:58 offset1:59
	v_add_f64 v[108:109], v[108:109], -v[112:113]
	v_add_f64 v[110:111], v[110:111], -v[144:145]
	s_waitcnt lgkmcnt(1)
	v_mul_f64 v[112:113], v[226:227], v[114:115]
	v_mul_f64 v[144:145], v[224:225], v[114:115]
	v_fma_f64 v[112:113], v[224:225], v[234:235], -v[112:113]
	v_fmac_f64_e32 v[144:145], v[226:227], v[234:235]
	ds_read2_b64 v[224:227], v236 offset0:60 offset1:61
	v_add_f64 v[104:105], v[104:105], -v[112:113]
	v_add_f64 v[106:107], v[106:107], -v[144:145]
	;; [unrolled: 8-line block ×27, first 2 shown]
	s_waitcnt lgkmcnt(1)
	v_mul_f64 v[112:113], v[226:227], v[114:115]
	v_mul_f64 v[144:145], v[224:225], v[114:115]
	v_fma_f64 v[112:113], v[224:225], v[234:235], -v[112:113]
	v_fmac_f64_e32 v[144:145], v[226:227], v[234:235]
	v_add_f64 v[0:1], v[0:1], -v[112:113]
	v_add_f64 v[2:3], v[2:3], -v[144:145]
	s_waitcnt lgkmcnt(0)
	v_mul_f64 v[112:113], v[242:243], v[114:115]
	v_mul_f64 v[144:145], v[240:241], v[114:115]
	v_fma_f64 v[112:113], v[240:241], v[234:235], -v[112:113]
	v_fmac_f64_e32 v[144:145], v[242:243], v[234:235]
	v_add_f64 v[220:221], v[220:221], -v[112:113]
	v_add_f64 v[222:223], v[222:223], -v[144:145]
	v_mov_b64_e32 v[112:113], v[234:235]
.LBB110_566:
	s_or_b64 exec, exec, s[0:1]
	v_lshl_add_u32 v144, v237, 4, v236
	s_barrier
	ds_write2_b64 v144, v[108:109], v[110:111] offset1:1
	s_waitcnt lgkmcnt(0)
	s_barrier
	ds_read2_b64 v[224:227], v236 offset0:54 offset1:55
	s_cmp_lt_i32 s20, 29
	v_mov_b32_e32 v234, 27
	s_cbranch_scc1 .LBB110_569
; %bb.567:
	v_add_u32_e32 v235, 0x1c0, v236
	s_mov_b32 s16, 28
	v_mov_b32_e32 v234, 27
.LBB110_568:                            ; =>This Inner Loop Header: Depth=1
	ds_read2_b64 v[240:243], v235 offset1:1
	s_waitcnt lgkmcnt(1)
	v_xor_b32_e32 v145, 0x80000000, v225
	v_xor_b32_e32 v147, 0x80000000, v227
	v_cmp_gt_f64_e32 vcc, 0, v[226:227]
	v_cmp_gt_f64_e64 s[0:1], 0, v[224:225]
	v_mov_b32_e32 v144, v224
	v_mov_b32_e32 v146, v226
	v_cndmask_b32_e64 v145, v225, v145, s[0:1]
	v_cndmask_b32_e32 v147, v227, v147, vcc
	v_add_f64 v[144:145], v[144:145], v[146:147]
	s_waitcnt lgkmcnt(0)
	v_xor_b32_e32 v147, 0x80000000, v241
	v_xor_b32_e32 v153, 0x80000000, v243
	v_cmp_gt_f64_e32 vcc, 0, v[242:243]
	v_cmp_gt_f64_e64 s[0:1], 0, v[240:241]
	v_mov_b32_e32 v146, v240
	v_mov_b32_e32 v152, v242
	v_cndmask_b32_e64 v147, v241, v147, s[0:1]
	v_cndmask_b32_e32 v153, v243, v153, vcc
	v_add_f64 v[146:147], v[146:147], v[152:153]
	v_mov_b32_e32 v154, s16
	s_add_i32 s16, s16, 1
	v_cmp_lt_f64_e32 vcc, v[144:145], v[146:147]
	v_add_u32_e32 v235, 16, v235
	s_cmp_lg_u32 s20, s16
	v_cndmask_b32_e32 v225, v225, v241, vcc
	v_cndmask_b32_e32 v224, v224, v240, vcc
	;; [unrolled: 1-line block ×5, first 2 shown]
	s_cbranch_scc1 .LBB110_568
.LBB110_569:
	s_waitcnt lgkmcnt(0)
	v_cmp_eq_f64_e32 vcc, 0, v[224:225]
	v_cmp_eq_f64_e64 s[0:1], 0, v[226:227]
	s_and_b64 s[0:1], vcc, s[0:1]
	s_and_saveexec_b64 s[16:17], s[0:1]
	s_xor_b64 s[0:1], exec, s[16:17]
; %bb.570:
	v_cmp_ne_u32_e32 vcc, 0, v238
	s_nop 1
	v_cndmask_b32_e32 v238, 28, v238, vcc
; %bb.571:
	s_andn2_saveexec_b64 s[0:1], s[0:1]
	s_cbranch_execz .LBB110_577
; %bb.572:
	v_cmp_ngt_f64_e64 s[16:17], |v[224:225]|, |v[226:227]|
	s_and_saveexec_b64 s[18:19], s[16:17]
	s_xor_b64 s[16:17], exec, s[18:19]
	s_cbranch_execz .LBB110_574
; %bb.573:
	v_div_scale_f64 v[144:145], s[18:19], v[226:227], v[226:227], v[224:225]
	v_rcp_f64_e32 v[146:147], v[144:145]
	v_div_scale_f64 v[152:153], vcc, v[224:225], v[226:227], v[224:225]
	v_fma_f64 v[154:155], -v[144:145], v[146:147], 1.0
	v_fmac_f64_e32 v[146:147], v[146:147], v[154:155]
	v_fma_f64 v[154:155], -v[144:145], v[146:147], 1.0
	v_fmac_f64_e32 v[146:147], v[146:147], v[154:155]
	v_mul_f64 v[154:155], v[152:153], v[146:147]
	v_fma_f64 v[144:145], -v[144:145], v[154:155], v[152:153]
	v_div_fmas_f64 v[144:145], v[144:145], v[146:147], v[154:155]
	v_div_fixup_f64 v[144:145], v[144:145], v[226:227], v[224:225]
	v_fmac_f64_e32 v[226:227], v[224:225], v[144:145]
	v_div_scale_f64 v[146:147], s[18:19], v[226:227], v[226:227], 1.0
	v_rcp_f64_e32 v[152:153], v[146:147]
	s_nop 0
	v_fma_f64 v[154:155], -v[146:147], v[152:153], 1.0
	v_fmac_f64_e32 v[152:153], v[152:153], v[154:155]
	v_fma_f64 v[154:155], -v[146:147], v[152:153], 1.0
	v_fmac_f64_e32 v[152:153], v[152:153], v[154:155]
	v_div_scale_f64 v[154:155], vcc, 1.0, v[226:227], 1.0
	v_mul_f64 v[224:225], v[154:155], v[152:153]
	v_fma_f64 v[146:147], -v[146:147], v[224:225], v[154:155]
	s_nop 1
	v_div_fmas_f64 v[146:147], v[146:147], v[152:153], v[224:225]
	v_div_fixup_f64 v[226:227], v[146:147], v[226:227], 1.0
	v_mul_f64 v[224:225], v[144:145], v[226:227]
	v_xor_b32_e32 v227, 0x80000000, v227
.LBB110_574:
	s_andn2_saveexec_b64 s[16:17], s[16:17]
	s_cbranch_execz .LBB110_576
; %bb.575:
	v_div_scale_f64 v[144:145], s[18:19], v[224:225], v[224:225], v[226:227]
	v_rcp_f64_e32 v[146:147], v[144:145]
	v_div_scale_f64 v[152:153], vcc, v[226:227], v[224:225], v[226:227]
	v_fma_f64 v[154:155], -v[144:145], v[146:147], 1.0
	v_fmac_f64_e32 v[146:147], v[146:147], v[154:155]
	v_fma_f64 v[154:155], -v[144:145], v[146:147], 1.0
	v_fmac_f64_e32 v[146:147], v[146:147], v[154:155]
	v_mul_f64 v[154:155], v[152:153], v[146:147]
	v_fma_f64 v[144:145], -v[144:145], v[154:155], v[152:153]
	v_div_fmas_f64 v[144:145], v[144:145], v[146:147], v[154:155]
	v_div_fixup_f64 v[144:145], v[144:145], v[224:225], v[226:227]
	v_fmac_f64_e32 v[224:225], v[226:227], v[144:145]
	v_div_scale_f64 v[146:147], s[18:19], v[224:225], v[224:225], 1.0
	v_rcp_f64_e32 v[152:153], v[146:147]
	s_nop 0
	v_fma_f64 v[154:155], -v[146:147], v[152:153], 1.0
	v_fmac_f64_e32 v[152:153], v[152:153], v[154:155]
	v_fma_f64 v[154:155], -v[146:147], v[152:153], 1.0
	v_fmac_f64_e32 v[152:153], v[152:153], v[154:155]
	v_div_scale_f64 v[154:155], vcc, 1.0, v[224:225], 1.0
	v_mul_f64 v[226:227], v[154:155], v[152:153]
	v_fma_f64 v[146:147], -v[146:147], v[226:227], v[154:155]
	s_nop 1
	v_div_fmas_f64 v[146:147], v[146:147], v[152:153], v[226:227]
	v_div_fixup_f64 v[224:225], v[146:147], v[224:225], 1.0
	v_mul_f64 v[226:227], v[144:145], -v[224:225]
.LBB110_576:
	s_or_b64 exec, exec, s[16:17]
.LBB110_577:
	s_or_b64 exec, exec, s[0:1]
	v_cmp_ne_u32_e32 vcc, v237, v234
	s_and_saveexec_b64 s[0:1], vcc
	s_xor_b64 s[0:1], exec, s[0:1]
	s_cbranch_execz .LBB110_583
; %bb.578:
	v_cmp_eq_u32_e32 vcc, 27, v237
	s_and_saveexec_b64 s[16:17], vcc
	s_cbranch_execz .LBB110_582
; %bb.579:
	v_cmp_ne_u32_e32 vcc, 27, v234
	s_xor_b64 s[18:19], s[14:15], -1
	s_and_b64 s[22:23], s[18:19], vcc
	s_and_saveexec_b64 s[18:19], s[22:23]
	s_cbranch_execz .LBB110_581
; %bb.580:
	v_ashrrev_i32_e32 v235, 31, v234
	v_lshl_add_u64 v[144:145], v[234:235], 2, v[212:213]
	global_load_dword v146, v[144:145], off
	global_load_dword v147, v[212:213], off offset:108
	s_waitcnt vmcnt(1)
	global_store_dword v[212:213], v146, off offset:108
	s_waitcnt vmcnt(1)
	global_store_dword v[144:145], v147, off
.LBB110_581:
	s_or_b64 exec, exec, s[18:19]
	v_mov_b32_e32 v237, v234
	v_mov_b32_e32 v218, v234
.LBB110_582:
	s_or_b64 exec, exec, s[16:17]
.LBB110_583:
	s_andn2_saveexec_b64 s[0:1], s[0:1]
	s_cbranch_execz .LBB110_585
; %bb.584:
	v_mov_b32_e32 v237, 27
	ds_write2_b64 v236, v[104:105], v[106:107] offset0:56 offset1:57
	ds_write2_b64 v236, v[100:101], v[102:103] offset0:58 offset1:59
	;; [unrolled: 1-line block ×28, first 2 shown]
.LBB110_585:
	s_or_b64 exec, exec, s[0:1]
	v_cmp_lt_i32_e32 vcc, 27, v237
	s_waitcnt lgkmcnt(0)
	s_barrier
	s_and_saveexec_b64 s[0:1], vcc
	s_cbranch_execz .LBB110_587
; %bb.586:
	ds_read2_b64 v[240:243], v236 offset0:56 offset1:57
	v_mul_f64 v[144:145], v[226:227], v[110:111]
	v_mul_f64 v[110:111], v[224:225], v[110:111]
	v_fma_f64 v[234:235], v[224:225], v[108:109], -v[144:145]
	v_fmac_f64_e32 v[110:111], v[226:227], v[108:109]
	ds_read2_b64 v[224:227], v236 offset0:58 offset1:59
	s_waitcnt lgkmcnt(1)
	v_mul_f64 v[108:109], v[242:243], v[110:111]
	v_mul_f64 v[144:145], v[240:241], v[110:111]
	v_fma_f64 v[108:109], v[240:241], v[234:235], -v[108:109]
	v_fmac_f64_e32 v[144:145], v[242:243], v[234:235]
	ds_read2_b64 v[240:243], v236 offset0:60 offset1:61
	v_add_f64 v[104:105], v[104:105], -v[108:109]
	v_add_f64 v[106:107], v[106:107], -v[144:145]
	s_waitcnt lgkmcnt(1)
	v_mul_f64 v[108:109], v[226:227], v[110:111]
	v_mul_f64 v[144:145], v[224:225], v[110:111]
	v_fma_f64 v[108:109], v[224:225], v[234:235], -v[108:109]
	v_fmac_f64_e32 v[144:145], v[226:227], v[234:235]
	ds_read2_b64 v[224:227], v236 offset0:62 offset1:63
	v_add_f64 v[100:101], v[100:101], -v[108:109]
	v_add_f64 v[102:103], v[102:103], -v[144:145]
	;; [unrolled: 8-line block ×26, first 2 shown]
	s_waitcnt lgkmcnt(1)
	v_mul_f64 v[108:109], v[242:243], v[110:111]
	v_mul_f64 v[144:145], v[240:241], v[110:111]
	v_fma_f64 v[108:109], v[240:241], v[234:235], -v[108:109]
	v_fmac_f64_e32 v[144:145], v[242:243], v[234:235]
	v_add_f64 v[0:1], v[0:1], -v[108:109]
	v_add_f64 v[2:3], v[2:3], -v[144:145]
	s_waitcnt lgkmcnt(0)
	v_mul_f64 v[108:109], v[226:227], v[110:111]
	v_mul_f64 v[144:145], v[224:225], v[110:111]
	v_fma_f64 v[108:109], v[224:225], v[234:235], -v[108:109]
	v_fmac_f64_e32 v[144:145], v[226:227], v[234:235]
	v_add_f64 v[220:221], v[220:221], -v[108:109]
	v_add_f64 v[222:223], v[222:223], -v[144:145]
	v_mov_b64_e32 v[108:109], v[234:235]
.LBB110_587:
	s_or_b64 exec, exec, s[0:1]
	v_lshl_add_u32 v144, v237, 4, v236
	s_barrier
	ds_write2_b64 v144, v[104:105], v[106:107] offset1:1
	s_waitcnt lgkmcnt(0)
	s_barrier
	ds_read2_b64 v[224:227], v236 offset0:56 offset1:57
	s_cmp_lt_i32 s20, 30
	v_mov_b32_e32 v234, 28
	s_cbranch_scc1 .LBB110_590
; %bb.588:
	v_add_u32_e32 v235, 0x1d0, v236
	s_mov_b32 s16, 29
	v_mov_b32_e32 v234, 28
.LBB110_589:                            ; =>This Inner Loop Header: Depth=1
	ds_read2_b64 v[240:243], v235 offset1:1
	s_waitcnt lgkmcnt(1)
	v_xor_b32_e32 v145, 0x80000000, v225
	v_xor_b32_e32 v147, 0x80000000, v227
	v_cmp_gt_f64_e32 vcc, 0, v[226:227]
	v_cmp_gt_f64_e64 s[0:1], 0, v[224:225]
	v_mov_b32_e32 v144, v224
	v_mov_b32_e32 v146, v226
	v_cndmask_b32_e64 v145, v225, v145, s[0:1]
	v_cndmask_b32_e32 v147, v227, v147, vcc
	v_add_f64 v[144:145], v[144:145], v[146:147]
	s_waitcnt lgkmcnt(0)
	v_xor_b32_e32 v147, 0x80000000, v241
	v_xor_b32_e32 v153, 0x80000000, v243
	v_cmp_gt_f64_e32 vcc, 0, v[242:243]
	v_cmp_gt_f64_e64 s[0:1], 0, v[240:241]
	v_mov_b32_e32 v146, v240
	v_mov_b32_e32 v152, v242
	v_cndmask_b32_e64 v147, v241, v147, s[0:1]
	v_cndmask_b32_e32 v153, v243, v153, vcc
	v_add_f64 v[146:147], v[146:147], v[152:153]
	v_mov_b32_e32 v154, s16
	s_add_i32 s16, s16, 1
	v_cmp_lt_f64_e32 vcc, v[144:145], v[146:147]
	v_add_u32_e32 v235, 16, v235
	s_cmp_lg_u32 s20, s16
	v_cndmask_b32_e32 v225, v225, v241, vcc
	v_cndmask_b32_e32 v224, v224, v240, vcc
	;; [unrolled: 1-line block ×5, first 2 shown]
	s_cbranch_scc1 .LBB110_589
.LBB110_590:
	s_waitcnt lgkmcnt(0)
	v_cmp_eq_f64_e32 vcc, 0, v[224:225]
	v_cmp_eq_f64_e64 s[0:1], 0, v[226:227]
	s_and_b64 s[0:1], vcc, s[0:1]
	s_and_saveexec_b64 s[16:17], s[0:1]
	s_xor_b64 s[0:1], exec, s[16:17]
; %bb.591:
	v_cmp_ne_u32_e32 vcc, 0, v238
	s_nop 1
	v_cndmask_b32_e32 v238, 29, v238, vcc
; %bb.592:
	s_andn2_saveexec_b64 s[0:1], s[0:1]
	s_cbranch_execz .LBB110_598
; %bb.593:
	v_cmp_ngt_f64_e64 s[16:17], |v[224:225]|, |v[226:227]|
	s_and_saveexec_b64 s[18:19], s[16:17]
	s_xor_b64 s[16:17], exec, s[18:19]
	s_cbranch_execz .LBB110_595
; %bb.594:
	v_div_scale_f64 v[144:145], s[18:19], v[226:227], v[226:227], v[224:225]
	v_rcp_f64_e32 v[146:147], v[144:145]
	v_div_scale_f64 v[152:153], vcc, v[224:225], v[226:227], v[224:225]
	v_fma_f64 v[154:155], -v[144:145], v[146:147], 1.0
	v_fmac_f64_e32 v[146:147], v[146:147], v[154:155]
	v_fma_f64 v[154:155], -v[144:145], v[146:147], 1.0
	v_fmac_f64_e32 v[146:147], v[146:147], v[154:155]
	v_mul_f64 v[154:155], v[152:153], v[146:147]
	v_fma_f64 v[144:145], -v[144:145], v[154:155], v[152:153]
	v_div_fmas_f64 v[144:145], v[144:145], v[146:147], v[154:155]
	v_div_fixup_f64 v[144:145], v[144:145], v[226:227], v[224:225]
	v_fmac_f64_e32 v[226:227], v[224:225], v[144:145]
	v_div_scale_f64 v[146:147], s[18:19], v[226:227], v[226:227], 1.0
	v_rcp_f64_e32 v[152:153], v[146:147]
	s_nop 0
	v_fma_f64 v[154:155], -v[146:147], v[152:153], 1.0
	v_fmac_f64_e32 v[152:153], v[152:153], v[154:155]
	v_fma_f64 v[154:155], -v[146:147], v[152:153], 1.0
	v_fmac_f64_e32 v[152:153], v[152:153], v[154:155]
	v_div_scale_f64 v[154:155], vcc, 1.0, v[226:227], 1.0
	v_mul_f64 v[224:225], v[154:155], v[152:153]
	v_fma_f64 v[146:147], -v[146:147], v[224:225], v[154:155]
	s_nop 1
	v_div_fmas_f64 v[146:147], v[146:147], v[152:153], v[224:225]
	v_div_fixup_f64 v[226:227], v[146:147], v[226:227], 1.0
	v_mul_f64 v[224:225], v[144:145], v[226:227]
	v_xor_b32_e32 v227, 0x80000000, v227
.LBB110_595:
	s_andn2_saveexec_b64 s[16:17], s[16:17]
	s_cbranch_execz .LBB110_597
; %bb.596:
	v_div_scale_f64 v[144:145], s[18:19], v[224:225], v[224:225], v[226:227]
	v_rcp_f64_e32 v[146:147], v[144:145]
	v_div_scale_f64 v[152:153], vcc, v[226:227], v[224:225], v[226:227]
	v_fma_f64 v[154:155], -v[144:145], v[146:147], 1.0
	v_fmac_f64_e32 v[146:147], v[146:147], v[154:155]
	v_fma_f64 v[154:155], -v[144:145], v[146:147], 1.0
	v_fmac_f64_e32 v[146:147], v[146:147], v[154:155]
	v_mul_f64 v[154:155], v[152:153], v[146:147]
	v_fma_f64 v[144:145], -v[144:145], v[154:155], v[152:153]
	v_div_fmas_f64 v[144:145], v[144:145], v[146:147], v[154:155]
	v_div_fixup_f64 v[144:145], v[144:145], v[224:225], v[226:227]
	v_fmac_f64_e32 v[224:225], v[226:227], v[144:145]
	v_div_scale_f64 v[146:147], s[18:19], v[224:225], v[224:225], 1.0
	v_rcp_f64_e32 v[152:153], v[146:147]
	s_nop 0
	v_fma_f64 v[154:155], -v[146:147], v[152:153], 1.0
	v_fmac_f64_e32 v[152:153], v[152:153], v[154:155]
	v_fma_f64 v[154:155], -v[146:147], v[152:153], 1.0
	v_fmac_f64_e32 v[152:153], v[152:153], v[154:155]
	v_div_scale_f64 v[154:155], vcc, 1.0, v[224:225], 1.0
	v_mul_f64 v[226:227], v[154:155], v[152:153]
	v_fma_f64 v[146:147], -v[146:147], v[226:227], v[154:155]
	s_nop 1
	v_div_fmas_f64 v[146:147], v[146:147], v[152:153], v[226:227]
	v_div_fixup_f64 v[224:225], v[146:147], v[224:225], 1.0
	v_mul_f64 v[226:227], v[144:145], -v[224:225]
.LBB110_597:
	s_or_b64 exec, exec, s[16:17]
.LBB110_598:
	s_or_b64 exec, exec, s[0:1]
	v_cmp_ne_u32_e32 vcc, v237, v234
	s_and_saveexec_b64 s[0:1], vcc
	s_xor_b64 s[0:1], exec, s[0:1]
	s_cbranch_execz .LBB110_604
; %bb.599:
	v_cmp_eq_u32_e32 vcc, 28, v237
	s_and_saveexec_b64 s[16:17], vcc
	s_cbranch_execz .LBB110_603
; %bb.600:
	v_cmp_ne_u32_e32 vcc, 28, v234
	s_xor_b64 s[18:19], s[14:15], -1
	s_and_b64 s[22:23], s[18:19], vcc
	s_and_saveexec_b64 s[18:19], s[22:23]
	s_cbranch_execz .LBB110_602
; %bb.601:
	v_ashrrev_i32_e32 v235, 31, v234
	v_lshl_add_u64 v[144:145], v[234:235], 2, v[212:213]
	global_load_dword v146, v[144:145], off
	global_load_dword v147, v[212:213], off offset:112
	s_waitcnt vmcnt(1)
	global_store_dword v[212:213], v146, off offset:112
	s_waitcnt vmcnt(1)
	global_store_dword v[144:145], v147, off
.LBB110_602:
	s_or_b64 exec, exec, s[18:19]
	v_mov_b32_e32 v237, v234
	v_mov_b32_e32 v218, v234
.LBB110_603:
	s_or_b64 exec, exec, s[16:17]
.LBB110_604:
	s_andn2_saveexec_b64 s[0:1], s[0:1]
	s_cbranch_execz .LBB110_606
; %bb.605:
	v_mov_b32_e32 v237, 28
	ds_write2_b64 v236, v[100:101], v[102:103] offset0:58 offset1:59
	ds_write2_b64 v236, v[96:97], v[98:99] offset0:60 offset1:61
	;; [unrolled: 1-line block ×27, first 2 shown]
.LBB110_606:
	s_or_b64 exec, exec, s[0:1]
	v_cmp_lt_i32_e32 vcc, 28, v237
	s_waitcnt lgkmcnt(0)
	s_barrier
	s_and_saveexec_b64 s[0:1], vcc
	s_cbranch_execz .LBB110_608
; %bb.607:
	ds_read2_b64 v[240:243], v236 offset0:58 offset1:59
	v_mul_f64 v[144:145], v[226:227], v[106:107]
	v_mul_f64 v[106:107], v[224:225], v[106:107]
	v_fma_f64 v[234:235], v[224:225], v[104:105], -v[144:145]
	v_fmac_f64_e32 v[106:107], v[226:227], v[104:105]
	ds_read2_b64 v[224:227], v236 offset0:60 offset1:61
	s_waitcnt lgkmcnt(1)
	v_mul_f64 v[104:105], v[242:243], v[106:107]
	v_mul_f64 v[144:145], v[240:241], v[106:107]
	v_fma_f64 v[104:105], v[240:241], v[234:235], -v[104:105]
	v_fmac_f64_e32 v[144:145], v[242:243], v[234:235]
	ds_read2_b64 v[240:243], v236 offset0:62 offset1:63
	v_add_f64 v[100:101], v[100:101], -v[104:105]
	v_add_f64 v[102:103], v[102:103], -v[144:145]
	s_waitcnt lgkmcnt(1)
	v_mul_f64 v[104:105], v[226:227], v[106:107]
	v_mul_f64 v[144:145], v[224:225], v[106:107]
	v_fma_f64 v[104:105], v[224:225], v[234:235], -v[104:105]
	v_fmac_f64_e32 v[144:145], v[226:227], v[234:235]
	ds_read2_b64 v[224:227], v236 offset0:64 offset1:65
	v_add_f64 v[96:97], v[96:97], -v[104:105]
	v_add_f64 v[98:99], v[98:99], -v[144:145]
	;; [unrolled: 8-line block ×25, first 2 shown]
	s_waitcnt lgkmcnt(1)
	v_mul_f64 v[104:105], v[226:227], v[106:107]
	v_mul_f64 v[144:145], v[224:225], v[106:107]
	v_fma_f64 v[104:105], v[224:225], v[234:235], -v[104:105]
	v_fmac_f64_e32 v[144:145], v[226:227], v[234:235]
	v_add_f64 v[0:1], v[0:1], -v[104:105]
	v_add_f64 v[2:3], v[2:3], -v[144:145]
	s_waitcnt lgkmcnt(0)
	v_mul_f64 v[104:105], v[242:243], v[106:107]
	v_mul_f64 v[144:145], v[240:241], v[106:107]
	v_fma_f64 v[104:105], v[240:241], v[234:235], -v[104:105]
	v_fmac_f64_e32 v[144:145], v[242:243], v[234:235]
	v_add_f64 v[220:221], v[220:221], -v[104:105]
	v_add_f64 v[222:223], v[222:223], -v[144:145]
	v_mov_b64_e32 v[104:105], v[234:235]
.LBB110_608:
	s_or_b64 exec, exec, s[0:1]
	v_lshl_add_u32 v144, v237, 4, v236
	s_barrier
	ds_write2_b64 v144, v[100:101], v[102:103] offset1:1
	s_waitcnt lgkmcnt(0)
	s_barrier
	ds_read2_b64 v[224:227], v236 offset0:58 offset1:59
	s_cmp_lt_i32 s20, 31
	v_mov_b32_e32 v234, 29
	s_cbranch_scc1 .LBB110_611
; %bb.609:
	v_add_u32_e32 v235, 0x1e0, v236
	s_mov_b32 s16, 30
	v_mov_b32_e32 v234, 29
.LBB110_610:                            ; =>This Inner Loop Header: Depth=1
	ds_read2_b64 v[240:243], v235 offset1:1
	s_waitcnt lgkmcnt(1)
	v_xor_b32_e32 v145, 0x80000000, v225
	v_xor_b32_e32 v147, 0x80000000, v227
	v_cmp_gt_f64_e32 vcc, 0, v[226:227]
	v_cmp_gt_f64_e64 s[0:1], 0, v[224:225]
	v_mov_b32_e32 v144, v224
	v_mov_b32_e32 v146, v226
	v_cndmask_b32_e64 v145, v225, v145, s[0:1]
	v_cndmask_b32_e32 v147, v227, v147, vcc
	v_add_f64 v[144:145], v[144:145], v[146:147]
	s_waitcnt lgkmcnt(0)
	v_xor_b32_e32 v147, 0x80000000, v241
	v_xor_b32_e32 v153, 0x80000000, v243
	v_cmp_gt_f64_e32 vcc, 0, v[242:243]
	v_cmp_gt_f64_e64 s[0:1], 0, v[240:241]
	v_mov_b32_e32 v146, v240
	v_mov_b32_e32 v152, v242
	v_cndmask_b32_e64 v147, v241, v147, s[0:1]
	v_cndmask_b32_e32 v153, v243, v153, vcc
	v_add_f64 v[146:147], v[146:147], v[152:153]
	v_mov_b32_e32 v154, s16
	s_add_i32 s16, s16, 1
	v_cmp_lt_f64_e32 vcc, v[144:145], v[146:147]
	v_add_u32_e32 v235, 16, v235
	s_cmp_lg_u32 s20, s16
	v_cndmask_b32_e32 v225, v225, v241, vcc
	v_cndmask_b32_e32 v224, v224, v240, vcc
	;; [unrolled: 1-line block ×5, first 2 shown]
	s_cbranch_scc1 .LBB110_610
.LBB110_611:
	s_waitcnt lgkmcnt(0)
	v_cmp_eq_f64_e32 vcc, 0, v[224:225]
	v_cmp_eq_f64_e64 s[0:1], 0, v[226:227]
	s_and_b64 s[0:1], vcc, s[0:1]
	s_and_saveexec_b64 s[16:17], s[0:1]
	s_xor_b64 s[0:1], exec, s[16:17]
; %bb.612:
	v_cmp_ne_u32_e32 vcc, 0, v238
	s_nop 1
	v_cndmask_b32_e32 v238, 30, v238, vcc
; %bb.613:
	s_andn2_saveexec_b64 s[0:1], s[0:1]
	s_cbranch_execz .LBB110_619
; %bb.614:
	v_cmp_ngt_f64_e64 s[16:17], |v[224:225]|, |v[226:227]|
	s_and_saveexec_b64 s[18:19], s[16:17]
	s_xor_b64 s[16:17], exec, s[18:19]
	s_cbranch_execz .LBB110_616
; %bb.615:
	v_div_scale_f64 v[144:145], s[18:19], v[226:227], v[226:227], v[224:225]
	v_rcp_f64_e32 v[146:147], v[144:145]
	v_div_scale_f64 v[152:153], vcc, v[224:225], v[226:227], v[224:225]
	v_fma_f64 v[154:155], -v[144:145], v[146:147], 1.0
	v_fmac_f64_e32 v[146:147], v[146:147], v[154:155]
	v_fma_f64 v[154:155], -v[144:145], v[146:147], 1.0
	v_fmac_f64_e32 v[146:147], v[146:147], v[154:155]
	v_mul_f64 v[154:155], v[152:153], v[146:147]
	v_fma_f64 v[144:145], -v[144:145], v[154:155], v[152:153]
	v_div_fmas_f64 v[144:145], v[144:145], v[146:147], v[154:155]
	v_div_fixup_f64 v[144:145], v[144:145], v[226:227], v[224:225]
	v_fmac_f64_e32 v[226:227], v[224:225], v[144:145]
	v_div_scale_f64 v[146:147], s[18:19], v[226:227], v[226:227], 1.0
	v_rcp_f64_e32 v[152:153], v[146:147]
	s_nop 0
	v_fma_f64 v[154:155], -v[146:147], v[152:153], 1.0
	v_fmac_f64_e32 v[152:153], v[152:153], v[154:155]
	v_fma_f64 v[154:155], -v[146:147], v[152:153], 1.0
	v_fmac_f64_e32 v[152:153], v[152:153], v[154:155]
	v_div_scale_f64 v[154:155], vcc, 1.0, v[226:227], 1.0
	v_mul_f64 v[224:225], v[154:155], v[152:153]
	v_fma_f64 v[146:147], -v[146:147], v[224:225], v[154:155]
	s_nop 1
	v_div_fmas_f64 v[146:147], v[146:147], v[152:153], v[224:225]
	v_div_fixup_f64 v[226:227], v[146:147], v[226:227], 1.0
	v_mul_f64 v[224:225], v[144:145], v[226:227]
	v_xor_b32_e32 v227, 0x80000000, v227
.LBB110_616:
	s_andn2_saveexec_b64 s[16:17], s[16:17]
	s_cbranch_execz .LBB110_618
; %bb.617:
	v_div_scale_f64 v[144:145], s[18:19], v[224:225], v[224:225], v[226:227]
	v_rcp_f64_e32 v[146:147], v[144:145]
	v_div_scale_f64 v[152:153], vcc, v[226:227], v[224:225], v[226:227]
	v_fma_f64 v[154:155], -v[144:145], v[146:147], 1.0
	v_fmac_f64_e32 v[146:147], v[146:147], v[154:155]
	v_fma_f64 v[154:155], -v[144:145], v[146:147], 1.0
	v_fmac_f64_e32 v[146:147], v[146:147], v[154:155]
	v_mul_f64 v[154:155], v[152:153], v[146:147]
	v_fma_f64 v[144:145], -v[144:145], v[154:155], v[152:153]
	v_div_fmas_f64 v[144:145], v[144:145], v[146:147], v[154:155]
	v_div_fixup_f64 v[144:145], v[144:145], v[224:225], v[226:227]
	v_fmac_f64_e32 v[224:225], v[226:227], v[144:145]
	v_div_scale_f64 v[146:147], s[18:19], v[224:225], v[224:225], 1.0
	v_rcp_f64_e32 v[152:153], v[146:147]
	s_nop 0
	v_fma_f64 v[154:155], -v[146:147], v[152:153], 1.0
	v_fmac_f64_e32 v[152:153], v[152:153], v[154:155]
	v_fma_f64 v[154:155], -v[146:147], v[152:153], 1.0
	v_fmac_f64_e32 v[152:153], v[152:153], v[154:155]
	v_div_scale_f64 v[154:155], vcc, 1.0, v[224:225], 1.0
	v_mul_f64 v[226:227], v[154:155], v[152:153]
	v_fma_f64 v[146:147], -v[146:147], v[226:227], v[154:155]
	s_nop 1
	v_div_fmas_f64 v[146:147], v[146:147], v[152:153], v[226:227]
	v_div_fixup_f64 v[224:225], v[146:147], v[224:225], 1.0
	v_mul_f64 v[226:227], v[144:145], -v[224:225]
.LBB110_618:
	s_or_b64 exec, exec, s[16:17]
.LBB110_619:
	s_or_b64 exec, exec, s[0:1]
	v_cmp_ne_u32_e32 vcc, v237, v234
	s_and_saveexec_b64 s[0:1], vcc
	s_xor_b64 s[0:1], exec, s[0:1]
	s_cbranch_execz .LBB110_625
; %bb.620:
	v_cmp_eq_u32_e32 vcc, 29, v237
	s_and_saveexec_b64 s[16:17], vcc
	s_cbranch_execz .LBB110_624
; %bb.621:
	v_cmp_ne_u32_e32 vcc, 29, v234
	s_xor_b64 s[18:19], s[14:15], -1
	s_and_b64 s[22:23], s[18:19], vcc
	s_and_saveexec_b64 s[18:19], s[22:23]
	s_cbranch_execz .LBB110_623
; %bb.622:
	v_ashrrev_i32_e32 v235, 31, v234
	v_lshl_add_u64 v[144:145], v[234:235], 2, v[212:213]
	global_load_dword v146, v[144:145], off
	global_load_dword v147, v[212:213], off offset:116
	s_waitcnt vmcnt(1)
	global_store_dword v[212:213], v146, off offset:116
	s_waitcnt vmcnt(1)
	global_store_dword v[144:145], v147, off
.LBB110_623:
	s_or_b64 exec, exec, s[18:19]
	v_mov_b32_e32 v237, v234
	v_mov_b32_e32 v218, v234
.LBB110_624:
	s_or_b64 exec, exec, s[16:17]
.LBB110_625:
	s_andn2_saveexec_b64 s[0:1], s[0:1]
	s_cbranch_execz .LBB110_627
; %bb.626:
	v_mov_b32_e32 v237, 29
	ds_write2_b64 v236, v[96:97], v[98:99] offset0:60 offset1:61
	ds_write2_b64 v236, v[92:93], v[94:95] offset0:62 offset1:63
	;; [unrolled: 1-line block ×26, first 2 shown]
.LBB110_627:
	s_or_b64 exec, exec, s[0:1]
	v_cmp_lt_i32_e32 vcc, 29, v237
	s_waitcnt lgkmcnt(0)
	s_barrier
	s_and_saveexec_b64 s[0:1], vcc
	s_cbranch_execz .LBB110_629
; %bb.628:
	ds_read2_b64 v[240:243], v236 offset0:60 offset1:61
	v_mul_f64 v[144:145], v[226:227], v[102:103]
	v_mul_f64 v[102:103], v[224:225], v[102:103]
	v_fma_f64 v[234:235], v[224:225], v[100:101], -v[144:145]
	v_fmac_f64_e32 v[102:103], v[226:227], v[100:101]
	ds_read2_b64 v[224:227], v236 offset0:62 offset1:63
	s_waitcnt lgkmcnt(1)
	v_mul_f64 v[100:101], v[242:243], v[102:103]
	v_mul_f64 v[144:145], v[240:241], v[102:103]
	v_fma_f64 v[100:101], v[240:241], v[234:235], -v[100:101]
	v_fmac_f64_e32 v[144:145], v[242:243], v[234:235]
	ds_read2_b64 v[240:243], v236 offset0:64 offset1:65
	v_add_f64 v[96:97], v[96:97], -v[100:101]
	v_add_f64 v[98:99], v[98:99], -v[144:145]
	s_waitcnt lgkmcnt(1)
	v_mul_f64 v[100:101], v[226:227], v[102:103]
	v_mul_f64 v[144:145], v[224:225], v[102:103]
	v_fma_f64 v[100:101], v[224:225], v[234:235], -v[100:101]
	v_fmac_f64_e32 v[144:145], v[226:227], v[234:235]
	ds_read2_b64 v[224:227], v236 offset0:66 offset1:67
	v_add_f64 v[92:93], v[92:93], -v[100:101]
	v_add_f64 v[94:95], v[94:95], -v[144:145]
	;; [unrolled: 8-line block ×24, first 2 shown]
	s_waitcnt lgkmcnt(1)
	v_mul_f64 v[100:101], v[242:243], v[102:103]
	v_mul_f64 v[144:145], v[240:241], v[102:103]
	v_fma_f64 v[100:101], v[240:241], v[234:235], -v[100:101]
	v_fmac_f64_e32 v[144:145], v[242:243], v[234:235]
	v_add_f64 v[0:1], v[0:1], -v[100:101]
	v_add_f64 v[2:3], v[2:3], -v[144:145]
	s_waitcnt lgkmcnt(0)
	v_mul_f64 v[100:101], v[226:227], v[102:103]
	v_mul_f64 v[144:145], v[224:225], v[102:103]
	v_fma_f64 v[100:101], v[224:225], v[234:235], -v[100:101]
	v_fmac_f64_e32 v[144:145], v[226:227], v[234:235]
	v_add_f64 v[220:221], v[220:221], -v[100:101]
	v_add_f64 v[222:223], v[222:223], -v[144:145]
	v_mov_b64_e32 v[100:101], v[234:235]
.LBB110_629:
	s_or_b64 exec, exec, s[0:1]
	v_lshl_add_u32 v144, v237, 4, v236
	s_barrier
	ds_write2_b64 v144, v[96:97], v[98:99] offset1:1
	s_waitcnt lgkmcnt(0)
	s_barrier
	ds_read2_b64 v[224:227], v236 offset0:60 offset1:61
	s_cmp_lt_i32 s20, 32
	v_mov_b32_e32 v234, 30
	s_cbranch_scc1 .LBB110_632
; %bb.630:
	v_add_u32_e32 v235, 0x1f0, v236
	s_mov_b32 s16, 31
	v_mov_b32_e32 v234, 30
.LBB110_631:                            ; =>This Inner Loop Header: Depth=1
	ds_read2_b64 v[240:243], v235 offset1:1
	s_waitcnt lgkmcnt(1)
	v_xor_b32_e32 v145, 0x80000000, v225
	v_xor_b32_e32 v147, 0x80000000, v227
	v_cmp_gt_f64_e32 vcc, 0, v[226:227]
	v_cmp_gt_f64_e64 s[0:1], 0, v[224:225]
	v_mov_b32_e32 v144, v224
	v_mov_b32_e32 v146, v226
	v_cndmask_b32_e64 v145, v225, v145, s[0:1]
	v_cndmask_b32_e32 v147, v227, v147, vcc
	v_add_f64 v[144:145], v[144:145], v[146:147]
	s_waitcnt lgkmcnt(0)
	v_xor_b32_e32 v147, 0x80000000, v241
	v_xor_b32_e32 v153, 0x80000000, v243
	v_cmp_gt_f64_e32 vcc, 0, v[242:243]
	v_cmp_gt_f64_e64 s[0:1], 0, v[240:241]
	v_mov_b32_e32 v146, v240
	v_mov_b32_e32 v152, v242
	v_cndmask_b32_e64 v147, v241, v147, s[0:1]
	v_cndmask_b32_e32 v153, v243, v153, vcc
	v_add_f64 v[146:147], v[146:147], v[152:153]
	v_mov_b32_e32 v154, s16
	s_add_i32 s16, s16, 1
	v_cmp_lt_f64_e32 vcc, v[144:145], v[146:147]
	v_add_u32_e32 v235, 16, v235
	s_cmp_lg_u32 s20, s16
	v_cndmask_b32_e32 v225, v225, v241, vcc
	v_cndmask_b32_e32 v224, v224, v240, vcc
	;; [unrolled: 1-line block ×5, first 2 shown]
	s_cbranch_scc1 .LBB110_631
.LBB110_632:
	s_waitcnt lgkmcnt(0)
	v_cmp_eq_f64_e32 vcc, 0, v[224:225]
	v_cmp_eq_f64_e64 s[0:1], 0, v[226:227]
	s_and_b64 s[0:1], vcc, s[0:1]
	s_and_saveexec_b64 s[16:17], s[0:1]
	s_xor_b64 s[0:1], exec, s[16:17]
; %bb.633:
	v_cmp_ne_u32_e32 vcc, 0, v238
	s_nop 1
	v_cndmask_b32_e32 v238, 31, v238, vcc
; %bb.634:
	s_andn2_saveexec_b64 s[0:1], s[0:1]
	s_cbranch_execz .LBB110_640
; %bb.635:
	v_cmp_ngt_f64_e64 s[16:17], |v[224:225]|, |v[226:227]|
	s_and_saveexec_b64 s[18:19], s[16:17]
	s_xor_b64 s[16:17], exec, s[18:19]
	s_cbranch_execz .LBB110_637
; %bb.636:
	v_div_scale_f64 v[144:145], s[18:19], v[226:227], v[226:227], v[224:225]
	v_rcp_f64_e32 v[146:147], v[144:145]
	v_div_scale_f64 v[152:153], vcc, v[224:225], v[226:227], v[224:225]
	v_fma_f64 v[154:155], -v[144:145], v[146:147], 1.0
	v_fmac_f64_e32 v[146:147], v[146:147], v[154:155]
	v_fma_f64 v[154:155], -v[144:145], v[146:147], 1.0
	v_fmac_f64_e32 v[146:147], v[146:147], v[154:155]
	v_mul_f64 v[154:155], v[152:153], v[146:147]
	v_fma_f64 v[144:145], -v[144:145], v[154:155], v[152:153]
	v_div_fmas_f64 v[144:145], v[144:145], v[146:147], v[154:155]
	v_div_fixup_f64 v[144:145], v[144:145], v[226:227], v[224:225]
	v_fmac_f64_e32 v[226:227], v[224:225], v[144:145]
	v_div_scale_f64 v[146:147], s[18:19], v[226:227], v[226:227], 1.0
	v_rcp_f64_e32 v[152:153], v[146:147]
	s_nop 0
	v_fma_f64 v[154:155], -v[146:147], v[152:153], 1.0
	v_fmac_f64_e32 v[152:153], v[152:153], v[154:155]
	v_fma_f64 v[154:155], -v[146:147], v[152:153], 1.0
	v_fmac_f64_e32 v[152:153], v[152:153], v[154:155]
	v_div_scale_f64 v[154:155], vcc, 1.0, v[226:227], 1.0
	v_mul_f64 v[224:225], v[154:155], v[152:153]
	v_fma_f64 v[146:147], -v[146:147], v[224:225], v[154:155]
	s_nop 1
	v_div_fmas_f64 v[146:147], v[146:147], v[152:153], v[224:225]
	v_div_fixup_f64 v[226:227], v[146:147], v[226:227], 1.0
	v_mul_f64 v[224:225], v[144:145], v[226:227]
	v_xor_b32_e32 v227, 0x80000000, v227
.LBB110_637:
	s_andn2_saveexec_b64 s[16:17], s[16:17]
	s_cbranch_execz .LBB110_639
; %bb.638:
	v_div_scale_f64 v[144:145], s[18:19], v[224:225], v[224:225], v[226:227]
	v_rcp_f64_e32 v[146:147], v[144:145]
	v_div_scale_f64 v[152:153], vcc, v[226:227], v[224:225], v[226:227]
	v_fma_f64 v[154:155], -v[144:145], v[146:147], 1.0
	v_fmac_f64_e32 v[146:147], v[146:147], v[154:155]
	v_fma_f64 v[154:155], -v[144:145], v[146:147], 1.0
	v_fmac_f64_e32 v[146:147], v[146:147], v[154:155]
	v_mul_f64 v[154:155], v[152:153], v[146:147]
	v_fma_f64 v[144:145], -v[144:145], v[154:155], v[152:153]
	v_div_fmas_f64 v[144:145], v[144:145], v[146:147], v[154:155]
	v_div_fixup_f64 v[144:145], v[144:145], v[224:225], v[226:227]
	v_fmac_f64_e32 v[224:225], v[226:227], v[144:145]
	v_div_scale_f64 v[146:147], s[18:19], v[224:225], v[224:225], 1.0
	v_rcp_f64_e32 v[152:153], v[146:147]
	s_nop 0
	v_fma_f64 v[154:155], -v[146:147], v[152:153], 1.0
	v_fmac_f64_e32 v[152:153], v[152:153], v[154:155]
	v_fma_f64 v[154:155], -v[146:147], v[152:153], 1.0
	v_fmac_f64_e32 v[152:153], v[152:153], v[154:155]
	v_div_scale_f64 v[154:155], vcc, 1.0, v[224:225], 1.0
	v_mul_f64 v[226:227], v[154:155], v[152:153]
	v_fma_f64 v[146:147], -v[146:147], v[226:227], v[154:155]
	s_nop 1
	v_div_fmas_f64 v[146:147], v[146:147], v[152:153], v[226:227]
	v_div_fixup_f64 v[224:225], v[146:147], v[224:225], 1.0
	v_mul_f64 v[226:227], v[144:145], -v[224:225]
.LBB110_639:
	s_or_b64 exec, exec, s[16:17]
.LBB110_640:
	s_or_b64 exec, exec, s[0:1]
	v_cmp_ne_u32_e32 vcc, v237, v234
	s_and_saveexec_b64 s[0:1], vcc
	s_xor_b64 s[0:1], exec, s[0:1]
	s_cbranch_execz .LBB110_646
; %bb.641:
	v_cmp_eq_u32_e32 vcc, 30, v237
	s_and_saveexec_b64 s[16:17], vcc
	s_cbranch_execz .LBB110_645
; %bb.642:
	v_cmp_ne_u32_e32 vcc, 30, v234
	s_xor_b64 s[18:19], s[14:15], -1
	s_and_b64 s[22:23], s[18:19], vcc
	s_and_saveexec_b64 s[18:19], s[22:23]
	s_cbranch_execz .LBB110_644
; %bb.643:
	v_ashrrev_i32_e32 v235, 31, v234
	v_lshl_add_u64 v[144:145], v[234:235], 2, v[212:213]
	global_load_dword v146, v[144:145], off
	global_load_dword v147, v[212:213], off offset:120
	s_waitcnt vmcnt(1)
	global_store_dword v[212:213], v146, off offset:120
	s_waitcnt vmcnt(1)
	global_store_dword v[144:145], v147, off
.LBB110_644:
	s_or_b64 exec, exec, s[18:19]
	v_mov_b32_e32 v237, v234
	v_mov_b32_e32 v218, v234
.LBB110_645:
	s_or_b64 exec, exec, s[16:17]
.LBB110_646:
	s_andn2_saveexec_b64 s[0:1], s[0:1]
	s_cbranch_execz .LBB110_648
; %bb.647:
	v_mov_b32_e32 v237, 30
	ds_write2_b64 v236, v[92:93], v[94:95] offset0:62 offset1:63
	ds_write2_b64 v236, v[88:89], v[90:91] offset0:64 offset1:65
	;; [unrolled: 1-line block ×25, first 2 shown]
.LBB110_648:
	s_or_b64 exec, exec, s[0:1]
	v_cmp_lt_i32_e32 vcc, 30, v237
	s_waitcnt lgkmcnt(0)
	s_barrier
	s_and_saveexec_b64 s[0:1], vcc
	s_cbranch_execz .LBB110_650
; %bb.649:
	ds_read2_b64 v[240:243], v236 offset0:62 offset1:63
	v_mul_f64 v[144:145], v[226:227], v[98:99]
	v_mul_f64 v[98:99], v[224:225], v[98:99]
	v_fma_f64 v[234:235], v[224:225], v[96:97], -v[144:145]
	v_fmac_f64_e32 v[98:99], v[226:227], v[96:97]
	ds_read2_b64 v[224:227], v236 offset0:64 offset1:65
	s_waitcnt lgkmcnt(1)
	v_mul_f64 v[96:97], v[242:243], v[98:99]
	v_mul_f64 v[144:145], v[240:241], v[98:99]
	v_fma_f64 v[96:97], v[240:241], v[234:235], -v[96:97]
	v_fmac_f64_e32 v[144:145], v[242:243], v[234:235]
	ds_read2_b64 v[240:243], v236 offset0:66 offset1:67
	v_add_f64 v[92:93], v[92:93], -v[96:97]
	v_add_f64 v[94:95], v[94:95], -v[144:145]
	s_waitcnt lgkmcnt(1)
	v_mul_f64 v[96:97], v[226:227], v[98:99]
	v_mul_f64 v[144:145], v[224:225], v[98:99]
	v_fma_f64 v[96:97], v[224:225], v[234:235], -v[96:97]
	v_fmac_f64_e32 v[144:145], v[226:227], v[234:235]
	ds_read2_b64 v[224:227], v236 offset0:68 offset1:69
	v_add_f64 v[88:89], v[88:89], -v[96:97]
	v_add_f64 v[90:91], v[90:91], -v[144:145]
	;; [unrolled: 8-line block ×23, first 2 shown]
	s_waitcnt lgkmcnt(1)
	v_mul_f64 v[96:97], v[226:227], v[98:99]
	v_mul_f64 v[144:145], v[224:225], v[98:99]
	v_fma_f64 v[96:97], v[224:225], v[234:235], -v[96:97]
	v_fmac_f64_e32 v[144:145], v[226:227], v[234:235]
	v_add_f64 v[0:1], v[0:1], -v[96:97]
	v_add_f64 v[2:3], v[2:3], -v[144:145]
	s_waitcnt lgkmcnt(0)
	v_mul_f64 v[96:97], v[242:243], v[98:99]
	v_mul_f64 v[144:145], v[240:241], v[98:99]
	v_fma_f64 v[96:97], v[240:241], v[234:235], -v[96:97]
	v_fmac_f64_e32 v[144:145], v[242:243], v[234:235]
	v_add_f64 v[220:221], v[220:221], -v[96:97]
	v_add_f64 v[222:223], v[222:223], -v[144:145]
	v_mov_b64_e32 v[96:97], v[234:235]
.LBB110_650:
	s_or_b64 exec, exec, s[0:1]
	v_lshl_add_u32 v144, v237, 4, v236
	s_barrier
	ds_write2_b64 v144, v[92:93], v[94:95] offset1:1
	s_waitcnt lgkmcnt(0)
	s_barrier
	ds_read2_b64 v[224:227], v236 offset0:62 offset1:63
	s_cmp_lt_i32 s20, 33
	v_mov_b32_e32 v234, 31
	s_cbranch_scc1 .LBB110_653
; %bb.651:
	v_add_u32_e32 v235, 0x200, v236
	s_mov_b32 s16, 32
	v_mov_b32_e32 v234, 31
.LBB110_652:                            ; =>This Inner Loop Header: Depth=1
	ds_read2_b64 v[240:243], v235 offset1:1
	s_waitcnt lgkmcnt(1)
	v_xor_b32_e32 v145, 0x80000000, v225
	v_xor_b32_e32 v147, 0x80000000, v227
	v_cmp_gt_f64_e32 vcc, 0, v[226:227]
	v_cmp_gt_f64_e64 s[0:1], 0, v[224:225]
	v_mov_b32_e32 v144, v224
	v_mov_b32_e32 v146, v226
	v_cndmask_b32_e64 v145, v225, v145, s[0:1]
	v_cndmask_b32_e32 v147, v227, v147, vcc
	v_add_f64 v[144:145], v[144:145], v[146:147]
	s_waitcnt lgkmcnt(0)
	v_xor_b32_e32 v147, 0x80000000, v241
	v_xor_b32_e32 v153, 0x80000000, v243
	v_cmp_gt_f64_e32 vcc, 0, v[242:243]
	v_cmp_gt_f64_e64 s[0:1], 0, v[240:241]
	v_mov_b32_e32 v146, v240
	v_mov_b32_e32 v152, v242
	v_cndmask_b32_e64 v147, v241, v147, s[0:1]
	v_cndmask_b32_e32 v153, v243, v153, vcc
	v_add_f64 v[146:147], v[146:147], v[152:153]
	v_mov_b32_e32 v154, s16
	s_add_i32 s16, s16, 1
	v_cmp_lt_f64_e32 vcc, v[144:145], v[146:147]
	v_add_u32_e32 v235, 16, v235
	s_cmp_lg_u32 s20, s16
	v_cndmask_b32_e32 v225, v225, v241, vcc
	v_cndmask_b32_e32 v224, v224, v240, vcc
	;; [unrolled: 1-line block ×5, first 2 shown]
	s_cbranch_scc1 .LBB110_652
.LBB110_653:
	s_waitcnt lgkmcnt(0)
	v_cmp_eq_f64_e32 vcc, 0, v[224:225]
	v_cmp_eq_f64_e64 s[0:1], 0, v[226:227]
	s_and_b64 s[0:1], vcc, s[0:1]
	s_and_saveexec_b64 s[16:17], s[0:1]
	s_xor_b64 s[0:1], exec, s[16:17]
; %bb.654:
	v_cmp_ne_u32_e32 vcc, 0, v238
	s_nop 1
	v_cndmask_b32_e32 v238, 32, v238, vcc
; %bb.655:
	s_andn2_saveexec_b64 s[0:1], s[0:1]
	s_cbranch_execz .LBB110_661
; %bb.656:
	v_cmp_ngt_f64_e64 s[16:17], |v[224:225]|, |v[226:227]|
	s_and_saveexec_b64 s[18:19], s[16:17]
	s_xor_b64 s[16:17], exec, s[18:19]
	s_cbranch_execz .LBB110_658
; %bb.657:
	v_div_scale_f64 v[144:145], s[18:19], v[226:227], v[226:227], v[224:225]
	v_rcp_f64_e32 v[146:147], v[144:145]
	v_div_scale_f64 v[152:153], vcc, v[224:225], v[226:227], v[224:225]
	v_fma_f64 v[154:155], -v[144:145], v[146:147], 1.0
	v_fmac_f64_e32 v[146:147], v[146:147], v[154:155]
	v_fma_f64 v[154:155], -v[144:145], v[146:147], 1.0
	v_fmac_f64_e32 v[146:147], v[146:147], v[154:155]
	v_mul_f64 v[154:155], v[152:153], v[146:147]
	v_fma_f64 v[144:145], -v[144:145], v[154:155], v[152:153]
	v_div_fmas_f64 v[144:145], v[144:145], v[146:147], v[154:155]
	v_div_fixup_f64 v[144:145], v[144:145], v[226:227], v[224:225]
	v_fmac_f64_e32 v[226:227], v[224:225], v[144:145]
	v_div_scale_f64 v[146:147], s[18:19], v[226:227], v[226:227], 1.0
	v_rcp_f64_e32 v[152:153], v[146:147]
	s_nop 0
	v_fma_f64 v[154:155], -v[146:147], v[152:153], 1.0
	v_fmac_f64_e32 v[152:153], v[152:153], v[154:155]
	v_fma_f64 v[154:155], -v[146:147], v[152:153], 1.0
	v_fmac_f64_e32 v[152:153], v[152:153], v[154:155]
	v_div_scale_f64 v[154:155], vcc, 1.0, v[226:227], 1.0
	v_mul_f64 v[224:225], v[154:155], v[152:153]
	v_fma_f64 v[146:147], -v[146:147], v[224:225], v[154:155]
	s_nop 1
	v_div_fmas_f64 v[146:147], v[146:147], v[152:153], v[224:225]
	v_div_fixup_f64 v[226:227], v[146:147], v[226:227], 1.0
	v_mul_f64 v[224:225], v[144:145], v[226:227]
	v_xor_b32_e32 v227, 0x80000000, v227
.LBB110_658:
	s_andn2_saveexec_b64 s[16:17], s[16:17]
	s_cbranch_execz .LBB110_660
; %bb.659:
	v_div_scale_f64 v[144:145], s[18:19], v[224:225], v[224:225], v[226:227]
	v_rcp_f64_e32 v[146:147], v[144:145]
	v_div_scale_f64 v[152:153], vcc, v[226:227], v[224:225], v[226:227]
	v_fma_f64 v[154:155], -v[144:145], v[146:147], 1.0
	v_fmac_f64_e32 v[146:147], v[146:147], v[154:155]
	v_fma_f64 v[154:155], -v[144:145], v[146:147], 1.0
	v_fmac_f64_e32 v[146:147], v[146:147], v[154:155]
	v_mul_f64 v[154:155], v[152:153], v[146:147]
	v_fma_f64 v[144:145], -v[144:145], v[154:155], v[152:153]
	v_div_fmas_f64 v[144:145], v[144:145], v[146:147], v[154:155]
	v_div_fixup_f64 v[144:145], v[144:145], v[224:225], v[226:227]
	v_fmac_f64_e32 v[224:225], v[226:227], v[144:145]
	v_div_scale_f64 v[146:147], s[18:19], v[224:225], v[224:225], 1.0
	v_rcp_f64_e32 v[152:153], v[146:147]
	s_nop 0
	v_fma_f64 v[154:155], -v[146:147], v[152:153], 1.0
	v_fmac_f64_e32 v[152:153], v[152:153], v[154:155]
	v_fma_f64 v[154:155], -v[146:147], v[152:153], 1.0
	v_fmac_f64_e32 v[152:153], v[152:153], v[154:155]
	v_div_scale_f64 v[154:155], vcc, 1.0, v[224:225], 1.0
	v_mul_f64 v[226:227], v[154:155], v[152:153]
	v_fma_f64 v[146:147], -v[146:147], v[226:227], v[154:155]
	s_nop 1
	v_div_fmas_f64 v[146:147], v[146:147], v[152:153], v[226:227]
	v_div_fixup_f64 v[224:225], v[146:147], v[224:225], 1.0
	v_mul_f64 v[226:227], v[144:145], -v[224:225]
.LBB110_660:
	s_or_b64 exec, exec, s[16:17]
.LBB110_661:
	s_or_b64 exec, exec, s[0:1]
	v_cmp_ne_u32_e32 vcc, v237, v234
	s_and_saveexec_b64 s[0:1], vcc
	s_xor_b64 s[0:1], exec, s[0:1]
	s_cbranch_execz .LBB110_667
; %bb.662:
	v_cmp_eq_u32_e32 vcc, 31, v237
	s_and_saveexec_b64 s[16:17], vcc
	s_cbranch_execz .LBB110_666
; %bb.663:
	v_cmp_ne_u32_e32 vcc, 31, v234
	s_xor_b64 s[18:19], s[14:15], -1
	s_and_b64 s[22:23], s[18:19], vcc
	s_and_saveexec_b64 s[18:19], s[22:23]
	s_cbranch_execz .LBB110_665
; %bb.664:
	v_ashrrev_i32_e32 v235, 31, v234
	v_lshl_add_u64 v[144:145], v[234:235], 2, v[212:213]
	global_load_dword v146, v[144:145], off
	global_load_dword v147, v[212:213], off offset:124
	s_waitcnt vmcnt(1)
	global_store_dword v[212:213], v146, off offset:124
	s_waitcnt vmcnt(1)
	global_store_dword v[144:145], v147, off
.LBB110_665:
	s_or_b64 exec, exec, s[18:19]
	v_mov_b32_e32 v237, v234
	v_mov_b32_e32 v218, v234
.LBB110_666:
	s_or_b64 exec, exec, s[16:17]
.LBB110_667:
	s_andn2_saveexec_b64 s[0:1], s[0:1]
	s_cbranch_execz .LBB110_669
; %bb.668:
	v_mov_b32_e32 v237, 31
	ds_write2_b64 v236, v[88:89], v[90:91] offset0:64 offset1:65
	ds_write2_b64 v236, v[84:85], v[86:87] offset0:66 offset1:67
	;; [unrolled: 1-line block ×24, first 2 shown]
.LBB110_669:
	s_or_b64 exec, exec, s[0:1]
	v_cmp_lt_i32_e32 vcc, 31, v237
	s_waitcnt lgkmcnt(0)
	s_barrier
	s_and_saveexec_b64 s[0:1], vcc
	s_cbranch_execz .LBB110_671
; %bb.670:
	ds_read2_b64 v[240:243], v236 offset0:64 offset1:65
	v_mul_f64 v[144:145], v[226:227], v[94:95]
	v_mul_f64 v[94:95], v[224:225], v[94:95]
	v_fma_f64 v[234:235], v[224:225], v[92:93], -v[144:145]
	v_fmac_f64_e32 v[94:95], v[226:227], v[92:93]
	ds_read2_b64 v[224:227], v236 offset0:66 offset1:67
	s_waitcnt lgkmcnt(1)
	v_mul_f64 v[92:93], v[242:243], v[94:95]
	v_mul_f64 v[144:145], v[240:241], v[94:95]
	v_fma_f64 v[92:93], v[240:241], v[234:235], -v[92:93]
	v_fmac_f64_e32 v[144:145], v[242:243], v[234:235]
	ds_read2_b64 v[240:243], v236 offset0:68 offset1:69
	v_add_f64 v[88:89], v[88:89], -v[92:93]
	v_add_f64 v[90:91], v[90:91], -v[144:145]
	s_waitcnt lgkmcnt(1)
	v_mul_f64 v[92:93], v[226:227], v[94:95]
	v_mul_f64 v[144:145], v[224:225], v[94:95]
	v_fma_f64 v[92:93], v[224:225], v[234:235], -v[92:93]
	v_fmac_f64_e32 v[144:145], v[226:227], v[234:235]
	ds_read2_b64 v[224:227], v236 offset0:70 offset1:71
	v_add_f64 v[84:85], v[84:85], -v[92:93]
	v_add_f64 v[86:87], v[86:87], -v[144:145]
	;; [unrolled: 8-line block ×22, first 2 shown]
	s_waitcnt lgkmcnt(1)
	v_mul_f64 v[92:93], v[242:243], v[94:95]
	v_mul_f64 v[144:145], v[240:241], v[94:95]
	v_fma_f64 v[92:93], v[240:241], v[234:235], -v[92:93]
	v_fmac_f64_e32 v[144:145], v[242:243], v[234:235]
	v_add_f64 v[0:1], v[0:1], -v[92:93]
	v_add_f64 v[2:3], v[2:3], -v[144:145]
	s_waitcnt lgkmcnt(0)
	v_mul_f64 v[92:93], v[226:227], v[94:95]
	v_mul_f64 v[144:145], v[224:225], v[94:95]
	v_fma_f64 v[92:93], v[224:225], v[234:235], -v[92:93]
	v_fmac_f64_e32 v[144:145], v[226:227], v[234:235]
	v_add_f64 v[220:221], v[220:221], -v[92:93]
	v_add_f64 v[222:223], v[222:223], -v[144:145]
	v_mov_b64_e32 v[92:93], v[234:235]
.LBB110_671:
	s_or_b64 exec, exec, s[0:1]
	v_lshl_add_u32 v144, v237, 4, v236
	s_barrier
	ds_write2_b64 v144, v[88:89], v[90:91] offset1:1
	s_waitcnt lgkmcnt(0)
	s_barrier
	ds_read2_b64 v[224:227], v236 offset0:64 offset1:65
	s_cmp_lt_i32 s20, 34
	v_mov_b32_e32 v234, 32
	s_cbranch_scc1 .LBB110_674
; %bb.672:
	v_add_u32_e32 v235, 0x210, v236
	s_mov_b32 s16, 33
	v_mov_b32_e32 v234, 32
.LBB110_673:                            ; =>This Inner Loop Header: Depth=1
	ds_read2_b64 v[240:243], v235 offset1:1
	s_waitcnt lgkmcnt(1)
	v_xor_b32_e32 v145, 0x80000000, v225
	v_xor_b32_e32 v147, 0x80000000, v227
	v_cmp_gt_f64_e32 vcc, 0, v[226:227]
	v_cmp_gt_f64_e64 s[0:1], 0, v[224:225]
	v_mov_b32_e32 v144, v224
	v_mov_b32_e32 v146, v226
	v_cndmask_b32_e64 v145, v225, v145, s[0:1]
	v_cndmask_b32_e32 v147, v227, v147, vcc
	v_add_f64 v[144:145], v[144:145], v[146:147]
	s_waitcnt lgkmcnt(0)
	v_xor_b32_e32 v147, 0x80000000, v241
	v_xor_b32_e32 v153, 0x80000000, v243
	v_cmp_gt_f64_e32 vcc, 0, v[242:243]
	v_cmp_gt_f64_e64 s[0:1], 0, v[240:241]
	v_mov_b32_e32 v146, v240
	v_mov_b32_e32 v152, v242
	v_cndmask_b32_e64 v147, v241, v147, s[0:1]
	v_cndmask_b32_e32 v153, v243, v153, vcc
	v_add_f64 v[146:147], v[146:147], v[152:153]
	v_mov_b32_e32 v154, s16
	s_add_i32 s16, s16, 1
	v_cmp_lt_f64_e32 vcc, v[144:145], v[146:147]
	v_add_u32_e32 v235, 16, v235
	s_cmp_lg_u32 s20, s16
	v_cndmask_b32_e32 v225, v225, v241, vcc
	v_cndmask_b32_e32 v224, v224, v240, vcc
	;; [unrolled: 1-line block ×5, first 2 shown]
	s_cbranch_scc1 .LBB110_673
.LBB110_674:
	s_waitcnt lgkmcnt(0)
	v_cmp_eq_f64_e32 vcc, 0, v[224:225]
	v_cmp_eq_f64_e64 s[0:1], 0, v[226:227]
	s_and_b64 s[0:1], vcc, s[0:1]
	s_and_saveexec_b64 s[16:17], s[0:1]
	s_xor_b64 s[0:1], exec, s[16:17]
; %bb.675:
	v_cmp_ne_u32_e32 vcc, 0, v238
	s_nop 1
	v_cndmask_b32_e32 v238, 33, v238, vcc
; %bb.676:
	s_andn2_saveexec_b64 s[0:1], s[0:1]
	s_cbranch_execz .LBB110_682
; %bb.677:
	v_cmp_ngt_f64_e64 s[16:17], |v[224:225]|, |v[226:227]|
	s_and_saveexec_b64 s[18:19], s[16:17]
	s_xor_b64 s[16:17], exec, s[18:19]
	s_cbranch_execz .LBB110_679
; %bb.678:
	v_div_scale_f64 v[144:145], s[18:19], v[226:227], v[226:227], v[224:225]
	v_rcp_f64_e32 v[146:147], v[144:145]
	v_div_scale_f64 v[152:153], vcc, v[224:225], v[226:227], v[224:225]
	v_fma_f64 v[154:155], -v[144:145], v[146:147], 1.0
	v_fmac_f64_e32 v[146:147], v[146:147], v[154:155]
	v_fma_f64 v[154:155], -v[144:145], v[146:147], 1.0
	v_fmac_f64_e32 v[146:147], v[146:147], v[154:155]
	v_mul_f64 v[154:155], v[152:153], v[146:147]
	v_fma_f64 v[144:145], -v[144:145], v[154:155], v[152:153]
	v_div_fmas_f64 v[144:145], v[144:145], v[146:147], v[154:155]
	v_div_fixup_f64 v[144:145], v[144:145], v[226:227], v[224:225]
	v_fmac_f64_e32 v[226:227], v[224:225], v[144:145]
	v_div_scale_f64 v[146:147], s[18:19], v[226:227], v[226:227], 1.0
	v_rcp_f64_e32 v[152:153], v[146:147]
	s_nop 0
	v_fma_f64 v[154:155], -v[146:147], v[152:153], 1.0
	v_fmac_f64_e32 v[152:153], v[152:153], v[154:155]
	v_fma_f64 v[154:155], -v[146:147], v[152:153], 1.0
	v_fmac_f64_e32 v[152:153], v[152:153], v[154:155]
	v_div_scale_f64 v[154:155], vcc, 1.0, v[226:227], 1.0
	v_mul_f64 v[224:225], v[154:155], v[152:153]
	v_fma_f64 v[146:147], -v[146:147], v[224:225], v[154:155]
	s_nop 1
	v_div_fmas_f64 v[146:147], v[146:147], v[152:153], v[224:225]
	v_div_fixup_f64 v[226:227], v[146:147], v[226:227], 1.0
	v_mul_f64 v[224:225], v[144:145], v[226:227]
	v_xor_b32_e32 v227, 0x80000000, v227
.LBB110_679:
	s_andn2_saveexec_b64 s[16:17], s[16:17]
	s_cbranch_execz .LBB110_681
; %bb.680:
	v_div_scale_f64 v[144:145], s[18:19], v[224:225], v[224:225], v[226:227]
	v_rcp_f64_e32 v[146:147], v[144:145]
	v_div_scale_f64 v[152:153], vcc, v[226:227], v[224:225], v[226:227]
	v_fma_f64 v[154:155], -v[144:145], v[146:147], 1.0
	v_fmac_f64_e32 v[146:147], v[146:147], v[154:155]
	v_fma_f64 v[154:155], -v[144:145], v[146:147], 1.0
	v_fmac_f64_e32 v[146:147], v[146:147], v[154:155]
	v_mul_f64 v[154:155], v[152:153], v[146:147]
	v_fma_f64 v[144:145], -v[144:145], v[154:155], v[152:153]
	v_div_fmas_f64 v[144:145], v[144:145], v[146:147], v[154:155]
	v_div_fixup_f64 v[144:145], v[144:145], v[224:225], v[226:227]
	v_fmac_f64_e32 v[224:225], v[226:227], v[144:145]
	v_div_scale_f64 v[146:147], s[18:19], v[224:225], v[224:225], 1.0
	v_rcp_f64_e32 v[152:153], v[146:147]
	s_nop 0
	v_fma_f64 v[154:155], -v[146:147], v[152:153], 1.0
	v_fmac_f64_e32 v[152:153], v[152:153], v[154:155]
	v_fma_f64 v[154:155], -v[146:147], v[152:153], 1.0
	v_fmac_f64_e32 v[152:153], v[152:153], v[154:155]
	v_div_scale_f64 v[154:155], vcc, 1.0, v[224:225], 1.0
	v_mul_f64 v[226:227], v[154:155], v[152:153]
	v_fma_f64 v[146:147], -v[146:147], v[226:227], v[154:155]
	s_nop 1
	v_div_fmas_f64 v[146:147], v[146:147], v[152:153], v[226:227]
	v_div_fixup_f64 v[224:225], v[146:147], v[224:225], 1.0
	v_mul_f64 v[226:227], v[144:145], -v[224:225]
.LBB110_681:
	s_or_b64 exec, exec, s[16:17]
.LBB110_682:
	s_or_b64 exec, exec, s[0:1]
	v_cmp_ne_u32_e32 vcc, v237, v234
	s_and_saveexec_b64 s[0:1], vcc
	s_xor_b64 s[0:1], exec, s[0:1]
	s_cbranch_execz .LBB110_688
; %bb.683:
	v_cmp_eq_u32_e32 vcc, 32, v237
	s_and_saveexec_b64 s[16:17], vcc
	s_cbranch_execz .LBB110_687
; %bb.684:
	v_cmp_ne_u32_e32 vcc, 32, v234
	s_xor_b64 s[18:19], s[14:15], -1
	s_and_b64 s[22:23], s[18:19], vcc
	s_and_saveexec_b64 s[18:19], s[22:23]
	s_cbranch_execz .LBB110_686
; %bb.685:
	v_ashrrev_i32_e32 v235, 31, v234
	v_lshl_add_u64 v[144:145], v[234:235], 2, v[212:213]
	global_load_dword v146, v[144:145], off
	global_load_dword v147, v[212:213], off offset:128
	s_waitcnt vmcnt(1)
	global_store_dword v[212:213], v146, off offset:128
	s_waitcnt vmcnt(1)
	global_store_dword v[144:145], v147, off
.LBB110_686:
	s_or_b64 exec, exec, s[18:19]
	v_mov_b32_e32 v237, v234
	v_mov_b32_e32 v218, v234
.LBB110_687:
	s_or_b64 exec, exec, s[16:17]
.LBB110_688:
	s_andn2_saveexec_b64 s[0:1], s[0:1]
	s_cbranch_execz .LBB110_690
; %bb.689:
	v_mov_b32_e32 v237, 32
	ds_write2_b64 v236, v[84:85], v[86:87] offset0:66 offset1:67
	ds_write2_b64 v236, v[80:81], v[82:83] offset0:68 offset1:69
	;; [unrolled: 1-line block ×23, first 2 shown]
.LBB110_690:
	s_or_b64 exec, exec, s[0:1]
	v_cmp_lt_i32_e32 vcc, 32, v237
	s_waitcnt lgkmcnt(0)
	s_barrier
	s_and_saveexec_b64 s[0:1], vcc
	s_cbranch_execz .LBB110_692
; %bb.691:
	ds_read2_b64 v[240:243], v236 offset0:66 offset1:67
	v_mul_f64 v[144:145], v[226:227], v[90:91]
	v_mul_f64 v[90:91], v[224:225], v[90:91]
	v_fma_f64 v[234:235], v[224:225], v[88:89], -v[144:145]
	v_fmac_f64_e32 v[90:91], v[226:227], v[88:89]
	ds_read2_b64 v[224:227], v236 offset0:68 offset1:69
	s_waitcnt lgkmcnt(1)
	v_mul_f64 v[88:89], v[242:243], v[90:91]
	v_mul_f64 v[144:145], v[240:241], v[90:91]
	v_fma_f64 v[88:89], v[240:241], v[234:235], -v[88:89]
	v_fmac_f64_e32 v[144:145], v[242:243], v[234:235]
	ds_read2_b64 v[240:243], v236 offset0:70 offset1:71
	v_add_f64 v[84:85], v[84:85], -v[88:89]
	v_add_f64 v[86:87], v[86:87], -v[144:145]
	s_waitcnt lgkmcnt(1)
	v_mul_f64 v[88:89], v[226:227], v[90:91]
	v_mul_f64 v[144:145], v[224:225], v[90:91]
	v_fma_f64 v[88:89], v[224:225], v[234:235], -v[88:89]
	v_fmac_f64_e32 v[144:145], v[226:227], v[234:235]
	ds_read2_b64 v[224:227], v236 offset0:72 offset1:73
	v_add_f64 v[80:81], v[80:81], -v[88:89]
	v_add_f64 v[82:83], v[82:83], -v[144:145]
	s_waitcnt lgkmcnt(1)
	v_mul_f64 v[88:89], v[242:243], v[90:91]
	v_mul_f64 v[144:145], v[240:241], v[90:91]
	v_fma_f64 v[88:89], v[240:241], v[234:235], -v[88:89]
	v_fmac_f64_e32 v[144:145], v[242:243], v[234:235]
	ds_read2_b64 v[240:243], v236 offset0:74 offset1:75
	v_add_f64 v[76:77], v[76:77], -v[88:89]
	v_add_f64 v[78:79], v[78:79], -v[144:145]
	s_waitcnt lgkmcnt(1)
	v_mul_f64 v[88:89], v[226:227], v[90:91]
	v_mul_f64 v[144:145], v[224:225], v[90:91]
	v_fma_f64 v[88:89], v[224:225], v[234:235], -v[88:89]
	v_fmac_f64_e32 v[144:145], v[226:227], v[234:235]
	ds_read2_b64 v[224:227], v236 offset0:76 offset1:77
	v_add_f64 v[72:73], v[72:73], -v[88:89]
	v_add_f64 v[74:75], v[74:75], -v[144:145]
	s_waitcnt lgkmcnt(1)
	v_mul_f64 v[88:89], v[242:243], v[90:91]
	v_mul_f64 v[144:145], v[240:241], v[90:91]
	v_fma_f64 v[88:89], v[240:241], v[234:235], -v[88:89]
	v_fmac_f64_e32 v[144:145], v[242:243], v[234:235]
	ds_read2_b64 v[240:243], v236 offset0:78 offset1:79
	v_add_f64 v[68:69], v[68:69], -v[88:89]
	v_add_f64 v[70:71], v[70:71], -v[144:145]
	s_waitcnt lgkmcnt(1)
	v_mul_f64 v[88:89], v[226:227], v[90:91]
	v_mul_f64 v[144:145], v[224:225], v[90:91]
	v_fma_f64 v[88:89], v[224:225], v[234:235], -v[88:89]
	v_fmac_f64_e32 v[144:145], v[226:227], v[234:235]
	ds_read2_b64 v[224:227], v236 offset0:80 offset1:81
	v_add_f64 v[64:65], v[64:65], -v[88:89]
	v_add_f64 v[66:67], v[66:67], -v[144:145]
	s_waitcnt lgkmcnt(1)
	v_mul_f64 v[88:89], v[242:243], v[90:91]
	v_mul_f64 v[144:145], v[240:241], v[90:91]
	v_fma_f64 v[88:89], v[240:241], v[234:235], -v[88:89]
	v_fmac_f64_e32 v[144:145], v[242:243], v[234:235]
	ds_read2_b64 v[240:243], v236 offset0:82 offset1:83
	v_add_f64 v[60:61], v[60:61], -v[88:89]
	v_add_f64 v[62:63], v[62:63], -v[144:145]
	s_waitcnt lgkmcnt(1)
	v_mul_f64 v[88:89], v[226:227], v[90:91]
	v_mul_f64 v[144:145], v[224:225], v[90:91]
	v_fma_f64 v[88:89], v[224:225], v[234:235], -v[88:89]
	v_fmac_f64_e32 v[144:145], v[226:227], v[234:235]
	ds_read2_b64 v[224:227], v236 offset0:84 offset1:85
	v_add_f64 v[56:57], v[56:57], -v[88:89]
	v_add_f64 v[58:59], v[58:59], -v[144:145]
	s_waitcnt lgkmcnt(1)
	v_mul_f64 v[88:89], v[242:243], v[90:91]
	v_mul_f64 v[144:145], v[240:241], v[90:91]
	v_fma_f64 v[88:89], v[240:241], v[234:235], -v[88:89]
	v_fmac_f64_e32 v[144:145], v[242:243], v[234:235]
	ds_read2_b64 v[240:243], v236 offset0:86 offset1:87
	v_add_f64 v[52:53], v[52:53], -v[88:89]
	v_add_f64 v[54:55], v[54:55], -v[144:145]
	s_waitcnt lgkmcnt(1)
	v_mul_f64 v[88:89], v[226:227], v[90:91]
	v_mul_f64 v[144:145], v[224:225], v[90:91]
	v_fma_f64 v[88:89], v[224:225], v[234:235], -v[88:89]
	v_fmac_f64_e32 v[144:145], v[226:227], v[234:235]
	ds_read2_b64 v[224:227], v236 offset0:88 offset1:89
	v_add_f64 v[48:49], v[48:49], -v[88:89]
	v_add_f64 v[50:51], v[50:51], -v[144:145]
	s_waitcnt lgkmcnt(1)
	v_mul_f64 v[88:89], v[242:243], v[90:91]
	v_mul_f64 v[144:145], v[240:241], v[90:91]
	v_fma_f64 v[88:89], v[240:241], v[234:235], -v[88:89]
	v_fmac_f64_e32 v[144:145], v[242:243], v[234:235]
	ds_read2_b64 v[240:243], v236 offset0:90 offset1:91
	v_add_f64 v[44:45], v[44:45], -v[88:89]
	v_add_f64 v[46:47], v[46:47], -v[144:145]
	s_waitcnt lgkmcnt(1)
	v_mul_f64 v[88:89], v[226:227], v[90:91]
	v_mul_f64 v[144:145], v[224:225], v[90:91]
	v_fma_f64 v[88:89], v[224:225], v[234:235], -v[88:89]
	v_fmac_f64_e32 v[144:145], v[226:227], v[234:235]
	ds_read2_b64 v[224:227], v236 offset0:92 offset1:93
	v_add_f64 v[40:41], v[40:41], -v[88:89]
	v_add_f64 v[42:43], v[42:43], -v[144:145]
	s_waitcnt lgkmcnt(1)
	v_mul_f64 v[88:89], v[242:243], v[90:91]
	v_mul_f64 v[144:145], v[240:241], v[90:91]
	v_fma_f64 v[88:89], v[240:241], v[234:235], -v[88:89]
	v_fmac_f64_e32 v[144:145], v[242:243], v[234:235]
	ds_read2_b64 v[240:243], v236 offset0:94 offset1:95
	v_add_f64 v[36:37], v[36:37], -v[88:89]
	v_add_f64 v[38:39], v[38:39], -v[144:145]
	s_waitcnt lgkmcnt(1)
	v_mul_f64 v[88:89], v[226:227], v[90:91]
	v_mul_f64 v[144:145], v[224:225], v[90:91]
	v_fma_f64 v[88:89], v[224:225], v[234:235], -v[88:89]
	v_fmac_f64_e32 v[144:145], v[226:227], v[234:235]
	ds_read2_b64 v[224:227], v236 offset0:96 offset1:97
	v_add_f64 v[32:33], v[32:33], -v[88:89]
	v_add_f64 v[34:35], v[34:35], -v[144:145]
	s_waitcnt lgkmcnt(1)
	v_mul_f64 v[88:89], v[242:243], v[90:91]
	v_mul_f64 v[144:145], v[240:241], v[90:91]
	v_fma_f64 v[88:89], v[240:241], v[234:235], -v[88:89]
	v_fmac_f64_e32 v[144:145], v[242:243], v[234:235]
	ds_read2_b64 v[240:243], v236 offset0:98 offset1:99
	v_add_f64 v[28:29], v[28:29], -v[88:89]
	v_add_f64 v[30:31], v[30:31], -v[144:145]
	s_waitcnt lgkmcnt(1)
	v_mul_f64 v[88:89], v[226:227], v[90:91]
	v_mul_f64 v[144:145], v[224:225], v[90:91]
	v_fma_f64 v[88:89], v[224:225], v[234:235], -v[88:89]
	v_fmac_f64_e32 v[144:145], v[226:227], v[234:235]
	ds_read2_b64 v[224:227], v236 offset0:100 offset1:101
	v_add_f64 v[24:25], v[24:25], -v[88:89]
	v_add_f64 v[26:27], v[26:27], -v[144:145]
	s_waitcnt lgkmcnt(1)
	v_mul_f64 v[88:89], v[242:243], v[90:91]
	v_mul_f64 v[144:145], v[240:241], v[90:91]
	v_fma_f64 v[88:89], v[240:241], v[234:235], -v[88:89]
	v_fmac_f64_e32 v[144:145], v[242:243], v[234:235]
	ds_read2_b64 v[240:243], v236 offset0:102 offset1:103
	v_add_f64 v[20:21], v[20:21], -v[88:89]
	v_add_f64 v[22:23], v[22:23], -v[144:145]
	s_waitcnt lgkmcnt(1)
	v_mul_f64 v[88:89], v[226:227], v[90:91]
	v_mul_f64 v[144:145], v[224:225], v[90:91]
	v_fma_f64 v[88:89], v[224:225], v[234:235], -v[88:89]
	v_fmac_f64_e32 v[144:145], v[226:227], v[234:235]
	ds_read2_b64 v[224:227], v236 offset0:104 offset1:105
	v_add_f64 v[16:17], v[16:17], -v[88:89]
	v_add_f64 v[18:19], v[18:19], -v[144:145]
	s_waitcnt lgkmcnt(1)
	v_mul_f64 v[88:89], v[242:243], v[90:91]
	v_mul_f64 v[144:145], v[240:241], v[90:91]
	v_fma_f64 v[88:89], v[240:241], v[234:235], -v[88:89]
	v_fmac_f64_e32 v[144:145], v[242:243], v[234:235]
	ds_read2_b64 v[240:243], v236 offset0:106 offset1:107
	v_add_f64 v[12:13], v[12:13], -v[88:89]
	v_add_f64 v[14:15], v[14:15], -v[144:145]
	s_waitcnt lgkmcnt(1)
	v_mul_f64 v[88:89], v[226:227], v[90:91]
	v_mul_f64 v[144:145], v[224:225], v[90:91]
	v_fma_f64 v[88:89], v[224:225], v[234:235], -v[88:89]
	v_fmac_f64_e32 v[144:145], v[226:227], v[234:235]
	ds_read2_b64 v[224:227], v236 offset0:108 offset1:109
	v_add_f64 v[8:9], v[8:9], -v[88:89]
	v_add_f64 v[10:11], v[10:11], -v[144:145]
	s_waitcnt lgkmcnt(1)
	v_mul_f64 v[88:89], v[242:243], v[90:91]
	v_mul_f64 v[144:145], v[240:241], v[90:91]
	v_fma_f64 v[88:89], v[240:241], v[234:235], -v[88:89]
	v_fmac_f64_e32 v[144:145], v[242:243], v[234:235]
	ds_read2_b64 v[240:243], v236 offset0:110 offset1:111
	v_add_f64 v[4:5], v[4:5], -v[88:89]
	v_add_f64 v[6:7], v[6:7], -v[144:145]
	s_waitcnt lgkmcnt(1)
	v_mul_f64 v[88:89], v[226:227], v[90:91]
	v_mul_f64 v[144:145], v[224:225], v[90:91]
	v_fma_f64 v[88:89], v[224:225], v[234:235], -v[88:89]
	v_fmac_f64_e32 v[144:145], v[226:227], v[234:235]
	v_add_f64 v[0:1], v[0:1], -v[88:89]
	v_add_f64 v[2:3], v[2:3], -v[144:145]
	s_waitcnt lgkmcnt(0)
	v_mul_f64 v[88:89], v[242:243], v[90:91]
	v_mul_f64 v[144:145], v[240:241], v[90:91]
	v_fma_f64 v[88:89], v[240:241], v[234:235], -v[88:89]
	v_fmac_f64_e32 v[144:145], v[242:243], v[234:235]
	v_add_f64 v[220:221], v[220:221], -v[88:89]
	v_add_f64 v[222:223], v[222:223], -v[144:145]
	v_mov_b64_e32 v[88:89], v[234:235]
.LBB110_692:
	s_or_b64 exec, exec, s[0:1]
	v_lshl_add_u32 v144, v237, 4, v236
	s_barrier
	ds_write2_b64 v144, v[84:85], v[86:87] offset1:1
	s_waitcnt lgkmcnt(0)
	s_barrier
	ds_read2_b64 v[224:227], v236 offset0:66 offset1:67
	s_cmp_lt_i32 s20, 35
	v_mov_b32_e32 v234, 33
	s_cbranch_scc1 .LBB110_695
; %bb.693:
	v_add_u32_e32 v235, 0x220, v236
	s_mov_b32 s16, 34
	v_mov_b32_e32 v234, 33
.LBB110_694:                            ; =>This Inner Loop Header: Depth=1
	ds_read2_b64 v[240:243], v235 offset1:1
	s_waitcnt lgkmcnt(1)
	v_xor_b32_e32 v145, 0x80000000, v225
	v_xor_b32_e32 v147, 0x80000000, v227
	v_cmp_gt_f64_e32 vcc, 0, v[226:227]
	v_cmp_gt_f64_e64 s[0:1], 0, v[224:225]
	v_mov_b32_e32 v144, v224
	v_mov_b32_e32 v146, v226
	v_cndmask_b32_e64 v145, v225, v145, s[0:1]
	v_cndmask_b32_e32 v147, v227, v147, vcc
	v_add_f64 v[144:145], v[144:145], v[146:147]
	s_waitcnt lgkmcnt(0)
	v_xor_b32_e32 v147, 0x80000000, v241
	v_xor_b32_e32 v153, 0x80000000, v243
	v_cmp_gt_f64_e32 vcc, 0, v[242:243]
	v_cmp_gt_f64_e64 s[0:1], 0, v[240:241]
	v_mov_b32_e32 v146, v240
	v_mov_b32_e32 v152, v242
	v_cndmask_b32_e64 v147, v241, v147, s[0:1]
	v_cndmask_b32_e32 v153, v243, v153, vcc
	v_add_f64 v[146:147], v[146:147], v[152:153]
	v_mov_b32_e32 v154, s16
	s_add_i32 s16, s16, 1
	v_cmp_lt_f64_e32 vcc, v[144:145], v[146:147]
	v_add_u32_e32 v235, 16, v235
	s_cmp_lg_u32 s20, s16
	v_cndmask_b32_e32 v225, v225, v241, vcc
	v_cndmask_b32_e32 v224, v224, v240, vcc
	v_cndmask_b32_e32 v227, v227, v243, vcc
	v_cndmask_b32_e32 v226, v226, v242, vcc
	v_cndmask_b32_e32 v234, v234, v154, vcc
	s_cbranch_scc1 .LBB110_694
.LBB110_695:
	s_waitcnt lgkmcnt(0)
	v_cmp_eq_f64_e32 vcc, 0, v[224:225]
	v_cmp_eq_f64_e64 s[0:1], 0, v[226:227]
	s_and_b64 s[0:1], vcc, s[0:1]
	s_and_saveexec_b64 s[16:17], s[0:1]
	s_xor_b64 s[0:1], exec, s[16:17]
; %bb.696:
	v_cmp_ne_u32_e32 vcc, 0, v238
	s_nop 1
	v_cndmask_b32_e32 v238, 34, v238, vcc
; %bb.697:
	s_andn2_saveexec_b64 s[0:1], s[0:1]
	s_cbranch_execz .LBB110_703
; %bb.698:
	v_cmp_ngt_f64_e64 s[16:17], |v[224:225]|, |v[226:227]|
	s_and_saveexec_b64 s[18:19], s[16:17]
	s_xor_b64 s[16:17], exec, s[18:19]
	s_cbranch_execz .LBB110_700
; %bb.699:
	v_div_scale_f64 v[144:145], s[18:19], v[226:227], v[226:227], v[224:225]
	v_rcp_f64_e32 v[146:147], v[144:145]
	v_div_scale_f64 v[152:153], vcc, v[224:225], v[226:227], v[224:225]
	v_fma_f64 v[154:155], -v[144:145], v[146:147], 1.0
	v_fmac_f64_e32 v[146:147], v[146:147], v[154:155]
	v_fma_f64 v[154:155], -v[144:145], v[146:147], 1.0
	v_fmac_f64_e32 v[146:147], v[146:147], v[154:155]
	v_mul_f64 v[154:155], v[152:153], v[146:147]
	v_fma_f64 v[144:145], -v[144:145], v[154:155], v[152:153]
	v_div_fmas_f64 v[144:145], v[144:145], v[146:147], v[154:155]
	v_div_fixup_f64 v[144:145], v[144:145], v[226:227], v[224:225]
	v_fmac_f64_e32 v[226:227], v[224:225], v[144:145]
	v_div_scale_f64 v[146:147], s[18:19], v[226:227], v[226:227], 1.0
	v_rcp_f64_e32 v[152:153], v[146:147]
	s_nop 0
	v_fma_f64 v[154:155], -v[146:147], v[152:153], 1.0
	v_fmac_f64_e32 v[152:153], v[152:153], v[154:155]
	v_fma_f64 v[154:155], -v[146:147], v[152:153], 1.0
	v_fmac_f64_e32 v[152:153], v[152:153], v[154:155]
	v_div_scale_f64 v[154:155], vcc, 1.0, v[226:227], 1.0
	v_mul_f64 v[224:225], v[154:155], v[152:153]
	v_fma_f64 v[146:147], -v[146:147], v[224:225], v[154:155]
	s_nop 1
	v_div_fmas_f64 v[146:147], v[146:147], v[152:153], v[224:225]
	v_div_fixup_f64 v[226:227], v[146:147], v[226:227], 1.0
	v_mul_f64 v[224:225], v[144:145], v[226:227]
	v_xor_b32_e32 v227, 0x80000000, v227
.LBB110_700:
	s_andn2_saveexec_b64 s[16:17], s[16:17]
	s_cbranch_execz .LBB110_702
; %bb.701:
	v_div_scale_f64 v[144:145], s[18:19], v[224:225], v[224:225], v[226:227]
	v_rcp_f64_e32 v[146:147], v[144:145]
	v_div_scale_f64 v[152:153], vcc, v[226:227], v[224:225], v[226:227]
	v_fma_f64 v[154:155], -v[144:145], v[146:147], 1.0
	v_fmac_f64_e32 v[146:147], v[146:147], v[154:155]
	v_fma_f64 v[154:155], -v[144:145], v[146:147], 1.0
	v_fmac_f64_e32 v[146:147], v[146:147], v[154:155]
	v_mul_f64 v[154:155], v[152:153], v[146:147]
	v_fma_f64 v[144:145], -v[144:145], v[154:155], v[152:153]
	v_div_fmas_f64 v[144:145], v[144:145], v[146:147], v[154:155]
	v_div_fixup_f64 v[144:145], v[144:145], v[224:225], v[226:227]
	v_fmac_f64_e32 v[224:225], v[226:227], v[144:145]
	v_div_scale_f64 v[146:147], s[18:19], v[224:225], v[224:225], 1.0
	v_rcp_f64_e32 v[152:153], v[146:147]
	s_nop 0
	v_fma_f64 v[154:155], -v[146:147], v[152:153], 1.0
	v_fmac_f64_e32 v[152:153], v[152:153], v[154:155]
	v_fma_f64 v[154:155], -v[146:147], v[152:153], 1.0
	v_fmac_f64_e32 v[152:153], v[152:153], v[154:155]
	v_div_scale_f64 v[154:155], vcc, 1.0, v[224:225], 1.0
	v_mul_f64 v[226:227], v[154:155], v[152:153]
	v_fma_f64 v[146:147], -v[146:147], v[226:227], v[154:155]
	s_nop 1
	v_div_fmas_f64 v[146:147], v[146:147], v[152:153], v[226:227]
	v_div_fixup_f64 v[224:225], v[146:147], v[224:225], 1.0
	v_mul_f64 v[226:227], v[144:145], -v[224:225]
.LBB110_702:
	s_or_b64 exec, exec, s[16:17]
.LBB110_703:
	s_or_b64 exec, exec, s[0:1]
	v_cmp_ne_u32_e32 vcc, v237, v234
	s_and_saveexec_b64 s[0:1], vcc
	s_xor_b64 s[0:1], exec, s[0:1]
	s_cbranch_execz .LBB110_709
; %bb.704:
	v_cmp_eq_u32_e32 vcc, 33, v237
	s_and_saveexec_b64 s[16:17], vcc
	s_cbranch_execz .LBB110_708
; %bb.705:
	v_cmp_ne_u32_e32 vcc, 33, v234
	s_xor_b64 s[18:19], s[14:15], -1
	s_and_b64 s[22:23], s[18:19], vcc
	s_and_saveexec_b64 s[18:19], s[22:23]
	s_cbranch_execz .LBB110_707
; %bb.706:
	v_ashrrev_i32_e32 v235, 31, v234
	v_lshl_add_u64 v[144:145], v[234:235], 2, v[212:213]
	global_load_dword v146, v[144:145], off
	global_load_dword v147, v[212:213], off offset:132
	s_waitcnt vmcnt(1)
	global_store_dword v[212:213], v146, off offset:132
	s_waitcnt vmcnt(1)
	global_store_dword v[144:145], v147, off
.LBB110_707:
	s_or_b64 exec, exec, s[18:19]
	v_mov_b32_e32 v237, v234
	v_mov_b32_e32 v218, v234
.LBB110_708:
	s_or_b64 exec, exec, s[16:17]
.LBB110_709:
	s_andn2_saveexec_b64 s[0:1], s[0:1]
	s_cbranch_execz .LBB110_711
; %bb.710:
	v_mov_b32_e32 v237, 33
	ds_write2_b64 v236, v[80:81], v[82:83] offset0:68 offset1:69
	ds_write2_b64 v236, v[76:77], v[78:79] offset0:70 offset1:71
	;; [unrolled: 1-line block ×22, first 2 shown]
.LBB110_711:
	s_or_b64 exec, exec, s[0:1]
	v_cmp_lt_i32_e32 vcc, 33, v237
	s_waitcnt lgkmcnt(0)
	s_barrier
	s_and_saveexec_b64 s[0:1], vcc
	s_cbranch_execz .LBB110_713
; %bb.712:
	ds_read2_b64 v[240:243], v236 offset0:68 offset1:69
	v_mul_f64 v[144:145], v[226:227], v[86:87]
	v_mul_f64 v[86:87], v[224:225], v[86:87]
	v_fma_f64 v[234:235], v[224:225], v[84:85], -v[144:145]
	v_fmac_f64_e32 v[86:87], v[226:227], v[84:85]
	ds_read2_b64 v[224:227], v236 offset0:70 offset1:71
	s_waitcnt lgkmcnt(1)
	v_mul_f64 v[84:85], v[242:243], v[86:87]
	v_mul_f64 v[144:145], v[240:241], v[86:87]
	v_fma_f64 v[84:85], v[240:241], v[234:235], -v[84:85]
	v_fmac_f64_e32 v[144:145], v[242:243], v[234:235]
	ds_read2_b64 v[240:243], v236 offset0:72 offset1:73
	v_add_f64 v[80:81], v[80:81], -v[84:85]
	v_add_f64 v[82:83], v[82:83], -v[144:145]
	s_waitcnt lgkmcnt(1)
	v_mul_f64 v[84:85], v[226:227], v[86:87]
	v_mul_f64 v[144:145], v[224:225], v[86:87]
	v_fma_f64 v[84:85], v[224:225], v[234:235], -v[84:85]
	v_fmac_f64_e32 v[144:145], v[226:227], v[234:235]
	ds_read2_b64 v[224:227], v236 offset0:74 offset1:75
	v_add_f64 v[76:77], v[76:77], -v[84:85]
	v_add_f64 v[78:79], v[78:79], -v[144:145]
	s_waitcnt lgkmcnt(1)
	v_mul_f64 v[84:85], v[242:243], v[86:87]
	v_mul_f64 v[144:145], v[240:241], v[86:87]
	v_fma_f64 v[84:85], v[240:241], v[234:235], -v[84:85]
	v_fmac_f64_e32 v[144:145], v[242:243], v[234:235]
	ds_read2_b64 v[240:243], v236 offset0:76 offset1:77
	v_add_f64 v[72:73], v[72:73], -v[84:85]
	v_add_f64 v[74:75], v[74:75], -v[144:145]
	s_waitcnt lgkmcnt(1)
	v_mul_f64 v[84:85], v[226:227], v[86:87]
	v_mul_f64 v[144:145], v[224:225], v[86:87]
	v_fma_f64 v[84:85], v[224:225], v[234:235], -v[84:85]
	v_fmac_f64_e32 v[144:145], v[226:227], v[234:235]
	ds_read2_b64 v[224:227], v236 offset0:78 offset1:79
	v_add_f64 v[68:69], v[68:69], -v[84:85]
	v_add_f64 v[70:71], v[70:71], -v[144:145]
	s_waitcnt lgkmcnt(1)
	v_mul_f64 v[84:85], v[242:243], v[86:87]
	v_mul_f64 v[144:145], v[240:241], v[86:87]
	v_fma_f64 v[84:85], v[240:241], v[234:235], -v[84:85]
	v_fmac_f64_e32 v[144:145], v[242:243], v[234:235]
	ds_read2_b64 v[240:243], v236 offset0:80 offset1:81
	v_add_f64 v[64:65], v[64:65], -v[84:85]
	v_add_f64 v[66:67], v[66:67], -v[144:145]
	s_waitcnt lgkmcnt(1)
	v_mul_f64 v[84:85], v[226:227], v[86:87]
	v_mul_f64 v[144:145], v[224:225], v[86:87]
	v_fma_f64 v[84:85], v[224:225], v[234:235], -v[84:85]
	v_fmac_f64_e32 v[144:145], v[226:227], v[234:235]
	ds_read2_b64 v[224:227], v236 offset0:82 offset1:83
	v_add_f64 v[60:61], v[60:61], -v[84:85]
	v_add_f64 v[62:63], v[62:63], -v[144:145]
	s_waitcnt lgkmcnt(1)
	v_mul_f64 v[84:85], v[242:243], v[86:87]
	v_mul_f64 v[144:145], v[240:241], v[86:87]
	v_fma_f64 v[84:85], v[240:241], v[234:235], -v[84:85]
	v_fmac_f64_e32 v[144:145], v[242:243], v[234:235]
	ds_read2_b64 v[240:243], v236 offset0:84 offset1:85
	v_add_f64 v[56:57], v[56:57], -v[84:85]
	v_add_f64 v[58:59], v[58:59], -v[144:145]
	s_waitcnt lgkmcnt(1)
	v_mul_f64 v[84:85], v[226:227], v[86:87]
	v_mul_f64 v[144:145], v[224:225], v[86:87]
	v_fma_f64 v[84:85], v[224:225], v[234:235], -v[84:85]
	v_fmac_f64_e32 v[144:145], v[226:227], v[234:235]
	ds_read2_b64 v[224:227], v236 offset0:86 offset1:87
	v_add_f64 v[52:53], v[52:53], -v[84:85]
	v_add_f64 v[54:55], v[54:55], -v[144:145]
	s_waitcnt lgkmcnt(1)
	v_mul_f64 v[84:85], v[242:243], v[86:87]
	v_mul_f64 v[144:145], v[240:241], v[86:87]
	v_fma_f64 v[84:85], v[240:241], v[234:235], -v[84:85]
	v_fmac_f64_e32 v[144:145], v[242:243], v[234:235]
	ds_read2_b64 v[240:243], v236 offset0:88 offset1:89
	v_add_f64 v[48:49], v[48:49], -v[84:85]
	v_add_f64 v[50:51], v[50:51], -v[144:145]
	s_waitcnt lgkmcnt(1)
	v_mul_f64 v[84:85], v[226:227], v[86:87]
	v_mul_f64 v[144:145], v[224:225], v[86:87]
	v_fma_f64 v[84:85], v[224:225], v[234:235], -v[84:85]
	v_fmac_f64_e32 v[144:145], v[226:227], v[234:235]
	ds_read2_b64 v[224:227], v236 offset0:90 offset1:91
	v_add_f64 v[44:45], v[44:45], -v[84:85]
	v_add_f64 v[46:47], v[46:47], -v[144:145]
	s_waitcnt lgkmcnt(1)
	v_mul_f64 v[84:85], v[242:243], v[86:87]
	v_mul_f64 v[144:145], v[240:241], v[86:87]
	v_fma_f64 v[84:85], v[240:241], v[234:235], -v[84:85]
	v_fmac_f64_e32 v[144:145], v[242:243], v[234:235]
	ds_read2_b64 v[240:243], v236 offset0:92 offset1:93
	v_add_f64 v[40:41], v[40:41], -v[84:85]
	v_add_f64 v[42:43], v[42:43], -v[144:145]
	s_waitcnt lgkmcnt(1)
	v_mul_f64 v[84:85], v[226:227], v[86:87]
	v_mul_f64 v[144:145], v[224:225], v[86:87]
	v_fma_f64 v[84:85], v[224:225], v[234:235], -v[84:85]
	v_fmac_f64_e32 v[144:145], v[226:227], v[234:235]
	ds_read2_b64 v[224:227], v236 offset0:94 offset1:95
	v_add_f64 v[36:37], v[36:37], -v[84:85]
	v_add_f64 v[38:39], v[38:39], -v[144:145]
	s_waitcnt lgkmcnt(1)
	v_mul_f64 v[84:85], v[242:243], v[86:87]
	v_mul_f64 v[144:145], v[240:241], v[86:87]
	v_fma_f64 v[84:85], v[240:241], v[234:235], -v[84:85]
	v_fmac_f64_e32 v[144:145], v[242:243], v[234:235]
	ds_read2_b64 v[240:243], v236 offset0:96 offset1:97
	v_add_f64 v[32:33], v[32:33], -v[84:85]
	v_add_f64 v[34:35], v[34:35], -v[144:145]
	s_waitcnt lgkmcnt(1)
	v_mul_f64 v[84:85], v[226:227], v[86:87]
	v_mul_f64 v[144:145], v[224:225], v[86:87]
	v_fma_f64 v[84:85], v[224:225], v[234:235], -v[84:85]
	v_fmac_f64_e32 v[144:145], v[226:227], v[234:235]
	ds_read2_b64 v[224:227], v236 offset0:98 offset1:99
	v_add_f64 v[28:29], v[28:29], -v[84:85]
	v_add_f64 v[30:31], v[30:31], -v[144:145]
	s_waitcnt lgkmcnt(1)
	v_mul_f64 v[84:85], v[242:243], v[86:87]
	v_mul_f64 v[144:145], v[240:241], v[86:87]
	v_fma_f64 v[84:85], v[240:241], v[234:235], -v[84:85]
	v_fmac_f64_e32 v[144:145], v[242:243], v[234:235]
	ds_read2_b64 v[240:243], v236 offset0:100 offset1:101
	v_add_f64 v[24:25], v[24:25], -v[84:85]
	v_add_f64 v[26:27], v[26:27], -v[144:145]
	s_waitcnt lgkmcnt(1)
	v_mul_f64 v[84:85], v[226:227], v[86:87]
	v_mul_f64 v[144:145], v[224:225], v[86:87]
	v_fma_f64 v[84:85], v[224:225], v[234:235], -v[84:85]
	v_fmac_f64_e32 v[144:145], v[226:227], v[234:235]
	ds_read2_b64 v[224:227], v236 offset0:102 offset1:103
	v_add_f64 v[20:21], v[20:21], -v[84:85]
	v_add_f64 v[22:23], v[22:23], -v[144:145]
	s_waitcnt lgkmcnt(1)
	v_mul_f64 v[84:85], v[242:243], v[86:87]
	v_mul_f64 v[144:145], v[240:241], v[86:87]
	v_fma_f64 v[84:85], v[240:241], v[234:235], -v[84:85]
	v_fmac_f64_e32 v[144:145], v[242:243], v[234:235]
	ds_read2_b64 v[240:243], v236 offset0:104 offset1:105
	v_add_f64 v[16:17], v[16:17], -v[84:85]
	v_add_f64 v[18:19], v[18:19], -v[144:145]
	s_waitcnt lgkmcnt(1)
	v_mul_f64 v[84:85], v[226:227], v[86:87]
	v_mul_f64 v[144:145], v[224:225], v[86:87]
	v_fma_f64 v[84:85], v[224:225], v[234:235], -v[84:85]
	v_fmac_f64_e32 v[144:145], v[226:227], v[234:235]
	ds_read2_b64 v[224:227], v236 offset0:106 offset1:107
	v_add_f64 v[12:13], v[12:13], -v[84:85]
	v_add_f64 v[14:15], v[14:15], -v[144:145]
	s_waitcnt lgkmcnt(1)
	v_mul_f64 v[84:85], v[242:243], v[86:87]
	v_mul_f64 v[144:145], v[240:241], v[86:87]
	v_fma_f64 v[84:85], v[240:241], v[234:235], -v[84:85]
	v_fmac_f64_e32 v[144:145], v[242:243], v[234:235]
	ds_read2_b64 v[240:243], v236 offset0:108 offset1:109
	v_add_f64 v[8:9], v[8:9], -v[84:85]
	v_add_f64 v[10:11], v[10:11], -v[144:145]
	s_waitcnt lgkmcnt(1)
	v_mul_f64 v[84:85], v[226:227], v[86:87]
	v_mul_f64 v[144:145], v[224:225], v[86:87]
	v_fma_f64 v[84:85], v[224:225], v[234:235], -v[84:85]
	v_fmac_f64_e32 v[144:145], v[226:227], v[234:235]
	ds_read2_b64 v[224:227], v236 offset0:110 offset1:111
	v_add_f64 v[4:5], v[4:5], -v[84:85]
	v_add_f64 v[6:7], v[6:7], -v[144:145]
	s_waitcnt lgkmcnt(1)
	v_mul_f64 v[84:85], v[242:243], v[86:87]
	v_mul_f64 v[144:145], v[240:241], v[86:87]
	v_fma_f64 v[84:85], v[240:241], v[234:235], -v[84:85]
	v_fmac_f64_e32 v[144:145], v[242:243], v[234:235]
	v_add_f64 v[0:1], v[0:1], -v[84:85]
	v_add_f64 v[2:3], v[2:3], -v[144:145]
	s_waitcnt lgkmcnt(0)
	v_mul_f64 v[84:85], v[226:227], v[86:87]
	v_mul_f64 v[144:145], v[224:225], v[86:87]
	v_fma_f64 v[84:85], v[224:225], v[234:235], -v[84:85]
	v_fmac_f64_e32 v[144:145], v[226:227], v[234:235]
	v_add_f64 v[220:221], v[220:221], -v[84:85]
	v_add_f64 v[222:223], v[222:223], -v[144:145]
	v_mov_b64_e32 v[84:85], v[234:235]
.LBB110_713:
	s_or_b64 exec, exec, s[0:1]
	v_lshl_add_u32 v144, v237, 4, v236
	s_barrier
	ds_write2_b64 v144, v[80:81], v[82:83] offset1:1
	s_waitcnt lgkmcnt(0)
	s_barrier
	ds_read2_b64 v[224:227], v236 offset0:68 offset1:69
	s_cmp_lt_i32 s20, 36
	v_mov_b32_e32 v234, 34
	s_cbranch_scc1 .LBB110_716
; %bb.714:
	v_add_u32_e32 v235, 0x230, v236
	s_mov_b32 s16, 35
	v_mov_b32_e32 v234, 34
.LBB110_715:                            ; =>This Inner Loop Header: Depth=1
	ds_read2_b64 v[240:243], v235 offset1:1
	s_waitcnt lgkmcnt(1)
	v_xor_b32_e32 v145, 0x80000000, v225
	v_xor_b32_e32 v147, 0x80000000, v227
	v_cmp_gt_f64_e32 vcc, 0, v[226:227]
	v_cmp_gt_f64_e64 s[0:1], 0, v[224:225]
	v_mov_b32_e32 v144, v224
	v_mov_b32_e32 v146, v226
	v_cndmask_b32_e64 v145, v225, v145, s[0:1]
	v_cndmask_b32_e32 v147, v227, v147, vcc
	v_add_f64 v[144:145], v[144:145], v[146:147]
	s_waitcnt lgkmcnt(0)
	v_xor_b32_e32 v147, 0x80000000, v241
	v_xor_b32_e32 v153, 0x80000000, v243
	v_cmp_gt_f64_e32 vcc, 0, v[242:243]
	v_cmp_gt_f64_e64 s[0:1], 0, v[240:241]
	v_mov_b32_e32 v146, v240
	v_mov_b32_e32 v152, v242
	v_cndmask_b32_e64 v147, v241, v147, s[0:1]
	v_cndmask_b32_e32 v153, v243, v153, vcc
	v_add_f64 v[146:147], v[146:147], v[152:153]
	v_mov_b32_e32 v154, s16
	s_add_i32 s16, s16, 1
	v_cmp_lt_f64_e32 vcc, v[144:145], v[146:147]
	v_add_u32_e32 v235, 16, v235
	s_cmp_lg_u32 s20, s16
	v_cndmask_b32_e32 v225, v225, v241, vcc
	v_cndmask_b32_e32 v224, v224, v240, vcc
	;; [unrolled: 1-line block ×5, first 2 shown]
	s_cbranch_scc1 .LBB110_715
.LBB110_716:
	s_waitcnt lgkmcnt(0)
	v_cmp_eq_f64_e32 vcc, 0, v[224:225]
	v_cmp_eq_f64_e64 s[0:1], 0, v[226:227]
	s_and_b64 s[0:1], vcc, s[0:1]
	s_and_saveexec_b64 s[16:17], s[0:1]
	s_xor_b64 s[0:1], exec, s[16:17]
; %bb.717:
	v_cmp_ne_u32_e32 vcc, 0, v238
	s_nop 1
	v_cndmask_b32_e32 v238, 35, v238, vcc
; %bb.718:
	s_andn2_saveexec_b64 s[0:1], s[0:1]
	s_cbranch_execz .LBB110_724
; %bb.719:
	v_cmp_ngt_f64_e64 s[16:17], |v[224:225]|, |v[226:227]|
	s_and_saveexec_b64 s[18:19], s[16:17]
	s_xor_b64 s[16:17], exec, s[18:19]
	s_cbranch_execz .LBB110_721
; %bb.720:
	v_div_scale_f64 v[144:145], s[18:19], v[226:227], v[226:227], v[224:225]
	v_rcp_f64_e32 v[146:147], v[144:145]
	v_div_scale_f64 v[152:153], vcc, v[224:225], v[226:227], v[224:225]
	v_fma_f64 v[154:155], -v[144:145], v[146:147], 1.0
	v_fmac_f64_e32 v[146:147], v[146:147], v[154:155]
	v_fma_f64 v[154:155], -v[144:145], v[146:147], 1.0
	v_fmac_f64_e32 v[146:147], v[146:147], v[154:155]
	v_mul_f64 v[154:155], v[152:153], v[146:147]
	v_fma_f64 v[144:145], -v[144:145], v[154:155], v[152:153]
	v_div_fmas_f64 v[144:145], v[144:145], v[146:147], v[154:155]
	v_div_fixup_f64 v[144:145], v[144:145], v[226:227], v[224:225]
	v_fmac_f64_e32 v[226:227], v[224:225], v[144:145]
	v_div_scale_f64 v[146:147], s[18:19], v[226:227], v[226:227], 1.0
	v_rcp_f64_e32 v[152:153], v[146:147]
	s_nop 0
	v_fma_f64 v[154:155], -v[146:147], v[152:153], 1.0
	v_fmac_f64_e32 v[152:153], v[152:153], v[154:155]
	v_fma_f64 v[154:155], -v[146:147], v[152:153], 1.0
	v_fmac_f64_e32 v[152:153], v[152:153], v[154:155]
	v_div_scale_f64 v[154:155], vcc, 1.0, v[226:227], 1.0
	v_mul_f64 v[224:225], v[154:155], v[152:153]
	v_fma_f64 v[146:147], -v[146:147], v[224:225], v[154:155]
	s_nop 1
	v_div_fmas_f64 v[146:147], v[146:147], v[152:153], v[224:225]
	v_div_fixup_f64 v[226:227], v[146:147], v[226:227], 1.0
	v_mul_f64 v[224:225], v[144:145], v[226:227]
	v_xor_b32_e32 v227, 0x80000000, v227
.LBB110_721:
	s_andn2_saveexec_b64 s[16:17], s[16:17]
	s_cbranch_execz .LBB110_723
; %bb.722:
	v_div_scale_f64 v[144:145], s[18:19], v[224:225], v[224:225], v[226:227]
	v_rcp_f64_e32 v[146:147], v[144:145]
	v_div_scale_f64 v[152:153], vcc, v[226:227], v[224:225], v[226:227]
	v_fma_f64 v[154:155], -v[144:145], v[146:147], 1.0
	v_fmac_f64_e32 v[146:147], v[146:147], v[154:155]
	v_fma_f64 v[154:155], -v[144:145], v[146:147], 1.0
	v_fmac_f64_e32 v[146:147], v[146:147], v[154:155]
	v_mul_f64 v[154:155], v[152:153], v[146:147]
	v_fma_f64 v[144:145], -v[144:145], v[154:155], v[152:153]
	v_div_fmas_f64 v[144:145], v[144:145], v[146:147], v[154:155]
	v_div_fixup_f64 v[144:145], v[144:145], v[224:225], v[226:227]
	v_fmac_f64_e32 v[224:225], v[226:227], v[144:145]
	v_div_scale_f64 v[146:147], s[18:19], v[224:225], v[224:225], 1.0
	v_rcp_f64_e32 v[152:153], v[146:147]
	s_nop 0
	v_fma_f64 v[154:155], -v[146:147], v[152:153], 1.0
	v_fmac_f64_e32 v[152:153], v[152:153], v[154:155]
	v_fma_f64 v[154:155], -v[146:147], v[152:153], 1.0
	v_fmac_f64_e32 v[152:153], v[152:153], v[154:155]
	v_div_scale_f64 v[154:155], vcc, 1.0, v[224:225], 1.0
	v_mul_f64 v[226:227], v[154:155], v[152:153]
	v_fma_f64 v[146:147], -v[146:147], v[226:227], v[154:155]
	s_nop 1
	v_div_fmas_f64 v[146:147], v[146:147], v[152:153], v[226:227]
	v_div_fixup_f64 v[224:225], v[146:147], v[224:225], 1.0
	v_mul_f64 v[226:227], v[144:145], -v[224:225]
.LBB110_723:
	s_or_b64 exec, exec, s[16:17]
.LBB110_724:
	s_or_b64 exec, exec, s[0:1]
	v_cmp_ne_u32_e32 vcc, v237, v234
	s_and_saveexec_b64 s[0:1], vcc
	s_xor_b64 s[0:1], exec, s[0:1]
	s_cbranch_execz .LBB110_730
; %bb.725:
	v_cmp_eq_u32_e32 vcc, 34, v237
	s_and_saveexec_b64 s[16:17], vcc
	s_cbranch_execz .LBB110_729
; %bb.726:
	v_cmp_ne_u32_e32 vcc, 34, v234
	s_xor_b64 s[18:19], s[14:15], -1
	s_and_b64 s[22:23], s[18:19], vcc
	s_and_saveexec_b64 s[18:19], s[22:23]
	s_cbranch_execz .LBB110_728
; %bb.727:
	v_ashrrev_i32_e32 v235, 31, v234
	v_lshl_add_u64 v[144:145], v[234:235], 2, v[212:213]
	global_load_dword v146, v[144:145], off
	global_load_dword v147, v[212:213], off offset:136
	s_waitcnt vmcnt(1)
	global_store_dword v[212:213], v146, off offset:136
	s_waitcnt vmcnt(1)
	global_store_dword v[144:145], v147, off
.LBB110_728:
	s_or_b64 exec, exec, s[18:19]
	v_mov_b32_e32 v237, v234
	v_mov_b32_e32 v218, v234
.LBB110_729:
	s_or_b64 exec, exec, s[16:17]
.LBB110_730:
	s_andn2_saveexec_b64 s[0:1], s[0:1]
	s_cbranch_execz .LBB110_732
; %bb.731:
	v_mov_b32_e32 v237, 34
	ds_write2_b64 v236, v[76:77], v[78:79] offset0:70 offset1:71
	ds_write2_b64 v236, v[72:73], v[74:75] offset0:72 offset1:73
	;; [unrolled: 1-line block ×21, first 2 shown]
.LBB110_732:
	s_or_b64 exec, exec, s[0:1]
	v_cmp_lt_i32_e32 vcc, 34, v237
	s_waitcnt lgkmcnt(0)
	s_barrier
	s_and_saveexec_b64 s[0:1], vcc
	s_cbranch_execz .LBB110_734
; %bb.733:
	ds_read2_b64 v[240:243], v236 offset0:70 offset1:71
	v_mul_f64 v[144:145], v[226:227], v[82:83]
	v_mul_f64 v[82:83], v[224:225], v[82:83]
	v_fma_f64 v[234:235], v[224:225], v[80:81], -v[144:145]
	v_fmac_f64_e32 v[82:83], v[226:227], v[80:81]
	ds_read2_b64 v[224:227], v236 offset0:72 offset1:73
	s_waitcnt lgkmcnt(1)
	v_mul_f64 v[80:81], v[242:243], v[82:83]
	v_mul_f64 v[144:145], v[240:241], v[82:83]
	v_fma_f64 v[80:81], v[240:241], v[234:235], -v[80:81]
	v_fmac_f64_e32 v[144:145], v[242:243], v[234:235]
	ds_read2_b64 v[240:243], v236 offset0:74 offset1:75
	v_add_f64 v[76:77], v[76:77], -v[80:81]
	v_add_f64 v[78:79], v[78:79], -v[144:145]
	s_waitcnt lgkmcnt(1)
	v_mul_f64 v[80:81], v[226:227], v[82:83]
	v_mul_f64 v[144:145], v[224:225], v[82:83]
	v_fma_f64 v[80:81], v[224:225], v[234:235], -v[80:81]
	v_fmac_f64_e32 v[144:145], v[226:227], v[234:235]
	ds_read2_b64 v[224:227], v236 offset0:76 offset1:77
	v_add_f64 v[72:73], v[72:73], -v[80:81]
	v_add_f64 v[74:75], v[74:75], -v[144:145]
	;; [unrolled: 8-line block ×19, first 2 shown]
	s_waitcnt lgkmcnt(1)
	v_mul_f64 v[80:81], v[226:227], v[82:83]
	v_mul_f64 v[144:145], v[224:225], v[82:83]
	v_fma_f64 v[80:81], v[224:225], v[234:235], -v[80:81]
	v_fmac_f64_e32 v[144:145], v[226:227], v[234:235]
	v_add_f64 v[0:1], v[0:1], -v[80:81]
	v_add_f64 v[2:3], v[2:3], -v[144:145]
	s_waitcnt lgkmcnt(0)
	v_mul_f64 v[80:81], v[242:243], v[82:83]
	v_mul_f64 v[144:145], v[240:241], v[82:83]
	v_fma_f64 v[80:81], v[240:241], v[234:235], -v[80:81]
	v_fmac_f64_e32 v[144:145], v[242:243], v[234:235]
	v_add_f64 v[220:221], v[220:221], -v[80:81]
	v_add_f64 v[222:223], v[222:223], -v[144:145]
	v_mov_b64_e32 v[80:81], v[234:235]
.LBB110_734:
	s_or_b64 exec, exec, s[0:1]
	v_lshl_add_u32 v144, v237, 4, v236
	s_barrier
	ds_write2_b64 v144, v[76:77], v[78:79] offset1:1
	s_waitcnt lgkmcnt(0)
	s_barrier
	ds_read2_b64 v[224:227], v236 offset0:70 offset1:71
	s_cmp_lt_i32 s20, 37
	v_mov_b32_e32 v234, 35
	s_cbranch_scc1 .LBB110_737
; %bb.735:
	v_add_u32_e32 v235, 0x240, v236
	s_mov_b32 s16, 36
	v_mov_b32_e32 v234, 35
.LBB110_736:                            ; =>This Inner Loop Header: Depth=1
	ds_read2_b64 v[240:243], v235 offset1:1
	s_waitcnt lgkmcnt(1)
	v_xor_b32_e32 v145, 0x80000000, v225
	v_xor_b32_e32 v147, 0x80000000, v227
	v_cmp_gt_f64_e32 vcc, 0, v[226:227]
	v_cmp_gt_f64_e64 s[0:1], 0, v[224:225]
	v_mov_b32_e32 v144, v224
	v_mov_b32_e32 v146, v226
	v_cndmask_b32_e64 v145, v225, v145, s[0:1]
	v_cndmask_b32_e32 v147, v227, v147, vcc
	v_add_f64 v[144:145], v[144:145], v[146:147]
	s_waitcnt lgkmcnt(0)
	v_xor_b32_e32 v147, 0x80000000, v241
	v_xor_b32_e32 v153, 0x80000000, v243
	v_cmp_gt_f64_e32 vcc, 0, v[242:243]
	v_cmp_gt_f64_e64 s[0:1], 0, v[240:241]
	v_mov_b32_e32 v146, v240
	v_mov_b32_e32 v152, v242
	v_cndmask_b32_e64 v147, v241, v147, s[0:1]
	v_cndmask_b32_e32 v153, v243, v153, vcc
	v_add_f64 v[146:147], v[146:147], v[152:153]
	v_mov_b32_e32 v154, s16
	s_add_i32 s16, s16, 1
	v_cmp_lt_f64_e32 vcc, v[144:145], v[146:147]
	v_add_u32_e32 v235, 16, v235
	s_cmp_lg_u32 s20, s16
	v_cndmask_b32_e32 v225, v225, v241, vcc
	v_cndmask_b32_e32 v224, v224, v240, vcc
	;; [unrolled: 1-line block ×5, first 2 shown]
	s_cbranch_scc1 .LBB110_736
.LBB110_737:
	s_waitcnt lgkmcnt(0)
	v_cmp_eq_f64_e32 vcc, 0, v[224:225]
	v_cmp_eq_f64_e64 s[0:1], 0, v[226:227]
	s_and_b64 s[0:1], vcc, s[0:1]
	s_and_saveexec_b64 s[16:17], s[0:1]
	s_xor_b64 s[0:1], exec, s[16:17]
; %bb.738:
	v_cmp_ne_u32_e32 vcc, 0, v238
	s_nop 1
	v_cndmask_b32_e32 v238, 36, v238, vcc
; %bb.739:
	s_andn2_saveexec_b64 s[0:1], s[0:1]
	s_cbranch_execz .LBB110_745
; %bb.740:
	v_cmp_ngt_f64_e64 s[16:17], |v[224:225]|, |v[226:227]|
	s_and_saveexec_b64 s[18:19], s[16:17]
	s_xor_b64 s[16:17], exec, s[18:19]
	s_cbranch_execz .LBB110_742
; %bb.741:
	v_div_scale_f64 v[144:145], s[18:19], v[226:227], v[226:227], v[224:225]
	v_rcp_f64_e32 v[146:147], v[144:145]
	v_div_scale_f64 v[152:153], vcc, v[224:225], v[226:227], v[224:225]
	v_fma_f64 v[154:155], -v[144:145], v[146:147], 1.0
	v_fmac_f64_e32 v[146:147], v[146:147], v[154:155]
	v_fma_f64 v[154:155], -v[144:145], v[146:147], 1.0
	v_fmac_f64_e32 v[146:147], v[146:147], v[154:155]
	v_mul_f64 v[154:155], v[152:153], v[146:147]
	v_fma_f64 v[144:145], -v[144:145], v[154:155], v[152:153]
	v_div_fmas_f64 v[144:145], v[144:145], v[146:147], v[154:155]
	v_div_fixup_f64 v[144:145], v[144:145], v[226:227], v[224:225]
	v_fmac_f64_e32 v[226:227], v[224:225], v[144:145]
	v_div_scale_f64 v[146:147], s[18:19], v[226:227], v[226:227], 1.0
	v_rcp_f64_e32 v[152:153], v[146:147]
	s_nop 0
	v_fma_f64 v[154:155], -v[146:147], v[152:153], 1.0
	v_fmac_f64_e32 v[152:153], v[152:153], v[154:155]
	v_fma_f64 v[154:155], -v[146:147], v[152:153], 1.0
	v_fmac_f64_e32 v[152:153], v[152:153], v[154:155]
	v_div_scale_f64 v[154:155], vcc, 1.0, v[226:227], 1.0
	v_mul_f64 v[224:225], v[154:155], v[152:153]
	v_fma_f64 v[146:147], -v[146:147], v[224:225], v[154:155]
	s_nop 1
	v_div_fmas_f64 v[146:147], v[146:147], v[152:153], v[224:225]
	v_div_fixup_f64 v[226:227], v[146:147], v[226:227], 1.0
	v_mul_f64 v[224:225], v[144:145], v[226:227]
	v_xor_b32_e32 v227, 0x80000000, v227
.LBB110_742:
	s_andn2_saveexec_b64 s[16:17], s[16:17]
	s_cbranch_execz .LBB110_744
; %bb.743:
	v_div_scale_f64 v[144:145], s[18:19], v[224:225], v[224:225], v[226:227]
	v_rcp_f64_e32 v[146:147], v[144:145]
	v_div_scale_f64 v[152:153], vcc, v[226:227], v[224:225], v[226:227]
	v_fma_f64 v[154:155], -v[144:145], v[146:147], 1.0
	v_fmac_f64_e32 v[146:147], v[146:147], v[154:155]
	v_fma_f64 v[154:155], -v[144:145], v[146:147], 1.0
	v_fmac_f64_e32 v[146:147], v[146:147], v[154:155]
	v_mul_f64 v[154:155], v[152:153], v[146:147]
	v_fma_f64 v[144:145], -v[144:145], v[154:155], v[152:153]
	v_div_fmas_f64 v[144:145], v[144:145], v[146:147], v[154:155]
	v_div_fixup_f64 v[144:145], v[144:145], v[224:225], v[226:227]
	v_fmac_f64_e32 v[224:225], v[226:227], v[144:145]
	v_div_scale_f64 v[146:147], s[18:19], v[224:225], v[224:225], 1.0
	v_rcp_f64_e32 v[152:153], v[146:147]
	s_nop 0
	v_fma_f64 v[154:155], -v[146:147], v[152:153], 1.0
	v_fmac_f64_e32 v[152:153], v[152:153], v[154:155]
	v_fma_f64 v[154:155], -v[146:147], v[152:153], 1.0
	v_fmac_f64_e32 v[152:153], v[152:153], v[154:155]
	v_div_scale_f64 v[154:155], vcc, 1.0, v[224:225], 1.0
	v_mul_f64 v[226:227], v[154:155], v[152:153]
	v_fma_f64 v[146:147], -v[146:147], v[226:227], v[154:155]
	s_nop 1
	v_div_fmas_f64 v[146:147], v[146:147], v[152:153], v[226:227]
	v_div_fixup_f64 v[224:225], v[146:147], v[224:225], 1.0
	v_mul_f64 v[226:227], v[144:145], -v[224:225]
.LBB110_744:
	s_or_b64 exec, exec, s[16:17]
.LBB110_745:
	s_or_b64 exec, exec, s[0:1]
	v_cmp_ne_u32_e32 vcc, v237, v234
	s_and_saveexec_b64 s[0:1], vcc
	s_xor_b64 s[0:1], exec, s[0:1]
	s_cbranch_execz .LBB110_751
; %bb.746:
	v_cmp_eq_u32_e32 vcc, 35, v237
	s_and_saveexec_b64 s[16:17], vcc
	s_cbranch_execz .LBB110_750
; %bb.747:
	v_cmp_ne_u32_e32 vcc, 35, v234
	s_xor_b64 s[18:19], s[14:15], -1
	s_and_b64 s[22:23], s[18:19], vcc
	s_and_saveexec_b64 s[18:19], s[22:23]
	s_cbranch_execz .LBB110_749
; %bb.748:
	v_ashrrev_i32_e32 v235, 31, v234
	v_lshl_add_u64 v[144:145], v[234:235], 2, v[212:213]
	global_load_dword v146, v[144:145], off
	global_load_dword v147, v[212:213], off offset:140
	s_waitcnt vmcnt(1)
	global_store_dword v[212:213], v146, off offset:140
	s_waitcnt vmcnt(1)
	global_store_dword v[144:145], v147, off
.LBB110_749:
	s_or_b64 exec, exec, s[18:19]
	v_mov_b32_e32 v237, v234
	v_mov_b32_e32 v218, v234
.LBB110_750:
	s_or_b64 exec, exec, s[16:17]
.LBB110_751:
	s_andn2_saveexec_b64 s[0:1], s[0:1]
	s_cbranch_execz .LBB110_753
; %bb.752:
	v_mov_b32_e32 v237, 35
	ds_write2_b64 v236, v[72:73], v[74:75] offset0:72 offset1:73
	ds_write2_b64 v236, v[68:69], v[70:71] offset0:74 offset1:75
	;; [unrolled: 1-line block ×20, first 2 shown]
.LBB110_753:
	s_or_b64 exec, exec, s[0:1]
	v_cmp_lt_i32_e32 vcc, 35, v237
	s_waitcnt lgkmcnt(0)
	s_barrier
	s_and_saveexec_b64 s[0:1], vcc
	s_cbranch_execz .LBB110_755
; %bb.754:
	ds_read2_b64 v[240:243], v236 offset0:72 offset1:73
	v_mul_f64 v[144:145], v[226:227], v[78:79]
	v_mul_f64 v[78:79], v[224:225], v[78:79]
	v_fma_f64 v[234:235], v[224:225], v[76:77], -v[144:145]
	v_fmac_f64_e32 v[78:79], v[226:227], v[76:77]
	ds_read2_b64 v[224:227], v236 offset0:74 offset1:75
	s_waitcnt lgkmcnt(1)
	v_mul_f64 v[76:77], v[242:243], v[78:79]
	v_mul_f64 v[144:145], v[240:241], v[78:79]
	v_fma_f64 v[76:77], v[240:241], v[234:235], -v[76:77]
	v_fmac_f64_e32 v[144:145], v[242:243], v[234:235]
	ds_read2_b64 v[240:243], v236 offset0:76 offset1:77
	v_add_f64 v[72:73], v[72:73], -v[76:77]
	v_add_f64 v[74:75], v[74:75], -v[144:145]
	s_waitcnt lgkmcnt(1)
	v_mul_f64 v[76:77], v[226:227], v[78:79]
	v_mul_f64 v[144:145], v[224:225], v[78:79]
	v_fma_f64 v[76:77], v[224:225], v[234:235], -v[76:77]
	v_fmac_f64_e32 v[144:145], v[226:227], v[234:235]
	ds_read2_b64 v[224:227], v236 offset0:78 offset1:79
	v_add_f64 v[68:69], v[68:69], -v[76:77]
	v_add_f64 v[70:71], v[70:71], -v[144:145]
	;; [unrolled: 8-line block ×18, first 2 shown]
	s_waitcnt lgkmcnt(1)
	v_mul_f64 v[76:77], v[242:243], v[78:79]
	v_mul_f64 v[144:145], v[240:241], v[78:79]
	v_fma_f64 v[76:77], v[240:241], v[234:235], -v[76:77]
	v_fmac_f64_e32 v[144:145], v[242:243], v[234:235]
	v_add_f64 v[0:1], v[0:1], -v[76:77]
	v_add_f64 v[2:3], v[2:3], -v[144:145]
	s_waitcnt lgkmcnt(0)
	v_mul_f64 v[76:77], v[226:227], v[78:79]
	v_mul_f64 v[144:145], v[224:225], v[78:79]
	v_fma_f64 v[76:77], v[224:225], v[234:235], -v[76:77]
	v_fmac_f64_e32 v[144:145], v[226:227], v[234:235]
	v_add_f64 v[220:221], v[220:221], -v[76:77]
	v_add_f64 v[222:223], v[222:223], -v[144:145]
	v_mov_b64_e32 v[76:77], v[234:235]
.LBB110_755:
	s_or_b64 exec, exec, s[0:1]
	v_lshl_add_u32 v144, v237, 4, v236
	s_barrier
	ds_write2_b64 v144, v[72:73], v[74:75] offset1:1
	s_waitcnt lgkmcnt(0)
	s_barrier
	ds_read2_b64 v[224:227], v236 offset0:72 offset1:73
	s_cmp_lt_i32 s20, 38
	v_mov_b32_e32 v234, 36
	s_cbranch_scc1 .LBB110_758
; %bb.756:
	v_add_u32_e32 v235, 0x250, v236
	s_mov_b32 s16, 37
	v_mov_b32_e32 v234, 36
.LBB110_757:                            ; =>This Inner Loop Header: Depth=1
	ds_read2_b64 v[240:243], v235 offset1:1
	s_waitcnt lgkmcnt(1)
	v_xor_b32_e32 v145, 0x80000000, v225
	v_xor_b32_e32 v147, 0x80000000, v227
	v_cmp_gt_f64_e32 vcc, 0, v[226:227]
	v_cmp_gt_f64_e64 s[0:1], 0, v[224:225]
	v_mov_b32_e32 v144, v224
	v_mov_b32_e32 v146, v226
	v_cndmask_b32_e64 v145, v225, v145, s[0:1]
	v_cndmask_b32_e32 v147, v227, v147, vcc
	v_add_f64 v[144:145], v[144:145], v[146:147]
	s_waitcnt lgkmcnt(0)
	v_xor_b32_e32 v147, 0x80000000, v241
	v_xor_b32_e32 v153, 0x80000000, v243
	v_cmp_gt_f64_e32 vcc, 0, v[242:243]
	v_cmp_gt_f64_e64 s[0:1], 0, v[240:241]
	v_mov_b32_e32 v146, v240
	v_mov_b32_e32 v152, v242
	v_cndmask_b32_e64 v147, v241, v147, s[0:1]
	v_cndmask_b32_e32 v153, v243, v153, vcc
	v_add_f64 v[146:147], v[146:147], v[152:153]
	v_mov_b32_e32 v154, s16
	s_add_i32 s16, s16, 1
	v_cmp_lt_f64_e32 vcc, v[144:145], v[146:147]
	v_add_u32_e32 v235, 16, v235
	s_cmp_lg_u32 s20, s16
	v_cndmask_b32_e32 v225, v225, v241, vcc
	v_cndmask_b32_e32 v224, v224, v240, vcc
	;; [unrolled: 1-line block ×5, first 2 shown]
	s_cbranch_scc1 .LBB110_757
.LBB110_758:
	s_waitcnt lgkmcnt(0)
	v_cmp_eq_f64_e32 vcc, 0, v[224:225]
	v_cmp_eq_f64_e64 s[0:1], 0, v[226:227]
	s_and_b64 s[0:1], vcc, s[0:1]
	s_and_saveexec_b64 s[16:17], s[0:1]
	s_xor_b64 s[0:1], exec, s[16:17]
; %bb.759:
	v_cmp_ne_u32_e32 vcc, 0, v238
	s_nop 1
	v_cndmask_b32_e32 v238, 37, v238, vcc
; %bb.760:
	s_andn2_saveexec_b64 s[0:1], s[0:1]
	s_cbranch_execz .LBB110_766
; %bb.761:
	v_cmp_ngt_f64_e64 s[16:17], |v[224:225]|, |v[226:227]|
	s_and_saveexec_b64 s[18:19], s[16:17]
	s_xor_b64 s[16:17], exec, s[18:19]
	s_cbranch_execz .LBB110_763
; %bb.762:
	v_div_scale_f64 v[144:145], s[18:19], v[226:227], v[226:227], v[224:225]
	v_rcp_f64_e32 v[146:147], v[144:145]
	v_div_scale_f64 v[152:153], vcc, v[224:225], v[226:227], v[224:225]
	v_fma_f64 v[154:155], -v[144:145], v[146:147], 1.0
	v_fmac_f64_e32 v[146:147], v[146:147], v[154:155]
	v_fma_f64 v[154:155], -v[144:145], v[146:147], 1.0
	v_fmac_f64_e32 v[146:147], v[146:147], v[154:155]
	v_mul_f64 v[154:155], v[152:153], v[146:147]
	v_fma_f64 v[144:145], -v[144:145], v[154:155], v[152:153]
	v_div_fmas_f64 v[144:145], v[144:145], v[146:147], v[154:155]
	v_div_fixup_f64 v[144:145], v[144:145], v[226:227], v[224:225]
	v_fmac_f64_e32 v[226:227], v[224:225], v[144:145]
	v_div_scale_f64 v[146:147], s[18:19], v[226:227], v[226:227], 1.0
	v_rcp_f64_e32 v[152:153], v[146:147]
	s_nop 0
	v_fma_f64 v[154:155], -v[146:147], v[152:153], 1.0
	v_fmac_f64_e32 v[152:153], v[152:153], v[154:155]
	v_fma_f64 v[154:155], -v[146:147], v[152:153], 1.0
	v_fmac_f64_e32 v[152:153], v[152:153], v[154:155]
	v_div_scale_f64 v[154:155], vcc, 1.0, v[226:227], 1.0
	v_mul_f64 v[224:225], v[154:155], v[152:153]
	v_fma_f64 v[146:147], -v[146:147], v[224:225], v[154:155]
	s_nop 1
	v_div_fmas_f64 v[146:147], v[146:147], v[152:153], v[224:225]
	v_div_fixup_f64 v[226:227], v[146:147], v[226:227], 1.0
	v_mul_f64 v[224:225], v[144:145], v[226:227]
	v_xor_b32_e32 v227, 0x80000000, v227
.LBB110_763:
	s_andn2_saveexec_b64 s[16:17], s[16:17]
	s_cbranch_execz .LBB110_765
; %bb.764:
	v_div_scale_f64 v[144:145], s[18:19], v[224:225], v[224:225], v[226:227]
	v_rcp_f64_e32 v[146:147], v[144:145]
	v_div_scale_f64 v[152:153], vcc, v[226:227], v[224:225], v[226:227]
	v_fma_f64 v[154:155], -v[144:145], v[146:147], 1.0
	v_fmac_f64_e32 v[146:147], v[146:147], v[154:155]
	v_fma_f64 v[154:155], -v[144:145], v[146:147], 1.0
	v_fmac_f64_e32 v[146:147], v[146:147], v[154:155]
	v_mul_f64 v[154:155], v[152:153], v[146:147]
	v_fma_f64 v[144:145], -v[144:145], v[154:155], v[152:153]
	v_div_fmas_f64 v[144:145], v[144:145], v[146:147], v[154:155]
	v_div_fixup_f64 v[144:145], v[144:145], v[224:225], v[226:227]
	v_fmac_f64_e32 v[224:225], v[226:227], v[144:145]
	v_div_scale_f64 v[146:147], s[18:19], v[224:225], v[224:225], 1.0
	v_rcp_f64_e32 v[152:153], v[146:147]
	s_nop 0
	v_fma_f64 v[154:155], -v[146:147], v[152:153], 1.0
	v_fmac_f64_e32 v[152:153], v[152:153], v[154:155]
	v_fma_f64 v[154:155], -v[146:147], v[152:153], 1.0
	v_fmac_f64_e32 v[152:153], v[152:153], v[154:155]
	v_div_scale_f64 v[154:155], vcc, 1.0, v[224:225], 1.0
	v_mul_f64 v[226:227], v[154:155], v[152:153]
	v_fma_f64 v[146:147], -v[146:147], v[226:227], v[154:155]
	s_nop 1
	v_div_fmas_f64 v[146:147], v[146:147], v[152:153], v[226:227]
	v_div_fixup_f64 v[224:225], v[146:147], v[224:225], 1.0
	v_mul_f64 v[226:227], v[144:145], -v[224:225]
.LBB110_765:
	s_or_b64 exec, exec, s[16:17]
.LBB110_766:
	s_or_b64 exec, exec, s[0:1]
	v_cmp_ne_u32_e32 vcc, v237, v234
	s_and_saveexec_b64 s[0:1], vcc
	s_xor_b64 s[0:1], exec, s[0:1]
	s_cbranch_execz .LBB110_772
; %bb.767:
	v_cmp_eq_u32_e32 vcc, 36, v237
	s_and_saveexec_b64 s[16:17], vcc
	s_cbranch_execz .LBB110_771
; %bb.768:
	v_cmp_ne_u32_e32 vcc, 36, v234
	s_xor_b64 s[18:19], s[14:15], -1
	s_and_b64 s[22:23], s[18:19], vcc
	s_and_saveexec_b64 s[18:19], s[22:23]
	s_cbranch_execz .LBB110_770
; %bb.769:
	v_ashrrev_i32_e32 v235, 31, v234
	v_lshl_add_u64 v[144:145], v[234:235], 2, v[212:213]
	global_load_dword v146, v[144:145], off
	global_load_dword v147, v[212:213], off offset:144
	s_waitcnt vmcnt(1)
	global_store_dword v[212:213], v146, off offset:144
	s_waitcnt vmcnt(1)
	global_store_dword v[144:145], v147, off
.LBB110_770:
	s_or_b64 exec, exec, s[18:19]
	v_mov_b32_e32 v237, v234
	v_mov_b32_e32 v218, v234
.LBB110_771:
	s_or_b64 exec, exec, s[16:17]
.LBB110_772:
	s_andn2_saveexec_b64 s[0:1], s[0:1]
	s_cbranch_execz .LBB110_774
; %bb.773:
	v_mov_b32_e32 v237, 36
	ds_write2_b64 v236, v[68:69], v[70:71] offset0:74 offset1:75
	ds_write2_b64 v236, v[64:65], v[66:67] offset0:76 offset1:77
	;; [unrolled: 1-line block ×19, first 2 shown]
.LBB110_774:
	s_or_b64 exec, exec, s[0:1]
	v_cmp_lt_i32_e32 vcc, 36, v237
	s_waitcnt lgkmcnt(0)
	s_barrier
	s_and_saveexec_b64 s[0:1], vcc
	s_cbranch_execz .LBB110_776
; %bb.775:
	ds_read2_b64 v[240:243], v236 offset0:74 offset1:75
	v_mul_f64 v[144:145], v[226:227], v[74:75]
	v_mul_f64 v[74:75], v[224:225], v[74:75]
	v_fma_f64 v[234:235], v[224:225], v[72:73], -v[144:145]
	v_fmac_f64_e32 v[74:75], v[226:227], v[72:73]
	ds_read2_b64 v[224:227], v236 offset0:76 offset1:77
	s_waitcnt lgkmcnt(1)
	v_mul_f64 v[72:73], v[242:243], v[74:75]
	v_mul_f64 v[144:145], v[240:241], v[74:75]
	v_fma_f64 v[72:73], v[240:241], v[234:235], -v[72:73]
	v_fmac_f64_e32 v[144:145], v[242:243], v[234:235]
	ds_read2_b64 v[240:243], v236 offset0:78 offset1:79
	v_add_f64 v[68:69], v[68:69], -v[72:73]
	v_add_f64 v[70:71], v[70:71], -v[144:145]
	s_waitcnt lgkmcnt(1)
	v_mul_f64 v[72:73], v[226:227], v[74:75]
	v_mul_f64 v[144:145], v[224:225], v[74:75]
	v_fma_f64 v[72:73], v[224:225], v[234:235], -v[72:73]
	v_fmac_f64_e32 v[144:145], v[226:227], v[234:235]
	ds_read2_b64 v[224:227], v236 offset0:80 offset1:81
	v_add_f64 v[64:65], v[64:65], -v[72:73]
	v_add_f64 v[66:67], v[66:67], -v[144:145]
	;; [unrolled: 8-line block ×17, first 2 shown]
	s_waitcnt lgkmcnt(1)
	v_mul_f64 v[72:73], v[226:227], v[74:75]
	v_mul_f64 v[144:145], v[224:225], v[74:75]
	v_fma_f64 v[72:73], v[224:225], v[234:235], -v[72:73]
	v_fmac_f64_e32 v[144:145], v[226:227], v[234:235]
	v_add_f64 v[0:1], v[0:1], -v[72:73]
	v_add_f64 v[2:3], v[2:3], -v[144:145]
	s_waitcnt lgkmcnt(0)
	v_mul_f64 v[72:73], v[242:243], v[74:75]
	v_mul_f64 v[144:145], v[240:241], v[74:75]
	v_fma_f64 v[72:73], v[240:241], v[234:235], -v[72:73]
	v_fmac_f64_e32 v[144:145], v[242:243], v[234:235]
	v_add_f64 v[220:221], v[220:221], -v[72:73]
	v_add_f64 v[222:223], v[222:223], -v[144:145]
	v_mov_b64_e32 v[72:73], v[234:235]
.LBB110_776:
	s_or_b64 exec, exec, s[0:1]
	v_lshl_add_u32 v144, v237, 4, v236
	s_barrier
	ds_write2_b64 v144, v[68:69], v[70:71] offset1:1
	s_waitcnt lgkmcnt(0)
	s_barrier
	ds_read2_b64 v[224:227], v236 offset0:74 offset1:75
	s_cmp_lt_i32 s20, 39
	v_mov_b32_e32 v234, 37
	s_cbranch_scc1 .LBB110_779
; %bb.777:
	v_add_u32_e32 v235, 0x260, v236
	s_mov_b32 s16, 38
	v_mov_b32_e32 v234, 37
.LBB110_778:                            ; =>This Inner Loop Header: Depth=1
	ds_read2_b64 v[240:243], v235 offset1:1
	s_waitcnt lgkmcnt(1)
	v_xor_b32_e32 v145, 0x80000000, v225
	v_xor_b32_e32 v147, 0x80000000, v227
	v_cmp_gt_f64_e32 vcc, 0, v[226:227]
	v_cmp_gt_f64_e64 s[0:1], 0, v[224:225]
	v_mov_b32_e32 v144, v224
	v_mov_b32_e32 v146, v226
	v_cndmask_b32_e64 v145, v225, v145, s[0:1]
	v_cndmask_b32_e32 v147, v227, v147, vcc
	v_add_f64 v[144:145], v[144:145], v[146:147]
	s_waitcnt lgkmcnt(0)
	v_xor_b32_e32 v147, 0x80000000, v241
	v_xor_b32_e32 v153, 0x80000000, v243
	v_cmp_gt_f64_e32 vcc, 0, v[242:243]
	v_cmp_gt_f64_e64 s[0:1], 0, v[240:241]
	v_mov_b32_e32 v146, v240
	v_mov_b32_e32 v152, v242
	v_cndmask_b32_e64 v147, v241, v147, s[0:1]
	v_cndmask_b32_e32 v153, v243, v153, vcc
	v_add_f64 v[146:147], v[146:147], v[152:153]
	v_mov_b32_e32 v154, s16
	s_add_i32 s16, s16, 1
	v_cmp_lt_f64_e32 vcc, v[144:145], v[146:147]
	v_add_u32_e32 v235, 16, v235
	s_cmp_lg_u32 s20, s16
	v_cndmask_b32_e32 v225, v225, v241, vcc
	v_cndmask_b32_e32 v224, v224, v240, vcc
	;; [unrolled: 1-line block ×5, first 2 shown]
	s_cbranch_scc1 .LBB110_778
.LBB110_779:
	s_waitcnt lgkmcnt(0)
	v_cmp_eq_f64_e32 vcc, 0, v[224:225]
	v_cmp_eq_f64_e64 s[0:1], 0, v[226:227]
	s_and_b64 s[0:1], vcc, s[0:1]
	s_and_saveexec_b64 s[16:17], s[0:1]
	s_xor_b64 s[0:1], exec, s[16:17]
; %bb.780:
	v_cmp_ne_u32_e32 vcc, 0, v238
	s_nop 1
	v_cndmask_b32_e32 v238, 38, v238, vcc
; %bb.781:
	s_andn2_saveexec_b64 s[0:1], s[0:1]
	s_cbranch_execz .LBB110_787
; %bb.782:
	v_cmp_ngt_f64_e64 s[16:17], |v[224:225]|, |v[226:227]|
	s_and_saveexec_b64 s[18:19], s[16:17]
	s_xor_b64 s[16:17], exec, s[18:19]
	s_cbranch_execz .LBB110_784
; %bb.783:
	v_div_scale_f64 v[144:145], s[18:19], v[226:227], v[226:227], v[224:225]
	v_rcp_f64_e32 v[146:147], v[144:145]
	v_div_scale_f64 v[152:153], vcc, v[224:225], v[226:227], v[224:225]
	v_fma_f64 v[154:155], -v[144:145], v[146:147], 1.0
	v_fmac_f64_e32 v[146:147], v[146:147], v[154:155]
	v_fma_f64 v[154:155], -v[144:145], v[146:147], 1.0
	v_fmac_f64_e32 v[146:147], v[146:147], v[154:155]
	v_mul_f64 v[154:155], v[152:153], v[146:147]
	v_fma_f64 v[144:145], -v[144:145], v[154:155], v[152:153]
	v_div_fmas_f64 v[144:145], v[144:145], v[146:147], v[154:155]
	v_div_fixup_f64 v[144:145], v[144:145], v[226:227], v[224:225]
	v_fmac_f64_e32 v[226:227], v[224:225], v[144:145]
	v_div_scale_f64 v[146:147], s[18:19], v[226:227], v[226:227], 1.0
	v_rcp_f64_e32 v[152:153], v[146:147]
	s_nop 0
	v_fma_f64 v[154:155], -v[146:147], v[152:153], 1.0
	v_fmac_f64_e32 v[152:153], v[152:153], v[154:155]
	v_fma_f64 v[154:155], -v[146:147], v[152:153], 1.0
	v_fmac_f64_e32 v[152:153], v[152:153], v[154:155]
	v_div_scale_f64 v[154:155], vcc, 1.0, v[226:227], 1.0
	v_mul_f64 v[224:225], v[154:155], v[152:153]
	v_fma_f64 v[146:147], -v[146:147], v[224:225], v[154:155]
	s_nop 1
	v_div_fmas_f64 v[146:147], v[146:147], v[152:153], v[224:225]
	v_div_fixup_f64 v[226:227], v[146:147], v[226:227], 1.0
	v_mul_f64 v[224:225], v[144:145], v[226:227]
	v_xor_b32_e32 v227, 0x80000000, v227
.LBB110_784:
	s_andn2_saveexec_b64 s[16:17], s[16:17]
	s_cbranch_execz .LBB110_786
; %bb.785:
	v_div_scale_f64 v[144:145], s[18:19], v[224:225], v[224:225], v[226:227]
	v_rcp_f64_e32 v[146:147], v[144:145]
	v_div_scale_f64 v[152:153], vcc, v[226:227], v[224:225], v[226:227]
	v_fma_f64 v[154:155], -v[144:145], v[146:147], 1.0
	v_fmac_f64_e32 v[146:147], v[146:147], v[154:155]
	v_fma_f64 v[154:155], -v[144:145], v[146:147], 1.0
	v_fmac_f64_e32 v[146:147], v[146:147], v[154:155]
	v_mul_f64 v[154:155], v[152:153], v[146:147]
	v_fma_f64 v[144:145], -v[144:145], v[154:155], v[152:153]
	v_div_fmas_f64 v[144:145], v[144:145], v[146:147], v[154:155]
	v_div_fixup_f64 v[144:145], v[144:145], v[224:225], v[226:227]
	v_fmac_f64_e32 v[224:225], v[226:227], v[144:145]
	v_div_scale_f64 v[146:147], s[18:19], v[224:225], v[224:225], 1.0
	v_rcp_f64_e32 v[152:153], v[146:147]
	s_nop 0
	v_fma_f64 v[154:155], -v[146:147], v[152:153], 1.0
	v_fmac_f64_e32 v[152:153], v[152:153], v[154:155]
	v_fma_f64 v[154:155], -v[146:147], v[152:153], 1.0
	v_fmac_f64_e32 v[152:153], v[152:153], v[154:155]
	v_div_scale_f64 v[154:155], vcc, 1.0, v[224:225], 1.0
	v_mul_f64 v[226:227], v[154:155], v[152:153]
	v_fma_f64 v[146:147], -v[146:147], v[226:227], v[154:155]
	s_nop 1
	v_div_fmas_f64 v[146:147], v[146:147], v[152:153], v[226:227]
	v_div_fixup_f64 v[224:225], v[146:147], v[224:225], 1.0
	v_mul_f64 v[226:227], v[144:145], -v[224:225]
.LBB110_786:
	s_or_b64 exec, exec, s[16:17]
.LBB110_787:
	s_or_b64 exec, exec, s[0:1]
	v_cmp_ne_u32_e32 vcc, v237, v234
	s_and_saveexec_b64 s[0:1], vcc
	s_xor_b64 s[0:1], exec, s[0:1]
	s_cbranch_execz .LBB110_793
; %bb.788:
	v_cmp_eq_u32_e32 vcc, 37, v237
	s_and_saveexec_b64 s[16:17], vcc
	s_cbranch_execz .LBB110_792
; %bb.789:
	v_cmp_ne_u32_e32 vcc, 37, v234
	s_xor_b64 s[18:19], s[14:15], -1
	s_and_b64 s[22:23], s[18:19], vcc
	s_and_saveexec_b64 s[18:19], s[22:23]
	s_cbranch_execz .LBB110_791
; %bb.790:
	v_ashrrev_i32_e32 v235, 31, v234
	v_lshl_add_u64 v[144:145], v[234:235], 2, v[212:213]
	global_load_dword v146, v[144:145], off
	global_load_dword v147, v[212:213], off offset:148
	s_waitcnt vmcnt(1)
	global_store_dword v[212:213], v146, off offset:148
	s_waitcnt vmcnt(1)
	global_store_dword v[144:145], v147, off
.LBB110_791:
	s_or_b64 exec, exec, s[18:19]
	v_mov_b32_e32 v237, v234
	v_mov_b32_e32 v218, v234
.LBB110_792:
	s_or_b64 exec, exec, s[16:17]
.LBB110_793:
	s_andn2_saveexec_b64 s[0:1], s[0:1]
	s_cbranch_execz .LBB110_795
; %bb.794:
	v_mov_b32_e32 v237, 37
	ds_write2_b64 v236, v[64:65], v[66:67] offset0:76 offset1:77
	ds_write2_b64 v236, v[60:61], v[62:63] offset0:78 offset1:79
	;; [unrolled: 1-line block ×18, first 2 shown]
.LBB110_795:
	s_or_b64 exec, exec, s[0:1]
	v_cmp_lt_i32_e32 vcc, 37, v237
	s_waitcnt lgkmcnt(0)
	s_barrier
	s_and_saveexec_b64 s[0:1], vcc
	s_cbranch_execz .LBB110_797
; %bb.796:
	ds_read2_b64 v[240:243], v236 offset0:76 offset1:77
	v_mul_f64 v[144:145], v[226:227], v[70:71]
	v_mul_f64 v[70:71], v[224:225], v[70:71]
	v_fma_f64 v[234:235], v[224:225], v[68:69], -v[144:145]
	v_fmac_f64_e32 v[70:71], v[226:227], v[68:69]
	ds_read2_b64 v[224:227], v236 offset0:78 offset1:79
	s_waitcnt lgkmcnt(1)
	v_mul_f64 v[68:69], v[242:243], v[70:71]
	v_mul_f64 v[144:145], v[240:241], v[70:71]
	v_fma_f64 v[68:69], v[240:241], v[234:235], -v[68:69]
	v_fmac_f64_e32 v[144:145], v[242:243], v[234:235]
	ds_read2_b64 v[240:243], v236 offset0:80 offset1:81
	v_add_f64 v[64:65], v[64:65], -v[68:69]
	v_add_f64 v[66:67], v[66:67], -v[144:145]
	s_waitcnt lgkmcnt(1)
	v_mul_f64 v[68:69], v[226:227], v[70:71]
	v_mul_f64 v[144:145], v[224:225], v[70:71]
	v_fma_f64 v[68:69], v[224:225], v[234:235], -v[68:69]
	v_fmac_f64_e32 v[144:145], v[226:227], v[234:235]
	ds_read2_b64 v[224:227], v236 offset0:82 offset1:83
	v_add_f64 v[60:61], v[60:61], -v[68:69]
	v_add_f64 v[62:63], v[62:63], -v[144:145]
	;; [unrolled: 8-line block ×16, first 2 shown]
	s_waitcnt lgkmcnt(1)
	v_mul_f64 v[68:69], v[242:243], v[70:71]
	v_mul_f64 v[144:145], v[240:241], v[70:71]
	v_fma_f64 v[68:69], v[240:241], v[234:235], -v[68:69]
	v_fmac_f64_e32 v[144:145], v[242:243], v[234:235]
	v_add_f64 v[0:1], v[0:1], -v[68:69]
	v_add_f64 v[2:3], v[2:3], -v[144:145]
	s_waitcnt lgkmcnt(0)
	v_mul_f64 v[68:69], v[226:227], v[70:71]
	v_mul_f64 v[144:145], v[224:225], v[70:71]
	v_fma_f64 v[68:69], v[224:225], v[234:235], -v[68:69]
	v_fmac_f64_e32 v[144:145], v[226:227], v[234:235]
	v_add_f64 v[220:221], v[220:221], -v[68:69]
	v_add_f64 v[222:223], v[222:223], -v[144:145]
	v_mov_b64_e32 v[68:69], v[234:235]
.LBB110_797:
	s_or_b64 exec, exec, s[0:1]
	v_lshl_add_u32 v144, v237, 4, v236
	s_barrier
	ds_write2_b64 v144, v[64:65], v[66:67] offset1:1
	s_waitcnt lgkmcnt(0)
	s_barrier
	ds_read2_b64 v[224:227], v236 offset0:76 offset1:77
	s_cmp_lt_i32 s20, 40
	v_mov_b32_e32 v234, 38
	s_cbranch_scc1 .LBB110_800
; %bb.798:
	v_add_u32_e32 v235, 0x270, v236
	s_mov_b32 s16, 39
	v_mov_b32_e32 v234, 38
.LBB110_799:                            ; =>This Inner Loop Header: Depth=1
	ds_read2_b64 v[240:243], v235 offset1:1
	s_waitcnt lgkmcnt(1)
	v_xor_b32_e32 v145, 0x80000000, v225
	v_xor_b32_e32 v147, 0x80000000, v227
	v_cmp_gt_f64_e32 vcc, 0, v[226:227]
	v_cmp_gt_f64_e64 s[0:1], 0, v[224:225]
	v_mov_b32_e32 v144, v224
	v_mov_b32_e32 v146, v226
	v_cndmask_b32_e64 v145, v225, v145, s[0:1]
	v_cndmask_b32_e32 v147, v227, v147, vcc
	v_add_f64 v[144:145], v[144:145], v[146:147]
	s_waitcnt lgkmcnt(0)
	v_xor_b32_e32 v147, 0x80000000, v241
	v_xor_b32_e32 v153, 0x80000000, v243
	v_cmp_gt_f64_e32 vcc, 0, v[242:243]
	v_cmp_gt_f64_e64 s[0:1], 0, v[240:241]
	v_mov_b32_e32 v146, v240
	v_mov_b32_e32 v152, v242
	v_cndmask_b32_e64 v147, v241, v147, s[0:1]
	v_cndmask_b32_e32 v153, v243, v153, vcc
	v_add_f64 v[146:147], v[146:147], v[152:153]
	v_mov_b32_e32 v154, s16
	s_add_i32 s16, s16, 1
	v_cmp_lt_f64_e32 vcc, v[144:145], v[146:147]
	v_add_u32_e32 v235, 16, v235
	s_cmp_lg_u32 s20, s16
	v_cndmask_b32_e32 v225, v225, v241, vcc
	v_cndmask_b32_e32 v224, v224, v240, vcc
	;; [unrolled: 1-line block ×5, first 2 shown]
	s_cbranch_scc1 .LBB110_799
.LBB110_800:
	s_waitcnt lgkmcnt(0)
	v_cmp_eq_f64_e32 vcc, 0, v[224:225]
	v_cmp_eq_f64_e64 s[0:1], 0, v[226:227]
	s_and_b64 s[0:1], vcc, s[0:1]
	s_and_saveexec_b64 s[16:17], s[0:1]
	s_xor_b64 s[0:1], exec, s[16:17]
; %bb.801:
	v_cmp_ne_u32_e32 vcc, 0, v238
	s_nop 1
	v_cndmask_b32_e32 v238, 39, v238, vcc
; %bb.802:
	s_andn2_saveexec_b64 s[0:1], s[0:1]
	s_cbranch_execz .LBB110_808
; %bb.803:
	v_cmp_ngt_f64_e64 s[16:17], |v[224:225]|, |v[226:227]|
	s_and_saveexec_b64 s[18:19], s[16:17]
	s_xor_b64 s[16:17], exec, s[18:19]
	s_cbranch_execz .LBB110_805
; %bb.804:
	v_div_scale_f64 v[144:145], s[18:19], v[226:227], v[226:227], v[224:225]
	v_rcp_f64_e32 v[146:147], v[144:145]
	v_div_scale_f64 v[152:153], vcc, v[224:225], v[226:227], v[224:225]
	v_fma_f64 v[154:155], -v[144:145], v[146:147], 1.0
	v_fmac_f64_e32 v[146:147], v[146:147], v[154:155]
	v_fma_f64 v[154:155], -v[144:145], v[146:147], 1.0
	v_fmac_f64_e32 v[146:147], v[146:147], v[154:155]
	v_mul_f64 v[154:155], v[152:153], v[146:147]
	v_fma_f64 v[144:145], -v[144:145], v[154:155], v[152:153]
	v_div_fmas_f64 v[144:145], v[144:145], v[146:147], v[154:155]
	v_div_fixup_f64 v[144:145], v[144:145], v[226:227], v[224:225]
	v_fmac_f64_e32 v[226:227], v[224:225], v[144:145]
	v_div_scale_f64 v[146:147], s[18:19], v[226:227], v[226:227], 1.0
	v_rcp_f64_e32 v[152:153], v[146:147]
	s_nop 0
	v_fma_f64 v[154:155], -v[146:147], v[152:153], 1.0
	v_fmac_f64_e32 v[152:153], v[152:153], v[154:155]
	v_fma_f64 v[154:155], -v[146:147], v[152:153], 1.0
	v_fmac_f64_e32 v[152:153], v[152:153], v[154:155]
	v_div_scale_f64 v[154:155], vcc, 1.0, v[226:227], 1.0
	v_mul_f64 v[224:225], v[154:155], v[152:153]
	v_fma_f64 v[146:147], -v[146:147], v[224:225], v[154:155]
	s_nop 1
	v_div_fmas_f64 v[146:147], v[146:147], v[152:153], v[224:225]
	v_div_fixup_f64 v[226:227], v[146:147], v[226:227], 1.0
	v_mul_f64 v[224:225], v[144:145], v[226:227]
	v_xor_b32_e32 v227, 0x80000000, v227
.LBB110_805:
	s_andn2_saveexec_b64 s[16:17], s[16:17]
	s_cbranch_execz .LBB110_807
; %bb.806:
	v_div_scale_f64 v[144:145], s[18:19], v[224:225], v[224:225], v[226:227]
	v_rcp_f64_e32 v[146:147], v[144:145]
	v_div_scale_f64 v[152:153], vcc, v[226:227], v[224:225], v[226:227]
	v_fma_f64 v[154:155], -v[144:145], v[146:147], 1.0
	v_fmac_f64_e32 v[146:147], v[146:147], v[154:155]
	v_fma_f64 v[154:155], -v[144:145], v[146:147], 1.0
	v_fmac_f64_e32 v[146:147], v[146:147], v[154:155]
	v_mul_f64 v[154:155], v[152:153], v[146:147]
	v_fma_f64 v[144:145], -v[144:145], v[154:155], v[152:153]
	v_div_fmas_f64 v[144:145], v[144:145], v[146:147], v[154:155]
	v_div_fixup_f64 v[144:145], v[144:145], v[224:225], v[226:227]
	v_fmac_f64_e32 v[224:225], v[226:227], v[144:145]
	v_div_scale_f64 v[146:147], s[18:19], v[224:225], v[224:225], 1.0
	v_rcp_f64_e32 v[152:153], v[146:147]
	s_nop 0
	v_fma_f64 v[154:155], -v[146:147], v[152:153], 1.0
	v_fmac_f64_e32 v[152:153], v[152:153], v[154:155]
	v_fma_f64 v[154:155], -v[146:147], v[152:153], 1.0
	v_fmac_f64_e32 v[152:153], v[152:153], v[154:155]
	v_div_scale_f64 v[154:155], vcc, 1.0, v[224:225], 1.0
	v_mul_f64 v[226:227], v[154:155], v[152:153]
	v_fma_f64 v[146:147], -v[146:147], v[226:227], v[154:155]
	s_nop 1
	v_div_fmas_f64 v[146:147], v[146:147], v[152:153], v[226:227]
	v_div_fixup_f64 v[224:225], v[146:147], v[224:225], 1.0
	v_mul_f64 v[226:227], v[144:145], -v[224:225]
.LBB110_807:
	s_or_b64 exec, exec, s[16:17]
.LBB110_808:
	s_or_b64 exec, exec, s[0:1]
	v_cmp_ne_u32_e32 vcc, v237, v234
	s_and_saveexec_b64 s[0:1], vcc
	s_xor_b64 s[0:1], exec, s[0:1]
	s_cbranch_execz .LBB110_814
; %bb.809:
	v_cmp_eq_u32_e32 vcc, 38, v237
	s_and_saveexec_b64 s[16:17], vcc
	s_cbranch_execz .LBB110_813
; %bb.810:
	v_cmp_ne_u32_e32 vcc, 38, v234
	s_xor_b64 s[18:19], s[14:15], -1
	s_and_b64 s[22:23], s[18:19], vcc
	s_and_saveexec_b64 s[18:19], s[22:23]
	s_cbranch_execz .LBB110_812
; %bb.811:
	v_ashrrev_i32_e32 v235, 31, v234
	v_lshl_add_u64 v[144:145], v[234:235], 2, v[212:213]
	global_load_dword v146, v[144:145], off
	global_load_dword v147, v[212:213], off offset:152
	s_waitcnt vmcnt(1)
	global_store_dword v[212:213], v146, off offset:152
	s_waitcnt vmcnt(1)
	global_store_dword v[144:145], v147, off
.LBB110_812:
	s_or_b64 exec, exec, s[18:19]
	v_mov_b32_e32 v237, v234
	v_mov_b32_e32 v218, v234
.LBB110_813:
	s_or_b64 exec, exec, s[16:17]
.LBB110_814:
	s_andn2_saveexec_b64 s[0:1], s[0:1]
	s_cbranch_execz .LBB110_816
; %bb.815:
	v_mov_b32_e32 v237, 38
	ds_write2_b64 v236, v[60:61], v[62:63] offset0:78 offset1:79
	ds_write2_b64 v236, v[56:57], v[58:59] offset0:80 offset1:81
	;; [unrolled: 1-line block ×17, first 2 shown]
.LBB110_816:
	s_or_b64 exec, exec, s[0:1]
	v_cmp_lt_i32_e32 vcc, 38, v237
	s_waitcnt lgkmcnt(0)
	s_barrier
	s_and_saveexec_b64 s[0:1], vcc
	s_cbranch_execz .LBB110_818
; %bb.817:
	ds_read2_b64 v[240:243], v236 offset0:78 offset1:79
	v_mul_f64 v[144:145], v[226:227], v[66:67]
	v_mul_f64 v[66:67], v[224:225], v[66:67]
	v_fma_f64 v[234:235], v[224:225], v[64:65], -v[144:145]
	v_fmac_f64_e32 v[66:67], v[226:227], v[64:65]
	ds_read2_b64 v[224:227], v236 offset0:80 offset1:81
	s_waitcnt lgkmcnt(1)
	v_mul_f64 v[64:65], v[242:243], v[66:67]
	v_mul_f64 v[144:145], v[240:241], v[66:67]
	v_fma_f64 v[64:65], v[240:241], v[234:235], -v[64:65]
	v_fmac_f64_e32 v[144:145], v[242:243], v[234:235]
	ds_read2_b64 v[240:243], v236 offset0:82 offset1:83
	v_add_f64 v[60:61], v[60:61], -v[64:65]
	v_add_f64 v[62:63], v[62:63], -v[144:145]
	s_waitcnt lgkmcnt(1)
	v_mul_f64 v[64:65], v[226:227], v[66:67]
	v_mul_f64 v[144:145], v[224:225], v[66:67]
	v_fma_f64 v[64:65], v[224:225], v[234:235], -v[64:65]
	v_fmac_f64_e32 v[144:145], v[226:227], v[234:235]
	ds_read2_b64 v[224:227], v236 offset0:84 offset1:85
	v_add_f64 v[56:57], v[56:57], -v[64:65]
	v_add_f64 v[58:59], v[58:59], -v[144:145]
	;; [unrolled: 8-line block ×15, first 2 shown]
	s_waitcnt lgkmcnt(1)
	v_mul_f64 v[64:65], v[226:227], v[66:67]
	v_mul_f64 v[144:145], v[224:225], v[66:67]
	v_fma_f64 v[64:65], v[224:225], v[234:235], -v[64:65]
	v_fmac_f64_e32 v[144:145], v[226:227], v[234:235]
	v_add_f64 v[0:1], v[0:1], -v[64:65]
	v_add_f64 v[2:3], v[2:3], -v[144:145]
	s_waitcnt lgkmcnt(0)
	v_mul_f64 v[64:65], v[242:243], v[66:67]
	v_mul_f64 v[144:145], v[240:241], v[66:67]
	v_fma_f64 v[64:65], v[240:241], v[234:235], -v[64:65]
	v_fmac_f64_e32 v[144:145], v[242:243], v[234:235]
	v_add_f64 v[220:221], v[220:221], -v[64:65]
	v_add_f64 v[222:223], v[222:223], -v[144:145]
	v_mov_b64_e32 v[64:65], v[234:235]
.LBB110_818:
	s_or_b64 exec, exec, s[0:1]
	v_lshl_add_u32 v144, v237, 4, v236
	s_barrier
	ds_write2_b64 v144, v[60:61], v[62:63] offset1:1
	s_waitcnt lgkmcnt(0)
	s_barrier
	ds_read2_b64 v[224:227], v236 offset0:78 offset1:79
	s_cmp_lt_i32 s20, 41
	v_mov_b32_e32 v234, 39
	s_cbranch_scc1 .LBB110_821
; %bb.819:
	v_add_u32_e32 v235, 0x280, v236
	s_mov_b32 s16, 40
	v_mov_b32_e32 v234, 39
.LBB110_820:                            ; =>This Inner Loop Header: Depth=1
	ds_read2_b64 v[240:243], v235 offset1:1
	s_waitcnt lgkmcnt(1)
	v_xor_b32_e32 v145, 0x80000000, v225
	v_xor_b32_e32 v147, 0x80000000, v227
	v_cmp_gt_f64_e32 vcc, 0, v[226:227]
	v_cmp_gt_f64_e64 s[0:1], 0, v[224:225]
	v_mov_b32_e32 v144, v224
	v_mov_b32_e32 v146, v226
	v_cndmask_b32_e64 v145, v225, v145, s[0:1]
	v_cndmask_b32_e32 v147, v227, v147, vcc
	v_add_f64 v[144:145], v[144:145], v[146:147]
	s_waitcnt lgkmcnt(0)
	v_xor_b32_e32 v147, 0x80000000, v241
	v_xor_b32_e32 v153, 0x80000000, v243
	v_cmp_gt_f64_e32 vcc, 0, v[242:243]
	v_cmp_gt_f64_e64 s[0:1], 0, v[240:241]
	v_mov_b32_e32 v146, v240
	v_mov_b32_e32 v152, v242
	v_cndmask_b32_e64 v147, v241, v147, s[0:1]
	v_cndmask_b32_e32 v153, v243, v153, vcc
	v_add_f64 v[146:147], v[146:147], v[152:153]
	v_mov_b32_e32 v154, s16
	s_add_i32 s16, s16, 1
	v_cmp_lt_f64_e32 vcc, v[144:145], v[146:147]
	v_add_u32_e32 v235, 16, v235
	s_cmp_lg_u32 s20, s16
	v_cndmask_b32_e32 v225, v225, v241, vcc
	v_cndmask_b32_e32 v224, v224, v240, vcc
	;; [unrolled: 1-line block ×5, first 2 shown]
	s_cbranch_scc1 .LBB110_820
.LBB110_821:
	s_waitcnt lgkmcnt(0)
	v_cmp_eq_f64_e32 vcc, 0, v[224:225]
	v_cmp_eq_f64_e64 s[0:1], 0, v[226:227]
	s_and_b64 s[0:1], vcc, s[0:1]
	s_and_saveexec_b64 s[16:17], s[0:1]
	s_xor_b64 s[0:1], exec, s[16:17]
; %bb.822:
	v_cmp_ne_u32_e32 vcc, 0, v238
	s_nop 1
	v_cndmask_b32_e32 v238, 40, v238, vcc
; %bb.823:
	s_andn2_saveexec_b64 s[0:1], s[0:1]
	s_cbranch_execz .LBB110_829
; %bb.824:
	v_cmp_ngt_f64_e64 s[16:17], |v[224:225]|, |v[226:227]|
	s_and_saveexec_b64 s[18:19], s[16:17]
	s_xor_b64 s[16:17], exec, s[18:19]
	s_cbranch_execz .LBB110_826
; %bb.825:
	v_div_scale_f64 v[144:145], s[18:19], v[226:227], v[226:227], v[224:225]
	v_rcp_f64_e32 v[146:147], v[144:145]
	v_div_scale_f64 v[152:153], vcc, v[224:225], v[226:227], v[224:225]
	v_fma_f64 v[154:155], -v[144:145], v[146:147], 1.0
	v_fmac_f64_e32 v[146:147], v[146:147], v[154:155]
	v_fma_f64 v[154:155], -v[144:145], v[146:147], 1.0
	v_fmac_f64_e32 v[146:147], v[146:147], v[154:155]
	v_mul_f64 v[154:155], v[152:153], v[146:147]
	v_fma_f64 v[144:145], -v[144:145], v[154:155], v[152:153]
	v_div_fmas_f64 v[144:145], v[144:145], v[146:147], v[154:155]
	v_div_fixup_f64 v[144:145], v[144:145], v[226:227], v[224:225]
	v_fmac_f64_e32 v[226:227], v[224:225], v[144:145]
	v_div_scale_f64 v[146:147], s[18:19], v[226:227], v[226:227], 1.0
	v_rcp_f64_e32 v[152:153], v[146:147]
	s_nop 0
	v_fma_f64 v[154:155], -v[146:147], v[152:153], 1.0
	v_fmac_f64_e32 v[152:153], v[152:153], v[154:155]
	v_fma_f64 v[154:155], -v[146:147], v[152:153], 1.0
	v_fmac_f64_e32 v[152:153], v[152:153], v[154:155]
	v_div_scale_f64 v[154:155], vcc, 1.0, v[226:227], 1.0
	v_mul_f64 v[224:225], v[154:155], v[152:153]
	v_fma_f64 v[146:147], -v[146:147], v[224:225], v[154:155]
	s_nop 1
	v_div_fmas_f64 v[146:147], v[146:147], v[152:153], v[224:225]
	v_div_fixup_f64 v[226:227], v[146:147], v[226:227], 1.0
	v_mul_f64 v[224:225], v[144:145], v[226:227]
	v_xor_b32_e32 v227, 0x80000000, v227
.LBB110_826:
	s_andn2_saveexec_b64 s[16:17], s[16:17]
	s_cbranch_execz .LBB110_828
; %bb.827:
	v_div_scale_f64 v[144:145], s[18:19], v[224:225], v[224:225], v[226:227]
	v_rcp_f64_e32 v[146:147], v[144:145]
	v_div_scale_f64 v[152:153], vcc, v[226:227], v[224:225], v[226:227]
	v_fma_f64 v[154:155], -v[144:145], v[146:147], 1.0
	v_fmac_f64_e32 v[146:147], v[146:147], v[154:155]
	v_fma_f64 v[154:155], -v[144:145], v[146:147], 1.0
	v_fmac_f64_e32 v[146:147], v[146:147], v[154:155]
	v_mul_f64 v[154:155], v[152:153], v[146:147]
	v_fma_f64 v[144:145], -v[144:145], v[154:155], v[152:153]
	v_div_fmas_f64 v[144:145], v[144:145], v[146:147], v[154:155]
	v_div_fixup_f64 v[144:145], v[144:145], v[224:225], v[226:227]
	v_fmac_f64_e32 v[224:225], v[226:227], v[144:145]
	v_div_scale_f64 v[146:147], s[18:19], v[224:225], v[224:225], 1.0
	v_rcp_f64_e32 v[152:153], v[146:147]
	s_nop 0
	v_fma_f64 v[154:155], -v[146:147], v[152:153], 1.0
	v_fmac_f64_e32 v[152:153], v[152:153], v[154:155]
	v_fma_f64 v[154:155], -v[146:147], v[152:153], 1.0
	v_fmac_f64_e32 v[152:153], v[152:153], v[154:155]
	v_div_scale_f64 v[154:155], vcc, 1.0, v[224:225], 1.0
	v_mul_f64 v[226:227], v[154:155], v[152:153]
	v_fma_f64 v[146:147], -v[146:147], v[226:227], v[154:155]
	s_nop 1
	v_div_fmas_f64 v[146:147], v[146:147], v[152:153], v[226:227]
	v_div_fixup_f64 v[224:225], v[146:147], v[224:225], 1.0
	v_mul_f64 v[226:227], v[144:145], -v[224:225]
.LBB110_828:
	s_or_b64 exec, exec, s[16:17]
.LBB110_829:
	s_or_b64 exec, exec, s[0:1]
	v_cmp_ne_u32_e32 vcc, v237, v234
	s_and_saveexec_b64 s[0:1], vcc
	s_xor_b64 s[0:1], exec, s[0:1]
	s_cbranch_execz .LBB110_835
; %bb.830:
	v_cmp_eq_u32_e32 vcc, 39, v237
	s_and_saveexec_b64 s[16:17], vcc
	s_cbranch_execz .LBB110_834
; %bb.831:
	v_cmp_ne_u32_e32 vcc, 39, v234
	s_xor_b64 s[18:19], s[14:15], -1
	s_and_b64 s[22:23], s[18:19], vcc
	s_and_saveexec_b64 s[18:19], s[22:23]
	s_cbranch_execz .LBB110_833
; %bb.832:
	v_ashrrev_i32_e32 v235, 31, v234
	v_lshl_add_u64 v[144:145], v[234:235], 2, v[212:213]
	global_load_dword v146, v[144:145], off
	global_load_dword v147, v[212:213], off offset:156
	s_waitcnt vmcnt(1)
	global_store_dword v[212:213], v146, off offset:156
	s_waitcnt vmcnt(1)
	global_store_dword v[144:145], v147, off
.LBB110_833:
	s_or_b64 exec, exec, s[18:19]
	v_mov_b32_e32 v237, v234
	v_mov_b32_e32 v218, v234
.LBB110_834:
	s_or_b64 exec, exec, s[16:17]
.LBB110_835:
	s_andn2_saveexec_b64 s[0:1], s[0:1]
	s_cbranch_execz .LBB110_837
; %bb.836:
	v_mov_b32_e32 v237, 39
	ds_write2_b64 v236, v[56:57], v[58:59] offset0:80 offset1:81
	ds_write2_b64 v236, v[52:53], v[54:55] offset0:82 offset1:83
	;; [unrolled: 1-line block ×16, first 2 shown]
.LBB110_837:
	s_or_b64 exec, exec, s[0:1]
	v_cmp_lt_i32_e32 vcc, 39, v237
	s_waitcnt lgkmcnt(0)
	s_barrier
	s_and_saveexec_b64 s[0:1], vcc
	s_cbranch_execz .LBB110_839
; %bb.838:
	ds_read2_b64 v[240:243], v236 offset0:80 offset1:81
	v_mul_f64 v[234:235], v[224:225], v[62:63]
	v_mul_f64 v[62:63], v[226:227], v[62:63]
	v_fmac_f64_e32 v[234:235], v[226:227], v[60:61]
	v_fma_f64 v[60:61], v[224:225], v[60:61], -v[62:63]
	ds_read2_b64 v[224:227], v236 offset0:82 offset1:83
	s_waitcnt lgkmcnt(1)
	v_mul_f64 v[62:63], v[242:243], v[234:235]
	v_mul_f64 v[144:145], v[240:241], v[234:235]
	v_fma_f64 v[62:63], v[240:241], v[60:61], -v[62:63]
	v_fmac_f64_e32 v[144:145], v[242:243], v[60:61]
	ds_read2_b64 v[240:243], v236 offset0:84 offset1:85
	v_add_f64 v[56:57], v[56:57], -v[62:63]
	v_add_f64 v[58:59], v[58:59], -v[144:145]
	s_waitcnt lgkmcnt(1)
	v_mul_f64 v[62:63], v[226:227], v[234:235]
	v_mul_f64 v[144:145], v[224:225], v[234:235]
	v_fma_f64 v[62:63], v[224:225], v[60:61], -v[62:63]
	v_fmac_f64_e32 v[144:145], v[226:227], v[60:61]
	ds_read2_b64 v[224:227], v236 offset0:86 offset1:87
	v_add_f64 v[52:53], v[52:53], -v[62:63]
	v_add_f64 v[54:55], v[54:55], -v[144:145]
	;; [unrolled: 8-line block ×14, first 2 shown]
	s_waitcnt lgkmcnt(1)
	v_mul_f64 v[62:63], v[242:243], v[234:235]
	v_mul_f64 v[144:145], v[240:241], v[234:235]
	v_fma_f64 v[62:63], v[240:241], v[60:61], -v[62:63]
	v_fmac_f64_e32 v[144:145], v[242:243], v[60:61]
	v_add_f64 v[0:1], v[0:1], -v[62:63]
	v_add_f64 v[2:3], v[2:3], -v[144:145]
	s_waitcnt lgkmcnt(0)
	v_mul_f64 v[62:63], v[226:227], v[234:235]
	v_mul_f64 v[144:145], v[224:225], v[234:235]
	v_fma_f64 v[62:63], v[224:225], v[60:61], -v[62:63]
	v_fmac_f64_e32 v[144:145], v[226:227], v[60:61]
	v_add_f64 v[220:221], v[220:221], -v[62:63]
	v_add_f64 v[222:223], v[222:223], -v[144:145]
	v_mov_b64_e32 v[62:63], v[234:235]
.LBB110_839:
	s_or_b64 exec, exec, s[0:1]
	v_lshl_add_u32 v144, v237, 4, v236
	s_barrier
	ds_write2_b64 v144, v[56:57], v[58:59] offset1:1
	s_waitcnt lgkmcnt(0)
	s_barrier
	ds_read2_b64 v[224:227], v236 offset0:80 offset1:81
	s_cmp_lt_i32 s20, 42
	v_mov_b32_e32 v234, 40
	s_cbranch_scc1 .LBB110_842
; %bb.840:
	v_add_u32_e32 v235, 0x290, v236
	s_mov_b32 s16, 41
	v_mov_b32_e32 v234, 40
.LBB110_841:                            ; =>This Inner Loop Header: Depth=1
	ds_read2_b64 v[240:243], v235 offset1:1
	s_waitcnt lgkmcnt(1)
	v_xor_b32_e32 v145, 0x80000000, v225
	v_xor_b32_e32 v147, 0x80000000, v227
	v_cmp_gt_f64_e32 vcc, 0, v[226:227]
	v_cmp_gt_f64_e64 s[0:1], 0, v[224:225]
	v_mov_b32_e32 v144, v224
	v_mov_b32_e32 v146, v226
	v_cndmask_b32_e64 v145, v225, v145, s[0:1]
	v_cndmask_b32_e32 v147, v227, v147, vcc
	v_add_f64 v[144:145], v[144:145], v[146:147]
	s_waitcnt lgkmcnt(0)
	v_xor_b32_e32 v147, 0x80000000, v241
	v_xor_b32_e32 v153, 0x80000000, v243
	v_cmp_gt_f64_e32 vcc, 0, v[242:243]
	v_cmp_gt_f64_e64 s[0:1], 0, v[240:241]
	v_mov_b32_e32 v146, v240
	v_mov_b32_e32 v152, v242
	v_cndmask_b32_e64 v147, v241, v147, s[0:1]
	v_cndmask_b32_e32 v153, v243, v153, vcc
	v_add_f64 v[146:147], v[146:147], v[152:153]
	v_mov_b32_e32 v154, s16
	s_add_i32 s16, s16, 1
	v_cmp_lt_f64_e32 vcc, v[144:145], v[146:147]
	v_add_u32_e32 v235, 16, v235
	s_cmp_lg_u32 s20, s16
	v_cndmask_b32_e32 v225, v225, v241, vcc
	v_cndmask_b32_e32 v224, v224, v240, vcc
	;; [unrolled: 1-line block ×5, first 2 shown]
	s_cbranch_scc1 .LBB110_841
.LBB110_842:
	s_waitcnt lgkmcnt(0)
	v_cmp_eq_f64_e32 vcc, 0, v[224:225]
	v_cmp_eq_f64_e64 s[0:1], 0, v[226:227]
	s_and_b64 s[0:1], vcc, s[0:1]
	s_and_saveexec_b64 s[16:17], s[0:1]
	s_xor_b64 s[0:1], exec, s[16:17]
; %bb.843:
	v_cmp_ne_u32_e32 vcc, 0, v238
	s_nop 1
	v_cndmask_b32_e32 v238, 41, v238, vcc
; %bb.844:
	s_andn2_saveexec_b64 s[0:1], s[0:1]
	s_cbranch_execz .LBB110_850
; %bb.845:
	v_cmp_ngt_f64_e64 s[16:17], |v[224:225]|, |v[226:227]|
	s_and_saveexec_b64 s[18:19], s[16:17]
	s_xor_b64 s[16:17], exec, s[18:19]
	s_cbranch_execz .LBB110_847
; %bb.846:
	v_div_scale_f64 v[144:145], s[18:19], v[226:227], v[226:227], v[224:225]
	v_rcp_f64_e32 v[146:147], v[144:145]
	v_div_scale_f64 v[152:153], vcc, v[224:225], v[226:227], v[224:225]
	v_fma_f64 v[154:155], -v[144:145], v[146:147], 1.0
	v_fmac_f64_e32 v[146:147], v[146:147], v[154:155]
	v_fma_f64 v[154:155], -v[144:145], v[146:147], 1.0
	v_fmac_f64_e32 v[146:147], v[146:147], v[154:155]
	v_mul_f64 v[154:155], v[152:153], v[146:147]
	v_fma_f64 v[144:145], -v[144:145], v[154:155], v[152:153]
	v_div_fmas_f64 v[144:145], v[144:145], v[146:147], v[154:155]
	v_div_fixup_f64 v[144:145], v[144:145], v[226:227], v[224:225]
	v_fmac_f64_e32 v[226:227], v[224:225], v[144:145]
	v_div_scale_f64 v[146:147], s[18:19], v[226:227], v[226:227], 1.0
	v_rcp_f64_e32 v[152:153], v[146:147]
	s_nop 0
	v_fma_f64 v[154:155], -v[146:147], v[152:153], 1.0
	v_fmac_f64_e32 v[152:153], v[152:153], v[154:155]
	v_fma_f64 v[154:155], -v[146:147], v[152:153], 1.0
	v_fmac_f64_e32 v[152:153], v[152:153], v[154:155]
	v_div_scale_f64 v[154:155], vcc, 1.0, v[226:227], 1.0
	v_mul_f64 v[224:225], v[154:155], v[152:153]
	v_fma_f64 v[146:147], -v[146:147], v[224:225], v[154:155]
	s_nop 1
	v_div_fmas_f64 v[146:147], v[146:147], v[152:153], v[224:225]
	v_div_fixup_f64 v[226:227], v[146:147], v[226:227], 1.0
	v_mul_f64 v[224:225], v[144:145], v[226:227]
	v_xor_b32_e32 v227, 0x80000000, v227
.LBB110_847:
	s_andn2_saveexec_b64 s[16:17], s[16:17]
	s_cbranch_execz .LBB110_849
; %bb.848:
	v_div_scale_f64 v[144:145], s[18:19], v[224:225], v[224:225], v[226:227]
	v_rcp_f64_e32 v[146:147], v[144:145]
	v_div_scale_f64 v[152:153], vcc, v[226:227], v[224:225], v[226:227]
	v_fma_f64 v[154:155], -v[144:145], v[146:147], 1.0
	v_fmac_f64_e32 v[146:147], v[146:147], v[154:155]
	v_fma_f64 v[154:155], -v[144:145], v[146:147], 1.0
	v_fmac_f64_e32 v[146:147], v[146:147], v[154:155]
	v_mul_f64 v[154:155], v[152:153], v[146:147]
	v_fma_f64 v[144:145], -v[144:145], v[154:155], v[152:153]
	v_div_fmas_f64 v[144:145], v[144:145], v[146:147], v[154:155]
	v_div_fixup_f64 v[144:145], v[144:145], v[224:225], v[226:227]
	v_fmac_f64_e32 v[224:225], v[226:227], v[144:145]
	v_div_scale_f64 v[146:147], s[18:19], v[224:225], v[224:225], 1.0
	v_rcp_f64_e32 v[152:153], v[146:147]
	s_nop 0
	v_fma_f64 v[154:155], -v[146:147], v[152:153], 1.0
	v_fmac_f64_e32 v[152:153], v[152:153], v[154:155]
	v_fma_f64 v[154:155], -v[146:147], v[152:153], 1.0
	v_fmac_f64_e32 v[152:153], v[152:153], v[154:155]
	v_div_scale_f64 v[154:155], vcc, 1.0, v[224:225], 1.0
	v_mul_f64 v[226:227], v[154:155], v[152:153]
	v_fma_f64 v[146:147], -v[146:147], v[226:227], v[154:155]
	s_nop 1
	v_div_fmas_f64 v[146:147], v[146:147], v[152:153], v[226:227]
	v_div_fixup_f64 v[224:225], v[146:147], v[224:225], 1.0
	v_mul_f64 v[226:227], v[144:145], -v[224:225]
.LBB110_849:
	s_or_b64 exec, exec, s[16:17]
.LBB110_850:
	s_or_b64 exec, exec, s[0:1]
	v_cmp_ne_u32_e32 vcc, v237, v234
	s_and_saveexec_b64 s[0:1], vcc
	s_xor_b64 s[0:1], exec, s[0:1]
	s_cbranch_execz .LBB110_856
; %bb.851:
	v_cmp_eq_u32_e32 vcc, 40, v237
	s_and_saveexec_b64 s[16:17], vcc
	s_cbranch_execz .LBB110_855
; %bb.852:
	v_cmp_ne_u32_e32 vcc, 40, v234
	s_xor_b64 s[18:19], s[14:15], -1
	s_and_b64 s[22:23], s[18:19], vcc
	s_and_saveexec_b64 s[18:19], s[22:23]
	s_cbranch_execz .LBB110_854
; %bb.853:
	v_ashrrev_i32_e32 v235, 31, v234
	v_lshl_add_u64 v[144:145], v[234:235], 2, v[212:213]
	global_load_dword v146, v[144:145], off
	global_load_dword v147, v[212:213], off offset:160
	s_waitcnt vmcnt(1)
	global_store_dword v[212:213], v146, off offset:160
	s_waitcnt vmcnt(1)
	global_store_dword v[144:145], v147, off
.LBB110_854:
	s_or_b64 exec, exec, s[18:19]
	v_mov_b32_e32 v237, v234
	v_mov_b32_e32 v218, v234
.LBB110_855:
	s_or_b64 exec, exec, s[16:17]
.LBB110_856:
	s_andn2_saveexec_b64 s[0:1], s[0:1]
	s_cbranch_execz .LBB110_858
; %bb.857:
	v_mov_b32_e32 v237, 40
	ds_write2_b64 v236, v[52:53], v[54:55] offset0:82 offset1:83
	ds_write2_b64 v236, v[48:49], v[50:51] offset0:84 offset1:85
	ds_write2_b64 v236, v[44:45], v[46:47] offset0:86 offset1:87
	ds_write2_b64 v236, v[40:41], v[42:43] offset0:88 offset1:89
	ds_write2_b64 v236, v[36:37], v[38:39] offset0:90 offset1:91
	ds_write2_b64 v236, v[32:33], v[34:35] offset0:92 offset1:93
	ds_write2_b64 v236, v[28:29], v[30:31] offset0:94 offset1:95
	ds_write2_b64 v236, v[24:25], v[26:27] offset0:96 offset1:97
	ds_write2_b64 v236, v[20:21], v[22:23] offset0:98 offset1:99
	ds_write2_b64 v236, v[16:17], v[18:19] offset0:100 offset1:101
	ds_write2_b64 v236, v[12:13], v[14:15] offset0:102 offset1:103
	ds_write2_b64 v236, v[8:9], v[10:11] offset0:104 offset1:105
	ds_write2_b64 v236, v[4:5], v[6:7] offset0:106 offset1:107
	ds_write2_b64 v236, v[0:1], v[2:3] offset0:108 offset1:109
	ds_write2_b64 v236, v[220:221], v[222:223] offset0:110 offset1:111
.LBB110_858:
	s_or_b64 exec, exec, s[0:1]
	v_cmp_lt_i32_e32 vcc, 40, v237
	s_waitcnt lgkmcnt(0)
	s_barrier
	s_and_saveexec_b64 s[0:1], vcc
	s_cbranch_execz .LBB110_860
; %bb.859:
	ds_read2_b64 v[240:243], v236 offset0:82 offset1:83
	v_mul_f64 v[234:235], v[224:225], v[58:59]
	v_mul_f64 v[58:59], v[226:227], v[58:59]
	v_fmac_f64_e32 v[234:235], v[226:227], v[56:57]
	v_fma_f64 v[56:57], v[224:225], v[56:57], -v[58:59]
	ds_read2_b64 v[224:227], v236 offset0:84 offset1:85
	s_waitcnt lgkmcnt(1)
	v_mul_f64 v[58:59], v[242:243], v[234:235]
	v_mul_f64 v[144:145], v[240:241], v[234:235]
	v_fma_f64 v[58:59], v[240:241], v[56:57], -v[58:59]
	v_fmac_f64_e32 v[144:145], v[242:243], v[56:57]
	ds_read2_b64 v[240:243], v236 offset0:86 offset1:87
	v_add_f64 v[52:53], v[52:53], -v[58:59]
	v_add_f64 v[54:55], v[54:55], -v[144:145]
	s_waitcnt lgkmcnt(1)
	v_mul_f64 v[58:59], v[226:227], v[234:235]
	v_mul_f64 v[144:145], v[224:225], v[234:235]
	v_fma_f64 v[58:59], v[224:225], v[56:57], -v[58:59]
	v_fmac_f64_e32 v[144:145], v[226:227], v[56:57]
	ds_read2_b64 v[224:227], v236 offset0:88 offset1:89
	v_add_f64 v[48:49], v[48:49], -v[58:59]
	v_add_f64 v[50:51], v[50:51], -v[144:145]
	;; [unrolled: 8-line block ×13, first 2 shown]
	s_waitcnt lgkmcnt(1)
	v_mul_f64 v[58:59], v[226:227], v[234:235]
	v_mul_f64 v[144:145], v[224:225], v[234:235]
	v_fma_f64 v[58:59], v[224:225], v[56:57], -v[58:59]
	v_fmac_f64_e32 v[144:145], v[226:227], v[56:57]
	v_add_f64 v[0:1], v[0:1], -v[58:59]
	v_add_f64 v[2:3], v[2:3], -v[144:145]
	s_waitcnt lgkmcnt(0)
	v_mul_f64 v[58:59], v[242:243], v[234:235]
	v_mul_f64 v[144:145], v[240:241], v[234:235]
	v_fma_f64 v[58:59], v[240:241], v[56:57], -v[58:59]
	v_fmac_f64_e32 v[144:145], v[242:243], v[56:57]
	v_add_f64 v[220:221], v[220:221], -v[58:59]
	v_add_f64 v[222:223], v[222:223], -v[144:145]
	v_mov_b64_e32 v[58:59], v[234:235]
.LBB110_860:
	s_or_b64 exec, exec, s[0:1]
	v_lshl_add_u32 v144, v237, 4, v236
	s_barrier
	ds_write2_b64 v144, v[52:53], v[54:55] offset1:1
	s_waitcnt lgkmcnt(0)
	s_barrier
	ds_read2_b64 v[224:227], v236 offset0:82 offset1:83
	s_cmp_lt_i32 s20, 43
	v_mov_b32_e32 v234, 41
	s_cbranch_scc1 .LBB110_863
; %bb.861:
	v_add_u32_e32 v235, 0x2a0, v236
	s_mov_b32 s16, 42
	v_mov_b32_e32 v234, 41
.LBB110_862:                            ; =>This Inner Loop Header: Depth=1
	ds_read2_b64 v[240:243], v235 offset1:1
	s_waitcnt lgkmcnt(1)
	v_xor_b32_e32 v145, 0x80000000, v225
	v_xor_b32_e32 v147, 0x80000000, v227
	v_cmp_gt_f64_e32 vcc, 0, v[226:227]
	v_cmp_gt_f64_e64 s[0:1], 0, v[224:225]
	v_mov_b32_e32 v144, v224
	v_mov_b32_e32 v146, v226
	v_cndmask_b32_e64 v145, v225, v145, s[0:1]
	v_cndmask_b32_e32 v147, v227, v147, vcc
	v_add_f64 v[144:145], v[144:145], v[146:147]
	s_waitcnt lgkmcnt(0)
	v_xor_b32_e32 v147, 0x80000000, v241
	v_xor_b32_e32 v153, 0x80000000, v243
	v_cmp_gt_f64_e32 vcc, 0, v[242:243]
	v_cmp_gt_f64_e64 s[0:1], 0, v[240:241]
	v_mov_b32_e32 v146, v240
	v_mov_b32_e32 v152, v242
	v_cndmask_b32_e64 v147, v241, v147, s[0:1]
	v_cndmask_b32_e32 v153, v243, v153, vcc
	v_add_f64 v[146:147], v[146:147], v[152:153]
	v_mov_b32_e32 v154, s16
	s_add_i32 s16, s16, 1
	v_cmp_lt_f64_e32 vcc, v[144:145], v[146:147]
	v_add_u32_e32 v235, 16, v235
	s_cmp_lg_u32 s20, s16
	v_cndmask_b32_e32 v225, v225, v241, vcc
	v_cndmask_b32_e32 v224, v224, v240, vcc
	;; [unrolled: 1-line block ×5, first 2 shown]
	s_cbranch_scc1 .LBB110_862
.LBB110_863:
	s_waitcnt lgkmcnt(0)
	v_cmp_eq_f64_e32 vcc, 0, v[224:225]
	v_cmp_eq_f64_e64 s[0:1], 0, v[226:227]
	s_and_b64 s[0:1], vcc, s[0:1]
	s_and_saveexec_b64 s[16:17], s[0:1]
	s_xor_b64 s[0:1], exec, s[16:17]
; %bb.864:
	v_cmp_ne_u32_e32 vcc, 0, v238
	s_nop 1
	v_cndmask_b32_e32 v238, 42, v238, vcc
; %bb.865:
	s_andn2_saveexec_b64 s[0:1], s[0:1]
	s_cbranch_execz .LBB110_871
; %bb.866:
	v_cmp_ngt_f64_e64 s[16:17], |v[224:225]|, |v[226:227]|
	s_and_saveexec_b64 s[18:19], s[16:17]
	s_xor_b64 s[16:17], exec, s[18:19]
	s_cbranch_execz .LBB110_868
; %bb.867:
	v_div_scale_f64 v[144:145], s[18:19], v[226:227], v[226:227], v[224:225]
	v_rcp_f64_e32 v[146:147], v[144:145]
	v_div_scale_f64 v[152:153], vcc, v[224:225], v[226:227], v[224:225]
	v_fma_f64 v[154:155], -v[144:145], v[146:147], 1.0
	v_fmac_f64_e32 v[146:147], v[146:147], v[154:155]
	v_fma_f64 v[154:155], -v[144:145], v[146:147], 1.0
	v_fmac_f64_e32 v[146:147], v[146:147], v[154:155]
	v_mul_f64 v[154:155], v[152:153], v[146:147]
	v_fma_f64 v[144:145], -v[144:145], v[154:155], v[152:153]
	v_div_fmas_f64 v[144:145], v[144:145], v[146:147], v[154:155]
	v_div_fixup_f64 v[144:145], v[144:145], v[226:227], v[224:225]
	v_fmac_f64_e32 v[226:227], v[224:225], v[144:145]
	v_div_scale_f64 v[146:147], s[18:19], v[226:227], v[226:227], 1.0
	v_rcp_f64_e32 v[152:153], v[146:147]
	s_nop 0
	v_fma_f64 v[154:155], -v[146:147], v[152:153], 1.0
	v_fmac_f64_e32 v[152:153], v[152:153], v[154:155]
	v_fma_f64 v[154:155], -v[146:147], v[152:153], 1.0
	v_fmac_f64_e32 v[152:153], v[152:153], v[154:155]
	v_div_scale_f64 v[154:155], vcc, 1.0, v[226:227], 1.0
	v_mul_f64 v[224:225], v[154:155], v[152:153]
	v_fma_f64 v[146:147], -v[146:147], v[224:225], v[154:155]
	s_nop 1
	v_div_fmas_f64 v[146:147], v[146:147], v[152:153], v[224:225]
	v_div_fixup_f64 v[226:227], v[146:147], v[226:227], 1.0
	v_mul_f64 v[224:225], v[144:145], v[226:227]
	v_xor_b32_e32 v227, 0x80000000, v227
.LBB110_868:
	s_andn2_saveexec_b64 s[16:17], s[16:17]
	s_cbranch_execz .LBB110_870
; %bb.869:
	v_div_scale_f64 v[144:145], s[18:19], v[224:225], v[224:225], v[226:227]
	v_rcp_f64_e32 v[146:147], v[144:145]
	v_div_scale_f64 v[152:153], vcc, v[226:227], v[224:225], v[226:227]
	v_fma_f64 v[154:155], -v[144:145], v[146:147], 1.0
	v_fmac_f64_e32 v[146:147], v[146:147], v[154:155]
	v_fma_f64 v[154:155], -v[144:145], v[146:147], 1.0
	v_fmac_f64_e32 v[146:147], v[146:147], v[154:155]
	v_mul_f64 v[154:155], v[152:153], v[146:147]
	v_fma_f64 v[144:145], -v[144:145], v[154:155], v[152:153]
	v_div_fmas_f64 v[144:145], v[144:145], v[146:147], v[154:155]
	v_div_fixup_f64 v[144:145], v[144:145], v[224:225], v[226:227]
	v_fmac_f64_e32 v[224:225], v[226:227], v[144:145]
	v_div_scale_f64 v[146:147], s[18:19], v[224:225], v[224:225], 1.0
	v_rcp_f64_e32 v[152:153], v[146:147]
	s_nop 0
	v_fma_f64 v[154:155], -v[146:147], v[152:153], 1.0
	v_fmac_f64_e32 v[152:153], v[152:153], v[154:155]
	v_fma_f64 v[154:155], -v[146:147], v[152:153], 1.0
	v_fmac_f64_e32 v[152:153], v[152:153], v[154:155]
	v_div_scale_f64 v[154:155], vcc, 1.0, v[224:225], 1.0
	v_mul_f64 v[226:227], v[154:155], v[152:153]
	v_fma_f64 v[146:147], -v[146:147], v[226:227], v[154:155]
	s_nop 1
	v_div_fmas_f64 v[146:147], v[146:147], v[152:153], v[226:227]
	v_div_fixup_f64 v[224:225], v[146:147], v[224:225], 1.0
	v_mul_f64 v[226:227], v[144:145], -v[224:225]
.LBB110_870:
	s_or_b64 exec, exec, s[16:17]
.LBB110_871:
	s_or_b64 exec, exec, s[0:1]
	v_cmp_ne_u32_e32 vcc, v237, v234
	s_and_saveexec_b64 s[0:1], vcc
	s_xor_b64 s[0:1], exec, s[0:1]
	s_cbranch_execz .LBB110_877
; %bb.872:
	v_cmp_eq_u32_e32 vcc, 41, v237
	s_and_saveexec_b64 s[16:17], vcc
	s_cbranch_execz .LBB110_876
; %bb.873:
	v_cmp_ne_u32_e32 vcc, 41, v234
	s_xor_b64 s[18:19], s[14:15], -1
	s_and_b64 s[22:23], s[18:19], vcc
	s_and_saveexec_b64 s[18:19], s[22:23]
	s_cbranch_execz .LBB110_875
; %bb.874:
	v_ashrrev_i32_e32 v235, 31, v234
	v_lshl_add_u64 v[144:145], v[234:235], 2, v[212:213]
	global_load_dword v146, v[144:145], off
	global_load_dword v147, v[212:213], off offset:164
	s_waitcnt vmcnt(1)
	global_store_dword v[212:213], v146, off offset:164
	s_waitcnt vmcnt(1)
	global_store_dword v[144:145], v147, off
.LBB110_875:
	s_or_b64 exec, exec, s[18:19]
	v_mov_b32_e32 v237, v234
	v_mov_b32_e32 v218, v234
.LBB110_876:
	s_or_b64 exec, exec, s[16:17]
.LBB110_877:
	s_andn2_saveexec_b64 s[0:1], s[0:1]
	s_cbranch_execz .LBB110_879
; %bb.878:
	v_mov_b32_e32 v237, 41
	ds_write2_b64 v236, v[48:49], v[50:51] offset0:84 offset1:85
	ds_write2_b64 v236, v[44:45], v[46:47] offset0:86 offset1:87
	;; [unrolled: 1-line block ×14, first 2 shown]
.LBB110_879:
	s_or_b64 exec, exec, s[0:1]
	v_cmp_lt_i32_e32 vcc, 41, v237
	s_waitcnt lgkmcnt(0)
	s_barrier
	s_and_saveexec_b64 s[0:1], vcc
	s_cbranch_execz .LBB110_881
; %bb.880:
	ds_read2_b64 v[240:243], v236 offset0:84 offset1:85
	v_mul_f64 v[234:235], v[224:225], v[54:55]
	v_mul_f64 v[54:55], v[226:227], v[54:55]
	v_fmac_f64_e32 v[234:235], v[226:227], v[52:53]
	v_fma_f64 v[52:53], v[224:225], v[52:53], -v[54:55]
	ds_read2_b64 v[224:227], v236 offset0:86 offset1:87
	s_waitcnt lgkmcnt(1)
	v_mul_f64 v[54:55], v[242:243], v[234:235]
	v_mul_f64 v[144:145], v[240:241], v[234:235]
	v_fma_f64 v[54:55], v[240:241], v[52:53], -v[54:55]
	v_fmac_f64_e32 v[144:145], v[242:243], v[52:53]
	ds_read2_b64 v[240:243], v236 offset0:88 offset1:89
	v_add_f64 v[48:49], v[48:49], -v[54:55]
	v_add_f64 v[50:51], v[50:51], -v[144:145]
	s_waitcnt lgkmcnt(1)
	v_mul_f64 v[54:55], v[226:227], v[234:235]
	v_mul_f64 v[144:145], v[224:225], v[234:235]
	v_fma_f64 v[54:55], v[224:225], v[52:53], -v[54:55]
	v_fmac_f64_e32 v[144:145], v[226:227], v[52:53]
	ds_read2_b64 v[224:227], v236 offset0:90 offset1:91
	v_add_f64 v[44:45], v[44:45], -v[54:55]
	v_add_f64 v[46:47], v[46:47], -v[144:145]
	s_waitcnt lgkmcnt(1)
	v_mul_f64 v[54:55], v[242:243], v[234:235]
	v_mul_f64 v[144:145], v[240:241], v[234:235]
	v_fma_f64 v[54:55], v[240:241], v[52:53], -v[54:55]
	v_fmac_f64_e32 v[144:145], v[242:243], v[52:53]
	ds_read2_b64 v[240:243], v236 offset0:92 offset1:93
	v_add_f64 v[40:41], v[40:41], -v[54:55]
	v_add_f64 v[42:43], v[42:43], -v[144:145]
	s_waitcnt lgkmcnt(1)
	v_mul_f64 v[54:55], v[226:227], v[234:235]
	v_mul_f64 v[144:145], v[224:225], v[234:235]
	v_fma_f64 v[54:55], v[224:225], v[52:53], -v[54:55]
	v_fmac_f64_e32 v[144:145], v[226:227], v[52:53]
	ds_read2_b64 v[224:227], v236 offset0:94 offset1:95
	v_add_f64 v[36:37], v[36:37], -v[54:55]
	v_add_f64 v[38:39], v[38:39], -v[144:145]
	s_waitcnt lgkmcnt(1)
	v_mul_f64 v[54:55], v[242:243], v[234:235]
	v_mul_f64 v[144:145], v[240:241], v[234:235]
	v_fma_f64 v[54:55], v[240:241], v[52:53], -v[54:55]
	v_fmac_f64_e32 v[144:145], v[242:243], v[52:53]
	ds_read2_b64 v[240:243], v236 offset0:96 offset1:97
	v_add_f64 v[32:33], v[32:33], -v[54:55]
	v_add_f64 v[34:35], v[34:35], -v[144:145]
	s_waitcnt lgkmcnt(1)
	v_mul_f64 v[54:55], v[226:227], v[234:235]
	v_mul_f64 v[144:145], v[224:225], v[234:235]
	v_fma_f64 v[54:55], v[224:225], v[52:53], -v[54:55]
	v_fmac_f64_e32 v[144:145], v[226:227], v[52:53]
	ds_read2_b64 v[224:227], v236 offset0:98 offset1:99
	v_add_f64 v[28:29], v[28:29], -v[54:55]
	v_add_f64 v[30:31], v[30:31], -v[144:145]
	s_waitcnt lgkmcnt(1)
	v_mul_f64 v[54:55], v[242:243], v[234:235]
	v_mul_f64 v[144:145], v[240:241], v[234:235]
	v_fma_f64 v[54:55], v[240:241], v[52:53], -v[54:55]
	v_fmac_f64_e32 v[144:145], v[242:243], v[52:53]
	ds_read2_b64 v[240:243], v236 offset0:100 offset1:101
	v_add_f64 v[24:25], v[24:25], -v[54:55]
	v_add_f64 v[26:27], v[26:27], -v[144:145]
	s_waitcnt lgkmcnt(1)
	v_mul_f64 v[54:55], v[226:227], v[234:235]
	v_mul_f64 v[144:145], v[224:225], v[234:235]
	v_fma_f64 v[54:55], v[224:225], v[52:53], -v[54:55]
	v_fmac_f64_e32 v[144:145], v[226:227], v[52:53]
	ds_read2_b64 v[224:227], v236 offset0:102 offset1:103
	v_add_f64 v[20:21], v[20:21], -v[54:55]
	v_add_f64 v[22:23], v[22:23], -v[144:145]
	s_waitcnt lgkmcnt(1)
	v_mul_f64 v[54:55], v[242:243], v[234:235]
	v_mul_f64 v[144:145], v[240:241], v[234:235]
	v_fma_f64 v[54:55], v[240:241], v[52:53], -v[54:55]
	v_fmac_f64_e32 v[144:145], v[242:243], v[52:53]
	ds_read2_b64 v[240:243], v236 offset0:104 offset1:105
	v_add_f64 v[16:17], v[16:17], -v[54:55]
	v_add_f64 v[18:19], v[18:19], -v[144:145]
	s_waitcnt lgkmcnt(1)
	v_mul_f64 v[54:55], v[226:227], v[234:235]
	v_mul_f64 v[144:145], v[224:225], v[234:235]
	v_fma_f64 v[54:55], v[224:225], v[52:53], -v[54:55]
	v_fmac_f64_e32 v[144:145], v[226:227], v[52:53]
	ds_read2_b64 v[224:227], v236 offset0:106 offset1:107
	v_add_f64 v[12:13], v[12:13], -v[54:55]
	v_add_f64 v[14:15], v[14:15], -v[144:145]
	s_waitcnt lgkmcnt(1)
	v_mul_f64 v[54:55], v[242:243], v[234:235]
	v_mul_f64 v[144:145], v[240:241], v[234:235]
	v_fma_f64 v[54:55], v[240:241], v[52:53], -v[54:55]
	v_fmac_f64_e32 v[144:145], v[242:243], v[52:53]
	ds_read2_b64 v[240:243], v236 offset0:108 offset1:109
	v_add_f64 v[8:9], v[8:9], -v[54:55]
	v_add_f64 v[10:11], v[10:11], -v[144:145]
	s_waitcnt lgkmcnt(1)
	v_mul_f64 v[54:55], v[226:227], v[234:235]
	v_mul_f64 v[144:145], v[224:225], v[234:235]
	v_fma_f64 v[54:55], v[224:225], v[52:53], -v[54:55]
	v_fmac_f64_e32 v[144:145], v[226:227], v[52:53]
	ds_read2_b64 v[224:227], v236 offset0:110 offset1:111
	v_add_f64 v[4:5], v[4:5], -v[54:55]
	v_add_f64 v[6:7], v[6:7], -v[144:145]
	s_waitcnt lgkmcnt(1)
	v_mul_f64 v[54:55], v[242:243], v[234:235]
	v_mul_f64 v[144:145], v[240:241], v[234:235]
	v_fma_f64 v[54:55], v[240:241], v[52:53], -v[54:55]
	v_fmac_f64_e32 v[144:145], v[242:243], v[52:53]
	v_add_f64 v[0:1], v[0:1], -v[54:55]
	v_add_f64 v[2:3], v[2:3], -v[144:145]
	s_waitcnt lgkmcnt(0)
	v_mul_f64 v[54:55], v[226:227], v[234:235]
	v_mul_f64 v[144:145], v[224:225], v[234:235]
	v_fma_f64 v[54:55], v[224:225], v[52:53], -v[54:55]
	v_fmac_f64_e32 v[144:145], v[226:227], v[52:53]
	v_add_f64 v[220:221], v[220:221], -v[54:55]
	v_add_f64 v[222:223], v[222:223], -v[144:145]
	v_mov_b64_e32 v[54:55], v[234:235]
.LBB110_881:
	s_or_b64 exec, exec, s[0:1]
	v_lshl_add_u32 v144, v237, 4, v236
	s_barrier
	ds_write2_b64 v144, v[48:49], v[50:51] offset1:1
	s_waitcnt lgkmcnt(0)
	s_barrier
	ds_read2_b64 v[224:227], v236 offset0:84 offset1:85
	s_cmp_lt_i32 s20, 44
	v_mov_b32_e32 v234, 42
	s_cbranch_scc1 .LBB110_884
; %bb.882:
	v_add_u32_e32 v235, 0x2b0, v236
	s_mov_b32 s16, 43
	v_mov_b32_e32 v234, 42
.LBB110_883:                            ; =>This Inner Loop Header: Depth=1
	ds_read2_b64 v[240:243], v235 offset1:1
	s_waitcnt lgkmcnt(1)
	v_xor_b32_e32 v145, 0x80000000, v225
	v_xor_b32_e32 v147, 0x80000000, v227
	v_cmp_gt_f64_e32 vcc, 0, v[226:227]
	v_cmp_gt_f64_e64 s[0:1], 0, v[224:225]
	v_mov_b32_e32 v144, v224
	v_mov_b32_e32 v146, v226
	v_cndmask_b32_e64 v145, v225, v145, s[0:1]
	v_cndmask_b32_e32 v147, v227, v147, vcc
	v_add_f64 v[144:145], v[144:145], v[146:147]
	s_waitcnt lgkmcnt(0)
	v_xor_b32_e32 v147, 0x80000000, v241
	v_xor_b32_e32 v153, 0x80000000, v243
	v_cmp_gt_f64_e32 vcc, 0, v[242:243]
	v_cmp_gt_f64_e64 s[0:1], 0, v[240:241]
	v_mov_b32_e32 v146, v240
	v_mov_b32_e32 v152, v242
	v_cndmask_b32_e64 v147, v241, v147, s[0:1]
	v_cndmask_b32_e32 v153, v243, v153, vcc
	v_add_f64 v[146:147], v[146:147], v[152:153]
	v_mov_b32_e32 v154, s16
	s_add_i32 s16, s16, 1
	v_cmp_lt_f64_e32 vcc, v[144:145], v[146:147]
	v_add_u32_e32 v235, 16, v235
	s_cmp_lg_u32 s20, s16
	v_cndmask_b32_e32 v225, v225, v241, vcc
	v_cndmask_b32_e32 v224, v224, v240, vcc
	;; [unrolled: 1-line block ×5, first 2 shown]
	s_cbranch_scc1 .LBB110_883
.LBB110_884:
	s_waitcnt lgkmcnt(0)
	v_cmp_eq_f64_e32 vcc, 0, v[224:225]
	v_cmp_eq_f64_e64 s[0:1], 0, v[226:227]
	s_and_b64 s[0:1], vcc, s[0:1]
	s_and_saveexec_b64 s[16:17], s[0:1]
	s_xor_b64 s[0:1], exec, s[16:17]
; %bb.885:
	v_cmp_ne_u32_e32 vcc, 0, v238
	s_nop 1
	v_cndmask_b32_e32 v238, 43, v238, vcc
; %bb.886:
	s_andn2_saveexec_b64 s[0:1], s[0:1]
	s_cbranch_execz .LBB110_892
; %bb.887:
	v_cmp_ngt_f64_e64 s[16:17], |v[224:225]|, |v[226:227]|
	s_and_saveexec_b64 s[18:19], s[16:17]
	s_xor_b64 s[16:17], exec, s[18:19]
	s_cbranch_execz .LBB110_889
; %bb.888:
	v_div_scale_f64 v[144:145], s[18:19], v[226:227], v[226:227], v[224:225]
	v_rcp_f64_e32 v[146:147], v[144:145]
	v_div_scale_f64 v[152:153], vcc, v[224:225], v[226:227], v[224:225]
	v_fma_f64 v[154:155], -v[144:145], v[146:147], 1.0
	v_fmac_f64_e32 v[146:147], v[146:147], v[154:155]
	v_fma_f64 v[154:155], -v[144:145], v[146:147], 1.0
	v_fmac_f64_e32 v[146:147], v[146:147], v[154:155]
	v_mul_f64 v[154:155], v[152:153], v[146:147]
	v_fma_f64 v[144:145], -v[144:145], v[154:155], v[152:153]
	v_div_fmas_f64 v[144:145], v[144:145], v[146:147], v[154:155]
	v_div_fixup_f64 v[144:145], v[144:145], v[226:227], v[224:225]
	v_fmac_f64_e32 v[226:227], v[224:225], v[144:145]
	v_div_scale_f64 v[146:147], s[18:19], v[226:227], v[226:227], 1.0
	v_rcp_f64_e32 v[152:153], v[146:147]
	s_nop 0
	v_fma_f64 v[154:155], -v[146:147], v[152:153], 1.0
	v_fmac_f64_e32 v[152:153], v[152:153], v[154:155]
	v_fma_f64 v[154:155], -v[146:147], v[152:153], 1.0
	v_fmac_f64_e32 v[152:153], v[152:153], v[154:155]
	v_div_scale_f64 v[154:155], vcc, 1.0, v[226:227], 1.0
	v_mul_f64 v[224:225], v[154:155], v[152:153]
	v_fma_f64 v[146:147], -v[146:147], v[224:225], v[154:155]
	s_nop 1
	v_div_fmas_f64 v[146:147], v[146:147], v[152:153], v[224:225]
	v_div_fixup_f64 v[226:227], v[146:147], v[226:227], 1.0
	v_mul_f64 v[224:225], v[144:145], v[226:227]
	v_xor_b32_e32 v227, 0x80000000, v227
.LBB110_889:
	s_andn2_saveexec_b64 s[16:17], s[16:17]
	s_cbranch_execz .LBB110_891
; %bb.890:
	v_div_scale_f64 v[144:145], s[18:19], v[224:225], v[224:225], v[226:227]
	v_rcp_f64_e32 v[146:147], v[144:145]
	v_div_scale_f64 v[152:153], vcc, v[226:227], v[224:225], v[226:227]
	v_fma_f64 v[154:155], -v[144:145], v[146:147], 1.0
	v_fmac_f64_e32 v[146:147], v[146:147], v[154:155]
	v_fma_f64 v[154:155], -v[144:145], v[146:147], 1.0
	v_fmac_f64_e32 v[146:147], v[146:147], v[154:155]
	v_mul_f64 v[154:155], v[152:153], v[146:147]
	v_fma_f64 v[144:145], -v[144:145], v[154:155], v[152:153]
	v_div_fmas_f64 v[144:145], v[144:145], v[146:147], v[154:155]
	v_div_fixup_f64 v[144:145], v[144:145], v[224:225], v[226:227]
	v_fmac_f64_e32 v[224:225], v[226:227], v[144:145]
	v_div_scale_f64 v[146:147], s[18:19], v[224:225], v[224:225], 1.0
	v_rcp_f64_e32 v[152:153], v[146:147]
	s_nop 0
	v_fma_f64 v[154:155], -v[146:147], v[152:153], 1.0
	v_fmac_f64_e32 v[152:153], v[152:153], v[154:155]
	v_fma_f64 v[154:155], -v[146:147], v[152:153], 1.0
	v_fmac_f64_e32 v[152:153], v[152:153], v[154:155]
	v_div_scale_f64 v[154:155], vcc, 1.0, v[224:225], 1.0
	v_mul_f64 v[226:227], v[154:155], v[152:153]
	v_fma_f64 v[146:147], -v[146:147], v[226:227], v[154:155]
	s_nop 1
	v_div_fmas_f64 v[146:147], v[146:147], v[152:153], v[226:227]
	v_div_fixup_f64 v[224:225], v[146:147], v[224:225], 1.0
	v_mul_f64 v[226:227], v[144:145], -v[224:225]
.LBB110_891:
	s_or_b64 exec, exec, s[16:17]
.LBB110_892:
	s_or_b64 exec, exec, s[0:1]
	v_cmp_ne_u32_e32 vcc, v237, v234
	s_and_saveexec_b64 s[0:1], vcc
	s_xor_b64 s[0:1], exec, s[0:1]
	s_cbranch_execz .LBB110_898
; %bb.893:
	v_cmp_eq_u32_e32 vcc, 42, v237
	s_and_saveexec_b64 s[16:17], vcc
	s_cbranch_execz .LBB110_897
; %bb.894:
	v_cmp_ne_u32_e32 vcc, 42, v234
	s_xor_b64 s[18:19], s[14:15], -1
	s_and_b64 s[22:23], s[18:19], vcc
	s_and_saveexec_b64 s[18:19], s[22:23]
	s_cbranch_execz .LBB110_896
; %bb.895:
	v_ashrrev_i32_e32 v235, 31, v234
	v_lshl_add_u64 v[144:145], v[234:235], 2, v[212:213]
	global_load_dword v146, v[144:145], off
	global_load_dword v147, v[212:213], off offset:168
	s_waitcnt vmcnt(1)
	global_store_dword v[212:213], v146, off offset:168
	s_waitcnt vmcnt(1)
	global_store_dword v[144:145], v147, off
.LBB110_896:
	s_or_b64 exec, exec, s[18:19]
	v_mov_b32_e32 v237, v234
	v_mov_b32_e32 v218, v234
.LBB110_897:
	s_or_b64 exec, exec, s[16:17]
.LBB110_898:
	s_andn2_saveexec_b64 s[0:1], s[0:1]
	s_cbranch_execz .LBB110_900
; %bb.899:
	v_mov_b32_e32 v237, 42
	ds_write2_b64 v236, v[44:45], v[46:47] offset0:86 offset1:87
	ds_write2_b64 v236, v[40:41], v[42:43] offset0:88 offset1:89
	;; [unrolled: 1-line block ×13, first 2 shown]
.LBB110_900:
	s_or_b64 exec, exec, s[0:1]
	v_cmp_lt_i32_e32 vcc, 42, v237
	s_waitcnt lgkmcnt(0)
	s_barrier
	s_and_saveexec_b64 s[0:1], vcc
	s_cbranch_execz .LBB110_902
; %bb.901:
	ds_read2_b64 v[240:243], v236 offset0:86 offset1:87
	v_mul_f64 v[144:145], v[224:225], v[50:51]
	v_mul_f64 v[50:51], v[226:227], v[50:51]
	v_fmac_f64_e32 v[144:145], v[226:227], v[48:49]
	v_fma_f64 v[48:49], v[224:225], v[48:49], -v[50:51]
	ds_read2_b64 v[224:227], v236 offset0:88 offset1:89
	s_waitcnt lgkmcnt(1)
	v_mul_f64 v[50:51], v[242:243], v[144:145]
	v_mul_f64 v[146:147], v[240:241], v[144:145]
	v_fma_f64 v[50:51], v[240:241], v[48:49], -v[50:51]
	v_fmac_f64_e32 v[146:147], v[242:243], v[48:49]
	ds_read2_b64 v[240:243], v236 offset0:90 offset1:91
	v_add_f64 v[44:45], v[44:45], -v[50:51]
	v_add_f64 v[46:47], v[46:47], -v[146:147]
	s_waitcnt lgkmcnt(1)
	v_mul_f64 v[50:51], v[226:227], v[144:145]
	v_mul_f64 v[146:147], v[224:225], v[144:145]
	v_fma_f64 v[50:51], v[224:225], v[48:49], -v[50:51]
	v_fmac_f64_e32 v[146:147], v[226:227], v[48:49]
	ds_read2_b64 v[224:227], v236 offset0:92 offset1:93
	v_add_f64 v[40:41], v[40:41], -v[50:51]
	v_add_f64 v[42:43], v[42:43], -v[146:147]
	s_waitcnt lgkmcnt(1)
	v_mul_f64 v[50:51], v[242:243], v[144:145]
	v_mul_f64 v[146:147], v[240:241], v[144:145]
	v_fma_f64 v[50:51], v[240:241], v[48:49], -v[50:51]
	v_fmac_f64_e32 v[146:147], v[242:243], v[48:49]
	ds_read2_b64 v[240:243], v236 offset0:94 offset1:95
	v_add_f64 v[36:37], v[36:37], -v[50:51]
	v_add_f64 v[38:39], v[38:39], -v[146:147]
	s_waitcnt lgkmcnt(1)
	v_mul_f64 v[50:51], v[226:227], v[144:145]
	v_mul_f64 v[146:147], v[224:225], v[144:145]
	v_fma_f64 v[50:51], v[224:225], v[48:49], -v[50:51]
	v_fmac_f64_e32 v[146:147], v[226:227], v[48:49]
	ds_read2_b64 v[224:227], v236 offset0:96 offset1:97
	v_add_f64 v[32:33], v[32:33], -v[50:51]
	v_add_f64 v[34:35], v[34:35], -v[146:147]
	s_waitcnt lgkmcnt(1)
	v_mul_f64 v[50:51], v[242:243], v[144:145]
	v_mul_f64 v[146:147], v[240:241], v[144:145]
	v_fma_f64 v[50:51], v[240:241], v[48:49], -v[50:51]
	v_fmac_f64_e32 v[146:147], v[242:243], v[48:49]
	ds_read2_b64 v[240:243], v236 offset0:98 offset1:99
	v_add_f64 v[28:29], v[28:29], -v[50:51]
	v_add_f64 v[30:31], v[30:31], -v[146:147]
	s_waitcnt lgkmcnt(1)
	v_mul_f64 v[50:51], v[226:227], v[144:145]
	v_mul_f64 v[146:147], v[224:225], v[144:145]
	v_fma_f64 v[50:51], v[224:225], v[48:49], -v[50:51]
	v_fmac_f64_e32 v[146:147], v[226:227], v[48:49]
	ds_read2_b64 v[224:227], v236 offset0:100 offset1:101
	v_add_f64 v[24:25], v[24:25], -v[50:51]
	v_add_f64 v[26:27], v[26:27], -v[146:147]
	s_waitcnt lgkmcnt(1)
	v_mul_f64 v[50:51], v[242:243], v[144:145]
	v_mul_f64 v[146:147], v[240:241], v[144:145]
	v_fma_f64 v[50:51], v[240:241], v[48:49], -v[50:51]
	v_fmac_f64_e32 v[146:147], v[242:243], v[48:49]
	ds_read2_b64 v[240:243], v236 offset0:102 offset1:103
	v_add_f64 v[20:21], v[20:21], -v[50:51]
	v_add_f64 v[22:23], v[22:23], -v[146:147]
	s_waitcnt lgkmcnt(1)
	v_mul_f64 v[50:51], v[226:227], v[144:145]
	v_mul_f64 v[146:147], v[224:225], v[144:145]
	v_fma_f64 v[50:51], v[224:225], v[48:49], -v[50:51]
	v_fmac_f64_e32 v[146:147], v[226:227], v[48:49]
	ds_read2_b64 v[224:227], v236 offset0:104 offset1:105
	v_add_f64 v[16:17], v[16:17], -v[50:51]
	v_add_f64 v[18:19], v[18:19], -v[146:147]
	s_waitcnt lgkmcnt(1)
	v_mul_f64 v[50:51], v[242:243], v[144:145]
	v_mul_f64 v[146:147], v[240:241], v[144:145]
	v_fma_f64 v[50:51], v[240:241], v[48:49], -v[50:51]
	v_fmac_f64_e32 v[146:147], v[242:243], v[48:49]
	ds_read2_b64 v[240:243], v236 offset0:106 offset1:107
	v_add_f64 v[12:13], v[12:13], -v[50:51]
	v_add_f64 v[14:15], v[14:15], -v[146:147]
	s_waitcnt lgkmcnt(1)
	v_mul_f64 v[50:51], v[226:227], v[144:145]
	v_mul_f64 v[146:147], v[224:225], v[144:145]
	v_fma_f64 v[50:51], v[224:225], v[48:49], -v[50:51]
	v_fmac_f64_e32 v[146:147], v[226:227], v[48:49]
	ds_read2_b64 v[224:227], v236 offset0:108 offset1:109
	v_add_f64 v[8:9], v[8:9], -v[50:51]
	v_add_f64 v[10:11], v[10:11], -v[146:147]
	s_waitcnt lgkmcnt(1)
	v_mul_f64 v[50:51], v[242:243], v[144:145]
	v_mul_f64 v[146:147], v[240:241], v[144:145]
	v_fma_f64 v[50:51], v[240:241], v[48:49], -v[50:51]
	v_fmac_f64_e32 v[146:147], v[242:243], v[48:49]
	ds_read2_b64 v[240:243], v236 offset0:110 offset1:111
	v_add_f64 v[4:5], v[4:5], -v[50:51]
	v_add_f64 v[6:7], v[6:7], -v[146:147]
	s_waitcnt lgkmcnt(1)
	v_mul_f64 v[50:51], v[226:227], v[144:145]
	v_mul_f64 v[146:147], v[224:225], v[144:145]
	v_fma_f64 v[50:51], v[224:225], v[48:49], -v[50:51]
	v_fmac_f64_e32 v[146:147], v[226:227], v[48:49]
	v_add_f64 v[0:1], v[0:1], -v[50:51]
	v_add_f64 v[2:3], v[2:3], -v[146:147]
	s_waitcnt lgkmcnt(0)
	v_mul_f64 v[50:51], v[242:243], v[144:145]
	v_mul_f64 v[146:147], v[240:241], v[144:145]
	v_fma_f64 v[50:51], v[240:241], v[48:49], -v[50:51]
	v_fmac_f64_e32 v[146:147], v[242:243], v[48:49]
	v_add_f64 v[220:221], v[220:221], -v[50:51]
	v_add_f64 v[222:223], v[222:223], -v[146:147]
	v_mov_b64_e32 v[50:51], v[144:145]
.LBB110_902:
	s_or_b64 exec, exec, s[0:1]
	v_lshl_add_u32 v144, v237, 4, v236
	s_barrier
	ds_write2_b64 v144, v[44:45], v[46:47] offset1:1
	s_waitcnt lgkmcnt(0)
	s_barrier
	ds_read2_b64 v[224:227], v236 offset0:86 offset1:87
	s_cmp_lt_i32 s20, 45
	v_mov_b32_e32 v234, 43
	s_cbranch_scc1 .LBB110_905
; %bb.903:
	v_add_u32_e32 v235, 0x2c0, v236
	s_mov_b32 s16, 44
	v_mov_b32_e32 v234, 43
.LBB110_904:                            ; =>This Inner Loop Header: Depth=1
	ds_read2_b64 v[240:243], v235 offset1:1
	s_waitcnt lgkmcnt(1)
	v_xor_b32_e32 v145, 0x80000000, v225
	v_xor_b32_e32 v147, 0x80000000, v227
	v_cmp_gt_f64_e32 vcc, 0, v[226:227]
	v_cmp_gt_f64_e64 s[0:1], 0, v[224:225]
	v_mov_b32_e32 v144, v224
	v_mov_b32_e32 v146, v226
	v_cndmask_b32_e64 v145, v225, v145, s[0:1]
	v_cndmask_b32_e32 v147, v227, v147, vcc
	v_add_f64 v[144:145], v[144:145], v[146:147]
	s_waitcnt lgkmcnt(0)
	v_xor_b32_e32 v147, 0x80000000, v241
	v_xor_b32_e32 v153, 0x80000000, v243
	v_cmp_gt_f64_e32 vcc, 0, v[242:243]
	v_cmp_gt_f64_e64 s[0:1], 0, v[240:241]
	v_mov_b32_e32 v146, v240
	v_mov_b32_e32 v152, v242
	v_cndmask_b32_e64 v147, v241, v147, s[0:1]
	v_cndmask_b32_e32 v153, v243, v153, vcc
	v_add_f64 v[146:147], v[146:147], v[152:153]
	v_mov_b32_e32 v154, s16
	s_add_i32 s16, s16, 1
	v_cmp_lt_f64_e32 vcc, v[144:145], v[146:147]
	v_add_u32_e32 v235, 16, v235
	s_cmp_lg_u32 s20, s16
	v_cndmask_b32_e32 v225, v225, v241, vcc
	v_cndmask_b32_e32 v224, v224, v240, vcc
	;; [unrolled: 1-line block ×5, first 2 shown]
	s_cbranch_scc1 .LBB110_904
.LBB110_905:
	s_waitcnt lgkmcnt(0)
	v_cmp_eq_f64_e32 vcc, 0, v[224:225]
	v_cmp_eq_f64_e64 s[0:1], 0, v[226:227]
	s_and_b64 s[0:1], vcc, s[0:1]
	s_and_saveexec_b64 s[16:17], s[0:1]
	s_xor_b64 s[0:1], exec, s[16:17]
; %bb.906:
	v_cmp_ne_u32_e32 vcc, 0, v238
	s_nop 1
	v_cndmask_b32_e32 v238, 44, v238, vcc
; %bb.907:
	s_andn2_saveexec_b64 s[0:1], s[0:1]
	s_cbranch_execz .LBB110_913
; %bb.908:
	v_cmp_ngt_f64_e64 s[16:17], |v[224:225]|, |v[226:227]|
	s_and_saveexec_b64 s[18:19], s[16:17]
	s_xor_b64 s[16:17], exec, s[18:19]
	s_cbranch_execz .LBB110_910
; %bb.909:
	v_div_scale_f64 v[144:145], s[18:19], v[226:227], v[226:227], v[224:225]
	v_rcp_f64_e32 v[146:147], v[144:145]
	v_div_scale_f64 v[152:153], vcc, v[224:225], v[226:227], v[224:225]
	v_fma_f64 v[154:155], -v[144:145], v[146:147], 1.0
	v_fmac_f64_e32 v[146:147], v[146:147], v[154:155]
	v_fma_f64 v[154:155], -v[144:145], v[146:147], 1.0
	v_fmac_f64_e32 v[146:147], v[146:147], v[154:155]
	v_mul_f64 v[154:155], v[152:153], v[146:147]
	v_fma_f64 v[144:145], -v[144:145], v[154:155], v[152:153]
	v_div_fmas_f64 v[144:145], v[144:145], v[146:147], v[154:155]
	v_div_fixup_f64 v[144:145], v[144:145], v[226:227], v[224:225]
	v_fmac_f64_e32 v[226:227], v[224:225], v[144:145]
	v_div_scale_f64 v[146:147], s[18:19], v[226:227], v[226:227], 1.0
	v_rcp_f64_e32 v[152:153], v[146:147]
	s_nop 0
	v_fma_f64 v[154:155], -v[146:147], v[152:153], 1.0
	v_fmac_f64_e32 v[152:153], v[152:153], v[154:155]
	v_fma_f64 v[154:155], -v[146:147], v[152:153], 1.0
	v_fmac_f64_e32 v[152:153], v[152:153], v[154:155]
	v_div_scale_f64 v[154:155], vcc, 1.0, v[226:227], 1.0
	v_mul_f64 v[224:225], v[154:155], v[152:153]
	v_fma_f64 v[146:147], -v[146:147], v[224:225], v[154:155]
	s_nop 1
	v_div_fmas_f64 v[146:147], v[146:147], v[152:153], v[224:225]
	v_div_fixup_f64 v[226:227], v[146:147], v[226:227], 1.0
	v_mul_f64 v[224:225], v[144:145], v[226:227]
	v_xor_b32_e32 v227, 0x80000000, v227
.LBB110_910:
	s_andn2_saveexec_b64 s[16:17], s[16:17]
	s_cbranch_execz .LBB110_912
; %bb.911:
	v_div_scale_f64 v[144:145], s[18:19], v[224:225], v[224:225], v[226:227]
	v_rcp_f64_e32 v[146:147], v[144:145]
	v_div_scale_f64 v[152:153], vcc, v[226:227], v[224:225], v[226:227]
	v_fma_f64 v[154:155], -v[144:145], v[146:147], 1.0
	v_fmac_f64_e32 v[146:147], v[146:147], v[154:155]
	v_fma_f64 v[154:155], -v[144:145], v[146:147], 1.0
	v_fmac_f64_e32 v[146:147], v[146:147], v[154:155]
	v_mul_f64 v[154:155], v[152:153], v[146:147]
	v_fma_f64 v[144:145], -v[144:145], v[154:155], v[152:153]
	v_div_fmas_f64 v[144:145], v[144:145], v[146:147], v[154:155]
	v_div_fixup_f64 v[144:145], v[144:145], v[224:225], v[226:227]
	v_fmac_f64_e32 v[224:225], v[226:227], v[144:145]
	v_div_scale_f64 v[146:147], s[18:19], v[224:225], v[224:225], 1.0
	v_rcp_f64_e32 v[152:153], v[146:147]
	s_nop 0
	v_fma_f64 v[154:155], -v[146:147], v[152:153], 1.0
	v_fmac_f64_e32 v[152:153], v[152:153], v[154:155]
	v_fma_f64 v[154:155], -v[146:147], v[152:153], 1.0
	v_fmac_f64_e32 v[152:153], v[152:153], v[154:155]
	v_div_scale_f64 v[154:155], vcc, 1.0, v[224:225], 1.0
	v_mul_f64 v[226:227], v[154:155], v[152:153]
	v_fma_f64 v[146:147], -v[146:147], v[226:227], v[154:155]
	s_nop 1
	v_div_fmas_f64 v[146:147], v[146:147], v[152:153], v[226:227]
	v_div_fixup_f64 v[224:225], v[146:147], v[224:225], 1.0
	v_mul_f64 v[226:227], v[144:145], -v[224:225]
.LBB110_912:
	s_or_b64 exec, exec, s[16:17]
.LBB110_913:
	s_or_b64 exec, exec, s[0:1]
	v_cmp_ne_u32_e32 vcc, v237, v234
	s_and_saveexec_b64 s[0:1], vcc
	s_xor_b64 s[0:1], exec, s[0:1]
	s_cbranch_execz .LBB110_919
; %bb.914:
	v_cmp_eq_u32_e32 vcc, 43, v237
	s_and_saveexec_b64 s[16:17], vcc
	s_cbranch_execz .LBB110_918
; %bb.915:
	v_cmp_ne_u32_e32 vcc, 43, v234
	s_xor_b64 s[18:19], s[14:15], -1
	s_and_b64 s[22:23], s[18:19], vcc
	s_and_saveexec_b64 s[18:19], s[22:23]
	s_cbranch_execz .LBB110_917
; %bb.916:
	v_ashrrev_i32_e32 v235, 31, v234
	v_lshl_add_u64 v[144:145], v[234:235], 2, v[212:213]
	global_load_dword v146, v[144:145], off
	global_load_dword v147, v[212:213], off offset:172
	s_waitcnt vmcnt(1)
	global_store_dword v[212:213], v146, off offset:172
	s_waitcnt vmcnt(1)
	global_store_dword v[144:145], v147, off
.LBB110_917:
	s_or_b64 exec, exec, s[18:19]
	v_mov_b32_e32 v237, v234
	v_mov_b32_e32 v218, v234
.LBB110_918:
	s_or_b64 exec, exec, s[16:17]
.LBB110_919:
	s_andn2_saveexec_b64 s[0:1], s[0:1]
	s_cbranch_execz .LBB110_921
; %bb.920:
	v_mov_b32_e32 v237, 43
	ds_write2_b64 v236, v[40:41], v[42:43] offset0:88 offset1:89
	ds_write2_b64 v236, v[36:37], v[38:39] offset0:90 offset1:91
	;; [unrolled: 1-line block ×12, first 2 shown]
.LBB110_921:
	s_or_b64 exec, exec, s[0:1]
	v_cmp_lt_i32_e32 vcc, 43, v237
	s_waitcnt lgkmcnt(0)
	s_barrier
	s_and_saveexec_b64 s[0:1], vcc
	s_cbranch_execz .LBB110_923
; %bb.922:
	ds_read2_b64 v[240:243], v236 offset0:88 offset1:89
	v_mul_f64 v[144:145], v[224:225], v[46:47]
	v_mul_f64 v[46:47], v[226:227], v[46:47]
	v_fmac_f64_e32 v[144:145], v[226:227], v[44:45]
	v_fma_f64 v[44:45], v[224:225], v[44:45], -v[46:47]
	ds_read2_b64 v[224:227], v236 offset0:90 offset1:91
	s_waitcnt lgkmcnt(1)
	v_mul_f64 v[46:47], v[242:243], v[144:145]
	v_mul_f64 v[146:147], v[240:241], v[144:145]
	v_fma_f64 v[46:47], v[240:241], v[44:45], -v[46:47]
	v_fmac_f64_e32 v[146:147], v[242:243], v[44:45]
	ds_read2_b64 v[240:243], v236 offset0:92 offset1:93
	v_add_f64 v[40:41], v[40:41], -v[46:47]
	v_add_f64 v[42:43], v[42:43], -v[146:147]
	s_waitcnt lgkmcnt(1)
	v_mul_f64 v[46:47], v[226:227], v[144:145]
	v_mul_f64 v[146:147], v[224:225], v[144:145]
	v_fma_f64 v[46:47], v[224:225], v[44:45], -v[46:47]
	v_fmac_f64_e32 v[146:147], v[226:227], v[44:45]
	ds_read2_b64 v[224:227], v236 offset0:94 offset1:95
	v_add_f64 v[36:37], v[36:37], -v[46:47]
	v_add_f64 v[38:39], v[38:39], -v[146:147]
	;; [unrolled: 8-line block ×10, first 2 shown]
	s_waitcnt lgkmcnt(1)
	v_mul_f64 v[46:47], v[242:243], v[144:145]
	v_mul_f64 v[146:147], v[240:241], v[144:145]
	v_fma_f64 v[46:47], v[240:241], v[44:45], -v[46:47]
	v_fmac_f64_e32 v[146:147], v[242:243], v[44:45]
	v_add_f64 v[0:1], v[0:1], -v[46:47]
	v_add_f64 v[2:3], v[2:3], -v[146:147]
	s_waitcnt lgkmcnt(0)
	v_mul_f64 v[46:47], v[226:227], v[144:145]
	v_mul_f64 v[146:147], v[224:225], v[144:145]
	v_fma_f64 v[46:47], v[224:225], v[44:45], -v[46:47]
	v_fmac_f64_e32 v[146:147], v[226:227], v[44:45]
	v_add_f64 v[220:221], v[220:221], -v[46:47]
	v_add_f64 v[222:223], v[222:223], -v[146:147]
	v_mov_b64_e32 v[46:47], v[144:145]
.LBB110_923:
	s_or_b64 exec, exec, s[0:1]
	v_lshl_add_u32 v144, v237, 4, v236
	s_barrier
	ds_write2_b64 v144, v[40:41], v[42:43] offset1:1
	s_waitcnt lgkmcnt(0)
	s_barrier
	ds_read2_b64 v[224:227], v236 offset0:88 offset1:89
	s_cmp_lt_i32 s20, 46
	v_mov_b32_e32 v234, 44
	s_cbranch_scc1 .LBB110_926
; %bb.924:
	v_add_u32_e32 v235, 0x2d0, v236
	s_mov_b32 s16, 45
	v_mov_b32_e32 v234, 44
.LBB110_925:                            ; =>This Inner Loop Header: Depth=1
	ds_read2_b64 v[240:243], v235 offset1:1
	s_waitcnt lgkmcnt(1)
	v_xor_b32_e32 v145, 0x80000000, v225
	v_xor_b32_e32 v147, 0x80000000, v227
	v_cmp_gt_f64_e32 vcc, 0, v[226:227]
	v_cmp_gt_f64_e64 s[0:1], 0, v[224:225]
	v_mov_b32_e32 v144, v224
	v_mov_b32_e32 v146, v226
	v_cndmask_b32_e64 v145, v225, v145, s[0:1]
	v_cndmask_b32_e32 v147, v227, v147, vcc
	v_add_f64 v[144:145], v[144:145], v[146:147]
	s_waitcnt lgkmcnt(0)
	v_xor_b32_e32 v147, 0x80000000, v241
	v_xor_b32_e32 v153, 0x80000000, v243
	v_cmp_gt_f64_e32 vcc, 0, v[242:243]
	v_cmp_gt_f64_e64 s[0:1], 0, v[240:241]
	v_mov_b32_e32 v146, v240
	v_mov_b32_e32 v152, v242
	v_cndmask_b32_e64 v147, v241, v147, s[0:1]
	v_cndmask_b32_e32 v153, v243, v153, vcc
	v_add_f64 v[146:147], v[146:147], v[152:153]
	v_mov_b32_e32 v154, s16
	s_add_i32 s16, s16, 1
	v_cmp_lt_f64_e32 vcc, v[144:145], v[146:147]
	v_add_u32_e32 v235, 16, v235
	s_cmp_lg_u32 s20, s16
	v_cndmask_b32_e32 v225, v225, v241, vcc
	v_cndmask_b32_e32 v224, v224, v240, vcc
	;; [unrolled: 1-line block ×5, first 2 shown]
	s_cbranch_scc1 .LBB110_925
.LBB110_926:
	s_waitcnt lgkmcnt(0)
	v_cmp_eq_f64_e32 vcc, 0, v[224:225]
	v_cmp_eq_f64_e64 s[0:1], 0, v[226:227]
	s_and_b64 s[0:1], vcc, s[0:1]
	s_and_saveexec_b64 s[16:17], s[0:1]
	s_xor_b64 s[0:1], exec, s[16:17]
; %bb.927:
	v_cmp_ne_u32_e32 vcc, 0, v238
	s_nop 1
	v_cndmask_b32_e32 v238, 45, v238, vcc
; %bb.928:
	s_andn2_saveexec_b64 s[0:1], s[0:1]
	s_cbranch_execz .LBB110_934
; %bb.929:
	v_cmp_ngt_f64_e64 s[16:17], |v[224:225]|, |v[226:227]|
	s_and_saveexec_b64 s[18:19], s[16:17]
	s_xor_b64 s[16:17], exec, s[18:19]
	s_cbranch_execz .LBB110_931
; %bb.930:
	v_div_scale_f64 v[144:145], s[18:19], v[226:227], v[226:227], v[224:225]
	v_rcp_f64_e32 v[146:147], v[144:145]
	v_div_scale_f64 v[152:153], vcc, v[224:225], v[226:227], v[224:225]
	v_fma_f64 v[154:155], -v[144:145], v[146:147], 1.0
	v_fmac_f64_e32 v[146:147], v[146:147], v[154:155]
	v_fma_f64 v[154:155], -v[144:145], v[146:147], 1.0
	v_fmac_f64_e32 v[146:147], v[146:147], v[154:155]
	v_mul_f64 v[154:155], v[152:153], v[146:147]
	v_fma_f64 v[144:145], -v[144:145], v[154:155], v[152:153]
	v_div_fmas_f64 v[144:145], v[144:145], v[146:147], v[154:155]
	v_div_fixup_f64 v[144:145], v[144:145], v[226:227], v[224:225]
	v_fmac_f64_e32 v[226:227], v[224:225], v[144:145]
	v_div_scale_f64 v[146:147], s[18:19], v[226:227], v[226:227], 1.0
	v_rcp_f64_e32 v[152:153], v[146:147]
	s_nop 0
	v_fma_f64 v[154:155], -v[146:147], v[152:153], 1.0
	v_fmac_f64_e32 v[152:153], v[152:153], v[154:155]
	v_fma_f64 v[154:155], -v[146:147], v[152:153], 1.0
	v_fmac_f64_e32 v[152:153], v[152:153], v[154:155]
	v_div_scale_f64 v[154:155], vcc, 1.0, v[226:227], 1.0
	v_mul_f64 v[224:225], v[154:155], v[152:153]
	v_fma_f64 v[146:147], -v[146:147], v[224:225], v[154:155]
	s_nop 1
	v_div_fmas_f64 v[146:147], v[146:147], v[152:153], v[224:225]
	v_div_fixup_f64 v[226:227], v[146:147], v[226:227], 1.0
	v_mul_f64 v[224:225], v[144:145], v[226:227]
	v_xor_b32_e32 v227, 0x80000000, v227
.LBB110_931:
	s_andn2_saveexec_b64 s[16:17], s[16:17]
	s_cbranch_execz .LBB110_933
; %bb.932:
	v_div_scale_f64 v[144:145], s[18:19], v[224:225], v[224:225], v[226:227]
	v_rcp_f64_e32 v[146:147], v[144:145]
	v_div_scale_f64 v[152:153], vcc, v[226:227], v[224:225], v[226:227]
	v_fma_f64 v[154:155], -v[144:145], v[146:147], 1.0
	v_fmac_f64_e32 v[146:147], v[146:147], v[154:155]
	v_fma_f64 v[154:155], -v[144:145], v[146:147], 1.0
	v_fmac_f64_e32 v[146:147], v[146:147], v[154:155]
	v_mul_f64 v[154:155], v[152:153], v[146:147]
	v_fma_f64 v[144:145], -v[144:145], v[154:155], v[152:153]
	v_div_fmas_f64 v[144:145], v[144:145], v[146:147], v[154:155]
	v_div_fixup_f64 v[144:145], v[144:145], v[224:225], v[226:227]
	v_fmac_f64_e32 v[224:225], v[226:227], v[144:145]
	v_div_scale_f64 v[146:147], s[18:19], v[224:225], v[224:225], 1.0
	v_rcp_f64_e32 v[152:153], v[146:147]
	s_nop 0
	v_fma_f64 v[154:155], -v[146:147], v[152:153], 1.0
	v_fmac_f64_e32 v[152:153], v[152:153], v[154:155]
	v_fma_f64 v[154:155], -v[146:147], v[152:153], 1.0
	v_fmac_f64_e32 v[152:153], v[152:153], v[154:155]
	v_div_scale_f64 v[154:155], vcc, 1.0, v[224:225], 1.0
	v_mul_f64 v[226:227], v[154:155], v[152:153]
	v_fma_f64 v[146:147], -v[146:147], v[226:227], v[154:155]
	s_nop 1
	v_div_fmas_f64 v[146:147], v[146:147], v[152:153], v[226:227]
	v_div_fixup_f64 v[224:225], v[146:147], v[224:225], 1.0
	v_mul_f64 v[226:227], v[144:145], -v[224:225]
.LBB110_933:
	s_or_b64 exec, exec, s[16:17]
.LBB110_934:
	s_or_b64 exec, exec, s[0:1]
	v_cmp_ne_u32_e32 vcc, v237, v234
	s_and_saveexec_b64 s[0:1], vcc
	s_xor_b64 s[0:1], exec, s[0:1]
	s_cbranch_execz .LBB110_940
; %bb.935:
	v_cmp_eq_u32_e32 vcc, 44, v237
	s_and_saveexec_b64 s[16:17], vcc
	s_cbranch_execz .LBB110_939
; %bb.936:
	v_cmp_ne_u32_e32 vcc, 44, v234
	s_xor_b64 s[18:19], s[14:15], -1
	s_and_b64 s[22:23], s[18:19], vcc
	s_and_saveexec_b64 s[18:19], s[22:23]
	s_cbranch_execz .LBB110_938
; %bb.937:
	v_ashrrev_i32_e32 v235, 31, v234
	v_lshl_add_u64 v[144:145], v[234:235], 2, v[212:213]
	global_load_dword v146, v[144:145], off
	global_load_dword v147, v[212:213], off offset:176
	s_waitcnt vmcnt(1)
	global_store_dword v[212:213], v146, off offset:176
	s_waitcnt vmcnt(1)
	global_store_dword v[144:145], v147, off
.LBB110_938:
	s_or_b64 exec, exec, s[18:19]
	v_mov_b32_e32 v237, v234
	v_mov_b32_e32 v218, v234
.LBB110_939:
	s_or_b64 exec, exec, s[16:17]
.LBB110_940:
	s_andn2_saveexec_b64 s[0:1], s[0:1]
	s_cbranch_execz .LBB110_942
; %bb.941:
	v_mov_b32_e32 v237, 44
	ds_write2_b64 v236, v[36:37], v[38:39] offset0:90 offset1:91
	ds_write2_b64 v236, v[32:33], v[34:35] offset0:92 offset1:93
	;; [unrolled: 1-line block ×11, first 2 shown]
.LBB110_942:
	s_or_b64 exec, exec, s[0:1]
	v_cmp_lt_i32_e32 vcc, 44, v237
	s_waitcnt lgkmcnt(0)
	s_barrier
	s_and_saveexec_b64 s[0:1], vcc
	s_cbranch_execz .LBB110_944
; %bb.943:
	ds_read2_b64 v[240:243], v236 offset0:90 offset1:91
	v_mul_f64 v[144:145], v[224:225], v[42:43]
	v_mul_f64 v[42:43], v[226:227], v[42:43]
	v_fmac_f64_e32 v[144:145], v[226:227], v[40:41]
	v_fma_f64 v[40:41], v[224:225], v[40:41], -v[42:43]
	ds_read2_b64 v[224:227], v236 offset0:92 offset1:93
	s_waitcnt lgkmcnt(1)
	v_mul_f64 v[42:43], v[242:243], v[144:145]
	v_mul_f64 v[146:147], v[240:241], v[144:145]
	v_fma_f64 v[42:43], v[240:241], v[40:41], -v[42:43]
	v_fmac_f64_e32 v[146:147], v[242:243], v[40:41]
	ds_read2_b64 v[240:243], v236 offset0:94 offset1:95
	v_add_f64 v[36:37], v[36:37], -v[42:43]
	v_add_f64 v[38:39], v[38:39], -v[146:147]
	s_waitcnt lgkmcnt(1)
	v_mul_f64 v[42:43], v[226:227], v[144:145]
	v_mul_f64 v[146:147], v[224:225], v[144:145]
	v_fma_f64 v[42:43], v[224:225], v[40:41], -v[42:43]
	v_fmac_f64_e32 v[146:147], v[226:227], v[40:41]
	ds_read2_b64 v[224:227], v236 offset0:96 offset1:97
	v_add_f64 v[32:33], v[32:33], -v[42:43]
	v_add_f64 v[34:35], v[34:35], -v[146:147]
	s_waitcnt lgkmcnt(1)
	v_mul_f64 v[42:43], v[242:243], v[144:145]
	v_mul_f64 v[146:147], v[240:241], v[144:145]
	v_fma_f64 v[42:43], v[240:241], v[40:41], -v[42:43]
	v_fmac_f64_e32 v[146:147], v[242:243], v[40:41]
	ds_read2_b64 v[240:243], v236 offset0:98 offset1:99
	v_add_f64 v[28:29], v[28:29], -v[42:43]
	v_add_f64 v[30:31], v[30:31], -v[146:147]
	s_waitcnt lgkmcnt(1)
	v_mul_f64 v[42:43], v[226:227], v[144:145]
	v_mul_f64 v[146:147], v[224:225], v[144:145]
	v_fma_f64 v[42:43], v[224:225], v[40:41], -v[42:43]
	v_fmac_f64_e32 v[146:147], v[226:227], v[40:41]
	ds_read2_b64 v[224:227], v236 offset0:100 offset1:101
	v_add_f64 v[24:25], v[24:25], -v[42:43]
	v_add_f64 v[26:27], v[26:27], -v[146:147]
	s_waitcnt lgkmcnt(1)
	v_mul_f64 v[42:43], v[242:243], v[144:145]
	v_mul_f64 v[146:147], v[240:241], v[144:145]
	v_fma_f64 v[42:43], v[240:241], v[40:41], -v[42:43]
	v_fmac_f64_e32 v[146:147], v[242:243], v[40:41]
	ds_read2_b64 v[240:243], v236 offset0:102 offset1:103
	v_add_f64 v[20:21], v[20:21], -v[42:43]
	v_add_f64 v[22:23], v[22:23], -v[146:147]
	s_waitcnt lgkmcnt(1)
	v_mul_f64 v[42:43], v[226:227], v[144:145]
	v_mul_f64 v[146:147], v[224:225], v[144:145]
	v_fma_f64 v[42:43], v[224:225], v[40:41], -v[42:43]
	v_fmac_f64_e32 v[146:147], v[226:227], v[40:41]
	ds_read2_b64 v[224:227], v236 offset0:104 offset1:105
	v_add_f64 v[16:17], v[16:17], -v[42:43]
	v_add_f64 v[18:19], v[18:19], -v[146:147]
	s_waitcnt lgkmcnt(1)
	v_mul_f64 v[42:43], v[242:243], v[144:145]
	v_mul_f64 v[146:147], v[240:241], v[144:145]
	v_fma_f64 v[42:43], v[240:241], v[40:41], -v[42:43]
	v_fmac_f64_e32 v[146:147], v[242:243], v[40:41]
	ds_read2_b64 v[240:243], v236 offset0:106 offset1:107
	v_add_f64 v[12:13], v[12:13], -v[42:43]
	v_add_f64 v[14:15], v[14:15], -v[146:147]
	s_waitcnt lgkmcnt(1)
	v_mul_f64 v[42:43], v[226:227], v[144:145]
	v_mul_f64 v[146:147], v[224:225], v[144:145]
	v_fma_f64 v[42:43], v[224:225], v[40:41], -v[42:43]
	v_fmac_f64_e32 v[146:147], v[226:227], v[40:41]
	ds_read2_b64 v[224:227], v236 offset0:108 offset1:109
	v_add_f64 v[8:9], v[8:9], -v[42:43]
	v_add_f64 v[10:11], v[10:11], -v[146:147]
	s_waitcnt lgkmcnt(1)
	v_mul_f64 v[42:43], v[242:243], v[144:145]
	v_mul_f64 v[146:147], v[240:241], v[144:145]
	v_fma_f64 v[42:43], v[240:241], v[40:41], -v[42:43]
	v_fmac_f64_e32 v[146:147], v[242:243], v[40:41]
	ds_read2_b64 v[240:243], v236 offset0:110 offset1:111
	v_add_f64 v[4:5], v[4:5], -v[42:43]
	v_add_f64 v[6:7], v[6:7], -v[146:147]
	s_waitcnt lgkmcnt(1)
	v_mul_f64 v[42:43], v[226:227], v[144:145]
	v_mul_f64 v[146:147], v[224:225], v[144:145]
	v_fma_f64 v[42:43], v[224:225], v[40:41], -v[42:43]
	v_fmac_f64_e32 v[146:147], v[226:227], v[40:41]
	v_add_f64 v[0:1], v[0:1], -v[42:43]
	v_add_f64 v[2:3], v[2:3], -v[146:147]
	s_waitcnt lgkmcnt(0)
	v_mul_f64 v[42:43], v[242:243], v[144:145]
	v_mul_f64 v[146:147], v[240:241], v[144:145]
	v_fma_f64 v[42:43], v[240:241], v[40:41], -v[42:43]
	v_fmac_f64_e32 v[146:147], v[242:243], v[40:41]
	v_add_f64 v[220:221], v[220:221], -v[42:43]
	v_add_f64 v[222:223], v[222:223], -v[146:147]
	v_mov_b64_e32 v[42:43], v[144:145]
.LBB110_944:
	s_or_b64 exec, exec, s[0:1]
	v_lshl_add_u32 v144, v237, 4, v236
	s_barrier
	ds_write2_b64 v144, v[36:37], v[38:39] offset1:1
	s_waitcnt lgkmcnt(0)
	s_barrier
	ds_read2_b64 v[224:227], v236 offset0:90 offset1:91
	s_cmp_lt_i32 s20, 47
	v_mov_b32_e32 v234, 45
	s_cbranch_scc1 .LBB110_947
; %bb.945:
	v_add_u32_e32 v235, 0x2e0, v236
	s_mov_b32 s16, 46
	v_mov_b32_e32 v234, 45
.LBB110_946:                            ; =>This Inner Loop Header: Depth=1
	ds_read2_b64 v[240:243], v235 offset1:1
	s_waitcnt lgkmcnt(1)
	v_xor_b32_e32 v145, 0x80000000, v225
	v_xor_b32_e32 v147, 0x80000000, v227
	v_cmp_gt_f64_e32 vcc, 0, v[226:227]
	v_cmp_gt_f64_e64 s[0:1], 0, v[224:225]
	v_mov_b32_e32 v144, v224
	v_mov_b32_e32 v146, v226
	v_cndmask_b32_e64 v145, v225, v145, s[0:1]
	v_cndmask_b32_e32 v147, v227, v147, vcc
	v_add_f64 v[144:145], v[144:145], v[146:147]
	s_waitcnt lgkmcnt(0)
	v_xor_b32_e32 v147, 0x80000000, v241
	v_xor_b32_e32 v153, 0x80000000, v243
	v_cmp_gt_f64_e32 vcc, 0, v[242:243]
	v_cmp_gt_f64_e64 s[0:1], 0, v[240:241]
	v_mov_b32_e32 v146, v240
	v_mov_b32_e32 v152, v242
	v_cndmask_b32_e64 v147, v241, v147, s[0:1]
	v_cndmask_b32_e32 v153, v243, v153, vcc
	v_add_f64 v[146:147], v[146:147], v[152:153]
	v_mov_b32_e32 v154, s16
	s_add_i32 s16, s16, 1
	v_cmp_lt_f64_e32 vcc, v[144:145], v[146:147]
	v_add_u32_e32 v235, 16, v235
	s_cmp_lg_u32 s20, s16
	v_cndmask_b32_e32 v225, v225, v241, vcc
	v_cndmask_b32_e32 v224, v224, v240, vcc
	;; [unrolled: 1-line block ×5, first 2 shown]
	s_cbranch_scc1 .LBB110_946
.LBB110_947:
	s_waitcnt lgkmcnt(0)
	v_cmp_eq_f64_e32 vcc, 0, v[224:225]
	v_cmp_eq_f64_e64 s[0:1], 0, v[226:227]
	s_and_b64 s[0:1], vcc, s[0:1]
	s_and_saveexec_b64 s[16:17], s[0:1]
	s_xor_b64 s[0:1], exec, s[16:17]
; %bb.948:
	v_cmp_ne_u32_e32 vcc, 0, v238
	s_nop 1
	v_cndmask_b32_e32 v238, 46, v238, vcc
; %bb.949:
	s_andn2_saveexec_b64 s[0:1], s[0:1]
	s_cbranch_execz .LBB110_955
; %bb.950:
	v_cmp_ngt_f64_e64 s[16:17], |v[224:225]|, |v[226:227]|
	s_and_saveexec_b64 s[18:19], s[16:17]
	s_xor_b64 s[16:17], exec, s[18:19]
	s_cbranch_execz .LBB110_952
; %bb.951:
	v_div_scale_f64 v[144:145], s[18:19], v[226:227], v[226:227], v[224:225]
	v_rcp_f64_e32 v[146:147], v[144:145]
	v_div_scale_f64 v[152:153], vcc, v[224:225], v[226:227], v[224:225]
	v_fma_f64 v[154:155], -v[144:145], v[146:147], 1.0
	v_fmac_f64_e32 v[146:147], v[146:147], v[154:155]
	v_fma_f64 v[154:155], -v[144:145], v[146:147], 1.0
	v_fmac_f64_e32 v[146:147], v[146:147], v[154:155]
	v_mul_f64 v[154:155], v[152:153], v[146:147]
	v_fma_f64 v[144:145], -v[144:145], v[154:155], v[152:153]
	v_div_fmas_f64 v[144:145], v[144:145], v[146:147], v[154:155]
	v_div_fixup_f64 v[144:145], v[144:145], v[226:227], v[224:225]
	v_fmac_f64_e32 v[226:227], v[224:225], v[144:145]
	v_div_scale_f64 v[146:147], s[18:19], v[226:227], v[226:227], 1.0
	v_rcp_f64_e32 v[152:153], v[146:147]
	s_nop 0
	v_fma_f64 v[154:155], -v[146:147], v[152:153], 1.0
	v_fmac_f64_e32 v[152:153], v[152:153], v[154:155]
	v_fma_f64 v[154:155], -v[146:147], v[152:153], 1.0
	v_fmac_f64_e32 v[152:153], v[152:153], v[154:155]
	v_div_scale_f64 v[154:155], vcc, 1.0, v[226:227], 1.0
	v_mul_f64 v[224:225], v[154:155], v[152:153]
	v_fma_f64 v[146:147], -v[146:147], v[224:225], v[154:155]
	s_nop 1
	v_div_fmas_f64 v[146:147], v[146:147], v[152:153], v[224:225]
	v_div_fixup_f64 v[226:227], v[146:147], v[226:227], 1.0
	v_mul_f64 v[224:225], v[144:145], v[226:227]
	v_xor_b32_e32 v227, 0x80000000, v227
.LBB110_952:
	s_andn2_saveexec_b64 s[16:17], s[16:17]
	s_cbranch_execz .LBB110_954
; %bb.953:
	v_div_scale_f64 v[144:145], s[18:19], v[224:225], v[224:225], v[226:227]
	v_rcp_f64_e32 v[146:147], v[144:145]
	v_div_scale_f64 v[152:153], vcc, v[226:227], v[224:225], v[226:227]
	v_fma_f64 v[154:155], -v[144:145], v[146:147], 1.0
	v_fmac_f64_e32 v[146:147], v[146:147], v[154:155]
	v_fma_f64 v[154:155], -v[144:145], v[146:147], 1.0
	v_fmac_f64_e32 v[146:147], v[146:147], v[154:155]
	v_mul_f64 v[154:155], v[152:153], v[146:147]
	v_fma_f64 v[144:145], -v[144:145], v[154:155], v[152:153]
	v_div_fmas_f64 v[144:145], v[144:145], v[146:147], v[154:155]
	v_div_fixup_f64 v[144:145], v[144:145], v[224:225], v[226:227]
	v_fmac_f64_e32 v[224:225], v[226:227], v[144:145]
	v_div_scale_f64 v[146:147], s[18:19], v[224:225], v[224:225], 1.0
	v_rcp_f64_e32 v[152:153], v[146:147]
	s_nop 0
	v_fma_f64 v[154:155], -v[146:147], v[152:153], 1.0
	v_fmac_f64_e32 v[152:153], v[152:153], v[154:155]
	v_fma_f64 v[154:155], -v[146:147], v[152:153], 1.0
	v_fmac_f64_e32 v[152:153], v[152:153], v[154:155]
	v_div_scale_f64 v[154:155], vcc, 1.0, v[224:225], 1.0
	v_mul_f64 v[226:227], v[154:155], v[152:153]
	v_fma_f64 v[146:147], -v[146:147], v[226:227], v[154:155]
	s_nop 1
	v_div_fmas_f64 v[146:147], v[146:147], v[152:153], v[226:227]
	v_div_fixup_f64 v[224:225], v[146:147], v[224:225], 1.0
	v_mul_f64 v[226:227], v[144:145], -v[224:225]
.LBB110_954:
	s_or_b64 exec, exec, s[16:17]
.LBB110_955:
	s_or_b64 exec, exec, s[0:1]
	v_cmp_ne_u32_e32 vcc, v237, v234
	s_and_saveexec_b64 s[0:1], vcc
	s_xor_b64 s[0:1], exec, s[0:1]
	s_cbranch_execz .LBB110_961
; %bb.956:
	v_cmp_eq_u32_e32 vcc, 45, v237
	s_and_saveexec_b64 s[16:17], vcc
	s_cbranch_execz .LBB110_960
; %bb.957:
	v_cmp_ne_u32_e32 vcc, 45, v234
	s_xor_b64 s[18:19], s[14:15], -1
	s_and_b64 s[22:23], s[18:19], vcc
	s_and_saveexec_b64 s[18:19], s[22:23]
	s_cbranch_execz .LBB110_959
; %bb.958:
	v_ashrrev_i32_e32 v235, 31, v234
	v_lshl_add_u64 v[144:145], v[234:235], 2, v[212:213]
	global_load_dword v146, v[144:145], off
	global_load_dword v147, v[212:213], off offset:180
	s_waitcnt vmcnt(1)
	global_store_dword v[212:213], v146, off offset:180
	s_waitcnt vmcnt(1)
	global_store_dword v[144:145], v147, off
.LBB110_959:
	s_or_b64 exec, exec, s[18:19]
	v_mov_b32_e32 v237, v234
	v_mov_b32_e32 v218, v234
.LBB110_960:
	s_or_b64 exec, exec, s[16:17]
.LBB110_961:
	s_andn2_saveexec_b64 s[0:1], s[0:1]
	s_cbranch_execz .LBB110_963
; %bb.962:
	v_mov_b32_e32 v237, 45
	ds_write2_b64 v236, v[32:33], v[34:35] offset0:92 offset1:93
	ds_write2_b64 v236, v[28:29], v[30:31] offset0:94 offset1:95
	;; [unrolled: 1-line block ×10, first 2 shown]
.LBB110_963:
	s_or_b64 exec, exec, s[0:1]
	v_cmp_lt_i32_e32 vcc, 45, v237
	s_waitcnt lgkmcnt(0)
	s_barrier
	s_and_saveexec_b64 s[0:1], vcc
	s_cbranch_execz .LBB110_965
; %bb.964:
	ds_read2_b64 v[240:243], v236 offset0:92 offset1:93
	v_mul_f64 v[144:145], v[224:225], v[38:39]
	v_mul_f64 v[38:39], v[226:227], v[38:39]
	v_fmac_f64_e32 v[144:145], v[226:227], v[36:37]
	v_fma_f64 v[36:37], v[224:225], v[36:37], -v[38:39]
	ds_read2_b64 v[224:227], v236 offset0:94 offset1:95
	s_waitcnt lgkmcnt(1)
	v_mul_f64 v[38:39], v[242:243], v[144:145]
	v_mul_f64 v[146:147], v[240:241], v[144:145]
	v_fma_f64 v[38:39], v[240:241], v[36:37], -v[38:39]
	v_fmac_f64_e32 v[146:147], v[242:243], v[36:37]
	ds_read2_b64 v[240:243], v236 offset0:96 offset1:97
	v_add_f64 v[32:33], v[32:33], -v[38:39]
	v_add_f64 v[34:35], v[34:35], -v[146:147]
	s_waitcnt lgkmcnt(1)
	v_mul_f64 v[38:39], v[226:227], v[144:145]
	v_mul_f64 v[146:147], v[224:225], v[144:145]
	v_fma_f64 v[38:39], v[224:225], v[36:37], -v[38:39]
	v_fmac_f64_e32 v[146:147], v[226:227], v[36:37]
	ds_read2_b64 v[224:227], v236 offset0:98 offset1:99
	v_add_f64 v[28:29], v[28:29], -v[38:39]
	v_add_f64 v[30:31], v[30:31], -v[146:147]
	;; [unrolled: 8-line block ×8, first 2 shown]
	s_waitcnt lgkmcnt(1)
	v_mul_f64 v[38:39], v[242:243], v[144:145]
	v_mul_f64 v[146:147], v[240:241], v[144:145]
	v_fma_f64 v[38:39], v[240:241], v[36:37], -v[38:39]
	v_fmac_f64_e32 v[146:147], v[242:243], v[36:37]
	v_add_f64 v[0:1], v[0:1], -v[38:39]
	v_add_f64 v[2:3], v[2:3], -v[146:147]
	s_waitcnt lgkmcnt(0)
	v_mul_f64 v[38:39], v[226:227], v[144:145]
	v_mul_f64 v[146:147], v[224:225], v[144:145]
	v_fma_f64 v[38:39], v[224:225], v[36:37], -v[38:39]
	v_fmac_f64_e32 v[146:147], v[226:227], v[36:37]
	v_add_f64 v[220:221], v[220:221], -v[38:39]
	v_add_f64 v[222:223], v[222:223], -v[146:147]
	v_mov_b64_e32 v[38:39], v[144:145]
.LBB110_965:
	s_or_b64 exec, exec, s[0:1]
	v_lshl_add_u32 v144, v237, 4, v236
	s_barrier
	ds_write2_b64 v144, v[32:33], v[34:35] offset1:1
	s_waitcnt lgkmcnt(0)
	s_barrier
	ds_read2_b64 v[224:227], v236 offset0:92 offset1:93
	s_cmp_lt_i32 s20, 48
	v_mov_b32_e32 v234, 46
	s_cbranch_scc1 .LBB110_968
; %bb.966:
	v_add_u32_e32 v235, 0x2f0, v236
	s_mov_b32 s16, 47
	v_mov_b32_e32 v234, 46
.LBB110_967:                            ; =>This Inner Loop Header: Depth=1
	ds_read2_b64 v[240:243], v235 offset1:1
	s_waitcnt lgkmcnt(1)
	v_xor_b32_e32 v145, 0x80000000, v225
	v_xor_b32_e32 v147, 0x80000000, v227
	v_cmp_gt_f64_e32 vcc, 0, v[226:227]
	v_cmp_gt_f64_e64 s[0:1], 0, v[224:225]
	v_mov_b32_e32 v144, v224
	v_mov_b32_e32 v146, v226
	v_cndmask_b32_e64 v145, v225, v145, s[0:1]
	v_cndmask_b32_e32 v147, v227, v147, vcc
	v_add_f64 v[144:145], v[144:145], v[146:147]
	s_waitcnt lgkmcnt(0)
	v_xor_b32_e32 v147, 0x80000000, v241
	v_xor_b32_e32 v153, 0x80000000, v243
	v_cmp_gt_f64_e32 vcc, 0, v[242:243]
	v_cmp_gt_f64_e64 s[0:1], 0, v[240:241]
	v_mov_b32_e32 v146, v240
	v_mov_b32_e32 v152, v242
	v_cndmask_b32_e64 v147, v241, v147, s[0:1]
	v_cndmask_b32_e32 v153, v243, v153, vcc
	v_add_f64 v[146:147], v[146:147], v[152:153]
	v_mov_b32_e32 v154, s16
	s_add_i32 s16, s16, 1
	v_cmp_lt_f64_e32 vcc, v[144:145], v[146:147]
	v_add_u32_e32 v235, 16, v235
	s_cmp_lg_u32 s20, s16
	v_cndmask_b32_e32 v225, v225, v241, vcc
	v_cndmask_b32_e32 v224, v224, v240, vcc
	;; [unrolled: 1-line block ×5, first 2 shown]
	s_cbranch_scc1 .LBB110_967
.LBB110_968:
	s_waitcnt lgkmcnt(0)
	v_cmp_eq_f64_e32 vcc, 0, v[224:225]
	v_cmp_eq_f64_e64 s[0:1], 0, v[226:227]
	s_and_b64 s[0:1], vcc, s[0:1]
	s_and_saveexec_b64 s[16:17], s[0:1]
	s_xor_b64 s[0:1], exec, s[16:17]
; %bb.969:
	v_cmp_ne_u32_e32 vcc, 0, v238
	s_nop 1
	v_cndmask_b32_e32 v238, 47, v238, vcc
; %bb.970:
	s_andn2_saveexec_b64 s[0:1], s[0:1]
	s_cbranch_execz .LBB110_976
; %bb.971:
	v_cmp_ngt_f64_e64 s[16:17], |v[224:225]|, |v[226:227]|
	s_and_saveexec_b64 s[18:19], s[16:17]
	s_xor_b64 s[16:17], exec, s[18:19]
	s_cbranch_execz .LBB110_973
; %bb.972:
	v_div_scale_f64 v[144:145], s[18:19], v[226:227], v[226:227], v[224:225]
	v_rcp_f64_e32 v[146:147], v[144:145]
	v_div_scale_f64 v[152:153], vcc, v[224:225], v[226:227], v[224:225]
	v_fma_f64 v[154:155], -v[144:145], v[146:147], 1.0
	v_fmac_f64_e32 v[146:147], v[146:147], v[154:155]
	v_fma_f64 v[154:155], -v[144:145], v[146:147], 1.0
	v_fmac_f64_e32 v[146:147], v[146:147], v[154:155]
	v_mul_f64 v[154:155], v[152:153], v[146:147]
	v_fma_f64 v[144:145], -v[144:145], v[154:155], v[152:153]
	v_div_fmas_f64 v[144:145], v[144:145], v[146:147], v[154:155]
	v_div_fixup_f64 v[144:145], v[144:145], v[226:227], v[224:225]
	v_fmac_f64_e32 v[226:227], v[224:225], v[144:145]
	v_div_scale_f64 v[146:147], s[18:19], v[226:227], v[226:227], 1.0
	v_rcp_f64_e32 v[152:153], v[146:147]
	s_nop 0
	v_fma_f64 v[154:155], -v[146:147], v[152:153], 1.0
	v_fmac_f64_e32 v[152:153], v[152:153], v[154:155]
	v_fma_f64 v[154:155], -v[146:147], v[152:153], 1.0
	v_fmac_f64_e32 v[152:153], v[152:153], v[154:155]
	v_div_scale_f64 v[154:155], vcc, 1.0, v[226:227], 1.0
	v_mul_f64 v[224:225], v[154:155], v[152:153]
	v_fma_f64 v[146:147], -v[146:147], v[224:225], v[154:155]
	s_nop 1
	v_div_fmas_f64 v[146:147], v[146:147], v[152:153], v[224:225]
	v_div_fixup_f64 v[226:227], v[146:147], v[226:227], 1.0
	v_mul_f64 v[224:225], v[144:145], v[226:227]
	v_xor_b32_e32 v227, 0x80000000, v227
.LBB110_973:
	s_andn2_saveexec_b64 s[16:17], s[16:17]
	s_cbranch_execz .LBB110_975
; %bb.974:
	v_div_scale_f64 v[144:145], s[18:19], v[224:225], v[224:225], v[226:227]
	v_rcp_f64_e32 v[146:147], v[144:145]
	v_div_scale_f64 v[152:153], vcc, v[226:227], v[224:225], v[226:227]
	v_fma_f64 v[154:155], -v[144:145], v[146:147], 1.0
	v_fmac_f64_e32 v[146:147], v[146:147], v[154:155]
	v_fma_f64 v[154:155], -v[144:145], v[146:147], 1.0
	v_fmac_f64_e32 v[146:147], v[146:147], v[154:155]
	v_mul_f64 v[154:155], v[152:153], v[146:147]
	v_fma_f64 v[144:145], -v[144:145], v[154:155], v[152:153]
	v_div_fmas_f64 v[144:145], v[144:145], v[146:147], v[154:155]
	v_div_fixup_f64 v[144:145], v[144:145], v[224:225], v[226:227]
	v_fmac_f64_e32 v[224:225], v[226:227], v[144:145]
	v_div_scale_f64 v[146:147], s[18:19], v[224:225], v[224:225], 1.0
	v_rcp_f64_e32 v[152:153], v[146:147]
	s_nop 0
	v_fma_f64 v[154:155], -v[146:147], v[152:153], 1.0
	v_fmac_f64_e32 v[152:153], v[152:153], v[154:155]
	v_fma_f64 v[154:155], -v[146:147], v[152:153], 1.0
	v_fmac_f64_e32 v[152:153], v[152:153], v[154:155]
	v_div_scale_f64 v[154:155], vcc, 1.0, v[224:225], 1.0
	v_mul_f64 v[226:227], v[154:155], v[152:153]
	v_fma_f64 v[146:147], -v[146:147], v[226:227], v[154:155]
	s_nop 1
	v_div_fmas_f64 v[146:147], v[146:147], v[152:153], v[226:227]
	v_div_fixup_f64 v[224:225], v[146:147], v[224:225], 1.0
	v_mul_f64 v[226:227], v[144:145], -v[224:225]
.LBB110_975:
	s_or_b64 exec, exec, s[16:17]
.LBB110_976:
	s_or_b64 exec, exec, s[0:1]
	v_cmp_ne_u32_e32 vcc, v237, v234
	s_and_saveexec_b64 s[0:1], vcc
	s_xor_b64 s[0:1], exec, s[0:1]
	s_cbranch_execz .LBB110_982
; %bb.977:
	v_cmp_eq_u32_e32 vcc, 46, v237
	s_and_saveexec_b64 s[16:17], vcc
	s_cbranch_execz .LBB110_981
; %bb.978:
	v_cmp_ne_u32_e32 vcc, 46, v234
	s_xor_b64 s[18:19], s[14:15], -1
	s_and_b64 s[22:23], s[18:19], vcc
	s_and_saveexec_b64 s[18:19], s[22:23]
	s_cbranch_execz .LBB110_980
; %bb.979:
	v_ashrrev_i32_e32 v235, 31, v234
	v_lshl_add_u64 v[144:145], v[234:235], 2, v[212:213]
	global_load_dword v146, v[144:145], off
	global_load_dword v147, v[212:213], off offset:184
	s_waitcnt vmcnt(1)
	global_store_dword v[212:213], v146, off offset:184
	s_waitcnt vmcnt(1)
	global_store_dword v[144:145], v147, off
.LBB110_980:
	s_or_b64 exec, exec, s[18:19]
	v_mov_b32_e32 v237, v234
	v_mov_b32_e32 v218, v234
.LBB110_981:
	s_or_b64 exec, exec, s[16:17]
.LBB110_982:
	s_andn2_saveexec_b64 s[0:1], s[0:1]
	s_cbranch_execz .LBB110_984
; %bb.983:
	v_mov_b32_e32 v237, 46
	ds_write2_b64 v236, v[28:29], v[30:31] offset0:94 offset1:95
	ds_write2_b64 v236, v[24:25], v[26:27] offset0:96 offset1:97
	;; [unrolled: 1-line block ×9, first 2 shown]
.LBB110_984:
	s_or_b64 exec, exec, s[0:1]
	v_cmp_lt_i32_e32 vcc, 46, v237
	s_waitcnt lgkmcnt(0)
	s_barrier
	s_and_saveexec_b64 s[0:1], vcc
	s_cbranch_execz .LBB110_986
; %bb.985:
	ds_read2_b64 v[240:243], v236 offset0:94 offset1:95
	v_mul_f64 v[144:145], v[224:225], v[34:35]
	v_mul_f64 v[34:35], v[226:227], v[34:35]
	v_fmac_f64_e32 v[144:145], v[226:227], v[32:33]
	v_fma_f64 v[32:33], v[224:225], v[32:33], -v[34:35]
	ds_read2_b64 v[224:227], v236 offset0:96 offset1:97
	s_waitcnt lgkmcnt(1)
	v_mul_f64 v[34:35], v[242:243], v[144:145]
	v_mul_f64 v[146:147], v[240:241], v[144:145]
	v_fma_f64 v[34:35], v[240:241], v[32:33], -v[34:35]
	v_fmac_f64_e32 v[146:147], v[242:243], v[32:33]
	ds_read2_b64 v[240:243], v236 offset0:98 offset1:99
	v_add_f64 v[28:29], v[28:29], -v[34:35]
	v_add_f64 v[30:31], v[30:31], -v[146:147]
	s_waitcnt lgkmcnt(1)
	v_mul_f64 v[34:35], v[226:227], v[144:145]
	v_mul_f64 v[146:147], v[224:225], v[144:145]
	v_fma_f64 v[34:35], v[224:225], v[32:33], -v[34:35]
	v_fmac_f64_e32 v[146:147], v[226:227], v[32:33]
	ds_read2_b64 v[224:227], v236 offset0:100 offset1:101
	v_add_f64 v[24:25], v[24:25], -v[34:35]
	v_add_f64 v[26:27], v[26:27], -v[146:147]
	;; [unrolled: 8-line block ×7, first 2 shown]
	s_waitcnt lgkmcnt(1)
	v_mul_f64 v[34:35], v[226:227], v[144:145]
	v_mul_f64 v[146:147], v[224:225], v[144:145]
	v_fma_f64 v[34:35], v[224:225], v[32:33], -v[34:35]
	v_fmac_f64_e32 v[146:147], v[226:227], v[32:33]
	v_add_f64 v[0:1], v[0:1], -v[34:35]
	v_add_f64 v[2:3], v[2:3], -v[146:147]
	s_waitcnt lgkmcnt(0)
	v_mul_f64 v[34:35], v[242:243], v[144:145]
	v_mul_f64 v[146:147], v[240:241], v[144:145]
	v_fma_f64 v[34:35], v[240:241], v[32:33], -v[34:35]
	v_fmac_f64_e32 v[146:147], v[242:243], v[32:33]
	v_add_f64 v[220:221], v[220:221], -v[34:35]
	v_add_f64 v[222:223], v[222:223], -v[146:147]
	v_mov_b64_e32 v[34:35], v[144:145]
.LBB110_986:
	s_or_b64 exec, exec, s[0:1]
	v_lshl_add_u32 v144, v237, 4, v236
	s_barrier
	ds_write2_b64 v144, v[28:29], v[30:31] offset1:1
	s_waitcnt lgkmcnt(0)
	s_barrier
	ds_read2_b64 v[224:227], v236 offset0:94 offset1:95
	s_cmp_lt_i32 s20, 49
	v_mov_b32_e32 v234, 47
	s_cbranch_scc1 .LBB110_989
; %bb.987:
	v_add_u32_e32 v235, 0x300, v236
	s_mov_b32 s16, 48
	v_mov_b32_e32 v234, 47
.LBB110_988:                            ; =>This Inner Loop Header: Depth=1
	ds_read2_b64 v[240:243], v235 offset1:1
	s_waitcnt lgkmcnt(1)
	v_xor_b32_e32 v145, 0x80000000, v225
	v_xor_b32_e32 v147, 0x80000000, v227
	v_cmp_gt_f64_e32 vcc, 0, v[226:227]
	v_cmp_gt_f64_e64 s[0:1], 0, v[224:225]
	v_mov_b32_e32 v144, v224
	v_mov_b32_e32 v146, v226
	v_cndmask_b32_e64 v145, v225, v145, s[0:1]
	v_cndmask_b32_e32 v147, v227, v147, vcc
	v_add_f64 v[144:145], v[144:145], v[146:147]
	s_waitcnt lgkmcnt(0)
	v_xor_b32_e32 v147, 0x80000000, v241
	v_xor_b32_e32 v153, 0x80000000, v243
	v_cmp_gt_f64_e32 vcc, 0, v[242:243]
	v_cmp_gt_f64_e64 s[0:1], 0, v[240:241]
	v_mov_b32_e32 v146, v240
	v_mov_b32_e32 v152, v242
	v_cndmask_b32_e64 v147, v241, v147, s[0:1]
	v_cndmask_b32_e32 v153, v243, v153, vcc
	v_add_f64 v[146:147], v[146:147], v[152:153]
	v_mov_b32_e32 v154, s16
	s_add_i32 s16, s16, 1
	v_cmp_lt_f64_e32 vcc, v[144:145], v[146:147]
	v_add_u32_e32 v235, 16, v235
	s_cmp_lg_u32 s20, s16
	v_cndmask_b32_e32 v225, v225, v241, vcc
	v_cndmask_b32_e32 v224, v224, v240, vcc
	;; [unrolled: 1-line block ×5, first 2 shown]
	s_cbranch_scc1 .LBB110_988
.LBB110_989:
	s_waitcnt lgkmcnt(0)
	v_cmp_eq_f64_e32 vcc, 0, v[224:225]
	v_cmp_eq_f64_e64 s[0:1], 0, v[226:227]
	s_and_b64 s[0:1], vcc, s[0:1]
	s_and_saveexec_b64 s[16:17], s[0:1]
	s_xor_b64 s[0:1], exec, s[16:17]
; %bb.990:
	v_cmp_ne_u32_e32 vcc, 0, v238
	s_nop 1
	v_cndmask_b32_e32 v238, 48, v238, vcc
; %bb.991:
	s_andn2_saveexec_b64 s[0:1], s[0:1]
	s_cbranch_execz .LBB110_997
; %bb.992:
	v_cmp_ngt_f64_e64 s[16:17], |v[224:225]|, |v[226:227]|
	s_and_saveexec_b64 s[18:19], s[16:17]
	s_xor_b64 s[16:17], exec, s[18:19]
	s_cbranch_execz .LBB110_994
; %bb.993:
	v_div_scale_f64 v[144:145], s[18:19], v[226:227], v[226:227], v[224:225]
	v_rcp_f64_e32 v[146:147], v[144:145]
	v_div_scale_f64 v[152:153], vcc, v[224:225], v[226:227], v[224:225]
	v_fma_f64 v[154:155], -v[144:145], v[146:147], 1.0
	v_fmac_f64_e32 v[146:147], v[146:147], v[154:155]
	v_fma_f64 v[154:155], -v[144:145], v[146:147], 1.0
	v_fmac_f64_e32 v[146:147], v[146:147], v[154:155]
	v_mul_f64 v[154:155], v[152:153], v[146:147]
	v_fma_f64 v[144:145], -v[144:145], v[154:155], v[152:153]
	v_div_fmas_f64 v[144:145], v[144:145], v[146:147], v[154:155]
	v_div_fixup_f64 v[144:145], v[144:145], v[226:227], v[224:225]
	v_fmac_f64_e32 v[226:227], v[224:225], v[144:145]
	v_div_scale_f64 v[146:147], s[18:19], v[226:227], v[226:227], 1.0
	v_rcp_f64_e32 v[152:153], v[146:147]
	s_nop 0
	v_fma_f64 v[154:155], -v[146:147], v[152:153], 1.0
	v_fmac_f64_e32 v[152:153], v[152:153], v[154:155]
	v_fma_f64 v[154:155], -v[146:147], v[152:153], 1.0
	v_fmac_f64_e32 v[152:153], v[152:153], v[154:155]
	v_div_scale_f64 v[154:155], vcc, 1.0, v[226:227], 1.0
	v_mul_f64 v[224:225], v[154:155], v[152:153]
	v_fma_f64 v[146:147], -v[146:147], v[224:225], v[154:155]
	s_nop 1
	v_div_fmas_f64 v[146:147], v[146:147], v[152:153], v[224:225]
	v_div_fixup_f64 v[226:227], v[146:147], v[226:227], 1.0
	v_mul_f64 v[224:225], v[144:145], v[226:227]
	v_xor_b32_e32 v227, 0x80000000, v227
.LBB110_994:
	s_andn2_saveexec_b64 s[16:17], s[16:17]
	s_cbranch_execz .LBB110_996
; %bb.995:
	v_div_scale_f64 v[144:145], s[18:19], v[224:225], v[224:225], v[226:227]
	v_rcp_f64_e32 v[146:147], v[144:145]
	v_div_scale_f64 v[152:153], vcc, v[226:227], v[224:225], v[226:227]
	v_fma_f64 v[154:155], -v[144:145], v[146:147], 1.0
	v_fmac_f64_e32 v[146:147], v[146:147], v[154:155]
	v_fma_f64 v[154:155], -v[144:145], v[146:147], 1.0
	v_fmac_f64_e32 v[146:147], v[146:147], v[154:155]
	v_mul_f64 v[154:155], v[152:153], v[146:147]
	v_fma_f64 v[144:145], -v[144:145], v[154:155], v[152:153]
	v_div_fmas_f64 v[144:145], v[144:145], v[146:147], v[154:155]
	v_div_fixup_f64 v[144:145], v[144:145], v[224:225], v[226:227]
	v_fmac_f64_e32 v[224:225], v[226:227], v[144:145]
	v_div_scale_f64 v[146:147], s[18:19], v[224:225], v[224:225], 1.0
	v_rcp_f64_e32 v[152:153], v[146:147]
	s_nop 0
	v_fma_f64 v[154:155], -v[146:147], v[152:153], 1.0
	v_fmac_f64_e32 v[152:153], v[152:153], v[154:155]
	v_fma_f64 v[154:155], -v[146:147], v[152:153], 1.0
	v_fmac_f64_e32 v[152:153], v[152:153], v[154:155]
	v_div_scale_f64 v[154:155], vcc, 1.0, v[224:225], 1.0
	v_mul_f64 v[226:227], v[154:155], v[152:153]
	v_fma_f64 v[146:147], -v[146:147], v[226:227], v[154:155]
	s_nop 1
	v_div_fmas_f64 v[146:147], v[146:147], v[152:153], v[226:227]
	v_div_fixup_f64 v[224:225], v[146:147], v[224:225], 1.0
	v_mul_f64 v[226:227], v[144:145], -v[224:225]
.LBB110_996:
	s_or_b64 exec, exec, s[16:17]
.LBB110_997:
	s_or_b64 exec, exec, s[0:1]
	v_cmp_ne_u32_e32 vcc, v237, v234
	s_and_saveexec_b64 s[0:1], vcc
	s_xor_b64 s[0:1], exec, s[0:1]
	s_cbranch_execz .LBB110_1003
; %bb.998:
	v_cmp_eq_u32_e32 vcc, 47, v237
	s_and_saveexec_b64 s[16:17], vcc
	s_cbranch_execz .LBB110_1002
; %bb.999:
	v_cmp_ne_u32_e32 vcc, 47, v234
	s_xor_b64 s[18:19], s[14:15], -1
	s_and_b64 s[22:23], s[18:19], vcc
	s_and_saveexec_b64 s[18:19], s[22:23]
	s_cbranch_execz .LBB110_1001
; %bb.1000:
	v_ashrrev_i32_e32 v235, 31, v234
	v_lshl_add_u64 v[144:145], v[234:235], 2, v[212:213]
	global_load_dword v146, v[144:145], off
	global_load_dword v147, v[212:213], off offset:188
	s_waitcnt vmcnt(1)
	global_store_dword v[212:213], v146, off offset:188
	s_waitcnt vmcnt(1)
	global_store_dword v[144:145], v147, off
.LBB110_1001:
	s_or_b64 exec, exec, s[18:19]
	v_mov_b32_e32 v237, v234
	v_mov_b32_e32 v218, v234
.LBB110_1002:
	s_or_b64 exec, exec, s[16:17]
.LBB110_1003:
	s_andn2_saveexec_b64 s[0:1], s[0:1]
	s_cbranch_execz .LBB110_1005
; %bb.1004:
	v_mov_b32_e32 v237, 47
	ds_write2_b64 v236, v[24:25], v[26:27] offset0:96 offset1:97
	ds_write2_b64 v236, v[20:21], v[22:23] offset0:98 offset1:99
	;; [unrolled: 1-line block ×8, first 2 shown]
.LBB110_1005:
	s_or_b64 exec, exec, s[0:1]
	v_cmp_lt_i32_e32 vcc, 47, v237
	s_waitcnt lgkmcnt(0)
	s_barrier
	s_and_saveexec_b64 s[0:1], vcc
	s_cbranch_execz .LBB110_1007
; %bb.1006:
	ds_read2_b64 v[240:243], v236 offset0:96 offset1:97
	v_mul_f64 v[144:145], v[224:225], v[30:31]
	v_mul_f64 v[30:31], v[226:227], v[30:31]
	v_fmac_f64_e32 v[144:145], v[226:227], v[28:29]
	v_fma_f64 v[28:29], v[224:225], v[28:29], -v[30:31]
	ds_read2_b64 v[224:227], v236 offset0:98 offset1:99
	s_waitcnt lgkmcnt(1)
	v_mul_f64 v[30:31], v[242:243], v[144:145]
	v_mul_f64 v[146:147], v[240:241], v[144:145]
	v_fma_f64 v[30:31], v[240:241], v[28:29], -v[30:31]
	v_fmac_f64_e32 v[146:147], v[242:243], v[28:29]
	ds_read2_b64 v[240:243], v236 offset0:100 offset1:101
	v_add_f64 v[24:25], v[24:25], -v[30:31]
	v_add_f64 v[26:27], v[26:27], -v[146:147]
	s_waitcnt lgkmcnt(1)
	v_mul_f64 v[30:31], v[226:227], v[144:145]
	v_mul_f64 v[146:147], v[224:225], v[144:145]
	v_fma_f64 v[30:31], v[224:225], v[28:29], -v[30:31]
	v_fmac_f64_e32 v[146:147], v[226:227], v[28:29]
	ds_read2_b64 v[224:227], v236 offset0:102 offset1:103
	v_add_f64 v[20:21], v[20:21], -v[30:31]
	v_add_f64 v[22:23], v[22:23], -v[146:147]
	;; [unrolled: 8-line block ×6, first 2 shown]
	s_waitcnt lgkmcnt(1)
	v_mul_f64 v[30:31], v[242:243], v[144:145]
	v_mul_f64 v[146:147], v[240:241], v[144:145]
	v_fma_f64 v[30:31], v[240:241], v[28:29], -v[30:31]
	v_fmac_f64_e32 v[146:147], v[242:243], v[28:29]
	v_add_f64 v[0:1], v[0:1], -v[30:31]
	v_add_f64 v[2:3], v[2:3], -v[146:147]
	s_waitcnt lgkmcnt(0)
	v_mul_f64 v[30:31], v[226:227], v[144:145]
	v_mul_f64 v[146:147], v[224:225], v[144:145]
	v_fma_f64 v[30:31], v[224:225], v[28:29], -v[30:31]
	v_fmac_f64_e32 v[146:147], v[226:227], v[28:29]
	v_add_f64 v[220:221], v[220:221], -v[30:31]
	v_add_f64 v[222:223], v[222:223], -v[146:147]
	v_mov_b64_e32 v[30:31], v[144:145]
.LBB110_1007:
	s_or_b64 exec, exec, s[0:1]
	v_lshl_add_u32 v144, v237, 4, v236
	s_barrier
	ds_write2_b64 v144, v[24:25], v[26:27] offset1:1
	s_waitcnt lgkmcnt(0)
	s_barrier
	ds_read2_b64 v[224:227], v236 offset0:96 offset1:97
	s_cmp_lt_i32 s20, 50
	v_mov_b32_e32 v234, 48
	s_cbranch_scc1 .LBB110_1010
; %bb.1008:
	v_add_u32_e32 v235, 0x310, v236
	s_mov_b32 s16, 49
	v_mov_b32_e32 v234, 48
.LBB110_1009:                           ; =>This Inner Loop Header: Depth=1
	ds_read2_b64 v[240:243], v235 offset1:1
	s_waitcnt lgkmcnt(1)
	v_xor_b32_e32 v145, 0x80000000, v225
	v_xor_b32_e32 v147, 0x80000000, v227
	v_cmp_gt_f64_e32 vcc, 0, v[226:227]
	v_cmp_gt_f64_e64 s[0:1], 0, v[224:225]
	v_mov_b32_e32 v144, v224
	v_mov_b32_e32 v146, v226
	v_cndmask_b32_e64 v145, v225, v145, s[0:1]
	v_cndmask_b32_e32 v147, v227, v147, vcc
	v_add_f64 v[144:145], v[144:145], v[146:147]
	s_waitcnt lgkmcnt(0)
	v_xor_b32_e32 v147, 0x80000000, v241
	v_xor_b32_e32 v153, 0x80000000, v243
	v_cmp_gt_f64_e32 vcc, 0, v[242:243]
	v_cmp_gt_f64_e64 s[0:1], 0, v[240:241]
	v_mov_b32_e32 v146, v240
	v_mov_b32_e32 v152, v242
	v_cndmask_b32_e64 v147, v241, v147, s[0:1]
	v_cndmask_b32_e32 v153, v243, v153, vcc
	v_add_f64 v[146:147], v[146:147], v[152:153]
	v_mov_b32_e32 v154, s16
	s_add_i32 s16, s16, 1
	v_cmp_lt_f64_e32 vcc, v[144:145], v[146:147]
	v_add_u32_e32 v235, 16, v235
	s_cmp_lg_u32 s20, s16
	v_cndmask_b32_e32 v225, v225, v241, vcc
	v_cndmask_b32_e32 v224, v224, v240, vcc
	;; [unrolled: 1-line block ×5, first 2 shown]
	s_cbranch_scc1 .LBB110_1009
.LBB110_1010:
	s_waitcnt lgkmcnt(0)
	v_cmp_eq_f64_e32 vcc, 0, v[224:225]
	v_cmp_eq_f64_e64 s[0:1], 0, v[226:227]
	s_and_b64 s[0:1], vcc, s[0:1]
	s_and_saveexec_b64 s[16:17], s[0:1]
	s_xor_b64 s[0:1], exec, s[16:17]
; %bb.1011:
	v_cmp_ne_u32_e32 vcc, 0, v238
	s_nop 1
	v_cndmask_b32_e32 v238, 49, v238, vcc
; %bb.1012:
	s_andn2_saveexec_b64 s[0:1], s[0:1]
	s_cbranch_execz .LBB110_1018
; %bb.1013:
	v_cmp_ngt_f64_e64 s[16:17], |v[224:225]|, |v[226:227]|
	s_and_saveexec_b64 s[18:19], s[16:17]
	s_xor_b64 s[16:17], exec, s[18:19]
	s_cbranch_execz .LBB110_1015
; %bb.1014:
	v_div_scale_f64 v[144:145], s[18:19], v[226:227], v[226:227], v[224:225]
	v_rcp_f64_e32 v[146:147], v[144:145]
	v_div_scale_f64 v[152:153], vcc, v[224:225], v[226:227], v[224:225]
	v_fma_f64 v[154:155], -v[144:145], v[146:147], 1.0
	v_fmac_f64_e32 v[146:147], v[146:147], v[154:155]
	v_fma_f64 v[154:155], -v[144:145], v[146:147], 1.0
	v_fmac_f64_e32 v[146:147], v[146:147], v[154:155]
	v_mul_f64 v[154:155], v[152:153], v[146:147]
	v_fma_f64 v[144:145], -v[144:145], v[154:155], v[152:153]
	v_div_fmas_f64 v[144:145], v[144:145], v[146:147], v[154:155]
	v_div_fixup_f64 v[144:145], v[144:145], v[226:227], v[224:225]
	v_fmac_f64_e32 v[226:227], v[224:225], v[144:145]
	v_div_scale_f64 v[146:147], s[18:19], v[226:227], v[226:227], 1.0
	v_rcp_f64_e32 v[152:153], v[146:147]
	s_nop 0
	v_fma_f64 v[154:155], -v[146:147], v[152:153], 1.0
	v_fmac_f64_e32 v[152:153], v[152:153], v[154:155]
	v_fma_f64 v[154:155], -v[146:147], v[152:153], 1.0
	v_fmac_f64_e32 v[152:153], v[152:153], v[154:155]
	v_div_scale_f64 v[154:155], vcc, 1.0, v[226:227], 1.0
	v_mul_f64 v[224:225], v[154:155], v[152:153]
	v_fma_f64 v[146:147], -v[146:147], v[224:225], v[154:155]
	s_nop 1
	v_div_fmas_f64 v[146:147], v[146:147], v[152:153], v[224:225]
	v_div_fixup_f64 v[226:227], v[146:147], v[226:227], 1.0
	v_mul_f64 v[224:225], v[144:145], v[226:227]
	v_xor_b32_e32 v227, 0x80000000, v227
.LBB110_1015:
	s_andn2_saveexec_b64 s[16:17], s[16:17]
	s_cbranch_execz .LBB110_1017
; %bb.1016:
	v_div_scale_f64 v[144:145], s[18:19], v[224:225], v[224:225], v[226:227]
	v_rcp_f64_e32 v[146:147], v[144:145]
	v_div_scale_f64 v[152:153], vcc, v[226:227], v[224:225], v[226:227]
	v_fma_f64 v[154:155], -v[144:145], v[146:147], 1.0
	v_fmac_f64_e32 v[146:147], v[146:147], v[154:155]
	v_fma_f64 v[154:155], -v[144:145], v[146:147], 1.0
	v_fmac_f64_e32 v[146:147], v[146:147], v[154:155]
	v_mul_f64 v[154:155], v[152:153], v[146:147]
	v_fma_f64 v[144:145], -v[144:145], v[154:155], v[152:153]
	v_div_fmas_f64 v[144:145], v[144:145], v[146:147], v[154:155]
	v_div_fixup_f64 v[144:145], v[144:145], v[224:225], v[226:227]
	v_fmac_f64_e32 v[224:225], v[226:227], v[144:145]
	v_div_scale_f64 v[146:147], s[18:19], v[224:225], v[224:225], 1.0
	v_rcp_f64_e32 v[152:153], v[146:147]
	s_nop 0
	v_fma_f64 v[154:155], -v[146:147], v[152:153], 1.0
	v_fmac_f64_e32 v[152:153], v[152:153], v[154:155]
	v_fma_f64 v[154:155], -v[146:147], v[152:153], 1.0
	v_fmac_f64_e32 v[152:153], v[152:153], v[154:155]
	v_div_scale_f64 v[154:155], vcc, 1.0, v[224:225], 1.0
	v_mul_f64 v[226:227], v[154:155], v[152:153]
	v_fma_f64 v[146:147], -v[146:147], v[226:227], v[154:155]
	s_nop 1
	v_div_fmas_f64 v[146:147], v[146:147], v[152:153], v[226:227]
	v_div_fixup_f64 v[224:225], v[146:147], v[224:225], 1.0
	v_mul_f64 v[226:227], v[144:145], -v[224:225]
.LBB110_1017:
	s_or_b64 exec, exec, s[16:17]
.LBB110_1018:
	s_or_b64 exec, exec, s[0:1]
	v_cmp_ne_u32_e32 vcc, v237, v234
	s_and_saveexec_b64 s[0:1], vcc
	s_xor_b64 s[0:1], exec, s[0:1]
	s_cbranch_execz .LBB110_1024
; %bb.1019:
	v_cmp_eq_u32_e32 vcc, 48, v237
	s_and_saveexec_b64 s[16:17], vcc
	s_cbranch_execz .LBB110_1023
; %bb.1020:
	v_cmp_ne_u32_e32 vcc, 48, v234
	s_xor_b64 s[18:19], s[14:15], -1
	s_and_b64 s[22:23], s[18:19], vcc
	s_and_saveexec_b64 s[18:19], s[22:23]
	s_cbranch_execz .LBB110_1022
; %bb.1021:
	v_ashrrev_i32_e32 v235, 31, v234
	v_lshl_add_u64 v[144:145], v[234:235], 2, v[212:213]
	global_load_dword v146, v[144:145], off
	global_load_dword v147, v[212:213], off offset:192
	s_waitcnt vmcnt(1)
	global_store_dword v[212:213], v146, off offset:192
	s_waitcnt vmcnt(1)
	global_store_dword v[144:145], v147, off
.LBB110_1022:
	s_or_b64 exec, exec, s[18:19]
	v_mov_b32_e32 v237, v234
	v_mov_b32_e32 v218, v234
.LBB110_1023:
	s_or_b64 exec, exec, s[16:17]
.LBB110_1024:
	s_andn2_saveexec_b64 s[0:1], s[0:1]
	s_cbranch_execz .LBB110_1026
; %bb.1025:
	v_mov_b32_e32 v237, 48
	ds_write2_b64 v236, v[20:21], v[22:23] offset0:98 offset1:99
	ds_write2_b64 v236, v[16:17], v[18:19] offset0:100 offset1:101
	;; [unrolled: 1-line block ×7, first 2 shown]
.LBB110_1026:
	s_or_b64 exec, exec, s[0:1]
	v_cmp_lt_i32_e32 vcc, 48, v237
	s_waitcnt lgkmcnt(0)
	s_barrier
	s_and_saveexec_b64 s[0:1], vcc
	s_cbranch_execz .LBB110_1028
; %bb.1027:
	ds_read2_b64 v[240:243], v236 offset0:98 offset1:99
	v_mul_f64 v[144:145], v[224:225], v[26:27]
	v_mul_f64 v[26:27], v[226:227], v[26:27]
	v_fmac_f64_e32 v[144:145], v[226:227], v[24:25]
	v_fma_f64 v[24:25], v[224:225], v[24:25], -v[26:27]
	ds_read2_b64 v[224:227], v236 offset0:100 offset1:101
	s_waitcnt lgkmcnt(1)
	v_mul_f64 v[26:27], v[242:243], v[144:145]
	v_mul_f64 v[146:147], v[240:241], v[144:145]
	v_fma_f64 v[26:27], v[240:241], v[24:25], -v[26:27]
	v_fmac_f64_e32 v[146:147], v[242:243], v[24:25]
	ds_read2_b64 v[240:243], v236 offset0:102 offset1:103
	v_add_f64 v[20:21], v[20:21], -v[26:27]
	v_add_f64 v[22:23], v[22:23], -v[146:147]
	s_waitcnt lgkmcnt(1)
	v_mul_f64 v[26:27], v[226:227], v[144:145]
	v_mul_f64 v[146:147], v[224:225], v[144:145]
	v_fma_f64 v[26:27], v[224:225], v[24:25], -v[26:27]
	v_fmac_f64_e32 v[146:147], v[226:227], v[24:25]
	ds_read2_b64 v[224:227], v236 offset0:104 offset1:105
	v_add_f64 v[16:17], v[16:17], -v[26:27]
	v_add_f64 v[18:19], v[18:19], -v[146:147]
	;; [unrolled: 8-line block ×5, first 2 shown]
	s_waitcnt lgkmcnt(1)
	v_mul_f64 v[26:27], v[226:227], v[144:145]
	v_mul_f64 v[146:147], v[224:225], v[144:145]
	v_fma_f64 v[26:27], v[224:225], v[24:25], -v[26:27]
	v_fmac_f64_e32 v[146:147], v[226:227], v[24:25]
	v_add_f64 v[0:1], v[0:1], -v[26:27]
	v_add_f64 v[2:3], v[2:3], -v[146:147]
	s_waitcnt lgkmcnt(0)
	v_mul_f64 v[26:27], v[242:243], v[144:145]
	v_mul_f64 v[146:147], v[240:241], v[144:145]
	v_fma_f64 v[26:27], v[240:241], v[24:25], -v[26:27]
	v_fmac_f64_e32 v[146:147], v[242:243], v[24:25]
	v_add_f64 v[220:221], v[220:221], -v[26:27]
	v_add_f64 v[222:223], v[222:223], -v[146:147]
	v_mov_b64_e32 v[26:27], v[144:145]
.LBB110_1028:
	s_or_b64 exec, exec, s[0:1]
	v_lshl_add_u32 v144, v237, 4, v236
	s_barrier
	ds_write2_b64 v144, v[20:21], v[22:23] offset1:1
	s_waitcnt lgkmcnt(0)
	s_barrier
	ds_read2_b64 v[224:227], v236 offset0:98 offset1:99
	s_cmp_lt_i32 s20, 51
	v_mov_b32_e32 v234, 49
	s_cbranch_scc1 .LBB110_1031
; %bb.1029:
	v_add_u32_e32 v235, 0x320, v236
	s_mov_b32 s16, 50
	v_mov_b32_e32 v234, 49
.LBB110_1030:                           ; =>This Inner Loop Header: Depth=1
	ds_read2_b64 v[240:243], v235 offset1:1
	s_waitcnt lgkmcnt(1)
	v_xor_b32_e32 v145, 0x80000000, v225
	v_xor_b32_e32 v147, 0x80000000, v227
	v_cmp_gt_f64_e32 vcc, 0, v[226:227]
	v_cmp_gt_f64_e64 s[0:1], 0, v[224:225]
	v_mov_b32_e32 v144, v224
	v_mov_b32_e32 v146, v226
	v_cndmask_b32_e64 v145, v225, v145, s[0:1]
	v_cndmask_b32_e32 v147, v227, v147, vcc
	v_add_f64 v[144:145], v[144:145], v[146:147]
	s_waitcnt lgkmcnt(0)
	v_xor_b32_e32 v147, 0x80000000, v241
	v_xor_b32_e32 v153, 0x80000000, v243
	v_cmp_gt_f64_e32 vcc, 0, v[242:243]
	v_cmp_gt_f64_e64 s[0:1], 0, v[240:241]
	v_mov_b32_e32 v146, v240
	v_mov_b32_e32 v152, v242
	v_cndmask_b32_e64 v147, v241, v147, s[0:1]
	v_cndmask_b32_e32 v153, v243, v153, vcc
	v_add_f64 v[146:147], v[146:147], v[152:153]
	v_mov_b32_e32 v154, s16
	s_add_i32 s16, s16, 1
	v_cmp_lt_f64_e32 vcc, v[144:145], v[146:147]
	v_add_u32_e32 v235, 16, v235
	s_cmp_lg_u32 s20, s16
	v_cndmask_b32_e32 v225, v225, v241, vcc
	v_cndmask_b32_e32 v224, v224, v240, vcc
	;; [unrolled: 1-line block ×5, first 2 shown]
	s_cbranch_scc1 .LBB110_1030
.LBB110_1031:
	s_waitcnt lgkmcnt(0)
	v_cmp_eq_f64_e32 vcc, 0, v[224:225]
	v_cmp_eq_f64_e64 s[0:1], 0, v[226:227]
	s_and_b64 s[0:1], vcc, s[0:1]
	s_and_saveexec_b64 s[16:17], s[0:1]
	s_xor_b64 s[0:1], exec, s[16:17]
; %bb.1032:
	v_cmp_ne_u32_e32 vcc, 0, v238
	s_nop 1
	v_cndmask_b32_e32 v238, 50, v238, vcc
; %bb.1033:
	s_andn2_saveexec_b64 s[0:1], s[0:1]
	s_cbranch_execz .LBB110_1039
; %bb.1034:
	v_cmp_ngt_f64_e64 s[16:17], |v[224:225]|, |v[226:227]|
	s_and_saveexec_b64 s[18:19], s[16:17]
	s_xor_b64 s[16:17], exec, s[18:19]
	s_cbranch_execz .LBB110_1036
; %bb.1035:
	v_div_scale_f64 v[144:145], s[18:19], v[226:227], v[226:227], v[224:225]
	v_rcp_f64_e32 v[146:147], v[144:145]
	v_div_scale_f64 v[152:153], vcc, v[224:225], v[226:227], v[224:225]
	v_fma_f64 v[154:155], -v[144:145], v[146:147], 1.0
	v_fmac_f64_e32 v[146:147], v[146:147], v[154:155]
	v_fma_f64 v[154:155], -v[144:145], v[146:147], 1.0
	v_fmac_f64_e32 v[146:147], v[146:147], v[154:155]
	v_mul_f64 v[154:155], v[152:153], v[146:147]
	v_fma_f64 v[144:145], -v[144:145], v[154:155], v[152:153]
	v_div_fmas_f64 v[144:145], v[144:145], v[146:147], v[154:155]
	v_div_fixup_f64 v[144:145], v[144:145], v[226:227], v[224:225]
	v_fmac_f64_e32 v[226:227], v[224:225], v[144:145]
	v_div_scale_f64 v[146:147], s[18:19], v[226:227], v[226:227], 1.0
	v_rcp_f64_e32 v[152:153], v[146:147]
	s_nop 0
	v_fma_f64 v[154:155], -v[146:147], v[152:153], 1.0
	v_fmac_f64_e32 v[152:153], v[152:153], v[154:155]
	v_fma_f64 v[154:155], -v[146:147], v[152:153], 1.0
	v_fmac_f64_e32 v[152:153], v[152:153], v[154:155]
	v_div_scale_f64 v[154:155], vcc, 1.0, v[226:227], 1.0
	v_mul_f64 v[224:225], v[154:155], v[152:153]
	v_fma_f64 v[146:147], -v[146:147], v[224:225], v[154:155]
	s_nop 1
	v_div_fmas_f64 v[146:147], v[146:147], v[152:153], v[224:225]
	v_div_fixup_f64 v[226:227], v[146:147], v[226:227], 1.0
	v_mul_f64 v[224:225], v[144:145], v[226:227]
	v_xor_b32_e32 v227, 0x80000000, v227
.LBB110_1036:
	s_andn2_saveexec_b64 s[16:17], s[16:17]
	s_cbranch_execz .LBB110_1038
; %bb.1037:
	v_div_scale_f64 v[144:145], s[18:19], v[224:225], v[224:225], v[226:227]
	v_rcp_f64_e32 v[146:147], v[144:145]
	v_div_scale_f64 v[152:153], vcc, v[226:227], v[224:225], v[226:227]
	v_fma_f64 v[154:155], -v[144:145], v[146:147], 1.0
	v_fmac_f64_e32 v[146:147], v[146:147], v[154:155]
	v_fma_f64 v[154:155], -v[144:145], v[146:147], 1.0
	v_fmac_f64_e32 v[146:147], v[146:147], v[154:155]
	v_mul_f64 v[154:155], v[152:153], v[146:147]
	v_fma_f64 v[144:145], -v[144:145], v[154:155], v[152:153]
	v_div_fmas_f64 v[144:145], v[144:145], v[146:147], v[154:155]
	v_div_fixup_f64 v[144:145], v[144:145], v[224:225], v[226:227]
	v_fmac_f64_e32 v[224:225], v[226:227], v[144:145]
	v_div_scale_f64 v[146:147], s[18:19], v[224:225], v[224:225], 1.0
	v_rcp_f64_e32 v[152:153], v[146:147]
	s_nop 0
	v_fma_f64 v[154:155], -v[146:147], v[152:153], 1.0
	v_fmac_f64_e32 v[152:153], v[152:153], v[154:155]
	v_fma_f64 v[154:155], -v[146:147], v[152:153], 1.0
	v_fmac_f64_e32 v[152:153], v[152:153], v[154:155]
	v_div_scale_f64 v[154:155], vcc, 1.0, v[224:225], 1.0
	v_mul_f64 v[226:227], v[154:155], v[152:153]
	v_fma_f64 v[146:147], -v[146:147], v[226:227], v[154:155]
	s_nop 1
	v_div_fmas_f64 v[146:147], v[146:147], v[152:153], v[226:227]
	v_div_fixup_f64 v[224:225], v[146:147], v[224:225], 1.0
	v_mul_f64 v[226:227], v[144:145], -v[224:225]
.LBB110_1038:
	s_or_b64 exec, exec, s[16:17]
.LBB110_1039:
	s_or_b64 exec, exec, s[0:1]
	v_cmp_ne_u32_e32 vcc, v237, v234
	s_and_saveexec_b64 s[0:1], vcc
	s_xor_b64 s[0:1], exec, s[0:1]
	s_cbranch_execz .LBB110_1045
; %bb.1040:
	v_cmp_eq_u32_e32 vcc, 49, v237
	s_and_saveexec_b64 s[16:17], vcc
	s_cbranch_execz .LBB110_1044
; %bb.1041:
	v_cmp_ne_u32_e32 vcc, 49, v234
	s_xor_b64 s[18:19], s[14:15], -1
	s_and_b64 s[22:23], s[18:19], vcc
	s_and_saveexec_b64 s[18:19], s[22:23]
	s_cbranch_execz .LBB110_1043
; %bb.1042:
	v_ashrrev_i32_e32 v235, 31, v234
	v_lshl_add_u64 v[144:145], v[234:235], 2, v[212:213]
	global_load_dword v146, v[144:145], off
	global_load_dword v147, v[212:213], off offset:196
	s_waitcnt vmcnt(1)
	global_store_dword v[212:213], v146, off offset:196
	s_waitcnt vmcnt(1)
	global_store_dword v[144:145], v147, off
.LBB110_1043:
	s_or_b64 exec, exec, s[18:19]
	v_mov_b32_e32 v237, v234
	v_mov_b32_e32 v218, v234
.LBB110_1044:
	s_or_b64 exec, exec, s[16:17]
.LBB110_1045:
	s_andn2_saveexec_b64 s[0:1], s[0:1]
	s_cbranch_execz .LBB110_1047
; %bb.1046:
	v_mov_b32_e32 v237, 49
	ds_write2_b64 v236, v[16:17], v[18:19] offset0:100 offset1:101
	ds_write2_b64 v236, v[12:13], v[14:15] offset0:102 offset1:103
	;; [unrolled: 1-line block ×6, first 2 shown]
.LBB110_1047:
	s_or_b64 exec, exec, s[0:1]
	v_cmp_lt_i32_e32 vcc, 49, v237
	s_waitcnt lgkmcnt(0)
	s_barrier
	s_and_saveexec_b64 s[0:1], vcc
	s_cbranch_execz .LBB110_1049
; %bb.1048:
	ds_read2_b64 v[240:243], v236 offset0:100 offset1:101
	v_mul_f64 v[144:145], v[224:225], v[22:23]
	v_mul_f64 v[22:23], v[226:227], v[22:23]
	v_fmac_f64_e32 v[144:145], v[226:227], v[20:21]
	v_fma_f64 v[20:21], v[224:225], v[20:21], -v[22:23]
	ds_read2_b64 v[224:227], v236 offset0:102 offset1:103
	s_waitcnt lgkmcnt(1)
	v_mul_f64 v[22:23], v[242:243], v[144:145]
	v_mul_f64 v[146:147], v[240:241], v[144:145]
	v_fma_f64 v[22:23], v[240:241], v[20:21], -v[22:23]
	v_fmac_f64_e32 v[146:147], v[242:243], v[20:21]
	ds_read2_b64 v[240:243], v236 offset0:104 offset1:105
	v_add_f64 v[16:17], v[16:17], -v[22:23]
	v_add_f64 v[18:19], v[18:19], -v[146:147]
	s_waitcnt lgkmcnt(1)
	v_mul_f64 v[22:23], v[226:227], v[144:145]
	v_mul_f64 v[146:147], v[224:225], v[144:145]
	v_fma_f64 v[22:23], v[224:225], v[20:21], -v[22:23]
	v_fmac_f64_e32 v[146:147], v[226:227], v[20:21]
	ds_read2_b64 v[224:227], v236 offset0:106 offset1:107
	v_add_f64 v[12:13], v[12:13], -v[22:23]
	v_add_f64 v[14:15], v[14:15], -v[146:147]
	;; [unrolled: 8-line block ×4, first 2 shown]
	s_waitcnt lgkmcnt(1)
	v_mul_f64 v[22:23], v[242:243], v[144:145]
	v_mul_f64 v[146:147], v[240:241], v[144:145]
	v_fma_f64 v[22:23], v[240:241], v[20:21], -v[22:23]
	v_fmac_f64_e32 v[146:147], v[242:243], v[20:21]
	v_add_f64 v[0:1], v[0:1], -v[22:23]
	v_add_f64 v[2:3], v[2:3], -v[146:147]
	s_waitcnt lgkmcnt(0)
	v_mul_f64 v[22:23], v[226:227], v[144:145]
	v_mul_f64 v[146:147], v[224:225], v[144:145]
	v_fma_f64 v[22:23], v[224:225], v[20:21], -v[22:23]
	v_fmac_f64_e32 v[146:147], v[226:227], v[20:21]
	v_add_f64 v[220:221], v[220:221], -v[22:23]
	v_add_f64 v[222:223], v[222:223], -v[146:147]
	v_mov_b64_e32 v[22:23], v[144:145]
.LBB110_1049:
	s_or_b64 exec, exec, s[0:1]
	v_lshl_add_u32 v144, v237, 4, v236
	s_barrier
	ds_write2_b64 v144, v[16:17], v[18:19] offset1:1
	s_waitcnt lgkmcnt(0)
	s_barrier
	ds_read2_b64 v[224:227], v236 offset0:100 offset1:101
	s_cmp_lt_i32 s20, 52
	v_mov_b32_e32 v234, 50
	s_cbranch_scc1 .LBB110_1052
; %bb.1050:
	v_add_u32_e32 v235, 0x330, v236
	s_mov_b32 s16, 51
	v_mov_b32_e32 v234, 50
.LBB110_1051:                           ; =>This Inner Loop Header: Depth=1
	ds_read2_b64 v[240:243], v235 offset1:1
	s_waitcnt lgkmcnt(1)
	v_xor_b32_e32 v145, 0x80000000, v225
	v_xor_b32_e32 v147, 0x80000000, v227
	v_cmp_gt_f64_e32 vcc, 0, v[226:227]
	v_cmp_gt_f64_e64 s[0:1], 0, v[224:225]
	v_mov_b32_e32 v144, v224
	v_mov_b32_e32 v146, v226
	v_cndmask_b32_e64 v145, v225, v145, s[0:1]
	v_cndmask_b32_e32 v147, v227, v147, vcc
	v_add_f64 v[144:145], v[144:145], v[146:147]
	s_waitcnt lgkmcnt(0)
	v_xor_b32_e32 v147, 0x80000000, v241
	v_xor_b32_e32 v153, 0x80000000, v243
	v_cmp_gt_f64_e32 vcc, 0, v[242:243]
	v_cmp_gt_f64_e64 s[0:1], 0, v[240:241]
	v_mov_b32_e32 v146, v240
	v_mov_b32_e32 v152, v242
	v_cndmask_b32_e64 v147, v241, v147, s[0:1]
	v_cndmask_b32_e32 v153, v243, v153, vcc
	v_add_f64 v[146:147], v[146:147], v[152:153]
	v_mov_b32_e32 v154, s16
	s_add_i32 s16, s16, 1
	v_cmp_lt_f64_e32 vcc, v[144:145], v[146:147]
	v_add_u32_e32 v235, 16, v235
	s_cmp_lg_u32 s20, s16
	v_cndmask_b32_e32 v225, v225, v241, vcc
	v_cndmask_b32_e32 v224, v224, v240, vcc
	;; [unrolled: 1-line block ×5, first 2 shown]
	s_cbranch_scc1 .LBB110_1051
.LBB110_1052:
	s_waitcnt lgkmcnt(0)
	v_cmp_eq_f64_e32 vcc, 0, v[224:225]
	v_cmp_eq_f64_e64 s[0:1], 0, v[226:227]
	s_and_b64 s[0:1], vcc, s[0:1]
	s_and_saveexec_b64 s[16:17], s[0:1]
	s_xor_b64 s[0:1], exec, s[16:17]
; %bb.1053:
	v_cmp_ne_u32_e32 vcc, 0, v238
	s_nop 1
	v_cndmask_b32_e32 v238, 51, v238, vcc
; %bb.1054:
	s_andn2_saveexec_b64 s[0:1], s[0:1]
	s_cbranch_execz .LBB110_1060
; %bb.1055:
	v_cmp_ngt_f64_e64 s[16:17], |v[224:225]|, |v[226:227]|
	s_and_saveexec_b64 s[18:19], s[16:17]
	s_xor_b64 s[16:17], exec, s[18:19]
	s_cbranch_execz .LBB110_1057
; %bb.1056:
	v_div_scale_f64 v[144:145], s[18:19], v[226:227], v[226:227], v[224:225]
	v_rcp_f64_e32 v[146:147], v[144:145]
	v_div_scale_f64 v[152:153], vcc, v[224:225], v[226:227], v[224:225]
	v_fma_f64 v[154:155], -v[144:145], v[146:147], 1.0
	v_fmac_f64_e32 v[146:147], v[146:147], v[154:155]
	v_fma_f64 v[154:155], -v[144:145], v[146:147], 1.0
	v_fmac_f64_e32 v[146:147], v[146:147], v[154:155]
	v_mul_f64 v[154:155], v[152:153], v[146:147]
	v_fma_f64 v[144:145], -v[144:145], v[154:155], v[152:153]
	v_div_fmas_f64 v[144:145], v[144:145], v[146:147], v[154:155]
	v_div_fixup_f64 v[144:145], v[144:145], v[226:227], v[224:225]
	v_fmac_f64_e32 v[226:227], v[224:225], v[144:145]
	v_div_scale_f64 v[146:147], s[18:19], v[226:227], v[226:227], 1.0
	v_rcp_f64_e32 v[152:153], v[146:147]
	s_nop 0
	v_fma_f64 v[154:155], -v[146:147], v[152:153], 1.0
	v_fmac_f64_e32 v[152:153], v[152:153], v[154:155]
	v_fma_f64 v[154:155], -v[146:147], v[152:153], 1.0
	v_fmac_f64_e32 v[152:153], v[152:153], v[154:155]
	v_div_scale_f64 v[154:155], vcc, 1.0, v[226:227], 1.0
	v_mul_f64 v[224:225], v[154:155], v[152:153]
	v_fma_f64 v[146:147], -v[146:147], v[224:225], v[154:155]
	s_nop 1
	v_div_fmas_f64 v[146:147], v[146:147], v[152:153], v[224:225]
	v_div_fixup_f64 v[226:227], v[146:147], v[226:227], 1.0
	v_mul_f64 v[224:225], v[144:145], v[226:227]
	v_xor_b32_e32 v227, 0x80000000, v227
.LBB110_1057:
	s_andn2_saveexec_b64 s[16:17], s[16:17]
	s_cbranch_execz .LBB110_1059
; %bb.1058:
	v_div_scale_f64 v[144:145], s[18:19], v[224:225], v[224:225], v[226:227]
	v_rcp_f64_e32 v[146:147], v[144:145]
	v_div_scale_f64 v[152:153], vcc, v[226:227], v[224:225], v[226:227]
	v_fma_f64 v[154:155], -v[144:145], v[146:147], 1.0
	v_fmac_f64_e32 v[146:147], v[146:147], v[154:155]
	v_fma_f64 v[154:155], -v[144:145], v[146:147], 1.0
	v_fmac_f64_e32 v[146:147], v[146:147], v[154:155]
	v_mul_f64 v[154:155], v[152:153], v[146:147]
	v_fma_f64 v[144:145], -v[144:145], v[154:155], v[152:153]
	v_div_fmas_f64 v[144:145], v[144:145], v[146:147], v[154:155]
	v_div_fixup_f64 v[144:145], v[144:145], v[224:225], v[226:227]
	v_fmac_f64_e32 v[224:225], v[226:227], v[144:145]
	v_div_scale_f64 v[146:147], s[18:19], v[224:225], v[224:225], 1.0
	v_rcp_f64_e32 v[152:153], v[146:147]
	s_nop 0
	v_fma_f64 v[154:155], -v[146:147], v[152:153], 1.0
	v_fmac_f64_e32 v[152:153], v[152:153], v[154:155]
	v_fma_f64 v[154:155], -v[146:147], v[152:153], 1.0
	v_fmac_f64_e32 v[152:153], v[152:153], v[154:155]
	v_div_scale_f64 v[154:155], vcc, 1.0, v[224:225], 1.0
	v_mul_f64 v[226:227], v[154:155], v[152:153]
	v_fma_f64 v[146:147], -v[146:147], v[226:227], v[154:155]
	s_nop 1
	v_div_fmas_f64 v[146:147], v[146:147], v[152:153], v[226:227]
	v_div_fixup_f64 v[224:225], v[146:147], v[224:225], 1.0
	v_mul_f64 v[226:227], v[144:145], -v[224:225]
.LBB110_1059:
	s_or_b64 exec, exec, s[16:17]
.LBB110_1060:
	s_or_b64 exec, exec, s[0:1]
	v_cmp_ne_u32_e32 vcc, v237, v234
	s_and_saveexec_b64 s[0:1], vcc
	s_xor_b64 s[0:1], exec, s[0:1]
	s_cbranch_execz .LBB110_1066
; %bb.1061:
	v_cmp_eq_u32_e32 vcc, 50, v237
	s_and_saveexec_b64 s[16:17], vcc
	s_cbranch_execz .LBB110_1065
; %bb.1062:
	v_cmp_ne_u32_e32 vcc, 50, v234
	s_xor_b64 s[18:19], s[14:15], -1
	s_and_b64 s[22:23], s[18:19], vcc
	s_and_saveexec_b64 s[18:19], s[22:23]
	s_cbranch_execz .LBB110_1064
; %bb.1063:
	v_ashrrev_i32_e32 v235, 31, v234
	v_lshl_add_u64 v[144:145], v[234:235], 2, v[212:213]
	global_load_dword v146, v[144:145], off
	global_load_dword v147, v[212:213], off offset:200
	s_waitcnt vmcnt(1)
	global_store_dword v[212:213], v146, off offset:200
	s_waitcnt vmcnt(1)
	global_store_dword v[144:145], v147, off
.LBB110_1064:
	s_or_b64 exec, exec, s[18:19]
	v_mov_b32_e32 v237, v234
	v_mov_b32_e32 v218, v234
.LBB110_1065:
	s_or_b64 exec, exec, s[16:17]
.LBB110_1066:
	s_andn2_saveexec_b64 s[0:1], s[0:1]
	s_cbranch_execz .LBB110_1068
; %bb.1067:
	v_mov_b32_e32 v237, 50
	ds_write2_b64 v236, v[12:13], v[14:15] offset0:102 offset1:103
	ds_write2_b64 v236, v[8:9], v[10:11] offset0:104 offset1:105
	;; [unrolled: 1-line block ×5, first 2 shown]
.LBB110_1068:
	s_or_b64 exec, exec, s[0:1]
	v_cmp_lt_i32_e32 vcc, 50, v237
	s_waitcnt lgkmcnt(0)
	s_barrier
	s_and_saveexec_b64 s[0:1], vcc
	s_cbranch_execz .LBB110_1070
; %bb.1069:
	ds_read2_b64 v[240:243], v236 offset0:102 offset1:103
	v_mul_f64 v[144:145], v[224:225], v[18:19]
	v_mul_f64 v[18:19], v[226:227], v[18:19]
	v_fmac_f64_e32 v[144:145], v[226:227], v[16:17]
	v_fma_f64 v[16:17], v[224:225], v[16:17], -v[18:19]
	ds_read2_b64 v[224:227], v236 offset0:104 offset1:105
	s_waitcnt lgkmcnt(1)
	v_mul_f64 v[18:19], v[242:243], v[144:145]
	v_mul_f64 v[146:147], v[240:241], v[144:145]
	v_fma_f64 v[18:19], v[240:241], v[16:17], -v[18:19]
	v_fmac_f64_e32 v[146:147], v[242:243], v[16:17]
	ds_read2_b64 v[240:243], v236 offset0:106 offset1:107
	v_add_f64 v[12:13], v[12:13], -v[18:19]
	v_add_f64 v[14:15], v[14:15], -v[146:147]
	s_waitcnt lgkmcnt(1)
	v_mul_f64 v[18:19], v[226:227], v[144:145]
	v_mul_f64 v[146:147], v[224:225], v[144:145]
	v_fma_f64 v[18:19], v[224:225], v[16:17], -v[18:19]
	v_fmac_f64_e32 v[146:147], v[226:227], v[16:17]
	ds_read2_b64 v[224:227], v236 offset0:108 offset1:109
	v_add_f64 v[8:9], v[8:9], -v[18:19]
	v_add_f64 v[10:11], v[10:11], -v[146:147]
	;; [unrolled: 8-line block ×3, first 2 shown]
	s_waitcnt lgkmcnt(1)
	v_mul_f64 v[18:19], v[226:227], v[144:145]
	v_mul_f64 v[146:147], v[224:225], v[144:145]
	v_fma_f64 v[18:19], v[224:225], v[16:17], -v[18:19]
	v_fmac_f64_e32 v[146:147], v[226:227], v[16:17]
	v_add_f64 v[0:1], v[0:1], -v[18:19]
	v_add_f64 v[2:3], v[2:3], -v[146:147]
	s_waitcnt lgkmcnt(0)
	v_mul_f64 v[18:19], v[242:243], v[144:145]
	v_mul_f64 v[146:147], v[240:241], v[144:145]
	v_fma_f64 v[18:19], v[240:241], v[16:17], -v[18:19]
	v_fmac_f64_e32 v[146:147], v[242:243], v[16:17]
	v_add_f64 v[220:221], v[220:221], -v[18:19]
	v_add_f64 v[222:223], v[222:223], -v[146:147]
	v_mov_b64_e32 v[18:19], v[144:145]
.LBB110_1070:
	s_or_b64 exec, exec, s[0:1]
	v_lshl_add_u32 v144, v237, 4, v236
	s_barrier
	ds_write2_b64 v144, v[12:13], v[14:15] offset1:1
	s_waitcnt lgkmcnt(0)
	s_barrier
	ds_read2_b64 v[224:227], v236 offset0:102 offset1:103
	s_cmp_lt_i32 s20, 53
	v_mov_b32_e32 v234, 51
	s_cbranch_scc1 .LBB110_1073
; %bb.1071:
	v_add_u32_e32 v235, 0x340, v236
	s_mov_b32 s16, 52
	v_mov_b32_e32 v234, 51
.LBB110_1072:                           ; =>This Inner Loop Header: Depth=1
	ds_read2_b64 v[240:243], v235 offset1:1
	s_waitcnt lgkmcnt(1)
	v_xor_b32_e32 v145, 0x80000000, v225
	v_xor_b32_e32 v147, 0x80000000, v227
	v_cmp_gt_f64_e32 vcc, 0, v[226:227]
	v_cmp_gt_f64_e64 s[0:1], 0, v[224:225]
	v_mov_b32_e32 v144, v224
	v_mov_b32_e32 v146, v226
	v_cndmask_b32_e64 v145, v225, v145, s[0:1]
	v_cndmask_b32_e32 v147, v227, v147, vcc
	v_add_f64 v[144:145], v[144:145], v[146:147]
	s_waitcnt lgkmcnt(0)
	v_xor_b32_e32 v147, 0x80000000, v241
	v_xor_b32_e32 v153, 0x80000000, v243
	v_cmp_gt_f64_e32 vcc, 0, v[242:243]
	v_cmp_gt_f64_e64 s[0:1], 0, v[240:241]
	v_mov_b32_e32 v146, v240
	v_mov_b32_e32 v152, v242
	v_cndmask_b32_e64 v147, v241, v147, s[0:1]
	v_cndmask_b32_e32 v153, v243, v153, vcc
	v_add_f64 v[146:147], v[146:147], v[152:153]
	v_mov_b32_e32 v154, s16
	s_add_i32 s16, s16, 1
	v_cmp_lt_f64_e32 vcc, v[144:145], v[146:147]
	v_add_u32_e32 v235, 16, v235
	s_cmp_lg_u32 s20, s16
	v_cndmask_b32_e32 v225, v225, v241, vcc
	v_cndmask_b32_e32 v224, v224, v240, vcc
	;; [unrolled: 1-line block ×5, first 2 shown]
	s_cbranch_scc1 .LBB110_1072
.LBB110_1073:
	s_waitcnt lgkmcnt(0)
	v_cmp_eq_f64_e32 vcc, 0, v[224:225]
	v_cmp_eq_f64_e64 s[0:1], 0, v[226:227]
	s_and_b64 s[0:1], vcc, s[0:1]
	s_and_saveexec_b64 s[16:17], s[0:1]
	s_xor_b64 s[0:1], exec, s[16:17]
; %bb.1074:
	v_cmp_ne_u32_e32 vcc, 0, v238
	s_nop 1
	v_cndmask_b32_e32 v238, 52, v238, vcc
; %bb.1075:
	s_andn2_saveexec_b64 s[0:1], s[0:1]
	s_cbranch_execz .LBB110_1081
; %bb.1076:
	v_cmp_ngt_f64_e64 s[16:17], |v[224:225]|, |v[226:227]|
	s_and_saveexec_b64 s[18:19], s[16:17]
	s_xor_b64 s[16:17], exec, s[18:19]
	s_cbranch_execz .LBB110_1078
; %bb.1077:
	v_div_scale_f64 v[144:145], s[18:19], v[226:227], v[226:227], v[224:225]
	v_rcp_f64_e32 v[146:147], v[144:145]
	v_div_scale_f64 v[152:153], vcc, v[224:225], v[226:227], v[224:225]
	v_fma_f64 v[154:155], -v[144:145], v[146:147], 1.0
	v_fmac_f64_e32 v[146:147], v[146:147], v[154:155]
	v_fma_f64 v[154:155], -v[144:145], v[146:147], 1.0
	v_fmac_f64_e32 v[146:147], v[146:147], v[154:155]
	v_mul_f64 v[154:155], v[152:153], v[146:147]
	v_fma_f64 v[144:145], -v[144:145], v[154:155], v[152:153]
	v_div_fmas_f64 v[144:145], v[144:145], v[146:147], v[154:155]
	v_div_fixup_f64 v[144:145], v[144:145], v[226:227], v[224:225]
	v_fmac_f64_e32 v[226:227], v[224:225], v[144:145]
	v_div_scale_f64 v[146:147], s[18:19], v[226:227], v[226:227], 1.0
	v_rcp_f64_e32 v[152:153], v[146:147]
	s_nop 0
	v_fma_f64 v[154:155], -v[146:147], v[152:153], 1.0
	v_fmac_f64_e32 v[152:153], v[152:153], v[154:155]
	v_fma_f64 v[154:155], -v[146:147], v[152:153], 1.0
	v_fmac_f64_e32 v[152:153], v[152:153], v[154:155]
	v_div_scale_f64 v[154:155], vcc, 1.0, v[226:227], 1.0
	v_mul_f64 v[224:225], v[154:155], v[152:153]
	v_fma_f64 v[146:147], -v[146:147], v[224:225], v[154:155]
	s_nop 1
	v_div_fmas_f64 v[146:147], v[146:147], v[152:153], v[224:225]
	v_div_fixup_f64 v[226:227], v[146:147], v[226:227], 1.0
	v_mul_f64 v[224:225], v[144:145], v[226:227]
	v_xor_b32_e32 v227, 0x80000000, v227
.LBB110_1078:
	s_andn2_saveexec_b64 s[16:17], s[16:17]
	s_cbranch_execz .LBB110_1080
; %bb.1079:
	v_div_scale_f64 v[144:145], s[18:19], v[224:225], v[224:225], v[226:227]
	v_rcp_f64_e32 v[146:147], v[144:145]
	v_div_scale_f64 v[152:153], vcc, v[226:227], v[224:225], v[226:227]
	v_fma_f64 v[154:155], -v[144:145], v[146:147], 1.0
	v_fmac_f64_e32 v[146:147], v[146:147], v[154:155]
	v_fma_f64 v[154:155], -v[144:145], v[146:147], 1.0
	v_fmac_f64_e32 v[146:147], v[146:147], v[154:155]
	v_mul_f64 v[154:155], v[152:153], v[146:147]
	v_fma_f64 v[144:145], -v[144:145], v[154:155], v[152:153]
	v_div_fmas_f64 v[144:145], v[144:145], v[146:147], v[154:155]
	v_div_fixup_f64 v[144:145], v[144:145], v[224:225], v[226:227]
	v_fmac_f64_e32 v[224:225], v[226:227], v[144:145]
	v_div_scale_f64 v[146:147], s[18:19], v[224:225], v[224:225], 1.0
	v_rcp_f64_e32 v[152:153], v[146:147]
	s_nop 0
	v_fma_f64 v[154:155], -v[146:147], v[152:153], 1.0
	v_fmac_f64_e32 v[152:153], v[152:153], v[154:155]
	v_fma_f64 v[154:155], -v[146:147], v[152:153], 1.0
	v_fmac_f64_e32 v[152:153], v[152:153], v[154:155]
	v_div_scale_f64 v[154:155], vcc, 1.0, v[224:225], 1.0
	v_mul_f64 v[226:227], v[154:155], v[152:153]
	v_fma_f64 v[146:147], -v[146:147], v[226:227], v[154:155]
	s_nop 1
	v_div_fmas_f64 v[146:147], v[146:147], v[152:153], v[226:227]
	v_div_fixup_f64 v[224:225], v[146:147], v[224:225], 1.0
	v_mul_f64 v[226:227], v[144:145], -v[224:225]
.LBB110_1080:
	s_or_b64 exec, exec, s[16:17]
.LBB110_1081:
	s_or_b64 exec, exec, s[0:1]
	v_cmp_ne_u32_e32 vcc, v237, v234
	s_and_saveexec_b64 s[0:1], vcc
	s_xor_b64 s[0:1], exec, s[0:1]
	s_cbranch_execz .LBB110_1087
; %bb.1082:
	v_cmp_eq_u32_e32 vcc, 51, v237
	s_and_saveexec_b64 s[16:17], vcc
	s_cbranch_execz .LBB110_1086
; %bb.1083:
	v_cmp_ne_u32_e32 vcc, 51, v234
	s_xor_b64 s[18:19], s[14:15], -1
	s_and_b64 s[22:23], s[18:19], vcc
	s_and_saveexec_b64 s[18:19], s[22:23]
	s_cbranch_execz .LBB110_1085
; %bb.1084:
	v_ashrrev_i32_e32 v235, 31, v234
	v_lshl_add_u64 v[144:145], v[234:235], 2, v[212:213]
	global_load_dword v146, v[144:145], off
	global_load_dword v147, v[212:213], off offset:204
	s_waitcnt vmcnt(1)
	global_store_dword v[212:213], v146, off offset:204
	s_waitcnt vmcnt(1)
	global_store_dword v[144:145], v147, off
.LBB110_1085:
	s_or_b64 exec, exec, s[18:19]
	v_mov_b32_e32 v237, v234
	v_mov_b32_e32 v218, v234
.LBB110_1086:
	s_or_b64 exec, exec, s[16:17]
.LBB110_1087:
	s_andn2_saveexec_b64 s[0:1], s[0:1]
	s_cbranch_execz .LBB110_1089
; %bb.1088:
	v_mov_b32_e32 v237, 51
	ds_write2_b64 v236, v[8:9], v[10:11] offset0:104 offset1:105
	ds_write2_b64 v236, v[4:5], v[6:7] offset0:106 offset1:107
	;; [unrolled: 1-line block ×4, first 2 shown]
.LBB110_1089:
	s_or_b64 exec, exec, s[0:1]
	v_cmp_lt_i32_e32 vcc, 51, v237
	s_waitcnt lgkmcnt(0)
	s_barrier
	s_and_saveexec_b64 s[0:1], vcc
	s_cbranch_execz .LBB110_1091
; %bb.1090:
	ds_read2_b64 v[240:243], v236 offset0:104 offset1:105
	v_mul_f64 v[144:145], v[224:225], v[14:15]
	v_mul_f64 v[14:15], v[226:227], v[14:15]
	v_fmac_f64_e32 v[144:145], v[226:227], v[12:13]
	v_fma_f64 v[12:13], v[224:225], v[12:13], -v[14:15]
	ds_read2_b64 v[224:227], v236 offset0:106 offset1:107
	s_waitcnt lgkmcnt(1)
	v_mul_f64 v[14:15], v[242:243], v[144:145]
	v_mul_f64 v[146:147], v[240:241], v[144:145]
	v_fma_f64 v[14:15], v[240:241], v[12:13], -v[14:15]
	v_fmac_f64_e32 v[146:147], v[242:243], v[12:13]
	ds_read2_b64 v[240:243], v236 offset0:108 offset1:109
	v_add_f64 v[8:9], v[8:9], -v[14:15]
	v_add_f64 v[10:11], v[10:11], -v[146:147]
	s_waitcnt lgkmcnt(1)
	v_mul_f64 v[14:15], v[226:227], v[144:145]
	v_mul_f64 v[146:147], v[224:225], v[144:145]
	v_fma_f64 v[14:15], v[224:225], v[12:13], -v[14:15]
	v_fmac_f64_e32 v[146:147], v[226:227], v[12:13]
	ds_read2_b64 v[224:227], v236 offset0:110 offset1:111
	v_add_f64 v[4:5], v[4:5], -v[14:15]
	v_add_f64 v[6:7], v[6:7], -v[146:147]
	s_waitcnt lgkmcnt(1)
	v_mul_f64 v[14:15], v[242:243], v[144:145]
	v_mul_f64 v[146:147], v[240:241], v[144:145]
	v_fma_f64 v[14:15], v[240:241], v[12:13], -v[14:15]
	v_fmac_f64_e32 v[146:147], v[242:243], v[12:13]
	v_add_f64 v[0:1], v[0:1], -v[14:15]
	v_add_f64 v[2:3], v[2:3], -v[146:147]
	s_waitcnt lgkmcnt(0)
	v_mul_f64 v[14:15], v[226:227], v[144:145]
	v_mul_f64 v[146:147], v[224:225], v[144:145]
	v_fma_f64 v[14:15], v[224:225], v[12:13], -v[14:15]
	v_fmac_f64_e32 v[146:147], v[226:227], v[12:13]
	v_add_f64 v[220:221], v[220:221], -v[14:15]
	v_add_f64 v[222:223], v[222:223], -v[146:147]
	v_mov_b64_e32 v[14:15], v[144:145]
.LBB110_1091:
	s_or_b64 exec, exec, s[0:1]
	v_lshl_add_u32 v144, v237, 4, v236
	s_barrier
	ds_write2_b64 v144, v[8:9], v[10:11] offset1:1
	s_waitcnt lgkmcnt(0)
	s_barrier
	ds_read2_b64 v[224:227], v236 offset0:104 offset1:105
	s_cmp_lt_i32 s20, 54
	v_mov_b32_e32 v234, 52
	s_cbranch_scc1 .LBB110_1094
; %bb.1092:
	v_add_u32_e32 v235, 0x350, v236
	s_mov_b32 s16, 53
	v_mov_b32_e32 v234, 52
.LBB110_1093:                           ; =>This Inner Loop Header: Depth=1
	ds_read2_b64 v[240:243], v235 offset1:1
	s_waitcnt lgkmcnt(1)
	v_xor_b32_e32 v145, 0x80000000, v225
	v_xor_b32_e32 v147, 0x80000000, v227
	v_cmp_gt_f64_e32 vcc, 0, v[226:227]
	v_cmp_gt_f64_e64 s[0:1], 0, v[224:225]
	v_mov_b32_e32 v144, v224
	v_mov_b32_e32 v146, v226
	v_cndmask_b32_e64 v145, v225, v145, s[0:1]
	v_cndmask_b32_e32 v147, v227, v147, vcc
	v_add_f64 v[144:145], v[144:145], v[146:147]
	s_waitcnt lgkmcnt(0)
	v_xor_b32_e32 v147, 0x80000000, v241
	v_xor_b32_e32 v153, 0x80000000, v243
	v_cmp_gt_f64_e32 vcc, 0, v[242:243]
	v_cmp_gt_f64_e64 s[0:1], 0, v[240:241]
	v_mov_b32_e32 v146, v240
	v_mov_b32_e32 v152, v242
	v_cndmask_b32_e64 v147, v241, v147, s[0:1]
	v_cndmask_b32_e32 v153, v243, v153, vcc
	v_add_f64 v[146:147], v[146:147], v[152:153]
	v_mov_b32_e32 v154, s16
	s_add_i32 s16, s16, 1
	v_cmp_lt_f64_e32 vcc, v[144:145], v[146:147]
	v_add_u32_e32 v235, 16, v235
	s_cmp_lg_u32 s20, s16
	v_cndmask_b32_e32 v225, v225, v241, vcc
	v_cndmask_b32_e32 v224, v224, v240, vcc
	;; [unrolled: 1-line block ×5, first 2 shown]
	s_cbranch_scc1 .LBB110_1093
.LBB110_1094:
	s_waitcnt lgkmcnt(0)
	v_cmp_eq_f64_e32 vcc, 0, v[224:225]
	v_cmp_eq_f64_e64 s[0:1], 0, v[226:227]
	s_and_b64 s[0:1], vcc, s[0:1]
	s_and_saveexec_b64 s[16:17], s[0:1]
	s_xor_b64 s[0:1], exec, s[16:17]
; %bb.1095:
	v_cmp_ne_u32_e32 vcc, 0, v238
	s_nop 1
	v_cndmask_b32_e32 v238, 53, v238, vcc
; %bb.1096:
	s_andn2_saveexec_b64 s[0:1], s[0:1]
	s_cbranch_execz .LBB110_1102
; %bb.1097:
	v_cmp_ngt_f64_e64 s[16:17], |v[224:225]|, |v[226:227]|
	s_and_saveexec_b64 s[18:19], s[16:17]
	s_xor_b64 s[16:17], exec, s[18:19]
	s_cbranch_execz .LBB110_1099
; %bb.1098:
	v_div_scale_f64 v[144:145], s[18:19], v[226:227], v[226:227], v[224:225]
	v_rcp_f64_e32 v[146:147], v[144:145]
	v_div_scale_f64 v[152:153], vcc, v[224:225], v[226:227], v[224:225]
	v_fma_f64 v[154:155], -v[144:145], v[146:147], 1.0
	v_fmac_f64_e32 v[146:147], v[146:147], v[154:155]
	v_fma_f64 v[154:155], -v[144:145], v[146:147], 1.0
	v_fmac_f64_e32 v[146:147], v[146:147], v[154:155]
	v_mul_f64 v[154:155], v[152:153], v[146:147]
	v_fma_f64 v[144:145], -v[144:145], v[154:155], v[152:153]
	v_div_fmas_f64 v[144:145], v[144:145], v[146:147], v[154:155]
	v_div_fixup_f64 v[144:145], v[144:145], v[226:227], v[224:225]
	v_fmac_f64_e32 v[226:227], v[224:225], v[144:145]
	v_div_scale_f64 v[146:147], s[18:19], v[226:227], v[226:227], 1.0
	v_rcp_f64_e32 v[152:153], v[146:147]
	s_nop 0
	v_fma_f64 v[154:155], -v[146:147], v[152:153], 1.0
	v_fmac_f64_e32 v[152:153], v[152:153], v[154:155]
	v_fma_f64 v[154:155], -v[146:147], v[152:153], 1.0
	v_fmac_f64_e32 v[152:153], v[152:153], v[154:155]
	v_div_scale_f64 v[154:155], vcc, 1.0, v[226:227], 1.0
	v_mul_f64 v[224:225], v[154:155], v[152:153]
	v_fma_f64 v[146:147], -v[146:147], v[224:225], v[154:155]
	s_nop 1
	v_div_fmas_f64 v[146:147], v[146:147], v[152:153], v[224:225]
	v_div_fixup_f64 v[226:227], v[146:147], v[226:227], 1.0
	v_mul_f64 v[224:225], v[144:145], v[226:227]
	v_xor_b32_e32 v227, 0x80000000, v227
.LBB110_1099:
	s_andn2_saveexec_b64 s[16:17], s[16:17]
	s_cbranch_execz .LBB110_1101
; %bb.1100:
	v_div_scale_f64 v[144:145], s[18:19], v[224:225], v[224:225], v[226:227]
	v_rcp_f64_e32 v[146:147], v[144:145]
	v_div_scale_f64 v[152:153], vcc, v[226:227], v[224:225], v[226:227]
	v_fma_f64 v[154:155], -v[144:145], v[146:147], 1.0
	v_fmac_f64_e32 v[146:147], v[146:147], v[154:155]
	v_fma_f64 v[154:155], -v[144:145], v[146:147], 1.0
	v_fmac_f64_e32 v[146:147], v[146:147], v[154:155]
	v_mul_f64 v[154:155], v[152:153], v[146:147]
	v_fma_f64 v[144:145], -v[144:145], v[154:155], v[152:153]
	v_div_fmas_f64 v[144:145], v[144:145], v[146:147], v[154:155]
	v_div_fixup_f64 v[144:145], v[144:145], v[224:225], v[226:227]
	v_fmac_f64_e32 v[224:225], v[226:227], v[144:145]
	v_div_scale_f64 v[146:147], s[18:19], v[224:225], v[224:225], 1.0
	v_rcp_f64_e32 v[152:153], v[146:147]
	s_nop 0
	v_fma_f64 v[154:155], -v[146:147], v[152:153], 1.0
	v_fmac_f64_e32 v[152:153], v[152:153], v[154:155]
	v_fma_f64 v[154:155], -v[146:147], v[152:153], 1.0
	v_fmac_f64_e32 v[152:153], v[152:153], v[154:155]
	v_div_scale_f64 v[154:155], vcc, 1.0, v[224:225], 1.0
	v_mul_f64 v[226:227], v[154:155], v[152:153]
	v_fma_f64 v[146:147], -v[146:147], v[226:227], v[154:155]
	s_nop 1
	v_div_fmas_f64 v[146:147], v[146:147], v[152:153], v[226:227]
	v_div_fixup_f64 v[224:225], v[146:147], v[224:225], 1.0
	v_mul_f64 v[226:227], v[144:145], -v[224:225]
.LBB110_1101:
	s_or_b64 exec, exec, s[16:17]
.LBB110_1102:
	s_or_b64 exec, exec, s[0:1]
	v_cmp_ne_u32_e32 vcc, v237, v234
	s_and_saveexec_b64 s[0:1], vcc
	s_xor_b64 s[0:1], exec, s[0:1]
	s_cbranch_execz .LBB110_1108
; %bb.1103:
	v_cmp_eq_u32_e32 vcc, 52, v237
	s_and_saveexec_b64 s[16:17], vcc
	s_cbranch_execz .LBB110_1107
; %bb.1104:
	v_cmp_ne_u32_e32 vcc, 52, v234
	s_xor_b64 s[18:19], s[14:15], -1
	s_and_b64 s[22:23], s[18:19], vcc
	s_and_saveexec_b64 s[18:19], s[22:23]
	s_cbranch_execz .LBB110_1106
; %bb.1105:
	v_ashrrev_i32_e32 v235, 31, v234
	v_lshl_add_u64 v[144:145], v[234:235], 2, v[212:213]
	global_load_dword v146, v[144:145], off
	global_load_dword v147, v[212:213], off offset:208
	s_waitcnt vmcnt(1)
	global_store_dword v[212:213], v146, off offset:208
	s_waitcnt vmcnt(1)
	global_store_dword v[144:145], v147, off
.LBB110_1106:
	s_or_b64 exec, exec, s[18:19]
	v_mov_b32_e32 v237, v234
	v_mov_b32_e32 v218, v234
.LBB110_1107:
	s_or_b64 exec, exec, s[16:17]
.LBB110_1108:
	s_andn2_saveexec_b64 s[0:1], s[0:1]
	s_cbranch_execz .LBB110_1110
; %bb.1109:
	v_mov_b32_e32 v237, 52
	ds_write2_b64 v236, v[4:5], v[6:7] offset0:106 offset1:107
	ds_write2_b64 v236, v[0:1], v[2:3] offset0:108 offset1:109
	;; [unrolled: 1-line block ×3, first 2 shown]
.LBB110_1110:
	s_or_b64 exec, exec, s[0:1]
	v_cmp_lt_i32_e32 vcc, 52, v237
	s_waitcnt lgkmcnt(0)
	s_barrier
	s_and_saveexec_b64 s[0:1], vcc
	s_cbranch_execz .LBB110_1112
; %bb.1111:
	ds_read2_b64 v[240:243], v236 offset0:106 offset1:107
	v_mul_f64 v[144:145], v[224:225], v[10:11]
	v_mul_f64 v[10:11], v[226:227], v[10:11]
	v_fmac_f64_e32 v[144:145], v[226:227], v[8:9]
	v_fma_f64 v[8:9], v[224:225], v[8:9], -v[10:11]
	ds_read2_b64 v[224:227], v236 offset0:108 offset1:109
	s_waitcnt lgkmcnt(1)
	v_mul_f64 v[10:11], v[242:243], v[144:145]
	v_mul_f64 v[146:147], v[240:241], v[144:145]
	v_fma_f64 v[10:11], v[240:241], v[8:9], -v[10:11]
	v_fmac_f64_e32 v[146:147], v[242:243], v[8:9]
	ds_read2_b64 v[240:243], v236 offset0:110 offset1:111
	v_add_f64 v[4:5], v[4:5], -v[10:11]
	v_add_f64 v[6:7], v[6:7], -v[146:147]
	s_waitcnt lgkmcnt(1)
	v_mul_f64 v[10:11], v[226:227], v[144:145]
	v_mul_f64 v[146:147], v[224:225], v[144:145]
	v_fma_f64 v[10:11], v[224:225], v[8:9], -v[10:11]
	v_fmac_f64_e32 v[146:147], v[226:227], v[8:9]
	v_add_f64 v[0:1], v[0:1], -v[10:11]
	v_add_f64 v[2:3], v[2:3], -v[146:147]
	s_waitcnt lgkmcnt(0)
	v_mul_f64 v[10:11], v[242:243], v[144:145]
	v_mul_f64 v[146:147], v[240:241], v[144:145]
	v_fma_f64 v[10:11], v[240:241], v[8:9], -v[10:11]
	v_fmac_f64_e32 v[146:147], v[242:243], v[8:9]
	v_add_f64 v[220:221], v[220:221], -v[10:11]
	v_add_f64 v[222:223], v[222:223], -v[146:147]
	v_mov_b64_e32 v[10:11], v[144:145]
.LBB110_1112:
	s_or_b64 exec, exec, s[0:1]
	v_lshl_add_u32 v144, v237, 4, v236
	s_barrier
	ds_write2_b64 v144, v[4:5], v[6:7] offset1:1
	s_waitcnt lgkmcnt(0)
	s_barrier
	ds_read2_b64 v[224:227], v236 offset0:106 offset1:107
	s_cmp_lt_i32 s20, 55
	v_mov_b32_e32 v234, 53
	s_cbranch_scc1 .LBB110_1115
; %bb.1113:
	v_add_u32_e32 v235, 0x360, v236
	s_mov_b32 s16, 54
	v_mov_b32_e32 v234, 53
.LBB110_1114:                           ; =>This Inner Loop Header: Depth=1
	ds_read2_b64 v[240:243], v235 offset1:1
	s_waitcnt lgkmcnt(1)
	v_xor_b32_e32 v145, 0x80000000, v225
	v_xor_b32_e32 v147, 0x80000000, v227
	v_cmp_gt_f64_e32 vcc, 0, v[226:227]
	v_cmp_gt_f64_e64 s[0:1], 0, v[224:225]
	v_mov_b32_e32 v144, v224
	v_mov_b32_e32 v146, v226
	v_cndmask_b32_e64 v145, v225, v145, s[0:1]
	v_cndmask_b32_e32 v147, v227, v147, vcc
	v_add_f64 v[144:145], v[144:145], v[146:147]
	s_waitcnt lgkmcnt(0)
	v_xor_b32_e32 v147, 0x80000000, v241
	v_xor_b32_e32 v153, 0x80000000, v243
	v_cmp_gt_f64_e32 vcc, 0, v[242:243]
	v_cmp_gt_f64_e64 s[0:1], 0, v[240:241]
	v_mov_b32_e32 v146, v240
	v_mov_b32_e32 v152, v242
	v_cndmask_b32_e64 v147, v241, v147, s[0:1]
	v_cndmask_b32_e32 v153, v243, v153, vcc
	v_add_f64 v[146:147], v[146:147], v[152:153]
	v_mov_b32_e32 v154, s16
	s_add_i32 s16, s16, 1
	v_cmp_lt_f64_e32 vcc, v[144:145], v[146:147]
	v_add_u32_e32 v235, 16, v235
	s_cmp_lg_u32 s20, s16
	v_cndmask_b32_e32 v225, v225, v241, vcc
	v_cndmask_b32_e32 v224, v224, v240, vcc
	;; [unrolled: 1-line block ×5, first 2 shown]
	s_cbranch_scc1 .LBB110_1114
.LBB110_1115:
	s_waitcnt lgkmcnt(0)
	v_cmp_eq_f64_e32 vcc, 0, v[224:225]
	v_cmp_eq_f64_e64 s[0:1], 0, v[226:227]
	s_and_b64 s[0:1], vcc, s[0:1]
	s_and_saveexec_b64 s[16:17], s[0:1]
	s_xor_b64 s[0:1], exec, s[16:17]
; %bb.1116:
	v_cmp_ne_u32_e32 vcc, 0, v238
	s_nop 1
	v_cndmask_b32_e32 v238, 54, v238, vcc
; %bb.1117:
	s_andn2_saveexec_b64 s[0:1], s[0:1]
	s_cbranch_execz .LBB110_1123
; %bb.1118:
	v_cmp_ngt_f64_e64 s[16:17], |v[224:225]|, |v[226:227]|
	s_and_saveexec_b64 s[18:19], s[16:17]
	s_xor_b64 s[16:17], exec, s[18:19]
	s_cbranch_execz .LBB110_1120
; %bb.1119:
	v_div_scale_f64 v[144:145], s[18:19], v[226:227], v[226:227], v[224:225]
	v_rcp_f64_e32 v[146:147], v[144:145]
	v_div_scale_f64 v[152:153], vcc, v[224:225], v[226:227], v[224:225]
	v_fma_f64 v[154:155], -v[144:145], v[146:147], 1.0
	v_fmac_f64_e32 v[146:147], v[146:147], v[154:155]
	v_fma_f64 v[154:155], -v[144:145], v[146:147], 1.0
	v_fmac_f64_e32 v[146:147], v[146:147], v[154:155]
	v_mul_f64 v[154:155], v[152:153], v[146:147]
	v_fma_f64 v[144:145], -v[144:145], v[154:155], v[152:153]
	v_div_fmas_f64 v[144:145], v[144:145], v[146:147], v[154:155]
	v_div_fixup_f64 v[144:145], v[144:145], v[226:227], v[224:225]
	v_fmac_f64_e32 v[226:227], v[224:225], v[144:145]
	v_div_scale_f64 v[146:147], s[18:19], v[226:227], v[226:227], 1.0
	v_rcp_f64_e32 v[152:153], v[146:147]
	s_nop 0
	v_fma_f64 v[154:155], -v[146:147], v[152:153], 1.0
	v_fmac_f64_e32 v[152:153], v[152:153], v[154:155]
	v_fma_f64 v[154:155], -v[146:147], v[152:153], 1.0
	v_fmac_f64_e32 v[152:153], v[152:153], v[154:155]
	v_div_scale_f64 v[154:155], vcc, 1.0, v[226:227], 1.0
	v_mul_f64 v[224:225], v[154:155], v[152:153]
	v_fma_f64 v[146:147], -v[146:147], v[224:225], v[154:155]
	s_nop 1
	v_div_fmas_f64 v[146:147], v[146:147], v[152:153], v[224:225]
	v_div_fixup_f64 v[226:227], v[146:147], v[226:227], 1.0
	v_mul_f64 v[224:225], v[144:145], v[226:227]
	v_xor_b32_e32 v227, 0x80000000, v227
.LBB110_1120:
	s_andn2_saveexec_b64 s[16:17], s[16:17]
	s_cbranch_execz .LBB110_1122
; %bb.1121:
	v_div_scale_f64 v[144:145], s[18:19], v[224:225], v[224:225], v[226:227]
	v_rcp_f64_e32 v[146:147], v[144:145]
	v_div_scale_f64 v[152:153], vcc, v[226:227], v[224:225], v[226:227]
	v_fma_f64 v[154:155], -v[144:145], v[146:147], 1.0
	v_fmac_f64_e32 v[146:147], v[146:147], v[154:155]
	v_fma_f64 v[154:155], -v[144:145], v[146:147], 1.0
	v_fmac_f64_e32 v[146:147], v[146:147], v[154:155]
	v_mul_f64 v[154:155], v[152:153], v[146:147]
	v_fma_f64 v[144:145], -v[144:145], v[154:155], v[152:153]
	v_div_fmas_f64 v[144:145], v[144:145], v[146:147], v[154:155]
	v_div_fixup_f64 v[144:145], v[144:145], v[224:225], v[226:227]
	v_fmac_f64_e32 v[224:225], v[226:227], v[144:145]
	v_div_scale_f64 v[146:147], s[18:19], v[224:225], v[224:225], 1.0
	v_rcp_f64_e32 v[152:153], v[146:147]
	s_nop 0
	v_fma_f64 v[154:155], -v[146:147], v[152:153], 1.0
	v_fmac_f64_e32 v[152:153], v[152:153], v[154:155]
	v_fma_f64 v[154:155], -v[146:147], v[152:153], 1.0
	v_fmac_f64_e32 v[152:153], v[152:153], v[154:155]
	v_div_scale_f64 v[154:155], vcc, 1.0, v[224:225], 1.0
	v_mul_f64 v[226:227], v[154:155], v[152:153]
	v_fma_f64 v[146:147], -v[146:147], v[226:227], v[154:155]
	s_nop 1
	v_div_fmas_f64 v[146:147], v[146:147], v[152:153], v[226:227]
	v_div_fixup_f64 v[224:225], v[146:147], v[224:225], 1.0
	v_mul_f64 v[226:227], v[144:145], -v[224:225]
.LBB110_1122:
	s_or_b64 exec, exec, s[16:17]
.LBB110_1123:
	s_or_b64 exec, exec, s[0:1]
	v_cmp_ne_u32_e32 vcc, v237, v234
	s_and_saveexec_b64 s[0:1], vcc
	s_xor_b64 s[0:1], exec, s[0:1]
	s_cbranch_execz .LBB110_1129
; %bb.1124:
	v_cmp_eq_u32_e32 vcc, 53, v237
	s_and_saveexec_b64 s[16:17], vcc
	s_cbranch_execz .LBB110_1128
; %bb.1125:
	v_cmp_ne_u32_e32 vcc, 53, v234
	s_xor_b64 s[18:19], s[14:15], -1
	s_and_b64 s[22:23], s[18:19], vcc
	s_and_saveexec_b64 s[18:19], s[22:23]
	s_cbranch_execz .LBB110_1127
; %bb.1126:
	v_ashrrev_i32_e32 v235, 31, v234
	v_lshl_add_u64 v[144:145], v[234:235], 2, v[212:213]
	global_load_dword v146, v[144:145], off
	global_load_dword v147, v[212:213], off offset:212
	s_waitcnt vmcnt(1)
	global_store_dword v[212:213], v146, off offset:212
	s_waitcnt vmcnt(1)
	global_store_dword v[144:145], v147, off
.LBB110_1127:
	s_or_b64 exec, exec, s[18:19]
	v_mov_b32_e32 v237, v234
	v_mov_b32_e32 v218, v234
.LBB110_1128:
	s_or_b64 exec, exec, s[16:17]
.LBB110_1129:
	s_andn2_saveexec_b64 s[0:1], s[0:1]
	s_cbranch_execz .LBB110_1131
; %bb.1130:
	v_mov_b32_e32 v237, 53
	ds_write2_b64 v236, v[0:1], v[2:3] offset0:108 offset1:109
	ds_write2_b64 v236, v[220:221], v[222:223] offset0:110 offset1:111
.LBB110_1131:
	s_or_b64 exec, exec, s[0:1]
	v_cmp_lt_i32_e32 vcc, 53, v237
	s_waitcnt lgkmcnt(0)
	s_barrier
	s_and_saveexec_b64 s[0:1], vcc
	s_cbranch_execz .LBB110_1133
; %bb.1132:
	ds_read2_b64 v[240:243], v236 offset0:108 offset1:109
	v_mul_f64 v[144:145], v[224:225], v[6:7]
	v_mul_f64 v[6:7], v[226:227], v[6:7]
	v_fmac_f64_e32 v[144:145], v[226:227], v[4:5]
	v_fma_f64 v[4:5], v[224:225], v[4:5], -v[6:7]
	ds_read2_b64 v[224:227], v236 offset0:110 offset1:111
	s_waitcnt lgkmcnt(1)
	v_mul_f64 v[6:7], v[242:243], v[144:145]
	v_mul_f64 v[146:147], v[240:241], v[144:145]
	v_fma_f64 v[6:7], v[240:241], v[4:5], -v[6:7]
	v_fmac_f64_e32 v[146:147], v[242:243], v[4:5]
	v_add_f64 v[0:1], v[0:1], -v[6:7]
	v_add_f64 v[2:3], v[2:3], -v[146:147]
	s_waitcnt lgkmcnt(0)
	v_mul_f64 v[6:7], v[226:227], v[144:145]
	v_mul_f64 v[146:147], v[224:225], v[144:145]
	v_fma_f64 v[6:7], v[224:225], v[4:5], -v[6:7]
	v_fmac_f64_e32 v[146:147], v[226:227], v[4:5]
	v_add_f64 v[220:221], v[220:221], -v[6:7]
	v_add_f64 v[222:223], v[222:223], -v[146:147]
	v_mov_b64_e32 v[6:7], v[144:145]
.LBB110_1133:
	s_or_b64 exec, exec, s[0:1]
	v_lshl_add_u32 v144, v237, 4, v236
	s_barrier
	ds_write2_b64 v144, v[0:1], v[2:3] offset1:1
	s_waitcnt lgkmcnt(0)
	s_barrier
	ds_read2_b64 v[224:227], v236 offset0:108 offset1:109
	s_cmp_lt_i32 s20, 56
	v_mov_b32_e32 v234, 54
	s_cbranch_scc1 .LBB110_1136
; %bb.1134:
	v_add_u32_e32 v235, 0x370, v236
	s_mov_b32 s16, 55
	v_mov_b32_e32 v234, 54
.LBB110_1135:                           ; =>This Inner Loop Header: Depth=1
	ds_read2_b64 v[240:243], v235 offset1:1
	s_waitcnt lgkmcnt(1)
	v_xor_b32_e32 v145, 0x80000000, v225
	v_xor_b32_e32 v147, 0x80000000, v227
	v_cmp_gt_f64_e32 vcc, 0, v[226:227]
	v_cmp_gt_f64_e64 s[0:1], 0, v[224:225]
	v_mov_b32_e32 v144, v224
	v_mov_b32_e32 v146, v226
	v_cndmask_b32_e64 v145, v225, v145, s[0:1]
	v_cndmask_b32_e32 v147, v227, v147, vcc
	v_add_f64 v[144:145], v[144:145], v[146:147]
	s_waitcnt lgkmcnt(0)
	v_xor_b32_e32 v147, 0x80000000, v241
	v_xor_b32_e32 v153, 0x80000000, v243
	v_cmp_gt_f64_e32 vcc, 0, v[242:243]
	v_cmp_gt_f64_e64 s[0:1], 0, v[240:241]
	v_mov_b32_e32 v146, v240
	v_mov_b32_e32 v152, v242
	v_cndmask_b32_e64 v147, v241, v147, s[0:1]
	v_cndmask_b32_e32 v153, v243, v153, vcc
	v_add_f64 v[146:147], v[146:147], v[152:153]
	v_mov_b32_e32 v154, s16
	s_add_i32 s16, s16, 1
	v_cmp_lt_f64_e32 vcc, v[144:145], v[146:147]
	v_add_u32_e32 v235, 16, v235
	s_cmp_lg_u32 s20, s16
	v_cndmask_b32_e32 v225, v225, v241, vcc
	v_cndmask_b32_e32 v224, v224, v240, vcc
	v_cndmask_b32_e32 v227, v227, v243, vcc
	v_cndmask_b32_e32 v226, v226, v242, vcc
	v_cndmask_b32_e32 v234, v234, v154, vcc
	s_cbranch_scc1 .LBB110_1135
.LBB110_1136:
	s_waitcnt lgkmcnt(0)
	v_cmp_eq_f64_e32 vcc, 0, v[224:225]
	v_cmp_eq_f64_e64 s[0:1], 0, v[226:227]
	s_and_b64 s[0:1], vcc, s[0:1]
	s_and_saveexec_b64 s[16:17], s[0:1]
	s_xor_b64 s[0:1], exec, s[16:17]
; %bb.1137:
	v_cmp_ne_u32_e32 vcc, 0, v238
	s_nop 1
	v_cndmask_b32_e32 v238, 55, v238, vcc
; %bb.1138:
	s_andn2_saveexec_b64 s[0:1], s[0:1]
	s_cbranch_execz .LBB110_1144
; %bb.1139:
	v_cmp_ngt_f64_e64 s[16:17], |v[224:225]|, |v[226:227]|
	s_and_saveexec_b64 s[18:19], s[16:17]
	s_xor_b64 s[16:17], exec, s[18:19]
	s_cbranch_execz .LBB110_1141
; %bb.1140:
	v_div_scale_f64 v[144:145], s[18:19], v[226:227], v[226:227], v[224:225]
	v_rcp_f64_e32 v[146:147], v[144:145]
	v_div_scale_f64 v[152:153], vcc, v[224:225], v[226:227], v[224:225]
	v_fma_f64 v[154:155], -v[144:145], v[146:147], 1.0
	v_fmac_f64_e32 v[146:147], v[146:147], v[154:155]
	v_fma_f64 v[154:155], -v[144:145], v[146:147], 1.0
	v_fmac_f64_e32 v[146:147], v[146:147], v[154:155]
	v_mul_f64 v[154:155], v[152:153], v[146:147]
	v_fma_f64 v[144:145], -v[144:145], v[154:155], v[152:153]
	v_div_fmas_f64 v[144:145], v[144:145], v[146:147], v[154:155]
	v_div_fixup_f64 v[144:145], v[144:145], v[226:227], v[224:225]
	v_fmac_f64_e32 v[226:227], v[224:225], v[144:145]
	v_div_scale_f64 v[146:147], s[18:19], v[226:227], v[226:227], 1.0
	v_rcp_f64_e32 v[152:153], v[146:147]
	s_nop 0
	v_fma_f64 v[154:155], -v[146:147], v[152:153], 1.0
	v_fmac_f64_e32 v[152:153], v[152:153], v[154:155]
	v_fma_f64 v[154:155], -v[146:147], v[152:153], 1.0
	v_fmac_f64_e32 v[152:153], v[152:153], v[154:155]
	v_div_scale_f64 v[154:155], vcc, 1.0, v[226:227], 1.0
	v_mul_f64 v[224:225], v[154:155], v[152:153]
	v_fma_f64 v[146:147], -v[146:147], v[224:225], v[154:155]
	s_nop 1
	v_div_fmas_f64 v[146:147], v[146:147], v[152:153], v[224:225]
	v_div_fixup_f64 v[226:227], v[146:147], v[226:227], 1.0
	v_mul_f64 v[224:225], v[144:145], v[226:227]
	v_xor_b32_e32 v227, 0x80000000, v227
.LBB110_1141:
	s_andn2_saveexec_b64 s[16:17], s[16:17]
	s_cbranch_execz .LBB110_1143
; %bb.1142:
	v_div_scale_f64 v[144:145], s[18:19], v[224:225], v[224:225], v[226:227]
	v_rcp_f64_e32 v[146:147], v[144:145]
	v_div_scale_f64 v[152:153], vcc, v[226:227], v[224:225], v[226:227]
	v_fma_f64 v[154:155], -v[144:145], v[146:147], 1.0
	v_fmac_f64_e32 v[146:147], v[146:147], v[154:155]
	v_fma_f64 v[154:155], -v[144:145], v[146:147], 1.0
	v_fmac_f64_e32 v[146:147], v[146:147], v[154:155]
	v_mul_f64 v[154:155], v[152:153], v[146:147]
	v_fma_f64 v[144:145], -v[144:145], v[154:155], v[152:153]
	v_div_fmas_f64 v[144:145], v[144:145], v[146:147], v[154:155]
	v_div_fixup_f64 v[144:145], v[144:145], v[224:225], v[226:227]
	v_fmac_f64_e32 v[224:225], v[226:227], v[144:145]
	v_div_scale_f64 v[146:147], s[18:19], v[224:225], v[224:225], 1.0
	v_rcp_f64_e32 v[152:153], v[146:147]
	s_nop 0
	v_fma_f64 v[154:155], -v[146:147], v[152:153], 1.0
	v_fmac_f64_e32 v[152:153], v[152:153], v[154:155]
	v_fma_f64 v[154:155], -v[146:147], v[152:153], 1.0
	v_fmac_f64_e32 v[152:153], v[152:153], v[154:155]
	v_div_scale_f64 v[154:155], vcc, 1.0, v[224:225], 1.0
	v_mul_f64 v[226:227], v[154:155], v[152:153]
	v_fma_f64 v[146:147], -v[146:147], v[226:227], v[154:155]
	s_nop 1
	v_div_fmas_f64 v[146:147], v[146:147], v[152:153], v[226:227]
	v_div_fixup_f64 v[224:225], v[146:147], v[224:225], 1.0
	v_mul_f64 v[226:227], v[144:145], -v[224:225]
.LBB110_1143:
	s_or_b64 exec, exec, s[16:17]
.LBB110_1144:
	s_or_b64 exec, exec, s[0:1]
	v_cmp_ne_u32_e32 vcc, v237, v234
	s_and_saveexec_b64 s[0:1], vcc
	s_xor_b64 s[0:1], exec, s[0:1]
	s_cbranch_execz .LBB110_1150
; %bb.1145:
	v_cmp_eq_u32_e32 vcc, 54, v237
	s_and_saveexec_b64 s[16:17], vcc
	s_cbranch_execz .LBB110_1149
; %bb.1146:
	v_cmp_ne_u32_e32 vcc, 54, v234
	s_xor_b64 s[18:19], s[14:15], -1
	s_and_b64 s[22:23], s[18:19], vcc
	s_and_saveexec_b64 s[18:19], s[22:23]
	s_cbranch_execz .LBB110_1148
; %bb.1147:
	v_ashrrev_i32_e32 v235, 31, v234
	v_lshl_add_u64 v[144:145], v[234:235], 2, v[212:213]
	global_load_dword v146, v[144:145], off
	global_load_dword v147, v[212:213], off offset:216
	s_waitcnt vmcnt(1)
	global_store_dword v[212:213], v146, off offset:216
	s_waitcnt vmcnt(1)
	global_store_dword v[144:145], v147, off
.LBB110_1148:
	s_or_b64 exec, exec, s[18:19]
	v_mov_b32_e32 v237, v234
	v_mov_b32_e32 v218, v234
.LBB110_1149:
	s_or_b64 exec, exec, s[16:17]
.LBB110_1150:
	s_andn2_saveexec_b64 s[0:1], s[0:1]
; %bb.1151:
	v_mov_b32_e32 v237, 54
	ds_write2_b64 v236, v[220:221], v[222:223] offset0:110 offset1:111
; %bb.1152:
	s_or_b64 exec, exec, s[0:1]
	v_cmp_lt_i32_e32 vcc, 54, v237
	s_waitcnt lgkmcnt(0)
	s_barrier
	s_and_saveexec_b64 s[0:1], vcc
	s_cbranch_execz .LBB110_1154
; %bb.1153:
	ds_read2_b64 v[240:243], v236 offset0:110 offset1:111
	v_mul_f64 v[144:145], v[224:225], v[2:3]
	v_mul_f64 v[2:3], v[226:227], v[2:3]
	v_fmac_f64_e32 v[144:145], v[226:227], v[0:1]
	v_fma_f64 v[0:1], v[224:225], v[0:1], -v[2:3]
	s_waitcnt lgkmcnt(0)
	v_mul_f64 v[2:3], v[242:243], v[144:145]
	v_mul_f64 v[146:147], v[240:241], v[144:145]
	v_fma_f64 v[2:3], v[240:241], v[0:1], -v[2:3]
	v_fmac_f64_e32 v[146:147], v[242:243], v[0:1]
	v_add_f64 v[220:221], v[220:221], -v[2:3]
	v_add_f64 v[222:223], v[222:223], -v[146:147]
	v_mov_b64_e32 v[2:3], v[144:145]
.LBB110_1154:
	s_or_b64 exec, exec, s[0:1]
	v_lshl_add_u32 v144, v237, 4, v236
	s_barrier
	ds_write2_b64 v144, v[220:221], v[222:223] offset1:1
	s_waitcnt lgkmcnt(0)
	s_barrier
	ds_read2_b64 v[224:227], v236 offset0:110 offset1:111
	s_cmp_lt_i32 s20, 57
	v_mov_b32_e32 v234, 55
	s_cbranch_scc1 .LBB110_1157
; %bb.1155:
	v_add_u32_e32 v235, 0x380, v236
	s_mov_b32 s16, 56
	v_mov_b32_e32 v234, 55
.LBB110_1156:                           ; =>This Inner Loop Header: Depth=1
	ds_read2_b64 v[240:243], v235 offset1:1
	s_waitcnt lgkmcnt(1)
	v_xor_b32_e32 v145, 0x80000000, v225
	v_xor_b32_e32 v147, 0x80000000, v227
	v_cmp_gt_f64_e32 vcc, 0, v[226:227]
	v_cmp_gt_f64_e64 s[0:1], 0, v[224:225]
	v_mov_b32_e32 v144, v224
	v_mov_b32_e32 v146, v226
	v_cndmask_b32_e64 v145, v225, v145, s[0:1]
	v_cndmask_b32_e32 v147, v227, v147, vcc
	v_add_f64 v[144:145], v[144:145], v[146:147]
	s_waitcnt lgkmcnt(0)
	v_xor_b32_e32 v147, 0x80000000, v241
	v_xor_b32_e32 v153, 0x80000000, v243
	v_cmp_gt_f64_e32 vcc, 0, v[242:243]
	v_cmp_gt_f64_e64 s[0:1], 0, v[240:241]
	v_mov_b32_e32 v146, v240
	v_mov_b32_e32 v152, v242
	v_cndmask_b32_e64 v147, v241, v147, s[0:1]
	v_cndmask_b32_e32 v153, v243, v153, vcc
	v_add_f64 v[146:147], v[146:147], v[152:153]
	v_mov_b32_e32 v154, s16
	s_add_i32 s16, s16, 1
	v_cmp_lt_f64_e32 vcc, v[144:145], v[146:147]
	v_add_u32_e32 v235, 16, v235
	s_cmp_lg_u32 s20, s16
	v_cndmask_b32_e32 v225, v225, v241, vcc
	v_cndmask_b32_e32 v224, v224, v240, vcc
	;; [unrolled: 1-line block ×5, first 2 shown]
	s_cbranch_scc1 .LBB110_1156
.LBB110_1157:
	s_waitcnt lgkmcnt(0)
	v_cmp_eq_f64_e32 vcc, 0, v[224:225]
	v_cmp_eq_f64_e64 s[0:1], 0, v[226:227]
	s_and_b64 s[0:1], vcc, s[0:1]
	s_and_saveexec_b64 s[16:17], s[0:1]
	s_xor_b64 s[0:1], exec, s[16:17]
; %bb.1158:
	v_cmp_ne_u32_e32 vcc, 0, v238
	s_nop 1
	v_cndmask_b32_e32 v238, 56, v238, vcc
; %bb.1159:
	s_andn2_saveexec_b64 s[0:1], s[0:1]
	s_cbranch_execz .LBB110_1165
; %bb.1160:
	v_cmp_ngt_f64_e64 s[16:17], |v[224:225]|, |v[226:227]|
	s_and_saveexec_b64 s[18:19], s[16:17]
	s_xor_b64 s[16:17], exec, s[18:19]
	s_cbranch_execz .LBB110_1162
; %bb.1161:
	v_div_scale_f64 v[144:145], s[18:19], v[226:227], v[226:227], v[224:225]
	v_rcp_f64_e32 v[146:147], v[144:145]
	v_div_scale_f64 v[152:153], vcc, v[224:225], v[226:227], v[224:225]
	v_fma_f64 v[154:155], -v[144:145], v[146:147], 1.0
	v_fmac_f64_e32 v[146:147], v[146:147], v[154:155]
	v_fma_f64 v[154:155], -v[144:145], v[146:147], 1.0
	v_fmac_f64_e32 v[146:147], v[146:147], v[154:155]
	v_mul_f64 v[154:155], v[152:153], v[146:147]
	v_fma_f64 v[144:145], -v[144:145], v[154:155], v[152:153]
	v_div_fmas_f64 v[144:145], v[144:145], v[146:147], v[154:155]
	v_div_fixup_f64 v[144:145], v[144:145], v[226:227], v[224:225]
	v_fmac_f64_e32 v[226:227], v[224:225], v[144:145]
	v_div_scale_f64 v[146:147], s[18:19], v[226:227], v[226:227], 1.0
	v_rcp_f64_e32 v[152:153], v[146:147]
	s_nop 0
	v_fma_f64 v[154:155], -v[146:147], v[152:153], 1.0
	v_fmac_f64_e32 v[152:153], v[152:153], v[154:155]
	v_fma_f64 v[154:155], -v[146:147], v[152:153], 1.0
	v_fmac_f64_e32 v[152:153], v[152:153], v[154:155]
	v_div_scale_f64 v[154:155], vcc, 1.0, v[226:227], 1.0
	v_mul_f64 v[224:225], v[154:155], v[152:153]
	v_fma_f64 v[146:147], -v[146:147], v[224:225], v[154:155]
	s_nop 1
	v_div_fmas_f64 v[146:147], v[146:147], v[152:153], v[224:225]
	v_div_fixup_f64 v[226:227], v[146:147], v[226:227], 1.0
	v_mul_f64 v[224:225], v[144:145], v[226:227]
	v_xor_b32_e32 v227, 0x80000000, v227
.LBB110_1162:
	s_andn2_saveexec_b64 s[16:17], s[16:17]
	s_cbranch_execz .LBB110_1164
; %bb.1163:
	v_div_scale_f64 v[144:145], s[18:19], v[224:225], v[224:225], v[226:227]
	v_rcp_f64_e32 v[146:147], v[144:145]
	v_div_scale_f64 v[152:153], vcc, v[226:227], v[224:225], v[226:227]
	v_fma_f64 v[154:155], -v[144:145], v[146:147], 1.0
	v_fmac_f64_e32 v[146:147], v[146:147], v[154:155]
	v_fma_f64 v[154:155], -v[144:145], v[146:147], 1.0
	v_fmac_f64_e32 v[146:147], v[146:147], v[154:155]
	v_mul_f64 v[154:155], v[152:153], v[146:147]
	v_fma_f64 v[144:145], -v[144:145], v[154:155], v[152:153]
	v_div_fmas_f64 v[144:145], v[144:145], v[146:147], v[154:155]
	v_div_fixup_f64 v[144:145], v[144:145], v[224:225], v[226:227]
	v_fmac_f64_e32 v[224:225], v[226:227], v[144:145]
	v_div_scale_f64 v[146:147], s[18:19], v[224:225], v[224:225], 1.0
	v_rcp_f64_e32 v[152:153], v[146:147]
	s_nop 0
	v_fma_f64 v[154:155], -v[146:147], v[152:153], 1.0
	v_fmac_f64_e32 v[152:153], v[152:153], v[154:155]
	v_fma_f64 v[154:155], -v[146:147], v[152:153], 1.0
	v_fmac_f64_e32 v[152:153], v[152:153], v[154:155]
	v_div_scale_f64 v[154:155], vcc, 1.0, v[224:225], 1.0
	v_mul_f64 v[226:227], v[154:155], v[152:153]
	v_fma_f64 v[146:147], -v[146:147], v[226:227], v[154:155]
	s_nop 1
	v_div_fmas_f64 v[146:147], v[146:147], v[152:153], v[226:227]
	v_div_fixup_f64 v[224:225], v[146:147], v[224:225], 1.0
	v_mul_f64 v[226:227], v[144:145], -v[224:225]
.LBB110_1164:
	s_or_b64 exec, exec, s[16:17]
.LBB110_1165:
	s_or_b64 exec, exec, s[0:1]
	v_cmp_ne_u32_e32 vcc, v237, v234
	v_mov_b32_e32 v236, 55
	s_and_saveexec_b64 s[0:1], vcc
	s_cbranch_execz .LBB110_1171
; %bb.1166:
	v_cmp_eq_u32_e32 vcc, 55, v237
	s_and_saveexec_b64 s[16:17], vcc
	s_cbranch_execz .LBB110_1170
; %bb.1167:
	v_cmp_ne_u32_e32 vcc, 55, v234
	s_xor_b64 s[14:15], s[14:15], -1
	s_and_b64 s[18:19], s[14:15], vcc
	s_and_saveexec_b64 s[14:15], s[18:19]
	s_cbranch_execz .LBB110_1169
; %bb.1168:
	v_ashrrev_i32_e32 v235, 31, v234
	v_lshl_add_u64 v[144:145], v[234:235], 2, v[212:213]
	global_load_dword v146, v[144:145], off
	global_load_dword v147, v[212:213], off offset:220
	s_waitcnt vmcnt(1)
	global_store_dword v[212:213], v146, off offset:220
	s_waitcnt vmcnt(1)
	global_store_dword v[144:145], v147, off
.LBB110_1169:
	s_or_b64 exec, exec, s[14:15]
	v_mov_b32_e32 v237, v234
	v_mov_b32_e32 v218, v234
.LBB110_1170:
	s_or_b64 exec, exec, s[16:17]
	v_mov_b32_e32 v236, v237
.LBB110_1171:
	s_or_b64 exec, exec, s[0:1]
	v_cmp_gt_i32_e32 vcc, 56, v236
	v_ashrrev_i32_e32 v237, 31, v236
	s_barrier
	s_barrier
	s_and_saveexec_b64 s[0:1], vcc
	s_cbranch_execz .LBB110_1173
; %bb.1172:
	v_mov_b32_e32 v144, s6
	v_mov_b32_e32 v145, s7
	v_mul_lo_u32 v152, s11, v228
	v_mul_lo_u32 v153, s10, v229
	v_mad_u64_u32 v[146:147], s[6:7], s10, v228, 0
	v_add3_u32 v147, v147, v153, v152
	v_lshl_add_u64 v[144:145], v[146:147], 2, v[144:145]
	v_lshl_add_u64 v[144:145], s[8:9], 2, v[144:145]
	;; [unrolled: 1-line block ×3, first 2 shown]
	v_add3_u32 v146, v218, s13, 1
	global_store_dword v[144:145], v146, off
.LBB110_1173:
	s_or_b64 exec, exec, s[0:1]
	v_cmp_eq_u32_e32 vcc, 0, v236
	s_and_saveexec_b64 s[6:7], vcc
	s_cbranch_execz .LBB110_1176
; %bb.1174:
	v_mov_b32_e32 v144, s4
	v_mov_b32_e32 v145, s5
	v_lshl_add_u64 v[230:231], v[228:229], 2, v[144:145]
	global_load_dword v144, v[230:231], off
	v_cmp_ne_u32_e64 s[0:1], 0, v238
	s_waitcnt vmcnt(0)
	v_cmp_eq_u32_e32 vcc, 0, v144
	s_and_b64 s[0:1], vcc, s[0:1]
	s_and_b64 exec, exec, s[0:1]
	s_cbranch_execz .LBB110_1176
; %bb.1175:
	v_add_u32_e32 v144, s13, v238
	global_store_dword v[230:231], v144, off
.LBB110_1176:
	s_or_b64 exec, exec, s[6:7]
	scratch_load_dwordx2 v[152:153], off, off offset:16 ; 8-byte Folded Reload
	v_mul_f64 v[144:145], v[226:227], v[222:223]
	v_mul_f64 v[146:147], v[224:225], v[222:223]
	v_fma_f64 v[144:145], v[224:225], v[220:221], -v[144:145]
	v_fmac_f64_e32 v[146:147], v[226:227], v[220:221]
	scratch_load_dwordx4 v[224:227], off, off ; 16-byte Folded Reload
	v_cmp_lt_i32_e32 vcc, 55, v236
	s_nop 1
	v_cndmask_b32_e32 v221, v221, v145, vcc
	v_cndmask_b32_e32 v220, v220, v144, vcc
	;; [unrolled: 1-line block ×4, first 2 shown]
	s_waitcnt vmcnt(1)
	v_lshl_add_u64 v[144:145], v[236:237], 4, v[152:153]
	global_store_dwordx4 v[144:145], v[250:253], off
	v_lshl_add_u64 v[144:145], s[2:3], 4, v[144:145]
	global_store_dwordx4 v[144:145], v[246:249], off
	v_add_u32_e32 v144, s12, v236
	v_ashrrev_i32_e32 v145, 31, v144
	v_lshl_add_u64 v[146:147], v[144:145], 4, v[152:153]
	v_add_u32_e32 v144, s2, v144
	v_ashrrev_i32_e32 v145, 31, v144
	s_waitcnt vmcnt(2)
	global_store_dwordx4 v[146:147], v[224:227], off
	v_lshl_add_u64 v[146:147], v[144:145], 4, v[152:153]
	v_add_u32_e32 v144, s2, v144
	v_ashrrev_i32_e32 v145, 31, v144
	global_store_dwordx4 v[146:147], v[214:217], off
	v_lshl_add_u64 v[146:147], v[144:145], 4, v[152:153]
	v_add_u32_e32 v144, s2, v144
	v_ashrrev_i32_e32 v145, 31, v144
	global_store_dwordx4 v[146:147], v[208:211], off
	v_lshl_add_u64 v[146:147], v[144:145], 4, v[152:153]
	v_add_u32_e32 v144, s2, v144
	v_ashrrev_i32_e32 v145, 31, v144
	global_store_dwordx4 v[146:147], v[204:207], off
	v_lshl_add_u64 v[146:147], v[144:145], 4, v[152:153]
	v_add_u32_e32 v144, s2, v144
	v_ashrrev_i32_e32 v145, 31, v144
	global_store_dwordx4 v[146:147], v[200:203], off
	v_lshl_add_u64 v[146:147], v[144:145], 4, v[152:153]
	v_add_u32_e32 v144, s2, v144
	v_ashrrev_i32_e32 v145, 31, v144
	global_store_dwordx4 v[146:147], v[196:199], off
	v_lshl_add_u64 v[146:147], v[144:145], 4, v[152:153]
	v_add_u32_e32 v144, s2, v144
	v_ashrrev_i32_e32 v145, 31, v144
	global_store_dwordx4 v[146:147], v[192:195], off
	v_lshl_add_u64 v[146:147], v[144:145], 4, v[152:153]
	v_add_u32_e32 v144, s2, v144
	v_ashrrev_i32_e32 v145, 31, v144
	global_store_dwordx4 v[146:147], v[188:191], off
	v_lshl_add_u64 v[146:147], v[144:145], 4, v[152:153]
	v_add_u32_e32 v144, s2, v144
	v_ashrrev_i32_e32 v145, 31, v144
	global_store_dwordx4 v[146:147], v[184:187], off
	v_lshl_add_u64 v[146:147], v[144:145], 4, v[152:153]
	v_add_u32_e32 v144, s2, v144
	v_ashrrev_i32_e32 v145, 31, v144
	global_store_dwordx4 v[146:147], v[180:183], off
	v_lshl_add_u64 v[146:147], v[144:145], 4, v[152:153]
	v_add_u32_e32 v144, s2, v144
	v_ashrrev_i32_e32 v145, 31, v144
	global_store_dwordx4 v[146:147], v[176:179], off
	v_lshl_add_u64 v[146:147], v[144:145], 4, v[152:153]
	v_add_u32_e32 v144, s2, v144
	v_ashrrev_i32_e32 v145, 31, v144
	global_store_dwordx4 v[146:147], v[172:175], off
	v_lshl_add_u64 v[146:147], v[144:145], 4, v[152:153]
	v_add_u32_e32 v144, s2, v144
	v_ashrrev_i32_e32 v145, 31, v144
	global_store_dwordx4 v[146:147], v[168:171], off
	v_lshl_add_u64 v[146:147], v[144:145], 4, v[152:153]
	v_add_u32_e32 v144, s2, v144
	v_ashrrev_i32_e32 v145, 31, v144
	global_store_dwordx4 v[146:147], v[164:167], off
	v_lshl_add_u64 v[146:147], v[144:145], 4, v[152:153]
	v_add_u32_e32 v144, s2, v144
	v_ashrrev_i32_e32 v145, 31, v144
	global_store_dwordx4 v[146:147], v[160:163], off
	v_lshl_add_u64 v[146:147], v[144:145], 4, v[152:153]
	v_add_u32_e32 v144, s2, v144
	v_ashrrev_i32_e32 v145, 31, v144
	global_store_dwordx4 v[146:147], v[156:159], off
	v_lshl_add_u64 v[146:147], v[144:145], 4, v[152:153]
	v_add_u32_e32 v144, s2, v144
	v_ashrrev_i32_e32 v145, 31, v144
	global_store_dwordx4 v[146:147], v[148:151], off
	v_lshl_add_u64 v[146:147], v[144:145], 4, v[152:153]
	global_store_dwordx4 v[146:147], v[140:143], off
	s_nop 1
	v_add_u32_e32 v140, s2, v144
	v_ashrrev_i32_e32 v141, 31, v140
	v_lshl_add_u64 v[142:143], v[140:141], 4, v[152:153]
	global_store_dwordx4 v[142:143], v[136:139], off
	s_nop 1
	v_add_u32_e32 v136, s2, v140
	v_ashrrev_i32_e32 v137, 31, v136
	;; [unrolled: 5-line block ×36, first 2 shown]
	v_lshl_add_u64 v[0:1], v[0:1], 4, v[152:153]
	global_store_dwordx4 v[0:1], v[220:223], off
.LBB110_1177:
	s_endpgm
	.section	.rodata,"a",@progbits
	.p2align	6, 0x0
	.amdhsa_kernel _ZN9rocsolver6v33100L18getf2_small_kernelILi56E19rocblas_complex_numIdEiiPS3_EEvT1_T3_lS5_lPS5_llPT2_S5_S5_S7_l
		.amdhsa_group_segment_fixed_size 0
		.amdhsa_private_segment_fixed_size 68
		.amdhsa_kernarg_size 352
		.amdhsa_user_sgpr_count 2
		.amdhsa_user_sgpr_dispatch_ptr 0
		.amdhsa_user_sgpr_queue_ptr 0
		.amdhsa_user_sgpr_kernarg_segment_ptr 1
		.amdhsa_user_sgpr_dispatch_id 0
		.amdhsa_user_sgpr_kernarg_preload_length 0
		.amdhsa_user_sgpr_kernarg_preload_offset 0
		.amdhsa_user_sgpr_private_segment_size 0
		.amdhsa_uses_dynamic_stack 0
		.amdhsa_enable_private_segment 1
		.amdhsa_system_sgpr_workgroup_id_x 1
		.amdhsa_system_sgpr_workgroup_id_y 1
		.amdhsa_system_sgpr_workgroup_id_z 0
		.amdhsa_system_sgpr_workgroup_info 0
		.amdhsa_system_vgpr_workitem_id 1
		.amdhsa_next_free_vgpr 256
		.amdhsa_next_free_sgpr 26
		.amdhsa_accum_offset 256
		.amdhsa_reserve_vcc 1
		.amdhsa_float_round_mode_32 0
		.amdhsa_float_round_mode_16_64 0
		.amdhsa_float_denorm_mode_32 3
		.amdhsa_float_denorm_mode_16_64 3
		.amdhsa_dx10_clamp 1
		.amdhsa_ieee_mode 1
		.amdhsa_fp16_overflow 0
		.amdhsa_tg_split 0
		.amdhsa_exception_fp_ieee_invalid_op 0
		.amdhsa_exception_fp_denorm_src 0
		.amdhsa_exception_fp_ieee_div_zero 0
		.amdhsa_exception_fp_ieee_overflow 0
		.amdhsa_exception_fp_ieee_underflow 0
		.amdhsa_exception_fp_ieee_inexact 0
		.amdhsa_exception_int_div_zero 0
	.end_amdhsa_kernel
	.section	.text._ZN9rocsolver6v33100L18getf2_small_kernelILi56E19rocblas_complex_numIdEiiPS3_EEvT1_T3_lS5_lPS5_llPT2_S5_S5_S7_l,"axG",@progbits,_ZN9rocsolver6v33100L18getf2_small_kernelILi56E19rocblas_complex_numIdEiiPS3_EEvT1_T3_lS5_lPS5_llPT2_S5_S5_S7_l,comdat
.Lfunc_end110:
	.size	_ZN9rocsolver6v33100L18getf2_small_kernelILi56E19rocblas_complex_numIdEiiPS3_EEvT1_T3_lS5_lPS5_llPT2_S5_S5_S7_l, .Lfunc_end110-_ZN9rocsolver6v33100L18getf2_small_kernelILi56E19rocblas_complex_numIdEiiPS3_EEvT1_T3_lS5_lPS5_llPT2_S5_S5_S7_l
                                        ; -- End function
	.set _ZN9rocsolver6v33100L18getf2_small_kernelILi56E19rocblas_complex_numIdEiiPS3_EEvT1_T3_lS5_lPS5_llPT2_S5_S5_S7_l.num_vgpr, 256
	.set _ZN9rocsolver6v33100L18getf2_small_kernelILi56E19rocblas_complex_numIdEiiPS3_EEvT1_T3_lS5_lPS5_llPT2_S5_S5_S7_l.num_agpr, 0
	.set _ZN9rocsolver6v33100L18getf2_small_kernelILi56E19rocblas_complex_numIdEiiPS3_EEvT1_T3_lS5_lPS5_llPT2_S5_S5_S7_l.numbered_sgpr, 26
	.set _ZN9rocsolver6v33100L18getf2_small_kernelILi56E19rocblas_complex_numIdEiiPS3_EEvT1_T3_lS5_lPS5_llPT2_S5_S5_S7_l.num_named_barrier, 0
	.set _ZN9rocsolver6v33100L18getf2_small_kernelILi56E19rocblas_complex_numIdEiiPS3_EEvT1_T3_lS5_lPS5_llPT2_S5_S5_S7_l.private_seg_size, 68
	.set _ZN9rocsolver6v33100L18getf2_small_kernelILi56E19rocblas_complex_numIdEiiPS3_EEvT1_T3_lS5_lPS5_llPT2_S5_S5_S7_l.uses_vcc, 1
	.set _ZN9rocsolver6v33100L18getf2_small_kernelILi56E19rocblas_complex_numIdEiiPS3_EEvT1_T3_lS5_lPS5_llPT2_S5_S5_S7_l.uses_flat_scratch, 0
	.set _ZN9rocsolver6v33100L18getf2_small_kernelILi56E19rocblas_complex_numIdEiiPS3_EEvT1_T3_lS5_lPS5_llPT2_S5_S5_S7_l.has_dyn_sized_stack, 0
	.set _ZN9rocsolver6v33100L18getf2_small_kernelILi56E19rocblas_complex_numIdEiiPS3_EEvT1_T3_lS5_lPS5_llPT2_S5_S5_S7_l.has_recursion, 0
	.set _ZN9rocsolver6v33100L18getf2_small_kernelILi56E19rocblas_complex_numIdEiiPS3_EEvT1_T3_lS5_lPS5_llPT2_S5_S5_S7_l.has_indirect_call, 0
	.section	.AMDGPU.csdata,"",@progbits
; Kernel info:
; codeLenInByte = 150208
; TotalNumSgprs: 32
; NumVgprs: 256
; NumAgprs: 0
; TotalNumVgprs: 256
; ScratchSize: 68
; MemoryBound: 0
; FloatMode: 240
; IeeeMode: 1
; LDSByteSize: 0 bytes/workgroup (compile time only)
; SGPRBlocks: 3
; VGPRBlocks: 31
; NumSGPRsForWavesPerEU: 32
; NumVGPRsForWavesPerEU: 256
; AccumOffset: 256
; Occupancy: 2
; WaveLimiterHint : 0
; COMPUTE_PGM_RSRC2:SCRATCH_EN: 1
; COMPUTE_PGM_RSRC2:USER_SGPR: 2
; COMPUTE_PGM_RSRC2:TRAP_HANDLER: 0
; COMPUTE_PGM_RSRC2:TGID_X_EN: 1
; COMPUTE_PGM_RSRC2:TGID_Y_EN: 1
; COMPUTE_PGM_RSRC2:TGID_Z_EN: 0
; COMPUTE_PGM_RSRC2:TIDIG_COMP_CNT: 1
; COMPUTE_PGM_RSRC3_GFX90A:ACCUM_OFFSET: 63
; COMPUTE_PGM_RSRC3_GFX90A:TG_SPLIT: 0
	.section	.text._ZN9rocsolver6v33100L23getf2_npvt_small_kernelILi56E19rocblas_complex_numIdEiiPS3_EEvT1_T3_lS5_lPT2_S5_S5_,"axG",@progbits,_ZN9rocsolver6v33100L23getf2_npvt_small_kernelILi56E19rocblas_complex_numIdEiiPS3_EEvT1_T3_lS5_lPT2_S5_S5_,comdat
	.globl	_ZN9rocsolver6v33100L23getf2_npvt_small_kernelILi56E19rocblas_complex_numIdEiiPS3_EEvT1_T3_lS5_lPT2_S5_S5_ ; -- Begin function _ZN9rocsolver6v33100L23getf2_npvt_small_kernelILi56E19rocblas_complex_numIdEiiPS3_EEvT1_T3_lS5_lPT2_S5_S5_
	.p2align	8
	.type	_ZN9rocsolver6v33100L23getf2_npvt_small_kernelILi56E19rocblas_complex_numIdEiiPS3_EEvT1_T3_lS5_lPT2_S5_S5_,@function
_ZN9rocsolver6v33100L23getf2_npvt_small_kernelILi56E19rocblas_complex_numIdEiiPS3_EEvT1_T3_lS5_lPT2_S5_S5_: ; @_ZN9rocsolver6v33100L23getf2_npvt_small_kernelILi56E19rocblas_complex_numIdEiiPS3_EEvT1_T3_lS5_lPT2_S5_S5_
; %bb.0:
	s_load_dword s2, s[0:1], 0x44
	s_load_dwordx2 s[8:9], s[0:1], 0x30
	v_bfe_u32 v2, v0, 10, 10
	s_waitcnt lgkmcnt(0)
	s_lshr_b32 s2, s2, 16
	s_mul_i32 s3, s3, s2
	v_add_u32_e32 v4, s3, v2
	v_cmp_gt_i32_e32 vcc, s8, v4
	s_and_saveexec_b64 s[4:5], vcc
	s_cbranch_execnz .LBB111_1
; %bb.508:
	s_getpc_b64 s[16:17]
.Lpost_getpc8:
	s_add_u32 s16, s16, (.LBB111_507-.Lpost_getpc8)&4294967295
	s_addc_u32 s17, s17, (.LBB111_507-.Lpost_getpc8)>>32
	s_setpc_b64 s[16:17]
.LBB111_1:
	s_load_dwordx4 s[12:15], s[0:1], 0x8
	s_load_dword s10, s[0:1], 0x18
	s_load_dwordx4 s[4:7], s[0:1], 0x20
	v_ashrrev_i32_e32 v5, 31, v4
	scratch_store_dwordx2 off, v[4:5], off offset:1264 ; 8-byte Folded Spill
	v_and_b32_e32 v200, 0x3ff, v0
	s_waitcnt lgkmcnt(0)
	v_mov_b32_e32 v0, s12
	v_mul_lo_u32 v3, s5, v4
	v_mul_lo_u32 v6, s4, v5
	v_mad_u64_u32 v[4:5], s[0:1], s4, v4, 0
	v_mov_b32_e32 v1, s13
	v_add3_u32 v5, v5, v6, v3
	v_lshl_add_u64 v[0:1], v[4:5], 4, v[0:1]
	v_lshl_add_u64 v[0:1], s[14:15], 4, v[0:1]
	v_lshlrev_b32_e32 v4, 4, v200
	v_mov_b32_e32 v5, 0
	s_add_i32 s0, s10, s10
	v_lshl_add_u64 v[6:7], v[0:1], 0, v[4:5]
	v_add_u32_e32 v4, s0, v200
	v_ashrrev_i32_e32 v5, 31, v4
	v_lshl_add_u64 v[8:9], v[4:5], 4, v[0:1]
	v_add_u32_e32 v4, s10, v4
	v_ashrrev_i32_e32 v5, 31, v4
	;; [unrolled: 3-line block ×53, first 2 shown]
	v_lshl_add_u64 v[236:237], v[4:5], 4, v[0:1]
	v_add_u32_e32 v4, s10, v4
	s_mulk_i32 s2, 0x380
	v_ashrrev_i32_e32 v5, 31, v4
	s_movk_i32 s0, 0x380
	s_add_i32 s1, s2, 0
	v_lshl_add_u64 v[238:239], v[4:5], 4, v[0:1]
	v_mad_u32_u24 v202, v2, s0, 0
	v_lshl_add_u32 v201, v2, 4, s1
	global_load_dwordx4 v[2:5], v[6:7], off
	s_ashr_i32 s11, s10, 31
	v_lshl_add_u64 v[0:1], s[10:11], 4, v[6:7]
	scratch_store_dwordx2 off, v[6:7], off offset:96 ; 8-byte Folded Spill
	v_cmp_ne_u32_e64 s[2:3], 0, v200
	v_cmp_eq_u32_e64 s[0:1], 0, v200
	s_waitcnt vmcnt(1)
	scratch_store_dwordx4 off, v[2:5], off offset:80 ; 16-byte Folded Spill
	scratch_store_dwordx2 off, v[0:1], off offset:536 ; 8-byte Folded Spill
	global_load_dwordx4 v[0:3], v[0:1], off
	s_waitcnt vmcnt(0)
	scratch_store_dwordx4 off, v[0:3], off offset:64 ; 16-byte Folded Spill
	scratch_store_dwordx2 off, v[8:9], off offset:104 ; 8-byte Folded Spill
	global_load_dwordx4 v[0:3], v[8:9], off
	;; [unrolled: 4-line block ×5, first 2 shown]
	s_nop 0
	global_load_dwordx4 v[4:7], v[16:17], off
	s_nop 0
	scratch_store_dwordx2 off, v[16:17], off offset:136 ; 8-byte Folded Spill
	s_waitcnt vmcnt(1)
	scratch_store_dwordx4 off, v[4:7], off  ; 16-byte Folded Spill
	scratch_store_dwordx2 off, v[18:19], off offset:144 ; 8-byte Folded Spill
	global_load_dwordx4 v[100:103], v[62:63], off
	global_load_dwordx4 v[96:99], v[64:65], off
	;; [unrolled: 1-line block ×33, first 2 shown]
	s_nop 0
	scratch_store_dwordx2 off, v[64:65], off offset:328 ; 8-byte Folded Spill
	scratch_store_dwordx2 off, v[66:67], off offset:336 ; 8-byte Folded Spill
	;; [unrolled: 1-line block ×8, first 2 shown]
	global_load_dwordx4 v[68:71], v[198:199], off
	global_load_dwordx4 v[64:67], v[204:205], off
	s_nop 0
	global_load_dwordx4 v[72:75], v[196:197], off
	v_mov_b64_e32 v[198:199], v[2:3]
	scratch_store_dwordx2 off, v[20:21], off offset:152 ; 8-byte Folded Spill
	scratch_store_dwordx2 off, v[22:23], off offset:160 ; 8-byte Folded Spill
	;; [unrolled: 1-line block ×22, first 2 shown]
	v_mov_b64_e32 v[196:197], v[0:1]
	global_load_dwordx4 v[60:63], v[206:207], off
	global_load_dwordx4 v[56:59], v[208:209], off
	;; [unrolled: 1-line block ×12, first 2 shown]
	s_nop 0
	scratch_store_dwordx2 off, v[220:221], off offset:456 ; 8-byte Folded Spill
	scratch_store_dwordx2 off, v[222:223], off offset:464 ; 8-byte Folded Spill
	global_load_dwordx4 v[220:223], v[238:239], off
	s_nop 0
	scratch_store_dwordx2 off, v[204:205], off offset:392 ; 8-byte Folded Spill
	scratch_store_dwordx2 off, v[206:207], off offset:400 ; 8-byte Folded Spill
	scratch_store_dwordx2 off, v[208:209], off offset:408 ; 8-byte Folded Spill
	scratch_store_dwordx2 off, v[210:211], off offset:416 ; 8-byte Folded Spill
	scratch_store_dwordx2 off, v[212:213], off offset:424 ; 8-byte Folded Spill
	scratch_store_dwordx2 off, v[214:215], off offset:432 ; 8-byte Folded Spill
	scratch_store_dwordx2 off, v[216:217], off offset:440 ; 8-byte Folded Spill
	scratch_store_dwordx2 off, v[218:219], off offset:448 ; 8-byte Folded Spill
	scratch_store_dwordx2 off, v[224:225], off offset:472 ; 8-byte Folded Spill
	scratch_store_dwordx2 off, v[226:227], off offset:480 ; 8-byte Folded Spill
	scratch_store_dwordx2 off, v[228:229], off offset:488 ; 8-byte Folded Spill
	scratch_store_dwordx2 off, v[230:231], off offset:496 ; 8-byte Folded Spill
	scratch_store_dwordx2 off, v[232:233], off offset:504 ; 8-byte Folded Spill
	scratch_store_dwordx2 off, v[234:235], off offset:512 ; 8-byte Folded Spill
	scratch_store_dwordx2 off, v[236:237], off offset:520 ; 8-byte Folded Spill
	scratch_store_dwordx2 off, v[238:239], off offset:528 ; 8-byte Folded Spill
	s_and_saveexec_b64 s[10:11], s[0:1]
	s_cbranch_execz .LBB111_8
; %bb.2:
	scratch_load_dwordx4 v[192:195], off, off offset:80 ; 16-byte Folded Reload
	s_waitcnt vmcnt(0)
	ds_write2_b64 v201, v[192:193], v[194:195] offset1:1
	scratch_load_dwordx4 v[192:195], off, off offset:64 ; 16-byte Folded Reload
	s_waitcnt vmcnt(0)
	ds_write2_b64 v202, v[192:193], v[194:195] offset0:2 offset1:3
	scratch_load_dwordx4 v[192:195], off, off offset:48 ; 16-byte Folded Reload
	s_waitcnt vmcnt(0)
	ds_write2_b64 v202, v[192:193], v[194:195] offset0:4 offset1:5
	;; [unrolled: 3-line block ×4, first 2 shown]
	ds_write2_b64 v202, v[196:197], v[198:199] offset0:10 offset1:11
	scratch_load_dwordx4 v[192:195], off, off ; 16-byte Folded Reload
	s_waitcnt vmcnt(0)
	ds_write2_b64 v202, v[192:193], v[194:195] offset0:12 offset1:13
	ds_write2_b64 v202, v[188:189], v[190:191] offset0:14 offset1:15
	;; [unrolled: 1-line block ×50, first 2 shown]
	ds_read2_b64 v[208:211], v201 offset1:1
	s_waitcnt lgkmcnt(0)
	v_cmp_neq_f64_e32 vcc, 0, v[208:209]
	v_cmp_neq_f64_e64 s[4:5], 0, v[210:211]
	s_or_b64 s[4:5], vcc, s[4:5]
	s_and_b64 exec, exec, s[4:5]
	s_cbranch_execz .LBB111_8
; %bb.3:
	v_cmp_ngt_f64_e64 s[4:5], |v[208:209]|, |v[210:211]|
                                        ; implicit-def: $vgpr204_vgpr205
	s_and_saveexec_b64 s[12:13], s[4:5]
	s_xor_b64 s[4:5], exec, s[12:13]
                                        ; implicit-def: $vgpr206_vgpr207
	s_cbranch_execz .LBB111_5
; %bb.4:
	v_div_scale_f64 v[204:205], s[12:13], v[210:211], v[210:211], v[208:209]
	v_rcp_f64_e32 v[206:207], v[204:205]
	v_div_scale_f64 v[212:213], vcc, v[208:209], v[210:211], v[208:209]
	v_fma_f64 v[214:215], -v[204:205], v[206:207], 1.0
	v_fmac_f64_e32 v[206:207], v[206:207], v[214:215]
	v_fma_f64 v[214:215], -v[204:205], v[206:207], 1.0
	v_fmac_f64_e32 v[206:207], v[206:207], v[214:215]
	v_mul_f64 v[214:215], v[212:213], v[206:207]
	v_fma_f64 v[204:205], -v[204:205], v[214:215], v[212:213]
	v_div_fmas_f64 v[204:205], v[204:205], v[206:207], v[214:215]
	v_div_fixup_f64 v[204:205], v[204:205], v[210:211], v[208:209]
	v_fmac_f64_e32 v[210:211], v[208:209], v[204:205]
	v_div_scale_f64 v[206:207], s[12:13], v[210:211], v[210:211], 1.0
	v_rcp_f64_e32 v[208:209], v[206:207]
	s_nop 0
	v_fma_f64 v[212:213], -v[206:207], v[208:209], 1.0
	v_fmac_f64_e32 v[208:209], v[208:209], v[212:213]
	v_fma_f64 v[212:213], -v[206:207], v[208:209], 1.0
	v_fmac_f64_e32 v[208:209], v[208:209], v[212:213]
	v_div_scale_f64 v[212:213], vcc, 1.0, v[210:211], 1.0
	v_mul_f64 v[214:215], v[212:213], v[208:209]
	v_fma_f64 v[206:207], -v[206:207], v[214:215], v[212:213]
	s_nop 1
	v_div_fmas_f64 v[206:207], v[206:207], v[208:209], v[214:215]
	v_div_fixup_f64 v[206:207], v[206:207], v[210:211], 1.0
	v_mul_f64 v[204:205], v[204:205], v[206:207]
	v_xor_b32_e32 v207, 0x80000000, v207
                                        ; implicit-def: $vgpr208_vgpr209
.LBB111_5:
	s_andn2_saveexec_b64 s[4:5], s[4:5]
	s_cbranch_execz .LBB111_7
; %bb.6:
	v_div_scale_f64 v[204:205], s[12:13], v[208:209], v[208:209], v[210:211]
	v_rcp_f64_e32 v[206:207], v[204:205]
	v_div_scale_f64 v[212:213], vcc, v[210:211], v[208:209], v[210:211]
	v_fma_f64 v[214:215], -v[204:205], v[206:207], 1.0
	v_fmac_f64_e32 v[206:207], v[206:207], v[214:215]
	v_fma_f64 v[214:215], -v[204:205], v[206:207], 1.0
	v_fmac_f64_e32 v[206:207], v[206:207], v[214:215]
	v_mul_f64 v[214:215], v[212:213], v[206:207]
	v_fma_f64 v[204:205], -v[204:205], v[214:215], v[212:213]
	v_div_fmas_f64 v[204:205], v[204:205], v[206:207], v[214:215]
	v_div_fixup_f64 v[206:207], v[204:205], v[208:209], v[210:211]
	v_fmac_f64_e32 v[208:209], v[210:211], v[206:207]
	v_div_scale_f64 v[204:205], s[12:13], v[208:209], v[208:209], 1.0
	v_rcp_f64_e32 v[210:211], v[204:205]
	s_nop 0
	v_fma_f64 v[212:213], -v[204:205], v[210:211], 1.0
	v_fmac_f64_e32 v[210:211], v[210:211], v[212:213]
	v_fma_f64 v[212:213], -v[204:205], v[210:211], 1.0
	v_fmac_f64_e32 v[210:211], v[210:211], v[212:213]
	v_div_scale_f64 v[212:213], vcc, 1.0, v[208:209], 1.0
	v_mul_f64 v[214:215], v[212:213], v[210:211]
	v_fma_f64 v[204:205], -v[204:205], v[214:215], v[212:213]
	s_nop 1
	v_div_fmas_f64 v[204:205], v[204:205], v[210:211], v[214:215]
	v_div_fixup_f64 v[204:205], v[204:205], v[208:209], 1.0
	v_mul_f64 v[206:207], v[206:207], -v[204:205]
.LBB111_7:
	s_or_b64 exec, exec, s[4:5]
	ds_write2_b64 v201, v[204:205], v[206:207] offset1:1
.LBB111_8:
	s_or_b64 exec, exec, s[10:11]
	s_waitcnt lgkmcnt(0)
	s_barrier
	ds_read2_b64 v[192:195], v201 offset1:1
	s_waitcnt lgkmcnt(0)
	scratch_store_dwordx4 off, v[192:195], off offset:544 ; 16-byte Folded Spill
	s_and_saveexec_b64 s[4:5], s[2:3]
	s_cbranch_execz .LBB111_10
; %bb.9:
	scratch_load_dwordx4 v[210:213], off, off offset:80 ; 16-byte Folded Reload
	scratch_load_dwordx4 v[192:195], off, off offset:544 ; 16-byte Folded Reload
	s_waitcnt vmcnt(0)
	v_mul_f64 v[204:205], v[194:195], v[212:213]
	v_mul_f64 v[212:213], v[192:193], v[212:213]
	v_fma_f64 v[208:209], v[192:193], v[210:211], -v[204:205]
	v_fmac_f64_e32 v[212:213], v[194:195], v[210:211]
	scratch_load_dwordx4 v[192:195], off, off offset:64 ; 16-byte Folded Reload
	ds_read2_b64 v[204:207], v202 offset0:2 offset1:3
	s_waitcnt lgkmcnt(0)
	v_mul_f64 v[210:211], v[206:207], v[212:213]
	v_fma_f64 v[210:211], v[204:205], v[208:209], -v[210:211]
	v_mul_f64 v[204:205], v[204:205], v[212:213]
	v_fmac_f64_e32 v[204:205], v[206:207], v[208:209]
	s_waitcnt vmcnt(0)
	v_add_f64 v[192:193], v[192:193], -v[210:211]
	v_add_f64 v[194:195], v[194:195], -v[204:205]
	scratch_store_dwordx4 off, v[192:195], off offset:64 ; 16-byte Folded Spill
	scratch_load_dwordx4 v[192:195], off, off offset:48 ; 16-byte Folded Reload
	ds_read2_b64 v[204:207], v202 offset0:4 offset1:5
	s_waitcnt lgkmcnt(0)
	v_mul_f64 v[210:211], v[206:207], v[212:213]
	v_fma_f64 v[210:211], v[204:205], v[208:209], -v[210:211]
	v_mul_f64 v[204:205], v[204:205], v[212:213]
	v_fmac_f64_e32 v[204:205], v[206:207], v[208:209]
	s_waitcnt vmcnt(0)
	v_add_f64 v[192:193], v[192:193], -v[210:211]
	v_add_f64 v[194:195], v[194:195], -v[204:205]
	scratch_store_dwordx4 off, v[192:195], off offset:48 ; 16-byte Folded Spill
	;; [unrolled: 11-line block ×4, first 2 shown]
	scratch_load_dwordx4 v[192:195], off, off ; 16-byte Folded Reload
	ds_read2_b64 v[204:207], v202 offset0:10 offset1:11
	s_waitcnt lgkmcnt(0)
	v_mul_f64 v[210:211], v[206:207], v[212:213]
	v_fma_f64 v[210:211], v[204:205], v[208:209], -v[210:211]
	v_mul_f64 v[204:205], v[204:205], v[212:213]
	v_fmac_f64_e32 v[204:205], v[206:207], v[208:209]
	v_add_f64 v[198:199], v[198:199], -v[204:205]
	ds_read2_b64 v[204:207], v202 offset0:12 offset1:13
	v_add_f64 v[196:197], v[196:197], -v[210:211]
	s_waitcnt lgkmcnt(0)
	v_mul_f64 v[210:211], v[206:207], v[212:213]
	v_fma_f64 v[210:211], v[204:205], v[208:209], -v[210:211]
	v_mul_f64 v[204:205], v[204:205], v[212:213]
	v_fmac_f64_e32 v[204:205], v[206:207], v[208:209]
	s_waitcnt vmcnt(0)
	v_add_f64 v[194:195], v[194:195], -v[204:205]
	ds_read2_b64 v[204:207], v202 offset0:14 offset1:15
	v_add_f64 v[192:193], v[192:193], -v[210:211]
	scratch_store_dwordx4 off, v[192:195], off ; 16-byte Folded Spill
	s_waitcnt lgkmcnt(0)
	v_mul_f64 v[210:211], v[206:207], v[212:213]
	v_fma_f64 v[210:211], v[204:205], v[208:209], -v[210:211]
	v_mul_f64 v[204:205], v[204:205], v[212:213]
	v_fmac_f64_e32 v[204:205], v[206:207], v[208:209]
	v_add_f64 v[190:191], v[190:191], -v[204:205]
	ds_read2_b64 v[204:207], v202 offset0:16 offset1:17
	v_add_f64 v[188:189], v[188:189], -v[210:211]
	s_waitcnt lgkmcnt(0)
	v_mul_f64 v[210:211], v[206:207], v[212:213]
	v_fma_f64 v[210:211], v[204:205], v[208:209], -v[210:211]
	v_mul_f64 v[204:205], v[204:205], v[212:213]
	v_fmac_f64_e32 v[204:205], v[206:207], v[208:209]
	v_add_f64 v[186:187], v[186:187], -v[204:205]
	ds_read2_b64 v[204:207], v202 offset0:18 offset1:19
	v_add_f64 v[184:185], v[184:185], -v[210:211]
	;; [unrolled: 8-line block ×48, first 2 shown]
	s_waitcnt lgkmcnt(0)
	v_mul_f64 v[210:211], v[206:207], v[212:213]
	v_fma_f64 v[210:211], v[204:205], v[208:209], -v[210:211]
	v_mul_f64 v[204:205], v[204:205], v[212:213]
	v_fmac_f64_e32 v[204:205], v[206:207], v[208:209]
	v_add_f64 v[220:221], v[220:221], -v[210:211]
	v_add_f64 v[222:223], v[222:223], -v[204:205]
	v_mov_b64_e32 v[210:211], v[208:209]
	scratch_store_dwordx4 off, v[210:213], off offset:80 ; 16-byte Folded Spill
.LBB111_10:
	s_or_b64 exec, exec, s[4:5]
	v_cmp_eq_u32_e32 vcc, 1, v200
	s_waitcnt vmcnt(63) expcnt(7) lgkmcnt(15)
	s_barrier
	s_and_saveexec_b64 s[4:5], vcc
	s_cbranch_execz .LBB111_17
; %bb.11:
	scratch_load_dwordx4 v[192:195], off, off offset:64 ; 16-byte Folded Reload
	s_waitcnt vmcnt(0)
	ds_write2_b64 v201, v[192:193], v[194:195] offset1:1
	scratch_load_dwordx4 v[192:195], off, off offset:48 ; 16-byte Folded Reload
	s_waitcnt vmcnt(0)
	ds_write2_b64 v202, v[192:193], v[194:195] offset0:4 offset1:5
	scratch_load_dwordx4 v[192:195], off, off offset:32 ; 16-byte Folded Reload
	s_waitcnt vmcnt(0)
	ds_write2_b64 v202, v[192:193], v[194:195] offset0:6 offset1:7
	;; [unrolled: 3-line block ×3, first 2 shown]
	ds_write2_b64 v202, v[196:197], v[198:199] offset0:10 offset1:11
	scratch_load_dwordx4 v[192:195], off, off ; 16-byte Folded Reload
	s_waitcnt vmcnt(0)
	ds_write2_b64 v202, v[192:193], v[194:195] offset0:12 offset1:13
	ds_write2_b64 v202, v[188:189], v[190:191] offset0:14 offset1:15
	;; [unrolled: 1-line block ×50, first 2 shown]
	ds_read2_b64 v[208:211], v201 offset1:1
	s_waitcnt lgkmcnt(0)
	v_cmp_neq_f64_e32 vcc, 0, v[208:209]
	v_cmp_neq_f64_e64 s[2:3], 0, v[210:211]
	s_or_b64 s[2:3], vcc, s[2:3]
	s_and_b64 exec, exec, s[2:3]
	s_cbranch_execz .LBB111_17
; %bb.12:
	v_cmp_ngt_f64_e64 s[2:3], |v[208:209]|, |v[210:211]|
                                        ; implicit-def: $vgpr204_vgpr205
	s_and_saveexec_b64 s[10:11], s[2:3]
	s_xor_b64 s[2:3], exec, s[10:11]
                                        ; implicit-def: $vgpr206_vgpr207
	s_cbranch_execz .LBB111_14
; %bb.13:
	v_div_scale_f64 v[204:205], s[10:11], v[210:211], v[210:211], v[208:209]
	v_rcp_f64_e32 v[206:207], v[204:205]
	v_div_scale_f64 v[212:213], vcc, v[208:209], v[210:211], v[208:209]
	v_fma_f64 v[214:215], -v[204:205], v[206:207], 1.0
	v_fmac_f64_e32 v[206:207], v[206:207], v[214:215]
	v_fma_f64 v[214:215], -v[204:205], v[206:207], 1.0
	v_fmac_f64_e32 v[206:207], v[206:207], v[214:215]
	v_mul_f64 v[214:215], v[212:213], v[206:207]
	v_fma_f64 v[204:205], -v[204:205], v[214:215], v[212:213]
	v_div_fmas_f64 v[204:205], v[204:205], v[206:207], v[214:215]
	v_div_fixup_f64 v[204:205], v[204:205], v[210:211], v[208:209]
	v_fmac_f64_e32 v[210:211], v[208:209], v[204:205]
	v_div_scale_f64 v[206:207], s[10:11], v[210:211], v[210:211], 1.0
	v_rcp_f64_e32 v[208:209], v[206:207]
	s_nop 0
	v_fma_f64 v[212:213], -v[206:207], v[208:209], 1.0
	v_fmac_f64_e32 v[208:209], v[208:209], v[212:213]
	v_fma_f64 v[212:213], -v[206:207], v[208:209], 1.0
	v_fmac_f64_e32 v[208:209], v[208:209], v[212:213]
	v_div_scale_f64 v[212:213], vcc, 1.0, v[210:211], 1.0
	v_mul_f64 v[214:215], v[212:213], v[208:209]
	v_fma_f64 v[206:207], -v[206:207], v[214:215], v[212:213]
	s_nop 1
	v_div_fmas_f64 v[206:207], v[206:207], v[208:209], v[214:215]
	v_div_fixup_f64 v[206:207], v[206:207], v[210:211], 1.0
	v_mul_f64 v[204:205], v[204:205], v[206:207]
	v_xor_b32_e32 v207, 0x80000000, v207
                                        ; implicit-def: $vgpr208_vgpr209
.LBB111_14:
	s_andn2_saveexec_b64 s[2:3], s[2:3]
	s_cbranch_execz .LBB111_16
; %bb.15:
	v_div_scale_f64 v[204:205], s[10:11], v[208:209], v[208:209], v[210:211]
	v_rcp_f64_e32 v[206:207], v[204:205]
	v_div_scale_f64 v[212:213], vcc, v[210:211], v[208:209], v[210:211]
	v_fma_f64 v[214:215], -v[204:205], v[206:207], 1.0
	v_fmac_f64_e32 v[206:207], v[206:207], v[214:215]
	v_fma_f64 v[214:215], -v[204:205], v[206:207], 1.0
	v_fmac_f64_e32 v[206:207], v[206:207], v[214:215]
	v_mul_f64 v[214:215], v[212:213], v[206:207]
	v_fma_f64 v[204:205], -v[204:205], v[214:215], v[212:213]
	v_div_fmas_f64 v[204:205], v[204:205], v[206:207], v[214:215]
	v_div_fixup_f64 v[206:207], v[204:205], v[208:209], v[210:211]
	v_fmac_f64_e32 v[208:209], v[210:211], v[206:207]
	v_div_scale_f64 v[204:205], s[10:11], v[208:209], v[208:209], 1.0
	v_rcp_f64_e32 v[210:211], v[204:205]
	s_nop 0
	v_fma_f64 v[212:213], -v[204:205], v[210:211], 1.0
	v_fmac_f64_e32 v[210:211], v[210:211], v[212:213]
	v_fma_f64 v[212:213], -v[204:205], v[210:211], 1.0
	v_fmac_f64_e32 v[210:211], v[210:211], v[212:213]
	v_div_scale_f64 v[212:213], vcc, 1.0, v[208:209], 1.0
	v_mul_f64 v[214:215], v[212:213], v[210:211]
	v_fma_f64 v[204:205], -v[204:205], v[214:215], v[212:213]
	s_nop 1
	v_div_fmas_f64 v[204:205], v[204:205], v[210:211], v[214:215]
	v_div_fixup_f64 v[204:205], v[204:205], v[208:209], 1.0
	v_mul_f64 v[206:207], v[206:207], -v[204:205]
.LBB111_16:
	s_or_b64 exec, exec, s[2:3]
	ds_write2_b64 v201, v[204:205], v[206:207] offset1:1
.LBB111_17:
	s_or_b64 exec, exec, s[4:5]
	s_waitcnt lgkmcnt(0)
	s_barrier
	ds_read2_b64 v[192:195], v201 offset1:1
	v_cmp_lt_u32_e32 vcc, 1, v200
	s_waitcnt lgkmcnt(0)
	scratch_store_dwordx4 off, v[192:195], off offset:560 ; 16-byte Folded Spill
	s_and_saveexec_b64 s[2:3], vcc
	s_cbranch_execz .LBB111_19
; %bb.18:
	scratch_load_dwordx4 v[210:213], off, off offset:64 ; 16-byte Folded Reload
	scratch_load_dwordx4 v[192:195], off, off offset:560 ; 16-byte Folded Reload
	s_waitcnt vmcnt(0)
	v_mul_f64 v[204:205], v[194:195], v[212:213]
	v_mul_f64 v[212:213], v[192:193], v[212:213]
	v_fma_f64 v[208:209], v[192:193], v[210:211], -v[204:205]
	v_fmac_f64_e32 v[212:213], v[194:195], v[210:211]
	scratch_load_dwordx4 v[192:195], off, off offset:48 ; 16-byte Folded Reload
	ds_read2_b64 v[204:207], v202 offset0:4 offset1:5
	s_waitcnt lgkmcnt(0)
	v_mul_f64 v[210:211], v[206:207], v[212:213]
	v_fma_f64 v[210:211], v[204:205], v[208:209], -v[210:211]
	v_mul_f64 v[204:205], v[204:205], v[212:213]
	v_fmac_f64_e32 v[204:205], v[206:207], v[208:209]
	s_waitcnt vmcnt(0)
	v_add_f64 v[192:193], v[192:193], -v[210:211]
	v_add_f64 v[194:195], v[194:195], -v[204:205]
	scratch_store_dwordx4 off, v[192:195], off offset:48 ; 16-byte Folded Spill
	scratch_load_dwordx4 v[192:195], off, off offset:32 ; 16-byte Folded Reload
	ds_read2_b64 v[204:207], v202 offset0:6 offset1:7
	s_waitcnt lgkmcnt(0)
	v_mul_f64 v[210:211], v[206:207], v[212:213]
	v_fma_f64 v[210:211], v[204:205], v[208:209], -v[210:211]
	v_mul_f64 v[204:205], v[204:205], v[212:213]
	v_fmac_f64_e32 v[204:205], v[206:207], v[208:209]
	s_waitcnt vmcnt(0)
	v_add_f64 v[192:193], v[192:193], -v[210:211]
	v_add_f64 v[194:195], v[194:195], -v[204:205]
	scratch_store_dwordx4 off, v[192:195], off offset:32 ; 16-byte Folded Spill
	;; [unrolled: 11-line block ×3, first 2 shown]
	scratch_load_dwordx4 v[192:195], off, off ; 16-byte Folded Reload
	ds_read2_b64 v[204:207], v202 offset0:10 offset1:11
	s_waitcnt lgkmcnt(0)
	v_mul_f64 v[210:211], v[206:207], v[212:213]
	v_fma_f64 v[210:211], v[204:205], v[208:209], -v[210:211]
	v_mul_f64 v[204:205], v[204:205], v[212:213]
	v_fmac_f64_e32 v[204:205], v[206:207], v[208:209]
	v_add_f64 v[198:199], v[198:199], -v[204:205]
	ds_read2_b64 v[204:207], v202 offset0:12 offset1:13
	v_add_f64 v[196:197], v[196:197], -v[210:211]
	s_waitcnt lgkmcnt(0)
	v_mul_f64 v[210:211], v[206:207], v[212:213]
	v_fma_f64 v[210:211], v[204:205], v[208:209], -v[210:211]
	v_mul_f64 v[204:205], v[204:205], v[212:213]
	v_fmac_f64_e32 v[204:205], v[206:207], v[208:209]
	s_waitcnt vmcnt(0)
	v_add_f64 v[194:195], v[194:195], -v[204:205]
	ds_read2_b64 v[204:207], v202 offset0:14 offset1:15
	v_add_f64 v[192:193], v[192:193], -v[210:211]
	scratch_store_dwordx4 off, v[192:195], off ; 16-byte Folded Spill
	s_waitcnt lgkmcnt(0)
	v_mul_f64 v[210:211], v[206:207], v[212:213]
	v_fma_f64 v[210:211], v[204:205], v[208:209], -v[210:211]
	v_mul_f64 v[204:205], v[204:205], v[212:213]
	v_fmac_f64_e32 v[204:205], v[206:207], v[208:209]
	v_add_f64 v[190:191], v[190:191], -v[204:205]
	ds_read2_b64 v[204:207], v202 offset0:16 offset1:17
	v_add_f64 v[188:189], v[188:189], -v[210:211]
	s_waitcnt lgkmcnt(0)
	v_mul_f64 v[210:211], v[206:207], v[212:213]
	v_fma_f64 v[210:211], v[204:205], v[208:209], -v[210:211]
	v_mul_f64 v[204:205], v[204:205], v[212:213]
	v_fmac_f64_e32 v[204:205], v[206:207], v[208:209]
	v_add_f64 v[186:187], v[186:187], -v[204:205]
	ds_read2_b64 v[204:207], v202 offset0:18 offset1:19
	v_add_f64 v[184:185], v[184:185], -v[210:211]
	;; [unrolled: 8-line block ×48, first 2 shown]
	s_waitcnt lgkmcnt(0)
	v_mul_f64 v[210:211], v[206:207], v[212:213]
	v_fma_f64 v[210:211], v[204:205], v[208:209], -v[210:211]
	v_mul_f64 v[204:205], v[204:205], v[212:213]
	v_fmac_f64_e32 v[204:205], v[206:207], v[208:209]
	v_add_f64 v[220:221], v[220:221], -v[210:211]
	v_add_f64 v[222:223], v[222:223], -v[204:205]
	v_mov_b64_e32 v[210:211], v[208:209]
	scratch_store_dwordx4 off, v[210:213], off offset:64 ; 16-byte Folded Spill
.LBB111_19:
	s_or_b64 exec, exec, s[2:3]
	v_cmp_eq_u32_e32 vcc, 2, v200
	s_waitcnt vmcnt(63) expcnt(7) lgkmcnt(15)
	s_barrier
	s_and_saveexec_b64 s[4:5], vcc
	s_cbranch_execz .LBB111_26
; %bb.20:
	scratch_load_dwordx4 v[192:195], off, off offset:48 ; 16-byte Folded Reload
	s_waitcnt vmcnt(0)
	ds_write2_b64 v201, v[192:193], v[194:195] offset1:1
	scratch_load_dwordx4 v[192:195], off, off offset:32 ; 16-byte Folded Reload
	s_waitcnt vmcnt(0)
	ds_write2_b64 v202, v[192:193], v[194:195] offset0:6 offset1:7
	scratch_load_dwordx4 v[192:195], off, off offset:16 ; 16-byte Folded Reload
	s_waitcnt vmcnt(0)
	ds_write2_b64 v202, v[192:193], v[194:195] offset0:8 offset1:9
	ds_write2_b64 v202, v[196:197], v[198:199] offset0:10 offset1:11
	scratch_load_dwordx4 v[192:195], off, off ; 16-byte Folded Reload
	s_waitcnt vmcnt(0)
	ds_write2_b64 v202, v[192:193], v[194:195] offset0:12 offset1:13
	ds_write2_b64 v202, v[188:189], v[190:191] offset0:14 offset1:15
	;; [unrolled: 1-line block ×50, first 2 shown]
	ds_read2_b64 v[208:211], v201 offset1:1
	s_waitcnt lgkmcnt(0)
	v_cmp_neq_f64_e32 vcc, 0, v[208:209]
	v_cmp_neq_f64_e64 s[2:3], 0, v[210:211]
	s_or_b64 s[2:3], vcc, s[2:3]
	s_and_b64 exec, exec, s[2:3]
	s_cbranch_execz .LBB111_26
; %bb.21:
	v_cmp_ngt_f64_e64 s[2:3], |v[208:209]|, |v[210:211]|
                                        ; implicit-def: $vgpr204_vgpr205
	s_and_saveexec_b64 s[10:11], s[2:3]
	s_xor_b64 s[2:3], exec, s[10:11]
                                        ; implicit-def: $vgpr206_vgpr207
	s_cbranch_execz .LBB111_23
; %bb.22:
	v_div_scale_f64 v[204:205], s[10:11], v[210:211], v[210:211], v[208:209]
	v_rcp_f64_e32 v[206:207], v[204:205]
	v_div_scale_f64 v[212:213], vcc, v[208:209], v[210:211], v[208:209]
	v_fma_f64 v[214:215], -v[204:205], v[206:207], 1.0
	v_fmac_f64_e32 v[206:207], v[206:207], v[214:215]
	v_fma_f64 v[214:215], -v[204:205], v[206:207], 1.0
	v_fmac_f64_e32 v[206:207], v[206:207], v[214:215]
	v_mul_f64 v[214:215], v[212:213], v[206:207]
	v_fma_f64 v[204:205], -v[204:205], v[214:215], v[212:213]
	v_div_fmas_f64 v[204:205], v[204:205], v[206:207], v[214:215]
	v_div_fixup_f64 v[204:205], v[204:205], v[210:211], v[208:209]
	v_fmac_f64_e32 v[210:211], v[208:209], v[204:205]
	v_div_scale_f64 v[206:207], s[10:11], v[210:211], v[210:211], 1.0
	v_rcp_f64_e32 v[208:209], v[206:207]
	s_nop 0
	v_fma_f64 v[212:213], -v[206:207], v[208:209], 1.0
	v_fmac_f64_e32 v[208:209], v[208:209], v[212:213]
	v_fma_f64 v[212:213], -v[206:207], v[208:209], 1.0
	v_fmac_f64_e32 v[208:209], v[208:209], v[212:213]
	v_div_scale_f64 v[212:213], vcc, 1.0, v[210:211], 1.0
	v_mul_f64 v[214:215], v[212:213], v[208:209]
	v_fma_f64 v[206:207], -v[206:207], v[214:215], v[212:213]
	s_nop 1
	v_div_fmas_f64 v[206:207], v[206:207], v[208:209], v[214:215]
	v_div_fixup_f64 v[206:207], v[206:207], v[210:211], 1.0
	v_mul_f64 v[204:205], v[204:205], v[206:207]
	v_xor_b32_e32 v207, 0x80000000, v207
                                        ; implicit-def: $vgpr208_vgpr209
.LBB111_23:
	s_andn2_saveexec_b64 s[2:3], s[2:3]
	s_cbranch_execz .LBB111_25
; %bb.24:
	v_div_scale_f64 v[204:205], s[10:11], v[208:209], v[208:209], v[210:211]
	v_rcp_f64_e32 v[206:207], v[204:205]
	v_div_scale_f64 v[212:213], vcc, v[210:211], v[208:209], v[210:211]
	v_fma_f64 v[214:215], -v[204:205], v[206:207], 1.0
	v_fmac_f64_e32 v[206:207], v[206:207], v[214:215]
	v_fma_f64 v[214:215], -v[204:205], v[206:207], 1.0
	v_fmac_f64_e32 v[206:207], v[206:207], v[214:215]
	v_mul_f64 v[214:215], v[212:213], v[206:207]
	v_fma_f64 v[204:205], -v[204:205], v[214:215], v[212:213]
	v_div_fmas_f64 v[204:205], v[204:205], v[206:207], v[214:215]
	v_div_fixup_f64 v[206:207], v[204:205], v[208:209], v[210:211]
	v_fmac_f64_e32 v[208:209], v[210:211], v[206:207]
	v_div_scale_f64 v[204:205], s[10:11], v[208:209], v[208:209], 1.0
	v_rcp_f64_e32 v[210:211], v[204:205]
	s_nop 0
	v_fma_f64 v[212:213], -v[204:205], v[210:211], 1.0
	v_fmac_f64_e32 v[210:211], v[210:211], v[212:213]
	v_fma_f64 v[212:213], -v[204:205], v[210:211], 1.0
	v_fmac_f64_e32 v[210:211], v[210:211], v[212:213]
	v_div_scale_f64 v[212:213], vcc, 1.0, v[208:209], 1.0
	v_mul_f64 v[214:215], v[212:213], v[210:211]
	v_fma_f64 v[204:205], -v[204:205], v[214:215], v[212:213]
	s_nop 1
	v_div_fmas_f64 v[204:205], v[204:205], v[210:211], v[214:215]
	v_div_fixup_f64 v[204:205], v[204:205], v[208:209], 1.0
	v_mul_f64 v[206:207], v[206:207], -v[204:205]
.LBB111_25:
	s_or_b64 exec, exec, s[2:3]
	ds_write2_b64 v201, v[204:205], v[206:207] offset1:1
.LBB111_26:
	s_or_b64 exec, exec, s[4:5]
	s_waitcnt lgkmcnt(0)
	s_barrier
	ds_read2_b64 v[192:195], v201 offset1:1
	v_cmp_lt_u32_e32 vcc, 2, v200
	s_waitcnt lgkmcnt(0)
	scratch_store_dwordx4 off, v[192:195], off offset:576 ; 16-byte Folded Spill
	s_and_saveexec_b64 s[2:3], vcc
	s_cbranch_execz .LBB111_28
; %bb.27:
	scratch_load_dwordx4 v[210:213], off, off offset:48 ; 16-byte Folded Reload
	scratch_load_dwordx4 v[192:195], off, off offset:576 ; 16-byte Folded Reload
	s_waitcnt vmcnt(0)
	v_mul_f64 v[204:205], v[194:195], v[212:213]
	v_mul_f64 v[212:213], v[192:193], v[212:213]
	v_fma_f64 v[208:209], v[192:193], v[210:211], -v[204:205]
	v_fmac_f64_e32 v[212:213], v[194:195], v[210:211]
	scratch_load_dwordx4 v[192:195], off, off offset:32 ; 16-byte Folded Reload
	ds_read2_b64 v[204:207], v202 offset0:6 offset1:7
	s_waitcnt lgkmcnt(0)
	v_mul_f64 v[210:211], v[206:207], v[212:213]
	v_fma_f64 v[210:211], v[204:205], v[208:209], -v[210:211]
	v_mul_f64 v[204:205], v[204:205], v[212:213]
	v_fmac_f64_e32 v[204:205], v[206:207], v[208:209]
	s_waitcnt vmcnt(0)
	v_add_f64 v[192:193], v[192:193], -v[210:211]
	v_add_f64 v[194:195], v[194:195], -v[204:205]
	scratch_store_dwordx4 off, v[192:195], off offset:32 ; 16-byte Folded Spill
	scratch_load_dwordx4 v[192:195], off, off offset:16 ; 16-byte Folded Reload
	ds_read2_b64 v[204:207], v202 offset0:8 offset1:9
	s_waitcnt lgkmcnt(0)
	v_mul_f64 v[210:211], v[206:207], v[212:213]
	v_fma_f64 v[210:211], v[204:205], v[208:209], -v[210:211]
	v_mul_f64 v[204:205], v[204:205], v[212:213]
	v_fmac_f64_e32 v[204:205], v[206:207], v[208:209]
	s_waitcnt vmcnt(0)
	v_add_f64 v[192:193], v[192:193], -v[210:211]
	v_add_f64 v[194:195], v[194:195], -v[204:205]
	scratch_store_dwordx4 off, v[192:195], off offset:16 ; 16-byte Folded Spill
	scratch_load_dwordx4 v[192:195], off, off ; 16-byte Folded Reload
	ds_read2_b64 v[204:207], v202 offset0:10 offset1:11
	s_waitcnt lgkmcnt(0)
	v_mul_f64 v[210:211], v[206:207], v[212:213]
	v_fma_f64 v[210:211], v[204:205], v[208:209], -v[210:211]
	v_mul_f64 v[204:205], v[204:205], v[212:213]
	v_fmac_f64_e32 v[204:205], v[206:207], v[208:209]
	v_add_f64 v[198:199], v[198:199], -v[204:205]
	ds_read2_b64 v[204:207], v202 offset0:12 offset1:13
	v_add_f64 v[196:197], v[196:197], -v[210:211]
	s_waitcnt lgkmcnt(0)
	v_mul_f64 v[210:211], v[206:207], v[212:213]
	v_fma_f64 v[210:211], v[204:205], v[208:209], -v[210:211]
	v_mul_f64 v[204:205], v[204:205], v[212:213]
	v_fmac_f64_e32 v[204:205], v[206:207], v[208:209]
	s_waitcnt vmcnt(0)
	v_add_f64 v[194:195], v[194:195], -v[204:205]
	ds_read2_b64 v[204:207], v202 offset0:14 offset1:15
	v_add_f64 v[192:193], v[192:193], -v[210:211]
	scratch_store_dwordx4 off, v[192:195], off ; 16-byte Folded Spill
	s_waitcnt lgkmcnt(0)
	v_mul_f64 v[210:211], v[206:207], v[212:213]
	v_fma_f64 v[210:211], v[204:205], v[208:209], -v[210:211]
	v_mul_f64 v[204:205], v[204:205], v[212:213]
	v_fmac_f64_e32 v[204:205], v[206:207], v[208:209]
	v_add_f64 v[190:191], v[190:191], -v[204:205]
	ds_read2_b64 v[204:207], v202 offset0:16 offset1:17
	v_add_f64 v[188:189], v[188:189], -v[210:211]
	s_waitcnt lgkmcnt(0)
	v_mul_f64 v[210:211], v[206:207], v[212:213]
	v_fma_f64 v[210:211], v[204:205], v[208:209], -v[210:211]
	v_mul_f64 v[204:205], v[204:205], v[212:213]
	v_fmac_f64_e32 v[204:205], v[206:207], v[208:209]
	v_add_f64 v[186:187], v[186:187], -v[204:205]
	ds_read2_b64 v[204:207], v202 offset0:18 offset1:19
	v_add_f64 v[184:185], v[184:185], -v[210:211]
	;; [unrolled: 8-line block ×48, first 2 shown]
	s_waitcnt lgkmcnt(0)
	v_mul_f64 v[210:211], v[206:207], v[212:213]
	v_fma_f64 v[210:211], v[204:205], v[208:209], -v[210:211]
	v_mul_f64 v[204:205], v[204:205], v[212:213]
	v_fmac_f64_e32 v[204:205], v[206:207], v[208:209]
	v_add_f64 v[220:221], v[220:221], -v[210:211]
	v_add_f64 v[222:223], v[222:223], -v[204:205]
	v_mov_b64_e32 v[210:211], v[208:209]
	scratch_store_dwordx4 off, v[210:213], off offset:48 ; 16-byte Folded Spill
.LBB111_28:
	s_or_b64 exec, exec, s[2:3]
	v_cmp_eq_u32_e32 vcc, 3, v200
	s_waitcnt vmcnt(63) expcnt(7) lgkmcnt(15)
	s_barrier
	s_and_saveexec_b64 s[4:5], vcc
	s_cbranch_execz .LBB111_35
; %bb.29:
	scratch_load_dwordx4 v[192:195], off, off offset:32 ; 16-byte Folded Reload
	s_waitcnt vmcnt(0)
	ds_write2_b64 v201, v[192:193], v[194:195] offset1:1
	scratch_load_dwordx4 v[192:195], off, off offset:16 ; 16-byte Folded Reload
	s_waitcnt vmcnt(0)
	ds_write2_b64 v202, v[192:193], v[194:195] offset0:8 offset1:9
	ds_write2_b64 v202, v[196:197], v[198:199] offset0:10 offset1:11
	scratch_load_dwordx4 v[192:195], off, off ; 16-byte Folded Reload
	s_waitcnt vmcnt(0)
	ds_write2_b64 v202, v[192:193], v[194:195] offset0:12 offset1:13
	ds_write2_b64 v202, v[188:189], v[190:191] offset0:14 offset1:15
	ds_write2_b64 v202, v[184:185], v[186:187] offset0:16 offset1:17
	ds_write2_b64 v202, v[180:181], v[182:183] offset0:18 offset1:19
	ds_write2_b64 v202, v[176:177], v[178:179] offset0:20 offset1:21
	ds_write2_b64 v202, v[172:173], v[174:175] offset0:22 offset1:23
	ds_write2_b64 v202, v[168:169], v[170:171] offset0:24 offset1:25
	ds_write2_b64 v202, v[164:165], v[166:167] offset0:26 offset1:27
	ds_write2_b64 v202, v[160:161], v[162:163] offset0:28 offset1:29
	ds_write2_b64 v202, v[156:157], v[158:159] offset0:30 offset1:31
	ds_write2_b64 v202, v[152:153], v[154:155] offset0:32 offset1:33
	ds_write2_b64 v202, v[148:149], v[150:151] offset0:34 offset1:35
	ds_write2_b64 v202, v[144:145], v[146:147] offset0:36 offset1:37
	ds_write2_b64 v202, v[140:141], v[142:143] offset0:38 offset1:39
	ds_write2_b64 v202, v[136:137], v[138:139] offset0:40 offset1:41
	ds_write2_b64 v202, v[132:133], v[134:135] offset0:42 offset1:43
	ds_write2_b64 v202, v[128:129], v[130:131] offset0:44 offset1:45
	ds_write2_b64 v202, v[124:125], v[126:127] offset0:46 offset1:47
	ds_write2_b64 v202, v[120:121], v[122:123] offset0:48 offset1:49
	ds_write2_b64 v202, v[116:117], v[118:119] offset0:50 offset1:51
	ds_write2_b64 v202, v[112:113], v[114:115] offset0:52 offset1:53
	ds_write2_b64 v202, v[108:109], v[110:111] offset0:54 offset1:55
	ds_write2_b64 v202, v[104:105], v[106:107] offset0:56 offset1:57
	ds_write2_b64 v202, v[100:101], v[102:103] offset0:58 offset1:59
	ds_write2_b64 v202, v[96:97], v[98:99] offset0:60 offset1:61
	ds_write2_b64 v202, v[92:93], v[94:95] offset0:62 offset1:63
	ds_write2_b64 v202, v[88:89], v[90:91] offset0:64 offset1:65
	ds_write2_b64 v202, v[84:85], v[86:87] offset0:66 offset1:67
	ds_write2_b64 v202, v[80:81], v[82:83] offset0:68 offset1:69
	ds_write2_b64 v202, v[76:77], v[78:79] offset0:70 offset1:71
	ds_write2_b64 v202, v[72:73], v[74:75] offset0:72 offset1:73
	ds_write2_b64 v202, v[68:69], v[70:71] offset0:74 offset1:75
	ds_write2_b64 v202, v[64:65], v[66:67] offset0:76 offset1:77
	ds_write2_b64 v202, v[60:61], v[62:63] offset0:78 offset1:79
	ds_write2_b64 v202, v[56:57], v[58:59] offset0:80 offset1:81
	ds_write2_b64 v202, v[52:53], v[54:55] offset0:82 offset1:83
	ds_write2_b64 v202, v[48:49], v[50:51] offset0:84 offset1:85
	ds_write2_b64 v202, v[44:45], v[46:47] offset0:86 offset1:87
	ds_write2_b64 v202, v[40:41], v[42:43] offset0:88 offset1:89
	ds_write2_b64 v202, v[36:37], v[38:39] offset0:90 offset1:91
	ds_write2_b64 v202, v[32:33], v[34:35] offset0:92 offset1:93
	ds_write2_b64 v202, v[28:29], v[30:31] offset0:94 offset1:95
	ds_write2_b64 v202, v[24:25], v[26:27] offset0:96 offset1:97
	ds_write2_b64 v202, v[20:21], v[22:23] offset0:98 offset1:99
	ds_write2_b64 v202, v[16:17], v[18:19] offset0:100 offset1:101
	ds_write2_b64 v202, v[12:13], v[14:15] offset0:102 offset1:103
	ds_write2_b64 v202, v[8:9], v[10:11] offset0:104 offset1:105
	ds_write2_b64 v202, v[4:5], v[6:7] offset0:106 offset1:107
	ds_write2_b64 v202, v[0:1], v[2:3] offset0:108 offset1:109
	ds_write2_b64 v202, v[220:221], v[222:223] offset0:110 offset1:111
	ds_read2_b64 v[208:211], v201 offset1:1
	s_waitcnt lgkmcnt(0)
	v_cmp_neq_f64_e32 vcc, 0, v[208:209]
	v_cmp_neq_f64_e64 s[2:3], 0, v[210:211]
	s_or_b64 s[2:3], vcc, s[2:3]
	s_and_b64 exec, exec, s[2:3]
	s_cbranch_execz .LBB111_35
; %bb.30:
	v_cmp_ngt_f64_e64 s[2:3], |v[208:209]|, |v[210:211]|
                                        ; implicit-def: $vgpr204_vgpr205
	s_and_saveexec_b64 s[10:11], s[2:3]
	s_xor_b64 s[2:3], exec, s[10:11]
                                        ; implicit-def: $vgpr206_vgpr207
	s_cbranch_execz .LBB111_32
; %bb.31:
	v_div_scale_f64 v[204:205], s[10:11], v[210:211], v[210:211], v[208:209]
	v_rcp_f64_e32 v[206:207], v[204:205]
	v_div_scale_f64 v[212:213], vcc, v[208:209], v[210:211], v[208:209]
	v_fma_f64 v[214:215], -v[204:205], v[206:207], 1.0
	v_fmac_f64_e32 v[206:207], v[206:207], v[214:215]
	v_fma_f64 v[214:215], -v[204:205], v[206:207], 1.0
	v_fmac_f64_e32 v[206:207], v[206:207], v[214:215]
	v_mul_f64 v[214:215], v[212:213], v[206:207]
	v_fma_f64 v[204:205], -v[204:205], v[214:215], v[212:213]
	v_div_fmas_f64 v[204:205], v[204:205], v[206:207], v[214:215]
	v_div_fixup_f64 v[204:205], v[204:205], v[210:211], v[208:209]
	v_fmac_f64_e32 v[210:211], v[208:209], v[204:205]
	v_div_scale_f64 v[206:207], s[10:11], v[210:211], v[210:211], 1.0
	v_rcp_f64_e32 v[208:209], v[206:207]
	s_nop 0
	v_fma_f64 v[212:213], -v[206:207], v[208:209], 1.0
	v_fmac_f64_e32 v[208:209], v[208:209], v[212:213]
	v_fma_f64 v[212:213], -v[206:207], v[208:209], 1.0
	v_fmac_f64_e32 v[208:209], v[208:209], v[212:213]
	v_div_scale_f64 v[212:213], vcc, 1.0, v[210:211], 1.0
	v_mul_f64 v[214:215], v[212:213], v[208:209]
	v_fma_f64 v[206:207], -v[206:207], v[214:215], v[212:213]
	s_nop 1
	v_div_fmas_f64 v[206:207], v[206:207], v[208:209], v[214:215]
	v_div_fixup_f64 v[206:207], v[206:207], v[210:211], 1.0
	v_mul_f64 v[204:205], v[204:205], v[206:207]
	v_xor_b32_e32 v207, 0x80000000, v207
                                        ; implicit-def: $vgpr208_vgpr209
.LBB111_32:
	s_andn2_saveexec_b64 s[2:3], s[2:3]
	s_cbranch_execz .LBB111_34
; %bb.33:
	v_div_scale_f64 v[204:205], s[10:11], v[208:209], v[208:209], v[210:211]
	v_rcp_f64_e32 v[206:207], v[204:205]
	v_div_scale_f64 v[212:213], vcc, v[210:211], v[208:209], v[210:211]
	v_fma_f64 v[214:215], -v[204:205], v[206:207], 1.0
	v_fmac_f64_e32 v[206:207], v[206:207], v[214:215]
	v_fma_f64 v[214:215], -v[204:205], v[206:207], 1.0
	v_fmac_f64_e32 v[206:207], v[206:207], v[214:215]
	v_mul_f64 v[214:215], v[212:213], v[206:207]
	v_fma_f64 v[204:205], -v[204:205], v[214:215], v[212:213]
	v_div_fmas_f64 v[204:205], v[204:205], v[206:207], v[214:215]
	v_div_fixup_f64 v[206:207], v[204:205], v[208:209], v[210:211]
	v_fmac_f64_e32 v[208:209], v[210:211], v[206:207]
	v_div_scale_f64 v[204:205], s[10:11], v[208:209], v[208:209], 1.0
	v_rcp_f64_e32 v[210:211], v[204:205]
	s_nop 0
	v_fma_f64 v[212:213], -v[204:205], v[210:211], 1.0
	v_fmac_f64_e32 v[210:211], v[210:211], v[212:213]
	v_fma_f64 v[212:213], -v[204:205], v[210:211], 1.0
	v_fmac_f64_e32 v[210:211], v[210:211], v[212:213]
	v_div_scale_f64 v[212:213], vcc, 1.0, v[208:209], 1.0
	v_mul_f64 v[214:215], v[212:213], v[210:211]
	v_fma_f64 v[204:205], -v[204:205], v[214:215], v[212:213]
	s_nop 1
	v_div_fmas_f64 v[204:205], v[204:205], v[210:211], v[214:215]
	v_div_fixup_f64 v[204:205], v[204:205], v[208:209], 1.0
	v_mul_f64 v[206:207], v[206:207], -v[204:205]
.LBB111_34:
	s_or_b64 exec, exec, s[2:3]
	ds_write2_b64 v201, v[204:205], v[206:207] offset1:1
.LBB111_35:
	s_or_b64 exec, exec, s[4:5]
	s_waitcnt lgkmcnt(0)
	s_barrier
	ds_read2_b64 v[192:195], v201 offset1:1
	v_cmp_lt_u32_e32 vcc, 3, v200
	s_waitcnt lgkmcnt(0)
	scratch_store_dwordx4 off, v[192:195], off offset:592 ; 16-byte Folded Spill
	s_and_saveexec_b64 s[2:3], vcc
	s_cbranch_execz .LBB111_37
; %bb.36:
	scratch_load_dwordx4 v[210:213], off, off offset:32 ; 16-byte Folded Reload
	scratch_load_dwordx4 v[192:195], off, off offset:592 ; 16-byte Folded Reload
	s_waitcnt vmcnt(0)
	v_mul_f64 v[204:205], v[194:195], v[212:213]
	v_mul_f64 v[212:213], v[192:193], v[212:213]
	v_fma_f64 v[208:209], v[192:193], v[210:211], -v[204:205]
	v_fmac_f64_e32 v[212:213], v[194:195], v[210:211]
	scratch_load_dwordx4 v[192:195], off, off offset:16 ; 16-byte Folded Reload
	ds_read2_b64 v[204:207], v202 offset0:8 offset1:9
	s_waitcnt lgkmcnt(0)
	v_mul_f64 v[210:211], v[206:207], v[212:213]
	v_fma_f64 v[210:211], v[204:205], v[208:209], -v[210:211]
	v_mul_f64 v[204:205], v[204:205], v[212:213]
	v_fmac_f64_e32 v[204:205], v[206:207], v[208:209]
	s_waitcnt vmcnt(0)
	v_add_f64 v[192:193], v[192:193], -v[210:211]
	v_add_f64 v[194:195], v[194:195], -v[204:205]
	scratch_store_dwordx4 off, v[192:195], off offset:16 ; 16-byte Folded Spill
	scratch_load_dwordx4 v[192:195], off, off ; 16-byte Folded Reload
	ds_read2_b64 v[204:207], v202 offset0:10 offset1:11
	s_waitcnt lgkmcnt(0)
	v_mul_f64 v[210:211], v[206:207], v[212:213]
	v_fma_f64 v[210:211], v[204:205], v[208:209], -v[210:211]
	v_mul_f64 v[204:205], v[204:205], v[212:213]
	v_fmac_f64_e32 v[204:205], v[206:207], v[208:209]
	v_add_f64 v[198:199], v[198:199], -v[204:205]
	ds_read2_b64 v[204:207], v202 offset0:12 offset1:13
	v_add_f64 v[196:197], v[196:197], -v[210:211]
	s_waitcnt lgkmcnt(0)
	v_mul_f64 v[210:211], v[206:207], v[212:213]
	v_fma_f64 v[210:211], v[204:205], v[208:209], -v[210:211]
	v_mul_f64 v[204:205], v[204:205], v[212:213]
	v_fmac_f64_e32 v[204:205], v[206:207], v[208:209]
	s_waitcnt vmcnt(0)
	v_add_f64 v[194:195], v[194:195], -v[204:205]
	ds_read2_b64 v[204:207], v202 offset0:14 offset1:15
	v_add_f64 v[192:193], v[192:193], -v[210:211]
	scratch_store_dwordx4 off, v[192:195], off ; 16-byte Folded Spill
	s_waitcnt lgkmcnt(0)
	v_mul_f64 v[210:211], v[206:207], v[212:213]
	v_fma_f64 v[210:211], v[204:205], v[208:209], -v[210:211]
	v_mul_f64 v[204:205], v[204:205], v[212:213]
	v_fmac_f64_e32 v[204:205], v[206:207], v[208:209]
	v_add_f64 v[190:191], v[190:191], -v[204:205]
	ds_read2_b64 v[204:207], v202 offset0:16 offset1:17
	v_add_f64 v[188:189], v[188:189], -v[210:211]
	s_waitcnt lgkmcnt(0)
	v_mul_f64 v[210:211], v[206:207], v[212:213]
	v_fma_f64 v[210:211], v[204:205], v[208:209], -v[210:211]
	v_mul_f64 v[204:205], v[204:205], v[212:213]
	v_fmac_f64_e32 v[204:205], v[206:207], v[208:209]
	v_add_f64 v[186:187], v[186:187], -v[204:205]
	ds_read2_b64 v[204:207], v202 offset0:18 offset1:19
	v_add_f64 v[184:185], v[184:185], -v[210:211]
	;; [unrolled: 8-line block ×48, first 2 shown]
	s_waitcnt lgkmcnt(0)
	v_mul_f64 v[210:211], v[206:207], v[212:213]
	v_fma_f64 v[210:211], v[204:205], v[208:209], -v[210:211]
	v_mul_f64 v[204:205], v[204:205], v[212:213]
	v_fmac_f64_e32 v[204:205], v[206:207], v[208:209]
	v_add_f64 v[220:221], v[220:221], -v[210:211]
	v_add_f64 v[222:223], v[222:223], -v[204:205]
	v_mov_b64_e32 v[210:211], v[208:209]
	scratch_store_dwordx4 off, v[210:213], off offset:32 ; 16-byte Folded Spill
.LBB111_37:
	s_or_b64 exec, exec, s[2:3]
	v_cmp_eq_u32_e32 vcc, 4, v200
	s_waitcnt vmcnt(63) expcnt(7) lgkmcnt(15)
	s_barrier
	s_and_saveexec_b64 s[4:5], vcc
	s_cbranch_execz .LBB111_44
; %bb.38:
	scratch_load_dwordx4 v[192:195], off, off offset:16 ; 16-byte Folded Reload
	s_waitcnt vmcnt(0)
	ds_write2_b64 v201, v[192:193], v[194:195] offset1:1
	ds_write2_b64 v202, v[196:197], v[198:199] offset0:10 offset1:11
	scratch_load_dwordx4 v[192:195], off, off ; 16-byte Folded Reload
	s_waitcnt vmcnt(0)
	ds_write2_b64 v202, v[192:193], v[194:195] offset0:12 offset1:13
	ds_write2_b64 v202, v[188:189], v[190:191] offset0:14 offset1:15
	;; [unrolled: 1-line block ×50, first 2 shown]
	ds_read2_b64 v[208:211], v201 offset1:1
	s_waitcnt lgkmcnt(0)
	v_cmp_neq_f64_e32 vcc, 0, v[208:209]
	v_cmp_neq_f64_e64 s[2:3], 0, v[210:211]
	s_or_b64 s[2:3], vcc, s[2:3]
	s_and_b64 exec, exec, s[2:3]
	s_cbranch_execz .LBB111_44
; %bb.39:
	v_cmp_ngt_f64_e64 s[2:3], |v[208:209]|, |v[210:211]|
                                        ; implicit-def: $vgpr204_vgpr205
	s_and_saveexec_b64 s[10:11], s[2:3]
	s_xor_b64 s[2:3], exec, s[10:11]
                                        ; implicit-def: $vgpr206_vgpr207
	s_cbranch_execz .LBB111_41
; %bb.40:
	v_div_scale_f64 v[204:205], s[10:11], v[210:211], v[210:211], v[208:209]
	v_rcp_f64_e32 v[206:207], v[204:205]
	v_div_scale_f64 v[212:213], vcc, v[208:209], v[210:211], v[208:209]
	v_fma_f64 v[214:215], -v[204:205], v[206:207], 1.0
	v_fmac_f64_e32 v[206:207], v[206:207], v[214:215]
	v_fma_f64 v[214:215], -v[204:205], v[206:207], 1.0
	v_fmac_f64_e32 v[206:207], v[206:207], v[214:215]
	v_mul_f64 v[214:215], v[212:213], v[206:207]
	v_fma_f64 v[204:205], -v[204:205], v[214:215], v[212:213]
	v_div_fmas_f64 v[204:205], v[204:205], v[206:207], v[214:215]
	v_div_fixup_f64 v[204:205], v[204:205], v[210:211], v[208:209]
	v_fmac_f64_e32 v[210:211], v[208:209], v[204:205]
	v_div_scale_f64 v[206:207], s[10:11], v[210:211], v[210:211], 1.0
	v_rcp_f64_e32 v[208:209], v[206:207]
	s_nop 0
	v_fma_f64 v[212:213], -v[206:207], v[208:209], 1.0
	v_fmac_f64_e32 v[208:209], v[208:209], v[212:213]
	v_fma_f64 v[212:213], -v[206:207], v[208:209], 1.0
	v_fmac_f64_e32 v[208:209], v[208:209], v[212:213]
	v_div_scale_f64 v[212:213], vcc, 1.0, v[210:211], 1.0
	v_mul_f64 v[214:215], v[212:213], v[208:209]
	v_fma_f64 v[206:207], -v[206:207], v[214:215], v[212:213]
	s_nop 1
	v_div_fmas_f64 v[206:207], v[206:207], v[208:209], v[214:215]
	v_div_fixup_f64 v[206:207], v[206:207], v[210:211], 1.0
	v_mul_f64 v[204:205], v[204:205], v[206:207]
	v_xor_b32_e32 v207, 0x80000000, v207
                                        ; implicit-def: $vgpr208_vgpr209
.LBB111_41:
	s_andn2_saveexec_b64 s[2:3], s[2:3]
	s_cbranch_execz .LBB111_43
; %bb.42:
	v_div_scale_f64 v[204:205], s[10:11], v[208:209], v[208:209], v[210:211]
	v_rcp_f64_e32 v[206:207], v[204:205]
	v_div_scale_f64 v[212:213], vcc, v[210:211], v[208:209], v[210:211]
	v_fma_f64 v[214:215], -v[204:205], v[206:207], 1.0
	v_fmac_f64_e32 v[206:207], v[206:207], v[214:215]
	v_fma_f64 v[214:215], -v[204:205], v[206:207], 1.0
	v_fmac_f64_e32 v[206:207], v[206:207], v[214:215]
	v_mul_f64 v[214:215], v[212:213], v[206:207]
	v_fma_f64 v[204:205], -v[204:205], v[214:215], v[212:213]
	v_div_fmas_f64 v[204:205], v[204:205], v[206:207], v[214:215]
	v_div_fixup_f64 v[206:207], v[204:205], v[208:209], v[210:211]
	v_fmac_f64_e32 v[208:209], v[210:211], v[206:207]
	v_div_scale_f64 v[204:205], s[10:11], v[208:209], v[208:209], 1.0
	v_rcp_f64_e32 v[210:211], v[204:205]
	s_nop 0
	v_fma_f64 v[212:213], -v[204:205], v[210:211], 1.0
	v_fmac_f64_e32 v[210:211], v[210:211], v[212:213]
	v_fma_f64 v[212:213], -v[204:205], v[210:211], 1.0
	v_fmac_f64_e32 v[210:211], v[210:211], v[212:213]
	v_div_scale_f64 v[212:213], vcc, 1.0, v[208:209], 1.0
	v_mul_f64 v[214:215], v[212:213], v[210:211]
	v_fma_f64 v[204:205], -v[204:205], v[214:215], v[212:213]
	s_nop 1
	v_div_fmas_f64 v[204:205], v[204:205], v[210:211], v[214:215]
	v_div_fixup_f64 v[204:205], v[204:205], v[208:209], 1.0
	v_mul_f64 v[206:207], v[206:207], -v[204:205]
.LBB111_43:
	s_or_b64 exec, exec, s[2:3]
	ds_write2_b64 v201, v[204:205], v[206:207] offset1:1
.LBB111_44:
	s_or_b64 exec, exec, s[4:5]
	s_waitcnt lgkmcnt(0)
	s_barrier
	ds_read2_b64 v[192:195], v201 offset1:1
	v_cmp_lt_u32_e32 vcc, 4, v200
	s_waitcnt lgkmcnt(0)
	scratch_store_dwordx4 off, v[192:195], off offset:608 ; 16-byte Folded Spill
	s_and_saveexec_b64 s[2:3], vcc
	s_cbranch_execz .LBB111_46
; %bb.45:
	scratch_load_dwordx4 v[210:213], off, off offset:16 ; 16-byte Folded Reload
	scratch_load_dwordx4 v[192:195], off, off offset:608 ; 16-byte Folded Reload
	s_waitcnt vmcnt(0)
	v_mul_f64 v[204:205], v[194:195], v[212:213]
	v_mul_f64 v[212:213], v[192:193], v[212:213]
	v_fma_f64 v[208:209], v[192:193], v[210:211], -v[204:205]
	v_fmac_f64_e32 v[212:213], v[194:195], v[210:211]
	scratch_load_dwordx4 v[192:195], off, off ; 16-byte Folded Reload
	ds_read2_b64 v[204:207], v202 offset0:10 offset1:11
	s_waitcnt lgkmcnt(0)
	v_mul_f64 v[210:211], v[206:207], v[212:213]
	v_fma_f64 v[210:211], v[204:205], v[208:209], -v[210:211]
	v_mul_f64 v[204:205], v[204:205], v[212:213]
	v_fmac_f64_e32 v[204:205], v[206:207], v[208:209]
	v_add_f64 v[198:199], v[198:199], -v[204:205]
	ds_read2_b64 v[204:207], v202 offset0:12 offset1:13
	v_add_f64 v[196:197], v[196:197], -v[210:211]
	s_waitcnt lgkmcnt(0)
	v_mul_f64 v[210:211], v[206:207], v[212:213]
	v_fma_f64 v[210:211], v[204:205], v[208:209], -v[210:211]
	v_mul_f64 v[204:205], v[204:205], v[212:213]
	v_fmac_f64_e32 v[204:205], v[206:207], v[208:209]
	s_waitcnt vmcnt(0)
	v_add_f64 v[194:195], v[194:195], -v[204:205]
	ds_read2_b64 v[204:207], v202 offset0:14 offset1:15
	v_add_f64 v[192:193], v[192:193], -v[210:211]
	scratch_store_dwordx4 off, v[192:195], off ; 16-byte Folded Spill
	s_waitcnt lgkmcnt(0)
	v_mul_f64 v[210:211], v[206:207], v[212:213]
	v_fma_f64 v[210:211], v[204:205], v[208:209], -v[210:211]
	v_mul_f64 v[204:205], v[204:205], v[212:213]
	v_fmac_f64_e32 v[204:205], v[206:207], v[208:209]
	v_add_f64 v[190:191], v[190:191], -v[204:205]
	ds_read2_b64 v[204:207], v202 offset0:16 offset1:17
	v_add_f64 v[188:189], v[188:189], -v[210:211]
	s_waitcnt lgkmcnt(0)
	v_mul_f64 v[210:211], v[206:207], v[212:213]
	v_fma_f64 v[210:211], v[204:205], v[208:209], -v[210:211]
	v_mul_f64 v[204:205], v[204:205], v[212:213]
	v_fmac_f64_e32 v[204:205], v[206:207], v[208:209]
	v_add_f64 v[186:187], v[186:187], -v[204:205]
	ds_read2_b64 v[204:207], v202 offset0:18 offset1:19
	v_add_f64 v[184:185], v[184:185], -v[210:211]
	;; [unrolled: 8-line block ×48, first 2 shown]
	s_waitcnt lgkmcnt(0)
	v_mul_f64 v[210:211], v[206:207], v[212:213]
	v_fma_f64 v[210:211], v[204:205], v[208:209], -v[210:211]
	v_mul_f64 v[204:205], v[204:205], v[212:213]
	v_fmac_f64_e32 v[204:205], v[206:207], v[208:209]
	v_add_f64 v[220:221], v[220:221], -v[210:211]
	v_add_f64 v[222:223], v[222:223], -v[204:205]
	v_mov_b64_e32 v[210:211], v[208:209]
	scratch_store_dwordx4 off, v[210:213], off offset:16 ; 16-byte Folded Spill
.LBB111_46:
	s_or_b64 exec, exec, s[2:3]
	v_cmp_eq_u32_e32 vcc, 5, v200
	s_waitcnt vmcnt(63) expcnt(7) lgkmcnt(15)
	s_barrier
	s_and_saveexec_b64 s[4:5], vcc
	s_cbranch_execz .LBB111_53
; %bb.47:
	scratch_load_dwordx4 v[192:195], off, off ; 16-byte Folded Reload
	ds_write2_b64 v201, v[196:197], v[198:199] offset1:1
	s_waitcnt vmcnt(0)
	ds_write2_b64 v202, v[192:193], v[194:195] offset0:12 offset1:13
	ds_write2_b64 v202, v[188:189], v[190:191] offset0:14 offset1:15
	;; [unrolled: 1-line block ×50, first 2 shown]
	ds_read2_b64 v[208:211], v201 offset1:1
	s_waitcnt lgkmcnt(0)
	v_cmp_neq_f64_e32 vcc, 0, v[208:209]
	v_cmp_neq_f64_e64 s[2:3], 0, v[210:211]
	s_or_b64 s[2:3], vcc, s[2:3]
	s_and_b64 exec, exec, s[2:3]
	s_cbranch_execz .LBB111_53
; %bb.48:
	v_cmp_ngt_f64_e64 s[2:3], |v[208:209]|, |v[210:211]|
                                        ; implicit-def: $vgpr204_vgpr205
	s_and_saveexec_b64 s[10:11], s[2:3]
	s_xor_b64 s[2:3], exec, s[10:11]
                                        ; implicit-def: $vgpr206_vgpr207
	s_cbranch_execz .LBB111_50
; %bb.49:
	v_div_scale_f64 v[204:205], s[10:11], v[210:211], v[210:211], v[208:209]
	v_rcp_f64_e32 v[206:207], v[204:205]
	v_div_scale_f64 v[212:213], vcc, v[208:209], v[210:211], v[208:209]
	v_fma_f64 v[214:215], -v[204:205], v[206:207], 1.0
	v_fmac_f64_e32 v[206:207], v[206:207], v[214:215]
	v_fma_f64 v[214:215], -v[204:205], v[206:207], 1.0
	v_fmac_f64_e32 v[206:207], v[206:207], v[214:215]
	v_mul_f64 v[214:215], v[212:213], v[206:207]
	v_fma_f64 v[204:205], -v[204:205], v[214:215], v[212:213]
	v_div_fmas_f64 v[204:205], v[204:205], v[206:207], v[214:215]
	v_div_fixup_f64 v[204:205], v[204:205], v[210:211], v[208:209]
	v_fmac_f64_e32 v[210:211], v[208:209], v[204:205]
	v_div_scale_f64 v[206:207], s[10:11], v[210:211], v[210:211], 1.0
	v_rcp_f64_e32 v[208:209], v[206:207]
	s_nop 0
	v_fma_f64 v[212:213], -v[206:207], v[208:209], 1.0
	v_fmac_f64_e32 v[208:209], v[208:209], v[212:213]
	v_fma_f64 v[212:213], -v[206:207], v[208:209], 1.0
	v_fmac_f64_e32 v[208:209], v[208:209], v[212:213]
	v_div_scale_f64 v[212:213], vcc, 1.0, v[210:211], 1.0
	v_mul_f64 v[214:215], v[212:213], v[208:209]
	v_fma_f64 v[206:207], -v[206:207], v[214:215], v[212:213]
	s_nop 1
	v_div_fmas_f64 v[206:207], v[206:207], v[208:209], v[214:215]
	v_div_fixup_f64 v[206:207], v[206:207], v[210:211], 1.0
	v_mul_f64 v[204:205], v[204:205], v[206:207]
	v_xor_b32_e32 v207, 0x80000000, v207
                                        ; implicit-def: $vgpr208_vgpr209
.LBB111_50:
	s_andn2_saveexec_b64 s[2:3], s[2:3]
	s_cbranch_execz .LBB111_52
; %bb.51:
	v_div_scale_f64 v[204:205], s[10:11], v[208:209], v[208:209], v[210:211]
	v_rcp_f64_e32 v[206:207], v[204:205]
	v_div_scale_f64 v[212:213], vcc, v[210:211], v[208:209], v[210:211]
	v_fma_f64 v[214:215], -v[204:205], v[206:207], 1.0
	v_fmac_f64_e32 v[206:207], v[206:207], v[214:215]
	v_fma_f64 v[214:215], -v[204:205], v[206:207], 1.0
	v_fmac_f64_e32 v[206:207], v[206:207], v[214:215]
	v_mul_f64 v[214:215], v[212:213], v[206:207]
	v_fma_f64 v[204:205], -v[204:205], v[214:215], v[212:213]
	v_div_fmas_f64 v[204:205], v[204:205], v[206:207], v[214:215]
	v_div_fixup_f64 v[206:207], v[204:205], v[208:209], v[210:211]
	v_fmac_f64_e32 v[208:209], v[210:211], v[206:207]
	v_div_scale_f64 v[204:205], s[10:11], v[208:209], v[208:209], 1.0
	v_rcp_f64_e32 v[210:211], v[204:205]
	s_nop 0
	v_fma_f64 v[212:213], -v[204:205], v[210:211], 1.0
	v_fmac_f64_e32 v[210:211], v[210:211], v[212:213]
	v_fma_f64 v[212:213], -v[204:205], v[210:211], 1.0
	v_fmac_f64_e32 v[210:211], v[210:211], v[212:213]
	v_div_scale_f64 v[212:213], vcc, 1.0, v[208:209], 1.0
	v_mul_f64 v[214:215], v[212:213], v[210:211]
	v_fma_f64 v[204:205], -v[204:205], v[214:215], v[212:213]
	s_nop 1
	v_div_fmas_f64 v[204:205], v[204:205], v[210:211], v[214:215]
	v_div_fixup_f64 v[204:205], v[204:205], v[208:209], 1.0
	v_mul_f64 v[206:207], v[206:207], -v[204:205]
.LBB111_52:
	s_or_b64 exec, exec, s[2:3]
	ds_write2_b64 v201, v[204:205], v[206:207] offset1:1
.LBB111_53:
	s_or_b64 exec, exec, s[4:5]
	s_waitcnt lgkmcnt(0)
	s_barrier
	ds_read2_b64 v[192:195], v201 offset1:1
	v_cmp_lt_u32_e32 vcc, 5, v200
	s_waitcnt lgkmcnt(0)
	scratch_store_dwordx4 off, v[192:195], off offset:624 ; 16-byte Folded Spill
	s_and_saveexec_b64 s[2:3], vcc
	s_cbranch_execz .LBB111_55
; %bb.54:
	scratch_load_dwordx4 v[192:195], off, off offset:624 ; 16-byte Folded Reload
	s_waitcnt vmcnt(0)
	v_mul_f64 v[204:205], v[194:195], v[198:199]
	v_mul_f64 v[198:199], v[192:193], v[198:199]
	v_fma_f64 v[208:209], v[192:193], v[196:197], -v[204:205]
	v_fmac_f64_e32 v[198:199], v[194:195], v[196:197]
	scratch_load_dwordx4 v[192:195], off, off ; 16-byte Folded Reload
	ds_read2_b64 v[204:207], v202 offset0:12 offset1:13
	s_waitcnt lgkmcnt(0)
	v_mul_f64 v[196:197], v[206:207], v[198:199]
	v_fma_f64 v[196:197], v[204:205], v[208:209], -v[196:197]
	v_mul_f64 v[204:205], v[204:205], v[198:199]
	v_fmac_f64_e32 v[204:205], v[206:207], v[208:209]
	s_waitcnt vmcnt(0)
	v_add_f64 v[194:195], v[194:195], -v[204:205]
	ds_read2_b64 v[204:207], v202 offset0:14 offset1:15
	v_add_f64 v[192:193], v[192:193], -v[196:197]
	scratch_store_dwordx4 off, v[192:195], off ; 16-byte Folded Spill
	s_waitcnt lgkmcnt(0)
	v_mul_f64 v[196:197], v[206:207], v[198:199]
	v_fma_f64 v[196:197], v[204:205], v[208:209], -v[196:197]
	v_mul_f64 v[204:205], v[204:205], v[198:199]
	v_fmac_f64_e32 v[204:205], v[206:207], v[208:209]
	v_add_f64 v[190:191], v[190:191], -v[204:205]
	ds_read2_b64 v[204:207], v202 offset0:16 offset1:17
	v_add_f64 v[188:189], v[188:189], -v[196:197]
	s_waitcnt lgkmcnt(0)
	v_mul_f64 v[196:197], v[206:207], v[198:199]
	v_fma_f64 v[196:197], v[204:205], v[208:209], -v[196:197]
	v_mul_f64 v[204:205], v[204:205], v[198:199]
	v_fmac_f64_e32 v[204:205], v[206:207], v[208:209]
	v_add_f64 v[186:187], v[186:187], -v[204:205]
	ds_read2_b64 v[204:207], v202 offset0:18 offset1:19
	v_add_f64 v[184:185], v[184:185], -v[196:197]
	;; [unrolled: 8-line block ×48, first 2 shown]
	s_waitcnt lgkmcnt(0)
	v_mul_f64 v[196:197], v[206:207], v[198:199]
	v_fma_f64 v[196:197], v[204:205], v[208:209], -v[196:197]
	v_mul_f64 v[204:205], v[204:205], v[198:199]
	v_fmac_f64_e32 v[204:205], v[206:207], v[208:209]
	v_add_f64 v[220:221], v[220:221], -v[196:197]
	v_add_f64 v[222:223], v[222:223], -v[204:205]
	v_mov_b64_e32 v[196:197], v[208:209]
.LBB111_55:
	s_or_b64 exec, exec, s[2:3]
	v_cmp_eq_u32_e32 vcc, 6, v200
	s_waitcnt vmcnt(63) expcnt(7) lgkmcnt(15)
	s_barrier
	s_and_saveexec_b64 s[4:5], vcc
	s_cbranch_execz .LBB111_62
; %bb.56:
	scratch_load_dwordx4 v[192:195], off, off ; 16-byte Folded Reload
	s_waitcnt vmcnt(0)
	ds_write2_b64 v201, v[192:193], v[194:195] offset1:1
	ds_write2_b64 v202, v[188:189], v[190:191] offset0:14 offset1:15
	ds_write2_b64 v202, v[184:185], v[186:187] offset0:16 offset1:17
	;; [unrolled: 1-line block ×49, first 2 shown]
	ds_read2_b64 v[208:211], v201 offset1:1
	s_waitcnt lgkmcnt(0)
	v_cmp_neq_f64_e32 vcc, 0, v[208:209]
	v_cmp_neq_f64_e64 s[2:3], 0, v[210:211]
	s_or_b64 s[2:3], vcc, s[2:3]
	s_and_b64 exec, exec, s[2:3]
	s_cbranch_execz .LBB111_62
; %bb.57:
	v_cmp_ngt_f64_e64 s[2:3], |v[208:209]|, |v[210:211]|
                                        ; implicit-def: $vgpr204_vgpr205
	s_and_saveexec_b64 s[10:11], s[2:3]
	s_xor_b64 s[2:3], exec, s[10:11]
                                        ; implicit-def: $vgpr206_vgpr207
	s_cbranch_execz .LBB111_59
; %bb.58:
	v_div_scale_f64 v[204:205], s[10:11], v[210:211], v[210:211], v[208:209]
	v_rcp_f64_e32 v[206:207], v[204:205]
	v_div_scale_f64 v[212:213], vcc, v[208:209], v[210:211], v[208:209]
	v_fma_f64 v[214:215], -v[204:205], v[206:207], 1.0
	v_fmac_f64_e32 v[206:207], v[206:207], v[214:215]
	v_fma_f64 v[214:215], -v[204:205], v[206:207], 1.0
	v_fmac_f64_e32 v[206:207], v[206:207], v[214:215]
	v_mul_f64 v[214:215], v[212:213], v[206:207]
	v_fma_f64 v[204:205], -v[204:205], v[214:215], v[212:213]
	v_div_fmas_f64 v[204:205], v[204:205], v[206:207], v[214:215]
	v_div_fixup_f64 v[204:205], v[204:205], v[210:211], v[208:209]
	v_fmac_f64_e32 v[210:211], v[208:209], v[204:205]
	v_div_scale_f64 v[206:207], s[10:11], v[210:211], v[210:211], 1.0
	v_rcp_f64_e32 v[208:209], v[206:207]
	s_nop 0
	v_fma_f64 v[212:213], -v[206:207], v[208:209], 1.0
	v_fmac_f64_e32 v[208:209], v[208:209], v[212:213]
	v_fma_f64 v[212:213], -v[206:207], v[208:209], 1.0
	v_fmac_f64_e32 v[208:209], v[208:209], v[212:213]
	v_div_scale_f64 v[212:213], vcc, 1.0, v[210:211], 1.0
	v_mul_f64 v[214:215], v[212:213], v[208:209]
	v_fma_f64 v[206:207], -v[206:207], v[214:215], v[212:213]
	s_nop 1
	v_div_fmas_f64 v[206:207], v[206:207], v[208:209], v[214:215]
	v_div_fixup_f64 v[206:207], v[206:207], v[210:211], 1.0
	v_mul_f64 v[204:205], v[204:205], v[206:207]
	v_xor_b32_e32 v207, 0x80000000, v207
                                        ; implicit-def: $vgpr208_vgpr209
.LBB111_59:
	s_andn2_saveexec_b64 s[2:3], s[2:3]
	s_cbranch_execz .LBB111_61
; %bb.60:
	v_div_scale_f64 v[204:205], s[10:11], v[208:209], v[208:209], v[210:211]
	v_rcp_f64_e32 v[206:207], v[204:205]
	v_div_scale_f64 v[212:213], vcc, v[210:211], v[208:209], v[210:211]
	v_fma_f64 v[214:215], -v[204:205], v[206:207], 1.0
	v_fmac_f64_e32 v[206:207], v[206:207], v[214:215]
	v_fma_f64 v[214:215], -v[204:205], v[206:207], 1.0
	v_fmac_f64_e32 v[206:207], v[206:207], v[214:215]
	v_mul_f64 v[214:215], v[212:213], v[206:207]
	v_fma_f64 v[204:205], -v[204:205], v[214:215], v[212:213]
	v_div_fmas_f64 v[204:205], v[204:205], v[206:207], v[214:215]
	v_div_fixup_f64 v[206:207], v[204:205], v[208:209], v[210:211]
	v_fmac_f64_e32 v[208:209], v[210:211], v[206:207]
	v_div_scale_f64 v[204:205], s[10:11], v[208:209], v[208:209], 1.0
	v_rcp_f64_e32 v[210:211], v[204:205]
	s_nop 0
	v_fma_f64 v[212:213], -v[204:205], v[210:211], 1.0
	v_fmac_f64_e32 v[210:211], v[210:211], v[212:213]
	v_fma_f64 v[212:213], -v[204:205], v[210:211], 1.0
	v_fmac_f64_e32 v[210:211], v[210:211], v[212:213]
	v_div_scale_f64 v[212:213], vcc, 1.0, v[208:209], 1.0
	v_mul_f64 v[214:215], v[212:213], v[210:211]
	v_fma_f64 v[204:205], -v[204:205], v[214:215], v[212:213]
	s_nop 1
	v_div_fmas_f64 v[204:205], v[204:205], v[210:211], v[214:215]
	v_div_fixup_f64 v[204:205], v[204:205], v[208:209], 1.0
	v_mul_f64 v[206:207], v[206:207], -v[204:205]
.LBB111_61:
	s_or_b64 exec, exec, s[2:3]
	ds_write2_b64 v201, v[204:205], v[206:207] offset1:1
.LBB111_62:
	s_or_b64 exec, exec, s[4:5]
	s_waitcnt lgkmcnt(0)
	s_barrier
	ds_read2_b64 v[192:195], v201 offset1:1
	v_cmp_lt_u32_e32 vcc, 6, v200
	s_waitcnt lgkmcnt(0)
	scratch_store_dwordx4 off, v[192:195], off offset:640 ; 16-byte Folded Spill
	s_and_saveexec_b64 s[2:3], vcc
	s_cbranch_execz .LBB111_64
; %bb.63:
	scratch_load_dwordx4 v[192:195], off, off ; 16-byte Folded Reload
	scratch_load_dwordx4 v[210:213], off, off offset:640 ; 16-byte Folded Reload
	s_waitcnt vmcnt(0)
	v_mul_f64 v[204:205], v[212:213], v[194:195]
	v_fma_f64 v[208:209], v[210:211], v[192:193], -v[204:205]
	ds_read2_b64 v[204:207], v202 offset0:14 offset1:15
	v_mul_f64 v[194:195], v[210:211], v[194:195]
	v_fmac_f64_e32 v[194:195], v[212:213], v[192:193]
	s_waitcnt lgkmcnt(0)
	v_mul_f64 v[192:193], v[206:207], v[194:195]
	v_fma_f64 v[192:193], v[204:205], v[208:209], -v[192:193]
	v_mul_f64 v[204:205], v[204:205], v[194:195]
	v_fmac_f64_e32 v[204:205], v[206:207], v[208:209]
	v_add_f64 v[190:191], v[190:191], -v[204:205]
	ds_read2_b64 v[204:207], v202 offset0:16 offset1:17
	v_add_f64 v[188:189], v[188:189], -v[192:193]
	s_waitcnt lgkmcnt(0)
	v_mul_f64 v[192:193], v[206:207], v[194:195]
	v_fma_f64 v[192:193], v[204:205], v[208:209], -v[192:193]
	v_mul_f64 v[204:205], v[204:205], v[194:195]
	v_fmac_f64_e32 v[204:205], v[206:207], v[208:209]
	v_add_f64 v[186:187], v[186:187], -v[204:205]
	ds_read2_b64 v[204:207], v202 offset0:18 offset1:19
	v_add_f64 v[184:185], v[184:185], -v[192:193]
	;; [unrolled: 8-line block ×48, first 2 shown]
	s_waitcnt lgkmcnt(0)
	v_mul_f64 v[192:193], v[206:207], v[194:195]
	v_fma_f64 v[192:193], v[204:205], v[208:209], -v[192:193]
	v_mul_f64 v[204:205], v[204:205], v[194:195]
	v_fmac_f64_e32 v[204:205], v[206:207], v[208:209]
	v_add_f64 v[220:221], v[220:221], -v[192:193]
	v_add_f64 v[222:223], v[222:223], -v[204:205]
	v_mov_b64_e32 v[192:193], v[208:209]
	scratch_store_dwordx4 off, v[192:195], off ; 16-byte Folded Spill
.LBB111_64:
	s_or_b64 exec, exec, s[2:3]
	v_cmp_eq_u32_e32 vcc, 7, v200
	s_waitcnt vmcnt(63) expcnt(7) lgkmcnt(15)
	s_barrier
	s_and_saveexec_b64 s[4:5], vcc
	s_cbranch_execz .LBB111_71
; %bb.65:
	ds_write2_b64 v201, v[188:189], v[190:191] offset1:1
	ds_write2_b64 v202, v[184:185], v[186:187] offset0:16 offset1:17
	ds_write2_b64 v202, v[180:181], v[182:183] offset0:18 offset1:19
	;; [unrolled: 1-line block ×28, first 2 shown]
	s_waitcnt vmcnt(60)
	ds_write2_b64 v202, v[72:73], v[74:75] offset0:72 offset1:73
	ds_write2_b64 v202, v[68:69], v[70:71] offset0:74 offset1:75
	;; [unrolled: 1-line block ×3, first 2 shown]
	s_waitcnt vmcnt(37)
	ds_write2_b64 v202, v[60:61], v[62:63] offset0:78 offset1:79
	s_waitcnt vmcnt(36)
	ds_write2_b64 v202, v[56:57], v[58:59] offset0:80 offset1:81
	;; [unrolled: 2-line block ×11, first 2 shown]
	ds_write2_b64 v202, v[16:17], v[18:19] offset0:100 offset1:101
	ds_write2_b64 v202, v[12:13], v[14:15] offset0:102 offset1:103
	;; [unrolled: 1-line block ×4, first 2 shown]
	s_waitcnt vmcnt(26)
	ds_write2_b64 v202, v[0:1], v[2:3] offset0:108 offset1:109
	s_waitcnt vmcnt(23)
	ds_write2_b64 v202, v[220:221], v[222:223] offset0:110 offset1:111
	ds_read2_b64 v[208:211], v201 offset1:1
	s_waitcnt lgkmcnt(0)
	v_cmp_neq_f64_e32 vcc, 0, v[208:209]
	v_cmp_neq_f64_e64 s[2:3], 0, v[210:211]
	s_or_b64 s[2:3], vcc, s[2:3]
	s_and_b64 exec, exec, s[2:3]
	s_cbranch_execz .LBB111_71
; %bb.66:
	v_cmp_ngt_f64_e64 s[2:3], |v[208:209]|, |v[210:211]|
                                        ; implicit-def: $vgpr204_vgpr205
	s_and_saveexec_b64 s[10:11], s[2:3]
	s_xor_b64 s[2:3], exec, s[10:11]
                                        ; implicit-def: $vgpr206_vgpr207
	s_cbranch_execz .LBB111_68
; %bb.67:
	v_div_scale_f64 v[204:205], s[10:11], v[210:211], v[210:211], v[208:209]
	v_rcp_f64_e32 v[206:207], v[204:205]
	v_div_scale_f64 v[212:213], vcc, v[208:209], v[210:211], v[208:209]
	v_fma_f64 v[214:215], -v[204:205], v[206:207], 1.0
	v_fmac_f64_e32 v[206:207], v[206:207], v[214:215]
	v_fma_f64 v[214:215], -v[204:205], v[206:207], 1.0
	v_fmac_f64_e32 v[206:207], v[206:207], v[214:215]
	v_mul_f64 v[214:215], v[212:213], v[206:207]
	v_fma_f64 v[204:205], -v[204:205], v[214:215], v[212:213]
	v_div_fmas_f64 v[204:205], v[204:205], v[206:207], v[214:215]
	v_div_fixup_f64 v[204:205], v[204:205], v[210:211], v[208:209]
	v_fmac_f64_e32 v[210:211], v[208:209], v[204:205]
	v_div_scale_f64 v[206:207], s[10:11], v[210:211], v[210:211], 1.0
	v_rcp_f64_e32 v[208:209], v[206:207]
	s_nop 0
	v_fma_f64 v[212:213], -v[206:207], v[208:209], 1.0
	v_fmac_f64_e32 v[208:209], v[208:209], v[212:213]
	v_fma_f64 v[212:213], -v[206:207], v[208:209], 1.0
	v_fmac_f64_e32 v[208:209], v[208:209], v[212:213]
	v_div_scale_f64 v[212:213], vcc, 1.0, v[210:211], 1.0
	v_mul_f64 v[214:215], v[212:213], v[208:209]
	v_fma_f64 v[206:207], -v[206:207], v[214:215], v[212:213]
	s_nop 1
	v_div_fmas_f64 v[206:207], v[206:207], v[208:209], v[214:215]
	v_div_fixup_f64 v[206:207], v[206:207], v[210:211], 1.0
	v_mul_f64 v[204:205], v[204:205], v[206:207]
	v_xor_b32_e32 v207, 0x80000000, v207
                                        ; implicit-def: $vgpr208_vgpr209
.LBB111_68:
	s_andn2_saveexec_b64 s[2:3], s[2:3]
	s_cbranch_execz .LBB111_70
; %bb.69:
	v_div_scale_f64 v[204:205], s[10:11], v[208:209], v[208:209], v[210:211]
	v_rcp_f64_e32 v[206:207], v[204:205]
	v_div_scale_f64 v[212:213], vcc, v[210:211], v[208:209], v[210:211]
	v_fma_f64 v[214:215], -v[204:205], v[206:207], 1.0
	v_fmac_f64_e32 v[206:207], v[206:207], v[214:215]
	v_fma_f64 v[214:215], -v[204:205], v[206:207], 1.0
	v_fmac_f64_e32 v[206:207], v[206:207], v[214:215]
	v_mul_f64 v[214:215], v[212:213], v[206:207]
	v_fma_f64 v[204:205], -v[204:205], v[214:215], v[212:213]
	v_div_fmas_f64 v[204:205], v[204:205], v[206:207], v[214:215]
	v_div_fixup_f64 v[206:207], v[204:205], v[208:209], v[210:211]
	v_fmac_f64_e32 v[208:209], v[210:211], v[206:207]
	v_div_scale_f64 v[204:205], s[10:11], v[208:209], v[208:209], 1.0
	v_rcp_f64_e32 v[210:211], v[204:205]
	s_nop 0
	v_fma_f64 v[212:213], -v[204:205], v[210:211], 1.0
	v_fmac_f64_e32 v[210:211], v[210:211], v[212:213]
	v_fma_f64 v[212:213], -v[204:205], v[210:211], 1.0
	v_fmac_f64_e32 v[210:211], v[210:211], v[212:213]
	v_div_scale_f64 v[212:213], vcc, 1.0, v[208:209], 1.0
	v_mul_f64 v[214:215], v[212:213], v[210:211]
	v_fma_f64 v[204:205], -v[204:205], v[214:215], v[212:213]
	s_nop 1
	v_div_fmas_f64 v[204:205], v[204:205], v[210:211], v[214:215]
	v_div_fixup_f64 v[204:205], v[204:205], v[208:209], 1.0
	v_mul_f64 v[206:207], v[206:207], -v[204:205]
.LBB111_70:
	s_or_b64 exec, exec, s[2:3]
	ds_write2_b64 v201, v[204:205], v[206:207] offset1:1
.LBB111_71:
	s_or_b64 exec, exec, s[4:5]
	s_waitcnt lgkmcnt(0)
	s_barrier
	ds_read2_b64 v[192:195], v201 offset1:1
	v_cmp_lt_u32_e32 vcc, 7, v200
	s_waitcnt lgkmcnt(0)
	scratch_store_dwordx4 off, v[192:195], off offset:656 ; 16-byte Folded Spill
	s_and_saveexec_b64 s[2:3], vcc
	s_cbranch_execz .LBB111_73
; %bb.72:
	scratch_load_dwordx4 v[192:195], off, off offset:656 ; 16-byte Folded Reload
	s_waitcnt vmcnt(0)
	v_mul_f64 v[204:205], v[194:195], v[190:191]
	v_fma_f64 v[208:209], v[192:193], v[188:189], -v[204:205]
	ds_read2_b64 v[204:207], v202 offset0:16 offset1:17
	v_mul_f64 v[190:191], v[192:193], v[190:191]
	v_fmac_f64_e32 v[190:191], v[194:195], v[188:189]
	s_waitcnt lgkmcnt(0)
	v_mul_f64 v[188:189], v[206:207], v[190:191]
	v_fma_f64 v[188:189], v[204:205], v[208:209], -v[188:189]
	v_mul_f64 v[204:205], v[204:205], v[190:191]
	v_fmac_f64_e32 v[204:205], v[206:207], v[208:209]
	v_add_f64 v[186:187], v[186:187], -v[204:205]
	ds_read2_b64 v[204:207], v202 offset0:18 offset1:19
	v_add_f64 v[184:185], v[184:185], -v[188:189]
	s_waitcnt lgkmcnt(0)
	v_mul_f64 v[188:189], v[206:207], v[190:191]
	v_fma_f64 v[188:189], v[204:205], v[208:209], -v[188:189]
	v_mul_f64 v[204:205], v[204:205], v[190:191]
	v_fmac_f64_e32 v[204:205], v[206:207], v[208:209]
	v_add_f64 v[182:183], v[182:183], -v[204:205]
	ds_read2_b64 v[204:207], v202 offset0:20 offset1:21
	v_add_f64 v[180:181], v[180:181], -v[188:189]
	s_waitcnt lgkmcnt(0)
	v_mul_f64 v[188:189], v[206:207], v[190:191]
	v_fma_f64 v[188:189], v[204:205], v[208:209], -v[188:189]
	v_mul_f64 v[204:205], v[204:205], v[190:191]
	v_fmac_f64_e32 v[204:205], v[206:207], v[208:209]
	v_add_f64 v[178:179], v[178:179], -v[204:205]
	ds_read2_b64 v[204:207], v202 offset0:22 offset1:23
	v_add_f64 v[176:177], v[176:177], -v[188:189]
	s_waitcnt lgkmcnt(0)
	v_mul_f64 v[188:189], v[206:207], v[190:191]
	v_fma_f64 v[188:189], v[204:205], v[208:209], -v[188:189]
	v_mul_f64 v[204:205], v[204:205], v[190:191]
	v_fmac_f64_e32 v[204:205], v[206:207], v[208:209]
	v_add_f64 v[174:175], v[174:175], -v[204:205]
	ds_read2_b64 v[204:207], v202 offset0:24 offset1:25
	v_add_f64 v[172:173], v[172:173], -v[188:189]
	s_waitcnt lgkmcnt(0)
	v_mul_f64 v[188:189], v[206:207], v[190:191]
	v_fma_f64 v[188:189], v[204:205], v[208:209], -v[188:189]
	v_mul_f64 v[204:205], v[204:205], v[190:191]
	v_fmac_f64_e32 v[204:205], v[206:207], v[208:209]
	v_add_f64 v[170:171], v[170:171], -v[204:205]
	ds_read2_b64 v[204:207], v202 offset0:26 offset1:27
	v_add_f64 v[168:169], v[168:169], -v[188:189]
	s_waitcnt lgkmcnt(0)
	v_mul_f64 v[188:189], v[206:207], v[190:191]
	v_fma_f64 v[188:189], v[204:205], v[208:209], -v[188:189]
	v_mul_f64 v[204:205], v[204:205], v[190:191]
	v_fmac_f64_e32 v[204:205], v[206:207], v[208:209]
	v_add_f64 v[166:167], v[166:167], -v[204:205]
	ds_read2_b64 v[204:207], v202 offset0:28 offset1:29
	v_add_f64 v[164:165], v[164:165], -v[188:189]
	s_waitcnt lgkmcnt(0)
	v_mul_f64 v[188:189], v[206:207], v[190:191]
	v_fma_f64 v[188:189], v[204:205], v[208:209], -v[188:189]
	v_mul_f64 v[204:205], v[204:205], v[190:191]
	v_fmac_f64_e32 v[204:205], v[206:207], v[208:209]
	v_add_f64 v[162:163], v[162:163], -v[204:205]
	ds_read2_b64 v[204:207], v202 offset0:30 offset1:31
	v_add_f64 v[160:161], v[160:161], -v[188:189]
	s_waitcnt lgkmcnt(0)
	v_mul_f64 v[188:189], v[206:207], v[190:191]
	v_fma_f64 v[188:189], v[204:205], v[208:209], -v[188:189]
	v_mul_f64 v[204:205], v[204:205], v[190:191]
	v_fmac_f64_e32 v[204:205], v[206:207], v[208:209]
	v_add_f64 v[158:159], v[158:159], -v[204:205]
	ds_read2_b64 v[204:207], v202 offset0:32 offset1:33
	v_add_f64 v[156:157], v[156:157], -v[188:189]
	s_waitcnt lgkmcnt(0)
	v_mul_f64 v[188:189], v[206:207], v[190:191]
	v_fma_f64 v[188:189], v[204:205], v[208:209], -v[188:189]
	v_mul_f64 v[204:205], v[204:205], v[190:191]
	v_fmac_f64_e32 v[204:205], v[206:207], v[208:209]
	v_add_f64 v[154:155], v[154:155], -v[204:205]
	ds_read2_b64 v[204:207], v202 offset0:34 offset1:35
	v_add_f64 v[152:153], v[152:153], -v[188:189]
	s_waitcnt lgkmcnt(0)
	v_mul_f64 v[188:189], v[206:207], v[190:191]
	v_fma_f64 v[188:189], v[204:205], v[208:209], -v[188:189]
	v_mul_f64 v[204:205], v[204:205], v[190:191]
	v_fmac_f64_e32 v[204:205], v[206:207], v[208:209]
	v_add_f64 v[150:151], v[150:151], -v[204:205]
	ds_read2_b64 v[204:207], v202 offset0:36 offset1:37
	v_add_f64 v[148:149], v[148:149], -v[188:189]
	s_waitcnt lgkmcnt(0)
	v_mul_f64 v[188:189], v[206:207], v[190:191]
	v_fma_f64 v[188:189], v[204:205], v[208:209], -v[188:189]
	v_mul_f64 v[204:205], v[204:205], v[190:191]
	v_fmac_f64_e32 v[204:205], v[206:207], v[208:209]
	v_add_f64 v[146:147], v[146:147], -v[204:205]
	ds_read2_b64 v[204:207], v202 offset0:38 offset1:39
	v_add_f64 v[144:145], v[144:145], -v[188:189]
	s_waitcnt lgkmcnt(0)
	v_mul_f64 v[188:189], v[206:207], v[190:191]
	v_fma_f64 v[188:189], v[204:205], v[208:209], -v[188:189]
	v_mul_f64 v[204:205], v[204:205], v[190:191]
	v_fmac_f64_e32 v[204:205], v[206:207], v[208:209]
	v_add_f64 v[142:143], v[142:143], -v[204:205]
	ds_read2_b64 v[204:207], v202 offset0:40 offset1:41
	v_add_f64 v[140:141], v[140:141], -v[188:189]
	s_waitcnt lgkmcnt(0)
	v_mul_f64 v[188:189], v[206:207], v[190:191]
	v_fma_f64 v[188:189], v[204:205], v[208:209], -v[188:189]
	v_mul_f64 v[204:205], v[204:205], v[190:191]
	v_fmac_f64_e32 v[204:205], v[206:207], v[208:209]
	v_add_f64 v[138:139], v[138:139], -v[204:205]
	ds_read2_b64 v[204:207], v202 offset0:42 offset1:43
	v_add_f64 v[136:137], v[136:137], -v[188:189]
	s_waitcnt lgkmcnt(0)
	v_mul_f64 v[188:189], v[206:207], v[190:191]
	v_fma_f64 v[188:189], v[204:205], v[208:209], -v[188:189]
	v_mul_f64 v[204:205], v[204:205], v[190:191]
	v_fmac_f64_e32 v[204:205], v[206:207], v[208:209]
	v_add_f64 v[134:135], v[134:135], -v[204:205]
	ds_read2_b64 v[204:207], v202 offset0:44 offset1:45
	v_add_f64 v[132:133], v[132:133], -v[188:189]
	s_waitcnt lgkmcnt(0)
	v_mul_f64 v[188:189], v[206:207], v[190:191]
	v_fma_f64 v[188:189], v[204:205], v[208:209], -v[188:189]
	v_mul_f64 v[204:205], v[204:205], v[190:191]
	v_fmac_f64_e32 v[204:205], v[206:207], v[208:209]
	v_add_f64 v[130:131], v[130:131], -v[204:205]
	ds_read2_b64 v[204:207], v202 offset0:46 offset1:47
	v_add_f64 v[128:129], v[128:129], -v[188:189]
	s_waitcnt lgkmcnt(0)
	v_mul_f64 v[188:189], v[206:207], v[190:191]
	v_fma_f64 v[188:189], v[204:205], v[208:209], -v[188:189]
	v_mul_f64 v[204:205], v[204:205], v[190:191]
	v_fmac_f64_e32 v[204:205], v[206:207], v[208:209]
	v_add_f64 v[126:127], v[126:127], -v[204:205]
	ds_read2_b64 v[204:207], v202 offset0:48 offset1:49
	v_add_f64 v[124:125], v[124:125], -v[188:189]
	s_waitcnt lgkmcnt(0)
	v_mul_f64 v[188:189], v[206:207], v[190:191]
	v_fma_f64 v[188:189], v[204:205], v[208:209], -v[188:189]
	v_mul_f64 v[204:205], v[204:205], v[190:191]
	v_fmac_f64_e32 v[204:205], v[206:207], v[208:209]
	v_add_f64 v[122:123], v[122:123], -v[204:205]
	ds_read2_b64 v[204:207], v202 offset0:50 offset1:51
	v_add_f64 v[120:121], v[120:121], -v[188:189]
	s_waitcnt lgkmcnt(0)
	v_mul_f64 v[188:189], v[206:207], v[190:191]
	v_fma_f64 v[188:189], v[204:205], v[208:209], -v[188:189]
	v_mul_f64 v[204:205], v[204:205], v[190:191]
	v_fmac_f64_e32 v[204:205], v[206:207], v[208:209]
	v_add_f64 v[118:119], v[118:119], -v[204:205]
	ds_read2_b64 v[204:207], v202 offset0:52 offset1:53
	v_add_f64 v[116:117], v[116:117], -v[188:189]
	s_waitcnt lgkmcnt(0)
	v_mul_f64 v[188:189], v[206:207], v[190:191]
	v_fma_f64 v[188:189], v[204:205], v[208:209], -v[188:189]
	v_mul_f64 v[204:205], v[204:205], v[190:191]
	v_fmac_f64_e32 v[204:205], v[206:207], v[208:209]
	v_add_f64 v[114:115], v[114:115], -v[204:205]
	ds_read2_b64 v[204:207], v202 offset0:54 offset1:55
	v_add_f64 v[112:113], v[112:113], -v[188:189]
	s_waitcnt lgkmcnt(0)
	v_mul_f64 v[188:189], v[206:207], v[190:191]
	v_fma_f64 v[188:189], v[204:205], v[208:209], -v[188:189]
	v_mul_f64 v[204:205], v[204:205], v[190:191]
	v_fmac_f64_e32 v[204:205], v[206:207], v[208:209]
	v_add_f64 v[110:111], v[110:111], -v[204:205]
	ds_read2_b64 v[204:207], v202 offset0:56 offset1:57
	v_add_f64 v[108:109], v[108:109], -v[188:189]
	s_waitcnt lgkmcnt(0)
	v_mul_f64 v[188:189], v[206:207], v[190:191]
	v_fma_f64 v[188:189], v[204:205], v[208:209], -v[188:189]
	v_mul_f64 v[204:205], v[204:205], v[190:191]
	v_fmac_f64_e32 v[204:205], v[206:207], v[208:209]
	v_add_f64 v[106:107], v[106:107], -v[204:205]
	ds_read2_b64 v[204:207], v202 offset0:58 offset1:59
	v_add_f64 v[104:105], v[104:105], -v[188:189]
	s_waitcnt lgkmcnt(0)
	v_mul_f64 v[188:189], v[206:207], v[190:191]
	v_fma_f64 v[188:189], v[204:205], v[208:209], -v[188:189]
	v_mul_f64 v[204:205], v[204:205], v[190:191]
	v_fmac_f64_e32 v[204:205], v[206:207], v[208:209]
	v_add_f64 v[102:103], v[102:103], -v[204:205]
	ds_read2_b64 v[204:207], v202 offset0:60 offset1:61
	v_add_f64 v[100:101], v[100:101], -v[188:189]
	s_waitcnt lgkmcnt(0)
	v_mul_f64 v[188:189], v[206:207], v[190:191]
	v_fma_f64 v[188:189], v[204:205], v[208:209], -v[188:189]
	v_mul_f64 v[204:205], v[204:205], v[190:191]
	v_fmac_f64_e32 v[204:205], v[206:207], v[208:209]
	v_add_f64 v[98:99], v[98:99], -v[204:205]
	ds_read2_b64 v[204:207], v202 offset0:62 offset1:63
	v_add_f64 v[96:97], v[96:97], -v[188:189]
	s_waitcnt lgkmcnt(0)
	v_mul_f64 v[188:189], v[206:207], v[190:191]
	v_fma_f64 v[188:189], v[204:205], v[208:209], -v[188:189]
	v_mul_f64 v[204:205], v[204:205], v[190:191]
	v_fmac_f64_e32 v[204:205], v[206:207], v[208:209]
	v_add_f64 v[94:95], v[94:95], -v[204:205]
	ds_read2_b64 v[204:207], v202 offset0:64 offset1:65
	v_add_f64 v[92:93], v[92:93], -v[188:189]
	s_waitcnt lgkmcnt(0)
	v_mul_f64 v[188:189], v[206:207], v[190:191]
	v_fma_f64 v[188:189], v[204:205], v[208:209], -v[188:189]
	v_mul_f64 v[204:205], v[204:205], v[190:191]
	v_fmac_f64_e32 v[204:205], v[206:207], v[208:209]
	v_add_f64 v[90:91], v[90:91], -v[204:205]
	ds_read2_b64 v[204:207], v202 offset0:66 offset1:67
	v_add_f64 v[88:89], v[88:89], -v[188:189]
	s_waitcnt lgkmcnt(0)
	v_mul_f64 v[188:189], v[206:207], v[190:191]
	v_fma_f64 v[188:189], v[204:205], v[208:209], -v[188:189]
	v_mul_f64 v[204:205], v[204:205], v[190:191]
	v_fmac_f64_e32 v[204:205], v[206:207], v[208:209]
	v_add_f64 v[86:87], v[86:87], -v[204:205]
	ds_read2_b64 v[204:207], v202 offset0:68 offset1:69
	v_add_f64 v[84:85], v[84:85], -v[188:189]
	s_waitcnt lgkmcnt(0)
	v_mul_f64 v[188:189], v[206:207], v[190:191]
	v_fma_f64 v[188:189], v[204:205], v[208:209], -v[188:189]
	v_mul_f64 v[204:205], v[204:205], v[190:191]
	v_fmac_f64_e32 v[204:205], v[206:207], v[208:209]
	v_add_f64 v[82:83], v[82:83], -v[204:205]
	ds_read2_b64 v[204:207], v202 offset0:70 offset1:71
	v_add_f64 v[80:81], v[80:81], -v[188:189]
	s_waitcnt lgkmcnt(0)
	v_mul_f64 v[188:189], v[206:207], v[190:191]
	v_fma_f64 v[188:189], v[204:205], v[208:209], -v[188:189]
	v_mul_f64 v[204:205], v[204:205], v[190:191]
	v_fmac_f64_e32 v[204:205], v[206:207], v[208:209]
	v_add_f64 v[78:79], v[78:79], -v[204:205]
	ds_read2_b64 v[204:207], v202 offset0:72 offset1:73
	v_add_f64 v[76:77], v[76:77], -v[188:189]
	s_waitcnt lgkmcnt(0)
	v_mul_f64 v[188:189], v[206:207], v[190:191]
	v_fma_f64 v[188:189], v[204:205], v[208:209], -v[188:189]
	v_mul_f64 v[204:205], v[204:205], v[190:191]
	v_fmac_f64_e32 v[204:205], v[206:207], v[208:209]
	v_add_f64 v[74:75], v[74:75], -v[204:205]
	ds_read2_b64 v[204:207], v202 offset0:74 offset1:75
	v_add_f64 v[72:73], v[72:73], -v[188:189]
	s_waitcnt lgkmcnt(0)
	v_mul_f64 v[188:189], v[206:207], v[190:191]
	v_fma_f64 v[188:189], v[204:205], v[208:209], -v[188:189]
	v_mul_f64 v[204:205], v[204:205], v[190:191]
	v_fmac_f64_e32 v[204:205], v[206:207], v[208:209]
	v_add_f64 v[70:71], v[70:71], -v[204:205]
	ds_read2_b64 v[204:207], v202 offset0:76 offset1:77
	v_add_f64 v[68:69], v[68:69], -v[188:189]
	s_waitcnt lgkmcnt(0)
	v_mul_f64 v[188:189], v[206:207], v[190:191]
	v_fma_f64 v[188:189], v[204:205], v[208:209], -v[188:189]
	v_mul_f64 v[204:205], v[204:205], v[190:191]
	v_fmac_f64_e32 v[204:205], v[206:207], v[208:209]
	v_add_f64 v[66:67], v[66:67], -v[204:205]
	ds_read2_b64 v[204:207], v202 offset0:78 offset1:79
	v_add_f64 v[64:65], v[64:65], -v[188:189]
	s_waitcnt lgkmcnt(0)
	v_mul_f64 v[188:189], v[206:207], v[190:191]
	v_fma_f64 v[188:189], v[204:205], v[208:209], -v[188:189]
	v_mul_f64 v[204:205], v[204:205], v[190:191]
	v_fmac_f64_e32 v[204:205], v[206:207], v[208:209]
	v_add_f64 v[62:63], v[62:63], -v[204:205]
	ds_read2_b64 v[204:207], v202 offset0:80 offset1:81
	v_add_f64 v[60:61], v[60:61], -v[188:189]
	s_waitcnt lgkmcnt(0)
	v_mul_f64 v[188:189], v[206:207], v[190:191]
	v_fma_f64 v[188:189], v[204:205], v[208:209], -v[188:189]
	v_mul_f64 v[204:205], v[204:205], v[190:191]
	v_fmac_f64_e32 v[204:205], v[206:207], v[208:209]
	v_add_f64 v[58:59], v[58:59], -v[204:205]
	ds_read2_b64 v[204:207], v202 offset0:82 offset1:83
	v_add_f64 v[56:57], v[56:57], -v[188:189]
	s_waitcnt lgkmcnt(0)
	v_mul_f64 v[188:189], v[206:207], v[190:191]
	v_fma_f64 v[188:189], v[204:205], v[208:209], -v[188:189]
	v_mul_f64 v[204:205], v[204:205], v[190:191]
	v_fmac_f64_e32 v[204:205], v[206:207], v[208:209]
	v_add_f64 v[54:55], v[54:55], -v[204:205]
	ds_read2_b64 v[204:207], v202 offset0:84 offset1:85
	v_add_f64 v[52:53], v[52:53], -v[188:189]
	s_waitcnt lgkmcnt(0)
	v_mul_f64 v[188:189], v[206:207], v[190:191]
	v_fma_f64 v[188:189], v[204:205], v[208:209], -v[188:189]
	v_mul_f64 v[204:205], v[204:205], v[190:191]
	v_fmac_f64_e32 v[204:205], v[206:207], v[208:209]
	v_add_f64 v[50:51], v[50:51], -v[204:205]
	ds_read2_b64 v[204:207], v202 offset0:86 offset1:87
	v_add_f64 v[48:49], v[48:49], -v[188:189]
	s_waitcnt lgkmcnt(0)
	v_mul_f64 v[188:189], v[206:207], v[190:191]
	v_fma_f64 v[188:189], v[204:205], v[208:209], -v[188:189]
	v_mul_f64 v[204:205], v[204:205], v[190:191]
	v_fmac_f64_e32 v[204:205], v[206:207], v[208:209]
	v_add_f64 v[46:47], v[46:47], -v[204:205]
	ds_read2_b64 v[204:207], v202 offset0:88 offset1:89
	v_add_f64 v[44:45], v[44:45], -v[188:189]
	s_waitcnt lgkmcnt(0)
	v_mul_f64 v[188:189], v[206:207], v[190:191]
	v_fma_f64 v[188:189], v[204:205], v[208:209], -v[188:189]
	v_mul_f64 v[204:205], v[204:205], v[190:191]
	v_fmac_f64_e32 v[204:205], v[206:207], v[208:209]
	v_add_f64 v[42:43], v[42:43], -v[204:205]
	ds_read2_b64 v[204:207], v202 offset0:90 offset1:91
	v_add_f64 v[40:41], v[40:41], -v[188:189]
	s_waitcnt lgkmcnt(0)
	v_mul_f64 v[188:189], v[206:207], v[190:191]
	v_fma_f64 v[188:189], v[204:205], v[208:209], -v[188:189]
	v_mul_f64 v[204:205], v[204:205], v[190:191]
	v_fmac_f64_e32 v[204:205], v[206:207], v[208:209]
	v_add_f64 v[38:39], v[38:39], -v[204:205]
	ds_read2_b64 v[204:207], v202 offset0:92 offset1:93
	v_add_f64 v[36:37], v[36:37], -v[188:189]
	s_waitcnt lgkmcnt(0)
	v_mul_f64 v[188:189], v[206:207], v[190:191]
	v_fma_f64 v[188:189], v[204:205], v[208:209], -v[188:189]
	v_mul_f64 v[204:205], v[204:205], v[190:191]
	v_fmac_f64_e32 v[204:205], v[206:207], v[208:209]
	v_add_f64 v[34:35], v[34:35], -v[204:205]
	ds_read2_b64 v[204:207], v202 offset0:94 offset1:95
	v_add_f64 v[32:33], v[32:33], -v[188:189]
	s_waitcnt lgkmcnt(0)
	v_mul_f64 v[188:189], v[206:207], v[190:191]
	v_fma_f64 v[188:189], v[204:205], v[208:209], -v[188:189]
	v_mul_f64 v[204:205], v[204:205], v[190:191]
	v_fmac_f64_e32 v[204:205], v[206:207], v[208:209]
	v_add_f64 v[30:31], v[30:31], -v[204:205]
	ds_read2_b64 v[204:207], v202 offset0:96 offset1:97
	v_add_f64 v[28:29], v[28:29], -v[188:189]
	s_waitcnt lgkmcnt(0)
	v_mul_f64 v[188:189], v[206:207], v[190:191]
	v_fma_f64 v[188:189], v[204:205], v[208:209], -v[188:189]
	v_mul_f64 v[204:205], v[204:205], v[190:191]
	v_fmac_f64_e32 v[204:205], v[206:207], v[208:209]
	v_add_f64 v[26:27], v[26:27], -v[204:205]
	ds_read2_b64 v[204:207], v202 offset0:98 offset1:99
	v_add_f64 v[24:25], v[24:25], -v[188:189]
	s_waitcnt lgkmcnt(0)
	v_mul_f64 v[188:189], v[206:207], v[190:191]
	v_fma_f64 v[188:189], v[204:205], v[208:209], -v[188:189]
	v_mul_f64 v[204:205], v[204:205], v[190:191]
	v_fmac_f64_e32 v[204:205], v[206:207], v[208:209]
	v_add_f64 v[22:23], v[22:23], -v[204:205]
	ds_read2_b64 v[204:207], v202 offset0:100 offset1:101
	v_add_f64 v[20:21], v[20:21], -v[188:189]
	s_waitcnt lgkmcnt(0)
	v_mul_f64 v[188:189], v[206:207], v[190:191]
	v_fma_f64 v[188:189], v[204:205], v[208:209], -v[188:189]
	v_mul_f64 v[204:205], v[204:205], v[190:191]
	v_fmac_f64_e32 v[204:205], v[206:207], v[208:209]
	v_add_f64 v[18:19], v[18:19], -v[204:205]
	ds_read2_b64 v[204:207], v202 offset0:102 offset1:103
	v_add_f64 v[16:17], v[16:17], -v[188:189]
	s_waitcnt lgkmcnt(0)
	v_mul_f64 v[188:189], v[206:207], v[190:191]
	v_fma_f64 v[188:189], v[204:205], v[208:209], -v[188:189]
	v_mul_f64 v[204:205], v[204:205], v[190:191]
	v_fmac_f64_e32 v[204:205], v[206:207], v[208:209]
	v_add_f64 v[14:15], v[14:15], -v[204:205]
	ds_read2_b64 v[204:207], v202 offset0:104 offset1:105
	v_add_f64 v[12:13], v[12:13], -v[188:189]
	s_waitcnt lgkmcnt(0)
	v_mul_f64 v[188:189], v[206:207], v[190:191]
	v_fma_f64 v[188:189], v[204:205], v[208:209], -v[188:189]
	v_mul_f64 v[204:205], v[204:205], v[190:191]
	v_fmac_f64_e32 v[204:205], v[206:207], v[208:209]
	v_add_f64 v[10:11], v[10:11], -v[204:205]
	ds_read2_b64 v[204:207], v202 offset0:106 offset1:107
	v_add_f64 v[8:9], v[8:9], -v[188:189]
	s_waitcnt lgkmcnt(0)
	v_mul_f64 v[188:189], v[206:207], v[190:191]
	v_fma_f64 v[188:189], v[204:205], v[208:209], -v[188:189]
	v_mul_f64 v[204:205], v[204:205], v[190:191]
	v_fmac_f64_e32 v[204:205], v[206:207], v[208:209]
	v_add_f64 v[6:7], v[6:7], -v[204:205]
	ds_read2_b64 v[204:207], v202 offset0:108 offset1:109
	v_add_f64 v[4:5], v[4:5], -v[188:189]
	s_waitcnt lgkmcnt(0)
	v_mul_f64 v[188:189], v[206:207], v[190:191]
	v_fma_f64 v[188:189], v[204:205], v[208:209], -v[188:189]
	v_mul_f64 v[204:205], v[204:205], v[190:191]
	v_fmac_f64_e32 v[204:205], v[206:207], v[208:209]
	v_add_f64 v[2:3], v[2:3], -v[204:205]
	ds_read2_b64 v[204:207], v202 offset0:110 offset1:111
	v_add_f64 v[0:1], v[0:1], -v[188:189]
	s_waitcnt lgkmcnt(0)
	v_mul_f64 v[188:189], v[206:207], v[190:191]
	v_fma_f64 v[188:189], v[204:205], v[208:209], -v[188:189]
	v_mul_f64 v[204:205], v[204:205], v[190:191]
	v_fmac_f64_e32 v[204:205], v[206:207], v[208:209]
	v_add_f64 v[220:221], v[220:221], -v[188:189]
	v_add_f64 v[222:223], v[222:223], -v[204:205]
	v_mov_b64_e32 v[188:189], v[208:209]
.LBB111_73:
	s_or_b64 exec, exec, s[2:3]
	v_cmp_eq_u32_e32 vcc, 8, v200
	s_waitcnt vmcnt(63) expcnt(7) lgkmcnt(15)
	s_barrier
	s_and_saveexec_b64 s[4:5], vcc
	s_cbranch_execz .LBB111_80
; %bb.74:
	ds_write2_b64 v201, v[184:185], v[186:187] offset1:1
	ds_write2_b64 v202, v[180:181], v[182:183] offset0:18 offset1:19
	ds_write2_b64 v202, v[176:177], v[178:179] offset0:20 offset1:21
	;; [unrolled: 1-line block ×27, first 2 shown]
	s_waitcnt vmcnt(61)
	ds_write2_b64 v202, v[72:73], v[74:75] offset0:72 offset1:73
	ds_write2_b64 v202, v[68:69], v[70:71] offset0:74 offset1:75
	;; [unrolled: 1-line block ×3, first 2 shown]
	s_waitcnt vmcnt(38)
	ds_write2_b64 v202, v[60:61], v[62:63] offset0:78 offset1:79
	s_waitcnt vmcnt(37)
	ds_write2_b64 v202, v[56:57], v[58:59] offset0:80 offset1:81
	;; [unrolled: 2-line block ×11, first 2 shown]
	ds_write2_b64 v202, v[16:17], v[18:19] offset0:100 offset1:101
	ds_write2_b64 v202, v[12:13], v[14:15] offset0:102 offset1:103
	;; [unrolled: 1-line block ×4, first 2 shown]
	s_waitcnt vmcnt(27)
	ds_write2_b64 v202, v[0:1], v[2:3] offset0:108 offset1:109
	s_waitcnt vmcnt(24)
	ds_write2_b64 v202, v[220:221], v[222:223] offset0:110 offset1:111
	ds_read2_b64 v[208:211], v201 offset1:1
	s_waitcnt lgkmcnt(0)
	v_cmp_neq_f64_e32 vcc, 0, v[208:209]
	v_cmp_neq_f64_e64 s[2:3], 0, v[210:211]
	s_or_b64 s[2:3], vcc, s[2:3]
	s_and_b64 exec, exec, s[2:3]
	s_cbranch_execz .LBB111_80
; %bb.75:
	v_cmp_ngt_f64_e64 s[2:3], |v[208:209]|, |v[210:211]|
                                        ; implicit-def: $vgpr204_vgpr205
	s_and_saveexec_b64 s[10:11], s[2:3]
	s_xor_b64 s[2:3], exec, s[10:11]
                                        ; implicit-def: $vgpr206_vgpr207
	s_cbranch_execz .LBB111_77
; %bb.76:
	v_div_scale_f64 v[204:205], s[10:11], v[210:211], v[210:211], v[208:209]
	v_rcp_f64_e32 v[206:207], v[204:205]
	v_div_scale_f64 v[212:213], vcc, v[208:209], v[210:211], v[208:209]
	v_fma_f64 v[214:215], -v[204:205], v[206:207], 1.0
	v_fmac_f64_e32 v[206:207], v[206:207], v[214:215]
	v_fma_f64 v[214:215], -v[204:205], v[206:207], 1.0
	v_fmac_f64_e32 v[206:207], v[206:207], v[214:215]
	v_mul_f64 v[214:215], v[212:213], v[206:207]
	v_fma_f64 v[204:205], -v[204:205], v[214:215], v[212:213]
	v_div_fmas_f64 v[204:205], v[204:205], v[206:207], v[214:215]
	v_div_fixup_f64 v[204:205], v[204:205], v[210:211], v[208:209]
	v_fmac_f64_e32 v[210:211], v[208:209], v[204:205]
	v_div_scale_f64 v[206:207], s[10:11], v[210:211], v[210:211], 1.0
	v_rcp_f64_e32 v[208:209], v[206:207]
	s_nop 0
	v_fma_f64 v[212:213], -v[206:207], v[208:209], 1.0
	v_fmac_f64_e32 v[208:209], v[208:209], v[212:213]
	v_fma_f64 v[212:213], -v[206:207], v[208:209], 1.0
	v_fmac_f64_e32 v[208:209], v[208:209], v[212:213]
	v_div_scale_f64 v[212:213], vcc, 1.0, v[210:211], 1.0
	v_mul_f64 v[214:215], v[212:213], v[208:209]
	v_fma_f64 v[206:207], -v[206:207], v[214:215], v[212:213]
	s_nop 1
	v_div_fmas_f64 v[206:207], v[206:207], v[208:209], v[214:215]
	v_div_fixup_f64 v[206:207], v[206:207], v[210:211], 1.0
	v_mul_f64 v[204:205], v[204:205], v[206:207]
	v_xor_b32_e32 v207, 0x80000000, v207
                                        ; implicit-def: $vgpr208_vgpr209
.LBB111_77:
	s_andn2_saveexec_b64 s[2:3], s[2:3]
	s_cbranch_execz .LBB111_79
; %bb.78:
	v_div_scale_f64 v[204:205], s[10:11], v[208:209], v[208:209], v[210:211]
	v_rcp_f64_e32 v[206:207], v[204:205]
	v_div_scale_f64 v[212:213], vcc, v[210:211], v[208:209], v[210:211]
	v_fma_f64 v[214:215], -v[204:205], v[206:207], 1.0
	v_fmac_f64_e32 v[206:207], v[206:207], v[214:215]
	v_fma_f64 v[214:215], -v[204:205], v[206:207], 1.0
	v_fmac_f64_e32 v[206:207], v[206:207], v[214:215]
	v_mul_f64 v[214:215], v[212:213], v[206:207]
	v_fma_f64 v[204:205], -v[204:205], v[214:215], v[212:213]
	v_div_fmas_f64 v[204:205], v[204:205], v[206:207], v[214:215]
	v_div_fixup_f64 v[206:207], v[204:205], v[208:209], v[210:211]
	v_fmac_f64_e32 v[208:209], v[210:211], v[206:207]
	v_div_scale_f64 v[204:205], s[10:11], v[208:209], v[208:209], 1.0
	v_rcp_f64_e32 v[210:211], v[204:205]
	s_nop 0
	v_fma_f64 v[212:213], -v[204:205], v[210:211], 1.0
	v_fmac_f64_e32 v[210:211], v[210:211], v[212:213]
	v_fma_f64 v[212:213], -v[204:205], v[210:211], 1.0
	v_fmac_f64_e32 v[210:211], v[210:211], v[212:213]
	v_div_scale_f64 v[212:213], vcc, 1.0, v[208:209], 1.0
	v_mul_f64 v[214:215], v[212:213], v[210:211]
	v_fma_f64 v[204:205], -v[204:205], v[214:215], v[212:213]
	s_nop 1
	v_div_fmas_f64 v[204:205], v[204:205], v[210:211], v[214:215]
	v_div_fixup_f64 v[204:205], v[204:205], v[208:209], 1.0
	v_mul_f64 v[206:207], v[206:207], -v[204:205]
.LBB111_79:
	s_or_b64 exec, exec, s[2:3]
	ds_write2_b64 v201, v[204:205], v[206:207] offset1:1
.LBB111_80:
	s_or_b64 exec, exec, s[4:5]
	s_waitcnt lgkmcnt(0)
	s_barrier
	ds_read2_b64 v[192:195], v201 offset1:1
	v_cmp_lt_u32_e32 vcc, 8, v200
	s_waitcnt lgkmcnt(0)
	scratch_store_dwordx4 off, v[192:195], off offset:672 ; 16-byte Folded Spill
	s_and_saveexec_b64 s[2:3], vcc
	s_cbranch_execz .LBB111_82
; %bb.81:
	scratch_load_dwordx4 v[192:195], off, off offset:672 ; 16-byte Folded Reload
	s_waitcnt vmcnt(0)
	v_mul_f64 v[204:205], v[194:195], v[186:187]
	v_fma_f64 v[208:209], v[192:193], v[184:185], -v[204:205]
	ds_read2_b64 v[204:207], v202 offset0:18 offset1:19
	v_mul_f64 v[186:187], v[192:193], v[186:187]
	v_fmac_f64_e32 v[186:187], v[194:195], v[184:185]
	s_waitcnt lgkmcnt(0)
	v_mul_f64 v[184:185], v[206:207], v[186:187]
	v_fma_f64 v[184:185], v[204:205], v[208:209], -v[184:185]
	v_mul_f64 v[204:205], v[204:205], v[186:187]
	v_fmac_f64_e32 v[204:205], v[206:207], v[208:209]
	v_add_f64 v[182:183], v[182:183], -v[204:205]
	ds_read2_b64 v[204:207], v202 offset0:20 offset1:21
	v_add_f64 v[180:181], v[180:181], -v[184:185]
	s_waitcnt lgkmcnt(0)
	v_mul_f64 v[184:185], v[206:207], v[186:187]
	v_fma_f64 v[184:185], v[204:205], v[208:209], -v[184:185]
	v_mul_f64 v[204:205], v[204:205], v[186:187]
	v_fmac_f64_e32 v[204:205], v[206:207], v[208:209]
	v_add_f64 v[178:179], v[178:179], -v[204:205]
	ds_read2_b64 v[204:207], v202 offset0:22 offset1:23
	v_add_f64 v[176:177], v[176:177], -v[184:185]
	;; [unrolled: 8-line block ×46, first 2 shown]
	s_waitcnt lgkmcnt(0)
	v_mul_f64 v[184:185], v[206:207], v[186:187]
	v_fma_f64 v[184:185], v[204:205], v[208:209], -v[184:185]
	v_mul_f64 v[204:205], v[204:205], v[186:187]
	v_fmac_f64_e32 v[204:205], v[206:207], v[208:209]
	v_add_f64 v[220:221], v[220:221], -v[184:185]
	v_add_f64 v[222:223], v[222:223], -v[204:205]
	v_mov_b64_e32 v[184:185], v[208:209]
.LBB111_82:
	s_or_b64 exec, exec, s[2:3]
	v_cmp_eq_u32_e32 vcc, 9, v200
	s_waitcnt vmcnt(63) expcnt(7) lgkmcnt(15)
	s_barrier
	s_and_saveexec_b64 s[4:5], vcc
	s_cbranch_execz .LBB111_89
; %bb.83:
	ds_write2_b64 v201, v[180:181], v[182:183] offset1:1
	ds_write2_b64 v202, v[176:177], v[178:179] offset0:20 offset1:21
	ds_write2_b64 v202, v[172:173], v[174:175] offset0:22 offset1:23
	ds_write2_b64 v202, v[168:169], v[170:171] offset0:24 offset1:25
	ds_write2_b64 v202, v[164:165], v[166:167] offset0:26 offset1:27
	ds_write2_b64 v202, v[160:161], v[162:163] offset0:28 offset1:29
	ds_write2_b64 v202, v[156:157], v[158:159] offset0:30 offset1:31
	ds_write2_b64 v202, v[152:153], v[154:155] offset0:32 offset1:33
	ds_write2_b64 v202, v[148:149], v[150:151] offset0:34 offset1:35
	ds_write2_b64 v202, v[144:145], v[146:147] offset0:36 offset1:37
	ds_write2_b64 v202, v[140:141], v[142:143] offset0:38 offset1:39
	ds_write2_b64 v202, v[136:137], v[138:139] offset0:40 offset1:41
	ds_write2_b64 v202, v[132:133], v[134:135] offset0:42 offset1:43
	ds_write2_b64 v202, v[128:129], v[130:131] offset0:44 offset1:45
	ds_write2_b64 v202, v[124:125], v[126:127] offset0:46 offset1:47
	ds_write2_b64 v202, v[120:121], v[122:123] offset0:48 offset1:49
	ds_write2_b64 v202, v[116:117], v[118:119] offset0:50 offset1:51
	ds_write2_b64 v202, v[112:113], v[114:115] offset0:52 offset1:53
	ds_write2_b64 v202, v[108:109], v[110:111] offset0:54 offset1:55
	ds_write2_b64 v202, v[104:105], v[106:107] offset0:56 offset1:57
	ds_write2_b64 v202, v[100:101], v[102:103] offset0:58 offset1:59
	ds_write2_b64 v202, v[96:97], v[98:99] offset0:60 offset1:61
	ds_write2_b64 v202, v[92:93], v[94:95] offset0:62 offset1:63
	ds_write2_b64 v202, v[88:89], v[90:91] offset0:64 offset1:65
	ds_write2_b64 v202, v[84:85], v[86:87] offset0:66 offset1:67
	ds_write2_b64 v202, v[80:81], v[82:83] offset0:68 offset1:69
	ds_write2_b64 v202, v[76:77], v[78:79] offset0:70 offset1:71
	s_waitcnt vmcnt(62)
	ds_write2_b64 v202, v[72:73], v[74:75] offset0:72 offset1:73
	ds_write2_b64 v202, v[68:69], v[70:71] offset0:74 offset1:75
	ds_write2_b64 v202, v[64:65], v[66:67] offset0:76 offset1:77
	s_waitcnt vmcnt(39)
	ds_write2_b64 v202, v[60:61], v[62:63] offset0:78 offset1:79
	s_waitcnt vmcnt(38)
	ds_write2_b64 v202, v[56:57], v[58:59] offset0:80 offset1:81
	;; [unrolled: 2-line block ×11, first 2 shown]
	ds_write2_b64 v202, v[16:17], v[18:19] offset0:100 offset1:101
	ds_write2_b64 v202, v[12:13], v[14:15] offset0:102 offset1:103
	;; [unrolled: 1-line block ×4, first 2 shown]
	s_waitcnt vmcnt(28)
	ds_write2_b64 v202, v[0:1], v[2:3] offset0:108 offset1:109
	s_waitcnt vmcnt(25)
	ds_write2_b64 v202, v[220:221], v[222:223] offset0:110 offset1:111
	ds_read2_b64 v[208:211], v201 offset1:1
	s_waitcnt lgkmcnt(0)
	v_cmp_neq_f64_e32 vcc, 0, v[208:209]
	v_cmp_neq_f64_e64 s[2:3], 0, v[210:211]
	s_or_b64 s[2:3], vcc, s[2:3]
	s_and_b64 exec, exec, s[2:3]
	s_cbranch_execz .LBB111_89
; %bb.84:
	v_cmp_ngt_f64_e64 s[2:3], |v[208:209]|, |v[210:211]|
                                        ; implicit-def: $vgpr204_vgpr205
	s_and_saveexec_b64 s[10:11], s[2:3]
	s_xor_b64 s[2:3], exec, s[10:11]
                                        ; implicit-def: $vgpr206_vgpr207
	s_cbranch_execz .LBB111_86
; %bb.85:
	v_div_scale_f64 v[204:205], s[10:11], v[210:211], v[210:211], v[208:209]
	v_rcp_f64_e32 v[206:207], v[204:205]
	v_div_scale_f64 v[212:213], vcc, v[208:209], v[210:211], v[208:209]
	v_fma_f64 v[214:215], -v[204:205], v[206:207], 1.0
	v_fmac_f64_e32 v[206:207], v[206:207], v[214:215]
	v_fma_f64 v[214:215], -v[204:205], v[206:207], 1.0
	v_fmac_f64_e32 v[206:207], v[206:207], v[214:215]
	v_mul_f64 v[214:215], v[212:213], v[206:207]
	v_fma_f64 v[204:205], -v[204:205], v[214:215], v[212:213]
	v_div_fmas_f64 v[204:205], v[204:205], v[206:207], v[214:215]
	v_div_fixup_f64 v[204:205], v[204:205], v[210:211], v[208:209]
	v_fmac_f64_e32 v[210:211], v[208:209], v[204:205]
	v_div_scale_f64 v[206:207], s[10:11], v[210:211], v[210:211], 1.0
	v_rcp_f64_e32 v[208:209], v[206:207]
	s_nop 0
	v_fma_f64 v[212:213], -v[206:207], v[208:209], 1.0
	v_fmac_f64_e32 v[208:209], v[208:209], v[212:213]
	v_fma_f64 v[212:213], -v[206:207], v[208:209], 1.0
	v_fmac_f64_e32 v[208:209], v[208:209], v[212:213]
	v_div_scale_f64 v[212:213], vcc, 1.0, v[210:211], 1.0
	v_mul_f64 v[214:215], v[212:213], v[208:209]
	v_fma_f64 v[206:207], -v[206:207], v[214:215], v[212:213]
	s_nop 1
	v_div_fmas_f64 v[206:207], v[206:207], v[208:209], v[214:215]
	v_div_fixup_f64 v[206:207], v[206:207], v[210:211], 1.0
	v_mul_f64 v[204:205], v[204:205], v[206:207]
	v_xor_b32_e32 v207, 0x80000000, v207
                                        ; implicit-def: $vgpr208_vgpr209
.LBB111_86:
	s_andn2_saveexec_b64 s[2:3], s[2:3]
	s_cbranch_execz .LBB111_88
; %bb.87:
	v_div_scale_f64 v[204:205], s[10:11], v[208:209], v[208:209], v[210:211]
	v_rcp_f64_e32 v[206:207], v[204:205]
	v_div_scale_f64 v[212:213], vcc, v[210:211], v[208:209], v[210:211]
	v_fma_f64 v[214:215], -v[204:205], v[206:207], 1.0
	v_fmac_f64_e32 v[206:207], v[206:207], v[214:215]
	v_fma_f64 v[214:215], -v[204:205], v[206:207], 1.0
	v_fmac_f64_e32 v[206:207], v[206:207], v[214:215]
	v_mul_f64 v[214:215], v[212:213], v[206:207]
	v_fma_f64 v[204:205], -v[204:205], v[214:215], v[212:213]
	v_div_fmas_f64 v[204:205], v[204:205], v[206:207], v[214:215]
	v_div_fixup_f64 v[206:207], v[204:205], v[208:209], v[210:211]
	v_fmac_f64_e32 v[208:209], v[210:211], v[206:207]
	v_div_scale_f64 v[204:205], s[10:11], v[208:209], v[208:209], 1.0
	v_rcp_f64_e32 v[210:211], v[204:205]
	s_nop 0
	v_fma_f64 v[212:213], -v[204:205], v[210:211], 1.0
	v_fmac_f64_e32 v[210:211], v[210:211], v[212:213]
	v_fma_f64 v[212:213], -v[204:205], v[210:211], 1.0
	v_fmac_f64_e32 v[210:211], v[210:211], v[212:213]
	v_div_scale_f64 v[212:213], vcc, 1.0, v[208:209], 1.0
	v_mul_f64 v[214:215], v[212:213], v[210:211]
	v_fma_f64 v[204:205], -v[204:205], v[214:215], v[212:213]
	s_nop 1
	v_div_fmas_f64 v[204:205], v[204:205], v[210:211], v[214:215]
	v_div_fixup_f64 v[204:205], v[204:205], v[208:209], 1.0
	v_mul_f64 v[206:207], v[206:207], -v[204:205]
.LBB111_88:
	s_or_b64 exec, exec, s[2:3]
	ds_write2_b64 v201, v[204:205], v[206:207] offset1:1
.LBB111_89:
	s_or_b64 exec, exec, s[4:5]
	s_waitcnt lgkmcnt(0)
	s_barrier
	ds_read2_b64 v[192:195], v201 offset1:1
	v_cmp_lt_u32_e32 vcc, 9, v200
	s_waitcnt lgkmcnt(0)
	scratch_store_dwordx4 off, v[192:195], off offset:688 ; 16-byte Folded Spill
	s_and_saveexec_b64 s[2:3], vcc
	s_cbranch_execz .LBB111_91
; %bb.90:
	scratch_load_dwordx4 v[192:195], off, off offset:688 ; 16-byte Folded Reload
	s_waitcnt vmcnt(0)
	v_mul_f64 v[204:205], v[194:195], v[182:183]
	v_fma_f64 v[208:209], v[192:193], v[180:181], -v[204:205]
	ds_read2_b64 v[204:207], v202 offset0:20 offset1:21
	v_mul_f64 v[182:183], v[192:193], v[182:183]
	v_fmac_f64_e32 v[182:183], v[194:195], v[180:181]
	s_waitcnt lgkmcnt(0)
	v_mul_f64 v[180:181], v[206:207], v[182:183]
	v_fma_f64 v[180:181], v[204:205], v[208:209], -v[180:181]
	v_mul_f64 v[204:205], v[204:205], v[182:183]
	v_fmac_f64_e32 v[204:205], v[206:207], v[208:209]
	v_add_f64 v[178:179], v[178:179], -v[204:205]
	ds_read2_b64 v[204:207], v202 offset0:22 offset1:23
	v_add_f64 v[176:177], v[176:177], -v[180:181]
	s_waitcnt lgkmcnt(0)
	v_mul_f64 v[180:181], v[206:207], v[182:183]
	v_fma_f64 v[180:181], v[204:205], v[208:209], -v[180:181]
	v_mul_f64 v[204:205], v[204:205], v[182:183]
	v_fmac_f64_e32 v[204:205], v[206:207], v[208:209]
	v_add_f64 v[174:175], v[174:175], -v[204:205]
	ds_read2_b64 v[204:207], v202 offset0:24 offset1:25
	v_add_f64 v[172:173], v[172:173], -v[180:181]
	;; [unrolled: 8-line block ×45, first 2 shown]
	s_waitcnt lgkmcnt(0)
	v_mul_f64 v[180:181], v[206:207], v[182:183]
	v_fma_f64 v[180:181], v[204:205], v[208:209], -v[180:181]
	v_mul_f64 v[204:205], v[204:205], v[182:183]
	v_fmac_f64_e32 v[204:205], v[206:207], v[208:209]
	v_add_f64 v[220:221], v[220:221], -v[180:181]
	v_add_f64 v[222:223], v[222:223], -v[204:205]
	v_mov_b64_e32 v[180:181], v[208:209]
.LBB111_91:
	s_or_b64 exec, exec, s[2:3]
	v_cmp_eq_u32_e32 vcc, 10, v200
	s_waitcnt vmcnt(63) expcnt(7) lgkmcnt(15)
	s_barrier
	s_and_saveexec_b64 s[4:5], vcc
	s_cbranch_execz .LBB111_98
; %bb.92:
	ds_write2_b64 v201, v[176:177], v[178:179] offset1:1
	ds_write2_b64 v202, v[172:173], v[174:175] offset0:22 offset1:23
	ds_write2_b64 v202, v[168:169], v[170:171] offset0:24 offset1:25
	;; [unrolled: 1-line block ×28, first 2 shown]
	s_waitcnt vmcnt(40)
	ds_write2_b64 v202, v[60:61], v[62:63] offset0:78 offset1:79
	s_waitcnt vmcnt(39)
	ds_write2_b64 v202, v[56:57], v[58:59] offset0:80 offset1:81
	;; [unrolled: 2-line block ×11, first 2 shown]
	ds_write2_b64 v202, v[16:17], v[18:19] offset0:100 offset1:101
	ds_write2_b64 v202, v[12:13], v[14:15] offset0:102 offset1:103
	;; [unrolled: 1-line block ×4, first 2 shown]
	s_waitcnt vmcnt(29)
	ds_write2_b64 v202, v[0:1], v[2:3] offset0:108 offset1:109
	s_waitcnt vmcnt(26)
	ds_write2_b64 v202, v[220:221], v[222:223] offset0:110 offset1:111
	ds_read2_b64 v[208:211], v201 offset1:1
	s_waitcnt lgkmcnt(0)
	v_cmp_neq_f64_e32 vcc, 0, v[208:209]
	v_cmp_neq_f64_e64 s[2:3], 0, v[210:211]
	s_or_b64 s[2:3], vcc, s[2:3]
	s_and_b64 exec, exec, s[2:3]
	s_cbranch_execz .LBB111_98
; %bb.93:
	v_cmp_ngt_f64_e64 s[2:3], |v[208:209]|, |v[210:211]|
                                        ; implicit-def: $vgpr204_vgpr205
	s_and_saveexec_b64 s[10:11], s[2:3]
	s_xor_b64 s[2:3], exec, s[10:11]
                                        ; implicit-def: $vgpr206_vgpr207
	s_cbranch_execz .LBB111_95
; %bb.94:
	v_div_scale_f64 v[204:205], s[10:11], v[210:211], v[210:211], v[208:209]
	v_rcp_f64_e32 v[206:207], v[204:205]
	v_div_scale_f64 v[212:213], vcc, v[208:209], v[210:211], v[208:209]
	v_fma_f64 v[214:215], -v[204:205], v[206:207], 1.0
	v_fmac_f64_e32 v[206:207], v[206:207], v[214:215]
	v_fma_f64 v[214:215], -v[204:205], v[206:207], 1.0
	v_fmac_f64_e32 v[206:207], v[206:207], v[214:215]
	v_mul_f64 v[214:215], v[212:213], v[206:207]
	v_fma_f64 v[204:205], -v[204:205], v[214:215], v[212:213]
	v_div_fmas_f64 v[204:205], v[204:205], v[206:207], v[214:215]
	v_div_fixup_f64 v[204:205], v[204:205], v[210:211], v[208:209]
	v_fmac_f64_e32 v[210:211], v[208:209], v[204:205]
	v_div_scale_f64 v[206:207], s[10:11], v[210:211], v[210:211], 1.0
	v_rcp_f64_e32 v[208:209], v[206:207]
	s_nop 0
	v_fma_f64 v[212:213], -v[206:207], v[208:209], 1.0
	v_fmac_f64_e32 v[208:209], v[208:209], v[212:213]
	v_fma_f64 v[212:213], -v[206:207], v[208:209], 1.0
	v_fmac_f64_e32 v[208:209], v[208:209], v[212:213]
	v_div_scale_f64 v[212:213], vcc, 1.0, v[210:211], 1.0
	v_mul_f64 v[214:215], v[212:213], v[208:209]
	v_fma_f64 v[206:207], -v[206:207], v[214:215], v[212:213]
	s_nop 1
	v_div_fmas_f64 v[206:207], v[206:207], v[208:209], v[214:215]
	v_div_fixup_f64 v[206:207], v[206:207], v[210:211], 1.0
	v_mul_f64 v[204:205], v[204:205], v[206:207]
	v_xor_b32_e32 v207, 0x80000000, v207
                                        ; implicit-def: $vgpr208_vgpr209
.LBB111_95:
	s_andn2_saveexec_b64 s[2:3], s[2:3]
	s_cbranch_execz .LBB111_97
; %bb.96:
	v_div_scale_f64 v[204:205], s[10:11], v[208:209], v[208:209], v[210:211]
	v_rcp_f64_e32 v[206:207], v[204:205]
	v_div_scale_f64 v[212:213], vcc, v[210:211], v[208:209], v[210:211]
	v_fma_f64 v[214:215], -v[204:205], v[206:207], 1.0
	v_fmac_f64_e32 v[206:207], v[206:207], v[214:215]
	v_fma_f64 v[214:215], -v[204:205], v[206:207], 1.0
	v_fmac_f64_e32 v[206:207], v[206:207], v[214:215]
	v_mul_f64 v[214:215], v[212:213], v[206:207]
	v_fma_f64 v[204:205], -v[204:205], v[214:215], v[212:213]
	v_div_fmas_f64 v[204:205], v[204:205], v[206:207], v[214:215]
	v_div_fixup_f64 v[206:207], v[204:205], v[208:209], v[210:211]
	v_fmac_f64_e32 v[208:209], v[210:211], v[206:207]
	v_div_scale_f64 v[204:205], s[10:11], v[208:209], v[208:209], 1.0
	v_rcp_f64_e32 v[210:211], v[204:205]
	s_nop 0
	v_fma_f64 v[212:213], -v[204:205], v[210:211], 1.0
	v_fmac_f64_e32 v[210:211], v[210:211], v[212:213]
	v_fma_f64 v[212:213], -v[204:205], v[210:211], 1.0
	v_fmac_f64_e32 v[210:211], v[210:211], v[212:213]
	v_div_scale_f64 v[212:213], vcc, 1.0, v[208:209], 1.0
	v_mul_f64 v[214:215], v[212:213], v[210:211]
	v_fma_f64 v[204:205], -v[204:205], v[214:215], v[212:213]
	s_nop 1
	v_div_fmas_f64 v[204:205], v[204:205], v[210:211], v[214:215]
	v_div_fixup_f64 v[204:205], v[204:205], v[208:209], 1.0
	v_mul_f64 v[206:207], v[206:207], -v[204:205]
.LBB111_97:
	s_or_b64 exec, exec, s[2:3]
	ds_write2_b64 v201, v[204:205], v[206:207] offset1:1
.LBB111_98:
	s_or_b64 exec, exec, s[4:5]
	s_waitcnt lgkmcnt(0)
	s_barrier
	ds_read2_b64 v[192:195], v201 offset1:1
	v_cmp_lt_u32_e32 vcc, 10, v200
	s_waitcnt lgkmcnt(0)
	scratch_store_dwordx4 off, v[192:195], off offset:704 ; 16-byte Folded Spill
	s_and_saveexec_b64 s[2:3], vcc
	s_cbranch_execz .LBB111_100
; %bb.99:
	scratch_load_dwordx4 v[192:195], off, off offset:704 ; 16-byte Folded Reload
	s_waitcnt vmcnt(0)
	v_mul_f64 v[204:205], v[194:195], v[178:179]
	v_fma_f64 v[208:209], v[192:193], v[176:177], -v[204:205]
	ds_read2_b64 v[204:207], v202 offset0:22 offset1:23
	v_mul_f64 v[178:179], v[192:193], v[178:179]
	v_fmac_f64_e32 v[178:179], v[194:195], v[176:177]
	s_waitcnt lgkmcnt(0)
	v_mul_f64 v[176:177], v[206:207], v[178:179]
	v_fma_f64 v[176:177], v[204:205], v[208:209], -v[176:177]
	v_mul_f64 v[204:205], v[204:205], v[178:179]
	v_fmac_f64_e32 v[204:205], v[206:207], v[208:209]
	v_add_f64 v[174:175], v[174:175], -v[204:205]
	ds_read2_b64 v[204:207], v202 offset0:24 offset1:25
	v_add_f64 v[172:173], v[172:173], -v[176:177]
	s_waitcnt lgkmcnt(0)
	v_mul_f64 v[176:177], v[206:207], v[178:179]
	v_fma_f64 v[176:177], v[204:205], v[208:209], -v[176:177]
	v_mul_f64 v[204:205], v[204:205], v[178:179]
	v_fmac_f64_e32 v[204:205], v[206:207], v[208:209]
	v_add_f64 v[170:171], v[170:171], -v[204:205]
	ds_read2_b64 v[204:207], v202 offset0:26 offset1:27
	v_add_f64 v[168:169], v[168:169], -v[176:177]
	;; [unrolled: 8-line block ×44, first 2 shown]
	s_waitcnt lgkmcnt(0)
	v_mul_f64 v[176:177], v[206:207], v[178:179]
	v_fma_f64 v[176:177], v[204:205], v[208:209], -v[176:177]
	v_mul_f64 v[204:205], v[204:205], v[178:179]
	v_fmac_f64_e32 v[204:205], v[206:207], v[208:209]
	v_add_f64 v[220:221], v[220:221], -v[176:177]
	v_add_f64 v[222:223], v[222:223], -v[204:205]
	v_mov_b64_e32 v[176:177], v[208:209]
.LBB111_100:
	s_or_b64 exec, exec, s[2:3]
	v_cmp_eq_u32_e32 vcc, 11, v200
	s_waitcnt vmcnt(63) expcnt(7) lgkmcnt(15)
	s_barrier
	s_and_saveexec_b64 s[4:5], vcc
	s_cbranch_execz .LBB111_107
; %bb.101:
	ds_write2_b64 v201, v[172:173], v[174:175] offset1:1
	ds_write2_b64 v202, v[168:169], v[170:171] offset0:24 offset1:25
	ds_write2_b64 v202, v[164:165], v[166:167] offset0:26 offset1:27
	;; [unrolled: 1-line block ×27, first 2 shown]
	s_waitcnt vmcnt(41)
	ds_write2_b64 v202, v[60:61], v[62:63] offset0:78 offset1:79
	s_waitcnt vmcnt(40)
	ds_write2_b64 v202, v[56:57], v[58:59] offset0:80 offset1:81
	;; [unrolled: 2-line block ×11, first 2 shown]
	ds_write2_b64 v202, v[16:17], v[18:19] offset0:100 offset1:101
	ds_write2_b64 v202, v[12:13], v[14:15] offset0:102 offset1:103
	;; [unrolled: 1-line block ×4, first 2 shown]
	s_waitcnt vmcnt(30)
	ds_write2_b64 v202, v[0:1], v[2:3] offset0:108 offset1:109
	s_waitcnt vmcnt(27)
	ds_write2_b64 v202, v[220:221], v[222:223] offset0:110 offset1:111
	ds_read2_b64 v[208:211], v201 offset1:1
	s_waitcnt lgkmcnt(0)
	v_cmp_neq_f64_e32 vcc, 0, v[208:209]
	v_cmp_neq_f64_e64 s[2:3], 0, v[210:211]
	s_or_b64 s[2:3], vcc, s[2:3]
	s_and_b64 exec, exec, s[2:3]
	s_cbranch_execz .LBB111_107
; %bb.102:
	v_cmp_ngt_f64_e64 s[2:3], |v[208:209]|, |v[210:211]|
                                        ; implicit-def: $vgpr204_vgpr205
	s_and_saveexec_b64 s[10:11], s[2:3]
	s_xor_b64 s[2:3], exec, s[10:11]
                                        ; implicit-def: $vgpr206_vgpr207
	s_cbranch_execz .LBB111_104
; %bb.103:
	v_div_scale_f64 v[204:205], s[10:11], v[210:211], v[210:211], v[208:209]
	v_rcp_f64_e32 v[206:207], v[204:205]
	v_div_scale_f64 v[212:213], vcc, v[208:209], v[210:211], v[208:209]
	v_fma_f64 v[214:215], -v[204:205], v[206:207], 1.0
	v_fmac_f64_e32 v[206:207], v[206:207], v[214:215]
	v_fma_f64 v[214:215], -v[204:205], v[206:207], 1.0
	v_fmac_f64_e32 v[206:207], v[206:207], v[214:215]
	v_mul_f64 v[214:215], v[212:213], v[206:207]
	v_fma_f64 v[204:205], -v[204:205], v[214:215], v[212:213]
	v_div_fmas_f64 v[204:205], v[204:205], v[206:207], v[214:215]
	v_div_fixup_f64 v[204:205], v[204:205], v[210:211], v[208:209]
	v_fmac_f64_e32 v[210:211], v[208:209], v[204:205]
	v_div_scale_f64 v[206:207], s[10:11], v[210:211], v[210:211], 1.0
	v_rcp_f64_e32 v[208:209], v[206:207]
	s_nop 0
	v_fma_f64 v[212:213], -v[206:207], v[208:209], 1.0
	v_fmac_f64_e32 v[208:209], v[208:209], v[212:213]
	v_fma_f64 v[212:213], -v[206:207], v[208:209], 1.0
	v_fmac_f64_e32 v[208:209], v[208:209], v[212:213]
	v_div_scale_f64 v[212:213], vcc, 1.0, v[210:211], 1.0
	v_mul_f64 v[214:215], v[212:213], v[208:209]
	v_fma_f64 v[206:207], -v[206:207], v[214:215], v[212:213]
	s_nop 1
	v_div_fmas_f64 v[206:207], v[206:207], v[208:209], v[214:215]
	v_div_fixup_f64 v[206:207], v[206:207], v[210:211], 1.0
	v_mul_f64 v[204:205], v[204:205], v[206:207]
	v_xor_b32_e32 v207, 0x80000000, v207
                                        ; implicit-def: $vgpr208_vgpr209
.LBB111_104:
	s_andn2_saveexec_b64 s[2:3], s[2:3]
	s_cbranch_execz .LBB111_106
; %bb.105:
	v_div_scale_f64 v[204:205], s[10:11], v[208:209], v[208:209], v[210:211]
	v_rcp_f64_e32 v[206:207], v[204:205]
	v_div_scale_f64 v[212:213], vcc, v[210:211], v[208:209], v[210:211]
	v_fma_f64 v[214:215], -v[204:205], v[206:207], 1.0
	v_fmac_f64_e32 v[206:207], v[206:207], v[214:215]
	v_fma_f64 v[214:215], -v[204:205], v[206:207], 1.0
	v_fmac_f64_e32 v[206:207], v[206:207], v[214:215]
	v_mul_f64 v[214:215], v[212:213], v[206:207]
	v_fma_f64 v[204:205], -v[204:205], v[214:215], v[212:213]
	v_div_fmas_f64 v[204:205], v[204:205], v[206:207], v[214:215]
	v_div_fixup_f64 v[206:207], v[204:205], v[208:209], v[210:211]
	v_fmac_f64_e32 v[208:209], v[210:211], v[206:207]
	v_div_scale_f64 v[204:205], s[10:11], v[208:209], v[208:209], 1.0
	v_rcp_f64_e32 v[210:211], v[204:205]
	s_nop 0
	v_fma_f64 v[212:213], -v[204:205], v[210:211], 1.0
	v_fmac_f64_e32 v[210:211], v[210:211], v[212:213]
	v_fma_f64 v[212:213], -v[204:205], v[210:211], 1.0
	v_fmac_f64_e32 v[210:211], v[210:211], v[212:213]
	v_div_scale_f64 v[212:213], vcc, 1.0, v[208:209], 1.0
	v_mul_f64 v[214:215], v[212:213], v[210:211]
	v_fma_f64 v[204:205], -v[204:205], v[214:215], v[212:213]
	s_nop 1
	v_div_fmas_f64 v[204:205], v[204:205], v[210:211], v[214:215]
	v_div_fixup_f64 v[204:205], v[204:205], v[208:209], 1.0
	v_mul_f64 v[206:207], v[206:207], -v[204:205]
.LBB111_106:
	s_or_b64 exec, exec, s[2:3]
	ds_write2_b64 v201, v[204:205], v[206:207] offset1:1
.LBB111_107:
	s_or_b64 exec, exec, s[4:5]
	s_waitcnt lgkmcnt(0)
	s_barrier
	ds_read2_b64 v[192:195], v201 offset1:1
	v_cmp_lt_u32_e32 vcc, 11, v200
	s_waitcnt lgkmcnt(0)
	scratch_store_dwordx4 off, v[192:195], off offset:720 ; 16-byte Folded Spill
	s_and_saveexec_b64 s[2:3], vcc
	s_cbranch_execz .LBB111_109
; %bb.108:
	scratch_load_dwordx4 v[192:195], off, off offset:720 ; 16-byte Folded Reload
	s_waitcnt vmcnt(0)
	v_mul_f64 v[204:205], v[194:195], v[174:175]
	v_fma_f64 v[208:209], v[192:193], v[172:173], -v[204:205]
	ds_read2_b64 v[204:207], v202 offset0:24 offset1:25
	v_mul_f64 v[174:175], v[192:193], v[174:175]
	v_fmac_f64_e32 v[174:175], v[194:195], v[172:173]
	s_waitcnt lgkmcnt(0)
	v_mul_f64 v[172:173], v[206:207], v[174:175]
	v_fma_f64 v[172:173], v[204:205], v[208:209], -v[172:173]
	v_mul_f64 v[204:205], v[204:205], v[174:175]
	v_fmac_f64_e32 v[204:205], v[206:207], v[208:209]
	v_add_f64 v[170:171], v[170:171], -v[204:205]
	ds_read2_b64 v[204:207], v202 offset0:26 offset1:27
	v_add_f64 v[168:169], v[168:169], -v[172:173]
	s_waitcnt lgkmcnt(0)
	v_mul_f64 v[172:173], v[206:207], v[174:175]
	v_fma_f64 v[172:173], v[204:205], v[208:209], -v[172:173]
	v_mul_f64 v[204:205], v[204:205], v[174:175]
	v_fmac_f64_e32 v[204:205], v[206:207], v[208:209]
	v_add_f64 v[166:167], v[166:167], -v[204:205]
	ds_read2_b64 v[204:207], v202 offset0:28 offset1:29
	v_add_f64 v[164:165], v[164:165], -v[172:173]
	;; [unrolled: 8-line block ×43, first 2 shown]
	s_waitcnt lgkmcnt(0)
	v_mul_f64 v[172:173], v[206:207], v[174:175]
	v_fma_f64 v[172:173], v[204:205], v[208:209], -v[172:173]
	v_mul_f64 v[204:205], v[204:205], v[174:175]
	v_fmac_f64_e32 v[204:205], v[206:207], v[208:209]
	v_add_f64 v[220:221], v[220:221], -v[172:173]
	v_add_f64 v[222:223], v[222:223], -v[204:205]
	v_mov_b64_e32 v[172:173], v[208:209]
.LBB111_109:
	s_or_b64 exec, exec, s[2:3]
	v_cmp_eq_u32_e32 vcc, 12, v200
	s_waitcnt vmcnt(63) expcnt(7) lgkmcnt(15)
	s_barrier
	s_and_saveexec_b64 s[4:5], vcc
	s_cbranch_execz .LBB111_116
; %bb.110:
	ds_write2_b64 v201, v[168:169], v[170:171] offset1:1
	ds_write2_b64 v202, v[164:165], v[166:167] offset0:26 offset1:27
	ds_write2_b64 v202, v[160:161], v[162:163] offset0:28 offset1:29
	;; [unrolled: 1-line block ×26, first 2 shown]
	s_waitcnt vmcnt(42)
	ds_write2_b64 v202, v[60:61], v[62:63] offset0:78 offset1:79
	s_waitcnt vmcnt(41)
	ds_write2_b64 v202, v[56:57], v[58:59] offset0:80 offset1:81
	;; [unrolled: 2-line block ×11, first 2 shown]
	ds_write2_b64 v202, v[16:17], v[18:19] offset0:100 offset1:101
	ds_write2_b64 v202, v[12:13], v[14:15] offset0:102 offset1:103
	;; [unrolled: 1-line block ×4, first 2 shown]
	s_waitcnt vmcnt(31)
	ds_write2_b64 v202, v[0:1], v[2:3] offset0:108 offset1:109
	s_waitcnt vmcnt(28)
	ds_write2_b64 v202, v[220:221], v[222:223] offset0:110 offset1:111
	ds_read2_b64 v[208:211], v201 offset1:1
	s_waitcnt lgkmcnt(0)
	v_cmp_neq_f64_e32 vcc, 0, v[208:209]
	v_cmp_neq_f64_e64 s[2:3], 0, v[210:211]
	s_or_b64 s[2:3], vcc, s[2:3]
	s_and_b64 exec, exec, s[2:3]
	s_cbranch_execz .LBB111_116
; %bb.111:
	v_cmp_ngt_f64_e64 s[2:3], |v[208:209]|, |v[210:211]|
                                        ; implicit-def: $vgpr204_vgpr205
	s_and_saveexec_b64 s[10:11], s[2:3]
	s_xor_b64 s[2:3], exec, s[10:11]
                                        ; implicit-def: $vgpr206_vgpr207
	s_cbranch_execz .LBB111_113
; %bb.112:
	v_div_scale_f64 v[204:205], s[10:11], v[210:211], v[210:211], v[208:209]
	v_rcp_f64_e32 v[206:207], v[204:205]
	v_div_scale_f64 v[212:213], vcc, v[208:209], v[210:211], v[208:209]
	v_fma_f64 v[214:215], -v[204:205], v[206:207], 1.0
	v_fmac_f64_e32 v[206:207], v[206:207], v[214:215]
	v_fma_f64 v[214:215], -v[204:205], v[206:207], 1.0
	v_fmac_f64_e32 v[206:207], v[206:207], v[214:215]
	v_mul_f64 v[214:215], v[212:213], v[206:207]
	v_fma_f64 v[204:205], -v[204:205], v[214:215], v[212:213]
	v_div_fmas_f64 v[204:205], v[204:205], v[206:207], v[214:215]
	v_div_fixup_f64 v[204:205], v[204:205], v[210:211], v[208:209]
	v_fmac_f64_e32 v[210:211], v[208:209], v[204:205]
	v_div_scale_f64 v[206:207], s[10:11], v[210:211], v[210:211], 1.0
	v_rcp_f64_e32 v[208:209], v[206:207]
	s_nop 0
	v_fma_f64 v[212:213], -v[206:207], v[208:209], 1.0
	v_fmac_f64_e32 v[208:209], v[208:209], v[212:213]
	v_fma_f64 v[212:213], -v[206:207], v[208:209], 1.0
	v_fmac_f64_e32 v[208:209], v[208:209], v[212:213]
	v_div_scale_f64 v[212:213], vcc, 1.0, v[210:211], 1.0
	v_mul_f64 v[214:215], v[212:213], v[208:209]
	v_fma_f64 v[206:207], -v[206:207], v[214:215], v[212:213]
	s_nop 1
	v_div_fmas_f64 v[206:207], v[206:207], v[208:209], v[214:215]
	v_div_fixup_f64 v[206:207], v[206:207], v[210:211], 1.0
	v_mul_f64 v[204:205], v[204:205], v[206:207]
	v_xor_b32_e32 v207, 0x80000000, v207
                                        ; implicit-def: $vgpr208_vgpr209
.LBB111_113:
	s_andn2_saveexec_b64 s[2:3], s[2:3]
	s_cbranch_execz .LBB111_115
; %bb.114:
	v_div_scale_f64 v[204:205], s[10:11], v[208:209], v[208:209], v[210:211]
	v_rcp_f64_e32 v[206:207], v[204:205]
	v_div_scale_f64 v[212:213], vcc, v[210:211], v[208:209], v[210:211]
	v_fma_f64 v[214:215], -v[204:205], v[206:207], 1.0
	v_fmac_f64_e32 v[206:207], v[206:207], v[214:215]
	v_fma_f64 v[214:215], -v[204:205], v[206:207], 1.0
	v_fmac_f64_e32 v[206:207], v[206:207], v[214:215]
	v_mul_f64 v[214:215], v[212:213], v[206:207]
	v_fma_f64 v[204:205], -v[204:205], v[214:215], v[212:213]
	v_div_fmas_f64 v[204:205], v[204:205], v[206:207], v[214:215]
	v_div_fixup_f64 v[206:207], v[204:205], v[208:209], v[210:211]
	v_fmac_f64_e32 v[208:209], v[210:211], v[206:207]
	v_div_scale_f64 v[204:205], s[10:11], v[208:209], v[208:209], 1.0
	v_rcp_f64_e32 v[210:211], v[204:205]
	s_nop 0
	v_fma_f64 v[212:213], -v[204:205], v[210:211], 1.0
	v_fmac_f64_e32 v[210:211], v[210:211], v[212:213]
	v_fma_f64 v[212:213], -v[204:205], v[210:211], 1.0
	v_fmac_f64_e32 v[210:211], v[210:211], v[212:213]
	v_div_scale_f64 v[212:213], vcc, 1.0, v[208:209], 1.0
	v_mul_f64 v[214:215], v[212:213], v[210:211]
	v_fma_f64 v[204:205], -v[204:205], v[214:215], v[212:213]
	s_nop 1
	v_div_fmas_f64 v[204:205], v[204:205], v[210:211], v[214:215]
	v_div_fixup_f64 v[204:205], v[204:205], v[208:209], 1.0
	v_mul_f64 v[206:207], v[206:207], -v[204:205]
.LBB111_115:
	s_or_b64 exec, exec, s[2:3]
	ds_write2_b64 v201, v[204:205], v[206:207] offset1:1
.LBB111_116:
	s_or_b64 exec, exec, s[4:5]
	s_waitcnt lgkmcnt(0)
	s_barrier
	ds_read2_b64 v[192:195], v201 offset1:1
	v_cmp_lt_u32_e32 vcc, 12, v200
	s_waitcnt lgkmcnt(0)
	scratch_store_dwordx4 off, v[192:195], off offset:736 ; 16-byte Folded Spill
	s_and_saveexec_b64 s[2:3], vcc
	s_cbranch_execz .LBB111_118
; %bb.117:
	scratch_load_dwordx4 v[192:195], off, off offset:736 ; 16-byte Folded Reload
	s_waitcnt vmcnt(0)
	v_mul_f64 v[204:205], v[194:195], v[170:171]
	v_fma_f64 v[208:209], v[192:193], v[168:169], -v[204:205]
	ds_read2_b64 v[204:207], v202 offset0:26 offset1:27
	v_mul_f64 v[170:171], v[192:193], v[170:171]
	v_fmac_f64_e32 v[170:171], v[194:195], v[168:169]
	s_waitcnt lgkmcnt(0)
	v_mul_f64 v[168:169], v[206:207], v[170:171]
	v_fma_f64 v[168:169], v[204:205], v[208:209], -v[168:169]
	v_mul_f64 v[204:205], v[204:205], v[170:171]
	v_fmac_f64_e32 v[204:205], v[206:207], v[208:209]
	v_add_f64 v[166:167], v[166:167], -v[204:205]
	ds_read2_b64 v[204:207], v202 offset0:28 offset1:29
	v_add_f64 v[164:165], v[164:165], -v[168:169]
	s_waitcnt lgkmcnt(0)
	v_mul_f64 v[168:169], v[206:207], v[170:171]
	v_fma_f64 v[168:169], v[204:205], v[208:209], -v[168:169]
	v_mul_f64 v[204:205], v[204:205], v[170:171]
	v_fmac_f64_e32 v[204:205], v[206:207], v[208:209]
	v_add_f64 v[162:163], v[162:163], -v[204:205]
	ds_read2_b64 v[204:207], v202 offset0:30 offset1:31
	v_add_f64 v[160:161], v[160:161], -v[168:169]
	;; [unrolled: 8-line block ×42, first 2 shown]
	s_waitcnt lgkmcnt(0)
	v_mul_f64 v[168:169], v[206:207], v[170:171]
	v_fma_f64 v[168:169], v[204:205], v[208:209], -v[168:169]
	v_mul_f64 v[204:205], v[204:205], v[170:171]
	v_fmac_f64_e32 v[204:205], v[206:207], v[208:209]
	v_add_f64 v[220:221], v[220:221], -v[168:169]
	v_add_f64 v[222:223], v[222:223], -v[204:205]
	v_mov_b64_e32 v[168:169], v[208:209]
.LBB111_118:
	s_or_b64 exec, exec, s[2:3]
	v_cmp_eq_u32_e32 vcc, 13, v200
	s_waitcnt vmcnt(63) expcnt(7) lgkmcnt(15)
	s_barrier
	s_and_saveexec_b64 s[4:5], vcc
	s_cbranch_execz .LBB111_125
; %bb.119:
	ds_write2_b64 v201, v[164:165], v[166:167] offset1:1
	ds_write2_b64 v202, v[160:161], v[162:163] offset0:28 offset1:29
	ds_write2_b64 v202, v[156:157], v[158:159] offset0:30 offset1:31
	;; [unrolled: 1-line block ×25, first 2 shown]
	s_waitcnt vmcnt(43)
	ds_write2_b64 v202, v[60:61], v[62:63] offset0:78 offset1:79
	s_waitcnt vmcnt(42)
	ds_write2_b64 v202, v[56:57], v[58:59] offset0:80 offset1:81
	;; [unrolled: 2-line block ×11, first 2 shown]
	ds_write2_b64 v202, v[16:17], v[18:19] offset0:100 offset1:101
	ds_write2_b64 v202, v[12:13], v[14:15] offset0:102 offset1:103
	;; [unrolled: 1-line block ×4, first 2 shown]
	s_waitcnt vmcnt(32)
	ds_write2_b64 v202, v[0:1], v[2:3] offset0:108 offset1:109
	s_waitcnt vmcnt(29)
	ds_write2_b64 v202, v[220:221], v[222:223] offset0:110 offset1:111
	ds_read2_b64 v[208:211], v201 offset1:1
	s_waitcnt lgkmcnt(0)
	v_cmp_neq_f64_e32 vcc, 0, v[208:209]
	v_cmp_neq_f64_e64 s[2:3], 0, v[210:211]
	s_or_b64 s[2:3], vcc, s[2:3]
	s_and_b64 exec, exec, s[2:3]
	s_cbranch_execz .LBB111_125
; %bb.120:
	v_cmp_ngt_f64_e64 s[2:3], |v[208:209]|, |v[210:211]|
                                        ; implicit-def: $vgpr204_vgpr205
	s_and_saveexec_b64 s[10:11], s[2:3]
	s_xor_b64 s[2:3], exec, s[10:11]
                                        ; implicit-def: $vgpr206_vgpr207
	s_cbranch_execz .LBB111_122
; %bb.121:
	v_div_scale_f64 v[204:205], s[10:11], v[210:211], v[210:211], v[208:209]
	v_rcp_f64_e32 v[206:207], v[204:205]
	v_div_scale_f64 v[212:213], vcc, v[208:209], v[210:211], v[208:209]
	v_fma_f64 v[214:215], -v[204:205], v[206:207], 1.0
	v_fmac_f64_e32 v[206:207], v[206:207], v[214:215]
	v_fma_f64 v[214:215], -v[204:205], v[206:207], 1.0
	v_fmac_f64_e32 v[206:207], v[206:207], v[214:215]
	v_mul_f64 v[214:215], v[212:213], v[206:207]
	v_fma_f64 v[204:205], -v[204:205], v[214:215], v[212:213]
	v_div_fmas_f64 v[204:205], v[204:205], v[206:207], v[214:215]
	v_div_fixup_f64 v[204:205], v[204:205], v[210:211], v[208:209]
	v_fmac_f64_e32 v[210:211], v[208:209], v[204:205]
	v_div_scale_f64 v[206:207], s[10:11], v[210:211], v[210:211], 1.0
	v_rcp_f64_e32 v[208:209], v[206:207]
	s_nop 0
	v_fma_f64 v[212:213], -v[206:207], v[208:209], 1.0
	v_fmac_f64_e32 v[208:209], v[208:209], v[212:213]
	v_fma_f64 v[212:213], -v[206:207], v[208:209], 1.0
	v_fmac_f64_e32 v[208:209], v[208:209], v[212:213]
	v_div_scale_f64 v[212:213], vcc, 1.0, v[210:211], 1.0
	v_mul_f64 v[214:215], v[212:213], v[208:209]
	v_fma_f64 v[206:207], -v[206:207], v[214:215], v[212:213]
	s_nop 1
	v_div_fmas_f64 v[206:207], v[206:207], v[208:209], v[214:215]
	v_div_fixup_f64 v[206:207], v[206:207], v[210:211], 1.0
	v_mul_f64 v[204:205], v[204:205], v[206:207]
	v_xor_b32_e32 v207, 0x80000000, v207
                                        ; implicit-def: $vgpr208_vgpr209
.LBB111_122:
	s_andn2_saveexec_b64 s[2:3], s[2:3]
	s_cbranch_execz .LBB111_124
; %bb.123:
	v_div_scale_f64 v[204:205], s[10:11], v[208:209], v[208:209], v[210:211]
	v_rcp_f64_e32 v[206:207], v[204:205]
	v_div_scale_f64 v[212:213], vcc, v[210:211], v[208:209], v[210:211]
	v_fma_f64 v[214:215], -v[204:205], v[206:207], 1.0
	v_fmac_f64_e32 v[206:207], v[206:207], v[214:215]
	v_fma_f64 v[214:215], -v[204:205], v[206:207], 1.0
	v_fmac_f64_e32 v[206:207], v[206:207], v[214:215]
	v_mul_f64 v[214:215], v[212:213], v[206:207]
	v_fma_f64 v[204:205], -v[204:205], v[214:215], v[212:213]
	v_div_fmas_f64 v[204:205], v[204:205], v[206:207], v[214:215]
	v_div_fixup_f64 v[206:207], v[204:205], v[208:209], v[210:211]
	v_fmac_f64_e32 v[208:209], v[210:211], v[206:207]
	v_div_scale_f64 v[204:205], s[10:11], v[208:209], v[208:209], 1.0
	v_rcp_f64_e32 v[210:211], v[204:205]
	s_nop 0
	v_fma_f64 v[212:213], -v[204:205], v[210:211], 1.0
	v_fmac_f64_e32 v[210:211], v[210:211], v[212:213]
	v_fma_f64 v[212:213], -v[204:205], v[210:211], 1.0
	v_fmac_f64_e32 v[210:211], v[210:211], v[212:213]
	v_div_scale_f64 v[212:213], vcc, 1.0, v[208:209], 1.0
	v_mul_f64 v[214:215], v[212:213], v[210:211]
	v_fma_f64 v[204:205], -v[204:205], v[214:215], v[212:213]
	s_nop 1
	v_div_fmas_f64 v[204:205], v[204:205], v[210:211], v[214:215]
	v_div_fixup_f64 v[204:205], v[204:205], v[208:209], 1.0
	v_mul_f64 v[206:207], v[206:207], -v[204:205]
.LBB111_124:
	s_or_b64 exec, exec, s[2:3]
	ds_write2_b64 v201, v[204:205], v[206:207] offset1:1
.LBB111_125:
	s_or_b64 exec, exec, s[4:5]
	s_waitcnt lgkmcnt(0)
	s_barrier
	ds_read2_b64 v[192:195], v201 offset1:1
	v_cmp_lt_u32_e32 vcc, 13, v200
	s_waitcnt lgkmcnt(0)
	scratch_store_dwordx4 off, v[192:195], off offset:752 ; 16-byte Folded Spill
	s_and_saveexec_b64 s[2:3], vcc
	s_cbranch_execz .LBB111_127
; %bb.126:
	scratch_load_dwordx4 v[192:195], off, off offset:752 ; 16-byte Folded Reload
	s_waitcnt vmcnt(0)
	v_mul_f64 v[204:205], v[194:195], v[166:167]
	v_fma_f64 v[208:209], v[192:193], v[164:165], -v[204:205]
	ds_read2_b64 v[204:207], v202 offset0:28 offset1:29
	v_mul_f64 v[166:167], v[192:193], v[166:167]
	v_fmac_f64_e32 v[166:167], v[194:195], v[164:165]
	s_waitcnt lgkmcnt(0)
	v_mul_f64 v[164:165], v[206:207], v[166:167]
	v_fma_f64 v[164:165], v[204:205], v[208:209], -v[164:165]
	v_mul_f64 v[204:205], v[204:205], v[166:167]
	v_fmac_f64_e32 v[204:205], v[206:207], v[208:209]
	v_add_f64 v[162:163], v[162:163], -v[204:205]
	ds_read2_b64 v[204:207], v202 offset0:30 offset1:31
	v_add_f64 v[160:161], v[160:161], -v[164:165]
	s_waitcnt lgkmcnt(0)
	v_mul_f64 v[164:165], v[206:207], v[166:167]
	v_fma_f64 v[164:165], v[204:205], v[208:209], -v[164:165]
	v_mul_f64 v[204:205], v[204:205], v[166:167]
	v_fmac_f64_e32 v[204:205], v[206:207], v[208:209]
	v_add_f64 v[158:159], v[158:159], -v[204:205]
	ds_read2_b64 v[204:207], v202 offset0:32 offset1:33
	v_add_f64 v[156:157], v[156:157], -v[164:165]
	;; [unrolled: 8-line block ×41, first 2 shown]
	s_waitcnt lgkmcnt(0)
	v_mul_f64 v[164:165], v[206:207], v[166:167]
	v_fma_f64 v[164:165], v[204:205], v[208:209], -v[164:165]
	v_mul_f64 v[204:205], v[204:205], v[166:167]
	v_fmac_f64_e32 v[204:205], v[206:207], v[208:209]
	v_add_f64 v[220:221], v[220:221], -v[164:165]
	v_add_f64 v[222:223], v[222:223], -v[204:205]
	v_mov_b64_e32 v[164:165], v[208:209]
.LBB111_127:
	s_or_b64 exec, exec, s[2:3]
	v_cmp_eq_u32_e32 vcc, 14, v200
	s_waitcnt vmcnt(63) expcnt(7) lgkmcnt(15)
	s_barrier
	s_and_saveexec_b64 s[4:5], vcc
	s_cbranch_execz .LBB111_134
; %bb.128:
	ds_write2_b64 v201, v[160:161], v[162:163] offset1:1
	ds_write2_b64 v202, v[156:157], v[158:159] offset0:30 offset1:31
	ds_write2_b64 v202, v[152:153], v[154:155] offset0:32 offset1:33
	;; [unrolled: 1-line block ×24, first 2 shown]
	s_waitcnt vmcnt(44)
	ds_write2_b64 v202, v[60:61], v[62:63] offset0:78 offset1:79
	s_waitcnt vmcnt(43)
	ds_write2_b64 v202, v[56:57], v[58:59] offset0:80 offset1:81
	;; [unrolled: 2-line block ×11, first 2 shown]
	ds_write2_b64 v202, v[16:17], v[18:19] offset0:100 offset1:101
	ds_write2_b64 v202, v[12:13], v[14:15] offset0:102 offset1:103
	;; [unrolled: 1-line block ×4, first 2 shown]
	s_waitcnt vmcnt(33)
	ds_write2_b64 v202, v[0:1], v[2:3] offset0:108 offset1:109
	s_waitcnt vmcnt(30)
	ds_write2_b64 v202, v[220:221], v[222:223] offset0:110 offset1:111
	ds_read2_b64 v[208:211], v201 offset1:1
	s_waitcnt lgkmcnt(0)
	v_cmp_neq_f64_e32 vcc, 0, v[208:209]
	v_cmp_neq_f64_e64 s[2:3], 0, v[210:211]
	s_or_b64 s[2:3], vcc, s[2:3]
	s_and_b64 exec, exec, s[2:3]
	s_cbranch_execz .LBB111_134
; %bb.129:
	v_cmp_ngt_f64_e64 s[2:3], |v[208:209]|, |v[210:211]|
                                        ; implicit-def: $vgpr204_vgpr205
	s_and_saveexec_b64 s[10:11], s[2:3]
	s_xor_b64 s[2:3], exec, s[10:11]
                                        ; implicit-def: $vgpr206_vgpr207
	s_cbranch_execz .LBB111_131
; %bb.130:
	v_div_scale_f64 v[204:205], s[10:11], v[210:211], v[210:211], v[208:209]
	v_rcp_f64_e32 v[206:207], v[204:205]
	v_div_scale_f64 v[212:213], vcc, v[208:209], v[210:211], v[208:209]
	v_fma_f64 v[214:215], -v[204:205], v[206:207], 1.0
	v_fmac_f64_e32 v[206:207], v[206:207], v[214:215]
	v_fma_f64 v[214:215], -v[204:205], v[206:207], 1.0
	v_fmac_f64_e32 v[206:207], v[206:207], v[214:215]
	v_mul_f64 v[214:215], v[212:213], v[206:207]
	v_fma_f64 v[204:205], -v[204:205], v[214:215], v[212:213]
	v_div_fmas_f64 v[204:205], v[204:205], v[206:207], v[214:215]
	v_div_fixup_f64 v[204:205], v[204:205], v[210:211], v[208:209]
	v_fmac_f64_e32 v[210:211], v[208:209], v[204:205]
	v_div_scale_f64 v[206:207], s[10:11], v[210:211], v[210:211], 1.0
	v_rcp_f64_e32 v[208:209], v[206:207]
	s_nop 0
	v_fma_f64 v[212:213], -v[206:207], v[208:209], 1.0
	v_fmac_f64_e32 v[208:209], v[208:209], v[212:213]
	v_fma_f64 v[212:213], -v[206:207], v[208:209], 1.0
	v_fmac_f64_e32 v[208:209], v[208:209], v[212:213]
	v_div_scale_f64 v[212:213], vcc, 1.0, v[210:211], 1.0
	v_mul_f64 v[214:215], v[212:213], v[208:209]
	v_fma_f64 v[206:207], -v[206:207], v[214:215], v[212:213]
	s_nop 1
	v_div_fmas_f64 v[206:207], v[206:207], v[208:209], v[214:215]
	v_div_fixup_f64 v[206:207], v[206:207], v[210:211], 1.0
	v_mul_f64 v[204:205], v[204:205], v[206:207]
	v_xor_b32_e32 v207, 0x80000000, v207
                                        ; implicit-def: $vgpr208_vgpr209
.LBB111_131:
	s_andn2_saveexec_b64 s[2:3], s[2:3]
	s_cbranch_execz .LBB111_133
; %bb.132:
	v_div_scale_f64 v[204:205], s[10:11], v[208:209], v[208:209], v[210:211]
	v_rcp_f64_e32 v[206:207], v[204:205]
	v_div_scale_f64 v[212:213], vcc, v[210:211], v[208:209], v[210:211]
	v_fma_f64 v[214:215], -v[204:205], v[206:207], 1.0
	v_fmac_f64_e32 v[206:207], v[206:207], v[214:215]
	v_fma_f64 v[214:215], -v[204:205], v[206:207], 1.0
	v_fmac_f64_e32 v[206:207], v[206:207], v[214:215]
	v_mul_f64 v[214:215], v[212:213], v[206:207]
	v_fma_f64 v[204:205], -v[204:205], v[214:215], v[212:213]
	v_div_fmas_f64 v[204:205], v[204:205], v[206:207], v[214:215]
	v_div_fixup_f64 v[206:207], v[204:205], v[208:209], v[210:211]
	v_fmac_f64_e32 v[208:209], v[210:211], v[206:207]
	v_div_scale_f64 v[204:205], s[10:11], v[208:209], v[208:209], 1.0
	v_rcp_f64_e32 v[210:211], v[204:205]
	s_nop 0
	v_fma_f64 v[212:213], -v[204:205], v[210:211], 1.0
	v_fmac_f64_e32 v[210:211], v[210:211], v[212:213]
	v_fma_f64 v[212:213], -v[204:205], v[210:211], 1.0
	v_fmac_f64_e32 v[210:211], v[210:211], v[212:213]
	v_div_scale_f64 v[212:213], vcc, 1.0, v[208:209], 1.0
	v_mul_f64 v[214:215], v[212:213], v[210:211]
	v_fma_f64 v[204:205], -v[204:205], v[214:215], v[212:213]
	s_nop 1
	v_div_fmas_f64 v[204:205], v[204:205], v[210:211], v[214:215]
	v_div_fixup_f64 v[204:205], v[204:205], v[208:209], 1.0
	v_mul_f64 v[206:207], v[206:207], -v[204:205]
.LBB111_133:
	s_or_b64 exec, exec, s[2:3]
	ds_write2_b64 v201, v[204:205], v[206:207] offset1:1
.LBB111_134:
	s_or_b64 exec, exec, s[4:5]
	s_waitcnt lgkmcnt(0)
	s_barrier
	ds_read2_b64 v[192:195], v201 offset1:1
	v_cmp_lt_u32_e32 vcc, 14, v200
	s_waitcnt lgkmcnt(0)
	scratch_store_dwordx4 off, v[192:195], off offset:768 ; 16-byte Folded Spill
	s_and_saveexec_b64 s[2:3], vcc
	s_cbranch_execz .LBB111_136
; %bb.135:
	scratch_load_dwordx4 v[192:195], off, off offset:768 ; 16-byte Folded Reload
	s_waitcnt vmcnt(0)
	v_mul_f64 v[204:205], v[194:195], v[162:163]
	v_fma_f64 v[208:209], v[192:193], v[160:161], -v[204:205]
	ds_read2_b64 v[204:207], v202 offset0:30 offset1:31
	v_mul_f64 v[162:163], v[192:193], v[162:163]
	v_fmac_f64_e32 v[162:163], v[194:195], v[160:161]
	s_waitcnt lgkmcnt(0)
	v_mul_f64 v[160:161], v[206:207], v[162:163]
	v_fma_f64 v[160:161], v[204:205], v[208:209], -v[160:161]
	v_mul_f64 v[204:205], v[204:205], v[162:163]
	v_fmac_f64_e32 v[204:205], v[206:207], v[208:209]
	v_add_f64 v[158:159], v[158:159], -v[204:205]
	ds_read2_b64 v[204:207], v202 offset0:32 offset1:33
	v_add_f64 v[156:157], v[156:157], -v[160:161]
	s_waitcnt lgkmcnt(0)
	v_mul_f64 v[160:161], v[206:207], v[162:163]
	v_fma_f64 v[160:161], v[204:205], v[208:209], -v[160:161]
	v_mul_f64 v[204:205], v[204:205], v[162:163]
	v_fmac_f64_e32 v[204:205], v[206:207], v[208:209]
	v_add_f64 v[154:155], v[154:155], -v[204:205]
	ds_read2_b64 v[204:207], v202 offset0:34 offset1:35
	v_add_f64 v[152:153], v[152:153], -v[160:161]
	;; [unrolled: 8-line block ×40, first 2 shown]
	s_waitcnt lgkmcnt(0)
	v_mul_f64 v[160:161], v[206:207], v[162:163]
	v_fma_f64 v[160:161], v[204:205], v[208:209], -v[160:161]
	v_mul_f64 v[204:205], v[204:205], v[162:163]
	v_fmac_f64_e32 v[204:205], v[206:207], v[208:209]
	v_add_f64 v[220:221], v[220:221], -v[160:161]
	v_add_f64 v[222:223], v[222:223], -v[204:205]
	v_mov_b64_e32 v[160:161], v[208:209]
.LBB111_136:
	s_or_b64 exec, exec, s[2:3]
	v_cmp_eq_u32_e32 vcc, 15, v200
	s_waitcnt vmcnt(63) expcnt(7) lgkmcnt(15)
	s_barrier
	s_and_saveexec_b64 s[4:5], vcc
	s_cbranch_execz .LBB111_143
; %bb.137:
	ds_write2_b64 v201, v[156:157], v[158:159] offset1:1
	ds_write2_b64 v202, v[152:153], v[154:155] offset0:32 offset1:33
	ds_write2_b64 v202, v[148:149], v[150:151] offset0:34 offset1:35
	;; [unrolled: 1-line block ×23, first 2 shown]
	s_waitcnt vmcnt(45)
	ds_write2_b64 v202, v[60:61], v[62:63] offset0:78 offset1:79
	s_waitcnt vmcnt(44)
	ds_write2_b64 v202, v[56:57], v[58:59] offset0:80 offset1:81
	;; [unrolled: 2-line block ×11, first 2 shown]
	ds_write2_b64 v202, v[16:17], v[18:19] offset0:100 offset1:101
	ds_write2_b64 v202, v[12:13], v[14:15] offset0:102 offset1:103
	;; [unrolled: 1-line block ×4, first 2 shown]
	s_waitcnt vmcnt(34)
	ds_write2_b64 v202, v[0:1], v[2:3] offset0:108 offset1:109
	s_waitcnt vmcnt(31)
	ds_write2_b64 v202, v[220:221], v[222:223] offset0:110 offset1:111
	ds_read2_b64 v[208:211], v201 offset1:1
	s_waitcnt lgkmcnt(0)
	v_cmp_neq_f64_e32 vcc, 0, v[208:209]
	v_cmp_neq_f64_e64 s[2:3], 0, v[210:211]
	s_or_b64 s[2:3], vcc, s[2:3]
	s_and_b64 exec, exec, s[2:3]
	s_cbranch_execz .LBB111_143
; %bb.138:
	v_cmp_ngt_f64_e64 s[2:3], |v[208:209]|, |v[210:211]|
                                        ; implicit-def: $vgpr204_vgpr205
	s_and_saveexec_b64 s[10:11], s[2:3]
	s_xor_b64 s[2:3], exec, s[10:11]
                                        ; implicit-def: $vgpr206_vgpr207
	s_cbranch_execz .LBB111_140
; %bb.139:
	v_div_scale_f64 v[204:205], s[10:11], v[210:211], v[210:211], v[208:209]
	v_rcp_f64_e32 v[206:207], v[204:205]
	v_div_scale_f64 v[212:213], vcc, v[208:209], v[210:211], v[208:209]
	v_fma_f64 v[214:215], -v[204:205], v[206:207], 1.0
	v_fmac_f64_e32 v[206:207], v[206:207], v[214:215]
	v_fma_f64 v[214:215], -v[204:205], v[206:207], 1.0
	v_fmac_f64_e32 v[206:207], v[206:207], v[214:215]
	v_mul_f64 v[214:215], v[212:213], v[206:207]
	v_fma_f64 v[204:205], -v[204:205], v[214:215], v[212:213]
	v_div_fmas_f64 v[204:205], v[204:205], v[206:207], v[214:215]
	v_div_fixup_f64 v[204:205], v[204:205], v[210:211], v[208:209]
	v_fmac_f64_e32 v[210:211], v[208:209], v[204:205]
	v_div_scale_f64 v[206:207], s[10:11], v[210:211], v[210:211], 1.0
	v_rcp_f64_e32 v[208:209], v[206:207]
	s_nop 0
	v_fma_f64 v[212:213], -v[206:207], v[208:209], 1.0
	v_fmac_f64_e32 v[208:209], v[208:209], v[212:213]
	v_fma_f64 v[212:213], -v[206:207], v[208:209], 1.0
	v_fmac_f64_e32 v[208:209], v[208:209], v[212:213]
	v_div_scale_f64 v[212:213], vcc, 1.0, v[210:211], 1.0
	v_mul_f64 v[214:215], v[212:213], v[208:209]
	v_fma_f64 v[206:207], -v[206:207], v[214:215], v[212:213]
	s_nop 1
	v_div_fmas_f64 v[206:207], v[206:207], v[208:209], v[214:215]
	v_div_fixup_f64 v[206:207], v[206:207], v[210:211], 1.0
	v_mul_f64 v[204:205], v[204:205], v[206:207]
	v_xor_b32_e32 v207, 0x80000000, v207
                                        ; implicit-def: $vgpr208_vgpr209
.LBB111_140:
	s_andn2_saveexec_b64 s[2:3], s[2:3]
	s_cbranch_execz .LBB111_142
; %bb.141:
	v_div_scale_f64 v[204:205], s[10:11], v[208:209], v[208:209], v[210:211]
	v_rcp_f64_e32 v[206:207], v[204:205]
	v_div_scale_f64 v[212:213], vcc, v[210:211], v[208:209], v[210:211]
	v_fma_f64 v[214:215], -v[204:205], v[206:207], 1.0
	v_fmac_f64_e32 v[206:207], v[206:207], v[214:215]
	v_fma_f64 v[214:215], -v[204:205], v[206:207], 1.0
	v_fmac_f64_e32 v[206:207], v[206:207], v[214:215]
	v_mul_f64 v[214:215], v[212:213], v[206:207]
	v_fma_f64 v[204:205], -v[204:205], v[214:215], v[212:213]
	v_div_fmas_f64 v[204:205], v[204:205], v[206:207], v[214:215]
	v_div_fixup_f64 v[206:207], v[204:205], v[208:209], v[210:211]
	v_fmac_f64_e32 v[208:209], v[210:211], v[206:207]
	v_div_scale_f64 v[204:205], s[10:11], v[208:209], v[208:209], 1.0
	v_rcp_f64_e32 v[210:211], v[204:205]
	s_nop 0
	v_fma_f64 v[212:213], -v[204:205], v[210:211], 1.0
	v_fmac_f64_e32 v[210:211], v[210:211], v[212:213]
	v_fma_f64 v[212:213], -v[204:205], v[210:211], 1.0
	v_fmac_f64_e32 v[210:211], v[210:211], v[212:213]
	v_div_scale_f64 v[212:213], vcc, 1.0, v[208:209], 1.0
	v_mul_f64 v[214:215], v[212:213], v[210:211]
	v_fma_f64 v[204:205], -v[204:205], v[214:215], v[212:213]
	s_nop 1
	v_div_fmas_f64 v[204:205], v[204:205], v[210:211], v[214:215]
	v_div_fixup_f64 v[204:205], v[204:205], v[208:209], 1.0
	v_mul_f64 v[206:207], v[206:207], -v[204:205]
.LBB111_142:
	s_or_b64 exec, exec, s[2:3]
	ds_write2_b64 v201, v[204:205], v[206:207] offset1:1
.LBB111_143:
	s_or_b64 exec, exec, s[4:5]
	s_waitcnt lgkmcnt(0)
	s_barrier
	ds_read2_b64 v[192:195], v201 offset1:1
	v_cmp_lt_u32_e32 vcc, 15, v200
	s_waitcnt lgkmcnt(0)
	scratch_store_dwordx4 off, v[192:195], off offset:784 ; 16-byte Folded Spill
	s_and_saveexec_b64 s[2:3], vcc
	s_cbranch_execz .LBB111_145
; %bb.144:
	scratch_load_dwordx4 v[192:195], off, off offset:784 ; 16-byte Folded Reload
	s_waitcnt vmcnt(0)
	v_mul_f64 v[204:205], v[194:195], v[158:159]
	v_fma_f64 v[208:209], v[192:193], v[156:157], -v[204:205]
	ds_read2_b64 v[204:207], v202 offset0:32 offset1:33
	v_mul_f64 v[158:159], v[192:193], v[158:159]
	v_fmac_f64_e32 v[158:159], v[194:195], v[156:157]
	s_waitcnt lgkmcnt(0)
	v_mul_f64 v[156:157], v[206:207], v[158:159]
	v_fma_f64 v[156:157], v[204:205], v[208:209], -v[156:157]
	v_mul_f64 v[204:205], v[204:205], v[158:159]
	v_fmac_f64_e32 v[204:205], v[206:207], v[208:209]
	v_add_f64 v[154:155], v[154:155], -v[204:205]
	ds_read2_b64 v[204:207], v202 offset0:34 offset1:35
	v_add_f64 v[152:153], v[152:153], -v[156:157]
	s_waitcnt lgkmcnt(0)
	v_mul_f64 v[156:157], v[206:207], v[158:159]
	v_fma_f64 v[156:157], v[204:205], v[208:209], -v[156:157]
	v_mul_f64 v[204:205], v[204:205], v[158:159]
	v_fmac_f64_e32 v[204:205], v[206:207], v[208:209]
	v_add_f64 v[150:151], v[150:151], -v[204:205]
	ds_read2_b64 v[204:207], v202 offset0:36 offset1:37
	v_add_f64 v[148:149], v[148:149], -v[156:157]
	;; [unrolled: 8-line block ×39, first 2 shown]
	s_waitcnt lgkmcnt(0)
	v_mul_f64 v[156:157], v[206:207], v[158:159]
	v_fma_f64 v[156:157], v[204:205], v[208:209], -v[156:157]
	v_mul_f64 v[204:205], v[204:205], v[158:159]
	v_fmac_f64_e32 v[204:205], v[206:207], v[208:209]
	v_add_f64 v[220:221], v[220:221], -v[156:157]
	v_add_f64 v[222:223], v[222:223], -v[204:205]
	v_mov_b64_e32 v[156:157], v[208:209]
.LBB111_145:
	s_or_b64 exec, exec, s[2:3]
	v_cmp_eq_u32_e32 vcc, 16, v200
	s_waitcnt vmcnt(63) expcnt(7) lgkmcnt(15)
	s_barrier
	s_and_saveexec_b64 s[4:5], vcc
	s_cbranch_execz .LBB111_152
; %bb.146:
	ds_write2_b64 v201, v[152:153], v[154:155] offset1:1
	ds_write2_b64 v202, v[148:149], v[150:151] offset0:34 offset1:35
	ds_write2_b64 v202, v[144:145], v[146:147] offset0:36 offset1:37
	;; [unrolled: 1-line block ×22, first 2 shown]
	s_waitcnt vmcnt(46)
	ds_write2_b64 v202, v[60:61], v[62:63] offset0:78 offset1:79
	s_waitcnt vmcnt(45)
	ds_write2_b64 v202, v[56:57], v[58:59] offset0:80 offset1:81
	;; [unrolled: 2-line block ×11, first 2 shown]
	ds_write2_b64 v202, v[16:17], v[18:19] offset0:100 offset1:101
	ds_write2_b64 v202, v[12:13], v[14:15] offset0:102 offset1:103
	;; [unrolled: 1-line block ×4, first 2 shown]
	s_waitcnt vmcnt(35)
	ds_write2_b64 v202, v[0:1], v[2:3] offset0:108 offset1:109
	s_waitcnt vmcnt(32)
	ds_write2_b64 v202, v[220:221], v[222:223] offset0:110 offset1:111
	ds_read2_b64 v[208:211], v201 offset1:1
	s_waitcnt lgkmcnt(0)
	v_cmp_neq_f64_e32 vcc, 0, v[208:209]
	v_cmp_neq_f64_e64 s[2:3], 0, v[210:211]
	s_or_b64 s[2:3], vcc, s[2:3]
	s_and_b64 exec, exec, s[2:3]
	s_cbranch_execz .LBB111_152
; %bb.147:
	v_cmp_ngt_f64_e64 s[2:3], |v[208:209]|, |v[210:211]|
                                        ; implicit-def: $vgpr204_vgpr205
	s_and_saveexec_b64 s[10:11], s[2:3]
	s_xor_b64 s[2:3], exec, s[10:11]
                                        ; implicit-def: $vgpr206_vgpr207
	s_cbranch_execz .LBB111_149
; %bb.148:
	v_div_scale_f64 v[204:205], s[10:11], v[210:211], v[210:211], v[208:209]
	v_rcp_f64_e32 v[206:207], v[204:205]
	v_div_scale_f64 v[212:213], vcc, v[208:209], v[210:211], v[208:209]
	v_fma_f64 v[214:215], -v[204:205], v[206:207], 1.0
	v_fmac_f64_e32 v[206:207], v[206:207], v[214:215]
	v_fma_f64 v[214:215], -v[204:205], v[206:207], 1.0
	v_fmac_f64_e32 v[206:207], v[206:207], v[214:215]
	v_mul_f64 v[214:215], v[212:213], v[206:207]
	v_fma_f64 v[204:205], -v[204:205], v[214:215], v[212:213]
	v_div_fmas_f64 v[204:205], v[204:205], v[206:207], v[214:215]
	v_div_fixup_f64 v[204:205], v[204:205], v[210:211], v[208:209]
	v_fmac_f64_e32 v[210:211], v[208:209], v[204:205]
	v_div_scale_f64 v[206:207], s[10:11], v[210:211], v[210:211], 1.0
	v_rcp_f64_e32 v[208:209], v[206:207]
	s_nop 0
	v_fma_f64 v[212:213], -v[206:207], v[208:209], 1.0
	v_fmac_f64_e32 v[208:209], v[208:209], v[212:213]
	v_fma_f64 v[212:213], -v[206:207], v[208:209], 1.0
	v_fmac_f64_e32 v[208:209], v[208:209], v[212:213]
	v_div_scale_f64 v[212:213], vcc, 1.0, v[210:211], 1.0
	v_mul_f64 v[214:215], v[212:213], v[208:209]
	v_fma_f64 v[206:207], -v[206:207], v[214:215], v[212:213]
	s_nop 1
	v_div_fmas_f64 v[206:207], v[206:207], v[208:209], v[214:215]
	v_div_fixup_f64 v[206:207], v[206:207], v[210:211], 1.0
	v_mul_f64 v[204:205], v[204:205], v[206:207]
	v_xor_b32_e32 v207, 0x80000000, v207
                                        ; implicit-def: $vgpr208_vgpr209
.LBB111_149:
	s_andn2_saveexec_b64 s[2:3], s[2:3]
	s_cbranch_execz .LBB111_151
; %bb.150:
	v_div_scale_f64 v[204:205], s[10:11], v[208:209], v[208:209], v[210:211]
	v_rcp_f64_e32 v[206:207], v[204:205]
	v_div_scale_f64 v[212:213], vcc, v[210:211], v[208:209], v[210:211]
	v_fma_f64 v[214:215], -v[204:205], v[206:207], 1.0
	v_fmac_f64_e32 v[206:207], v[206:207], v[214:215]
	v_fma_f64 v[214:215], -v[204:205], v[206:207], 1.0
	v_fmac_f64_e32 v[206:207], v[206:207], v[214:215]
	v_mul_f64 v[214:215], v[212:213], v[206:207]
	v_fma_f64 v[204:205], -v[204:205], v[214:215], v[212:213]
	v_div_fmas_f64 v[204:205], v[204:205], v[206:207], v[214:215]
	v_div_fixup_f64 v[206:207], v[204:205], v[208:209], v[210:211]
	v_fmac_f64_e32 v[208:209], v[210:211], v[206:207]
	v_div_scale_f64 v[204:205], s[10:11], v[208:209], v[208:209], 1.0
	v_rcp_f64_e32 v[210:211], v[204:205]
	s_nop 0
	v_fma_f64 v[212:213], -v[204:205], v[210:211], 1.0
	v_fmac_f64_e32 v[210:211], v[210:211], v[212:213]
	v_fma_f64 v[212:213], -v[204:205], v[210:211], 1.0
	v_fmac_f64_e32 v[210:211], v[210:211], v[212:213]
	v_div_scale_f64 v[212:213], vcc, 1.0, v[208:209], 1.0
	v_mul_f64 v[214:215], v[212:213], v[210:211]
	v_fma_f64 v[204:205], -v[204:205], v[214:215], v[212:213]
	s_nop 1
	v_div_fmas_f64 v[204:205], v[204:205], v[210:211], v[214:215]
	v_div_fixup_f64 v[204:205], v[204:205], v[208:209], 1.0
	v_mul_f64 v[206:207], v[206:207], -v[204:205]
.LBB111_151:
	s_or_b64 exec, exec, s[2:3]
	ds_write2_b64 v201, v[204:205], v[206:207] offset1:1
.LBB111_152:
	s_or_b64 exec, exec, s[4:5]
	s_waitcnt lgkmcnt(0)
	s_barrier
	ds_read2_b64 v[192:195], v201 offset1:1
	v_cmp_lt_u32_e32 vcc, 16, v200
	s_waitcnt lgkmcnt(0)
	scratch_store_dwordx4 off, v[192:195], off offset:800 ; 16-byte Folded Spill
	s_and_saveexec_b64 s[2:3], vcc
	s_cbranch_execz .LBB111_154
; %bb.153:
	scratch_load_dwordx4 v[192:195], off, off offset:800 ; 16-byte Folded Reload
	s_waitcnt vmcnt(0)
	v_mul_f64 v[204:205], v[194:195], v[154:155]
	v_fma_f64 v[208:209], v[192:193], v[152:153], -v[204:205]
	ds_read2_b64 v[204:207], v202 offset0:34 offset1:35
	v_mul_f64 v[154:155], v[192:193], v[154:155]
	v_fmac_f64_e32 v[154:155], v[194:195], v[152:153]
	s_waitcnt lgkmcnt(0)
	v_mul_f64 v[152:153], v[206:207], v[154:155]
	v_fma_f64 v[152:153], v[204:205], v[208:209], -v[152:153]
	v_mul_f64 v[204:205], v[204:205], v[154:155]
	v_fmac_f64_e32 v[204:205], v[206:207], v[208:209]
	v_add_f64 v[150:151], v[150:151], -v[204:205]
	ds_read2_b64 v[204:207], v202 offset0:36 offset1:37
	v_add_f64 v[148:149], v[148:149], -v[152:153]
	s_waitcnt lgkmcnt(0)
	v_mul_f64 v[152:153], v[206:207], v[154:155]
	v_fma_f64 v[152:153], v[204:205], v[208:209], -v[152:153]
	v_mul_f64 v[204:205], v[204:205], v[154:155]
	v_fmac_f64_e32 v[204:205], v[206:207], v[208:209]
	v_add_f64 v[146:147], v[146:147], -v[204:205]
	ds_read2_b64 v[204:207], v202 offset0:38 offset1:39
	v_add_f64 v[144:145], v[144:145], -v[152:153]
	;; [unrolled: 8-line block ×38, first 2 shown]
	s_waitcnt lgkmcnt(0)
	v_mul_f64 v[152:153], v[206:207], v[154:155]
	v_fma_f64 v[152:153], v[204:205], v[208:209], -v[152:153]
	v_mul_f64 v[204:205], v[204:205], v[154:155]
	v_fmac_f64_e32 v[204:205], v[206:207], v[208:209]
	v_add_f64 v[220:221], v[220:221], -v[152:153]
	v_add_f64 v[222:223], v[222:223], -v[204:205]
	v_mov_b64_e32 v[152:153], v[208:209]
.LBB111_154:
	s_or_b64 exec, exec, s[2:3]
	v_cmp_eq_u32_e32 vcc, 17, v200
	s_waitcnt vmcnt(63) expcnt(7) lgkmcnt(15)
	s_barrier
	s_and_saveexec_b64 s[4:5], vcc
	s_cbranch_execz .LBB111_161
; %bb.155:
	ds_write2_b64 v201, v[148:149], v[150:151] offset1:1
	ds_write2_b64 v202, v[144:145], v[146:147] offset0:36 offset1:37
	ds_write2_b64 v202, v[140:141], v[142:143] offset0:38 offset1:39
	;; [unrolled: 1-line block ×21, first 2 shown]
	s_waitcnt vmcnt(47)
	ds_write2_b64 v202, v[60:61], v[62:63] offset0:78 offset1:79
	s_waitcnt vmcnt(46)
	ds_write2_b64 v202, v[56:57], v[58:59] offset0:80 offset1:81
	s_waitcnt vmcnt(45)
	ds_write2_b64 v202, v[52:53], v[54:55] offset0:82 offset1:83
	s_waitcnt vmcnt(44)
	ds_write2_b64 v202, v[48:49], v[50:51] offset0:84 offset1:85
	s_waitcnt vmcnt(43)
	ds_write2_b64 v202, v[44:45], v[46:47] offset0:86 offset1:87
	s_waitcnt vmcnt(42)
	ds_write2_b64 v202, v[40:41], v[42:43] offset0:88 offset1:89
	s_waitcnt vmcnt(41)
	ds_write2_b64 v202, v[36:37], v[38:39] offset0:90 offset1:91
	s_waitcnt vmcnt(40)
	ds_write2_b64 v202, v[32:33], v[34:35] offset0:92 offset1:93
	s_waitcnt vmcnt(39)
	ds_write2_b64 v202, v[28:29], v[30:31] offset0:94 offset1:95
	s_waitcnt vmcnt(38)
	ds_write2_b64 v202, v[24:25], v[26:27] offset0:96 offset1:97
	s_waitcnt vmcnt(37)
	ds_write2_b64 v202, v[20:21], v[22:23] offset0:98 offset1:99
	ds_write2_b64 v202, v[16:17], v[18:19] offset0:100 offset1:101
	ds_write2_b64 v202, v[12:13], v[14:15] offset0:102 offset1:103
	;; [unrolled: 1-line block ×4, first 2 shown]
	s_waitcnt vmcnt(36)
	ds_write2_b64 v202, v[0:1], v[2:3] offset0:108 offset1:109
	s_waitcnt vmcnt(33)
	ds_write2_b64 v202, v[220:221], v[222:223] offset0:110 offset1:111
	ds_read2_b64 v[208:211], v201 offset1:1
	s_waitcnt lgkmcnt(0)
	v_cmp_neq_f64_e32 vcc, 0, v[208:209]
	v_cmp_neq_f64_e64 s[2:3], 0, v[210:211]
	s_or_b64 s[2:3], vcc, s[2:3]
	s_and_b64 exec, exec, s[2:3]
	s_cbranch_execz .LBB111_161
; %bb.156:
	v_cmp_ngt_f64_e64 s[2:3], |v[208:209]|, |v[210:211]|
                                        ; implicit-def: $vgpr204_vgpr205
	s_and_saveexec_b64 s[10:11], s[2:3]
	s_xor_b64 s[2:3], exec, s[10:11]
                                        ; implicit-def: $vgpr206_vgpr207
	s_cbranch_execz .LBB111_158
; %bb.157:
	v_div_scale_f64 v[204:205], s[10:11], v[210:211], v[210:211], v[208:209]
	v_rcp_f64_e32 v[206:207], v[204:205]
	v_div_scale_f64 v[212:213], vcc, v[208:209], v[210:211], v[208:209]
	v_fma_f64 v[214:215], -v[204:205], v[206:207], 1.0
	v_fmac_f64_e32 v[206:207], v[206:207], v[214:215]
	v_fma_f64 v[214:215], -v[204:205], v[206:207], 1.0
	v_fmac_f64_e32 v[206:207], v[206:207], v[214:215]
	v_mul_f64 v[214:215], v[212:213], v[206:207]
	v_fma_f64 v[204:205], -v[204:205], v[214:215], v[212:213]
	v_div_fmas_f64 v[204:205], v[204:205], v[206:207], v[214:215]
	v_div_fixup_f64 v[204:205], v[204:205], v[210:211], v[208:209]
	v_fmac_f64_e32 v[210:211], v[208:209], v[204:205]
	v_div_scale_f64 v[206:207], s[10:11], v[210:211], v[210:211], 1.0
	v_rcp_f64_e32 v[208:209], v[206:207]
	s_nop 0
	v_fma_f64 v[212:213], -v[206:207], v[208:209], 1.0
	v_fmac_f64_e32 v[208:209], v[208:209], v[212:213]
	v_fma_f64 v[212:213], -v[206:207], v[208:209], 1.0
	v_fmac_f64_e32 v[208:209], v[208:209], v[212:213]
	v_div_scale_f64 v[212:213], vcc, 1.0, v[210:211], 1.0
	v_mul_f64 v[214:215], v[212:213], v[208:209]
	v_fma_f64 v[206:207], -v[206:207], v[214:215], v[212:213]
	s_nop 1
	v_div_fmas_f64 v[206:207], v[206:207], v[208:209], v[214:215]
	v_div_fixup_f64 v[206:207], v[206:207], v[210:211], 1.0
	v_mul_f64 v[204:205], v[204:205], v[206:207]
	v_xor_b32_e32 v207, 0x80000000, v207
                                        ; implicit-def: $vgpr208_vgpr209
.LBB111_158:
	s_andn2_saveexec_b64 s[2:3], s[2:3]
	s_cbranch_execz .LBB111_160
; %bb.159:
	v_div_scale_f64 v[204:205], s[10:11], v[208:209], v[208:209], v[210:211]
	v_rcp_f64_e32 v[206:207], v[204:205]
	v_div_scale_f64 v[212:213], vcc, v[210:211], v[208:209], v[210:211]
	v_fma_f64 v[214:215], -v[204:205], v[206:207], 1.0
	v_fmac_f64_e32 v[206:207], v[206:207], v[214:215]
	v_fma_f64 v[214:215], -v[204:205], v[206:207], 1.0
	v_fmac_f64_e32 v[206:207], v[206:207], v[214:215]
	v_mul_f64 v[214:215], v[212:213], v[206:207]
	v_fma_f64 v[204:205], -v[204:205], v[214:215], v[212:213]
	v_div_fmas_f64 v[204:205], v[204:205], v[206:207], v[214:215]
	v_div_fixup_f64 v[206:207], v[204:205], v[208:209], v[210:211]
	v_fmac_f64_e32 v[208:209], v[210:211], v[206:207]
	v_div_scale_f64 v[204:205], s[10:11], v[208:209], v[208:209], 1.0
	v_rcp_f64_e32 v[210:211], v[204:205]
	s_nop 0
	v_fma_f64 v[212:213], -v[204:205], v[210:211], 1.0
	v_fmac_f64_e32 v[210:211], v[210:211], v[212:213]
	v_fma_f64 v[212:213], -v[204:205], v[210:211], 1.0
	v_fmac_f64_e32 v[210:211], v[210:211], v[212:213]
	v_div_scale_f64 v[212:213], vcc, 1.0, v[208:209], 1.0
	v_mul_f64 v[214:215], v[212:213], v[210:211]
	v_fma_f64 v[204:205], -v[204:205], v[214:215], v[212:213]
	s_nop 1
	v_div_fmas_f64 v[204:205], v[204:205], v[210:211], v[214:215]
	v_div_fixup_f64 v[204:205], v[204:205], v[208:209], 1.0
	v_mul_f64 v[206:207], v[206:207], -v[204:205]
.LBB111_160:
	s_or_b64 exec, exec, s[2:3]
	ds_write2_b64 v201, v[204:205], v[206:207] offset1:1
.LBB111_161:
	s_or_b64 exec, exec, s[4:5]
	s_waitcnt lgkmcnt(0)
	s_barrier
	ds_read2_b64 v[192:195], v201 offset1:1
	v_cmp_lt_u32_e32 vcc, 17, v200
	s_waitcnt lgkmcnt(0)
	scratch_store_dwordx4 off, v[192:195], off offset:816 ; 16-byte Folded Spill
	s_and_saveexec_b64 s[2:3], vcc
	s_cbranch_execz .LBB111_163
; %bb.162:
	scratch_load_dwordx4 v[192:195], off, off offset:816 ; 16-byte Folded Reload
	s_waitcnt vmcnt(0)
	v_mul_f64 v[204:205], v[194:195], v[150:151]
	v_fma_f64 v[208:209], v[192:193], v[148:149], -v[204:205]
	ds_read2_b64 v[204:207], v202 offset0:36 offset1:37
	v_mul_f64 v[150:151], v[192:193], v[150:151]
	v_fmac_f64_e32 v[150:151], v[194:195], v[148:149]
	s_waitcnt lgkmcnt(0)
	v_mul_f64 v[148:149], v[206:207], v[150:151]
	v_fma_f64 v[148:149], v[204:205], v[208:209], -v[148:149]
	v_mul_f64 v[204:205], v[204:205], v[150:151]
	v_fmac_f64_e32 v[204:205], v[206:207], v[208:209]
	v_add_f64 v[146:147], v[146:147], -v[204:205]
	ds_read2_b64 v[204:207], v202 offset0:38 offset1:39
	v_add_f64 v[144:145], v[144:145], -v[148:149]
	s_waitcnt lgkmcnt(0)
	v_mul_f64 v[148:149], v[206:207], v[150:151]
	v_fma_f64 v[148:149], v[204:205], v[208:209], -v[148:149]
	v_mul_f64 v[204:205], v[204:205], v[150:151]
	v_fmac_f64_e32 v[204:205], v[206:207], v[208:209]
	v_add_f64 v[142:143], v[142:143], -v[204:205]
	ds_read2_b64 v[204:207], v202 offset0:40 offset1:41
	v_add_f64 v[140:141], v[140:141], -v[148:149]
	;; [unrolled: 8-line block ×37, first 2 shown]
	s_waitcnt lgkmcnt(0)
	v_mul_f64 v[148:149], v[206:207], v[150:151]
	v_fma_f64 v[148:149], v[204:205], v[208:209], -v[148:149]
	v_mul_f64 v[204:205], v[204:205], v[150:151]
	v_fmac_f64_e32 v[204:205], v[206:207], v[208:209]
	v_add_f64 v[220:221], v[220:221], -v[148:149]
	v_add_f64 v[222:223], v[222:223], -v[204:205]
	v_mov_b64_e32 v[148:149], v[208:209]
.LBB111_163:
	s_or_b64 exec, exec, s[2:3]
	v_cmp_eq_u32_e32 vcc, 18, v200
	s_waitcnt vmcnt(63) expcnt(7) lgkmcnt(15)
	s_barrier
	s_and_saveexec_b64 s[4:5], vcc
	s_cbranch_execz .LBB111_170
; %bb.164:
	ds_write2_b64 v201, v[144:145], v[146:147] offset1:1
	ds_write2_b64 v202, v[140:141], v[142:143] offset0:38 offset1:39
	ds_write2_b64 v202, v[136:137], v[138:139] offset0:40 offset1:41
	;; [unrolled: 1-line block ×20, first 2 shown]
	s_waitcnt vmcnt(48)
	ds_write2_b64 v202, v[60:61], v[62:63] offset0:78 offset1:79
	s_waitcnt vmcnt(47)
	ds_write2_b64 v202, v[56:57], v[58:59] offset0:80 offset1:81
	;; [unrolled: 2-line block ×11, first 2 shown]
	ds_write2_b64 v202, v[16:17], v[18:19] offset0:100 offset1:101
	ds_write2_b64 v202, v[12:13], v[14:15] offset0:102 offset1:103
	;; [unrolled: 1-line block ×4, first 2 shown]
	s_waitcnt vmcnt(37)
	ds_write2_b64 v202, v[0:1], v[2:3] offset0:108 offset1:109
	s_waitcnt vmcnt(34)
	ds_write2_b64 v202, v[220:221], v[222:223] offset0:110 offset1:111
	ds_read2_b64 v[208:211], v201 offset1:1
	s_waitcnt lgkmcnt(0)
	v_cmp_neq_f64_e32 vcc, 0, v[208:209]
	v_cmp_neq_f64_e64 s[2:3], 0, v[210:211]
	s_or_b64 s[2:3], vcc, s[2:3]
	s_and_b64 exec, exec, s[2:3]
	s_cbranch_execz .LBB111_170
; %bb.165:
	v_cmp_ngt_f64_e64 s[2:3], |v[208:209]|, |v[210:211]|
                                        ; implicit-def: $vgpr204_vgpr205
	s_and_saveexec_b64 s[10:11], s[2:3]
	s_xor_b64 s[2:3], exec, s[10:11]
                                        ; implicit-def: $vgpr206_vgpr207
	s_cbranch_execz .LBB111_167
; %bb.166:
	v_div_scale_f64 v[204:205], s[10:11], v[210:211], v[210:211], v[208:209]
	v_rcp_f64_e32 v[206:207], v[204:205]
	v_div_scale_f64 v[212:213], vcc, v[208:209], v[210:211], v[208:209]
	v_fma_f64 v[214:215], -v[204:205], v[206:207], 1.0
	v_fmac_f64_e32 v[206:207], v[206:207], v[214:215]
	v_fma_f64 v[214:215], -v[204:205], v[206:207], 1.0
	v_fmac_f64_e32 v[206:207], v[206:207], v[214:215]
	v_mul_f64 v[214:215], v[212:213], v[206:207]
	v_fma_f64 v[204:205], -v[204:205], v[214:215], v[212:213]
	v_div_fmas_f64 v[204:205], v[204:205], v[206:207], v[214:215]
	v_div_fixup_f64 v[204:205], v[204:205], v[210:211], v[208:209]
	v_fmac_f64_e32 v[210:211], v[208:209], v[204:205]
	v_div_scale_f64 v[206:207], s[10:11], v[210:211], v[210:211], 1.0
	v_rcp_f64_e32 v[208:209], v[206:207]
	s_nop 0
	v_fma_f64 v[212:213], -v[206:207], v[208:209], 1.0
	v_fmac_f64_e32 v[208:209], v[208:209], v[212:213]
	v_fma_f64 v[212:213], -v[206:207], v[208:209], 1.0
	v_fmac_f64_e32 v[208:209], v[208:209], v[212:213]
	v_div_scale_f64 v[212:213], vcc, 1.0, v[210:211], 1.0
	v_mul_f64 v[214:215], v[212:213], v[208:209]
	v_fma_f64 v[206:207], -v[206:207], v[214:215], v[212:213]
	s_nop 1
	v_div_fmas_f64 v[206:207], v[206:207], v[208:209], v[214:215]
	v_div_fixup_f64 v[206:207], v[206:207], v[210:211], 1.0
	v_mul_f64 v[204:205], v[204:205], v[206:207]
	v_xor_b32_e32 v207, 0x80000000, v207
                                        ; implicit-def: $vgpr208_vgpr209
.LBB111_167:
	s_andn2_saveexec_b64 s[2:3], s[2:3]
	s_cbranch_execz .LBB111_169
; %bb.168:
	v_div_scale_f64 v[204:205], s[10:11], v[208:209], v[208:209], v[210:211]
	v_rcp_f64_e32 v[206:207], v[204:205]
	v_div_scale_f64 v[212:213], vcc, v[210:211], v[208:209], v[210:211]
	v_fma_f64 v[214:215], -v[204:205], v[206:207], 1.0
	v_fmac_f64_e32 v[206:207], v[206:207], v[214:215]
	v_fma_f64 v[214:215], -v[204:205], v[206:207], 1.0
	v_fmac_f64_e32 v[206:207], v[206:207], v[214:215]
	v_mul_f64 v[214:215], v[212:213], v[206:207]
	v_fma_f64 v[204:205], -v[204:205], v[214:215], v[212:213]
	v_div_fmas_f64 v[204:205], v[204:205], v[206:207], v[214:215]
	v_div_fixup_f64 v[206:207], v[204:205], v[208:209], v[210:211]
	v_fmac_f64_e32 v[208:209], v[210:211], v[206:207]
	v_div_scale_f64 v[204:205], s[10:11], v[208:209], v[208:209], 1.0
	v_rcp_f64_e32 v[210:211], v[204:205]
	s_nop 0
	v_fma_f64 v[212:213], -v[204:205], v[210:211], 1.0
	v_fmac_f64_e32 v[210:211], v[210:211], v[212:213]
	v_fma_f64 v[212:213], -v[204:205], v[210:211], 1.0
	v_fmac_f64_e32 v[210:211], v[210:211], v[212:213]
	v_div_scale_f64 v[212:213], vcc, 1.0, v[208:209], 1.0
	v_mul_f64 v[214:215], v[212:213], v[210:211]
	v_fma_f64 v[204:205], -v[204:205], v[214:215], v[212:213]
	s_nop 1
	v_div_fmas_f64 v[204:205], v[204:205], v[210:211], v[214:215]
	v_div_fixup_f64 v[204:205], v[204:205], v[208:209], 1.0
	v_mul_f64 v[206:207], v[206:207], -v[204:205]
.LBB111_169:
	s_or_b64 exec, exec, s[2:3]
	ds_write2_b64 v201, v[204:205], v[206:207] offset1:1
.LBB111_170:
	s_or_b64 exec, exec, s[4:5]
	s_waitcnt lgkmcnt(0)
	s_barrier
	ds_read2_b64 v[192:195], v201 offset1:1
	v_cmp_lt_u32_e32 vcc, 18, v200
	s_waitcnt lgkmcnt(0)
	scratch_store_dwordx4 off, v[192:195], off offset:832 ; 16-byte Folded Spill
	s_and_saveexec_b64 s[2:3], vcc
	s_cbranch_execz .LBB111_172
; %bb.171:
	scratch_load_dwordx4 v[192:195], off, off offset:832 ; 16-byte Folded Reload
	s_waitcnt vmcnt(0)
	v_mul_f64 v[204:205], v[194:195], v[146:147]
	v_fma_f64 v[208:209], v[192:193], v[144:145], -v[204:205]
	ds_read2_b64 v[204:207], v202 offset0:38 offset1:39
	v_mul_f64 v[146:147], v[192:193], v[146:147]
	v_fmac_f64_e32 v[146:147], v[194:195], v[144:145]
	s_waitcnt lgkmcnt(0)
	v_mul_f64 v[144:145], v[206:207], v[146:147]
	v_fma_f64 v[144:145], v[204:205], v[208:209], -v[144:145]
	v_mul_f64 v[204:205], v[204:205], v[146:147]
	v_fmac_f64_e32 v[204:205], v[206:207], v[208:209]
	v_add_f64 v[142:143], v[142:143], -v[204:205]
	ds_read2_b64 v[204:207], v202 offset0:40 offset1:41
	v_add_f64 v[140:141], v[140:141], -v[144:145]
	s_waitcnt lgkmcnt(0)
	v_mul_f64 v[144:145], v[206:207], v[146:147]
	v_fma_f64 v[144:145], v[204:205], v[208:209], -v[144:145]
	v_mul_f64 v[204:205], v[204:205], v[146:147]
	v_fmac_f64_e32 v[204:205], v[206:207], v[208:209]
	v_add_f64 v[138:139], v[138:139], -v[204:205]
	ds_read2_b64 v[204:207], v202 offset0:42 offset1:43
	v_add_f64 v[136:137], v[136:137], -v[144:145]
	s_waitcnt lgkmcnt(0)
	v_mul_f64 v[144:145], v[206:207], v[146:147]
	v_fma_f64 v[144:145], v[204:205], v[208:209], -v[144:145]
	v_mul_f64 v[204:205], v[204:205], v[146:147]
	v_fmac_f64_e32 v[204:205], v[206:207], v[208:209]
	v_add_f64 v[134:135], v[134:135], -v[204:205]
	ds_read2_b64 v[204:207], v202 offset0:44 offset1:45
	v_add_f64 v[132:133], v[132:133], -v[144:145]
	s_waitcnt lgkmcnt(0)
	v_mul_f64 v[144:145], v[206:207], v[146:147]
	v_fma_f64 v[144:145], v[204:205], v[208:209], -v[144:145]
	v_mul_f64 v[204:205], v[204:205], v[146:147]
	v_fmac_f64_e32 v[204:205], v[206:207], v[208:209]
	v_add_f64 v[130:131], v[130:131], -v[204:205]
	ds_read2_b64 v[204:207], v202 offset0:46 offset1:47
	v_add_f64 v[128:129], v[128:129], -v[144:145]
	s_waitcnt lgkmcnt(0)
	v_mul_f64 v[144:145], v[206:207], v[146:147]
	v_fma_f64 v[144:145], v[204:205], v[208:209], -v[144:145]
	v_mul_f64 v[204:205], v[204:205], v[146:147]
	v_fmac_f64_e32 v[204:205], v[206:207], v[208:209]
	v_add_f64 v[126:127], v[126:127], -v[204:205]
	ds_read2_b64 v[204:207], v202 offset0:48 offset1:49
	v_add_f64 v[124:125], v[124:125], -v[144:145]
	s_waitcnt lgkmcnt(0)
	v_mul_f64 v[144:145], v[206:207], v[146:147]
	v_fma_f64 v[144:145], v[204:205], v[208:209], -v[144:145]
	v_mul_f64 v[204:205], v[204:205], v[146:147]
	v_fmac_f64_e32 v[204:205], v[206:207], v[208:209]
	v_add_f64 v[122:123], v[122:123], -v[204:205]
	ds_read2_b64 v[204:207], v202 offset0:50 offset1:51
	v_add_f64 v[120:121], v[120:121], -v[144:145]
	s_waitcnt lgkmcnt(0)
	v_mul_f64 v[144:145], v[206:207], v[146:147]
	v_fma_f64 v[144:145], v[204:205], v[208:209], -v[144:145]
	v_mul_f64 v[204:205], v[204:205], v[146:147]
	v_fmac_f64_e32 v[204:205], v[206:207], v[208:209]
	v_add_f64 v[118:119], v[118:119], -v[204:205]
	ds_read2_b64 v[204:207], v202 offset0:52 offset1:53
	v_add_f64 v[116:117], v[116:117], -v[144:145]
	s_waitcnt lgkmcnt(0)
	v_mul_f64 v[144:145], v[206:207], v[146:147]
	v_fma_f64 v[144:145], v[204:205], v[208:209], -v[144:145]
	v_mul_f64 v[204:205], v[204:205], v[146:147]
	v_fmac_f64_e32 v[204:205], v[206:207], v[208:209]
	v_add_f64 v[114:115], v[114:115], -v[204:205]
	ds_read2_b64 v[204:207], v202 offset0:54 offset1:55
	v_add_f64 v[112:113], v[112:113], -v[144:145]
	s_waitcnt lgkmcnt(0)
	v_mul_f64 v[144:145], v[206:207], v[146:147]
	v_fma_f64 v[144:145], v[204:205], v[208:209], -v[144:145]
	v_mul_f64 v[204:205], v[204:205], v[146:147]
	v_fmac_f64_e32 v[204:205], v[206:207], v[208:209]
	v_add_f64 v[110:111], v[110:111], -v[204:205]
	ds_read2_b64 v[204:207], v202 offset0:56 offset1:57
	v_add_f64 v[108:109], v[108:109], -v[144:145]
	s_waitcnt lgkmcnt(0)
	v_mul_f64 v[144:145], v[206:207], v[146:147]
	v_fma_f64 v[144:145], v[204:205], v[208:209], -v[144:145]
	v_mul_f64 v[204:205], v[204:205], v[146:147]
	v_fmac_f64_e32 v[204:205], v[206:207], v[208:209]
	v_add_f64 v[106:107], v[106:107], -v[204:205]
	ds_read2_b64 v[204:207], v202 offset0:58 offset1:59
	v_add_f64 v[104:105], v[104:105], -v[144:145]
	s_waitcnt lgkmcnt(0)
	v_mul_f64 v[144:145], v[206:207], v[146:147]
	v_fma_f64 v[144:145], v[204:205], v[208:209], -v[144:145]
	v_mul_f64 v[204:205], v[204:205], v[146:147]
	v_fmac_f64_e32 v[204:205], v[206:207], v[208:209]
	v_add_f64 v[102:103], v[102:103], -v[204:205]
	ds_read2_b64 v[204:207], v202 offset0:60 offset1:61
	v_add_f64 v[100:101], v[100:101], -v[144:145]
	s_waitcnt lgkmcnt(0)
	v_mul_f64 v[144:145], v[206:207], v[146:147]
	v_fma_f64 v[144:145], v[204:205], v[208:209], -v[144:145]
	v_mul_f64 v[204:205], v[204:205], v[146:147]
	v_fmac_f64_e32 v[204:205], v[206:207], v[208:209]
	v_add_f64 v[98:99], v[98:99], -v[204:205]
	ds_read2_b64 v[204:207], v202 offset0:62 offset1:63
	v_add_f64 v[96:97], v[96:97], -v[144:145]
	s_waitcnt lgkmcnt(0)
	v_mul_f64 v[144:145], v[206:207], v[146:147]
	v_fma_f64 v[144:145], v[204:205], v[208:209], -v[144:145]
	v_mul_f64 v[204:205], v[204:205], v[146:147]
	v_fmac_f64_e32 v[204:205], v[206:207], v[208:209]
	v_add_f64 v[94:95], v[94:95], -v[204:205]
	ds_read2_b64 v[204:207], v202 offset0:64 offset1:65
	v_add_f64 v[92:93], v[92:93], -v[144:145]
	s_waitcnt lgkmcnt(0)
	v_mul_f64 v[144:145], v[206:207], v[146:147]
	v_fma_f64 v[144:145], v[204:205], v[208:209], -v[144:145]
	v_mul_f64 v[204:205], v[204:205], v[146:147]
	v_fmac_f64_e32 v[204:205], v[206:207], v[208:209]
	v_add_f64 v[90:91], v[90:91], -v[204:205]
	ds_read2_b64 v[204:207], v202 offset0:66 offset1:67
	v_add_f64 v[88:89], v[88:89], -v[144:145]
	s_waitcnt lgkmcnt(0)
	v_mul_f64 v[144:145], v[206:207], v[146:147]
	v_fma_f64 v[144:145], v[204:205], v[208:209], -v[144:145]
	v_mul_f64 v[204:205], v[204:205], v[146:147]
	v_fmac_f64_e32 v[204:205], v[206:207], v[208:209]
	v_add_f64 v[86:87], v[86:87], -v[204:205]
	ds_read2_b64 v[204:207], v202 offset0:68 offset1:69
	v_add_f64 v[84:85], v[84:85], -v[144:145]
	s_waitcnt lgkmcnt(0)
	v_mul_f64 v[144:145], v[206:207], v[146:147]
	v_fma_f64 v[144:145], v[204:205], v[208:209], -v[144:145]
	v_mul_f64 v[204:205], v[204:205], v[146:147]
	v_fmac_f64_e32 v[204:205], v[206:207], v[208:209]
	v_add_f64 v[82:83], v[82:83], -v[204:205]
	ds_read2_b64 v[204:207], v202 offset0:70 offset1:71
	v_add_f64 v[80:81], v[80:81], -v[144:145]
	s_waitcnt lgkmcnt(0)
	v_mul_f64 v[144:145], v[206:207], v[146:147]
	v_fma_f64 v[144:145], v[204:205], v[208:209], -v[144:145]
	v_mul_f64 v[204:205], v[204:205], v[146:147]
	v_fmac_f64_e32 v[204:205], v[206:207], v[208:209]
	v_add_f64 v[78:79], v[78:79], -v[204:205]
	ds_read2_b64 v[204:207], v202 offset0:72 offset1:73
	v_add_f64 v[76:77], v[76:77], -v[144:145]
	s_waitcnt lgkmcnt(0)
	v_mul_f64 v[144:145], v[206:207], v[146:147]
	v_fma_f64 v[144:145], v[204:205], v[208:209], -v[144:145]
	v_mul_f64 v[204:205], v[204:205], v[146:147]
	v_fmac_f64_e32 v[204:205], v[206:207], v[208:209]
	v_add_f64 v[74:75], v[74:75], -v[204:205]
	ds_read2_b64 v[204:207], v202 offset0:74 offset1:75
	v_add_f64 v[72:73], v[72:73], -v[144:145]
	s_waitcnt lgkmcnt(0)
	v_mul_f64 v[144:145], v[206:207], v[146:147]
	v_fma_f64 v[144:145], v[204:205], v[208:209], -v[144:145]
	v_mul_f64 v[204:205], v[204:205], v[146:147]
	v_fmac_f64_e32 v[204:205], v[206:207], v[208:209]
	v_add_f64 v[70:71], v[70:71], -v[204:205]
	ds_read2_b64 v[204:207], v202 offset0:76 offset1:77
	v_add_f64 v[68:69], v[68:69], -v[144:145]
	s_waitcnt lgkmcnt(0)
	v_mul_f64 v[144:145], v[206:207], v[146:147]
	v_fma_f64 v[144:145], v[204:205], v[208:209], -v[144:145]
	v_mul_f64 v[204:205], v[204:205], v[146:147]
	v_fmac_f64_e32 v[204:205], v[206:207], v[208:209]
	v_add_f64 v[66:67], v[66:67], -v[204:205]
	ds_read2_b64 v[204:207], v202 offset0:78 offset1:79
	v_add_f64 v[64:65], v[64:65], -v[144:145]
	s_waitcnt lgkmcnt(0)
	v_mul_f64 v[144:145], v[206:207], v[146:147]
	v_fma_f64 v[144:145], v[204:205], v[208:209], -v[144:145]
	v_mul_f64 v[204:205], v[204:205], v[146:147]
	v_fmac_f64_e32 v[204:205], v[206:207], v[208:209]
	v_add_f64 v[62:63], v[62:63], -v[204:205]
	ds_read2_b64 v[204:207], v202 offset0:80 offset1:81
	v_add_f64 v[60:61], v[60:61], -v[144:145]
	s_waitcnt lgkmcnt(0)
	v_mul_f64 v[144:145], v[206:207], v[146:147]
	v_fma_f64 v[144:145], v[204:205], v[208:209], -v[144:145]
	v_mul_f64 v[204:205], v[204:205], v[146:147]
	v_fmac_f64_e32 v[204:205], v[206:207], v[208:209]
	v_add_f64 v[58:59], v[58:59], -v[204:205]
	ds_read2_b64 v[204:207], v202 offset0:82 offset1:83
	v_add_f64 v[56:57], v[56:57], -v[144:145]
	s_waitcnt lgkmcnt(0)
	v_mul_f64 v[144:145], v[206:207], v[146:147]
	v_fma_f64 v[144:145], v[204:205], v[208:209], -v[144:145]
	v_mul_f64 v[204:205], v[204:205], v[146:147]
	v_fmac_f64_e32 v[204:205], v[206:207], v[208:209]
	v_add_f64 v[54:55], v[54:55], -v[204:205]
	ds_read2_b64 v[204:207], v202 offset0:84 offset1:85
	v_add_f64 v[52:53], v[52:53], -v[144:145]
	s_waitcnt lgkmcnt(0)
	v_mul_f64 v[144:145], v[206:207], v[146:147]
	v_fma_f64 v[144:145], v[204:205], v[208:209], -v[144:145]
	v_mul_f64 v[204:205], v[204:205], v[146:147]
	v_fmac_f64_e32 v[204:205], v[206:207], v[208:209]
	v_add_f64 v[50:51], v[50:51], -v[204:205]
	ds_read2_b64 v[204:207], v202 offset0:86 offset1:87
	v_add_f64 v[48:49], v[48:49], -v[144:145]
	s_waitcnt lgkmcnt(0)
	v_mul_f64 v[144:145], v[206:207], v[146:147]
	v_fma_f64 v[144:145], v[204:205], v[208:209], -v[144:145]
	v_mul_f64 v[204:205], v[204:205], v[146:147]
	v_fmac_f64_e32 v[204:205], v[206:207], v[208:209]
	v_add_f64 v[46:47], v[46:47], -v[204:205]
	ds_read2_b64 v[204:207], v202 offset0:88 offset1:89
	v_add_f64 v[44:45], v[44:45], -v[144:145]
	s_waitcnt lgkmcnt(0)
	v_mul_f64 v[144:145], v[206:207], v[146:147]
	v_fma_f64 v[144:145], v[204:205], v[208:209], -v[144:145]
	v_mul_f64 v[204:205], v[204:205], v[146:147]
	v_fmac_f64_e32 v[204:205], v[206:207], v[208:209]
	v_add_f64 v[42:43], v[42:43], -v[204:205]
	ds_read2_b64 v[204:207], v202 offset0:90 offset1:91
	v_add_f64 v[40:41], v[40:41], -v[144:145]
	s_waitcnt lgkmcnt(0)
	v_mul_f64 v[144:145], v[206:207], v[146:147]
	v_fma_f64 v[144:145], v[204:205], v[208:209], -v[144:145]
	v_mul_f64 v[204:205], v[204:205], v[146:147]
	v_fmac_f64_e32 v[204:205], v[206:207], v[208:209]
	v_add_f64 v[38:39], v[38:39], -v[204:205]
	ds_read2_b64 v[204:207], v202 offset0:92 offset1:93
	v_add_f64 v[36:37], v[36:37], -v[144:145]
	s_waitcnt lgkmcnt(0)
	v_mul_f64 v[144:145], v[206:207], v[146:147]
	v_fma_f64 v[144:145], v[204:205], v[208:209], -v[144:145]
	v_mul_f64 v[204:205], v[204:205], v[146:147]
	v_fmac_f64_e32 v[204:205], v[206:207], v[208:209]
	v_add_f64 v[34:35], v[34:35], -v[204:205]
	ds_read2_b64 v[204:207], v202 offset0:94 offset1:95
	v_add_f64 v[32:33], v[32:33], -v[144:145]
	s_waitcnt lgkmcnt(0)
	v_mul_f64 v[144:145], v[206:207], v[146:147]
	v_fma_f64 v[144:145], v[204:205], v[208:209], -v[144:145]
	v_mul_f64 v[204:205], v[204:205], v[146:147]
	v_fmac_f64_e32 v[204:205], v[206:207], v[208:209]
	v_add_f64 v[30:31], v[30:31], -v[204:205]
	ds_read2_b64 v[204:207], v202 offset0:96 offset1:97
	v_add_f64 v[28:29], v[28:29], -v[144:145]
	s_waitcnt lgkmcnt(0)
	v_mul_f64 v[144:145], v[206:207], v[146:147]
	v_fma_f64 v[144:145], v[204:205], v[208:209], -v[144:145]
	v_mul_f64 v[204:205], v[204:205], v[146:147]
	v_fmac_f64_e32 v[204:205], v[206:207], v[208:209]
	v_add_f64 v[26:27], v[26:27], -v[204:205]
	ds_read2_b64 v[204:207], v202 offset0:98 offset1:99
	v_add_f64 v[24:25], v[24:25], -v[144:145]
	s_waitcnt lgkmcnt(0)
	v_mul_f64 v[144:145], v[206:207], v[146:147]
	v_fma_f64 v[144:145], v[204:205], v[208:209], -v[144:145]
	v_mul_f64 v[204:205], v[204:205], v[146:147]
	v_fmac_f64_e32 v[204:205], v[206:207], v[208:209]
	v_add_f64 v[22:23], v[22:23], -v[204:205]
	ds_read2_b64 v[204:207], v202 offset0:100 offset1:101
	v_add_f64 v[20:21], v[20:21], -v[144:145]
	s_waitcnt lgkmcnt(0)
	v_mul_f64 v[144:145], v[206:207], v[146:147]
	v_fma_f64 v[144:145], v[204:205], v[208:209], -v[144:145]
	v_mul_f64 v[204:205], v[204:205], v[146:147]
	v_fmac_f64_e32 v[204:205], v[206:207], v[208:209]
	v_add_f64 v[18:19], v[18:19], -v[204:205]
	ds_read2_b64 v[204:207], v202 offset0:102 offset1:103
	v_add_f64 v[16:17], v[16:17], -v[144:145]
	s_waitcnt lgkmcnt(0)
	v_mul_f64 v[144:145], v[206:207], v[146:147]
	v_fma_f64 v[144:145], v[204:205], v[208:209], -v[144:145]
	v_mul_f64 v[204:205], v[204:205], v[146:147]
	v_fmac_f64_e32 v[204:205], v[206:207], v[208:209]
	v_add_f64 v[14:15], v[14:15], -v[204:205]
	ds_read2_b64 v[204:207], v202 offset0:104 offset1:105
	v_add_f64 v[12:13], v[12:13], -v[144:145]
	s_waitcnt lgkmcnt(0)
	v_mul_f64 v[144:145], v[206:207], v[146:147]
	v_fma_f64 v[144:145], v[204:205], v[208:209], -v[144:145]
	v_mul_f64 v[204:205], v[204:205], v[146:147]
	v_fmac_f64_e32 v[204:205], v[206:207], v[208:209]
	v_add_f64 v[10:11], v[10:11], -v[204:205]
	ds_read2_b64 v[204:207], v202 offset0:106 offset1:107
	v_add_f64 v[8:9], v[8:9], -v[144:145]
	s_waitcnt lgkmcnt(0)
	v_mul_f64 v[144:145], v[206:207], v[146:147]
	v_fma_f64 v[144:145], v[204:205], v[208:209], -v[144:145]
	v_mul_f64 v[204:205], v[204:205], v[146:147]
	v_fmac_f64_e32 v[204:205], v[206:207], v[208:209]
	v_add_f64 v[6:7], v[6:7], -v[204:205]
	ds_read2_b64 v[204:207], v202 offset0:108 offset1:109
	v_add_f64 v[4:5], v[4:5], -v[144:145]
	s_waitcnt lgkmcnt(0)
	v_mul_f64 v[144:145], v[206:207], v[146:147]
	v_fma_f64 v[144:145], v[204:205], v[208:209], -v[144:145]
	v_mul_f64 v[204:205], v[204:205], v[146:147]
	v_fmac_f64_e32 v[204:205], v[206:207], v[208:209]
	v_add_f64 v[2:3], v[2:3], -v[204:205]
	ds_read2_b64 v[204:207], v202 offset0:110 offset1:111
	v_add_f64 v[0:1], v[0:1], -v[144:145]
	s_waitcnt lgkmcnt(0)
	v_mul_f64 v[144:145], v[206:207], v[146:147]
	v_fma_f64 v[144:145], v[204:205], v[208:209], -v[144:145]
	v_mul_f64 v[204:205], v[204:205], v[146:147]
	v_fmac_f64_e32 v[204:205], v[206:207], v[208:209]
	v_add_f64 v[220:221], v[220:221], -v[144:145]
	v_add_f64 v[222:223], v[222:223], -v[204:205]
	v_mov_b64_e32 v[144:145], v[208:209]
.LBB111_172:
	s_or_b64 exec, exec, s[2:3]
	v_cmp_eq_u32_e32 vcc, 19, v200
	s_waitcnt vmcnt(63) expcnt(7) lgkmcnt(15)
	s_barrier
	s_and_saveexec_b64 s[4:5], vcc
	s_cbranch_execz .LBB111_179
; %bb.173:
	ds_write2_b64 v201, v[140:141], v[142:143] offset1:1
	ds_write2_b64 v202, v[136:137], v[138:139] offset0:40 offset1:41
	ds_write2_b64 v202, v[132:133], v[134:135] offset0:42 offset1:43
	;; [unrolled: 1-line block ×19, first 2 shown]
	s_waitcnt vmcnt(49)
	ds_write2_b64 v202, v[60:61], v[62:63] offset0:78 offset1:79
	s_waitcnt vmcnt(48)
	ds_write2_b64 v202, v[56:57], v[58:59] offset0:80 offset1:81
	;; [unrolled: 2-line block ×11, first 2 shown]
	ds_write2_b64 v202, v[16:17], v[18:19] offset0:100 offset1:101
	ds_write2_b64 v202, v[12:13], v[14:15] offset0:102 offset1:103
	ds_write2_b64 v202, v[8:9], v[10:11] offset0:104 offset1:105
	ds_write2_b64 v202, v[4:5], v[6:7] offset0:106 offset1:107
	s_waitcnt vmcnt(38)
	ds_write2_b64 v202, v[0:1], v[2:3] offset0:108 offset1:109
	s_waitcnt vmcnt(35)
	ds_write2_b64 v202, v[220:221], v[222:223] offset0:110 offset1:111
	ds_read2_b64 v[208:211], v201 offset1:1
	s_waitcnt lgkmcnt(0)
	v_cmp_neq_f64_e32 vcc, 0, v[208:209]
	v_cmp_neq_f64_e64 s[2:3], 0, v[210:211]
	s_or_b64 s[2:3], vcc, s[2:3]
	s_and_b64 exec, exec, s[2:3]
	s_cbranch_execz .LBB111_179
; %bb.174:
	v_cmp_ngt_f64_e64 s[2:3], |v[208:209]|, |v[210:211]|
                                        ; implicit-def: $vgpr204_vgpr205
	s_and_saveexec_b64 s[10:11], s[2:3]
	s_xor_b64 s[2:3], exec, s[10:11]
                                        ; implicit-def: $vgpr206_vgpr207
	s_cbranch_execz .LBB111_176
; %bb.175:
	v_div_scale_f64 v[204:205], s[10:11], v[210:211], v[210:211], v[208:209]
	v_rcp_f64_e32 v[206:207], v[204:205]
	v_div_scale_f64 v[212:213], vcc, v[208:209], v[210:211], v[208:209]
	v_fma_f64 v[214:215], -v[204:205], v[206:207], 1.0
	v_fmac_f64_e32 v[206:207], v[206:207], v[214:215]
	v_fma_f64 v[214:215], -v[204:205], v[206:207], 1.0
	v_fmac_f64_e32 v[206:207], v[206:207], v[214:215]
	v_mul_f64 v[214:215], v[212:213], v[206:207]
	v_fma_f64 v[204:205], -v[204:205], v[214:215], v[212:213]
	v_div_fmas_f64 v[204:205], v[204:205], v[206:207], v[214:215]
	v_div_fixup_f64 v[204:205], v[204:205], v[210:211], v[208:209]
	v_fmac_f64_e32 v[210:211], v[208:209], v[204:205]
	v_div_scale_f64 v[206:207], s[10:11], v[210:211], v[210:211], 1.0
	v_rcp_f64_e32 v[208:209], v[206:207]
	s_nop 0
	v_fma_f64 v[212:213], -v[206:207], v[208:209], 1.0
	v_fmac_f64_e32 v[208:209], v[208:209], v[212:213]
	v_fma_f64 v[212:213], -v[206:207], v[208:209], 1.0
	v_fmac_f64_e32 v[208:209], v[208:209], v[212:213]
	v_div_scale_f64 v[212:213], vcc, 1.0, v[210:211], 1.0
	v_mul_f64 v[214:215], v[212:213], v[208:209]
	v_fma_f64 v[206:207], -v[206:207], v[214:215], v[212:213]
	s_nop 1
	v_div_fmas_f64 v[206:207], v[206:207], v[208:209], v[214:215]
	v_div_fixup_f64 v[206:207], v[206:207], v[210:211], 1.0
	v_mul_f64 v[204:205], v[204:205], v[206:207]
	v_xor_b32_e32 v207, 0x80000000, v207
                                        ; implicit-def: $vgpr208_vgpr209
.LBB111_176:
	s_andn2_saveexec_b64 s[2:3], s[2:3]
	s_cbranch_execz .LBB111_178
; %bb.177:
	v_div_scale_f64 v[204:205], s[10:11], v[208:209], v[208:209], v[210:211]
	v_rcp_f64_e32 v[206:207], v[204:205]
	v_div_scale_f64 v[212:213], vcc, v[210:211], v[208:209], v[210:211]
	v_fma_f64 v[214:215], -v[204:205], v[206:207], 1.0
	v_fmac_f64_e32 v[206:207], v[206:207], v[214:215]
	v_fma_f64 v[214:215], -v[204:205], v[206:207], 1.0
	v_fmac_f64_e32 v[206:207], v[206:207], v[214:215]
	v_mul_f64 v[214:215], v[212:213], v[206:207]
	v_fma_f64 v[204:205], -v[204:205], v[214:215], v[212:213]
	v_div_fmas_f64 v[204:205], v[204:205], v[206:207], v[214:215]
	v_div_fixup_f64 v[206:207], v[204:205], v[208:209], v[210:211]
	v_fmac_f64_e32 v[208:209], v[210:211], v[206:207]
	v_div_scale_f64 v[204:205], s[10:11], v[208:209], v[208:209], 1.0
	v_rcp_f64_e32 v[210:211], v[204:205]
	s_nop 0
	v_fma_f64 v[212:213], -v[204:205], v[210:211], 1.0
	v_fmac_f64_e32 v[210:211], v[210:211], v[212:213]
	v_fma_f64 v[212:213], -v[204:205], v[210:211], 1.0
	v_fmac_f64_e32 v[210:211], v[210:211], v[212:213]
	v_div_scale_f64 v[212:213], vcc, 1.0, v[208:209], 1.0
	v_mul_f64 v[214:215], v[212:213], v[210:211]
	v_fma_f64 v[204:205], -v[204:205], v[214:215], v[212:213]
	s_nop 1
	v_div_fmas_f64 v[204:205], v[204:205], v[210:211], v[214:215]
	v_div_fixup_f64 v[204:205], v[204:205], v[208:209], 1.0
	v_mul_f64 v[206:207], v[206:207], -v[204:205]
.LBB111_178:
	s_or_b64 exec, exec, s[2:3]
	ds_write2_b64 v201, v[204:205], v[206:207] offset1:1
.LBB111_179:
	s_or_b64 exec, exec, s[4:5]
	s_waitcnt lgkmcnt(0)
	s_barrier
	ds_read2_b64 v[192:195], v201 offset1:1
	v_cmp_lt_u32_e32 vcc, 19, v200
	s_waitcnt lgkmcnt(0)
	scratch_store_dwordx4 off, v[192:195], off offset:848 ; 16-byte Folded Spill
	s_and_saveexec_b64 s[2:3], vcc
	s_cbranch_execz .LBB111_181
; %bb.180:
	scratch_load_dwordx4 v[192:195], off, off offset:848 ; 16-byte Folded Reload
	s_waitcnt vmcnt(0)
	v_mul_f64 v[204:205], v[194:195], v[142:143]
	v_fma_f64 v[208:209], v[192:193], v[140:141], -v[204:205]
	ds_read2_b64 v[204:207], v202 offset0:40 offset1:41
	v_mul_f64 v[142:143], v[192:193], v[142:143]
	v_fmac_f64_e32 v[142:143], v[194:195], v[140:141]
	s_waitcnt lgkmcnt(0)
	v_mul_f64 v[140:141], v[206:207], v[142:143]
	v_fma_f64 v[140:141], v[204:205], v[208:209], -v[140:141]
	v_mul_f64 v[204:205], v[204:205], v[142:143]
	v_fmac_f64_e32 v[204:205], v[206:207], v[208:209]
	v_add_f64 v[138:139], v[138:139], -v[204:205]
	ds_read2_b64 v[204:207], v202 offset0:42 offset1:43
	v_add_f64 v[136:137], v[136:137], -v[140:141]
	s_waitcnt lgkmcnt(0)
	v_mul_f64 v[140:141], v[206:207], v[142:143]
	v_fma_f64 v[140:141], v[204:205], v[208:209], -v[140:141]
	v_mul_f64 v[204:205], v[204:205], v[142:143]
	v_fmac_f64_e32 v[204:205], v[206:207], v[208:209]
	v_add_f64 v[134:135], v[134:135], -v[204:205]
	ds_read2_b64 v[204:207], v202 offset0:44 offset1:45
	v_add_f64 v[132:133], v[132:133], -v[140:141]
	;; [unrolled: 8-line block ×35, first 2 shown]
	s_waitcnt lgkmcnt(0)
	v_mul_f64 v[140:141], v[206:207], v[142:143]
	v_fma_f64 v[140:141], v[204:205], v[208:209], -v[140:141]
	v_mul_f64 v[204:205], v[204:205], v[142:143]
	v_fmac_f64_e32 v[204:205], v[206:207], v[208:209]
	v_add_f64 v[220:221], v[220:221], -v[140:141]
	v_add_f64 v[222:223], v[222:223], -v[204:205]
	v_mov_b64_e32 v[140:141], v[208:209]
.LBB111_181:
	s_or_b64 exec, exec, s[2:3]
	v_cmp_eq_u32_e32 vcc, 20, v200
	s_waitcnt vmcnt(63) expcnt(7) lgkmcnt(15)
	s_barrier
	s_and_saveexec_b64 s[4:5], vcc
	s_cbranch_execz .LBB111_188
; %bb.182:
	ds_write2_b64 v201, v[136:137], v[138:139] offset1:1
	ds_write2_b64 v202, v[132:133], v[134:135] offset0:42 offset1:43
	ds_write2_b64 v202, v[128:129], v[130:131] offset0:44 offset1:45
	ds_write2_b64 v202, v[124:125], v[126:127] offset0:46 offset1:47
	ds_write2_b64 v202, v[120:121], v[122:123] offset0:48 offset1:49
	ds_write2_b64 v202, v[116:117], v[118:119] offset0:50 offset1:51
	ds_write2_b64 v202, v[112:113], v[114:115] offset0:52 offset1:53
	ds_write2_b64 v202, v[108:109], v[110:111] offset0:54 offset1:55
	ds_write2_b64 v202, v[104:105], v[106:107] offset0:56 offset1:57
	ds_write2_b64 v202, v[100:101], v[102:103] offset0:58 offset1:59
	ds_write2_b64 v202, v[96:97], v[98:99] offset0:60 offset1:61
	ds_write2_b64 v202, v[92:93], v[94:95] offset0:62 offset1:63
	ds_write2_b64 v202, v[88:89], v[90:91] offset0:64 offset1:65
	ds_write2_b64 v202, v[84:85], v[86:87] offset0:66 offset1:67
	ds_write2_b64 v202, v[80:81], v[82:83] offset0:68 offset1:69
	ds_write2_b64 v202, v[76:77], v[78:79] offset0:70 offset1:71
	ds_write2_b64 v202, v[72:73], v[74:75] offset0:72 offset1:73
	ds_write2_b64 v202, v[68:69], v[70:71] offset0:74 offset1:75
	ds_write2_b64 v202, v[64:65], v[66:67] offset0:76 offset1:77
	s_waitcnt vmcnt(50)
	ds_write2_b64 v202, v[60:61], v[62:63] offset0:78 offset1:79
	s_waitcnt vmcnt(49)
	ds_write2_b64 v202, v[56:57], v[58:59] offset0:80 offset1:81
	;; [unrolled: 2-line block ×11, first 2 shown]
	ds_write2_b64 v202, v[16:17], v[18:19] offset0:100 offset1:101
	ds_write2_b64 v202, v[12:13], v[14:15] offset0:102 offset1:103
	;; [unrolled: 1-line block ×4, first 2 shown]
	s_waitcnt vmcnt(39)
	ds_write2_b64 v202, v[0:1], v[2:3] offset0:108 offset1:109
	s_waitcnt vmcnt(36)
	ds_write2_b64 v202, v[220:221], v[222:223] offset0:110 offset1:111
	ds_read2_b64 v[208:211], v201 offset1:1
	s_waitcnt lgkmcnt(0)
	v_cmp_neq_f64_e32 vcc, 0, v[208:209]
	v_cmp_neq_f64_e64 s[2:3], 0, v[210:211]
	s_or_b64 s[2:3], vcc, s[2:3]
	s_and_b64 exec, exec, s[2:3]
	s_cbranch_execz .LBB111_188
; %bb.183:
	v_cmp_ngt_f64_e64 s[2:3], |v[208:209]|, |v[210:211]|
                                        ; implicit-def: $vgpr204_vgpr205
	s_and_saveexec_b64 s[10:11], s[2:3]
	s_xor_b64 s[2:3], exec, s[10:11]
                                        ; implicit-def: $vgpr206_vgpr207
	s_cbranch_execz .LBB111_185
; %bb.184:
	v_div_scale_f64 v[204:205], s[10:11], v[210:211], v[210:211], v[208:209]
	v_rcp_f64_e32 v[206:207], v[204:205]
	v_div_scale_f64 v[212:213], vcc, v[208:209], v[210:211], v[208:209]
	v_fma_f64 v[214:215], -v[204:205], v[206:207], 1.0
	v_fmac_f64_e32 v[206:207], v[206:207], v[214:215]
	v_fma_f64 v[214:215], -v[204:205], v[206:207], 1.0
	v_fmac_f64_e32 v[206:207], v[206:207], v[214:215]
	v_mul_f64 v[214:215], v[212:213], v[206:207]
	v_fma_f64 v[204:205], -v[204:205], v[214:215], v[212:213]
	v_div_fmas_f64 v[204:205], v[204:205], v[206:207], v[214:215]
	v_div_fixup_f64 v[204:205], v[204:205], v[210:211], v[208:209]
	v_fmac_f64_e32 v[210:211], v[208:209], v[204:205]
	v_div_scale_f64 v[206:207], s[10:11], v[210:211], v[210:211], 1.0
	v_rcp_f64_e32 v[208:209], v[206:207]
	s_nop 0
	v_fma_f64 v[212:213], -v[206:207], v[208:209], 1.0
	v_fmac_f64_e32 v[208:209], v[208:209], v[212:213]
	v_fma_f64 v[212:213], -v[206:207], v[208:209], 1.0
	v_fmac_f64_e32 v[208:209], v[208:209], v[212:213]
	v_div_scale_f64 v[212:213], vcc, 1.0, v[210:211], 1.0
	v_mul_f64 v[214:215], v[212:213], v[208:209]
	v_fma_f64 v[206:207], -v[206:207], v[214:215], v[212:213]
	s_nop 1
	v_div_fmas_f64 v[206:207], v[206:207], v[208:209], v[214:215]
	v_div_fixup_f64 v[206:207], v[206:207], v[210:211], 1.0
	v_mul_f64 v[204:205], v[204:205], v[206:207]
	v_xor_b32_e32 v207, 0x80000000, v207
                                        ; implicit-def: $vgpr208_vgpr209
.LBB111_185:
	s_andn2_saveexec_b64 s[2:3], s[2:3]
	s_cbranch_execz .LBB111_187
; %bb.186:
	v_div_scale_f64 v[204:205], s[10:11], v[208:209], v[208:209], v[210:211]
	v_rcp_f64_e32 v[206:207], v[204:205]
	v_div_scale_f64 v[212:213], vcc, v[210:211], v[208:209], v[210:211]
	v_fma_f64 v[214:215], -v[204:205], v[206:207], 1.0
	v_fmac_f64_e32 v[206:207], v[206:207], v[214:215]
	v_fma_f64 v[214:215], -v[204:205], v[206:207], 1.0
	v_fmac_f64_e32 v[206:207], v[206:207], v[214:215]
	v_mul_f64 v[214:215], v[212:213], v[206:207]
	v_fma_f64 v[204:205], -v[204:205], v[214:215], v[212:213]
	v_div_fmas_f64 v[204:205], v[204:205], v[206:207], v[214:215]
	v_div_fixup_f64 v[206:207], v[204:205], v[208:209], v[210:211]
	v_fmac_f64_e32 v[208:209], v[210:211], v[206:207]
	v_div_scale_f64 v[204:205], s[10:11], v[208:209], v[208:209], 1.0
	v_rcp_f64_e32 v[210:211], v[204:205]
	s_nop 0
	v_fma_f64 v[212:213], -v[204:205], v[210:211], 1.0
	v_fmac_f64_e32 v[210:211], v[210:211], v[212:213]
	v_fma_f64 v[212:213], -v[204:205], v[210:211], 1.0
	v_fmac_f64_e32 v[210:211], v[210:211], v[212:213]
	v_div_scale_f64 v[212:213], vcc, 1.0, v[208:209], 1.0
	v_mul_f64 v[214:215], v[212:213], v[210:211]
	v_fma_f64 v[204:205], -v[204:205], v[214:215], v[212:213]
	s_nop 1
	v_div_fmas_f64 v[204:205], v[204:205], v[210:211], v[214:215]
	v_div_fixup_f64 v[204:205], v[204:205], v[208:209], 1.0
	v_mul_f64 v[206:207], v[206:207], -v[204:205]
.LBB111_187:
	s_or_b64 exec, exec, s[2:3]
	ds_write2_b64 v201, v[204:205], v[206:207] offset1:1
.LBB111_188:
	s_or_b64 exec, exec, s[4:5]
	s_waitcnt lgkmcnt(0)
	s_barrier
	ds_read2_b64 v[192:195], v201 offset1:1
	v_cmp_lt_u32_e32 vcc, 20, v200
	s_waitcnt lgkmcnt(0)
	scratch_store_dwordx4 off, v[192:195], off offset:864 ; 16-byte Folded Spill
	s_and_saveexec_b64 s[2:3], vcc
	s_cbranch_execz .LBB111_190
; %bb.189:
	scratch_load_dwordx4 v[192:195], off, off offset:864 ; 16-byte Folded Reload
	s_waitcnt vmcnt(0)
	v_mul_f64 v[204:205], v[194:195], v[138:139]
	v_fma_f64 v[208:209], v[192:193], v[136:137], -v[204:205]
	ds_read2_b64 v[204:207], v202 offset0:42 offset1:43
	v_mul_f64 v[138:139], v[192:193], v[138:139]
	v_fmac_f64_e32 v[138:139], v[194:195], v[136:137]
	s_waitcnt lgkmcnt(0)
	v_mul_f64 v[136:137], v[206:207], v[138:139]
	v_fma_f64 v[136:137], v[204:205], v[208:209], -v[136:137]
	v_mul_f64 v[204:205], v[204:205], v[138:139]
	v_fmac_f64_e32 v[204:205], v[206:207], v[208:209]
	v_add_f64 v[134:135], v[134:135], -v[204:205]
	ds_read2_b64 v[204:207], v202 offset0:44 offset1:45
	v_add_f64 v[132:133], v[132:133], -v[136:137]
	s_waitcnt lgkmcnt(0)
	v_mul_f64 v[136:137], v[206:207], v[138:139]
	v_fma_f64 v[136:137], v[204:205], v[208:209], -v[136:137]
	v_mul_f64 v[204:205], v[204:205], v[138:139]
	v_fmac_f64_e32 v[204:205], v[206:207], v[208:209]
	v_add_f64 v[130:131], v[130:131], -v[204:205]
	ds_read2_b64 v[204:207], v202 offset0:46 offset1:47
	v_add_f64 v[128:129], v[128:129], -v[136:137]
	;; [unrolled: 8-line block ×34, first 2 shown]
	s_waitcnt lgkmcnt(0)
	v_mul_f64 v[136:137], v[206:207], v[138:139]
	v_fma_f64 v[136:137], v[204:205], v[208:209], -v[136:137]
	v_mul_f64 v[204:205], v[204:205], v[138:139]
	v_fmac_f64_e32 v[204:205], v[206:207], v[208:209]
	v_add_f64 v[220:221], v[220:221], -v[136:137]
	v_add_f64 v[222:223], v[222:223], -v[204:205]
	v_mov_b64_e32 v[136:137], v[208:209]
.LBB111_190:
	s_or_b64 exec, exec, s[2:3]
	v_cmp_eq_u32_e32 vcc, 21, v200
	s_waitcnt vmcnt(63) expcnt(7) lgkmcnt(15)
	s_barrier
	s_and_saveexec_b64 s[4:5], vcc
	s_cbranch_execz .LBB111_197
; %bb.191:
	ds_write2_b64 v201, v[132:133], v[134:135] offset1:1
	ds_write2_b64 v202, v[128:129], v[130:131] offset0:44 offset1:45
	ds_write2_b64 v202, v[124:125], v[126:127] offset0:46 offset1:47
	;; [unrolled: 1-line block ×17, first 2 shown]
	s_waitcnt vmcnt(51)
	ds_write2_b64 v202, v[60:61], v[62:63] offset0:78 offset1:79
	s_waitcnt vmcnt(50)
	ds_write2_b64 v202, v[56:57], v[58:59] offset0:80 offset1:81
	;; [unrolled: 2-line block ×11, first 2 shown]
	ds_write2_b64 v202, v[16:17], v[18:19] offset0:100 offset1:101
	ds_write2_b64 v202, v[12:13], v[14:15] offset0:102 offset1:103
	;; [unrolled: 1-line block ×4, first 2 shown]
	s_waitcnt vmcnt(40)
	ds_write2_b64 v202, v[0:1], v[2:3] offset0:108 offset1:109
	s_waitcnt vmcnt(37)
	ds_write2_b64 v202, v[220:221], v[222:223] offset0:110 offset1:111
	ds_read2_b64 v[208:211], v201 offset1:1
	s_waitcnt lgkmcnt(0)
	v_cmp_neq_f64_e32 vcc, 0, v[208:209]
	v_cmp_neq_f64_e64 s[2:3], 0, v[210:211]
	s_or_b64 s[2:3], vcc, s[2:3]
	s_and_b64 exec, exec, s[2:3]
	s_cbranch_execz .LBB111_197
; %bb.192:
	v_cmp_ngt_f64_e64 s[2:3], |v[208:209]|, |v[210:211]|
                                        ; implicit-def: $vgpr204_vgpr205
	s_and_saveexec_b64 s[10:11], s[2:3]
	s_xor_b64 s[2:3], exec, s[10:11]
                                        ; implicit-def: $vgpr206_vgpr207
	s_cbranch_execz .LBB111_194
; %bb.193:
	v_div_scale_f64 v[204:205], s[10:11], v[210:211], v[210:211], v[208:209]
	v_rcp_f64_e32 v[206:207], v[204:205]
	v_div_scale_f64 v[212:213], vcc, v[208:209], v[210:211], v[208:209]
	v_fma_f64 v[214:215], -v[204:205], v[206:207], 1.0
	v_fmac_f64_e32 v[206:207], v[206:207], v[214:215]
	v_fma_f64 v[214:215], -v[204:205], v[206:207], 1.0
	v_fmac_f64_e32 v[206:207], v[206:207], v[214:215]
	v_mul_f64 v[214:215], v[212:213], v[206:207]
	v_fma_f64 v[204:205], -v[204:205], v[214:215], v[212:213]
	v_div_fmas_f64 v[204:205], v[204:205], v[206:207], v[214:215]
	v_div_fixup_f64 v[204:205], v[204:205], v[210:211], v[208:209]
	v_fmac_f64_e32 v[210:211], v[208:209], v[204:205]
	v_div_scale_f64 v[206:207], s[10:11], v[210:211], v[210:211], 1.0
	v_rcp_f64_e32 v[208:209], v[206:207]
	s_nop 0
	v_fma_f64 v[212:213], -v[206:207], v[208:209], 1.0
	v_fmac_f64_e32 v[208:209], v[208:209], v[212:213]
	v_fma_f64 v[212:213], -v[206:207], v[208:209], 1.0
	v_fmac_f64_e32 v[208:209], v[208:209], v[212:213]
	v_div_scale_f64 v[212:213], vcc, 1.0, v[210:211], 1.0
	v_mul_f64 v[214:215], v[212:213], v[208:209]
	v_fma_f64 v[206:207], -v[206:207], v[214:215], v[212:213]
	s_nop 1
	v_div_fmas_f64 v[206:207], v[206:207], v[208:209], v[214:215]
	v_div_fixup_f64 v[206:207], v[206:207], v[210:211], 1.0
	v_mul_f64 v[204:205], v[204:205], v[206:207]
	v_xor_b32_e32 v207, 0x80000000, v207
                                        ; implicit-def: $vgpr208_vgpr209
.LBB111_194:
	s_andn2_saveexec_b64 s[2:3], s[2:3]
	s_cbranch_execz .LBB111_196
; %bb.195:
	v_div_scale_f64 v[204:205], s[10:11], v[208:209], v[208:209], v[210:211]
	v_rcp_f64_e32 v[206:207], v[204:205]
	v_div_scale_f64 v[212:213], vcc, v[210:211], v[208:209], v[210:211]
	v_fma_f64 v[214:215], -v[204:205], v[206:207], 1.0
	v_fmac_f64_e32 v[206:207], v[206:207], v[214:215]
	v_fma_f64 v[214:215], -v[204:205], v[206:207], 1.0
	v_fmac_f64_e32 v[206:207], v[206:207], v[214:215]
	v_mul_f64 v[214:215], v[212:213], v[206:207]
	v_fma_f64 v[204:205], -v[204:205], v[214:215], v[212:213]
	v_div_fmas_f64 v[204:205], v[204:205], v[206:207], v[214:215]
	v_div_fixup_f64 v[206:207], v[204:205], v[208:209], v[210:211]
	v_fmac_f64_e32 v[208:209], v[210:211], v[206:207]
	v_div_scale_f64 v[204:205], s[10:11], v[208:209], v[208:209], 1.0
	v_rcp_f64_e32 v[210:211], v[204:205]
	s_nop 0
	v_fma_f64 v[212:213], -v[204:205], v[210:211], 1.0
	v_fmac_f64_e32 v[210:211], v[210:211], v[212:213]
	v_fma_f64 v[212:213], -v[204:205], v[210:211], 1.0
	v_fmac_f64_e32 v[210:211], v[210:211], v[212:213]
	v_div_scale_f64 v[212:213], vcc, 1.0, v[208:209], 1.0
	v_mul_f64 v[214:215], v[212:213], v[210:211]
	v_fma_f64 v[204:205], -v[204:205], v[214:215], v[212:213]
	s_nop 1
	v_div_fmas_f64 v[204:205], v[204:205], v[210:211], v[214:215]
	v_div_fixup_f64 v[204:205], v[204:205], v[208:209], 1.0
	v_mul_f64 v[206:207], v[206:207], -v[204:205]
.LBB111_196:
	s_or_b64 exec, exec, s[2:3]
	ds_write2_b64 v201, v[204:205], v[206:207] offset1:1
.LBB111_197:
	s_or_b64 exec, exec, s[4:5]
	s_waitcnt lgkmcnt(0)
	s_barrier
	ds_read2_b64 v[192:195], v201 offset1:1
	v_cmp_lt_u32_e32 vcc, 21, v200
	s_waitcnt lgkmcnt(0)
	scratch_store_dwordx4 off, v[192:195], off offset:880 ; 16-byte Folded Spill
	s_and_saveexec_b64 s[2:3], vcc
	s_cbranch_execz .LBB111_199
; %bb.198:
	scratch_load_dwordx4 v[192:195], off, off offset:880 ; 16-byte Folded Reload
	s_waitcnt vmcnt(0)
	v_mul_f64 v[204:205], v[194:195], v[134:135]
	v_fma_f64 v[208:209], v[192:193], v[132:133], -v[204:205]
	ds_read2_b64 v[204:207], v202 offset0:44 offset1:45
	v_mul_f64 v[134:135], v[192:193], v[134:135]
	v_fmac_f64_e32 v[134:135], v[194:195], v[132:133]
	s_waitcnt lgkmcnt(0)
	v_mul_f64 v[132:133], v[206:207], v[134:135]
	v_fma_f64 v[132:133], v[204:205], v[208:209], -v[132:133]
	v_mul_f64 v[204:205], v[204:205], v[134:135]
	v_fmac_f64_e32 v[204:205], v[206:207], v[208:209]
	v_add_f64 v[130:131], v[130:131], -v[204:205]
	ds_read2_b64 v[204:207], v202 offset0:46 offset1:47
	v_add_f64 v[128:129], v[128:129], -v[132:133]
	s_waitcnt lgkmcnt(0)
	v_mul_f64 v[132:133], v[206:207], v[134:135]
	v_fma_f64 v[132:133], v[204:205], v[208:209], -v[132:133]
	v_mul_f64 v[204:205], v[204:205], v[134:135]
	v_fmac_f64_e32 v[204:205], v[206:207], v[208:209]
	v_add_f64 v[126:127], v[126:127], -v[204:205]
	ds_read2_b64 v[204:207], v202 offset0:48 offset1:49
	v_add_f64 v[124:125], v[124:125], -v[132:133]
	;; [unrolled: 8-line block ×33, first 2 shown]
	s_waitcnt lgkmcnt(0)
	v_mul_f64 v[132:133], v[206:207], v[134:135]
	v_fma_f64 v[132:133], v[204:205], v[208:209], -v[132:133]
	v_mul_f64 v[204:205], v[204:205], v[134:135]
	v_fmac_f64_e32 v[204:205], v[206:207], v[208:209]
	v_add_f64 v[220:221], v[220:221], -v[132:133]
	v_add_f64 v[222:223], v[222:223], -v[204:205]
	v_mov_b64_e32 v[132:133], v[208:209]
.LBB111_199:
	s_or_b64 exec, exec, s[2:3]
	v_cmp_eq_u32_e32 vcc, 22, v200
	s_waitcnt vmcnt(63) expcnt(7) lgkmcnt(15)
	s_barrier
	s_and_saveexec_b64 s[4:5], vcc
	s_cbranch_execz .LBB111_206
; %bb.200:
	ds_write2_b64 v201, v[128:129], v[130:131] offset1:1
	ds_write2_b64 v202, v[124:125], v[126:127] offset0:46 offset1:47
	ds_write2_b64 v202, v[120:121], v[122:123] offset0:48 offset1:49
	;; [unrolled: 1-line block ×16, first 2 shown]
	s_waitcnt vmcnt(52)
	ds_write2_b64 v202, v[60:61], v[62:63] offset0:78 offset1:79
	s_waitcnt vmcnt(51)
	ds_write2_b64 v202, v[56:57], v[58:59] offset0:80 offset1:81
	;; [unrolled: 2-line block ×11, first 2 shown]
	ds_write2_b64 v202, v[16:17], v[18:19] offset0:100 offset1:101
	ds_write2_b64 v202, v[12:13], v[14:15] offset0:102 offset1:103
	ds_write2_b64 v202, v[8:9], v[10:11] offset0:104 offset1:105
	ds_write2_b64 v202, v[4:5], v[6:7] offset0:106 offset1:107
	s_waitcnt vmcnt(41)
	ds_write2_b64 v202, v[0:1], v[2:3] offset0:108 offset1:109
	s_waitcnt vmcnt(38)
	ds_write2_b64 v202, v[220:221], v[222:223] offset0:110 offset1:111
	ds_read2_b64 v[208:211], v201 offset1:1
	s_waitcnt lgkmcnt(0)
	v_cmp_neq_f64_e32 vcc, 0, v[208:209]
	v_cmp_neq_f64_e64 s[2:3], 0, v[210:211]
	s_or_b64 s[2:3], vcc, s[2:3]
	s_and_b64 exec, exec, s[2:3]
	s_cbranch_execz .LBB111_206
; %bb.201:
	v_cmp_ngt_f64_e64 s[2:3], |v[208:209]|, |v[210:211]|
                                        ; implicit-def: $vgpr204_vgpr205
	s_and_saveexec_b64 s[10:11], s[2:3]
	s_xor_b64 s[2:3], exec, s[10:11]
                                        ; implicit-def: $vgpr206_vgpr207
	s_cbranch_execz .LBB111_203
; %bb.202:
	v_div_scale_f64 v[204:205], s[10:11], v[210:211], v[210:211], v[208:209]
	v_rcp_f64_e32 v[206:207], v[204:205]
	v_div_scale_f64 v[212:213], vcc, v[208:209], v[210:211], v[208:209]
	v_fma_f64 v[214:215], -v[204:205], v[206:207], 1.0
	v_fmac_f64_e32 v[206:207], v[206:207], v[214:215]
	v_fma_f64 v[214:215], -v[204:205], v[206:207], 1.0
	v_fmac_f64_e32 v[206:207], v[206:207], v[214:215]
	v_mul_f64 v[214:215], v[212:213], v[206:207]
	v_fma_f64 v[204:205], -v[204:205], v[214:215], v[212:213]
	v_div_fmas_f64 v[204:205], v[204:205], v[206:207], v[214:215]
	v_div_fixup_f64 v[204:205], v[204:205], v[210:211], v[208:209]
	v_fmac_f64_e32 v[210:211], v[208:209], v[204:205]
	v_div_scale_f64 v[206:207], s[10:11], v[210:211], v[210:211], 1.0
	v_rcp_f64_e32 v[208:209], v[206:207]
	s_nop 0
	v_fma_f64 v[212:213], -v[206:207], v[208:209], 1.0
	v_fmac_f64_e32 v[208:209], v[208:209], v[212:213]
	v_fma_f64 v[212:213], -v[206:207], v[208:209], 1.0
	v_fmac_f64_e32 v[208:209], v[208:209], v[212:213]
	v_div_scale_f64 v[212:213], vcc, 1.0, v[210:211], 1.0
	v_mul_f64 v[214:215], v[212:213], v[208:209]
	v_fma_f64 v[206:207], -v[206:207], v[214:215], v[212:213]
	s_nop 1
	v_div_fmas_f64 v[206:207], v[206:207], v[208:209], v[214:215]
	v_div_fixup_f64 v[206:207], v[206:207], v[210:211], 1.0
	v_mul_f64 v[204:205], v[204:205], v[206:207]
	v_xor_b32_e32 v207, 0x80000000, v207
                                        ; implicit-def: $vgpr208_vgpr209
.LBB111_203:
	s_andn2_saveexec_b64 s[2:3], s[2:3]
	s_cbranch_execz .LBB111_205
; %bb.204:
	v_div_scale_f64 v[204:205], s[10:11], v[208:209], v[208:209], v[210:211]
	v_rcp_f64_e32 v[206:207], v[204:205]
	v_div_scale_f64 v[212:213], vcc, v[210:211], v[208:209], v[210:211]
	v_fma_f64 v[214:215], -v[204:205], v[206:207], 1.0
	v_fmac_f64_e32 v[206:207], v[206:207], v[214:215]
	v_fma_f64 v[214:215], -v[204:205], v[206:207], 1.0
	v_fmac_f64_e32 v[206:207], v[206:207], v[214:215]
	v_mul_f64 v[214:215], v[212:213], v[206:207]
	v_fma_f64 v[204:205], -v[204:205], v[214:215], v[212:213]
	v_div_fmas_f64 v[204:205], v[204:205], v[206:207], v[214:215]
	v_div_fixup_f64 v[206:207], v[204:205], v[208:209], v[210:211]
	v_fmac_f64_e32 v[208:209], v[210:211], v[206:207]
	v_div_scale_f64 v[204:205], s[10:11], v[208:209], v[208:209], 1.0
	v_rcp_f64_e32 v[210:211], v[204:205]
	s_nop 0
	v_fma_f64 v[212:213], -v[204:205], v[210:211], 1.0
	v_fmac_f64_e32 v[210:211], v[210:211], v[212:213]
	v_fma_f64 v[212:213], -v[204:205], v[210:211], 1.0
	v_fmac_f64_e32 v[210:211], v[210:211], v[212:213]
	v_div_scale_f64 v[212:213], vcc, 1.0, v[208:209], 1.0
	v_mul_f64 v[214:215], v[212:213], v[210:211]
	v_fma_f64 v[204:205], -v[204:205], v[214:215], v[212:213]
	s_nop 1
	v_div_fmas_f64 v[204:205], v[204:205], v[210:211], v[214:215]
	v_div_fixup_f64 v[204:205], v[204:205], v[208:209], 1.0
	v_mul_f64 v[206:207], v[206:207], -v[204:205]
.LBB111_205:
	s_or_b64 exec, exec, s[2:3]
	ds_write2_b64 v201, v[204:205], v[206:207] offset1:1
.LBB111_206:
	s_or_b64 exec, exec, s[4:5]
	s_waitcnt lgkmcnt(0)
	s_barrier
	ds_read2_b64 v[192:195], v201 offset1:1
	v_cmp_lt_u32_e32 vcc, 22, v200
	s_waitcnt lgkmcnt(0)
	scratch_store_dwordx4 off, v[192:195], off offset:896 ; 16-byte Folded Spill
	s_and_saveexec_b64 s[2:3], vcc
	s_cbranch_execz .LBB111_208
; %bb.207:
	scratch_load_dwordx4 v[192:195], off, off offset:896 ; 16-byte Folded Reload
	s_waitcnt vmcnt(0)
	v_mul_f64 v[204:205], v[194:195], v[130:131]
	v_fma_f64 v[208:209], v[192:193], v[128:129], -v[204:205]
	ds_read2_b64 v[204:207], v202 offset0:46 offset1:47
	v_mul_f64 v[130:131], v[192:193], v[130:131]
	v_fmac_f64_e32 v[130:131], v[194:195], v[128:129]
	s_waitcnt lgkmcnt(0)
	v_mul_f64 v[128:129], v[206:207], v[130:131]
	v_fma_f64 v[128:129], v[204:205], v[208:209], -v[128:129]
	v_mul_f64 v[204:205], v[204:205], v[130:131]
	v_fmac_f64_e32 v[204:205], v[206:207], v[208:209]
	v_add_f64 v[126:127], v[126:127], -v[204:205]
	ds_read2_b64 v[204:207], v202 offset0:48 offset1:49
	v_add_f64 v[124:125], v[124:125], -v[128:129]
	s_waitcnt lgkmcnt(0)
	v_mul_f64 v[128:129], v[206:207], v[130:131]
	v_fma_f64 v[128:129], v[204:205], v[208:209], -v[128:129]
	v_mul_f64 v[204:205], v[204:205], v[130:131]
	v_fmac_f64_e32 v[204:205], v[206:207], v[208:209]
	v_add_f64 v[122:123], v[122:123], -v[204:205]
	ds_read2_b64 v[204:207], v202 offset0:50 offset1:51
	v_add_f64 v[120:121], v[120:121], -v[128:129]
	;; [unrolled: 8-line block ×32, first 2 shown]
	s_waitcnt lgkmcnt(0)
	v_mul_f64 v[128:129], v[206:207], v[130:131]
	v_fma_f64 v[128:129], v[204:205], v[208:209], -v[128:129]
	v_mul_f64 v[204:205], v[204:205], v[130:131]
	v_fmac_f64_e32 v[204:205], v[206:207], v[208:209]
	v_add_f64 v[220:221], v[220:221], -v[128:129]
	v_add_f64 v[222:223], v[222:223], -v[204:205]
	v_mov_b64_e32 v[128:129], v[208:209]
.LBB111_208:
	s_or_b64 exec, exec, s[2:3]
	v_cmp_eq_u32_e32 vcc, 23, v200
	s_waitcnt vmcnt(63) expcnt(7) lgkmcnt(15)
	s_barrier
	s_and_saveexec_b64 s[4:5], vcc
	s_cbranch_execz .LBB111_215
; %bb.209:
	ds_write2_b64 v201, v[124:125], v[126:127] offset1:1
	ds_write2_b64 v202, v[120:121], v[122:123] offset0:48 offset1:49
	ds_write2_b64 v202, v[116:117], v[118:119] offset0:50 offset1:51
	ds_write2_b64 v202, v[112:113], v[114:115] offset0:52 offset1:53
	ds_write2_b64 v202, v[108:109], v[110:111] offset0:54 offset1:55
	ds_write2_b64 v202, v[104:105], v[106:107] offset0:56 offset1:57
	ds_write2_b64 v202, v[100:101], v[102:103] offset0:58 offset1:59
	ds_write2_b64 v202, v[96:97], v[98:99] offset0:60 offset1:61
	ds_write2_b64 v202, v[92:93], v[94:95] offset0:62 offset1:63
	ds_write2_b64 v202, v[88:89], v[90:91] offset0:64 offset1:65
	ds_write2_b64 v202, v[84:85], v[86:87] offset0:66 offset1:67
	ds_write2_b64 v202, v[80:81], v[82:83] offset0:68 offset1:69
	ds_write2_b64 v202, v[76:77], v[78:79] offset0:70 offset1:71
	ds_write2_b64 v202, v[72:73], v[74:75] offset0:72 offset1:73
	ds_write2_b64 v202, v[68:69], v[70:71] offset0:74 offset1:75
	ds_write2_b64 v202, v[64:65], v[66:67] offset0:76 offset1:77
	s_waitcnt vmcnt(53)
	ds_write2_b64 v202, v[60:61], v[62:63] offset0:78 offset1:79
	s_waitcnt vmcnt(52)
	ds_write2_b64 v202, v[56:57], v[58:59] offset0:80 offset1:81
	;; [unrolled: 2-line block ×11, first 2 shown]
	ds_write2_b64 v202, v[16:17], v[18:19] offset0:100 offset1:101
	ds_write2_b64 v202, v[12:13], v[14:15] offset0:102 offset1:103
	;; [unrolled: 1-line block ×4, first 2 shown]
	s_waitcnt vmcnt(42)
	ds_write2_b64 v202, v[0:1], v[2:3] offset0:108 offset1:109
	s_waitcnt vmcnt(39)
	ds_write2_b64 v202, v[220:221], v[222:223] offset0:110 offset1:111
	ds_read2_b64 v[208:211], v201 offset1:1
	s_waitcnt lgkmcnt(0)
	v_cmp_neq_f64_e32 vcc, 0, v[208:209]
	v_cmp_neq_f64_e64 s[2:3], 0, v[210:211]
	s_or_b64 s[2:3], vcc, s[2:3]
	s_and_b64 exec, exec, s[2:3]
	s_cbranch_execz .LBB111_215
; %bb.210:
	v_cmp_ngt_f64_e64 s[2:3], |v[208:209]|, |v[210:211]|
                                        ; implicit-def: $vgpr204_vgpr205
	s_and_saveexec_b64 s[10:11], s[2:3]
	s_xor_b64 s[2:3], exec, s[10:11]
                                        ; implicit-def: $vgpr206_vgpr207
	s_cbranch_execz .LBB111_212
; %bb.211:
	v_div_scale_f64 v[204:205], s[10:11], v[210:211], v[210:211], v[208:209]
	v_rcp_f64_e32 v[206:207], v[204:205]
	v_div_scale_f64 v[212:213], vcc, v[208:209], v[210:211], v[208:209]
	v_fma_f64 v[214:215], -v[204:205], v[206:207], 1.0
	v_fmac_f64_e32 v[206:207], v[206:207], v[214:215]
	v_fma_f64 v[214:215], -v[204:205], v[206:207], 1.0
	v_fmac_f64_e32 v[206:207], v[206:207], v[214:215]
	v_mul_f64 v[214:215], v[212:213], v[206:207]
	v_fma_f64 v[204:205], -v[204:205], v[214:215], v[212:213]
	v_div_fmas_f64 v[204:205], v[204:205], v[206:207], v[214:215]
	v_div_fixup_f64 v[204:205], v[204:205], v[210:211], v[208:209]
	v_fmac_f64_e32 v[210:211], v[208:209], v[204:205]
	v_div_scale_f64 v[206:207], s[10:11], v[210:211], v[210:211], 1.0
	v_rcp_f64_e32 v[208:209], v[206:207]
	s_nop 0
	v_fma_f64 v[212:213], -v[206:207], v[208:209], 1.0
	v_fmac_f64_e32 v[208:209], v[208:209], v[212:213]
	v_fma_f64 v[212:213], -v[206:207], v[208:209], 1.0
	v_fmac_f64_e32 v[208:209], v[208:209], v[212:213]
	v_div_scale_f64 v[212:213], vcc, 1.0, v[210:211], 1.0
	v_mul_f64 v[214:215], v[212:213], v[208:209]
	v_fma_f64 v[206:207], -v[206:207], v[214:215], v[212:213]
	s_nop 1
	v_div_fmas_f64 v[206:207], v[206:207], v[208:209], v[214:215]
	v_div_fixup_f64 v[206:207], v[206:207], v[210:211], 1.0
	v_mul_f64 v[204:205], v[204:205], v[206:207]
	v_xor_b32_e32 v207, 0x80000000, v207
                                        ; implicit-def: $vgpr208_vgpr209
.LBB111_212:
	s_andn2_saveexec_b64 s[2:3], s[2:3]
	s_cbranch_execz .LBB111_214
; %bb.213:
	v_div_scale_f64 v[204:205], s[10:11], v[208:209], v[208:209], v[210:211]
	v_rcp_f64_e32 v[206:207], v[204:205]
	v_div_scale_f64 v[212:213], vcc, v[210:211], v[208:209], v[210:211]
	v_fma_f64 v[214:215], -v[204:205], v[206:207], 1.0
	v_fmac_f64_e32 v[206:207], v[206:207], v[214:215]
	v_fma_f64 v[214:215], -v[204:205], v[206:207], 1.0
	v_fmac_f64_e32 v[206:207], v[206:207], v[214:215]
	v_mul_f64 v[214:215], v[212:213], v[206:207]
	v_fma_f64 v[204:205], -v[204:205], v[214:215], v[212:213]
	v_div_fmas_f64 v[204:205], v[204:205], v[206:207], v[214:215]
	v_div_fixup_f64 v[206:207], v[204:205], v[208:209], v[210:211]
	v_fmac_f64_e32 v[208:209], v[210:211], v[206:207]
	v_div_scale_f64 v[204:205], s[10:11], v[208:209], v[208:209], 1.0
	v_rcp_f64_e32 v[210:211], v[204:205]
	s_nop 0
	v_fma_f64 v[212:213], -v[204:205], v[210:211], 1.0
	v_fmac_f64_e32 v[210:211], v[210:211], v[212:213]
	v_fma_f64 v[212:213], -v[204:205], v[210:211], 1.0
	v_fmac_f64_e32 v[210:211], v[210:211], v[212:213]
	v_div_scale_f64 v[212:213], vcc, 1.0, v[208:209], 1.0
	v_mul_f64 v[214:215], v[212:213], v[210:211]
	v_fma_f64 v[204:205], -v[204:205], v[214:215], v[212:213]
	s_nop 1
	v_div_fmas_f64 v[204:205], v[204:205], v[210:211], v[214:215]
	v_div_fixup_f64 v[204:205], v[204:205], v[208:209], 1.0
	v_mul_f64 v[206:207], v[206:207], -v[204:205]
.LBB111_214:
	s_or_b64 exec, exec, s[2:3]
	ds_write2_b64 v201, v[204:205], v[206:207] offset1:1
.LBB111_215:
	s_or_b64 exec, exec, s[4:5]
	s_waitcnt lgkmcnt(0)
	s_barrier
	ds_read2_b64 v[192:195], v201 offset1:1
	v_cmp_lt_u32_e32 vcc, 23, v200
	s_waitcnt lgkmcnt(0)
	scratch_store_dwordx4 off, v[192:195], off offset:912 ; 16-byte Folded Spill
	s_and_saveexec_b64 s[2:3], vcc
	s_cbranch_execz .LBB111_217
; %bb.216:
	scratch_load_dwordx4 v[192:195], off, off offset:912 ; 16-byte Folded Reload
	s_waitcnt vmcnt(0)
	v_mul_f64 v[204:205], v[194:195], v[126:127]
	v_fma_f64 v[208:209], v[192:193], v[124:125], -v[204:205]
	ds_read2_b64 v[204:207], v202 offset0:48 offset1:49
	v_mul_f64 v[126:127], v[192:193], v[126:127]
	v_fmac_f64_e32 v[126:127], v[194:195], v[124:125]
	s_waitcnt lgkmcnt(0)
	v_mul_f64 v[124:125], v[206:207], v[126:127]
	v_fma_f64 v[124:125], v[204:205], v[208:209], -v[124:125]
	v_mul_f64 v[204:205], v[204:205], v[126:127]
	v_fmac_f64_e32 v[204:205], v[206:207], v[208:209]
	v_add_f64 v[122:123], v[122:123], -v[204:205]
	ds_read2_b64 v[204:207], v202 offset0:50 offset1:51
	v_add_f64 v[120:121], v[120:121], -v[124:125]
	s_waitcnt lgkmcnt(0)
	v_mul_f64 v[124:125], v[206:207], v[126:127]
	v_fma_f64 v[124:125], v[204:205], v[208:209], -v[124:125]
	v_mul_f64 v[204:205], v[204:205], v[126:127]
	v_fmac_f64_e32 v[204:205], v[206:207], v[208:209]
	v_add_f64 v[118:119], v[118:119], -v[204:205]
	ds_read2_b64 v[204:207], v202 offset0:52 offset1:53
	v_add_f64 v[116:117], v[116:117], -v[124:125]
	;; [unrolled: 8-line block ×31, first 2 shown]
	s_waitcnt lgkmcnt(0)
	v_mul_f64 v[124:125], v[206:207], v[126:127]
	v_fma_f64 v[124:125], v[204:205], v[208:209], -v[124:125]
	v_mul_f64 v[204:205], v[204:205], v[126:127]
	v_fmac_f64_e32 v[204:205], v[206:207], v[208:209]
	v_add_f64 v[220:221], v[220:221], -v[124:125]
	v_add_f64 v[222:223], v[222:223], -v[204:205]
	v_mov_b64_e32 v[124:125], v[208:209]
.LBB111_217:
	s_or_b64 exec, exec, s[2:3]
	v_cmp_eq_u32_e32 vcc, 24, v200
	s_waitcnt vmcnt(63) expcnt(7) lgkmcnt(15)
	s_barrier
	s_and_saveexec_b64 s[4:5], vcc
	s_cbranch_execz .LBB111_224
; %bb.218:
	ds_write2_b64 v201, v[120:121], v[122:123] offset1:1
	ds_write2_b64 v202, v[116:117], v[118:119] offset0:50 offset1:51
	ds_write2_b64 v202, v[112:113], v[114:115] offset0:52 offset1:53
	;; [unrolled: 1-line block ×14, first 2 shown]
	s_waitcnt vmcnt(54)
	ds_write2_b64 v202, v[60:61], v[62:63] offset0:78 offset1:79
	s_waitcnt vmcnt(53)
	ds_write2_b64 v202, v[56:57], v[58:59] offset0:80 offset1:81
	;; [unrolled: 2-line block ×11, first 2 shown]
	ds_write2_b64 v202, v[16:17], v[18:19] offset0:100 offset1:101
	ds_write2_b64 v202, v[12:13], v[14:15] offset0:102 offset1:103
	;; [unrolled: 1-line block ×4, first 2 shown]
	s_waitcnt vmcnt(43)
	ds_write2_b64 v202, v[0:1], v[2:3] offset0:108 offset1:109
	s_waitcnt vmcnt(40)
	ds_write2_b64 v202, v[220:221], v[222:223] offset0:110 offset1:111
	ds_read2_b64 v[208:211], v201 offset1:1
	s_waitcnt lgkmcnt(0)
	v_cmp_neq_f64_e32 vcc, 0, v[208:209]
	v_cmp_neq_f64_e64 s[2:3], 0, v[210:211]
	s_or_b64 s[2:3], vcc, s[2:3]
	s_and_b64 exec, exec, s[2:3]
	s_cbranch_execz .LBB111_224
; %bb.219:
	v_cmp_ngt_f64_e64 s[2:3], |v[208:209]|, |v[210:211]|
                                        ; implicit-def: $vgpr204_vgpr205
	s_and_saveexec_b64 s[10:11], s[2:3]
	s_xor_b64 s[2:3], exec, s[10:11]
                                        ; implicit-def: $vgpr206_vgpr207
	s_cbranch_execz .LBB111_221
; %bb.220:
	v_div_scale_f64 v[204:205], s[10:11], v[210:211], v[210:211], v[208:209]
	v_rcp_f64_e32 v[206:207], v[204:205]
	v_div_scale_f64 v[212:213], vcc, v[208:209], v[210:211], v[208:209]
	v_fma_f64 v[214:215], -v[204:205], v[206:207], 1.0
	v_fmac_f64_e32 v[206:207], v[206:207], v[214:215]
	v_fma_f64 v[214:215], -v[204:205], v[206:207], 1.0
	v_fmac_f64_e32 v[206:207], v[206:207], v[214:215]
	v_mul_f64 v[214:215], v[212:213], v[206:207]
	v_fma_f64 v[204:205], -v[204:205], v[214:215], v[212:213]
	v_div_fmas_f64 v[204:205], v[204:205], v[206:207], v[214:215]
	v_div_fixup_f64 v[204:205], v[204:205], v[210:211], v[208:209]
	v_fmac_f64_e32 v[210:211], v[208:209], v[204:205]
	v_div_scale_f64 v[206:207], s[10:11], v[210:211], v[210:211], 1.0
	v_rcp_f64_e32 v[208:209], v[206:207]
	s_nop 0
	v_fma_f64 v[212:213], -v[206:207], v[208:209], 1.0
	v_fmac_f64_e32 v[208:209], v[208:209], v[212:213]
	v_fma_f64 v[212:213], -v[206:207], v[208:209], 1.0
	v_fmac_f64_e32 v[208:209], v[208:209], v[212:213]
	v_div_scale_f64 v[212:213], vcc, 1.0, v[210:211], 1.0
	v_mul_f64 v[214:215], v[212:213], v[208:209]
	v_fma_f64 v[206:207], -v[206:207], v[214:215], v[212:213]
	s_nop 1
	v_div_fmas_f64 v[206:207], v[206:207], v[208:209], v[214:215]
	v_div_fixup_f64 v[206:207], v[206:207], v[210:211], 1.0
	v_mul_f64 v[204:205], v[204:205], v[206:207]
	v_xor_b32_e32 v207, 0x80000000, v207
                                        ; implicit-def: $vgpr208_vgpr209
.LBB111_221:
	s_andn2_saveexec_b64 s[2:3], s[2:3]
	s_cbranch_execz .LBB111_223
; %bb.222:
	v_div_scale_f64 v[204:205], s[10:11], v[208:209], v[208:209], v[210:211]
	v_rcp_f64_e32 v[206:207], v[204:205]
	v_div_scale_f64 v[212:213], vcc, v[210:211], v[208:209], v[210:211]
	v_fma_f64 v[214:215], -v[204:205], v[206:207], 1.0
	v_fmac_f64_e32 v[206:207], v[206:207], v[214:215]
	v_fma_f64 v[214:215], -v[204:205], v[206:207], 1.0
	v_fmac_f64_e32 v[206:207], v[206:207], v[214:215]
	v_mul_f64 v[214:215], v[212:213], v[206:207]
	v_fma_f64 v[204:205], -v[204:205], v[214:215], v[212:213]
	v_div_fmas_f64 v[204:205], v[204:205], v[206:207], v[214:215]
	v_div_fixup_f64 v[206:207], v[204:205], v[208:209], v[210:211]
	v_fmac_f64_e32 v[208:209], v[210:211], v[206:207]
	v_div_scale_f64 v[204:205], s[10:11], v[208:209], v[208:209], 1.0
	v_rcp_f64_e32 v[210:211], v[204:205]
	s_nop 0
	v_fma_f64 v[212:213], -v[204:205], v[210:211], 1.0
	v_fmac_f64_e32 v[210:211], v[210:211], v[212:213]
	v_fma_f64 v[212:213], -v[204:205], v[210:211], 1.0
	v_fmac_f64_e32 v[210:211], v[210:211], v[212:213]
	v_div_scale_f64 v[212:213], vcc, 1.0, v[208:209], 1.0
	v_mul_f64 v[214:215], v[212:213], v[210:211]
	v_fma_f64 v[204:205], -v[204:205], v[214:215], v[212:213]
	s_nop 1
	v_div_fmas_f64 v[204:205], v[204:205], v[210:211], v[214:215]
	v_div_fixup_f64 v[204:205], v[204:205], v[208:209], 1.0
	v_mul_f64 v[206:207], v[206:207], -v[204:205]
.LBB111_223:
	s_or_b64 exec, exec, s[2:3]
	ds_write2_b64 v201, v[204:205], v[206:207] offset1:1
.LBB111_224:
	s_or_b64 exec, exec, s[4:5]
	s_waitcnt lgkmcnt(0)
	s_barrier
	ds_read2_b64 v[192:195], v201 offset1:1
	v_cmp_lt_u32_e32 vcc, 24, v200
	s_waitcnt lgkmcnt(0)
	scratch_store_dwordx4 off, v[192:195], off offset:928 ; 16-byte Folded Spill
	s_and_saveexec_b64 s[2:3], vcc
	s_cbranch_execz .LBB111_226
; %bb.225:
	scratch_load_dwordx4 v[192:195], off, off offset:928 ; 16-byte Folded Reload
	s_waitcnt vmcnt(0)
	v_mul_f64 v[204:205], v[194:195], v[122:123]
	v_fma_f64 v[208:209], v[192:193], v[120:121], -v[204:205]
	ds_read2_b64 v[204:207], v202 offset0:50 offset1:51
	v_mul_f64 v[122:123], v[192:193], v[122:123]
	v_fmac_f64_e32 v[122:123], v[194:195], v[120:121]
	s_waitcnt lgkmcnt(0)
	v_mul_f64 v[120:121], v[206:207], v[122:123]
	v_fma_f64 v[120:121], v[204:205], v[208:209], -v[120:121]
	v_mul_f64 v[204:205], v[204:205], v[122:123]
	v_fmac_f64_e32 v[204:205], v[206:207], v[208:209]
	v_add_f64 v[118:119], v[118:119], -v[204:205]
	ds_read2_b64 v[204:207], v202 offset0:52 offset1:53
	v_add_f64 v[116:117], v[116:117], -v[120:121]
	s_waitcnt lgkmcnt(0)
	v_mul_f64 v[120:121], v[206:207], v[122:123]
	v_fma_f64 v[120:121], v[204:205], v[208:209], -v[120:121]
	v_mul_f64 v[204:205], v[204:205], v[122:123]
	v_fmac_f64_e32 v[204:205], v[206:207], v[208:209]
	v_add_f64 v[114:115], v[114:115], -v[204:205]
	ds_read2_b64 v[204:207], v202 offset0:54 offset1:55
	v_add_f64 v[112:113], v[112:113], -v[120:121]
	;; [unrolled: 8-line block ×30, first 2 shown]
	s_waitcnt lgkmcnt(0)
	v_mul_f64 v[120:121], v[206:207], v[122:123]
	v_fma_f64 v[120:121], v[204:205], v[208:209], -v[120:121]
	v_mul_f64 v[204:205], v[204:205], v[122:123]
	v_fmac_f64_e32 v[204:205], v[206:207], v[208:209]
	v_add_f64 v[220:221], v[220:221], -v[120:121]
	v_add_f64 v[222:223], v[222:223], -v[204:205]
	v_mov_b64_e32 v[120:121], v[208:209]
.LBB111_226:
	s_or_b64 exec, exec, s[2:3]
	v_cmp_eq_u32_e32 vcc, 25, v200
	s_waitcnt vmcnt(63) expcnt(7) lgkmcnt(15)
	s_barrier
	s_and_saveexec_b64 s[4:5], vcc
	s_cbranch_execz .LBB111_233
; %bb.227:
	ds_write2_b64 v201, v[116:117], v[118:119] offset1:1
	ds_write2_b64 v202, v[112:113], v[114:115] offset0:52 offset1:53
	ds_write2_b64 v202, v[108:109], v[110:111] offset0:54 offset1:55
	;; [unrolled: 1-line block ×13, first 2 shown]
	s_waitcnt vmcnt(55)
	ds_write2_b64 v202, v[60:61], v[62:63] offset0:78 offset1:79
	s_waitcnt vmcnt(54)
	ds_write2_b64 v202, v[56:57], v[58:59] offset0:80 offset1:81
	;; [unrolled: 2-line block ×11, first 2 shown]
	ds_write2_b64 v202, v[16:17], v[18:19] offset0:100 offset1:101
	ds_write2_b64 v202, v[12:13], v[14:15] offset0:102 offset1:103
	;; [unrolled: 1-line block ×4, first 2 shown]
	s_waitcnt vmcnt(44)
	ds_write2_b64 v202, v[0:1], v[2:3] offset0:108 offset1:109
	s_waitcnt vmcnt(41)
	ds_write2_b64 v202, v[220:221], v[222:223] offset0:110 offset1:111
	ds_read2_b64 v[208:211], v201 offset1:1
	s_waitcnt lgkmcnt(0)
	v_cmp_neq_f64_e32 vcc, 0, v[208:209]
	v_cmp_neq_f64_e64 s[2:3], 0, v[210:211]
	s_or_b64 s[2:3], vcc, s[2:3]
	s_and_b64 exec, exec, s[2:3]
	s_cbranch_execz .LBB111_233
; %bb.228:
	v_cmp_ngt_f64_e64 s[2:3], |v[208:209]|, |v[210:211]|
                                        ; implicit-def: $vgpr204_vgpr205
	s_and_saveexec_b64 s[10:11], s[2:3]
	s_xor_b64 s[2:3], exec, s[10:11]
                                        ; implicit-def: $vgpr206_vgpr207
	s_cbranch_execz .LBB111_230
; %bb.229:
	v_div_scale_f64 v[204:205], s[10:11], v[210:211], v[210:211], v[208:209]
	v_rcp_f64_e32 v[206:207], v[204:205]
	v_div_scale_f64 v[212:213], vcc, v[208:209], v[210:211], v[208:209]
	v_fma_f64 v[214:215], -v[204:205], v[206:207], 1.0
	v_fmac_f64_e32 v[206:207], v[206:207], v[214:215]
	v_fma_f64 v[214:215], -v[204:205], v[206:207], 1.0
	v_fmac_f64_e32 v[206:207], v[206:207], v[214:215]
	v_mul_f64 v[214:215], v[212:213], v[206:207]
	v_fma_f64 v[204:205], -v[204:205], v[214:215], v[212:213]
	v_div_fmas_f64 v[204:205], v[204:205], v[206:207], v[214:215]
	v_div_fixup_f64 v[204:205], v[204:205], v[210:211], v[208:209]
	v_fmac_f64_e32 v[210:211], v[208:209], v[204:205]
	v_div_scale_f64 v[206:207], s[10:11], v[210:211], v[210:211], 1.0
	v_rcp_f64_e32 v[208:209], v[206:207]
	s_nop 0
	v_fma_f64 v[212:213], -v[206:207], v[208:209], 1.0
	v_fmac_f64_e32 v[208:209], v[208:209], v[212:213]
	v_fma_f64 v[212:213], -v[206:207], v[208:209], 1.0
	v_fmac_f64_e32 v[208:209], v[208:209], v[212:213]
	v_div_scale_f64 v[212:213], vcc, 1.0, v[210:211], 1.0
	v_mul_f64 v[214:215], v[212:213], v[208:209]
	v_fma_f64 v[206:207], -v[206:207], v[214:215], v[212:213]
	s_nop 1
	v_div_fmas_f64 v[206:207], v[206:207], v[208:209], v[214:215]
	v_div_fixup_f64 v[206:207], v[206:207], v[210:211], 1.0
	v_mul_f64 v[204:205], v[204:205], v[206:207]
	v_xor_b32_e32 v207, 0x80000000, v207
                                        ; implicit-def: $vgpr208_vgpr209
.LBB111_230:
	s_andn2_saveexec_b64 s[2:3], s[2:3]
	s_cbranch_execz .LBB111_232
; %bb.231:
	v_div_scale_f64 v[204:205], s[10:11], v[208:209], v[208:209], v[210:211]
	v_rcp_f64_e32 v[206:207], v[204:205]
	v_div_scale_f64 v[212:213], vcc, v[210:211], v[208:209], v[210:211]
	v_fma_f64 v[214:215], -v[204:205], v[206:207], 1.0
	v_fmac_f64_e32 v[206:207], v[206:207], v[214:215]
	v_fma_f64 v[214:215], -v[204:205], v[206:207], 1.0
	v_fmac_f64_e32 v[206:207], v[206:207], v[214:215]
	v_mul_f64 v[214:215], v[212:213], v[206:207]
	v_fma_f64 v[204:205], -v[204:205], v[214:215], v[212:213]
	v_div_fmas_f64 v[204:205], v[204:205], v[206:207], v[214:215]
	v_div_fixup_f64 v[206:207], v[204:205], v[208:209], v[210:211]
	v_fmac_f64_e32 v[208:209], v[210:211], v[206:207]
	v_div_scale_f64 v[204:205], s[10:11], v[208:209], v[208:209], 1.0
	v_rcp_f64_e32 v[210:211], v[204:205]
	s_nop 0
	v_fma_f64 v[212:213], -v[204:205], v[210:211], 1.0
	v_fmac_f64_e32 v[210:211], v[210:211], v[212:213]
	v_fma_f64 v[212:213], -v[204:205], v[210:211], 1.0
	v_fmac_f64_e32 v[210:211], v[210:211], v[212:213]
	v_div_scale_f64 v[212:213], vcc, 1.0, v[208:209], 1.0
	v_mul_f64 v[214:215], v[212:213], v[210:211]
	v_fma_f64 v[204:205], -v[204:205], v[214:215], v[212:213]
	s_nop 1
	v_div_fmas_f64 v[204:205], v[204:205], v[210:211], v[214:215]
	v_div_fixup_f64 v[204:205], v[204:205], v[208:209], 1.0
	v_mul_f64 v[206:207], v[206:207], -v[204:205]
.LBB111_232:
	s_or_b64 exec, exec, s[2:3]
	ds_write2_b64 v201, v[204:205], v[206:207] offset1:1
.LBB111_233:
	s_or_b64 exec, exec, s[4:5]
	s_waitcnt lgkmcnt(0)
	s_barrier
	ds_read2_b64 v[192:195], v201 offset1:1
	v_cmp_lt_u32_e32 vcc, 25, v200
	s_waitcnt lgkmcnt(0)
	scratch_store_dwordx4 off, v[192:195], off offset:944 ; 16-byte Folded Spill
	s_and_saveexec_b64 s[2:3], vcc
	s_cbranch_execz .LBB111_235
; %bb.234:
	scratch_load_dwordx4 v[192:195], off, off offset:944 ; 16-byte Folded Reload
	s_waitcnt vmcnt(0)
	v_mul_f64 v[204:205], v[194:195], v[118:119]
	v_fma_f64 v[208:209], v[192:193], v[116:117], -v[204:205]
	ds_read2_b64 v[204:207], v202 offset0:52 offset1:53
	v_mul_f64 v[118:119], v[192:193], v[118:119]
	v_fmac_f64_e32 v[118:119], v[194:195], v[116:117]
	s_waitcnt lgkmcnt(0)
	v_mul_f64 v[116:117], v[206:207], v[118:119]
	v_fma_f64 v[116:117], v[204:205], v[208:209], -v[116:117]
	v_mul_f64 v[204:205], v[204:205], v[118:119]
	v_fmac_f64_e32 v[204:205], v[206:207], v[208:209]
	v_add_f64 v[114:115], v[114:115], -v[204:205]
	ds_read2_b64 v[204:207], v202 offset0:54 offset1:55
	v_add_f64 v[112:113], v[112:113], -v[116:117]
	s_waitcnt lgkmcnt(0)
	v_mul_f64 v[116:117], v[206:207], v[118:119]
	v_fma_f64 v[116:117], v[204:205], v[208:209], -v[116:117]
	v_mul_f64 v[204:205], v[204:205], v[118:119]
	v_fmac_f64_e32 v[204:205], v[206:207], v[208:209]
	v_add_f64 v[110:111], v[110:111], -v[204:205]
	ds_read2_b64 v[204:207], v202 offset0:56 offset1:57
	v_add_f64 v[108:109], v[108:109], -v[116:117]
	;; [unrolled: 8-line block ×29, first 2 shown]
	s_waitcnt lgkmcnt(0)
	v_mul_f64 v[116:117], v[206:207], v[118:119]
	v_fma_f64 v[116:117], v[204:205], v[208:209], -v[116:117]
	v_mul_f64 v[204:205], v[204:205], v[118:119]
	v_fmac_f64_e32 v[204:205], v[206:207], v[208:209]
	v_add_f64 v[220:221], v[220:221], -v[116:117]
	v_add_f64 v[222:223], v[222:223], -v[204:205]
	v_mov_b64_e32 v[116:117], v[208:209]
.LBB111_235:
	s_or_b64 exec, exec, s[2:3]
	v_cmp_eq_u32_e32 vcc, 26, v200
	s_waitcnt vmcnt(63) expcnt(7) lgkmcnt(15)
	s_barrier
	s_and_saveexec_b64 s[4:5], vcc
	s_cbranch_execz .LBB111_242
; %bb.236:
	ds_write2_b64 v201, v[112:113], v[114:115] offset1:1
	ds_write2_b64 v202, v[108:109], v[110:111] offset0:54 offset1:55
	ds_write2_b64 v202, v[104:105], v[106:107] offset0:56 offset1:57
	;; [unrolled: 1-line block ×12, first 2 shown]
	s_waitcnt vmcnt(56)
	ds_write2_b64 v202, v[60:61], v[62:63] offset0:78 offset1:79
	s_waitcnt vmcnt(55)
	ds_write2_b64 v202, v[56:57], v[58:59] offset0:80 offset1:81
	;; [unrolled: 2-line block ×11, first 2 shown]
	ds_write2_b64 v202, v[16:17], v[18:19] offset0:100 offset1:101
	ds_write2_b64 v202, v[12:13], v[14:15] offset0:102 offset1:103
	;; [unrolled: 1-line block ×4, first 2 shown]
	s_waitcnt vmcnt(45)
	ds_write2_b64 v202, v[0:1], v[2:3] offset0:108 offset1:109
	s_waitcnt vmcnt(42)
	ds_write2_b64 v202, v[220:221], v[222:223] offset0:110 offset1:111
	ds_read2_b64 v[208:211], v201 offset1:1
	s_waitcnt lgkmcnt(0)
	v_cmp_neq_f64_e32 vcc, 0, v[208:209]
	v_cmp_neq_f64_e64 s[2:3], 0, v[210:211]
	s_or_b64 s[2:3], vcc, s[2:3]
	s_and_b64 exec, exec, s[2:3]
	s_cbranch_execz .LBB111_242
; %bb.237:
	v_cmp_ngt_f64_e64 s[2:3], |v[208:209]|, |v[210:211]|
                                        ; implicit-def: $vgpr204_vgpr205
	s_and_saveexec_b64 s[10:11], s[2:3]
	s_xor_b64 s[2:3], exec, s[10:11]
                                        ; implicit-def: $vgpr206_vgpr207
	s_cbranch_execz .LBB111_239
; %bb.238:
	v_div_scale_f64 v[204:205], s[10:11], v[210:211], v[210:211], v[208:209]
	v_rcp_f64_e32 v[206:207], v[204:205]
	v_div_scale_f64 v[212:213], vcc, v[208:209], v[210:211], v[208:209]
	v_fma_f64 v[214:215], -v[204:205], v[206:207], 1.0
	v_fmac_f64_e32 v[206:207], v[206:207], v[214:215]
	v_fma_f64 v[214:215], -v[204:205], v[206:207], 1.0
	v_fmac_f64_e32 v[206:207], v[206:207], v[214:215]
	v_mul_f64 v[214:215], v[212:213], v[206:207]
	v_fma_f64 v[204:205], -v[204:205], v[214:215], v[212:213]
	v_div_fmas_f64 v[204:205], v[204:205], v[206:207], v[214:215]
	v_div_fixup_f64 v[204:205], v[204:205], v[210:211], v[208:209]
	v_fmac_f64_e32 v[210:211], v[208:209], v[204:205]
	v_div_scale_f64 v[206:207], s[10:11], v[210:211], v[210:211], 1.0
	v_rcp_f64_e32 v[208:209], v[206:207]
	s_nop 0
	v_fma_f64 v[212:213], -v[206:207], v[208:209], 1.0
	v_fmac_f64_e32 v[208:209], v[208:209], v[212:213]
	v_fma_f64 v[212:213], -v[206:207], v[208:209], 1.0
	v_fmac_f64_e32 v[208:209], v[208:209], v[212:213]
	v_div_scale_f64 v[212:213], vcc, 1.0, v[210:211], 1.0
	v_mul_f64 v[214:215], v[212:213], v[208:209]
	v_fma_f64 v[206:207], -v[206:207], v[214:215], v[212:213]
	s_nop 1
	v_div_fmas_f64 v[206:207], v[206:207], v[208:209], v[214:215]
	v_div_fixup_f64 v[206:207], v[206:207], v[210:211], 1.0
	v_mul_f64 v[204:205], v[204:205], v[206:207]
	v_xor_b32_e32 v207, 0x80000000, v207
                                        ; implicit-def: $vgpr208_vgpr209
.LBB111_239:
	s_andn2_saveexec_b64 s[2:3], s[2:3]
	s_cbranch_execz .LBB111_241
; %bb.240:
	v_div_scale_f64 v[204:205], s[10:11], v[208:209], v[208:209], v[210:211]
	v_rcp_f64_e32 v[206:207], v[204:205]
	v_div_scale_f64 v[212:213], vcc, v[210:211], v[208:209], v[210:211]
	v_fma_f64 v[214:215], -v[204:205], v[206:207], 1.0
	v_fmac_f64_e32 v[206:207], v[206:207], v[214:215]
	v_fma_f64 v[214:215], -v[204:205], v[206:207], 1.0
	v_fmac_f64_e32 v[206:207], v[206:207], v[214:215]
	v_mul_f64 v[214:215], v[212:213], v[206:207]
	v_fma_f64 v[204:205], -v[204:205], v[214:215], v[212:213]
	v_div_fmas_f64 v[204:205], v[204:205], v[206:207], v[214:215]
	v_div_fixup_f64 v[206:207], v[204:205], v[208:209], v[210:211]
	v_fmac_f64_e32 v[208:209], v[210:211], v[206:207]
	v_div_scale_f64 v[204:205], s[10:11], v[208:209], v[208:209], 1.0
	v_rcp_f64_e32 v[210:211], v[204:205]
	s_nop 0
	v_fma_f64 v[212:213], -v[204:205], v[210:211], 1.0
	v_fmac_f64_e32 v[210:211], v[210:211], v[212:213]
	v_fma_f64 v[212:213], -v[204:205], v[210:211], 1.0
	v_fmac_f64_e32 v[210:211], v[210:211], v[212:213]
	v_div_scale_f64 v[212:213], vcc, 1.0, v[208:209], 1.0
	v_mul_f64 v[214:215], v[212:213], v[210:211]
	v_fma_f64 v[204:205], -v[204:205], v[214:215], v[212:213]
	s_nop 1
	v_div_fmas_f64 v[204:205], v[204:205], v[210:211], v[214:215]
	v_div_fixup_f64 v[204:205], v[204:205], v[208:209], 1.0
	v_mul_f64 v[206:207], v[206:207], -v[204:205]
.LBB111_241:
	s_or_b64 exec, exec, s[2:3]
	ds_write2_b64 v201, v[204:205], v[206:207] offset1:1
.LBB111_242:
	s_or_b64 exec, exec, s[4:5]
	s_waitcnt lgkmcnt(0)
	s_barrier
	ds_read2_b64 v[192:195], v201 offset1:1
	v_cmp_lt_u32_e32 vcc, 26, v200
	s_waitcnt lgkmcnt(0)
	scratch_store_dwordx4 off, v[192:195], off offset:960 ; 16-byte Folded Spill
	s_and_saveexec_b64 s[2:3], vcc
	s_cbranch_execz .LBB111_244
; %bb.243:
	scratch_load_dwordx4 v[192:195], off, off offset:960 ; 16-byte Folded Reload
	s_waitcnt vmcnt(0)
	v_mul_f64 v[204:205], v[194:195], v[114:115]
	v_fma_f64 v[208:209], v[192:193], v[112:113], -v[204:205]
	ds_read2_b64 v[204:207], v202 offset0:54 offset1:55
	v_mul_f64 v[114:115], v[192:193], v[114:115]
	v_fmac_f64_e32 v[114:115], v[194:195], v[112:113]
	s_waitcnt lgkmcnt(0)
	v_mul_f64 v[112:113], v[206:207], v[114:115]
	v_fma_f64 v[112:113], v[204:205], v[208:209], -v[112:113]
	v_mul_f64 v[204:205], v[204:205], v[114:115]
	v_fmac_f64_e32 v[204:205], v[206:207], v[208:209]
	v_add_f64 v[110:111], v[110:111], -v[204:205]
	ds_read2_b64 v[204:207], v202 offset0:56 offset1:57
	v_add_f64 v[108:109], v[108:109], -v[112:113]
	s_waitcnt lgkmcnt(0)
	v_mul_f64 v[112:113], v[206:207], v[114:115]
	v_fma_f64 v[112:113], v[204:205], v[208:209], -v[112:113]
	v_mul_f64 v[204:205], v[204:205], v[114:115]
	v_fmac_f64_e32 v[204:205], v[206:207], v[208:209]
	v_add_f64 v[106:107], v[106:107], -v[204:205]
	ds_read2_b64 v[204:207], v202 offset0:58 offset1:59
	v_add_f64 v[104:105], v[104:105], -v[112:113]
	;; [unrolled: 8-line block ×28, first 2 shown]
	s_waitcnt lgkmcnt(0)
	v_mul_f64 v[112:113], v[206:207], v[114:115]
	v_fma_f64 v[112:113], v[204:205], v[208:209], -v[112:113]
	v_mul_f64 v[204:205], v[204:205], v[114:115]
	v_fmac_f64_e32 v[204:205], v[206:207], v[208:209]
	v_add_f64 v[220:221], v[220:221], -v[112:113]
	v_add_f64 v[222:223], v[222:223], -v[204:205]
	v_mov_b64_e32 v[112:113], v[208:209]
.LBB111_244:
	s_or_b64 exec, exec, s[2:3]
	v_cmp_eq_u32_e32 vcc, 27, v200
	s_waitcnt vmcnt(63) expcnt(7) lgkmcnt(15)
	s_barrier
	s_and_saveexec_b64 s[4:5], vcc
	s_cbranch_execz .LBB111_251
; %bb.245:
	ds_write2_b64 v201, v[108:109], v[110:111] offset1:1
	ds_write2_b64 v202, v[104:105], v[106:107] offset0:56 offset1:57
	ds_write2_b64 v202, v[100:101], v[102:103] offset0:58 offset1:59
	;; [unrolled: 1-line block ×11, first 2 shown]
	s_waitcnt vmcnt(57)
	ds_write2_b64 v202, v[60:61], v[62:63] offset0:78 offset1:79
	s_waitcnt vmcnt(56)
	ds_write2_b64 v202, v[56:57], v[58:59] offset0:80 offset1:81
	;; [unrolled: 2-line block ×11, first 2 shown]
	ds_write2_b64 v202, v[16:17], v[18:19] offset0:100 offset1:101
	ds_write2_b64 v202, v[12:13], v[14:15] offset0:102 offset1:103
	;; [unrolled: 1-line block ×4, first 2 shown]
	s_waitcnt vmcnt(46)
	ds_write2_b64 v202, v[0:1], v[2:3] offset0:108 offset1:109
	s_waitcnt vmcnt(43)
	ds_write2_b64 v202, v[220:221], v[222:223] offset0:110 offset1:111
	ds_read2_b64 v[208:211], v201 offset1:1
	s_waitcnt lgkmcnt(0)
	v_cmp_neq_f64_e32 vcc, 0, v[208:209]
	v_cmp_neq_f64_e64 s[2:3], 0, v[210:211]
	s_or_b64 s[2:3], vcc, s[2:3]
	s_and_b64 exec, exec, s[2:3]
	s_cbranch_execz .LBB111_251
; %bb.246:
	v_cmp_ngt_f64_e64 s[2:3], |v[208:209]|, |v[210:211]|
                                        ; implicit-def: $vgpr204_vgpr205
	s_and_saveexec_b64 s[10:11], s[2:3]
	s_xor_b64 s[2:3], exec, s[10:11]
                                        ; implicit-def: $vgpr206_vgpr207
	s_cbranch_execz .LBB111_248
; %bb.247:
	v_div_scale_f64 v[204:205], s[10:11], v[210:211], v[210:211], v[208:209]
	v_rcp_f64_e32 v[206:207], v[204:205]
	v_div_scale_f64 v[212:213], vcc, v[208:209], v[210:211], v[208:209]
	v_fma_f64 v[214:215], -v[204:205], v[206:207], 1.0
	v_fmac_f64_e32 v[206:207], v[206:207], v[214:215]
	v_fma_f64 v[214:215], -v[204:205], v[206:207], 1.0
	v_fmac_f64_e32 v[206:207], v[206:207], v[214:215]
	v_mul_f64 v[214:215], v[212:213], v[206:207]
	v_fma_f64 v[204:205], -v[204:205], v[214:215], v[212:213]
	v_div_fmas_f64 v[204:205], v[204:205], v[206:207], v[214:215]
	v_div_fixup_f64 v[204:205], v[204:205], v[210:211], v[208:209]
	v_fmac_f64_e32 v[210:211], v[208:209], v[204:205]
	v_div_scale_f64 v[206:207], s[10:11], v[210:211], v[210:211], 1.0
	v_rcp_f64_e32 v[208:209], v[206:207]
	s_nop 0
	v_fma_f64 v[212:213], -v[206:207], v[208:209], 1.0
	v_fmac_f64_e32 v[208:209], v[208:209], v[212:213]
	v_fma_f64 v[212:213], -v[206:207], v[208:209], 1.0
	v_fmac_f64_e32 v[208:209], v[208:209], v[212:213]
	v_div_scale_f64 v[212:213], vcc, 1.0, v[210:211], 1.0
	v_mul_f64 v[214:215], v[212:213], v[208:209]
	v_fma_f64 v[206:207], -v[206:207], v[214:215], v[212:213]
	s_nop 1
	v_div_fmas_f64 v[206:207], v[206:207], v[208:209], v[214:215]
	v_div_fixup_f64 v[206:207], v[206:207], v[210:211], 1.0
	v_mul_f64 v[204:205], v[204:205], v[206:207]
	v_xor_b32_e32 v207, 0x80000000, v207
                                        ; implicit-def: $vgpr208_vgpr209
.LBB111_248:
	s_andn2_saveexec_b64 s[2:3], s[2:3]
	s_cbranch_execz .LBB111_250
; %bb.249:
	v_div_scale_f64 v[204:205], s[10:11], v[208:209], v[208:209], v[210:211]
	v_rcp_f64_e32 v[206:207], v[204:205]
	v_div_scale_f64 v[212:213], vcc, v[210:211], v[208:209], v[210:211]
	v_fma_f64 v[214:215], -v[204:205], v[206:207], 1.0
	v_fmac_f64_e32 v[206:207], v[206:207], v[214:215]
	v_fma_f64 v[214:215], -v[204:205], v[206:207], 1.0
	v_fmac_f64_e32 v[206:207], v[206:207], v[214:215]
	v_mul_f64 v[214:215], v[212:213], v[206:207]
	v_fma_f64 v[204:205], -v[204:205], v[214:215], v[212:213]
	v_div_fmas_f64 v[204:205], v[204:205], v[206:207], v[214:215]
	v_div_fixup_f64 v[206:207], v[204:205], v[208:209], v[210:211]
	v_fmac_f64_e32 v[208:209], v[210:211], v[206:207]
	v_div_scale_f64 v[204:205], s[10:11], v[208:209], v[208:209], 1.0
	v_rcp_f64_e32 v[210:211], v[204:205]
	s_nop 0
	v_fma_f64 v[212:213], -v[204:205], v[210:211], 1.0
	v_fmac_f64_e32 v[210:211], v[210:211], v[212:213]
	v_fma_f64 v[212:213], -v[204:205], v[210:211], 1.0
	v_fmac_f64_e32 v[210:211], v[210:211], v[212:213]
	v_div_scale_f64 v[212:213], vcc, 1.0, v[208:209], 1.0
	v_mul_f64 v[214:215], v[212:213], v[210:211]
	v_fma_f64 v[204:205], -v[204:205], v[214:215], v[212:213]
	s_nop 1
	v_div_fmas_f64 v[204:205], v[204:205], v[210:211], v[214:215]
	v_div_fixup_f64 v[204:205], v[204:205], v[208:209], 1.0
	v_mul_f64 v[206:207], v[206:207], -v[204:205]
.LBB111_250:
	s_or_b64 exec, exec, s[2:3]
	ds_write2_b64 v201, v[204:205], v[206:207] offset1:1
.LBB111_251:
	s_or_b64 exec, exec, s[4:5]
	s_waitcnt lgkmcnt(0)
	s_barrier
	ds_read2_b64 v[192:195], v201 offset1:1
	v_cmp_lt_u32_e32 vcc, 27, v200
	s_waitcnt lgkmcnt(0)
	scratch_store_dwordx4 off, v[192:195], off offset:976 ; 16-byte Folded Spill
	s_and_saveexec_b64 s[2:3], vcc
	s_cbranch_execz .LBB111_253
; %bb.252:
	scratch_load_dwordx4 v[192:195], off, off offset:976 ; 16-byte Folded Reload
	s_waitcnt vmcnt(0)
	v_mul_f64 v[204:205], v[194:195], v[110:111]
	v_fma_f64 v[208:209], v[192:193], v[108:109], -v[204:205]
	ds_read2_b64 v[204:207], v202 offset0:56 offset1:57
	v_mul_f64 v[110:111], v[192:193], v[110:111]
	v_fmac_f64_e32 v[110:111], v[194:195], v[108:109]
	s_waitcnt lgkmcnt(0)
	v_mul_f64 v[108:109], v[206:207], v[110:111]
	v_fma_f64 v[108:109], v[204:205], v[208:209], -v[108:109]
	v_mul_f64 v[204:205], v[204:205], v[110:111]
	v_fmac_f64_e32 v[204:205], v[206:207], v[208:209]
	v_add_f64 v[106:107], v[106:107], -v[204:205]
	ds_read2_b64 v[204:207], v202 offset0:58 offset1:59
	v_add_f64 v[104:105], v[104:105], -v[108:109]
	s_waitcnt lgkmcnt(0)
	v_mul_f64 v[108:109], v[206:207], v[110:111]
	v_fma_f64 v[108:109], v[204:205], v[208:209], -v[108:109]
	v_mul_f64 v[204:205], v[204:205], v[110:111]
	v_fmac_f64_e32 v[204:205], v[206:207], v[208:209]
	v_add_f64 v[102:103], v[102:103], -v[204:205]
	ds_read2_b64 v[204:207], v202 offset0:60 offset1:61
	v_add_f64 v[100:101], v[100:101], -v[108:109]
	;; [unrolled: 8-line block ×27, first 2 shown]
	s_waitcnt lgkmcnt(0)
	v_mul_f64 v[108:109], v[206:207], v[110:111]
	v_fma_f64 v[108:109], v[204:205], v[208:209], -v[108:109]
	v_mul_f64 v[204:205], v[204:205], v[110:111]
	v_fmac_f64_e32 v[204:205], v[206:207], v[208:209]
	v_add_f64 v[220:221], v[220:221], -v[108:109]
	v_add_f64 v[222:223], v[222:223], -v[204:205]
	v_mov_b64_e32 v[108:109], v[208:209]
.LBB111_253:
	s_or_b64 exec, exec, s[2:3]
	v_cmp_eq_u32_e32 vcc, 28, v200
	s_waitcnt vmcnt(63) expcnt(7) lgkmcnt(15)
	s_barrier
	s_and_saveexec_b64 s[4:5], vcc
	s_cbranch_execz .LBB111_260
; %bb.254:
	ds_write2_b64 v201, v[104:105], v[106:107] offset1:1
	ds_write2_b64 v202, v[100:101], v[102:103] offset0:58 offset1:59
	ds_write2_b64 v202, v[96:97], v[98:99] offset0:60 offset1:61
	;; [unrolled: 1-line block ×10, first 2 shown]
	s_waitcnt vmcnt(58)
	ds_write2_b64 v202, v[60:61], v[62:63] offset0:78 offset1:79
	s_waitcnt vmcnt(57)
	ds_write2_b64 v202, v[56:57], v[58:59] offset0:80 offset1:81
	;; [unrolled: 2-line block ×11, first 2 shown]
	ds_write2_b64 v202, v[16:17], v[18:19] offset0:100 offset1:101
	ds_write2_b64 v202, v[12:13], v[14:15] offset0:102 offset1:103
	;; [unrolled: 1-line block ×4, first 2 shown]
	s_waitcnt vmcnt(47)
	ds_write2_b64 v202, v[0:1], v[2:3] offset0:108 offset1:109
	s_waitcnt vmcnt(44)
	ds_write2_b64 v202, v[220:221], v[222:223] offset0:110 offset1:111
	ds_read2_b64 v[208:211], v201 offset1:1
	s_waitcnt lgkmcnt(0)
	v_cmp_neq_f64_e32 vcc, 0, v[208:209]
	v_cmp_neq_f64_e64 s[2:3], 0, v[210:211]
	s_or_b64 s[2:3], vcc, s[2:3]
	s_and_b64 exec, exec, s[2:3]
	s_cbranch_execz .LBB111_260
; %bb.255:
	v_cmp_ngt_f64_e64 s[2:3], |v[208:209]|, |v[210:211]|
                                        ; implicit-def: $vgpr204_vgpr205
	s_and_saveexec_b64 s[10:11], s[2:3]
	s_xor_b64 s[2:3], exec, s[10:11]
                                        ; implicit-def: $vgpr206_vgpr207
	s_cbranch_execz .LBB111_257
; %bb.256:
	v_div_scale_f64 v[204:205], s[10:11], v[210:211], v[210:211], v[208:209]
	v_rcp_f64_e32 v[206:207], v[204:205]
	v_div_scale_f64 v[212:213], vcc, v[208:209], v[210:211], v[208:209]
	v_fma_f64 v[214:215], -v[204:205], v[206:207], 1.0
	v_fmac_f64_e32 v[206:207], v[206:207], v[214:215]
	v_fma_f64 v[214:215], -v[204:205], v[206:207], 1.0
	v_fmac_f64_e32 v[206:207], v[206:207], v[214:215]
	v_mul_f64 v[214:215], v[212:213], v[206:207]
	v_fma_f64 v[204:205], -v[204:205], v[214:215], v[212:213]
	v_div_fmas_f64 v[204:205], v[204:205], v[206:207], v[214:215]
	v_div_fixup_f64 v[204:205], v[204:205], v[210:211], v[208:209]
	v_fmac_f64_e32 v[210:211], v[208:209], v[204:205]
	v_div_scale_f64 v[206:207], s[10:11], v[210:211], v[210:211], 1.0
	v_rcp_f64_e32 v[208:209], v[206:207]
	s_nop 0
	v_fma_f64 v[212:213], -v[206:207], v[208:209], 1.0
	v_fmac_f64_e32 v[208:209], v[208:209], v[212:213]
	v_fma_f64 v[212:213], -v[206:207], v[208:209], 1.0
	v_fmac_f64_e32 v[208:209], v[208:209], v[212:213]
	v_div_scale_f64 v[212:213], vcc, 1.0, v[210:211], 1.0
	v_mul_f64 v[214:215], v[212:213], v[208:209]
	v_fma_f64 v[206:207], -v[206:207], v[214:215], v[212:213]
	s_nop 1
	v_div_fmas_f64 v[206:207], v[206:207], v[208:209], v[214:215]
	v_div_fixup_f64 v[206:207], v[206:207], v[210:211], 1.0
	v_mul_f64 v[204:205], v[204:205], v[206:207]
	v_xor_b32_e32 v207, 0x80000000, v207
                                        ; implicit-def: $vgpr208_vgpr209
.LBB111_257:
	s_andn2_saveexec_b64 s[2:3], s[2:3]
	s_cbranch_execz .LBB111_259
; %bb.258:
	v_div_scale_f64 v[204:205], s[10:11], v[208:209], v[208:209], v[210:211]
	v_rcp_f64_e32 v[206:207], v[204:205]
	v_div_scale_f64 v[212:213], vcc, v[210:211], v[208:209], v[210:211]
	v_fma_f64 v[214:215], -v[204:205], v[206:207], 1.0
	v_fmac_f64_e32 v[206:207], v[206:207], v[214:215]
	v_fma_f64 v[214:215], -v[204:205], v[206:207], 1.0
	v_fmac_f64_e32 v[206:207], v[206:207], v[214:215]
	v_mul_f64 v[214:215], v[212:213], v[206:207]
	v_fma_f64 v[204:205], -v[204:205], v[214:215], v[212:213]
	v_div_fmas_f64 v[204:205], v[204:205], v[206:207], v[214:215]
	v_div_fixup_f64 v[206:207], v[204:205], v[208:209], v[210:211]
	v_fmac_f64_e32 v[208:209], v[210:211], v[206:207]
	v_div_scale_f64 v[204:205], s[10:11], v[208:209], v[208:209], 1.0
	v_rcp_f64_e32 v[210:211], v[204:205]
	s_nop 0
	v_fma_f64 v[212:213], -v[204:205], v[210:211], 1.0
	v_fmac_f64_e32 v[210:211], v[210:211], v[212:213]
	v_fma_f64 v[212:213], -v[204:205], v[210:211], 1.0
	v_fmac_f64_e32 v[210:211], v[210:211], v[212:213]
	v_div_scale_f64 v[212:213], vcc, 1.0, v[208:209], 1.0
	v_mul_f64 v[214:215], v[212:213], v[210:211]
	v_fma_f64 v[204:205], -v[204:205], v[214:215], v[212:213]
	s_nop 1
	v_div_fmas_f64 v[204:205], v[204:205], v[210:211], v[214:215]
	v_div_fixup_f64 v[204:205], v[204:205], v[208:209], 1.0
	v_mul_f64 v[206:207], v[206:207], -v[204:205]
.LBB111_259:
	s_or_b64 exec, exec, s[2:3]
	ds_write2_b64 v201, v[204:205], v[206:207] offset1:1
.LBB111_260:
	s_or_b64 exec, exec, s[4:5]
	s_waitcnt lgkmcnt(0)
	s_barrier
	ds_read2_b64 v[192:195], v201 offset1:1
	v_cmp_lt_u32_e32 vcc, 28, v200
	s_waitcnt lgkmcnt(0)
	scratch_store_dwordx4 off, v[192:195], off offset:992 ; 16-byte Folded Spill
	s_and_saveexec_b64 s[2:3], vcc
	s_cbranch_execz .LBB111_262
; %bb.261:
	scratch_load_dwordx4 v[192:195], off, off offset:992 ; 16-byte Folded Reload
	s_waitcnt vmcnt(0)
	v_mul_f64 v[204:205], v[194:195], v[106:107]
	v_fma_f64 v[208:209], v[192:193], v[104:105], -v[204:205]
	ds_read2_b64 v[204:207], v202 offset0:58 offset1:59
	v_mul_f64 v[106:107], v[192:193], v[106:107]
	v_fmac_f64_e32 v[106:107], v[194:195], v[104:105]
	s_waitcnt lgkmcnt(0)
	v_mul_f64 v[104:105], v[206:207], v[106:107]
	v_fma_f64 v[104:105], v[204:205], v[208:209], -v[104:105]
	v_mul_f64 v[204:205], v[204:205], v[106:107]
	v_fmac_f64_e32 v[204:205], v[206:207], v[208:209]
	v_add_f64 v[102:103], v[102:103], -v[204:205]
	ds_read2_b64 v[204:207], v202 offset0:60 offset1:61
	v_add_f64 v[100:101], v[100:101], -v[104:105]
	s_waitcnt lgkmcnt(0)
	v_mul_f64 v[104:105], v[206:207], v[106:107]
	v_fma_f64 v[104:105], v[204:205], v[208:209], -v[104:105]
	v_mul_f64 v[204:205], v[204:205], v[106:107]
	v_fmac_f64_e32 v[204:205], v[206:207], v[208:209]
	v_add_f64 v[98:99], v[98:99], -v[204:205]
	ds_read2_b64 v[204:207], v202 offset0:62 offset1:63
	v_add_f64 v[96:97], v[96:97], -v[104:105]
	;; [unrolled: 8-line block ×26, first 2 shown]
	s_waitcnt lgkmcnt(0)
	v_mul_f64 v[104:105], v[206:207], v[106:107]
	v_fma_f64 v[104:105], v[204:205], v[208:209], -v[104:105]
	v_mul_f64 v[204:205], v[204:205], v[106:107]
	v_fmac_f64_e32 v[204:205], v[206:207], v[208:209]
	v_add_f64 v[220:221], v[220:221], -v[104:105]
	v_add_f64 v[222:223], v[222:223], -v[204:205]
	v_mov_b64_e32 v[104:105], v[208:209]
.LBB111_262:
	s_or_b64 exec, exec, s[2:3]
	v_cmp_eq_u32_e32 vcc, 29, v200
	s_waitcnt vmcnt(63) expcnt(7) lgkmcnt(15)
	s_barrier
	s_and_saveexec_b64 s[4:5], vcc
	s_cbranch_execz .LBB111_269
; %bb.263:
	ds_write2_b64 v201, v[100:101], v[102:103] offset1:1
	ds_write2_b64 v202, v[96:97], v[98:99] offset0:60 offset1:61
	ds_write2_b64 v202, v[92:93], v[94:95] offset0:62 offset1:63
	;; [unrolled: 1-line block ×9, first 2 shown]
	s_waitcnt vmcnt(59)
	ds_write2_b64 v202, v[60:61], v[62:63] offset0:78 offset1:79
	s_waitcnt vmcnt(58)
	ds_write2_b64 v202, v[56:57], v[58:59] offset0:80 offset1:81
	;; [unrolled: 2-line block ×11, first 2 shown]
	ds_write2_b64 v202, v[16:17], v[18:19] offset0:100 offset1:101
	ds_write2_b64 v202, v[12:13], v[14:15] offset0:102 offset1:103
	ds_write2_b64 v202, v[8:9], v[10:11] offset0:104 offset1:105
	ds_write2_b64 v202, v[4:5], v[6:7] offset0:106 offset1:107
	s_waitcnt vmcnt(48)
	ds_write2_b64 v202, v[0:1], v[2:3] offset0:108 offset1:109
	s_waitcnt vmcnt(45)
	ds_write2_b64 v202, v[220:221], v[222:223] offset0:110 offset1:111
	ds_read2_b64 v[208:211], v201 offset1:1
	s_waitcnt lgkmcnt(0)
	v_cmp_neq_f64_e32 vcc, 0, v[208:209]
	v_cmp_neq_f64_e64 s[2:3], 0, v[210:211]
	s_or_b64 s[2:3], vcc, s[2:3]
	s_and_b64 exec, exec, s[2:3]
	s_cbranch_execz .LBB111_269
; %bb.264:
	v_cmp_ngt_f64_e64 s[2:3], |v[208:209]|, |v[210:211]|
                                        ; implicit-def: $vgpr204_vgpr205
	s_and_saveexec_b64 s[10:11], s[2:3]
	s_xor_b64 s[2:3], exec, s[10:11]
                                        ; implicit-def: $vgpr206_vgpr207
	s_cbranch_execz .LBB111_266
; %bb.265:
	v_div_scale_f64 v[204:205], s[10:11], v[210:211], v[210:211], v[208:209]
	v_rcp_f64_e32 v[206:207], v[204:205]
	v_div_scale_f64 v[212:213], vcc, v[208:209], v[210:211], v[208:209]
	v_fma_f64 v[214:215], -v[204:205], v[206:207], 1.0
	v_fmac_f64_e32 v[206:207], v[206:207], v[214:215]
	v_fma_f64 v[214:215], -v[204:205], v[206:207], 1.0
	v_fmac_f64_e32 v[206:207], v[206:207], v[214:215]
	v_mul_f64 v[214:215], v[212:213], v[206:207]
	v_fma_f64 v[204:205], -v[204:205], v[214:215], v[212:213]
	v_div_fmas_f64 v[204:205], v[204:205], v[206:207], v[214:215]
	v_div_fixup_f64 v[204:205], v[204:205], v[210:211], v[208:209]
	v_fmac_f64_e32 v[210:211], v[208:209], v[204:205]
	v_div_scale_f64 v[206:207], s[10:11], v[210:211], v[210:211], 1.0
	v_rcp_f64_e32 v[208:209], v[206:207]
	s_nop 0
	v_fma_f64 v[212:213], -v[206:207], v[208:209], 1.0
	v_fmac_f64_e32 v[208:209], v[208:209], v[212:213]
	v_fma_f64 v[212:213], -v[206:207], v[208:209], 1.0
	v_fmac_f64_e32 v[208:209], v[208:209], v[212:213]
	v_div_scale_f64 v[212:213], vcc, 1.0, v[210:211], 1.0
	v_mul_f64 v[214:215], v[212:213], v[208:209]
	v_fma_f64 v[206:207], -v[206:207], v[214:215], v[212:213]
	s_nop 1
	v_div_fmas_f64 v[206:207], v[206:207], v[208:209], v[214:215]
	v_div_fixup_f64 v[206:207], v[206:207], v[210:211], 1.0
	v_mul_f64 v[204:205], v[204:205], v[206:207]
	v_xor_b32_e32 v207, 0x80000000, v207
                                        ; implicit-def: $vgpr208_vgpr209
.LBB111_266:
	s_andn2_saveexec_b64 s[2:3], s[2:3]
	s_cbranch_execz .LBB111_268
; %bb.267:
	v_div_scale_f64 v[204:205], s[10:11], v[208:209], v[208:209], v[210:211]
	v_rcp_f64_e32 v[206:207], v[204:205]
	v_div_scale_f64 v[212:213], vcc, v[210:211], v[208:209], v[210:211]
	v_fma_f64 v[214:215], -v[204:205], v[206:207], 1.0
	v_fmac_f64_e32 v[206:207], v[206:207], v[214:215]
	v_fma_f64 v[214:215], -v[204:205], v[206:207], 1.0
	v_fmac_f64_e32 v[206:207], v[206:207], v[214:215]
	v_mul_f64 v[214:215], v[212:213], v[206:207]
	v_fma_f64 v[204:205], -v[204:205], v[214:215], v[212:213]
	v_div_fmas_f64 v[204:205], v[204:205], v[206:207], v[214:215]
	v_div_fixup_f64 v[206:207], v[204:205], v[208:209], v[210:211]
	v_fmac_f64_e32 v[208:209], v[210:211], v[206:207]
	v_div_scale_f64 v[204:205], s[10:11], v[208:209], v[208:209], 1.0
	v_rcp_f64_e32 v[210:211], v[204:205]
	s_nop 0
	v_fma_f64 v[212:213], -v[204:205], v[210:211], 1.0
	v_fmac_f64_e32 v[210:211], v[210:211], v[212:213]
	v_fma_f64 v[212:213], -v[204:205], v[210:211], 1.0
	v_fmac_f64_e32 v[210:211], v[210:211], v[212:213]
	v_div_scale_f64 v[212:213], vcc, 1.0, v[208:209], 1.0
	v_mul_f64 v[214:215], v[212:213], v[210:211]
	v_fma_f64 v[204:205], -v[204:205], v[214:215], v[212:213]
	s_nop 1
	v_div_fmas_f64 v[204:205], v[204:205], v[210:211], v[214:215]
	v_div_fixup_f64 v[204:205], v[204:205], v[208:209], 1.0
	v_mul_f64 v[206:207], v[206:207], -v[204:205]
.LBB111_268:
	s_or_b64 exec, exec, s[2:3]
	ds_write2_b64 v201, v[204:205], v[206:207] offset1:1
.LBB111_269:
	s_or_b64 exec, exec, s[4:5]
	s_waitcnt lgkmcnt(0)
	s_barrier
	ds_read2_b64 v[192:195], v201 offset1:1
	v_cmp_lt_u32_e32 vcc, 29, v200
	s_waitcnt lgkmcnt(0)
	scratch_store_dwordx4 off, v[192:195], off offset:1008 ; 16-byte Folded Spill
	s_and_saveexec_b64 s[2:3], vcc
	s_cbranch_execz .LBB111_271
; %bb.270:
	scratch_load_dwordx4 v[192:195], off, off offset:1008 ; 16-byte Folded Reload
	s_waitcnt vmcnt(0)
	v_mul_f64 v[204:205], v[194:195], v[102:103]
	v_fma_f64 v[208:209], v[192:193], v[100:101], -v[204:205]
	ds_read2_b64 v[204:207], v202 offset0:60 offset1:61
	v_mul_f64 v[102:103], v[192:193], v[102:103]
	v_fmac_f64_e32 v[102:103], v[194:195], v[100:101]
	s_waitcnt lgkmcnt(0)
	v_mul_f64 v[100:101], v[206:207], v[102:103]
	v_fma_f64 v[100:101], v[204:205], v[208:209], -v[100:101]
	v_mul_f64 v[204:205], v[204:205], v[102:103]
	v_fmac_f64_e32 v[204:205], v[206:207], v[208:209]
	v_add_f64 v[98:99], v[98:99], -v[204:205]
	ds_read2_b64 v[204:207], v202 offset0:62 offset1:63
	v_add_f64 v[96:97], v[96:97], -v[100:101]
	s_waitcnt lgkmcnt(0)
	v_mul_f64 v[100:101], v[206:207], v[102:103]
	v_fma_f64 v[100:101], v[204:205], v[208:209], -v[100:101]
	v_mul_f64 v[204:205], v[204:205], v[102:103]
	v_fmac_f64_e32 v[204:205], v[206:207], v[208:209]
	v_add_f64 v[94:95], v[94:95], -v[204:205]
	ds_read2_b64 v[204:207], v202 offset0:64 offset1:65
	v_add_f64 v[92:93], v[92:93], -v[100:101]
	;; [unrolled: 8-line block ×25, first 2 shown]
	s_waitcnt lgkmcnt(0)
	v_mul_f64 v[100:101], v[206:207], v[102:103]
	v_fma_f64 v[100:101], v[204:205], v[208:209], -v[100:101]
	v_mul_f64 v[204:205], v[204:205], v[102:103]
	v_fmac_f64_e32 v[204:205], v[206:207], v[208:209]
	v_add_f64 v[220:221], v[220:221], -v[100:101]
	v_add_f64 v[222:223], v[222:223], -v[204:205]
	v_mov_b64_e32 v[100:101], v[208:209]
.LBB111_271:
	s_or_b64 exec, exec, s[2:3]
	v_cmp_eq_u32_e32 vcc, 30, v200
	s_waitcnt vmcnt(63) expcnt(7) lgkmcnt(15)
	s_barrier
	s_and_saveexec_b64 s[4:5], vcc
	s_cbranch_execz .LBB111_278
; %bb.272:
	ds_write2_b64 v201, v[96:97], v[98:99] offset1:1
	ds_write2_b64 v202, v[92:93], v[94:95] offset0:62 offset1:63
	ds_write2_b64 v202, v[88:89], v[90:91] offset0:64 offset1:65
	;; [unrolled: 1-line block ×8, first 2 shown]
	s_waitcnt vmcnt(60)
	ds_write2_b64 v202, v[60:61], v[62:63] offset0:78 offset1:79
	s_waitcnt vmcnt(59)
	ds_write2_b64 v202, v[56:57], v[58:59] offset0:80 offset1:81
	;; [unrolled: 2-line block ×11, first 2 shown]
	ds_write2_b64 v202, v[16:17], v[18:19] offset0:100 offset1:101
	ds_write2_b64 v202, v[12:13], v[14:15] offset0:102 offset1:103
	;; [unrolled: 1-line block ×4, first 2 shown]
	s_waitcnt vmcnt(49)
	ds_write2_b64 v202, v[0:1], v[2:3] offset0:108 offset1:109
	s_waitcnt vmcnt(46)
	ds_write2_b64 v202, v[220:221], v[222:223] offset0:110 offset1:111
	ds_read2_b64 v[208:211], v201 offset1:1
	s_waitcnt lgkmcnt(0)
	v_cmp_neq_f64_e32 vcc, 0, v[208:209]
	v_cmp_neq_f64_e64 s[2:3], 0, v[210:211]
	s_or_b64 s[2:3], vcc, s[2:3]
	s_and_b64 exec, exec, s[2:3]
	s_cbranch_execz .LBB111_278
; %bb.273:
	v_cmp_ngt_f64_e64 s[2:3], |v[208:209]|, |v[210:211]|
                                        ; implicit-def: $vgpr204_vgpr205
	s_and_saveexec_b64 s[10:11], s[2:3]
	s_xor_b64 s[2:3], exec, s[10:11]
                                        ; implicit-def: $vgpr206_vgpr207
	s_cbranch_execz .LBB111_275
; %bb.274:
	v_div_scale_f64 v[204:205], s[10:11], v[210:211], v[210:211], v[208:209]
	v_rcp_f64_e32 v[206:207], v[204:205]
	v_div_scale_f64 v[212:213], vcc, v[208:209], v[210:211], v[208:209]
	v_fma_f64 v[214:215], -v[204:205], v[206:207], 1.0
	v_fmac_f64_e32 v[206:207], v[206:207], v[214:215]
	v_fma_f64 v[214:215], -v[204:205], v[206:207], 1.0
	v_fmac_f64_e32 v[206:207], v[206:207], v[214:215]
	v_mul_f64 v[214:215], v[212:213], v[206:207]
	v_fma_f64 v[204:205], -v[204:205], v[214:215], v[212:213]
	v_div_fmas_f64 v[204:205], v[204:205], v[206:207], v[214:215]
	v_div_fixup_f64 v[204:205], v[204:205], v[210:211], v[208:209]
	v_fmac_f64_e32 v[210:211], v[208:209], v[204:205]
	v_div_scale_f64 v[206:207], s[10:11], v[210:211], v[210:211], 1.0
	v_rcp_f64_e32 v[208:209], v[206:207]
	s_nop 0
	v_fma_f64 v[212:213], -v[206:207], v[208:209], 1.0
	v_fmac_f64_e32 v[208:209], v[208:209], v[212:213]
	v_fma_f64 v[212:213], -v[206:207], v[208:209], 1.0
	v_fmac_f64_e32 v[208:209], v[208:209], v[212:213]
	v_div_scale_f64 v[212:213], vcc, 1.0, v[210:211], 1.0
	v_mul_f64 v[214:215], v[212:213], v[208:209]
	v_fma_f64 v[206:207], -v[206:207], v[214:215], v[212:213]
	s_nop 1
	v_div_fmas_f64 v[206:207], v[206:207], v[208:209], v[214:215]
	v_div_fixup_f64 v[206:207], v[206:207], v[210:211], 1.0
	v_mul_f64 v[204:205], v[204:205], v[206:207]
	v_xor_b32_e32 v207, 0x80000000, v207
                                        ; implicit-def: $vgpr208_vgpr209
.LBB111_275:
	s_andn2_saveexec_b64 s[2:3], s[2:3]
	s_cbranch_execz .LBB111_277
; %bb.276:
	v_div_scale_f64 v[204:205], s[10:11], v[208:209], v[208:209], v[210:211]
	v_rcp_f64_e32 v[206:207], v[204:205]
	v_div_scale_f64 v[212:213], vcc, v[210:211], v[208:209], v[210:211]
	v_fma_f64 v[214:215], -v[204:205], v[206:207], 1.0
	v_fmac_f64_e32 v[206:207], v[206:207], v[214:215]
	v_fma_f64 v[214:215], -v[204:205], v[206:207], 1.0
	v_fmac_f64_e32 v[206:207], v[206:207], v[214:215]
	v_mul_f64 v[214:215], v[212:213], v[206:207]
	v_fma_f64 v[204:205], -v[204:205], v[214:215], v[212:213]
	v_div_fmas_f64 v[204:205], v[204:205], v[206:207], v[214:215]
	v_div_fixup_f64 v[206:207], v[204:205], v[208:209], v[210:211]
	v_fmac_f64_e32 v[208:209], v[210:211], v[206:207]
	v_div_scale_f64 v[204:205], s[10:11], v[208:209], v[208:209], 1.0
	v_rcp_f64_e32 v[210:211], v[204:205]
	s_nop 0
	v_fma_f64 v[212:213], -v[204:205], v[210:211], 1.0
	v_fmac_f64_e32 v[210:211], v[210:211], v[212:213]
	v_fma_f64 v[212:213], -v[204:205], v[210:211], 1.0
	v_fmac_f64_e32 v[210:211], v[210:211], v[212:213]
	v_div_scale_f64 v[212:213], vcc, 1.0, v[208:209], 1.0
	v_mul_f64 v[214:215], v[212:213], v[210:211]
	v_fma_f64 v[204:205], -v[204:205], v[214:215], v[212:213]
	s_nop 1
	v_div_fmas_f64 v[204:205], v[204:205], v[210:211], v[214:215]
	v_div_fixup_f64 v[204:205], v[204:205], v[208:209], 1.0
	v_mul_f64 v[206:207], v[206:207], -v[204:205]
.LBB111_277:
	s_or_b64 exec, exec, s[2:3]
	ds_write2_b64 v201, v[204:205], v[206:207] offset1:1
.LBB111_278:
	s_or_b64 exec, exec, s[4:5]
	s_waitcnt lgkmcnt(0)
	s_barrier
	ds_read2_b64 v[192:195], v201 offset1:1
	v_cmp_lt_u32_e32 vcc, 30, v200
	s_waitcnt lgkmcnt(0)
	scratch_store_dwordx4 off, v[192:195], off offset:1024 ; 16-byte Folded Spill
	s_and_saveexec_b64 s[2:3], vcc
	s_cbranch_execz .LBB111_280
; %bb.279:
	scratch_load_dwordx4 v[192:195], off, off offset:1024 ; 16-byte Folded Reload
	s_waitcnt vmcnt(0)
	v_mul_f64 v[204:205], v[194:195], v[98:99]
	v_fma_f64 v[208:209], v[192:193], v[96:97], -v[204:205]
	ds_read2_b64 v[204:207], v202 offset0:62 offset1:63
	v_mul_f64 v[98:99], v[192:193], v[98:99]
	v_fmac_f64_e32 v[98:99], v[194:195], v[96:97]
	s_waitcnt lgkmcnt(0)
	v_mul_f64 v[96:97], v[206:207], v[98:99]
	v_fma_f64 v[96:97], v[204:205], v[208:209], -v[96:97]
	v_mul_f64 v[204:205], v[204:205], v[98:99]
	v_fmac_f64_e32 v[204:205], v[206:207], v[208:209]
	v_add_f64 v[94:95], v[94:95], -v[204:205]
	ds_read2_b64 v[204:207], v202 offset0:64 offset1:65
	v_add_f64 v[92:93], v[92:93], -v[96:97]
	s_waitcnt lgkmcnt(0)
	v_mul_f64 v[96:97], v[206:207], v[98:99]
	v_fma_f64 v[96:97], v[204:205], v[208:209], -v[96:97]
	v_mul_f64 v[204:205], v[204:205], v[98:99]
	v_fmac_f64_e32 v[204:205], v[206:207], v[208:209]
	v_add_f64 v[90:91], v[90:91], -v[204:205]
	ds_read2_b64 v[204:207], v202 offset0:66 offset1:67
	v_add_f64 v[88:89], v[88:89], -v[96:97]
	;; [unrolled: 8-line block ×24, first 2 shown]
	s_waitcnt lgkmcnt(0)
	v_mul_f64 v[96:97], v[206:207], v[98:99]
	v_fma_f64 v[96:97], v[204:205], v[208:209], -v[96:97]
	v_mul_f64 v[204:205], v[204:205], v[98:99]
	v_fmac_f64_e32 v[204:205], v[206:207], v[208:209]
	v_add_f64 v[220:221], v[220:221], -v[96:97]
	v_add_f64 v[222:223], v[222:223], -v[204:205]
	v_mov_b64_e32 v[96:97], v[208:209]
.LBB111_280:
	s_or_b64 exec, exec, s[2:3]
	v_cmp_eq_u32_e32 vcc, 31, v200
	s_waitcnt vmcnt(63) expcnt(7) lgkmcnt(15)
	s_barrier
	s_and_saveexec_b64 s[4:5], vcc
	s_cbranch_execz .LBB111_287
; %bb.281:
	ds_write2_b64 v201, v[92:93], v[94:95] offset1:1
	ds_write2_b64 v202, v[88:89], v[90:91] offset0:64 offset1:65
	ds_write2_b64 v202, v[84:85], v[86:87] offset0:66 offset1:67
	;; [unrolled: 1-line block ×7, first 2 shown]
	s_waitcnt vmcnt(61)
	ds_write2_b64 v202, v[60:61], v[62:63] offset0:78 offset1:79
	s_waitcnt vmcnt(60)
	ds_write2_b64 v202, v[56:57], v[58:59] offset0:80 offset1:81
	;; [unrolled: 2-line block ×11, first 2 shown]
	ds_write2_b64 v202, v[16:17], v[18:19] offset0:100 offset1:101
	ds_write2_b64 v202, v[12:13], v[14:15] offset0:102 offset1:103
	;; [unrolled: 1-line block ×4, first 2 shown]
	s_waitcnt vmcnt(50)
	ds_write2_b64 v202, v[0:1], v[2:3] offset0:108 offset1:109
	s_waitcnt vmcnt(47)
	ds_write2_b64 v202, v[220:221], v[222:223] offset0:110 offset1:111
	ds_read2_b64 v[208:211], v201 offset1:1
	s_waitcnt lgkmcnt(0)
	v_cmp_neq_f64_e32 vcc, 0, v[208:209]
	v_cmp_neq_f64_e64 s[2:3], 0, v[210:211]
	s_or_b64 s[2:3], vcc, s[2:3]
	s_and_b64 exec, exec, s[2:3]
	s_cbranch_execz .LBB111_287
; %bb.282:
	v_cmp_ngt_f64_e64 s[2:3], |v[208:209]|, |v[210:211]|
                                        ; implicit-def: $vgpr204_vgpr205
	s_and_saveexec_b64 s[10:11], s[2:3]
	s_xor_b64 s[2:3], exec, s[10:11]
                                        ; implicit-def: $vgpr206_vgpr207
	s_cbranch_execz .LBB111_284
; %bb.283:
	v_div_scale_f64 v[204:205], s[10:11], v[210:211], v[210:211], v[208:209]
	v_rcp_f64_e32 v[206:207], v[204:205]
	v_div_scale_f64 v[212:213], vcc, v[208:209], v[210:211], v[208:209]
	v_fma_f64 v[214:215], -v[204:205], v[206:207], 1.0
	v_fmac_f64_e32 v[206:207], v[206:207], v[214:215]
	v_fma_f64 v[214:215], -v[204:205], v[206:207], 1.0
	v_fmac_f64_e32 v[206:207], v[206:207], v[214:215]
	v_mul_f64 v[214:215], v[212:213], v[206:207]
	v_fma_f64 v[204:205], -v[204:205], v[214:215], v[212:213]
	v_div_fmas_f64 v[204:205], v[204:205], v[206:207], v[214:215]
	v_div_fixup_f64 v[204:205], v[204:205], v[210:211], v[208:209]
	v_fmac_f64_e32 v[210:211], v[208:209], v[204:205]
	v_div_scale_f64 v[206:207], s[10:11], v[210:211], v[210:211], 1.0
	v_rcp_f64_e32 v[208:209], v[206:207]
	s_nop 0
	v_fma_f64 v[212:213], -v[206:207], v[208:209], 1.0
	v_fmac_f64_e32 v[208:209], v[208:209], v[212:213]
	v_fma_f64 v[212:213], -v[206:207], v[208:209], 1.0
	v_fmac_f64_e32 v[208:209], v[208:209], v[212:213]
	v_div_scale_f64 v[212:213], vcc, 1.0, v[210:211], 1.0
	v_mul_f64 v[214:215], v[212:213], v[208:209]
	v_fma_f64 v[206:207], -v[206:207], v[214:215], v[212:213]
	s_nop 1
	v_div_fmas_f64 v[206:207], v[206:207], v[208:209], v[214:215]
	v_div_fixup_f64 v[206:207], v[206:207], v[210:211], 1.0
	v_mul_f64 v[204:205], v[204:205], v[206:207]
	v_xor_b32_e32 v207, 0x80000000, v207
                                        ; implicit-def: $vgpr208_vgpr209
.LBB111_284:
	s_andn2_saveexec_b64 s[2:3], s[2:3]
	s_cbranch_execz .LBB111_286
; %bb.285:
	v_div_scale_f64 v[204:205], s[10:11], v[208:209], v[208:209], v[210:211]
	v_rcp_f64_e32 v[206:207], v[204:205]
	v_div_scale_f64 v[212:213], vcc, v[210:211], v[208:209], v[210:211]
	v_fma_f64 v[214:215], -v[204:205], v[206:207], 1.0
	v_fmac_f64_e32 v[206:207], v[206:207], v[214:215]
	v_fma_f64 v[214:215], -v[204:205], v[206:207], 1.0
	v_fmac_f64_e32 v[206:207], v[206:207], v[214:215]
	v_mul_f64 v[214:215], v[212:213], v[206:207]
	v_fma_f64 v[204:205], -v[204:205], v[214:215], v[212:213]
	v_div_fmas_f64 v[204:205], v[204:205], v[206:207], v[214:215]
	v_div_fixup_f64 v[206:207], v[204:205], v[208:209], v[210:211]
	v_fmac_f64_e32 v[208:209], v[210:211], v[206:207]
	v_div_scale_f64 v[204:205], s[10:11], v[208:209], v[208:209], 1.0
	v_rcp_f64_e32 v[210:211], v[204:205]
	s_nop 0
	v_fma_f64 v[212:213], -v[204:205], v[210:211], 1.0
	v_fmac_f64_e32 v[210:211], v[210:211], v[212:213]
	v_fma_f64 v[212:213], -v[204:205], v[210:211], 1.0
	v_fmac_f64_e32 v[210:211], v[210:211], v[212:213]
	v_div_scale_f64 v[212:213], vcc, 1.0, v[208:209], 1.0
	v_mul_f64 v[214:215], v[212:213], v[210:211]
	v_fma_f64 v[204:205], -v[204:205], v[214:215], v[212:213]
	s_nop 1
	v_div_fmas_f64 v[204:205], v[204:205], v[210:211], v[214:215]
	v_div_fixup_f64 v[204:205], v[204:205], v[208:209], 1.0
	v_mul_f64 v[206:207], v[206:207], -v[204:205]
.LBB111_286:
	s_or_b64 exec, exec, s[2:3]
	ds_write2_b64 v201, v[204:205], v[206:207] offset1:1
.LBB111_287:
	s_or_b64 exec, exec, s[4:5]
	s_waitcnt lgkmcnt(0)
	s_barrier
	ds_read2_b64 v[192:195], v201 offset1:1
	v_cmp_lt_u32_e32 vcc, 31, v200
	s_waitcnt lgkmcnt(0)
	scratch_store_dwordx4 off, v[192:195], off offset:1040 ; 16-byte Folded Spill
	s_and_saveexec_b64 s[2:3], vcc
	s_cbranch_execz .LBB111_289
; %bb.288:
	scratch_load_dwordx4 v[192:195], off, off offset:1040 ; 16-byte Folded Reload
	s_waitcnt vmcnt(0)
	v_mul_f64 v[204:205], v[194:195], v[94:95]
	v_fma_f64 v[208:209], v[192:193], v[92:93], -v[204:205]
	ds_read2_b64 v[204:207], v202 offset0:64 offset1:65
	v_mul_f64 v[94:95], v[192:193], v[94:95]
	v_fmac_f64_e32 v[94:95], v[194:195], v[92:93]
	s_waitcnt lgkmcnt(0)
	v_mul_f64 v[92:93], v[206:207], v[94:95]
	v_fma_f64 v[92:93], v[204:205], v[208:209], -v[92:93]
	v_mul_f64 v[204:205], v[204:205], v[94:95]
	v_fmac_f64_e32 v[204:205], v[206:207], v[208:209]
	v_add_f64 v[90:91], v[90:91], -v[204:205]
	ds_read2_b64 v[204:207], v202 offset0:66 offset1:67
	v_add_f64 v[88:89], v[88:89], -v[92:93]
	s_waitcnt lgkmcnt(0)
	v_mul_f64 v[92:93], v[206:207], v[94:95]
	v_fma_f64 v[92:93], v[204:205], v[208:209], -v[92:93]
	v_mul_f64 v[204:205], v[204:205], v[94:95]
	v_fmac_f64_e32 v[204:205], v[206:207], v[208:209]
	v_add_f64 v[86:87], v[86:87], -v[204:205]
	ds_read2_b64 v[204:207], v202 offset0:68 offset1:69
	v_add_f64 v[84:85], v[84:85], -v[92:93]
	;; [unrolled: 8-line block ×23, first 2 shown]
	s_waitcnt lgkmcnt(0)
	v_mul_f64 v[92:93], v[206:207], v[94:95]
	v_fma_f64 v[92:93], v[204:205], v[208:209], -v[92:93]
	v_mul_f64 v[204:205], v[204:205], v[94:95]
	v_fmac_f64_e32 v[204:205], v[206:207], v[208:209]
	v_add_f64 v[220:221], v[220:221], -v[92:93]
	v_add_f64 v[222:223], v[222:223], -v[204:205]
	v_mov_b64_e32 v[92:93], v[208:209]
.LBB111_289:
	s_or_b64 exec, exec, s[2:3]
	v_cmp_eq_u32_e32 vcc, 32, v200
	s_waitcnt vmcnt(63) expcnt(7) lgkmcnt(15)
	s_barrier
	s_and_saveexec_b64 s[4:5], vcc
	s_cbranch_execz .LBB111_296
; %bb.290:
	ds_write2_b64 v201, v[88:89], v[90:91] offset1:1
	ds_write2_b64 v202, v[84:85], v[86:87] offset0:66 offset1:67
	ds_write2_b64 v202, v[80:81], v[82:83] offset0:68 offset1:69
	;; [unrolled: 1-line block ×6, first 2 shown]
	s_waitcnt vmcnt(62)
	ds_write2_b64 v202, v[60:61], v[62:63] offset0:78 offset1:79
	s_waitcnt vmcnt(61)
	ds_write2_b64 v202, v[56:57], v[58:59] offset0:80 offset1:81
	s_waitcnt vmcnt(60)
	ds_write2_b64 v202, v[52:53], v[54:55] offset0:82 offset1:83
	s_waitcnt vmcnt(59)
	ds_write2_b64 v202, v[48:49], v[50:51] offset0:84 offset1:85
	s_waitcnt vmcnt(58)
	ds_write2_b64 v202, v[44:45], v[46:47] offset0:86 offset1:87
	s_waitcnt vmcnt(57)
	ds_write2_b64 v202, v[40:41], v[42:43] offset0:88 offset1:89
	s_waitcnt vmcnt(56)
	ds_write2_b64 v202, v[36:37], v[38:39] offset0:90 offset1:91
	s_waitcnt vmcnt(55)
	ds_write2_b64 v202, v[32:33], v[34:35] offset0:92 offset1:93
	s_waitcnt vmcnt(54)
	ds_write2_b64 v202, v[28:29], v[30:31] offset0:94 offset1:95
	s_waitcnt vmcnt(53)
	ds_write2_b64 v202, v[24:25], v[26:27] offset0:96 offset1:97
	s_waitcnt vmcnt(52)
	ds_write2_b64 v202, v[20:21], v[22:23] offset0:98 offset1:99
	ds_write2_b64 v202, v[16:17], v[18:19] offset0:100 offset1:101
	ds_write2_b64 v202, v[12:13], v[14:15] offset0:102 offset1:103
	;; [unrolled: 1-line block ×4, first 2 shown]
	s_waitcnt vmcnt(51)
	ds_write2_b64 v202, v[0:1], v[2:3] offset0:108 offset1:109
	s_waitcnt vmcnt(48)
	ds_write2_b64 v202, v[220:221], v[222:223] offset0:110 offset1:111
	ds_read2_b64 v[208:211], v201 offset1:1
	s_waitcnt lgkmcnt(0)
	v_cmp_neq_f64_e32 vcc, 0, v[208:209]
	v_cmp_neq_f64_e64 s[2:3], 0, v[210:211]
	s_or_b64 s[2:3], vcc, s[2:3]
	s_and_b64 exec, exec, s[2:3]
	s_cbranch_execz .LBB111_296
; %bb.291:
	v_cmp_ngt_f64_e64 s[2:3], |v[208:209]|, |v[210:211]|
                                        ; implicit-def: $vgpr204_vgpr205
	s_and_saveexec_b64 s[10:11], s[2:3]
	s_xor_b64 s[2:3], exec, s[10:11]
                                        ; implicit-def: $vgpr206_vgpr207
	s_cbranch_execz .LBB111_293
; %bb.292:
	v_div_scale_f64 v[204:205], s[10:11], v[210:211], v[210:211], v[208:209]
	v_rcp_f64_e32 v[206:207], v[204:205]
	v_div_scale_f64 v[212:213], vcc, v[208:209], v[210:211], v[208:209]
	v_fma_f64 v[214:215], -v[204:205], v[206:207], 1.0
	v_fmac_f64_e32 v[206:207], v[206:207], v[214:215]
	v_fma_f64 v[214:215], -v[204:205], v[206:207], 1.0
	v_fmac_f64_e32 v[206:207], v[206:207], v[214:215]
	v_mul_f64 v[214:215], v[212:213], v[206:207]
	v_fma_f64 v[204:205], -v[204:205], v[214:215], v[212:213]
	v_div_fmas_f64 v[204:205], v[204:205], v[206:207], v[214:215]
	v_div_fixup_f64 v[204:205], v[204:205], v[210:211], v[208:209]
	v_fmac_f64_e32 v[210:211], v[208:209], v[204:205]
	v_div_scale_f64 v[206:207], s[10:11], v[210:211], v[210:211], 1.0
	v_rcp_f64_e32 v[208:209], v[206:207]
	s_nop 0
	v_fma_f64 v[212:213], -v[206:207], v[208:209], 1.0
	v_fmac_f64_e32 v[208:209], v[208:209], v[212:213]
	v_fma_f64 v[212:213], -v[206:207], v[208:209], 1.0
	v_fmac_f64_e32 v[208:209], v[208:209], v[212:213]
	v_div_scale_f64 v[212:213], vcc, 1.0, v[210:211], 1.0
	v_mul_f64 v[214:215], v[212:213], v[208:209]
	v_fma_f64 v[206:207], -v[206:207], v[214:215], v[212:213]
	s_nop 1
	v_div_fmas_f64 v[206:207], v[206:207], v[208:209], v[214:215]
	v_div_fixup_f64 v[206:207], v[206:207], v[210:211], 1.0
	v_mul_f64 v[204:205], v[204:205], v[206:207]
	v_xor_b32_e32 v207, 0x80000000, v207
                                        ; implicit-def: $vgpr208_vgpr209
.LBB111_293:
	s_andn2_saveexec_b64 s[2:3], s[2:3]
	s_cbranch_execz .LBB111_295
; %bb.294:
	v_div_scale_f64 v[204:205], s[10:11], v[208:209], v[208:209], v[210:211]
	v_rcp_f64_e32 v[206:207], v[204:205]
	v_div_scale_f64 v[212:213], vcc, v[210:211], v[208:209], v[210:211]
	v_fma_f64 v[214:215], -v[204:205], v[206:207], 1.0
	v_fmac_f64_e32 v[206:207], v[206:207], v[214:215]
	v_fma_f64 v[214:215], -v[204:205], v[206:207], 1.0
	v_fmac_f64_e32 v[206:207], v[206:207], v[214:215]
	v_mul_f64 v[214:215], v[212:213], v[206:207]
	v_fma_f64 v[204:205], -v[204:205], v[214:215], v[212:213]
	v_div_fmas_f64 v[204:205], v[204:205], v[206:207], v[214:215]
	v_div_fixup_f64 v[206:207], v[204:205], v[208:209], v[210:211]
	v_fmac_f64_e32 v[208:209], v[210:211], v[206:207]
	v_div_scale_f64 v[204:205], s[10:11], v[208:209], v[208:209], 1.0
	v_rcp_f64_e32 v[210:211], v[204:205]
	s_nop 0
	v_fma_f64 v[212:213], -v[204:205], v[210:211], 1.0
	v_fmac_f64_e32 v[210:211], v[210:211], v[212:213]
	v_fma_f64 v[212:213], -v[204:205], v[210:211], 1.0
	v_fmac_f64_e32 v[210:211], v[210:211], v[212:213]
	v_div_scale_f64 v[212:213], vcc, 1.0, v[208:209], 1.0
	v_mul_f64 v[214:215], v[212:213], v[210:211]
	v_fma_f64 v[204:205], -v[204:205], v[214:215], v[212:213]
	s_nop 1
	v_div_fmas_f64 v[204:205], v[204:205], v[210:211], v[214:215]
	v_div_fixup_f64 v[204:205], v[204:205], v[208:209], 1.0
	v_mul_f64 v[206:207], v[206:207], -v[204:205]
.LBB111_295:
	s_or_b64 exec, exec, s[2:3]
	ds_write2_b64 v201, v[204:205], v[206:207] offset1:1
.LBB111_296:
	s_or_b64 exec, exec, s[4:5]
	s_waitcnt lgkmcnt(0)
	s_barrier
	ds_read2_b64 v[192:195], v201 offset1:1
	v_cmp_lt_u32_e32 vcc, 32, v200
	s_waitcnt lgkmcnt(0)
	scratch_store_dwordx4 off, v[192:195], off offset:1056 ; 16-byte Folded Spill
	s_and_saveexec_b64 s[2:3], vcc
	s_cbranch_execz .LBB111_298
; %bb.297:
	scratch_load_dwordx4 v[192:195], off, off offset:1056 ; 16-byte Folded Reload
	s_waitcnt vmcnt(0)
	v_mul_f64 v[204:205], v[194:195], v[90:91]
	v_fma_f64 v[208:209], v[192:193], v[88:89], -v[204:205]
	ds_read2_b64 v[204:207], v202 offset0:66 offset1:67
	v_mul_f64 v[90:91], v[192:193], v[90:91]
	v_fmac_f64_e32 v[90:91], v[194:195], v[88:89]
	s_waitcnt lgkmcnt(0)
	v_mul_f64 v[88:89], v[206:207], v[90:91]
	v_fma_f64 v[88:89], v[204:205], v[208:209], -v[88:89]
	v_mul_f64 v[204:205], v[204:205], v[90:91]
	v_fmac_f64_e32 v[204:205], v[206:207], v[208:209]
	v_add_f64 v[86:87], v[86:87], -v[204:205]
	ds_read2_b64 v[204:207], v202 offset0:68 offset1:69
	v_add_f64 v[84:85], v[84:85], -v[88:89]
	s_waitcnt lgkmcnt(0)
	v_mul_f64 v[88:89], v[206:207], v[90:91]
	v_fma_f64 v[88:89], v[204:205], v[208:209], -v[88:89]
	v_mul_f64 v[204:205], v[204:205], v[90:91]
	v_fmac_f64_e32 v[204:205], v[206:207], v[208:209]
	v_add_f64 v[82:83], v[82:83], -v[204:205]
	ds_read2_b64 v[204:207], v202 offset0:70 offset1:71
	v_add_f64 v[80:81], v[80:81], -v[88:89]
	;; [unrolled: 8-line block ×22, first 2 shown]
	s_waitcnt lgkmcnt(0)
	v_mul_f64 v[88:89], v[206:207], v[90:91]
	v_fma_f64 v[88:89], v[204:205], v[208:209], -v[88:89]
	v_mul_f64 v[204:205], v[204:205], v[90:91]
	v_fmac_f64_e32 v[204:205], v[206:207], v[208:209]
	v_add_f64 v[220:221], v[220:221], -v[88:89]
	v_add_f64 v[222:223], v[222:223], -v[204:205]
	v_mov_b64_e32 v[88:89], v[208:209]
.LBB111_298:
	s_or_b64 exec, exec, s[2:3]
	v_cmp_eq_u32_e32 vcc, 33, v200
	s_waitcnt vmcnt(63) expcnt(7) lgkmcnt(15)
	s_barrier
	s_and_saveexec_b64 s[4:5], vcc
	s_cbranch_execz .LBB111_305
; %bb.299:
	ds_write2_b64 v201, v[84:85], v[86:87] offset1:1
	ds_write2_b64 v202, v[80:81], v[82:83] offset0:68 offset1:69
	ds_write2_b64 v202, v[76:77], v[78:79] offset0:70 offset1:71
	;; [unrolled: 1-line block ×6, first 2 shown]
	s_waitcnt vmcnt(62)
	ds_write2_b64 v202, v[56:57], v[58:59] offset0:80 offset1:81
	s_waitcnt vmcnt(61)
	ds_write2_b64 v202, v[52:53], v[54:55] offset0:82 offset1:83
	;; [unrolled: 2-line block ×10, first 2 shown]
	ds_write2_b64 v202, v[16:17], v[18:19] offset0:100 offset1:101
	ds_write2_b64 v202, v[12:13], v[14:15] offset0:102 offset1:103
	;; [unrolled: 1-line block ×4, first 2 shown]
	s_waitcnt vmcnt(52)
	ds_write2_b64 v202, v[0:1], v[2:3] offset0:108 offset1:109
	s_waitcnt vmcnt(49)
	ds_write2_b64 v202, v[220:221], v[222:223] offset0:110 offset1:111
	ds_read2_b64 v[208:211], v201 offset1:1
	s_waitcnt lgkmcnt(0)
	v_cmp_neq_f64_e32 vcc, 0, v[208:209]
	v_cmp_neq_f64_e64 s[2:3], 0, v[210:211]
	s_or_b64 s[2:3], vcc, s[2:3]
	s_and_b64 exec, exec, s[2:3]
	s_cbranch_execz .LBB111_305
; %bb.300:
	v_cmp_ngt_f64_e64 s[2:3], |v[208:209]|, |v[210:211]|
                                        ; implicit-def: $vgpr204_vgpr205
	s_and_saveexec_b64 s[10:11], s[2:3]
	s_xor_b64 s[2:3], exec, s[10:11]
                                        ; implicit-def: $vgpr206_vgpr207
	s_cbranch_execz .LBB111_302
; %bb.301:
	v_div_scale_f64 v[204:205], s[10:11], v[210:211], v[210:211], v[208:209]
	v_rcp_f64_e32 v[206:207], v[204:205]
	v_div_scale_f64 v[212:213], vcc, v[208:209], v[210:211], v[208:209]
	v_fma_f64 v[214:215], -v[204:205], v[206:207], 1.0
	v_fmac_f64_e32 v[206:207], v[206:207], v[214:215]
	v_fma_f64 v[214:215], -v[204:205], v[206:207], 1.0
	v_fmac_f64_e32 v[206:207], v[206:207], v[214:215]
	v_mul_f64 v[214:215], v[212:213], v[206:207]
	v_fma_f64 v[204:205], -v[204:205], v[214:215], v[212:213]
	v_div_fmas_f64 v[204:205], v[204:205], v[206:207], v[214:215]
	v_div_fixup_f64 v[204:205], v[204:205], v[210:211], v[208:209]
	v_fmac_f64_e32 v[210:211], v[208:209], v[204:205]
	v_div_scale_f64 v[206:207], s[10:11], v[210:211], v[210:211], 1.0
	v_rcp_f64_e32 v[208:209], v[206:207]
	s_nop 0
	v_fma_f64 v[212:213], -v[206:207], v[208:209], 1.0
	v_fmac_f64_e32 v[208:209], v[208:209], v[212:213]
	v_fma_f64 v[212:213], -v[206:207], v[208:209], 1.0
	v_fmac_f64_e32 v[208:209], v[208:209], v[212:213]
	v_div_scale_f64 v[212:213], vcc, 1.0, v[210:211], 1.0
	v_mul_f64 v[214:215], v[212:213], v[208:209]
	v_fma_f64 v[206:207], -v[206:207], v[214:215], v[212:213]
	s_nop 1
	v_div_fmas_f64 v[206:207], v[206:207], v[208:209], v[214:215]
	v_div_fixup_f64 v[206:207], v[206:207], v[210:211], 1.0
	v_mul_f64 v[204:205], v[204:205], v[206:207]
	v_xor_b32_e32 v207, 0x80000000, v207
                                        ; implicit-def: $vgpr208_vgpr209
.LBB111_302:
	s_andn2_saveexec_b64 s[2:3], s[2:3]
	s_cbranch_execz .LBB111_304
; %bb.303:
	v_div_scale_f64 v[204:205], s[10:11], v[208:209], v[208:209], v[210:211]
	v_rcp_f64_e32 v[206:207], v[204:205]
	v_div_scale_f64 v[212:213], vcc, v[210:211], v[208:209], v[210:211]
	v_fma_f64 v[214:215], -v[204:205], v[206:207], 1.0
	v_fmac_f64_e32 v[206:207], v[206:207], v[214:215]
	v_fma_f64 v[214:215], -v[204:205], v[206:207], 1.0
	v_fmac_f64_e32 v[206:207], v[206:207], v[214:215]
	v_mul_f64 v[214:215], v[212:213], v[206:207]
	v_fma_f64 v[204:205], -v[204:205], v[214:215], v[212:213]
	v_div_fmas_f64 v[204:205], v[204:205], v[206:207], v[214:215]
	v_div_fixup_f64 v[206:207], v[204:205], v[208:209], v[210:211]
	v_fmac_f64_e32 v[208:209], v[210:211], v[206:207]
	v_div_scale_f64 v[204:205], s[10:11], v[208:209], v[208:209], 1.0
	v_rcp_f64_e32 v[210:211], v[204:205]
	s_nop 0
	v_fma_f64 v[212:213], -v[204:205], v[210:211], 1.0
	v_fmac_f64_e32 v[210:211], v[210:211], v[212:213]
	v_fma_f64 v[212:213], -v[204:205], v[210:211], 1.0
	v_fmac_f64_e32 v[210:211], v[210:211], v[212:213]
	v_div_scale_f64 v[212:213], vcc, 1.0, v[208:209], 1.0
	v_mul_f64 v[214:215], v[212:213], v[210:211]
	v_fma_f64 v[204:205], -v[204:205], v[214:215], v[212:213]
	s_nop 1
	v_div_fmas_f64 v[204:205], v[204:205], v[210:211], v[214:215]
	v_div_fixup_f64 v[204:205], v[204:205], v[208:209], 1.0
	v_mul_f64 v[206:207], v[206:207], -v[204:205]
.LBB111_304:
	s_or_b64 exec, exec, s[2:3]
	ds_write2_b64 v201, v[204:205], v[206:207] offset1:1
.LBB111_305:
	s_or_b64 exec, exec, s[4:5]
	s_waitcnt lgkmcnt(0)
	s_barrier
	ds_read2_b64 v[192:195], v201 offset1:1
	v_cmp_lt_u32_e32 vcc, 33, v200
	s_waitcnt lgkmcnt(0)
	scratch_store_dwordx4 off, v[192:195], off offset:1072 ; 16-byte Folded Spill
	s_and_saveexec_b64 s[2:3], vcc
	s_cbranch_execz .LBB111_307
; %bb.306:
	scratch_load_dwordx4 v[192:195], off, off offset:1072 ; 16-byte Folded Reload
	s_waitcnt vmcnt(0)
	v_mul_f64 v[204:205], v[194:195], v[86:87]
	v_fma_f64 v[208:209], v[192:193], v[84:85], -v[204:205]
	ds_read2_b64 v[204:207], v202 offset0:68 offset1:69
	v_mul_f64 v[86:87], v[192:193], v[86:87]
	v_fmac_f64_e32 v[86:87], v[194:195], v[84:85]
	s_waitcnt lgkmcnt(0)
	v_mul_f64 v[84:85], v[206:207], v[86:87]
	v_fma_f64 v[84:85], v[204:205], v[208:209], -v[84:85]
	v_mul_f64 v[204:205], v[204:205], v[86:87]
	v_fmac_f64_e32 v[204:205], v[206:207], v[208:209]
	v_add_f64 v[82:83], v[82:83], -v[204:205]
	ds_read2_b64 v[204:207], v202 offset0:70 offset1:71
	v_add_f64 v[80:81], v[80:81], -v[84:85]
	s_waitcnt lgkmcnt(0)
	v_mul_f64 v[84:85], v[206:207], v[86:87]
	v_fma_f64 v[84:85], v[204:205], v[208:209], -v[84:85]
	v_mul_f64 v[204:205], v[204:205], v[86:87]
	v_fmac_f64_e32 v[204:205], v[206:207], v[208:209]
	v_add_f64 v[78:79], v[78:79], -v[204:205]
	ds_read2_b64 v[204:207], v202 offset0:72 offset1:73
	v_add_f64 v[76:77], v[76:77], -v[84:85]
	;; [unrolled: 8-line block ×21, first 2 shown]
	s_waitcnt lgkmcnt(0)
	v_mul_f64 v[84:85], v[206:207], v[86:87]
	v_fma_f64 v[84:85], v[204:205], v[208:209], -v[84:85]
	v_mul_f64 v[204:205], v[204:205], v[86:87]
	v_fmac_f64_e32 v[204:205], v[206:207], v[208:209]
	v_add_f64 v[220:221], v[220:221], -v[84:85]
	v_add_f64 v[222:223], v[222:223], -v[204:205]
	v_mov_b64_e32 v[84:85], v[208:209]
.LBB111_307:
	s_or_b64 exec, exec, s[2:3]
	v_cmp_eq_u32_e32 vcc, 34, v200
	s_waitcnt vmcnt(63) expcnt(7) lgkmcnt(15)
	s_barrier
	s_and_saveexec_b64 s[4:5], vcc
	s_cbranch_execz .LBB111_314
; %bb.308:
	ds_write2_b64 v201, v[80:81], v[82:83] offset1:1
	ds_write2_b64 v202, v[76:77], v[78:79] offset0:70 offset1:71
	ds_write2_b64 v202, v[72:73], v[74:75] offset0:72 offset1:73
	;; [unrolled: 1-line block ×6, first 2 shown]
	s_waitcnt vmcnt(62)
	ds_write2_b64 v202, v[52:53], v[54:55] offset0:82 offset1:83
	s_waitcnt vmcnt(61)
	ds_write2_b64 v202, v[48:49], v[50:51] offset0:84 offset1:85
	;; [unrolled: 2-line block ×9, first 2 shown]
	ds_write2_b64 v202, v[16:17], v[18:19] offset0:100 offset1:101
	ds_write2_b64 v202, v[12:13], v[14:15] offset0:102 offset1:103
	;; [unrolled: 1-line block ×4, first 2 shown]
	s_waitcnt vmcnt(53)
	ds_write2_b64 v202, v[0:1], v[2:3] offset0:108 offset1:109
	s_waitcnt vmcnt(50)
	ds_write2_b64 v202, v[220:221], v[222:223] offset0:110 offset1:111
	ds_read2_b64 v[208:211], v201 offset1:1
	s_waitcnt lgkmcnt(0)
	v_cmp_neq_f64_e32 vcc, 0, v[208:209]
	v_cmp_neq_f64_e64 s[2:3], 0, v[210:211]
	s_or_b64 s[2:3], vcc, s[2:3]
	s_and_b64 exec, exec, s[2:3]
	s_cbranch_execz .LBB111_314
; %bb.309:
	v_cmp_ngt_f64_e64 s[2:3], |v[208:209]|, |v[210:211]|
                                        ; implicit-def: $vgpr204_vgpr205
	s_and_saveexec_b64 s[10:11], s[2:3]
	s_xor_b64 s[2:3], exec, s[10:11]
                                        ; implicit-def: $vgpr206_vgpr207
	s_cbranch_execz .LBB111_311
; %bb.310:
	v_div_scale_f64 v[204:205], s[10:11], v[210:211], v[210:211], v[208:209]
	v_rcp_f64_e32 v[206:207], v[204:205]
	v_div_scale_f64 v[212:213], vcc, v[208:209], v[210:211], v[208:209]
	v_fma_f64 v[214:215], -v[204:205], v[206:207], 1.0
	v_fmac_f64_e32 v[206:207], v[206:207], v[214:215]
	v_fma_f64 v[214:215], -v[204:205], v[206:207], 1.0
	v_fmac_f64_e32 v[206:207], v[206:207], v[214:215]
	v_mul_f64 v[214:215], v[212:213], v[206:207]
	v_fma_f64 v[204:205], -v[204:205], v[214:215], v[212:213]
	v_div_fmas_f64 v[204:205], v[204:205], v[206:207], v[214:215]
	v_div_fixup_f64 v[204:205], v[204:205], v[210:211], v[208:209]
	v_fmac_f64_e32 v[210:211], v[208:209], v[204:205]
	v_div_scale_f64 v[206:207], s[10:11], v[210:211], v[210:211], 1.0
	v_rcp_f64_e32 v[208:209], v[206:207]
	s_nop 0
	v_fma_f64 v[212:213], -v[206:207], v[208:209], 1.0
	v_fmac_f64_e32 v[208:209], v[208:209], v[212:213]
	v_fma_f64 v[212:213], -v[206:207], v[208:209], 1.0
	v_fmac_f64_e32 v[208:209], v[208:209], v[212:213]
	v_div_scale_f64 v[212:213], vcc, 1.0, v[210:211], 1.0
	v_mul_f64 v[214:215], v[212:213], v[208:209]
	v_fma_f64 v[206:207], -v[206:207], v[214:215], v[212:213]
	s_nop 1
	v_div_fmas_f64 v[206:207], v[206:207], v[208:209], v[214:215]
	v_div_fixup_f64 v[206:207], v[206:207], v[210:211], 1.0
	v_mul_f64 v[204:205], v[204:205], v[206:207]
	v_xor_b32_e32 v207, 0x80000000, v207
                                        ; implicit-def: $vgpr208_vgpr209
.LBB111_311:
	s_andn2_saveexec_b64 s[2:3], s[2:3]
	s_cbranch_execz .LBB111_313
; %bb.312:
	v_div_scale_f64 v[204:205], s[10:11], v[208:209], v[208:209], v[210:211]
	v_rcp_f64_e32 v[206:207], v[204:205]
	v_div_scale_f64 v[212:213], vcc, v[210:211], v[208:209], v[210:211]
	v_fma_f64 v[214:215], -v[204:205], v[206:207], 1.0
	v_fmac_f64_e32 v[206:207], v[206:207], v[214:215]
	v_fma_f64 v[214:215], -v[204:205], v[206:207], 1.0
	v_fmac_f64_e32 v[206:207], v[206:207], v[214:215]
	v_mul_f64 v[214:215], v[212:213], v[206:207]
	v_fma_f64 v[204:205], -v[204:205], v[214:215], v[212:213]
	v_div_fmas_f64 v[204:205], v[204:205], v[206:207], v[214:215]
	v_div_fixup_f64 v[206:207], v[204:205], v[208:209], v[210:211]
	v_fmac_f64_e32 v[208:209], v[210:211], v[206:207]
	v_div_scale_f64 v[204:205], s[10:11], v[208:209], v[208:209], 1.0
	v_rcp_f64_e32 v[210:211], v[204:205]
	s_nop 0
	v_fma_f64 v[212:213], -v[204:205], v[210:211], 1.0
	v_fmac_f64_e32 v[210:211], v[210:211], v[212:213]
	v_fma_f64 v[212:213], -v[204:205], v[210:211], 1.0
	v_fmac_f64_e32 v[210:211], v[210:211], v[212:213]
	v_div_scale_f64 v[212:213], vcc, 1.0, v[208:209], 1.0
	v_mul_f64 v[214:215], v[212:213], v[210:211]
	v_fma_f64 v[204:205], -v[204:205], v[214:215], v[212:213]
	s_nop 1
	v_div_fmas_f64 v[204:205], v[204:205], v[210:211], v[214:215]
	v_div_fixup_f64 v[204:205], v[204:205], v[208:209], 1.0
	v_mul_f64 v[206:207], v[206:207], -v[204:205]
.LBB111_313:
	s_or_b64 exec, exec, s[2:3]
	ds_write2_b64 v201, v[204:205], v[206:207] offset1:1
.LBB111_314:
	s_or_b64 exec, exec, s[4:5]
	s_waitcnt lgkmcnt(0)
	s_barrier
	ds_read2_b64 v[192:195], v201 offset1:1
	v_cmp_lt_u32_e32 vcc, 34, v200
	s_waitcnt lgkmcnt(0)
	scratch_store_dwordx4 off, v[192:195], off offset:1088 ; 16-byte Folded Spill
	s_and_saveexec_b64 s[2:3], vcc
	s_cbranch_execz .LBB111_316
; %bb.315:
	scratch_load_dwordx4 v[192:195], off, off offset:1088 ; 16-byte Folded Reload
	s_waitcnt vmcnt(0)
	v_mul_f64 v[204:205], v[194:195], v[82:83]
	v_fma_f64 v[208:209], v[192:193], v[80:81], -v[204:205]
	ds_read2_b64 v[204:207], v202 offset0:70 offset1:71
	v_mul_f64 v[82:83], v[192:193], v[82:83]
	v_fmac_f64_e32 v[82:83], v[194:195], v[80:81]
	s_waitcnt lgkmcnt(0)
	v_mul_f64 v[80:81], v[206:207], v[82:83]
	v_fma_f64 v[80:81], v[204:205], v[208:209], -v[80:81]
	v_mul_f64 v[204:205], v[204:205], v[82:83]
	v_fmac_f64_e32 v[204:205], v[206:207], v[208:209]
	v_add_f64 v[78:79], v[78:79], -v[204:205]
	ds_read2_b64 v[204:207], v202 offset0:72 offset1:73
	v_add_f64 v[76:77], v[76:77], -v[80:81]
	s_waitcnt lgkmcnt(0)
	v_mul_f64 v[80:81], v[206:207], v[82:83]
	v_fma_f64 v[80:81], v[204:205], v[208:209], -v[80:81]
	v_mul_f64 v[204:205], v[204:205], v[82:83]
	v_fmac_f64_e32 v[204:205], v[206:207], v[208:209]
	v_add_f64 v[74:75], v[74:75], -v[204:205]
	ds_read2_b64 v[204:207], v202 offset0:74 offset1:75
	v_add_f64 v[72:73], v[72:73], -v[80:81]
	;; [unrolled: 8-line block ×20, first 2 shown]
	s_waitcnt lgkmcnt(0)
	v_mul_f64 v[80:81], v[206:207], v[82:83]
	v_fma_f64 v[80:81], v[204:205], v[208:209], -v[80:81]
	v_mul_f64 v[204:205], v[204:205], v[82:83]
	v_fmac_f64_e32 v[204:205], v[206:207], v[208:209]
	v_add_f64 v[220:221], v[220:221], -v[80:81]
	v_add_f64 v[222:223], v[222:223], -v[204:205]
	v_mov_b64_e32 v[80:81], v[208:209]
.LBB111_316:
	s_or_b64 exec, exec, s[2:3]
	v_cmp_eq_u32_e32 vcc, 35, v200
	s_waitcnt vmcnt(63) expcnt(7) lgkmcnt(15)
	s_barrier
	s_and_saveexec_b64 s[4:5], vcc
	s_cbranch_execz .LBB111_323
; %bb.317:
	ds_write2_b64 v201, v[76:77], v[78:79] offset1:1
	ds_write2_b64 v202, v[72:73], v[74:75] offset0:72 offset1:73
	ds_write2_b64 v202, v[68:69], v[70:71] offset0:74 offset1:75
	;; [unrolled: 1-line block ×6, first 2 shown]
	s_waitcnt vmcnt(62)
	ds_write2_b64 v202, v[48:49], v[50:51] offset0:84 offset1:85
	s_waitcnt vmcnt(61)
	ds_write2_b64 v202, v[44:45], v[46:47] offset0:86 offset1:87
	;; [unrolled: 2-line block ×8, first 2 shown]
	ds_write2_b64 v202, v[16:17], v[18:19] offset0:100 offset1:101
	ds_write2_b64 v202, v[12:13], v[14:15] offset0:102 offset1:103
	;; [unrolled: 1-line block ×4, first 2 shown]
	s_waitcnt vmcnt(54)
	ds_write2_b64 v202, v[0:1], v[2:3] offset0:108 offset1:109
	s_waitcnt vmcnt(51)
	ds_write2_b64 v202, v[220:221], v[222:223] offset0:110 offset1:111
	ds_read2_b64 v[208:211], v201 offset1:1
	s_waitcnt lgkmcnt(0)
	v_cmp_neq_f64_e32 vcc, 0, v[208:209]
	v_cmp_neq_f64_e64 s[2:3], 0, v[210:211]
	s_or_b64 s[2:3], vcc, s[2:3]
	s_and_b64 exec, exec, s[2:3]
	s_cbranch_execz .LBB111_323
; %bb.318:
	v_cmp_ngt_f64_e64 s[2:3], |v[208:209]|, |v[210:211]|
                                        ; implicit-def: $vgpr204_vgpr205
	s_and_saveexec_b64 s[10:11], s[2:3]
	s_xor_b64 s[2:3], exec, s[10:11]
                                        ; implicit-def: $vgpr206_vgpr207
	s_cbranch_execz .LBB111_320
; %bb.319:
	v_div_scale_f64 v[204:205], s[10:11], v[210:211], v[210:211], v[208:209]
	v_rcp_f64_e32 v[206:207], v[204:205]
	v_div_scale_f64 v[212:213], vcc, v[208:209], v[210:211], v[208:209]
	v_fma_f64 v[214:215], -v[204:205], v[206:207], 1.0
	v_fmac_f64_e32 v[206:207], v[206:207], v[214:215]
	v_fma_f64 v[214:215], -v[204:205], v[206:207], 1.0
	v_fmac_f64_e32 v[206:207], v[206:207], v[214:215]
	v_mul_f64 v[214:215], v[212:213], v[206:207]
	v_fma_f64 v[204:205], -v[204:205], v[214:215], v[212:213]
	v_div_fmas_f64 v[204:205], v[204:205], v[206:207], v[214:215]
	v_div_fixup_f64 v[204:205], v[204:205], v[210:211], v[208:209]
	v_fmac_f64_e32 v[210:211], v[208:209], v[204:205]
	v_div_scale_f64 v[206:207], s[10:11], v[210:211], v[210:211], 1.0
	v_rcp_f64_e32 v[208:209], v[206:207]
	s_nop 0
	v_fma_f64 v[212:213], -v[206:207], v[208:209], 1.0
	v_fmac_f64_e32 v[208:209], v[208:209], v[212:213]
	v_fma_f64 v[212:213], -v[206:207], v[208:209], 1.0
	v_fmac_f64_e32 v[208:209], v[208:209], v[212:213]
	v_div_scale_f64 v[212:213], vcc, 1.0, v[210:211], 1.0
	v_mul_f64 v[214:215], v[212:213], v[208:209]
	v_fma_f64 v[206:207], -v[206:207], v[214:215], v[212:213]
	s_nop 1
	v_div_fmas_f64 v[206:207], v[206:207], v[208:209], v[214:215]
	v_div_fixup_f64 v[206:207], v[206:207], v[210:211], 1.0
	v_mul_f64 v[204:205], v[204:205], v[206:207]
	v_xor_b32_e32 v207, 0x80000000, v207
                                        ; implicit-def: $vgpr208_vgpr209
.LBB111_320:
	s_andn2_saveexec_b64 s[2:3], s[2:3]
	s_cbranch_execz .LBB111_322
; %bb.321:
	v_div_scale_f64 v[204:205], s[10:11], v[208:209], v[208:209], v[210:211]
	v_rcp_f64_e32 v[206:207], v[204:205]
	v_div_scale_f64 v[212:213], vcc, v[210:211], v[208:209], v[210:211]
	v_fma_f64 v[214:215], -v[204:205], v[206:207], 1.0
	v_fmac_f64_e32 v[206:207], v[206:207], v[214:215]
	v_fma_f64 v[214:215], -v[204:205], v[206:207], 1.0
	v_fmac_f64_e32 v[206:207], v[206:207], v[214:215]
	v_mul_f64 v[214:215], v[212:213], v[206:207]
	v_fma_f64 v[204:205], -v[204:205], v[214:215], v[212:213]
	v_div_fmas_f64 v[204:205], v[204:205], v[206:207], v[214:215]
	v_div_fixup_f64 v[206:207], v[204:205], v[208:209], v[210:211]
	v_fmac_f64_e32 v[208:209], v[210:211], v[206:207]
	v_div_scale_f64 v[204:205], s[10:11], v[208:209], v[208:209], 1.0
	v_rcp_f64_e32 v[210:211], v[204:205]
	s_nop 0
	v_fma_f64 v[212:213], -v[204:205], v[210:211], 1.0
	v_fmac_f64_e32 v[210:211], v[210:211], v[212:213]
	v_fma_f64 v[212:213], -v[204:205], v[210:211], 1.0
	v_fmac_f64_e32 v[210:211], v[210:211], v[212:213]
	v_div_scale_f64 v[212:213], vcc, 1.0, v[208:209], 1.0
	v_mul_f64 v[214:215], v[212:213], v[210:211]
	v_fma_f64 v[204:205], -v[204:205], v[214:215], v[212:213]
	s_nop 1
	v_div_fmas_f64 v[204:205], v[204:205], v[210:211], v[214:215]
	v_div_fixup_f64 v[204:205], v[204:205], v[208:209], 1.0
	v_mul_f64 v[206:207], v[206:207], -v[204:205]
.LBB111_322:
	s_or_b64 exec, exec, s[2:3]
	ds_write2_b64 v201, v[204:205], v[206:207] offset1:1
.LBB111_323:
	s_or_b64 exec, exec, s[4:5]
	s_waitcnt lgkmcnt(0)
	s_barrier
	ds_read2_b64 v[192:195], v201 offset1:1
	v_cmp_lt_u32_e32 vcc, 35, v200
	s_waitcnt lgkmcnt(0)
	scratch_store_dwordx4 off, v[192:195], off offset:1104 ; 16-byte Folded Spill
	s_and_saveexec_b64 s[2:3], vcc
	s_cbranch_execz .LBB111_325
; %bb.324:
	scratch_load_dwordx4 v[192:195], off, off offset:1104 ; 16-byte Folded Reload
	s_waitcnt vmcnt(0)
	v_mul_f64 v[204:205], v[194:195], v[78:79]
	v_fma_f64 v[208:209], v[192:193], v[76:77], -v[204:205]
	ds_read2_b64 v[204:207], v202 offset0:72 offset1:73
	v_mul_f64 v[78:79], v[192:193], v[78:79]
	v_fmac_f64_e32 v[78:79], v[194:195], v[76:77]
	s_waitcnt lgkmcnt(0)
	v_mul_f64 v[76:77], v[206:207], v[78:79]
	v_fma_f64 v[76:77], v[204:205], v[208:209], -v[76:77]
	v_mul_f64 v[204:205], v[204:205], v[78:79]
	v_fmac_f64_e32 v[204:205], v[206:207], v[208:209]
	v_add_f64 v[74:75], v[74:75], -v[204:205]
	ds_read2_b64 v[204:207], v202 offset0:74 offset1:75
	v_add_f64 v[72:73], v[72:73], -v[76:77]
	s_waitcnt lgkmcnt(0)
	v_mul_f64 v[76:77], v[206:207], v[78:79]
	v_fma_f64 v[76:77], v[204:205], v[208:209], -v[76:77]
	v_mul_f64 v[204:205], v[204:205], v[78:79]
	v_fmac_f64_e32 v[204:205], v[206:207], v[208:209]
	v_add_f64 v[70:71], v[70:71], -v[204:205]
	ds_read2_b64 v[204:207], v202 offset0:76 offset1:77
	v_add_f64 v[68:69], v[68:69], -v[76:77]
	;; [unrolled: 8-line block ×19, first 2 shown]
	s_waitcnt lgkmcnt(0)
	v_mul_f64 v[76:77], v[206:207], v[78:79]
	v_fma_f64 v[76:77], v[204:205], v[208:209], -v[76:77]
	v_mul_f64 v[204:205], v[204:205], v[78:79]
	v_fmac_f64_e32 v[204:205], v[206:207], v[208:209]
	v_add_f64 v[220:221], v[220:221], -v[76:77]
	v_add_f64 v[222:223], v[222:223], -v[204:205]
	v_mov_b64_e32 v[76:77], v[208:209]
.LBB111_325:
	s_or_b64 exec, exec, s[2:3]
	v_cmp_eq_u32_e32 vcc, 36, v200
	s_waitcnt vmcnt(63) expcnt(7) lgkmcnt(15)
	s_barrier
	s_and_saveexec_b64 s[4:5], vcc
	s_cbranch_execz .LBB111_332
; %bb.326:
	ds_write2_b64 v201, v[72:73], v[74:75] offset1:1
	ds_write2_b64 v202, v[68:69], v[70:71] offset0:74 offset1:75
	ds_write2_b64 v202, v[64:65], v[66:67] offset0:76 offset1:77
	;; [unrolled: 1-line block ×6, first 2 shown]
	s_waitcnt vmcnt(62)
	ds_write2_b64 v202, v[44:45], v[46:47] offset0:86 offset1:87
	s_waitcnt vmcnt(61)
	ds_write2_b64 v202, v[40:41], v[42:43] offset0:88 offset1:89
	;; [unrolled: 2-line block ×7, first 2 shown]
	ds_write2_b64 v202, v[16:17], v[18:19] offset0:100 offset1:101
	ds_write2_b64 v202, v[12:13], v[14:15] offset0:102 offset1:103
	;; [unrolled: 1-line block ×4, first 2 shown]
	s_waitcnt vmcnt(55)
	ds_write2_b64 v202, v[0:1], v[2:3] offset0:108 offset1:109
	s_waitcnt vmcnt(52)
	ds_write2_b64 v202, v[220:221], v[222:223] offset0:110 offset1:111
	ds_read2_b64 v[208:211], v201 offset1:1
	s_waitcnt lgkmcnt(0)
	v_cmp_neq_f64_e32 vcc, 0, v[208:209]
	v_cmp_neq_f64_e64 s[2:3], 0, v[210:211]
	s_or_b64 s[2:3], vcc, s[2:3]
	s_and_b64 exec, exec, s[2:3]
	s_cbranch_execz .LBB111_332
; %bb.327:
	v_cmp_ngt_f64_e64 s[2:3], |v[208:209]|, |v[210:211]|
                                        ; implicit-def: $vgpr204_vgpr205
	s_and_saveexec_b64 s[10:11], s[2:3]
	s_xor_b64 s[2:3], exec, s[10:11]
                                        ; implicit-def: $vgpr206_vgpr207
	s_cbranch_execz .LBB111_329
; %bb.328:
	v_div_scale_f64 v[204:205], s[10:11], v[210:211], v[210:211], v[208:209]
	v_rcp_f64_e32 v[206:207], v[204:205]
	v_div_scale_f64 v[212:213], vcc, v[208:209], v[210:211], v[208:209]
	v_fma_f64 v[214:215], -v[204:205], v[206:207], 1.0
	v_fmac_f64_e32 v[206:207], v[206:207], v[214:215]
	v_fma_f64 v[214:215], -v[204:205], v[206:207], 1.0
	v_fmac_f64_e32 v[206:207], v[206:207], v[214:215]
	v_mul_f64 v[214:215], v[212:213], v[206:207]
	v_fma_f64 v[204:205], -v[204:205], v[214:215], v[212:213]
	v_div_fmas_f64 v[204:205], v[204:205], v[206:207], v[214:215]
	v_div_fixup_f64 v[204:205], v[204:205], v[210:211], v[208:209]
	v_fmac_f64_e32 v[210:211], v[208:209], v[204:205]
	v_div_scale_f64 v[206:207], s[10:11], v[210:211], v[210:211], 1.0
	v_rcp_f64_e32 v[208:209], v[206:207]
	s_nop 0
	v_fma_f64 v[212:213], -v[206:207], v[208:209], 1.0
	v_fmac_f64_e32 v[208:209], v[208:209], v[212:213]
	v_fma_f64 v[212:213], -v[206:207], v[208:209], 1.0
	v_fmac_f64_e32 v[208:209], v[208:209], v[212:213]
	v_div_scale_f64 v[212:213], vcc, 1.0, v[210:211], 1.0
	v_mul_f64 v[214:215], v[212:213], v[208:209]
	v_fma_f64 v[206:207], -v[206:207], v[214:215], v[212:213]
	s_nop 1
	v_div_fmas_f64 v[206:207], v[206:207], v[208:209], v[214:215]
	v_div_fixup_f64 v[206:207], v[206:207], v[210:211], 1.0
	v_mul_f64 v[204:205], v[204:205], v[206:207]
	v_xor_b32_e32 v207, 0x80000000, v207
                                        ; implicit-def: $vgpr208_vgpr209
.LBB111_329:
	s_andn2_saveexec_b64 s[2:3], s[2:3]
	s_cbranch_execz .LBB111_331
; %bb.330:
	v_div_scale_f64 v[204:205], s[10:11], v[208:209], v[208:209], v[210:211]
	v_rcp_f64_e32 v[206:207], v[204:205]
	v_div_scale_f64 v[212:213], vcc, v[210:211], v[208:209], v[210:211]
	v_fma_f64 v[214:215], -v[204:205], v[206:207], 1.0
	v_fmac_f64_e32 v[206:207], v[206:207], v[214:215]
	v_fma_f64 v[214:215], -v[204:205], v[206:207], 1.0
	v_fmac_f64_e32 v[206:207], v[206:207], v[214:215]
	v_mul_f64 v[214:215], v[212:213], v[206:207]
	v_fma_f64 v[204:205], -v[204:205], v[214:215], v[212:213]
	v_div_fmas_f64 v[204:205], v[204:205], v[206:207], v[214:215]
	v_div_fixup_f64 v[206:207], v[204:205], v[208:209], v[210:211]
	v_fmac_f64_e32 v[208:209], v[210:211], v[206:207]
	v_div_scale_f64 v[204:205], s[10:11], v[208:209], v[208:209], 1.0
	v_rcp_f64_e32 v[210:211], v[204:205]
	s_nop 0
	v_fma_f64 v[212:213], -v[204:205], v[210:211], 1.0
	v_fmac_f64_e32 v[210:211], v[210:211], v[212:213]
	v_fma_f64 v[212:213], -v[204:205], v[210:211], 1.0
	v_fmac_f64_e32 v[210:211], v[210:211], v[212:213]
	v_div_scale_f64 v[212:213], vcc, 1.0, v[208:209], 1.0
	v_mul_f64 v[214:215], v[212:213], v[210:211]
	v_fma_f64 v[204:205], -v[204:205], v[214:215], v[212:213]
	s_nop 1
	v_div_fmas_f64 v[204:205], v[204:205], v[210:211], v[214:215]
	v_div_fixup_f64 v[204:205], v[204:205], v[208:209], 1.0
	v_mul_f64 v[206:207], v[206:207], -v[204:205]
.LBB111_331:
	s_or_b64 exec, exec, s[2:3]
	ds_write2_b64 v201, v[204:205], v[206:207] offset1:1
.LBB111_332:
	s_or_b64 exec, exec, s[4:5]
	s_waitcnt lgkmcnt(0)
	s_barrier
	ds_read2_b64 v[192:195], v201 offset1:1
	v_cmp_lt_u32_e32 vcc, 36, v200
	s_waitcnt lgkmcnt(0)
	scratch_store_dwordx4 off, v[192:195], off offset:1120 ; 16-byte Folded Spill
	s_and_saveexec_b64 s[2:3], vcc
	s_cbranch_execz .LBB111_334
; %bb.333:
	scratch_load_dwordx4 v[192:195], off, off offset:1120 ; 16-byte Folded Reload
	s_waitcnt vmcnt(0)
	v_mul_f64 v[204:205], v[194:195], v[74:75]
	v_fma_f64 v[208:209], v[192:193], v[72:73], -v[204:205]
	ds_read2_b64 v[204:207], v202 offset0:74 offset1:75
	v_mul_f64 v[74:75], v[192:193], v[74:75]
	v_fmac_f64_e32 v[74:75], v[194:195], v[72:73]
	s_waitcnt lgkmcnt(0)
	v_mul_f64 v[72:73], v[206:207], v[74:75]
	v_fma_f64 v[72:73], v[204:205], v[208:209], -v[72:73]
	v_mul_f64 v[204:205], v[204:205], v[74:75]
	v_fmac_f64_e32 v[204:205], v[206:207], v[208:209]
	v_add_f64 v[70:71], v[70:71], -v[204:205]
	ds_read2_b64 v[204:207], v202 offset0:76 offset1:77
	v_add_f64 v[68:69], v[68:69], -v[72:73]
	s_waitcnt lgkmcnt(0)
	v_mul_f64 v[72:73], v[206:207], v[74:75]
	v_fma_f64 v[72:73], v[204:205], v[208:209], -v[72:73]
	v_mul_f64 v[204:205], v[204:205], v[74:75]
	v_fmac_f64_e32 v[204:205], v[206:207], v[208:209]
	v_add_f64 v[66:67], v[66:67], -v[204:205]
	ds_read2_b64 v[204:207], v202 offset0:78 offset1:79
	v_add_f64 v[64:65], v[64:65], -v[72:73]
	;; [unrolled: 8-line block ×18, first 2 shown]
	s_waitcnt lgkmcnt(0)
	v_mul_f64 v[72:73], v[206:207], v[74:75]
	v_fma_f64 v[72:73], v[204:205], v[208:209], -v[72:73]
	v_mul_f64 v[204:205], v[204:205], v[74:75]
	v_fmac_f64_e32 v[204:205], v[206:207], v[208:209]
	v_add_f64 v[220:221], v[220:221], -v[72:73]
	v_add_f64 v[222:223], v[222:223], -v[204:205]
	v_mov_b64_e32 v[72:73], v[208:209]
.LBB111_334:
	s_or_b64 exec, exec, s[2:3]
	v_cmp_eq_u32_e32 vcc, 37, v200
	s_waitcnt vmcnt(63) expcnt(7) lgkmcnt(15)
	s_barrier
	s_and_saveexec_b64 s[4:5], vcc
	s_cbranch_execz .LBB111_341
; %bb.335:
	ds_write2_b64 v201, v[68:69], v[70:71] offset1:1
	ds_write2_b64 v202, v[64:65], v[66:67] offset0:76 offset1:77
	ds_write2_b64 v202, v[60:61], v[62:63] offset0:78 offset1:79
	;; [unrolled: 1-line block ×6, first 2 shown]
	s_waitcnt vmcnt(62)
	ds_write2_b64 v202, v[40:41], v[42:43] offset0:88 offset1:89
	s_waitcnt vmcnt(61)
	ds_write2_b64 v202, v[36:37], v[38:39] offset0:90 offset1:91
	;; [unrolled: 2-line block ×6, first 2 shown]
	ds_write2_b64 v202, v[16:17], v[18:19] offset0:100 offset1:101
	ds_write2_b64 v202, v[12:13], v[14:15] offset0:102 offset1:103
	;; [unrolled: 1-line block ×4, first 2 shown]
	s_waitcnt vmcnt(56)
	ds_write2_b64 v202, v[0:1], v[2:3] offset0:108 offset1:109
	s_waitcnt vmcnt(53)
	ds_write2_b64 v202, v[220:221], v[222:223] offset0:110 offset1:111
	ds_read2_b64 v[208:211], v201 offset1:1
	s_waitcnt lgkmcnt(0)
	v_cmp_neq_f64_e32 vcc, 0, v[208:209]
	v_cmp_neq_f64_e64 s[2:3], 0, v[210:211]
	s_or_b64 s[2:3], vcc, s[2:3]
	s_and_b64 exec, exec, s[2:3]
	s_cbranch_execz .LBB111_341
; %bb.336:
	v_cmp_ngt_f64_e64 s[2:3], |v[208:209]|, |v[210:211]|
                                        ; implicit-def: $vgpr204_vgpr205
	s_and_saveexec_b64 s[10:11], s[2:3]
	s_xor_b64 s[2:3], exec, s[10:11]
                                        ; implicit-def: $vgpr206_vgpr207
	s_cbranch_execz .LBB111_338
; %bb.337:
	v_div_scale_f64 v[204:205], s[10:11], v[210:211], v[210:211], v[208:209]
	v_rcp_f64_e32 v[206:207], v[204:205]
	v_div_scale_f64 v[212:213], vcc, v[208:209], v[210:211], v[208:209]
	v_fma_f64 v[214:215], -v[204:205], v[206:207], 1.0
	v_fmac_f64_e32 v[206:207], v[206:207], v[214:215]
	v_fma_f64 v[214:215], -v[204:205], v[206:207], 1.0
	v_fmac_f64_e32 v[206:207], v[206:207], v[214:215]
	v_mul_f64 v[214:215], v[212:213], v[206:207]
	v_fma_f64 v[204:205], -v[204:205], v[214:215], v[212:213]
	v_div_fmas_f64 v[204:205], v[204:205], v[206:207], v[214:215]
	v_div_fixup_f64 v[204:205], v[204:205], v[210:211], v[208:209]
	v_fmac_f64_e32 v[210:211], v[208:209], v[204:205]
	v_div_scale_f64 v[206:207], s[10:11], v[210:211], v[210:211], 1.0
	v_rcp_f64_e32 v[208:209], v[206:207]
	s_nop 0
	v_fma_f64 v[212:213], -v[206:207], v[208:209], 1.0
	v_fmac_f64_e32 v[208:209], v[208:209], v[212:213]
	v_fma_f64 v[212:213], -v[206:207], v[208:209], 1.0
	v_fmac_f64_e32 v[208:209], v[208:209], v[212:213]
	v_div_scale_f64 v[212:213], vcc, 1.0, v[210:211], 1.0
	v_mul_f64 v[214:215], v[212:213], v[208:209]
	v_fma_f64 v[206:207], -v[206:207], v[214:215], v[212:213]
	s_nop 1
	v_div_fmas_f64 v[206:207], v[206:207], v[208:209], v[214:215]
	v_div_fixup_f64 v[206:207], v[206:207], v[210:211], 1.0
	v_mul_f64 v[204:205], v[204:205], v[206:207]
	v_xor_b32_e32 v207, 0x80000000, v207
                                        ; implicit-def: $vgpr208_vgpr209
.LBB111_338:
	s_andn2_saveexec_b64 s[2:3], s[2:3]
	s_cbranch_execz .LBB111_340
; %bb.339:
	v_div_scale_f64 v[204:205], s[10:11], v[208:209], v[208:209], v[210:211]
	v_rcp_f64_e32 v[206:207], v[204:205]
	v_div_scale_f64 v[212:213], vcc, v[210:211], v[208:209], v[210:211]
	v_fma_f64 v[214:215], -v[204:205], v[206:207], 1.0
	v_fmac_f64_e32 v[206:207], v[206:207], v[214:215]
	v_fma_f64 v[214:215], -v[204:205], v[206:207], 1.0
	v_fmac_f64_e32 v[206:207], v[206:207], v[214:215]
	v_mul_f64 v[214:215], v[212:213], v[206:207]
	v_fma_f64 v[204:205], -v[204:205], v[214:215], v[212:213]
	v_div_fmas_f64 v[204:205], v[204:205], v[206:207], v[214:215]
	v_div_fixup_f64 v[206:207], v[204:205], v[208:209], v[210:211]
	v_fmac_f64_e32 v[208:209], v[210:211], v[206:207]
	v_div_scale_f64 v[204:205], s[10:11], v[208:209], v[208:209], 1.0
	v_rcp_f64_e32 v[210:211], v[204:205]
	s_nop 0
	v_fma_f64 v[212:213], -v[204:205], v[210:211], 1.0
	v_fmac_f64_e32 v[210:211], v[210:211], v[212:213]
	v_fma_f64 v[212:213], -v[204:205], v[210:211], 1.0
	v_fmac_f64_e32 v[210:211], v[210:211], v[212:213]
	v_div_scale_f64 v[212:213], vcc, 1.0, v[208:209], 1.0
	v_mul_f64 v[214:215], v[212:213], v[210:211]
	v_fma_f64 v[204:205], -v[204:205], v[214:215], v[212:213]
	s_nop 1
	v_div_fmas_f64 v[204:205], v[204:205], v[210:211], v[214:215]
	v_div_fixup_f64 v[204:205], v[204:205], v[208:209], 1.0
	v_mul_f64 v[206:207], v[206:207], -v[204:205]
.LBB111_340:
	s_or_b64 exec, exec, s[2:3]
	ds_write2_b64 v201, v[204:205], v[206:207] offset1:1
.LBB111_341:
	s_or_b64 exec, exec, s[4:5]
	s_waitcnt lgkmcnt(0)
	s_barrier
	ds_read2_b64 v[192:195], v201 offset1:1
	v_cmp_lt_u32_e32 vcc, 37, v200
	s_waitcnt lgkmcnt(0)
	scratch_store_dwordx4 off, v[192:195], off offset:1136 ; 16-byte Folded Spill
	s_and_saveexec_b64 s[2:3], vcc
	s_cbranch_execz .LBB111_343
; %bb.342:
	scratch_load_dwordx4 v[192:195], off, off offset:1136 ; 16-byte Folded Reload
	s_waitcnt vmcnt(0)
	v_mul_f64 v[204:205], v[194:195], v[70:71]
	v_fma_f64 v[208:209], v[192:193], v[68:69], -v[204:205]
	ds_read2_b64 v[204:207], v202 offset0:76 offset1:77
	v_mul_f64 v[70:71], v[192:193], v[70:71]
	v_fmac_f64_e32 v[70:71], v[194:195], v[68:69]
	s_waitcnt lgkmcnt(0)
	v_mul_f64 v[68:69], v[206:207], v[70:71]
	v_fma_f64 v[68:69], v[204:205], v[208:209], -v[68:69]
	v_mul_f64 v[204:205], v[204:205], v[70:71]
	v_fmac_f64_e32 v[204:205], v[206:207], v[208:209]
	v_add_f64 v[66:67], v[66:67], -v[204:205]
	ds_read2_b64 v[204:207], v202 offset0:78 offset1:79
	v_add_f64 v[64:65], v[64:65], -v[68:69]
	s_waitcnt lgkmcnt(0)
	v_mul_f64 v[68:69], v[206:207], v[70:71]
	v_fma_f64 v[68:69], v[204:205], v[208:209], -v[68:69]
	v_mul_f64 v[204:205], v[204:205], v[70:71]
	v_fmac_f64_e32 v[204:205], v[206:207], v[208:209]
	v_add_f64 v[62:63], v[62:63], -v[204:205]
	ds_read2_b64 v[204:207], v202 offset0:80 offset1:81
	v_add_f64 v[60:61], v[60:61], -v[68:69]
	;; [unrolled: 8-line block ×17, first 2 shown]
	s_waitcnt lgkmcnt(0)
	v_mul_f64 v[68:69], v[206:207], v[70:71]
	v_fma_f64 v[68:69], v[204:205], v[208:209], -v[68:69]
	v_mul_f64 v[204:205], v[204:205], v[70:71]
	v_fmac_f64_e32 v[204:205], v[206:207], v[208:209]
	v_add_f64 v[220:221], v[220:221], -v[68:69]
	v_add_f64 v[222:223], v[222:223], -v[204:205]
	v_mov_b64_e32 v[68:69], v[208:209]
.LBB111_343:
	s_or_b64 exec, exec, s[2:3]
	v_cmp_eq_u32_e32 vcc, 38, v200
	s_waitcnt vmcnt(63) expcnt(7) lgkmcnt(15)
	s_barrier
	s_and_saveexec_b64 s[4:5], vcc
	s_cbranch_execz .LBB111_350
; %bb.344:
	ds_write2_b64 v201, v[64:65], v[66:67] offset1:1
	ds_write2_b64 v202, v[60:61], v[62:63] offset0:78 offset1:79
	ds_write2_b64 v202, v[56:57], v[58:59] offset0:80 offset1:81
	ds_write2_b64 v202, v[52:53], v[54:55] offset0:82 offset1:83
	ds_write2_b64 v202, v[48:49], v[50:51] offset0:84 offset1:85
	ds_write2_b64 v202, v[44:45], v[46:47] offset0:86 offset1:87
	ds_write2_b64 v202, v[40:41], v[42:43] offset0:88 offset1:89
	s_waitcnt vmcnt(62)
	ds_write2_b64 v202, v[36:37], v[38:39] offset0:90 offset1:91
	s_waitcnt vmcnt(61)
	ds_write2_b64 v202, v[32:33], v[34:35] offset0:92 offset1:93
	;; [unrolled: 2-line block ×5, first 2 shown]
	ds_write2_b64 v202, v[16:17], v[18:19] offset0:100 offset1:101
	ds_write2_b64 v202, v[12:13], v[14:15] offset0:102 offset1:103
	;; [unrolled: 1-line block ×4, first 2 shown]
	s_waitcnt vmcnt(57)
	ds_write2_b64 v202, v[0:1], v[2:3] offset0:108 offset1:109
	s_waitcnt vmcnt(54)
	ds_write2_b64 v202, v[220:221], v[222:223] offset0:110 offset1:111
	ds_read2_b64 v[208:211], v201 offset1:1
	s_waitcnt lgkmcnt(0)
	v_cmp_neq_f64_e32 vcc, 0, v[208:209]
	v_cmp_neq_f64_e64 s[2:3], 0, v[210:211]
	s_or_b64 s[2:3], vcc, s[2:3]
	s_and_b64 exec, exec, s[2:3]
	s_cbranch_execz .LBB111_350
; %bb.345:
	v_cmp_ngt_f64_e64 s[2:3], |v[208:209]|, |v[210:211]|
                                        ; implicit-def: $vgpr204_vgpr205
	s_and_saveexec_b64 s[10:11], s[2:3]
	s_xor_b64 s[2:3], exec, s[10:11]
                                        ; implicit-def: $vgpr206_vgpr207
	s_cbranch_execz .LBB111_347
; %bb.346:
	v_div_scale_f64 v[204:205], s[10:11], v[210:211], v[210:211], v[208:209]
	v_rcp_f64_e32 v[206:207], v[204:205]
	v_div_scale_f64 v[212:213], vcc, v[208:209], v[210:211], v[208:209]
	v_fma_f64 v[214:215], -v[204:205], v[206:207], 1.0
	v_fmac_f64_e32 v[206:207], v[206:207], v[214:215]
	v_fma_f64 v[214:215], -v[204:205], v[206:207], 1.0
	v_fmac_f64_e32 v[206:207], v[206:207], v[214:215]
	v_mul_f64 v[214:215], v[212:213], v[206:207]
	v_fma_f64 v[204:205], -v[204:205], v[214:215], v[212:213]
	v_div_fmas_f64 v[204:205], v[204:205], v[206:207], v[214:215]
	v_div_fixup_f64 v[204:205], v[204:205], v[210:211], v[208:209]
	v_fmac_f64_e32 v[210:211], v[208:209], v[204:205]
	v_div_scale_f64 v[206:207], s[10:11], v[210:211], v[210:211], 1.0
	v_rcp_f64_e32 v[208:209], v[206:207]
	s_nop 0
	v_fma_f64 v[212:213], -v[206:207], v[208:209], 1.0
	v_fmac_f64_e32 v[208:209], v[208:209], v[212:213]
	v_fma_f64 v[212:213], -v[206:207], v[208:209], 1.0
	v_fmac_f64_e32 v[208:209], v[208:209], v[212:213]
	v_div_scale_f64 v[212:213], vcc, 1.0, v[210:211], 1.0
	v_mul_f64 v[214:215], v[212:213], v[208:209]
	v_fma_f64 v[206:207], -v[206:207], v[214:215], v[212:213]
	s_nop 1
	v_div_fmas_f64 v[206:207], v[206:207], v[208:209], v[214:215]
	v_div_fixup_f64 v[206:207], v[206:207], v[210:211], 1.0
	v_mul_f64 v[204:205], v[204:205], v[206:207]
	v_xor_b32_e32 v207, 0x80000000, v207
                                        ; implicit-def: $vgpr208_vgpr209
.LBB111_347:
	s_andn2_saveexec_b64 s[2:3], s[2:3]
	s_cbranch_execz .LBB111_349
; %bb.348:
	v_div_scale_f64 v[204:205], s[10:11], v[208:209], v[208:209], v[210:211]
	v_rcp_f64_e32 v[206:207], v[204:205]
	v_div_scale_f64 v[212:213], vcc, v[210:211], v[208:209], v[210:211]
	v_fma_f64 v[214:215], -v[204:205], v[206:207], 1.0
	v_fmac_f64_e32 v[206:207], v[206:207], v[214:215]
	v_fma_f64 v[214:215], -v[204:205], v[206:207], 1.0
	v_fmac_f64_e32 v[206:207], v[206:207], v[214:215]
	v_mul_f64 v[214:215], v[212:213], v[206:207]
	v_fma_f64 v[204:205], -v[204:205], v[214:215], v[212:213]
	v_div_fmas_f64 v[204:205], v[204:205], v[206:207], v[214:215]
	v_div_fixup_f64 v[206:207], v[204:205], v[208:209], v[210:211]
	v_fmac_f64_e32 v[208:209], v[210:211], v[206:207]
	v_div_scale_f64 v[204:205], s[10:11], v[208:209], v[208:209], 1.0
	v_rcp_f64_e32 v[210:211], v[204:205]
	s_nop 0
	v_fma_f64 v[212:213], -v[204:205], v[210:211], 1.0
	v_fmac_f64_e32 v[210:211], v[210:211], v[212:213]
	v_fma_f64 v[212:213], -v[204:205], v[210:211], 1.0
	v_fmac_f64_e32 v[210:211], v[210:211], v[212:213]
	v_div_scale_f64 v[212:213], vcc, 1.0, v[208:209], 1.0
	v_mul_f64 v[214:215], v[212:213], v[210:211]
	v_fma_f64 v[204:205], -v[204:205], v[214:215], v[212:213]
	s_nop 1
	v_div_fmas_f64 v[204:205], v[204:205], v[210:211], v[214:215]
	v_div_fixup_f64 v[204:205], v[204:205], v[208:209], 1.0
	v_mul_f64 v[206:207], v[206:207], -v[204:205]
.LBB111_349:
	s_or_b64 exec, exec, s[2:3]
	ds_write2_b64 v201, v[204:205], v[206:207] offset1:1
.LBB111_350:
	s_or_b64 exec, exec, s[4:5]
	s_waitcnt lgkmcnt(0)
	s_barrier
	ds_read2_b64 v[192:195], v201 offset1:1
	v_cmp_lt_u32_e32 vcc, 38, v200
	s_waitcnt lgkmcnt(0)
	scratch_store_dwordx4 off, v[192:195], off offset:1152 ; 16-byte Folded Spill
	s_and_saveexec_b64 s[2:3], vcc
	s_cbranch_execz .LBB111_352
; %bb.351:
	scratch_load_dwordx4 v[192:195], off, off offset:1152 ; 16-byte Folded Reload
	s_waitcnt vmcnt(0)
	v_mul_f64 v[204:205], v[194:195], v[66:67]
	v_fma_f64 v[208:209], v[192:193], v[64:65], -v[204:205]
	ds_read2_b64 v[204:207], v202 offset0:78 offset1:79
	v_mul_f64 v[66:67], v[192:193], v[66:67]
	v_fmac_f64_e32 v[66:67], v[194:195], v[64:65]
	s_waitcnt lgkmcnt(0)
	v_mul_f64 v[64:65], v[206:207], v[66:67]
	v_fma_f64 v[64:65], v[204:205], v[208:209], -v[64:65]
	v_mul_f64 v[204:205], v[204:205], v[66:67]
	v_fmac_f64_e32 v[204:205], v[206:207], v[208:209]
	v_add_f64 v[62:63], v[62:63], -v[204:205]
	ds_read2_b64 v[204:207], v202 offset0:80 offset1:81
	v_add_f64 v[60:61], v[60:61], -v[64:65]
	s_waitcnt lgkmcnt(0)
	v_mul_f64 v[64:65], v[206:207], v[66:67]
	v_fma_f64 v[64:65], v[204:205], v[208:209], -v[64:65]
	v_mul_f64 v[204:205], v[204:205], v[66:67]
	v_fmac_f64_e32 v[204:205], v[206:207], v[208:209]
	v_add_f64 v[58:59], v[58:59], -v[204:205]
	ds_read2_b64 v[204:207], v202 offset0:82 offset1:83
	v_add_f64 v[56:57], v[56:57], -v[64:65]
	;; [unrolled: 8-line block ×16, first 2 shown]
	s_waitcnt lgkmcnt(0)
	v_mul_f64 v[64:65], v[206:207], v[66:67]
	v_fma_f64 v[64:65], v[204:205], v[208:209], -v[64:65]
	v_mul_f64 v[204:205], v[204:205], v[66:67]
	v_fmac_f64_e32 v[204:205], v[206:207], v[208:209]
	v_add_f64 v[220:221], v[220:221], -v[64:65]
	v_add_f64 v[222:223], v[222:223], -v[204:205]
	v_mov_b64_e32 v[64:65], v[208:209]
.LBB111_352:
	s_or_b64 exec, exec, s[2:3]
	v_cmp_eq_u32_e32 vcc, 39, v200
	s_waitcnt vmcnt(63) expcnt(7) lgkmcnt(15)
	s_barrier
	s_and_saveexec_b64 s[4:5], vcc
	s_cbranch_execz .LBB111_359
; %bb.353:
	ds_write2_b64 v201, v[60:61], v[62:63] offset1:1
	ds_write2_b64 v202, v[56:57], v[58:59] offset0:80 offset1:81
	ds_write2_b64 v202, v[52:53], v[54:55] offset0:82 offset1:83
	;; [unrolled: 1-line block ×6, first 2 shown]
	s_waitcnt vmcnt(62)
	ds_write2_b64 v202, v[32:33], v[34:35] offset0:92 offset1:93
	s_waitcnt vmcnt(61)
	ds_write2_b64 v202, v[28:29], v[30:31] offset0:94 offset1:95
	;; [unrolled: 2-line block ×4, first 2 shown]
	ds_write2_b64 v202, v[16:17], v[18:19] offset0:100 offset1:101
	ds_write2_b64 v202, v[12:13], v[14:15] offset0:102 offset1:103
	;; [unrolled: 1-line block ×4, first 2 shown]
	s_waitcnt vmcnt(58)
	ds_write2_b64 v202, v[0:1], v[2:3] offset0:108 offset1:109
	s_waitcnt vmcnt(55)
	ds_write2_b64 v202, v[220:221], v[222:223] offset0:110 offset1:111
	ds_read2_b64 v[208:211], v201 offset1:1
	s_waitcnt lgkmcnt(0)
	v_cmp_neq_f64_e32 vcc, 0, v[208:209]
	v_cmp_neq_f64_e64 s[2:3], 0, v[210:211]
	s_or_b64 s[2:3], vcc, s[2:3]
	s_and_b64 exec, exec, s[2:3]
	s_cbranch_execz .LBB111_359
; %bb.354:
	v_cmp_ngt_f64_e64 s[2:3], |v[208:209]|, |v[210:211]|
                                        ; implicit-def: $vgpr204_vgpr205
	s_and_saveexec_b64 s[10:11], s[2:3]
	s_xor_b64 s[2:3], exec, s[10:11]
                                        ; implicit-def: $vgpr206_vgpr207
	s_cbranch_execz .LBB111_356
; %bb.355:
	v_div_scale_f64 v[204:205], s[10:11], v[210:211], v[210:211], v[208:209]
	v_rcp_f64_e32 v[206:207], v[204:205]
	v_div_scale_f64 v[212:213], vcc, v[208:209], v[210:211], v[208:209]
	v_fma_f64 v[214:215], -v[204:205], v[206:207], 1.0
	v_fmac_f64_e32 v[206:207], v[206:207], v[214:215]
	v_fma_f64 v[214:215], -v[204:205], v[206:207], 1.0
	v_fmac_f64_e32 v[206:207], v[206:207], v[214:215]
	v_mul_f64 v[214:215], v[212:213], v[206:207]
	v_fma_f64 v[204:205], -v[204:205], v[214:215], v[212:213]
	v_div_fmas_f64 v[204:205], v[204:205], v[206:207], v[214:215]
	v_div_fixup_f64 v[204:205], v[204:205], v[210:211], v[208:209]
	v_fmac_f64_e32 v[210:211], v[208:209], v[204:205]
	v_div_scale_f64 v[206:207], s[10:11], v[210:211], v[210:211], 1.0
	v_rcp_f64_e32 v[208:209], v[206:207]
	s_nop 0
	v_fma_f64 v[212:213], -v[206:207], v[208:209], 1.0
	v_fmac_f64_e32 v[208:209], v[208:209], v[212:213]
	v_fma_f64 v[212:213], -v[206:207], v[208:209], 1.0
	v_fmac_f64_e32 v[208:209], v[208:209], v[212:213]
	v_div_scale_f64 v[212:213], vcc, 1.0, v[210:211], 1.0
	v_mul_f64 v[214:215], v[212:213], v[208:209]
	v_fma_f64 v[206:207], -v[206:207], v[214:215], v[212:213]
	s_nop 1
	v_div_fmas_f64 v[206:207], v[206:207], v[208:209], v[214:215]
	v_div_fixup_f64 v[206:207], v[206:207], v[210:211], 1.0
	v_mul_f64 v[204:205], v[204:205], v[206:207]
	v_xor_b32_e32 v207, 0x80000000, v207
                                        ; implicit-def: $vgpr208_vgpr209
.LBB111_356:
	s_andn2_saveexec_b64 s[2:3], s[2:3]
	s_cbranch_execz .LBB111_358
; %bb.357:
	v_div_scale_f64 v[204:205], s[10:11], v[208:209], v[208:209], v[210:211]
	v_rcp_f64_e32 v[206:207], v[204:205]
	v_div_scale_f64 v[212:213], vcc, v[210:211], v[208:209], v[210:211]
	v_fma_f64 v[214:215], -v[204:205], v[206:207], 1.0
	v_fmac_f64_e32 v[206:207], v[206:207], v[214:215]
	v_fma_f64 v[214:215], -v[204:205], v[206:207], 1.0
	v_fmac_f64_e32 v[206:207], v[206:207], v[214:215]
	v_mul_f64 v[214:215], v[212:213], v[206:207]
	v_fma_f64 v[204:205], -v[204:205], v[214:215], v[212:213]
	v_div_fmas_f64 v[204:205], v[204:205], v[206:207], v[214:215]
	v_div_fixup_f64 v[206:207], v[204:205], v[208:209], v[210:211]
	v_fmac_f64_e32 v[208:209], v[210:211], v[206:207]
	v_div_scale_f64 v[204:205], s[10:11], v[208:209], v[208:209], 1.0
	v_rcp_f64_e32 v[210:211], v[204:205]
	s_nop 0
	v_fma_f64 v[212:213], -v[204:205], v[210:211], 1.0
	v_fmac_f64_e32 v[210:211], v[210:211], v[212:213]
	v_fma_f64 v[212:213], -v[204:205], v[210:211], 1.0
	v_fmac_f64_e32 v[210:211], v[210:211], v[212:213]
	v_div_scale_f64 v[212:213], vcc, 1.0, v[208:209], 1.0
	v_mul_f64 v[214:215], v[212:213], v[210:211]
	v_fma_f64 v[204:205], -v[204:205], v[214:215], v[212:213]
	s_nop 1
	v_div_fmas_f64 v[204:205], v[204:205], v[210:211], v[214:215]
	v_div_fixup_f64 v[204:205], v[204:205], v[208:209], 1.0
	v_mul_f64 v[206:207], v[206:207], -v[204:205]
.LBB111_358:
	s_or_b64 exec, exec, s[2:3]
	ds_write2_b64 v201, v[204:205], v[206:207] offset1:1
.LBB111_359:
	s_or_b64 exec, exec, s[4:5]
	s_waitcnt lgkmcnt(0)
	s_barrier
	ds_read2_b64 v[192:195], v201 offset1:1
	v_cmp_lt_u32_e32 vcc, 39, v200
	s_waitcnt lgkmcnt(0)
	scratch_store_dwordx4 off, v[192:195], off offset:1168 ; 16-byte Folded Spill
	s_and_saveexec_b64 s[2:3], vcc
	s_cbranch_execz .LBB111_361
; %bb.360:
	scratch_load_dwordx4 v[192:195], off, off offset:1168 ; 16-byte Folded Reload
	ds_read2_b64 v[204:207], v202 offset0:80 offset1:81
	s_waitcnt vmcnt(0)
	v_mul_f64 v[208:209], v[192:193], v[62:63]
	v_fmac_f64_e32 v[208:209], v[194:195], v[60:61]
	v_mul_f64 v[62:63], v[194:195], v[62:63]
	v_fma_f64 v[60:61], v[192:193], v[60:61], -v[62:63]
	s_waitcnt lgkmcnt(0)
	v_mul_f64 v[62:63], v[206:207], v[208:209]
	v_fma_f64 v[62:63], v[204:205], v[60:61], -v[62:63]
	v_mul_f64 v[204:205], v[204:205], v[208:209]
	v_fmac_f64_e32 v[204:205], v[206:207], v[60:61]
	v_add_f64 v[58:59], v[58:59], -v[204:205]
	ds_read2_b64 v[204:207], v202 offset0:82 offset1:83
	v_add_f64 v[56:57], v[56:57], -v[62:63]
	s_waitcnt lgkmcnt(0)
	v_mul_f64 v[62:63], v[206:207], v[208:209]
	v_fma_f64 v[62:63], v[204:205], v[60:61], -v[62:63]
	v_mul_f64 v[204:205], v[204:205], v[208:209]
	v_fmac_f64_e32 v[204:205], v[206:207], v[60:61]
	v_add_f64 v[54:55], v[54:55], -v[204:205]
	ds_read2_b64 v[204:207], v202 offset0:84 offset1:85
	v_add_f64 v[52:53], v[52:53], -v[62:63]
	;; [unrolled: 8-line block ×15, first 2 shown]
	s_waitcnt lgkmcnt(0)
	v_mul_f64 v[62:63], v[206:207], v[208:209]
	v_fma_f64 v[62:63], v[204:205], v[60:61], -v[62:63]
	v_mul_f64 v[204:205], v[204:205], v[208:209]
	v_fmac_f64_e32 v[204:205], v[206:207], v[60:61]
	v_add_f64 v[220:221], v[220:221], -v[62:63]
	v_add_f64 v[222:223], v[222:223], -v[204:205]
	v_mov_b64_e32 v[62:63], v[208:209]
.LBB111_361:
	s_or_b64 exec, exec, s[2:3]
	v_cmp_eq_u32_e32 vcc, 40, v200
	s_waitcnt vmcnt(63) expcnt(7) lgkmcnt(15)
	s_barrier
	s_and_saveexec_b64 s[4:5], vcc
	s_cbranch_execz .LBB111_368
; %bb.362:
	ds_write2_b64 v201, v[56:57], v[58:59] offset1:1
	ds_write2_b64 v202, v[52:53], v[54:55] offset0:82 offset1:83
	ds_write2_b64 v202, v[48:49], v[50:51] offset0:84 offset1:85
	;; [unrolled: 1-line block ×6, first 2 shown]
	s_waitcnt vmcnt(62)
	ds_write2_b64 v202, v[28:29], v[30:31] offset0:94 offset1:95
	s_waitcnt vmcnt(61)
	ds_write2_b64 v202, v[24:25], v[26:27] offset0:96 offset1:97
	;; [unrolled: 2-line block ×3, first 2 shown]
	ds_write2_b64 v202, v[16:17], v[18:19] offset0:100 offset1:101
	ds_write2_b64 v202, v[12:13], v[14:15] offset0:102 offset1:103
	ds_write2_b64 v202, v[8:9], v[10:11] offset0:104 offset1:105
	ds_write2_b64 v202, v[4:5], v[6:7] offset0:106 offset1:107
	s_waitcnt vmcnt(59)
	ds_write2_b64 v202, v[0:1], v[2:3] offset0:108 offset1:109
	s_waitcnt vmcnt(56)
	ds_write2_b64 v202, v[220:221], v[222:223] offset0:110 offset1:111
	ds_read2_b64 v[208:211], v201 offset1:1
	s_waitcnt lgkmcnt(0)
	v_cmp_neq_f64_e32 vcc, 0, v[208:209]
	v_cmp_neq_f64_e64 s[2:3], 0, v[210:211]
	s_or_b64 s[2:3], vcc, s[2:3]
	s_and_b64 exec, exec, s[2:3]
	s_cbranch_execz .LBB111_368
; %bb.363:
	v_cmp_ngt_f64_e64 s[2:3], |v[208:209]|, |v[210:211]|
                                        ; implicit-def: $vgpr204_vgpr205
	s_and_saveexec_b64 s[10:11], s[2:3]
	s_xor_b64 s[2:3], exec, s[10:11]
                                        ; implicit-def: $vgpr206_vgpr207
	s_cbranch_execz .LBB111_365
; %bb.364:
	v_div_scale_f64 v[204:205], s[10:11], v[210:211], v[210:211], v[208:209]
	v_rcp_f64_e32 v[206:207], v[204:205]
	v_div_scale_f64 v[212:213], vcc, v[208:209], v[210:211], v[208:209]
	v_fma_f64 v[214:215], -v[204:205], v[206:207], 1.0
	v_fmac_f64_e32 v[206:207], v[206:207], v[214:215]
	v_fma_f64 v[214:215], -v[204:205], v[206:207], 1.0
	v_fmac_f64_e32 v[206:207], v[206:207], v[214:215]
	v_mul_f64 v[214:215], v[212:213], v[206:207]
	v_fma_f64 v[204:205], -v[204:205], v[214:215], v[212:213]
	v_div_fmas_f64 v[204:205], v[204:205], v[206:207], v[214:215]
	v_div_fixup_f64 v[204:205], v[204:205], v[210:211], v[208:209]
	v_fmac_f64_e32 v[210:211], v[208:209], v[204:205]
	v_div_scale_f64 v[206:207], s[10:11], v[210:211], v[210:211], 1.0
	v_rcp_f64_e32 v[208:209], v[206:207]
	s_nop 0
	v_fma_f64 v[212:213], -v[206:207], v[208:209], 1.0
	v_fmac_f64_e32 v[208:209], v[208:209], v[212:213]
	v_fma_f64 v[212:213], -v[206:207], v[208:209], 1.0
	v_fmac_f64_e32 v[208:209], v[208:209], v[212:213]
	v_div_scale_f64 v[212:213], vcc, 1.0, v[210:211], 1.0
	v_mul_f64 v[214:215], v[212:213], v[208:209]
	v_fma_f64 v[206:207], -v[206:207], v[214:215], v[212:213]
	s_nop 1
	v_div_fmas_f64 v[206:207], v[206:207], v[208:209], v[214:215]
	v_div_fixup_f64 v[206:207], v[206:207], v[210:211], 1.0
	v_mul_f64 v[204:205], v[204:205], v[206:207]
	v_xor_b32_e32 v207, 0x80000000, v207
                                        ; implicit-def: $vgpr208_vgpr209
.LBB111_365:
	s_andn2_saveexec_b64 s[2:3], s[2:3]
	s_cbranch_execz .LBB111_367
; %bb.366:
	v_div_scale_f64 v[204:205], s[10:11], v[208:209], v[208:209], v[210:211]
	v_rcp_f64_e32 v[206:207], v[204:205]
	v_div_scale_f64 v[212:213], vcc, v[210:211], v[208:209], v[210:211]
	v_fma_f64 v[214:215], -v[204:205], v[206:207], 1.0
	v_fmac_f64_e32 v[206:207], v[206:207], v[214:215]
	v_fma_f64 v[214:215], -v[204:205], v[206:207], 1.0
	v_fmac_f64_e32 v[206:207], v[206:207], v[214:215]
	v_mul_f64 v[214:215], v[212:213], v[206:207]
	v_fma_f64 v[204:205], -v[204:205], v[214:215], v[212:213]
	v_div_fmas_f64 v[204:205], v[204:205], v[206:207], v[214:215]
	v_div_fixup_f64 v[206:207], v[204:205], v[208:209], v[210:211]
	v_fmac_f64_e32 v[208:209], v[210:211], v[206:207]
	v_div_scale_f64 v[204:205], s[10:11], v[208:209], v[208:209], 1.0
	v_rcp_f64_e32 v[210:211], v[204:205]
	s_nop 0
	v_fma_f64 v[212:213], -v[204:205], v[210:211], 1.0
	v_fmac_f64_e32 v[210:211], v[210:211], v[212:213]
	v_fma_f64 v[212:213], -v[204:205], v[210:211], 1.0
	v_fmac_f64_e32 v[210:211], v[210:211], v[212:213]
	v_div_scale_f64 v[212:213], vcc, 1.0, v[208:209], 1.0
	v_mul_f64 v[214:215], v[212:213], v[210:211]
	v_fma_f64 v[204:205], -v[204:205], v[214:215], v[212:213]
	s_nop 1
	v_div_fmas_f64 v[204:205], v[204:205], v[210:211], v[214:215]
	v_div_fixup_f64 v[204:205], v[204:205], v[208:209], 1.0
	v_mul_f64 v[206:207], v[206:207], -v[204:205]
.LBB111_367:
	s_or_b64 exec, exec, s[2:3]
	ds_write2_b64 v201, v[204:205], v[206:207] offset1:1
.LBB111_368:
	s_or_b64 exec, exec, s[4:5]
	s_waitcnt lgkmcnt(0)
	s_barrier
	ds_read2_b64 v[192:195], v201 offset1:1
	v_cmp_lt_u32_e32 vcc, 40, v200
	s_waitcnt lgkmcnt(0)
	scratch_store_dwordx4 off, v[192:195], off offset:1184 ; 16-byte Folded Spill
	s_and_saveexec_b64 s[2:3], vcc
	s_cbranch_execz .LBB111_370
; %bb.369:
	scratch_load_dwordx4 v[192:195], off, off offset:1184 ; 16-byte Folded Reload
	ds_read2_b64 v[204:207], v202 offset0:82 offset1:83
	s_waitcnt vmcnt(0)
	v_mul_f64 v[208:209], v[192:193], v[58:59]
	v_fmac_f64_e32 v[208:209], v[194:195], v[56:57]
	v_mul_f64 v[58:59], v[194:195], v[58:59]
	v_fma_f64 v[56:57], v[192:193], v[56:57], -v[58:59]
	s_waitcnt lgkmcnt(0)
	v_mul_f64 v[58:59], v[206:207], v[208:209]
	v_fma_f64 v[58:59], v[204:205], v[56:57], -v[58:59]
	v_mul_f64 v[204:205], v[204:205], v[208:209]
	v_fmac_f64_e32 v[204:205], v[206:207], v[56:57]
	v_add_f64 v[54:55], v[54:55], -v[204:205]
	ds_read2_b64 v[204:207], v202 offset0:84 offset1:85
	v_add_f64 v[52:53], v[52:53], -v[58:59]
	s_waitcnt lgkmcnt(0)
	v_mul_f64 v[58:59], v[206:207], v[208:209]
	v_fma_f64 v[58:59], v[204:205], v[56:57], -v[58:59]
	v_mul_f64 v[204:205], v[204:205], v[208:209]
	v_fmac_f64_e32 v[204:205], v[206:207], v[56:57]
	v_add_f64 v[50:51], v[50:51], -v[204:205]
	ds_read2_b64 v[204:207], v202 offset0:86 offset1:87
	v_add_f64 v[48:49], v[48:49], -v[58:59]
	;; [unrolled: 8-line block ×14, first 2 shown]
	s_waitcnt lgkmcnt(0)
	v_mul_f64 v[58:59], v[206:207], v[208:209]
	v_fma_f64 v[58:59], v[204:205], v[56:57], -v[58:59]
	v_mul_f64 v[204:205], v[204:205], v[208:209]
	v_fmac_f64_e32 v[204:205], v[206:207], v[56:57]
	v_add_f64 v[220:221], v[220:221], -v[58:59]
	v_add_f64 v[222:223], v[222:223], -v[204:205]
	v_mov_b64_e32 v[58:59], v[208:209]
.LBB111_370:
	s_or_b64 exec, exec, s[2:3]
	v_cmp_eq_u32_e32 vcc, 41, v200
	s_waitcnt vmcnt(63) expcnt(7) lgkmcnt(15)
	s_barrier
	s_and_saveexec_b64 s[4:5], vcc
	s_cbranch_execz .LBB111_377
; %bb.371:
	ds_write2_b64 v201, v[52:53], v[54:55] offset1:1
	ds_write2_b64 v202, v[48:49], v[50:51] offset0:84 offset1:85
	ds_write2_b64 v202, v[44:45], v[46:47] offset0:86 offset1:87
	;; [unrolled: 1-line block ×6, first 2 shown]
	s_waitcnt vmcnt(62)
	ds_write2_b64 v202, v[24:25], v[26:27] offset0:96 offset1:97
	s_waitcnt vmcnt(61)
	ds_write2_b64 v202, v[20:21], v[22:23] offset0:98 offset1:99
	ds_write2_b64 v202, v[16:17], v[18:19] offset0:100 offset1:101
	;; [unrolled: 1-line block ×5, first 2 shown]
	s_waitcnt vmcnt(60)
	ds_write2_b64 v202, v[0:1], v[2:3] offset0:108 offset1:109
	s_waitcnt vmcnt(57)
	ds_write2_b64 v202, v[220:221], v[222:223] offset0:110 offset1:111
	ds_read2_b64 v[208:211], v201 offset1:1
	s_waitcnt lgkmcnt(0)
	v_cmp_neq_f64_e32 vcc, 0, v[208:209]
	v_cmp_neq_f64_e64 s[2:3], 0, v[210:211]
	s_or_b64 s[2:3], vcc, s[2:3]
	s_and_b64 exec, exec, s[2:3]
	s_cbranch_execz .LBB111_377
; %bb.372:
	v_cmp_ngt_f64_e64 s[2:3], |v[208:209]|, |v[210:211]|
                                        ; implicit-def: $vgpr204_vgpr205
	s_and_saveexec_b64 s[10:11], s[2:3]
	s_xor_b64 s[2:3], exec, s[10:11]
                                        ; implicit-def: $vgpr206_vgpr207
	s_cbranch_execz .LBB111_374
; %bb.373:
	v_div_scale_f64 v[204:205], s[10:11], v[210:211], v[210:211], v[208:209]
	v_rcp_f64_e32 v[206:207], v[204:205]
	v_div_scale_f64 v[212:213], vcc, v[208:209], v[210:211], v[208:209]
	v_fma_f64 v[214:215], -v[204:205], v[206:207], 1.0
	v_fmac_f64_e32 v[206:207], v[206:207], v[214:215]
	v_fma_f64 v[214:215], -v[204:205], v[206:207], 1.0
	v_fmac_f64_e32 v[206:207], v[206:207], v[214:215]
	v_mul_f64 v[214:215], v[212:213], v[206:207]
	v_fma_f64 v[204:205], -v[204:205], v[214:215], v[212:213]
	v_div_fmas_f64 v[204:205], v[204:205], v[206:207], v[214:215]
	v_div_fixup_f64 v[204:205], v[204:205], v[210:211], v[208:209]
	v_fmac_f64_e32 v[210:211], v[208:209], v[204:205]
	v_div_scale_f64 v[206:207], s[10:11], v[210:211], v[210:211], 1.0
	v_rcp_f64_e32 v[208:209], v[206:207]
	s_nop 0
	v_fma_f64 v[212:213], -v[206:207], v[208:209], 1.0
	v_fmac_f64_e32 v[208:209], v[208:209], v[212:213]
	v_fma_f64 v[212:213], -v[206:207], v[208:209], 1.0
	v_fmac_f64_e32 v[208:209], v[208:209], v[212:213]
	v_div_scale_f64 v[212:213], vcc, 1.0, v[210:211], 1.0
	v_mul_f64 v[214:215], v[212:213], v[208:209]
	v_fma_f64 v[206:207], -v[206:207], v[214:215], v[212:213]
	s_nop 1
	v_div_fmas_f64 v[206:207], v[206:207], v[208:209], v[214:215]
	v_div_fixup_f64 v[206:207], v[206:207], v[210:211], 1.0
	v_mul_f64 v[204:205], v[204:205], v[206:207]
	v_xor_b32_e32 v207, 0x80000000, v207
                                        ; implicit-def: $vgpr208_vgpr209
.LBB111_374:
	s_andn2_saveexec_b64 s[2:3], s[2:3]
	s_cbranch_execz .LBB111_376
; %bb.375:
	v_div_scale_f64 v[204:205], s[10:11], v[208:209], v[208:209], v[210:211]
	v_rcp_f64_e32 v[206:207], v[204:205]
	v_div_scale_f64 v[212:213], vcc, v[210:211], v[208:209], v[210:211]
	v_fma_f64 v[214:215], -v[204:205], v[206:207], 1.0
	v_fmac_f64_e32 v[206:207], v[206:207], v[214:215]
	v_fma_f64 v[214:215], -v[204:205], v[206:207], 1.0
	v_fmac_f64_e32 v[206:207], v[206:207], v[214:215]
	v_mul_f64 v[214:215], v[212:213], v[206:207]
	v_fma_f64 v[204:205], -v[204:205], v[214:215], v[212:213]
	v_div_fmas_f64 v[204:205], v[204:205], v[206:207], v[214:215]
	v_div_fixup_f64 v[206:207], v[204:205], v[208:209], v[210:211]
	v_fmac_f64_e32 v[208:209], v[210:211], v[206:207]
	v_div_scale_f64 v[204:205], s[10:11], v[208:209], v[208:209], 1.0
	v_rcp_f64_e32 v[210:211], v[204:205]
	s_nop 0
	v_fma_f64 v[212:213], -v[204:205], v[210:211], 1.0
	v_fmac_f64_e32 v[210:211], v[210:211], v[212:213]
	v_fma_f64 v[212:213], -v[204:205], v[210:211], 1.0
	v_fmac_f64_e32 v[210:211], v[210:211], v[212:213]
	v_div_scale_f64 v[212:213], vcc, 1.0, v[208:209], 1.0
	v_mul_f64 v[214:215], v[212:213], v[210:211]
	v_fma_f64 v[204:205], -v[204:205], v[214:215], v[212:213]
	s_nop 1
	v_div_fmas_f64 v[204:205], v[204:205], v[210:211], v[214:215]
	v_div_fixup_f64 v[204:205], v[204:205], v[208:209], 1.0
	v_mul_f64 v[206:207], v[206:207], -v[204:205]
.LBB111_376:
	s_or_b64 exec, exec, s[2:3]
	ds_write2_b64 v201, v[204:205], v[206:207] offset1:1
.LBB111_377:
	s_or_b64 exec, exec, s[4:5]
	s_waitcnt lgkmcnt(0)
	s_barrier
	ds_read2_b64 v[192:195], v201 offset1:1
	v_cmp_lt_u32_e32 vcc, 41, v200
	s_waitcnt lgkmcnt(0)
	scratch_store_dwordx4 off, v[192:195], off offset:1200 ; 16-byte Folded Spill
	s_and_saveexec_b64 s[2:3], vcc
	s_cbranch_execz .LBB111_379
; %bb.378:
	scratch_load_dwordx4 v[192:195], off, off offset:1200 ; 16-byte Folded Reload
	ds_read2_b64 v[204:207], v202 offset0:84 offset1:85
	s_waitcnt vmcnt(0)
	v_mul_f64 v[208:209], v[192:193], v[54:55]
	v_fmac_f64_e32 v[208:209], v[194:195], v[52:53]
	v_mul_f64 v[54:55], v[194:195], v[54:55]
	v_fma_f64 v[52:53], v[192:193], v[52:53], -v[54:55]
	s_waitcnt lgkmcnt(0)
	v_mul_f64 v[54:55], v[206:207], v[208:209]
	v_fma_f64 v[54:55], v[204:205], v[52:53], -v[54:55]
	v_mul_f64 v[204:205], v[204:205], v[208:209]
	v_fmac_f64_e32 v[204:205], v[206:207], v[52:53]
	v_add_f64 v[50:51], v[50:51], -v[204:205]
	ds_read2_b64 v[204:207], v202 offset0:86 offset1:87
	v_add_f64 v[48:49], v[48:49], -v[54:55]
	s_waitcnt lgkmcnt(0)
	v_mul_f64 v[54:55], v[206:207], v[208:209]
	v_fma_f64 v[54:55], v[204:205], v[52:53], -v[54:55]
	v_mul_f64 v[204:205], v[204:205], v[208:209]
	v_fmac_f64_e32 v[204:205], v[206:207], v[52:53]
	v_add_f64 v[46:47], v[46:47], -v[204:205]
	ds_read2_b64 v[204:207], v202 offset0:88 offset1:89
	v_add_f64 v[44:45], v[44:45], -v[54:55]
	;; [unrolled: 8-line block ×13, first 2 shown]
	s_waitcnt lgkmcnt(0)
	v_mul_f64 v[54:55], v[206:207], v[208:209]
	v_fma_f64 v[54:55], v[204:205], v[52:53], -v[54:55]
	v_mul_f64 v[204:205], v[204:205], v[208:209]
	v_fmac_f64_e32 v[204:205], v[206:207], v[52:53]
	v_add_f64 v[220:221], v[220:221], -v[54:55]
	v_add_f64 v[222:223], v[222:223], -v[204:205]
	v_mov_b64_e32 v[54:55], v[208:209]
.LBB111_379:
	s_or_b64 exec, exec, s[2:3]
	v_cmp_eq_u32_e32 vcc, 42, v200
	s_waitcnt vmcnt(63) expcnt(7) lgkmcnt(15)
	s_barrier
	s_and_saveexec_b64 s[4:5], vcc
	s_cbranch_execz .LBB111_386
; %bb.380:
	ds_write2_b64 v201, v[48:49], v[50:51] offset1:1
	ds_write2_b64 v202, v[44:45], v[46:47] offset0:86 offset1:87
	ds_write2_b64 v202, v[40:41], v[42:43] offset0:88 offset1:89
	;; [unrolled: 1-line block ×6, first 2 shown]
	s_waitcnt vmcnt(62)
	ds_write2_b64 v202, v[20:21], v[22:23] offset0:98 offset1:99
	ds_write2_b64 v202, v[16:17], v[18:19] offset0:100 offset1:101
	;; [unrolled: 1-line block ×5, first 2 shown]
	s_waitcnt vmcnt(61)
	ds_write2_b64 v202, v[0:1], v[2:3] offset0:108 offset1:109
	s_waitcnt vmcnt(58)
	ds_write2_b64 v202, v[220:221], v[222:223] offset0:110 offset1:111
	ds_read2_b64 v[208:211], v201 offset1:1
	s_waitcnt lgkmcnt(0)
	v_cmp_neq_f64_e32 vcc, 0, v[208:209]
	v_cmp_neq_f64_e64 s[2:3], 0, v[210:211]
	s_or_b64 s[2:3], vcc, s[2:3]
	s_and_b64 exec, exec, s[2:3]
	s_cbranch_execz .LBB111_386
; %bb.381:
	v_cmp_ngt_f64_e64 s[2:3], |v[208:209]|, |v[210:211]|
                                        ; implicit-def: $vgpr204_vgpr205
	s_and_saveexec_b64 s[10:11], s[2:3]
	s_xor_b64 s[2:3], exec, s[10:11]
                                        ; implicit-def: $vgpr206_vgpr207
	s_cbranch_execz .LBB111_383
; %bb.382:
	v_div_scale_f64 v[204:205], s[10:11], v[210:211], v[210:211], v[208:209]
	v_rcp_f64_e32 v[206:207], v[204:205]
	v_div_scale_f64 v[212:213], vcc, v[208:209], v[210:211], v[208:209]
	v_fma_f64 v[214:215], -v[204:205], v[206:207], 1.0
	v_fmac_f64_e32 v[206:207], v[206:207], v[214:215]
	v_fma_f64 v[214:215], -v[204:205], v[206:207], 1.0
	v_fmac_f64_e32 v[206:207], v[206:207], v[214:215]
	v_mul_f64 v[214:215], v[212:213], v[206:207]
	v_fma_f64 v[204:205], -v[204:205], v[214:215], v[212:213]
	v_div_fmas_f64 v[204:205], v[204:205], v[206:207], v[214:215]
	v_div_fixup_f64 v[204:205], v[204:205], v[210:211], v[208:209]
	v_fmac_f64_e32 v[210:211], v[208:209], v[204:205]
	v_div_scale_f64 v[206:207], s[10:11], v[210:211], v[210:211], 1.0
	v_rcp_f64_e32 v[208:209], v[206:207]
	s_nop 0
	v_fma_f64 v[212:213], -v[206:207], v[208:209], 1.0
	v_fmac_f64_e32 v[208:209], v[208:209], v[212:213]
	v_fma_f64 v[212:213], -v[206:207], v[208:209], 1.0
	v_fmac_f64_e32 v[208:209], v[208:209], v[212:213]
	v_div_scale_f64 v[212:213], vcc, 1.0, v[210:211], 1.0
	v_mul_f64 v[214:215], v[212:213], v[208:209]
	v_fma_f64 v[206:207], -v[206:207], v[214:215], v[212:213]
	s_nop 1
	v_div_fmas_f64 v[206:207], v[206:207], v[208:209], v[214:215]
	v_div_fixup_f64 v[206:207], v[206:207], v[210:211], 1.0
	v_mul_f64 v[204:205], v[204:205], v[206:207]
	v_xor_b32_e32 v207, 0x80000000, v207
                                        ; implicit-def: $vgpr208_vgpr209
.LBB111_383:
	s_andn2_saveexec_b64 s[2:3], s[2:3]
	s_cbranch_execz .LBB111_385
; %bb.384:
	v_div_scale_f64 v[204:205], s[10:11], v[208:209], v[208:209], v[210:211]
	v_rcp_f64_e32 v[206:207], v[204:205]
	v_div_scale_f64 v[212:213], vcc, v[210:211], v[208:209], v[210:211]
	v_fma_f64 v[214:215], -v[204:205], v[206:207], 1.0
	v_fmac_f64_e32 v[206:207], v[206:207], v[214:215]
	v_fma_f64 v[214:215], -v[204:205], v[206:207], 1.0
	v_fmac_f64_e32 v[206:207], v[206:207], v[214:215]
	v_mul_f64 v[214:215], v[212:213], v[206:207]
	v_fma_f64 v[204:205], -v[204:205], v[214:215], v[212:213]
	v_div_fmas_f64 v[204:205], v[204:205], v[206:207], v[214:215]
	v_div_fixup_f64 v[206:207], v[204:205], v[208:209], v[210:211]
	v_fmac_f64_e32 v[208:209], v[210:211], v[206:207]
	v_div_scale_f64 v[204:205], s[10:11], v[208:209], v[208:209], 1.0
	v_rcp_f64_e32 v[210:211], v[204:205]
	s_nop 0
	v_fma_f64 v[212:213], -v[204:205], v[210:211], 1.0
	v_fmac_f64_e32 v[210:211], v[210:211], v[212:213]
	v_fma_f64 v[212:213], -v[204:205], v[210:211], 1.0
	v_fmac_f64_e32 v[210:211], v[210:211], v[212:213]
	v_div_scale_f64 v[212:213], vcc, 1.0, v[208:209], 1.0
	v_mul_f64 v[214:215], v[212:213], v[210:211]
	v_fma_f64 v[204:205], -v[204:205], v[214:215], v[212:213]
	s_nop 1
	v_div_fmas_f64 v[204:205], v[204:205], v[210:211], v[214:215]
	v_div_fixup_f64 v[204:205], v[204:205], v[208:209], 1.0
	v_mul_f64 v[206:207], v[206:207], -v[204:205]
.LBB111_385:
	s_or_b64 exec, exec, s[2:3]
	ds_write2_b64 v201, v[204:205], v[206:207] offset1:1
.LBB111_386:
	s_or_b64 exec, exec, s[4:5]
	s_waitcnt lgkmcnt(0)
	s_barrier
	ds_read2_b64 v[192:195], v201 offset1:1
	v_cmp_lt_u32_e32 vcc, 42, v200
	s_waitcnt lgkmcnt(0)
	scratch_store_dwordx4 off, v[192:195], off offset:1216 ; 16-byte Folded Spill
	s_and_saveexec_b64 s[2:3], vcc
	s_cbranch_execz .LBB111_388
; %bb.387:
	scratch_load_dwordx4 v[192:195], off, off offset:1216 ; 16-byte Folded Reload
	ds_read2_b64 v[204:207], v202 offset0:86 offset1:87
	s_waitcnt vmcnt(0)
	v_mul_f64 v[208:209], v[192:193], v[50:51]
	v_fmac_f64_e32 v[208:209], v[194:195], v[48:49]
	v_mul_f64 v[50:51], v[194:195], v[50:51]
	v_fma_f64 v[48:49], v[192:193], v[48:49], -v[50:51]
	s_waitcnt lgkmcnt(0)
	v_mul_f64 v[50:51], v[206:207], v[208:209]
	v_fma_f64 v[50:51], v[204:205], v[48:49], -v[50:51]
	v_mul_f64 v[204:205], v[204:205], v[208:209]
	v_fmac_f64_e32 v[204:205], v[206:207], v[48:49]
	v_add_f64 v[46:47], v[46:47], -v[204:205]
	ds_read2_b64 v[204:207], v202 offset0:88 offset1:89
	v_add_f64 v[44:45], v[44:45], -v[50:51]
	s_waitcnt lgkmcnt(0)
	v_mul_f64 v[50:51], v[206:207], v[208:209]
	v_fma_f64 v[50:51], v[204:205], v[48:49], -v[50:51]
	v_mul_f64 v[204:205], v[204:205], v[208:209]
	v_fmac_f64_e32 v[204:205], v[206:207], v[48:49]
	v_add_f64 v[42:43], v[42:43], -v[204:205]
	ds_read2_b64 v[204:207], v202 offset0:90 offset1:91
	v_add_f64 v[40:41], v[40:41], -v[50:51]
	;; [unrolled: 8-line block ×12, first 2 shown]
	s_waitcnt lgkmcnt(0)
	v_mul_f64 v[50:51], v[206:207], v[208:209]
	v_fma_f64 v[50:51], v[204:205], v[48:49], -v[50:51]
	v_mul_f64 v[204:205], v[204:205], v[208:209]
	v_fmac_f64_e32 v[204:205], v[206:207], v[48:49]
	v_add_f64 v[220:221], v[220:221], -v[50:51]
	v_add_f64 v[222:223], v[222:223], -v[204:205]
	v_mov_b64_e32 v[50:51], v[208:209]
.LBB111_388:
	s_or_b64 exec, exec, s[2:3]
	v_cmp_eq_u32_e32 vcc, 43, v200
	s_waitcnt vmcnt(63) expcnt(7) lgkmcnt(15)
	s_barrier
	s_and_saveexec_b64 s[4:5], vcc
	s_cbranch_execz .LBB111_395
; %bb.389:
	ds_write2_b64 v201, v[44:45], v[46:47] offset1:1
	ds_write2_b64 v202, v[40:41], v[42:43] offset0:88 offset1:89
	ds_write2_b64 v202, v[36:37], v[38:39] offset0:90 offset1:91
	;; [unrolled: 1-line block ×10, first 2 shown]
	s_waitcnt vmcnt(62)
	ds_write2_b64 v202, v[0:1], v[2:3] offset0:108 offset1:109
	s_waitcnt vmcnt(59)
	ds_write2_b64 v202, v[220:221], v[222:223] offset0:110 offset1:111
	ds_read2_b64 v[208:211], v201 offset1:1
	s_waitcnt lgkmcnt(0)
	v_cmp_neq_f64_e32 vcc, 0, v[208:209]
	v_cmp_neq_f64_e64 s[2:3], 0, v[210:211]
	s_or_b64 s[2:3], vcc, s[2:3]
	s_and_b64 exec, exec, s[2:3]
	s_cbranch_execz .LBB111_395
; %bb.390:
	v_cmp_ngt_f64_e64 s[2:3], |v[208:209]|, |v[210:211]|
                                        ; implicit-def: $vgpr204_vgpr205
	s_and_saveexec_b64 s[10:11], s[2:3]
	s_xor_b64 s[2:3], exec, s[10:11]
                                        ; implicit-def: $vgpr206_vgpr207
	s_cbranch_execz .LBB111_392
; %bb.391:
	v_div_scale_f64 v[204:205], s[10:11], v[210:211], v[210:211], v[208:209]
	v_rcp_f64_e32 v[206:207], v[204:205]
	v_div_scale_f64 v[212:213], vcc, v[208:209], v[210:211], v[208:209]
	v_fma_f64 v[214:215], -v[204:205], v[206:207], 1.0
	v_fmac_f64_e32 v[206:207], v[206:207], v[214:215]
	v_fma_f64 v[214:215], -v[204:205], v[206:207], 1.0
	v_fmac_f64_e32 v[206:207], v[206:207], v[214:215]
	v_mul_f64 v[214:215], v[212:213], v[206:207]
	v_fma_f64 v[204:205], -v[204:205], v[214:215], v[212:213]
	v_div_fmas_f64 v[204:205], v[204:205], v[206:207], v[214:215]
	v_div_fixup_f64 v[204:205], v[204:205], v[210:211], v[208:209]
	v_fmac_f64_e32 v[210:211], v[208:209], v[204:205]
	v_div_scale_f64 v[206:207], s[10:11], v[210:211], v[210:211], 1.0
	v_rcp_f64_e32 v[208:209], v[206:207]
	s_nop 0
	v_fma_f64 v[212:213], -v[206:207], v[208:209], 1.0
	v_fmac_f64_e32 v[208:209], v[208:209], v[212:213]
	v_fma_f64 v[212:213], -v[206:207], v[208:209], 1.0
	v_fmac_f64_e32 v[208:209], v[208:209], v[212:213]
	v_div_scale_f64 v[212:213], vcc, 1.0, v[210:211], 1.0
	v_mul_f64 v[214:215], v[212:213], v[208:209]
	v_fma_f64 v[206:207], -v[206:207], v[214:215], v[212:213]
	s_nop 1
	v_div_fmas_f64 v[206:207], v[206:207], v[208:209], v[214:215]
	v_div_fixup_f64 v[206:207], v[206:207], v[210:211], 1.0
	v_mul_f64 v[204:205], v[204:205], v[206:207]
	v_xor_b32_e32 v207, 0x80000000, v207
                                        ; implicit-def: $vgpr208_vgpr209
.LBB111_392:
	s_andn2_saveexec_b64 s[2:3], s[2:3]
	s_cbranch_execz .LBB111_394
; %bb.393:
	v_div_scale_f64 v[204:205], s[10:11], v[208:209], v[208:209], v[210:211]
	v_rcp_f64_e32 v[206:207], v[204:205]
	v_div_scale_f64 v[212:213], vcc, v[210:211], v[208:209], v[210:211]
	v_fma_f64 v[214:215], -v[204:205], v[206:207], 1.0
	v_fmac_f64_e32 v[206:207], v[206:207], v[214:215]
	v_fma_f64 v[214:215], -v[204:205], v[206:207], 1.0
	v_fmac_f64_e32 v[206:207], v[206:207], v[214:215]
	v_mul_f64 v[214:215], v[212:213], v[206:207]
	v_fma_f64 v[204:205], -v[204:205], v[214:215], v[212:213]
	v_div_fmas_f64 v[204:205], v[204:205], v[206:207], v[214:215]
	v_div_fixup_f64 v[206:207], v[204:205], v[208:209], v[210:211]
	v_fmac_f64_e32 v[208:209], v[210:211], v[206:207]
	v_div_scale_f64 v[204:205], s[10:11], v[208:209], v[208:209], 1.0
	v_rcp_f64_e32 v[210:211], v[204:205]
	s_nop 0
	v_fma_f64 v[212:213], -v[204:205], v[210:211], 1.0
	v_fmac_f64_e32 v[210:211], v[210:211], v[212:213]
	v_fma_f64 v[212:213], -v[204:205], v[210:211], 1.0
	v_fmac_f64_e32 v[210:211], v[210:211], v[212:213]
	v_div_scale_f64 v[212:213], vcc, 1.0, v[208:209], 1.0
	v_mul_f64 v[214:215], v[212:213], v[210:211]
	v_fma_f64 v[204:205], -v[204:205], v[214:215], v[212:213]
	s_nop 1
	v_div_fmas_f64 v[204:205], v[204:205], v[210:211], v[214:215]
	v_div_fixup_f64 v[204:205], v[204:205], v[208:209], 1.0
	v_mul_f64 v[206:207], v[206:207], -v[204:205]
.LBB111_394:
	s_or_b64 exec, exec, s[2:3]
	ds_write2_b64 v201, v[204:205], v[206:207] offset1:1
.LBB111_395:
	s_or_b64 exec, exec, s[4:5]
	s_waitcnt lgkmcnt(0)
	s_barrier
	ds_read2_b64 v[192:195], v201 offset1:1
	v_cmp_lt_u32_e32 vcc, 43, v200
	s_waitcnt lgkmcnt(0)
	scratch_store_dwordx4 off, v[192:195], off offset:1232 ; 16-byte Folded Spill
	s_and_saveexec_b64 s[2:3], vcc
	s_cbranch_execz .LBB111_397
; %bb.396:
	scratch_load_dwordx4 v[192:195], off, off offset:1232 ; 16-byte Folded Reload
	ds_read2_b64 v[204:207], v202 offset0:88 offset1:89
	s_waitcnt vmcnt(0)
	v_mul_f64 v[208:209], v[192:193], v[46:47]
	v_fmac_f64_e32 v[208:209], v[194:195], v[44:45]
	v_mul_f64 v[46:47], v[194:195], v[46:47]
	v_fma_f64 v[44:45], v[192:193], v[44:45], -v[46:47]
	s_waitcnt lgkmcnt(0)
	v_mul_f64 v[46:47], v[206:207], v[208:209]
	v_fma_f64 v[46:47], v[204:205], v[44:45], -v[46:47]
	v_mul_f64 v[204:205], v[204:205], v[208:209]
	v_fmac_f64_e32 v[204:205], v[206:207], v[44:45]
	v_add_f64 v[42:43], v[42:43], -v[204:205]
	ds_read2_b64 v[204:207], v202 offset0:90 offset1:91
	v_add_f64 v[40:41], v[40:41], -v[46:47]
	s_waitcnt lgkmcnt(0)
	v_mul_f64 v[46:47], v[206:207], v[208:209]
	v_fma_f64 v[46:47], v[204:205], v[44:45], -v[46:47]
	v_mul_f64 v[204:205], v[204:205], v[208:209]
	v_fmac_f64_e32 v[204:205], v[206:207], v[44:45]
	v_add_f64 v[38:39], v[38:39], -v[204:205]
	ds_read2_b64 v[204:207], v202 offset0:92 offset1:93
	v_add_f64 v[36:37], v[36:37], -v[46:47]
	;; [unrolled: 8-line block ×11, first 2 shown]
	s_waitcnt lgkmcnt(0)
	v_mul_f64 v[46:47], v[206:207], v[208:209]
	v_fma_f64 v[46:47], v[204:205], v[44:45], -v[46:47]
	v_mul_f64 v[204:205], v[204:205], v[208:209]
	v_fmac_f64_e32 v[204:205], v[206:207], v[44:45]
	v_add_f64 v[220:221], v[220:221], -v[46:47]
	v_add_f64 v[222:223], v[222:223], -v[204:205]
	v_mov_b64_e32 v[46:47], v[208:209]
.LBB111_397:
	s_or_b64 exec, exec, s[2:3]
	v_cmp_eq_u32_e32 vcc, 44, v200
	s_waitcnt vmcnt(63) expcnt(7) lgkmcnt(15)
	s_barrier
	s_and_saveexec_b64 s[4:5], vcc
	s_cbranch_execz .LBB111_404
; %bb.398:
	ds_write2_b64 v201, v[40:41], v[42:43] offset1:1
	ds_write2_b64 v202, v[36:37], v[38:39] offset0:90 offset1:91
	ds_write2_b64 v202, v[32:33], v[34:35] offset0:92 offset1:93
	;; [unrolled: 1-line block ×10, first 2 shown]
	s_waitcnt vmcnt(60)
	ds_write2_b64 v202, v[220:221], v[222:223] offset0:110 offset1:111
	ds_read2_b64 v[208:211], v201 offset1:1
	s_waitcnt lgkmcnt(0)
	v_cmp_neq_f64_e32 vcc, 0, v[208:209]
	v_cmp_neq_f64_e64 s[2:3], 0, v[210:211]
	s_or_b64 s[2:3], vcc, s[2:3]
	s_and_b64 exec, exec, s[2:3]
	s_cbranch_execz .LBB111_404
; %bb.399:
	v_cmp_ngt_f64_e64 s[2:3], |v[208:209]|, |v[210:211]|
                                        ; implicit-def: $vgpr204_vgpr205
	s_and_saveexec_b64 s[10:11], s[2:3]
	s_xor_b64 s[2:3], exec, s[10:11]
                                        ; implicit-def: $vgpr206_vgpr207
	s_cbranch_execz .LBB111_401
; %bb.400:
	v_div_scale_f64 v[204:205], s[10:11], v[210:211], v[210:211], v[208:209]
	v_rcp_f64_e32 v[206:207], v[204:205]
	v_div_scale_f64 v[212:213], vcc, v[208:209], v[210:211], v[208:209]
	v_fma_f64 v[214:215], -v[204:205], v[206:207], 1.0
	v_fmac_f64_e32 v[206:207], v[206:207], v[214:215]
	v_fma_f64 v[214:215], -v[204:205], v[206:207], 1.0
	v_fmac_f64_e32 v[206:207], v[206:207], v[214:215]
	v_mul_f64 v[214:215], v[212:213], v[206:207]
	v_fma_f64 v[204:205], -v[204:205], v[214:215], v[212:213]
	v_div_fmas_f64 v[204:205], v[204:205], v[206:207], v[214:215]
	v_div_fixup_f64 v[204:205], v[204:205], v[210:211], v[208:209]
	v_fmac_f64_e32 v[210:211], v[208:209], v[204:205]
	v_div_scale_f64 v[206:207], s[10:11], v[210:211], v[210:211], 1.0
	v_rcp_f64_e32 v[208:209], v[206:207]
	s_nop 0
	v_fma_f64 v[212:213], -v[206:207], v[208:209], 1.0
	v_fmac_f64_e32 v[208:209], v[208:209], v[212:213]
	v_fma_f64 v[212:213], -v[206:207], v[208:209], 1.0
	v_fmac_f64_e32 v[208:209], v[208:209], v[212:213]
	v_div_scale_f64 v[212:213], vcc, 1.0, v[210:211], 1.0
	v_mul_f64 v[214:215], v[212:213], v[208:209]
	v_fma_f64 v[206:207], -v[206:207], v[214:215], v[212:213]
	s_nop 1
	v_div_fmas_f64 v[206:207], v[206:207], v[208:209], v[214:215]
	v_div_fixup_f64 v[206:207], v[206:207], v[210:211], 1.0
	v_mul_f64 v[204:205], v[204:205], v[206:207]
	v_xor_b32_e32 v207, 0x80000000, v207
                                        ; implicit-def: $vgpr208_vgpr209
.LBB111_401:
	s_andn2_saveexec_b64 s[2:3], s[2:3]
	s_cbranch_execz .LBB111_403
; %bb.402:
	v_div_scale_f64 v[204:205], s[10:11], v[208:209], v[208:209], v[210:211]
	v_rcp_f64_e32 v[206:207], v[204:205]
	v_div_scale_f64 v[212:213], vcc, v[210:211], v[208:209], v[210:211]
	v_fma_f64 v[214:215], -v[204:205], v[206:207], 1.0
	v_fmac_f64_e32 v[206:207], v[206:207], v[214:215]
	v_fma_f64 v[214:215], -v[204:205], v[206:207], 1.0
	v_fmac_f64_e32 v[206:207], v[206:207], v[214:215]
	v_mul_f64 v[214:215], v[212:213], v[206:207]
	v_fma_f64 v[204:205], -v[204:205], v[214:215], v[212:213]
	v_div_fmas_f64 v[204:205], v[204:205], v[206:207], v[214:215]
	v_div_fixup_f64 v[206:207], v[204:205], v[208:209], v[210:211]
	v_fmac_f64_e32 v[208:209], v[210:211], v[206:207]
	v_div_scale_f64 v[204:205], s[10:11], v[208:209], v[208:209], 1.0
	v_rcp_f64_e32 v[210:211], v[204:205]
	s_nop 0
	v_fma_f64 v[212:213], -v[204:205], v[210:211], 1.0
	v_fmac_f64_e32 v[210:211], v[210:211], v[212:213]
	v_fma_f64 v[212:213], -v[204:205], v[210:211], 1.0
	v_fmac_f64_e32 v[210:211], v[210:211], v[212:213]
	v_div_scale_f64 v[212:213], vcc, 1.0, v[208:209], 1.0
	v_mul_f64 v[214:215], v[212:213], v[210:211]
	v_fma_f64 v[204:205], -v[204:205], v[214:215], v[212:213]
	s_nop 1
	v_div_fmas_f64 v[204:205], v[204:205], v[210:211], v[214:215]
	v_div_fixup_f64 v[204:205], v[204:205], v[208:209], 1.0
	v_mul_f64 v[206:207], v[206:207], -v[204:205]
.LBB111_403:
	s_or_b64 exec, exec, s[2:3]
	ds_write2_b64 v201, v[204:205], v[206:207] offset1:1
.LBB111_404:
	s_or_b64 exec, exec, s[4:5]
	s_waitcnt lgkmcnt(0)
	s_barrier
	ds_read2_b64 v[244:247], v201 offset1:1
	v_cmp_lt_u32_e32 vcc, 44, v200
	s_and_saveexec_b64 s[2:3], vcc
	s_cbranch_execz .LBB111_406
; %bb.405:
	ds_read2_b64 v[204:207], v202 offset0:90 offset1:91
	s_waitcnt lgkmcnt(1)
	v_mul_f64 v[208:209], v[244:245], v[42:43]
	v_fmac_f64_e32 v[208:209], v[246:247], v[40:41]
	v_mul_f64 v[42:43], v[246:247], v[42:43]
	v_fma_f64 v[40:41], v[244:245], v[40:41], -v[42:43]
	s_waitcnt lgkmcnt(0)
	v_mul_f64 v[42:43], v[206:207], v[208:209]
	v_fma_f64 v[42:43], v[204:205], v[40:41], -v[42:43]
	v_mul_f64 v[204:205], v[204:205], v[208:209]
	v_fmac_f64_e32 v[204:205], v[206:207], v[40:41]
	v_add_f64 v[38:39], v[38:39], -v[204:205]
	ds_read2_b64 v[204:207], v202 offset0:92 offset1:93
	v_add_f64 v[36:37], v[36:37], -v[42:43]
	s_waitcnt lgkmcnt(0)
	v_mul_f64 v[42:43], v[206:207], v[208:209]
	v_fma_f64 v[42:43], v[204:205], v[40:41], -v[42:43]
	v_mul_f64 v[204:205], v[204:205], v[208:209]
	v_fmac_f64_e32 v[204:205], v[206:207], v[40:41]
	v_add_f64 v[34:35], v[34:35], -v[204:205]
	ds_read2_b64 v[204:207], v202 offset0:94 offset1:95
	v_add_f64 v[32:33], v[32:33], -v[42:43]
	;; [unrolled: 8-line block ×10, first 2 shown]
	s_waitcnt lgkmcnt(0)
	v_mul_f64 v[42:43], v[206:207], v[208:209]
	v_fma_f64 v[42:43], v[204:205], v[40:41], -v[42:43]
	v_mul_f64 v[204:205], v[204:205], v[208:209]
	v_fmac_f64_e32 v[204:205], v[206:207], v[40:41]
	s_waitcnt vmcnt(60)
	v_add_f64 v[220:221], v[220:221], -v[42:43]
	v_add_f64 v[222:223], v[222:223], -v[204:205]
	v_mov_b64_e32 v[42:43], v[208:209]
.LBB111_406:
	s_or_b64 exec, exec, s[2:3]
	v_cmp_eq_u32_e32 vcc, 45, v200
	s_waitcnt lgkmcnt(0)
	s_barrier
	s_and_saveexec_b64 s[4:5], vcc
	s_cbranch_execz .LBB111_413
; %bb.407:
	ds_write2_b64 v201, v[36:37], v[38:39] offset1:1
	ds_write2_b64 v202, v[32:33], v[34:35] offset0:92 offset1:93
	ds_write2_b64 v202, v[28:29], v[30:31] offset0:94 offset1:95
	ds_write2_b64 v202, v[24:25], v[26:27] offset0:96 offset1:97
	ds_write2_b64 v202, v[20:21], v[22:23] offset0:98 offset1:99
	ds_write2_b64 v202, v[16:17], v[18:19] offset0:100 offset1:101
	ds_write2_b64 v202, v[12:13], v[14:15] offset0:102 offset1:103
	ds_write2_b64 v202, v[8:9], v[10:11] offset0:104 offset1:105
	ds_write2_b64 v202, v[4:5], v[6:7] offset0:106 offset1:107
	ds_write2_b64 v202, v[0:1], v[2:3] offset0:108 offset1:109
	s_waitcnt vmcnt(60)
	ds_write2_b64 v202, v[220:221], v[222:223] offset0:110 offset1:111
	ds_read2_b64 v[208:211], v201 offset1:1
	s_waitcnt lgkmcnt(0)
	v_cmp_neq_f64_e32 vcc, 0, v[208:209]
	v_cmp_neq_f64_e64 s[2:3], 0, v[210:211]
	s_or_b64 s[2:3], vcc, s[2:3]
	s_and_b64 exec, exec, s[2:3]
	s_cbranch_execz .LBB111_413
; %bb.408:
	v_cmp_ngt_f64_e64 s[2:3], |v[208:209]|, |v[210:211]|
                                        ; implicit-def: $vgpr204_vgpr205
	s_and_saveexec_b64 s[10:11], s[2:3]
	s_xor_b64 s[2:3], exec, s[10:11]
                                        ; implicit-def: $vgpr206_vgpr207
	s_cbranch_execz .LBB111_410
; %bb.409:
	v_div_scale_f64 v[204:205], s[10:11], v[210:211], v[210:211], v[208:209]
	v_rcp_f64_e32 v[206:207], v[204:205]
	v_div_scale_f64 v[212:213], vcc, v[208:209], v[210:211], v[208:209]
	v_fma_f64 v[214:215], -v[204:205], v[206:207], 1.0
	v_fmac_f64_e32 v[206:207], v[206:207], v[214:215]
	v_fma_f64 v[214:215], -v[204:205], v[206:207], 1.0
	v_fmac_f64_e32 v[206:207], v[206:207], v[214:215]
	v_mul_f64 v[214:215], v[212:213], v[206:207]
	v_fma_f64 v[204:205], -v[204:205], v[214:215], v[212:213]
	v_div_fmas_f64 v[204:205], v[204:205], v[206:207], v[214:215]
	v_div_fixup_f64 v[204:205], v[204:205], v[210:211], v[208:209]
	v_fmac_f64_e32 v[210:211], v[208:209], v[204:205]
	v_div_scale_f64 v[206:207], s[10:11], v[210:211], v[210:211], 1.0
	v_rcp_f64_e32 v[208:209], v[206:207]
	s_nop 0
	v_fma_f64 v[212:213], -v[206:207], v[208:209], 1.0
	v_fmac_f64_e32 v[208:209], v[208:209], v[212:213]
	v_fma_f64 v[212:213], -v[206:207], v[208:209], 1.0
	v_fmac_f64_e32 v[208:209], v[208:209], v[212:213]
	v_div_scale_f64 v[212:213], vcc, 1.0, v[210:211], 1.0
	v_mul_f64 v[214:215], v[212:213], v[208:209]
	v_fma_f64 v[206:207], -v[206:207], v[214:215], v[212:213]
	s_nop 1
	v_div_fmas_f64 v[206:207], v[206:207], v[208:209], v[214:215]
	v_div_fixup_f64 v[206:207], v[206:207], v[210:211], 1.0
	v_mul_f64 v[204:205], v[204:205], v[206:207]
	v_xor_b32_e32 v207, 0x80000000, v207
                                        ; implicit-def: $vgpr208_vgpr209
.LBB111_410:
	s_andn2_saveexec_b64 s[2:3], s[2:3]
	s_cbranch_execz .LBB111_412
; %bb.411:
	v_div_scale_f64 v[204:205], s[10:11], v[208:209], v[208:209], v[210:211]
	v_rcp_f64_e32 v[206:207], v[204:205]
	v_div_scale_f64 v[212:213], vcc, v[210:211], v[208:209], v[210:211]
	v_fma_f64 v[214:215], -v[204:205], v[206:207], 1.0
	v_fmac_f64_e32 v[206:207], v[206:207], v[214:215]
	v_fma_f64 v[214:215], -v[204:205], v[206:207], 1.0
	v_fmac_f64_e32 v[206:207], v[206:207], v[214:215]
	v_mul_f64 v[214:215], v[212:213], v[206:207]
	v_fma_f64 v[204:205], -v[204:205], v[214:215], v[212:213]
	v_div_fmas_f64 v[204:205], v[204:205], v[206:207], v[214:215]
	v_div_fixup_f64 v[206:207], v[204:205], v[208:209], v[210:211]
	v_fmac_f64_e32 v[208:209], v[210:211], v[206:207]
	v_div_scale_f64 v[204:205], s[10:11], v[208:209], v[208:209], 1.0
	v_rcp_f64_e32 v[210:211], v[204:205]
	s_nop 0
	v_fma_f64 v[212:213], -v[204:205], v[210:211], 1.0
	v_fmac_f64_e32 v[210:211], v[210:211], v[212:213]
	v_fma_f64 v[212:213], -v[204:205], v[210:211], 1.0
	v_fmac_f64_e32 v[210:211], v[210:211], v[212:213]
	v_div_scale_f64 v[212:213], vcc, 1.0, v[208:209], 1.0
	v_mul_f64 v[214:215], v[212:213], v[210:211]
	v_fma_f64 v[204:205], -v[204:205], v[214:215], v[212:213]
	s_nop 1
	v_div_fmas_f64 v[204:205], v[204:205], v[210:211], v[214:215]
	v_div_fixup_f64 v[204:205], v[204:205], v[208:209], 1.0
	v_mul_f64 v[206:207], v[206:207], -v[204:205]
.LBB111_412:
	s_or_b64 exec, exec, s[2:3]
	ds_write2_b64 v201, v[204:205], v[206:207] offset1:1
.LBB111_413:
	s_or_b64 exec, exec, s[4:5]
	s_waitcnt lgkmcnt(0)
	s_barrier
	ds_read2_b64 v[248:251], v201 offset1:1
	v_cmp_lt_u32_e32 vcc, 45, v200
	s_and_saveexec_b64 s[2:3], vcc
	s_cbranch_execz .LBB111_415
; %bb.414:
	ds_read2_b64 v[204:207], v202 offset0:92 offset1:93
	s_waitcnt lgkmcnt(1)
	v_mul_f64 v[208:209], v[248:249], v[38:39]
	v_fmac_f64_e32 v[208:209], v[250:251], v[36:37]
	v_mul_f64 v[38:39], v[250:251], v[38:39]
	v_fma_f64 v[36:37], v[248:249], v[36:37], -v[38:39]
	s_waitcnt lgkmcnt(0)
	v_mul_f64 v[38:39], v[206:207], v[208:209]
	v_fma_f64 v[38:39], v[204:205], v[36:37], -v[38:39]
	v_mul_f64 v[204:205], v[204:205], v[208:209]
	v_fmac_f64_e32 v[204:205], v[206:207], v[36:37]
	v_add_f64 v[34:35], v[34:35], -v[204:205]
	ds_read2_b64 v[204:207], v202 offset0:94 offset1:95
	v_add_f64 v[32:33], v[32:33], -v[38:39]
	s_waitcnt lgkmcnt(0)
	v_mul_f64 v[38:39], v[206:207], v[208:209]
	v_fma_f64 v[38:39], v[204:205], v[36:37], -v[38:39]
	v_mul_f64 v[204:205], v[204:205], v[208:209]
	v_fmac_f64_e32 v[204:205], v[206:207], v[36:37]
	v_add_f64 v[30:31], v[30:31], -v[204:205]
	ds_read2_b64 v[204:207], v202 offset0:96 offset1:97
	v_add_f64 v[28:29], v[28:29], -v[38:39]
	;; [unrolled: 8-line block ×9, first 2 shown]
	s_waitcnt lgkmcnt(0)
	v_mul_f64 v[38:39], v[206:207], v[208:209]
	v_fma_f64 v[38:39], v[204:205], v[36:37], -v[38:39]
	v_mul_f64 v[204:205], v[204:205], v[208:209]
	v_fmac_f64_e32 v[204:205], v[206:207], v[36:37]
	s_waitcnt vmcnt(60)
	v_add_f64 v[220:221], v[220:221], -v[38:39]
	v_add_f64 v[222:223], v[222:223], -v[204:205]
	v_mov_b64_e32 v[38:39], v[208:209]
.LBB111_415:
	s_or_b64 exec, exec, s[2:3]
	v_cmp_eq_u32_e32 vcc, 46, v200
	s_waitcnt lgkmcnt(0)
	s_barrier
	s_and_saveexec_b64 s[4:5], vcc
	s_cbranch_execz .LBB111_422
; %bb.416:
	ds_write2_b64 v201, v[32:33], v[34:35] offset1:1
	ds_write2_b64 v202, v[28:29], v[30:31] offset0:94 offset1:95
	ds_write2_b64 v202, v[24:25], v[26:27] offset0:96 offset1:97
	;; [unrolled: 1-line block ×8, first 2 shown]
	s_waitcnt vmcnt(60)
	ds_write2_b64 v202, v[220:221], v[222:223] offset0:110 offset1:111
	ds_read2_b64 v[208:211], v201 offset1:1
	s_waitcnt lgkmcnt(0)
	v_cmp_neq_f64_e32 vcc, 0, v[208:209]
	v_cmp_neq_f64_e64 s[2:3], 0, v[210:211]
	s_or_b64 s[2:3], vcc, s[2:3]
	s_and_b64 exec, exec, s[2:3]
	s_cbranch_execz .LBB111_422
; %bb.417:
	v_cmp_ngt_f64_e64 s[2:3], |v[208:209]|, |v[210:211]|
                                        ; implicit-def: $vgpr204_vgpr205
	s_and_saveexec_b64 s[10:11], s[2:3]
	s_xor_b64 s[2:3], exec, s[10:11]
                                        ; implicit-def: $vgpr206_vgpr207
	s_cbranch_execz .LBB111_419
; %bb.418:
	v_div_scale_f64 v[204:205], s[10:11], v[210:211], v[210:211], v[208:209]
	v_rcp_f64_e32 v[206:207], v[204:205]
	v_div_scale_f64 v[212:213], vcc, v[208:209], v[210:211], v[208:209]
	v_fma_f64 v[214:215], -v[204:205], v[206:207], 1.0
	v_fmac_f64_e32 v[206:207], v[206:207], v[214:215]
	v_fma_f64 v[214:215], -v[204:205], v[206:207], 1.0
	v_fmac_f64_e32 v[206:207], v[206:207], v[214:215]
	v_mul_f64 v[214:215], v[212:213], v[206:207]
	v_fma_f64 v[204:205], -v[204:205], v[214:215], v[212:213]
	v_div_fmas_f64 v[204:205], v[204:205], v[206:207], v[214:215]
	v_div_fixup_f64 v[204:205], v[204:205], v[210:211], v[208:209]
	v_fmac_f64_e32 v[210:211], v[208:209], v[204:205]
	v_div_scale_f64 v[206:207], s[10:11], v[210:211], v[210:211], 1.0
	v_rcp_f64_e32 v[208:209], v[206:207]
	s_nop 0
	v_fma_f64 v[212:213], -v[206:207], v[208:209], 1.0
	v_fmac_f64_e32 v[208:209], v[208:209], v[212:213]
	v_fma_f64 v[212:213], -v[206:207], v[208:209], 1.0
	v_fmac_f64_e32 v[208:209], v[208:209], v[212:213]
	v_div_scale_f64 v[212:213], vcc, 1.0, v[210:211], 1.0
	v_mul_f64 v[214:215], v[212:213], v[208:209]
	v_fma_f64 v[206:207], -v[206:207], v[214:215], v[212:213]
	s_nop 1
	v_div_fmas_f64 v[206:207], v[206:207], v[208:209], v[214:215]
	v_div_fixup_f64 v[206:207], v[206:207], v[210:211], 1.0
	v_mul_f64 v[204:205], v[204:205], v[206:207]
	v_xor_b32_e32 v207, 0x80000000, v207
                                        ; implicit-def: $vgpr208_vgpr209
.LBB111_419:
	s_andn2_saveexec_b64 s[2:3], s[2:3]
	s_cbranch_execz .LBB111_421
; %bb.420:
	v_div_scale_f64 v[204:205], s[10:11], v[208:209], v[208:209], v[210:211]
	v_rcp_f64_e32 v[206:207], v[204:205]
	v_div_scale_f64 v[212:213], vcc, v[210:211], v[208:209], v[210:211]
	v_fma_f64 v[214:215], -v[204:205], v[206:207], 1.0
	v_fmac_f64_e32 v[206:207], v[206:207], v[214:215]
	v_fma_f64 v[214:215], -v[204:205], v[206:207], 1.0
	v_fmac_f64_e32 v[206:207], v[206:207], v[214:215]
	v_mul_f64 v[214:215], v[212:213], v[206:207]
	v_fma_f64 v[204:205], -v[204:205], v[214:215], v[212:213]
	v_div_fmas_f64 v[204:205], v[204:205], v[206:207], v[214:215]
	v_div_fixup_f64 v[206:207], v[204:205], v[208:209], v[210:211]
	v_fmac_f64_e32 v[208:209], v[210:211], v[206:207]
	v_div_scale_f64 v[204:205], s[10:11], v[208:209], v[208:209], 1.0
	v_rcp_f64_e32 v[210:211], v[204:205]
	s_nop 0
	v_fma_f64 v[212:213], -v[204:205], v[210:211], 1.0
	v_fmac_f64_e32 v[210:211], v[210:211], v[212:213]
	v_fma_f64 v[212:213], -v[204:205], v[210:211], 1.0
	v_fmac_f64_e32 v[210:211], v[210:211], v[212:213]
	v_div_scale_f64 v[212:213], vcc, 1.0, v[208:209], 1.0
	v_mul_f64 v[214:215], v[212:213], v[210:211]
	v_fma_f64 v[204:205], -v[204:205], v[214:215], v[212:213]
	s_nop 1
	v_div_fmas_f64 v[204:205], v[204:205], v[210:211], v[214:215]
	v_div_fixup_f64 v[204:205], v[204:205], v[208:209], 1.0
	v_mul_f64 v[206:207], v[206:207], -v[204:205]
.LBB111_421:
	s_or_b64 exec, exec, s[2:3]
	ds_write2_b64 v201, v[204:205], v[206:207] offset1:1
.LBB111_422:
	s_or_b64 exec, exec, s[4:5]
	s_waitcnt lgkmcnt(0)
	s_barrier
	ds_read2_b64 v[252:255], v201 offset1:1
	v_cmp_lt_u32_e32 vcc, 46, v200
	s_and_saveexec_b64 s[2:3], vcc
	s_cbranch_execz .LBB111_424
; %bb.423:
	ds_read2_b64 v[204:207], v202 offset0:94 offset1:95
	s_waitcnt lgkmcnt(1)
	v_mul_f64 v[208:209], v[252:253], v[34:35]
	v_fmac_f64_e32 v[208:209], v[254:255], v[32:33]
	v_mul_f64 v[34:35], v[254:255], v[34:35]
	v_fma_f64 v[32:33], v[252:253], v[32:33], -v[34:35]
	s_waitcnt lgkmcnt(0)
	v_mul_f64 v[34:35], v[206:207], v[208:209]
	v_fma_f64 v[34:35], v[204:205], v[32:33], -v[34:35]
	v_mul_f64 v[204:205], v[204:205], v[208:209]
	v_fmac_f64_e32 v[204:205], v[206:207], v[32:33]
	v_add_f64 v[30:31], v[30:31], -v[204:205]
	ds_read2_b64 v[204:207], v202 offset0:96 offset1:97
	v_add_f64 v[28:29], v[28:29], -v[34:35]
	s_waitcnt lgkmcnt(0)
	v_mul_f64 v[34:35], v[206:207], v[208:209]
	v_fma_f64 v[34:35], v[204:205], v[32:33], -v[34:35]
	v_mul_f64 v[204:205], v[204:205], v[208:209]
	v_fmac_f64_e32 v[204:205], v[206:207], v[32:33]
	v_add_f64 v[26:27], v[26:27], -v[204:205]
	ds_read2_b64 v[204:207], v202 offset0:98 offset1:99
	v_add_f64 v[24:25], v[24:25], -v[34:35]
	;; [unrolled: 8-line block ×8, first 2 shown]
	s_waitcnt lgkmcnt(0)
	v_mul_f64 v[34:35], v[206:207], v[208:209]
	v_fma_f64 v[34:35], v[204:205], v[32:33], -v[34:35]
	v_mul_f64 v[204:205], v[204:205], v[208:209]
	v_fmac_f64_e32 v[204:205], v[206:207], v[32:33]
	s_waitcnt vmcnt(60)
	v_add_f64 v[220:221], v[220:221], -v[34:35]
	v_add_f64 v[222:223], v[222:223], -v[204:205]
	v_mov_b64_e32 v[34:35], v[208:209]
.LBB111_424:
	s_or_b64 exec, exec, s[2:3]
	v_cmp_eq_u32_e32 vcc, 47, v200
	s_waitcnt lgkmcnt(0)
	s_barrier
	s_and_saveexec_b64 s[4:5], vcc
	s_cbranch_execz .LBB111_431
; %bb.425:
	ds_write2_b64 v201, v[28:29], v[30:31] offset1:1
	ds_write2_b64 v202, v[24:25], v[26:27] offset0:96 offset1:97
	ds_write2_b64 v202, v[20:21], v[22:23] offset0:98 offset1:99
	;; [unrolled: 1-line block ×7, first 2 shown]
	s_waitcnt vmcnt(60)
	ds_write2_b64 v202, v[220:221], v[222:223] offset0:110 offset1:111
	ds_read2_b64 v[208:211], v201 offset1:1
	s_waitcnt lgkmcnt(0)
	v_cmp_neq_f64_e32 vcc, 0, v[208:209]
	v_cmp_neq_f64_e64 s[2:3], 0, v[210:211]
	s_or_b64 s[2:3], vcc, s[2:3]
	s_and_b64 exec, exec, s[2:3]
	s_cbranch_execz .LBB111_431
; %bb.426:
	v_cmp_ngt_f64_e64 s[2:3], |v[208:209]|, |v[210:211]|
                                        ; implicit-def: $vgpr204_vgpr205
	s_and_saveexec_b64 s[10:11], s[2:3]
	s_xor_b64 s[2:3], exec, s[10:11]
                                        ; implicit-def: $vgpr206_vgpr207
	s_cbranch_execz .LBB111_428
; %bb.427:
	v_div_scale_f64 v[204:205], s[10:11], v[210:211], v[210:211], v[208:209]
	v_rcp_f64_e32 v[206:207], v[204:205]
	v_div_scale_f64 v[212:213], vcc, v[208:209], v[210:211], v[208:209]
	v_fma_f64 v[214:215], -v[204:205], v[206:207], 1.0
	v_fmac_f64_e32 v[206:207], v[206:207], v[214:215]
	v_fma_f64 v[214:215], -v[204:205], v[206:207], 1.0
	v_fmac_f64_e32 v[206:207], v[206:207], v[214:215]
	v_mul_f64 v[214:215], v[212:213], v[206:207]
	v_fma_f64 v[204:205], -v[204:205], v[214:215], v[212:213]
	v_div_fmas_f64 v[204:205], v[204:205], v[206:207], v[214:215]
	v_div_fixup_f64 v[204:205], v[204:205], v[210:211], v[208:209]
	v_fmac_f64_e32 v[210:211], v[208:209], v[204:205]
	v_div_scale_f64 v[206:207], s[10:11], v[210:211], v[210:211], 1.0
	v_rcp_f64_e32 v[208:209], v[206:207]
	s_nop 0
	v_fma_f64 v[212:213], -v[206:207], v[208:209], 1.0
	v_fmac_f64_e32 v[208:209], v[208:209], v[212:213]
	v_fma_f64 v[212:213], -v[206:207], v[208:209], 1.0
	v_fmac_f64_e32 v[208:209], v[208:209], v[212:213]
	v_div_scale_f64 v[212:213], vcc, 1.0, v[210:211], 1.0
	v_mul_f64 v[214:215], v[212:213], v[208:209]
	v_fma_f64 v[206:207], -v[206:207], v[214:215], v[212:213]
	s_nop 1
	v_div_fmas_f64 v[206:207], v[206:207], v[208:209], v[214:215]
	v_div_fixup_f64 v[206:207], v[206:207], v[210:211], 1.0
	v_mul_f64 v[204:205], v[204:205], v[206:207]
	v_xor_b32_e32 v207, 0x80000000, v207
                                        ; implicit-def: $vgpr208_vgpr209
.LBB111_428:
	s_andn2_saveexec_b64 s[2:3], s[2:3]
	s_cbranch_execz .LBB111_430
; %bb.429:
	v_div_scale_f64 v[204:205], s[10:11], v[208:209], v[208:209], v[210:211]
	v_rcp_f64_e32 v[206:207], v[204:205]
	v_div_scale_f64 v[212:213], vcc, v[210:211], v[208:209], v[210:211]
	v_fma_f64 v[214:215], -v[204:205], v[206:207], 1.0
	v_fmac_f64_e32 v[206:207], v[206:207], v[214:215]
	v_fma_f64 v[214:215], -v[204:205], v[206:207], 1.0
	v_fmac_f64_e32 v[206:207], v[206:207], v[214:215]
	v_mul_f64 v[214:215], v[212:213], v[206:207]
	v_fma_f64 v[204:205], -v[204:205], v[214:215], v[212:213]
	v_div_fmas_f64 v[204:205], v[204:205], v[206:207], v[214:215]
	v_div_fixup_f64 v[206:207], v[204:205], v[208:209], v[210:211]
	v_fmac_f64_e32 v[208:209], v[210:211], v[206:207]
	v_div_scale_f64 v[204:205], s[10:11], v[208:209], v[208:209], 1.0
	v_rcp_f64_e32 v[210:211], v[204:205]
	s_nop 0
	v_fma_f64 v[212:213], -v[204:205], v[210:211], 1.0
	v_fmac_f64_e32 v[210:211], v[210:211], v[212:213]
	v_fma_f64 v[212:213], -v[204:205], v[210:211], 1.0
	v_fmac_f64_e32 v[210:211], v[210:211], v[212:213]
	v_div_scale_f64 v[212:213], vcc, 1.0, v[208:209], 1.0
	v_mul_f64 v[214:215], v[212:213], v[210:211]
	v_fma_f64 v[204:205], -v[204:205], v[214:215], v[212:213]
	s_nop 1
	v_div_fmas_f64 v[204:205], v[204:205], v[210:211], v[214:215]
	v_div_fixup_f64 v[204:205], v[204:205], v[208:209], 1.0
	v_mul_f64 v[206:207], v[206:207], -v[204:205]
.LBB111_430:
	s_or_b64 exec, exec, s[2:3]
	ds_write2_b64 v201, v[204:205], v[206:207] offset1:1
.LBB111_431:
	s_or_b64 exec, exec, s[4:5]
	s_waitcnt lgkmcnt(0)
	s_barrier
	ds_read2_b64 v[192:195], v201 offset1:1
	v_cmp_lt_u32_e32 vcc, 47, v200
	s_waitcnt lgkmcnt(0)
	scratch_store_dwordx4 off, v[192:195], off offset:1248 ; 16-byte Folded Spill
	s_and_saveexec_b64 s[2:3], vcc
	s_cbranch_execz .LBB111_433
; %bb.432:
	scratch_load_dwordx4 v[192:195], off, off offset:1248 ; 16-byte Folded Reload
	ds_read2_b64 v[204:207], v202 offset0:96 offset1:97
	s_waitcnt vmcnt(0)
	v_mul_f64 v[208:209], v[192:193], v[30:31]
	v_fmac_f64_e32 v[208:209], v[194:195], v[28:29]
	v_mul_f64 v[30:31], v[194:195], v[30:31]
	v_fma_f64 v[28:29], v[192:193], v[28:29], -v[30:31]
	s_waitcnt lgkmcnt(0)
	v_mul_f64 v[30:31], v[206:207], v[208:209]
	v_fma_f64 v[30:31], v[204:205], v[28:29], -v[30:31]
	v_mul_f64 v[204:205], v[204:205], v[208:209]
	v_fmac_f64_e32 v[204:205], v[206:207], v[28:29]
	v_add_f64 v[26:27], v[26:27], -v[204:205]
	ds_read2_b64 v[204:207], v202 offset0:98 offset1:99
	v_add_f64 v[24:25], v[24:25], -v[30:31]
	s_waitcnt lgkmcnt(0)
	v_mul_f64 v[30:31], v[206:207], v[208:209]
	v_fma_f64 v[30:31], v[204:205], v[28:29], -v[30:31]
	v_mul_f64 v[204:205], v[204:205], v[208:209]
	v_fmac_f64_e32 v[204:205], v[206:207], v[28:29]
	v_add_f64 v[22:23], v[22:23], -v[204:205]
	ds_read2_b64 v[204:207], v202 offset0:100 offset1:101
	v_add_f64 v[20:21], v[20:21], -v[30:31]
	;; [unrolled: 8-line block ×7, first 2 shown]
	s_waitcnt lgkmcnt(0)
	v_mul_f64 v[30:31], v[206:207], v[208:209]
	v_fma_f64 v[30:31], v[204:205], v[28:29], -v[30:31]
	v_mul_f64 v[204:205], v[204:205], v[208:209]
	v_fmac_f64_e32 v[204:205], v[206:207], v[28:29]
	v_add_f64 v[220:221], v[220:221], -v[30:31]
	v_add_f64 v[222:223], v[222:223], -v[204:205]
	v_mov_b64_e32 v[30:31], v[208:209]
.LBB111_433:
	s_or_b64 exec, exec, s[2:3]
	v_cmp_eq_u32_e32 vcc, 48, v200
	s_waitcnt vmcnt(63) expcnt(7) lgkmcnt(15)
	s_barrier
	s_and_saveexec_b64 s[4:5], vcc
	s_cbranch_execz .LBB111_440
; %bb.434:
	ds_write2_b64 v201, v[24:25], v[26:27] offset1:1
	ds_write2_b64 v202, v[20:21], v[22:23] offset0:98 offset1:99
	ds_write2_b64 v202, v[16:17], v[18:19] offset0:100 offset1:101
	;; [unrolled: 1-line block ×6, first 2 shown]
	s_waitcnt vmcnt(61)
	ds_write2_b64 v202, v[220:221], v[222:223] offset0:110 offset1:111
	ds_read2_b64 v[208:211], v201 offset1:1
	s_waitcnt lgkmcnt(0)
	v_cmp_neq_f64_e32 vcc, 0, v[208:209]
	v_cmp_neq_f64_e64 s[2:3], 0, v[210:211]
	s_or_b64 s[2:3], vcc, s[2:3]
	s_and_b64 exec, exec, s[2:3]
	s_cbranch_execz .LBB111_440
; %bb.435:
	v_cmp_ngt_f64_e64 s[2:3], |v[208:209]|, |v[210:211]|
                                        ; implicit-def: $vgpr204_vgpr205
	s_and_saveexec_b64 s[10:11], s[2:3]
	s_xor_b64 s[2:3], exec, s[10:11]
                                        ; implicit-def: $vgpr206_vgpr207
	s_cbranch_execz .LBB111_437
; %bb.436:
	v_div_scale_f64 v[204:205], s[10:11], v[210:211], v[210:211], v[208:209]
	v_rcp_f64_e32 v[206:207], v[204:205]
	v_div_scale_f64 v[212:213], vcc, v[208:209], v[210:211], v[208:209]
	v_fma_f64 v[214:215], -v[204:205], v[206:207], 1.0
	v_fmac_f64_e32 v[206:207], v[206:207], v[214:215]
	v_fma_f64 v[214:215], -v[204:205], v[206:207], 1.0
	v_fmac_f64_e32 v[206:207], v[206:207], v[214:215]
	v_mul_f64 v[214:215], v[212:213], v[206:207]
	v_fma_f64 v[204:205], -v[204:205], v[214:215], v[212:213]
	v_div_fmas_f64 v[204:205], v[204:205], v[206:207], v[214:215]
	v_div_fixup_f64 v[204:205], v[204:205], v[210:211], v[208:209]
	v_fmac_f64_e32 v[210:211], v[208:209], v[204:205]
	v_div_scale_f64 v[206:207], s[10:11], v[210:211], v[210:211], 1.0
	v_rcp_f64_e32 v[208:209], v[206:207]
	s_nop 0
	v_fma_f64 v[212:213], -v[206:207], v[208:209], 1.0
	v_fmac_f64_e32 v[208:209], v[208:209], v[212:213]
	v_fma_f64 v[212:213], -v[206:207], v[208:209], 1.0
	v_fmac_f64_e32 v[208:209], v[208:209], v[212:213]
	v_div_scale_f64 v[212:213], vcc, 1.0, v[210:211], 1.0
	v_mul_f64 v[214:215], v[212:213], v[208:209]
	v_fma_f64 v[206:207], -v[206:207], v[214:215], v[212:213]
	s_nop 1
	v_div_fmas_f64 v[206:207], v[206:207], v[208:209], v[214:215]
	v_div_fixup_f64 v[206:207], v[206:207], v[210:211], 1.0
	v_mul_f64 v[204:205], v[204:205], v[206:207]
	v_xor_b32_e32 v207, 0x80000000, v207
                                        ; implicit-def: $vgpr208_vgpr209
.LBB111_437:
	s_andn2_saveexec_b64 s[2:3], s[2:3]
	s_cbranch_execz .LBB111_439
; %bb.438:
	v_div_scale_f64 v[204:205], s[10:11], v[208:209], v[208:209], v[210:211]
	v_rcp_f64_e32 v[206:207], v[204:205]
	v_div_scale_f64 v[212:213], vcc, v[210:211], v[208:209], v[210:211]
	v_fma_f64 v[214:215], -v[204:205], v[206:207], 1.0
	v_fmac_f64_e32 v[206:207], v[206:207], v[214:215]
	v_fma_f64 v[214:215], -v[204:205], v[206:207], 1.0
	v_fmac_f64_e32 v[206:207], v[206:207], v[214:215]
	v_mul_f64 v[214:215], v[212:213], v[206:207]
	v_fma_f64 v[204:205], -v[204:205], v[214:215], v[212:213]
	v_div_fmas_f64 v[204:205], v[204:205], v[206:207], v[214:215]
	v_div_fixup_f64 v[206:207], v[204:205], v[208:209], v[210:211]
	v_fmac_f64_e32 v[208:209], v[210:211], v[206:207]
	v_div_scale_f64 v[204:205], s[10:11], v[208:209], v[208:209], 1.0
	v_rcp_f64_e32 v[210:211], v[204:205]
	s_nop 0
	v_fma_f64 v[212:213], -v[204:205], v[210:211], 1.0
	v_fmac_f64_e32 v[210:211], v[210:211], v[212:213]
	v_fma_f64 v[212:213], -v[204:205], v[210:211], 1.0
	v_fmac_f64_e32 v[210:211], v[210:211], v[212:213]
	v_div_scale_f64 v[212:213], vcc, 1.0, v[208:209], 1.0
	v_mul_f64 v[214:215], v[212:213], v[210:211]
	v_fma_f64 v[204:205], -v[204:205], v[214:215], v[212:213]
	s_nop 1
	v_div_fmas_f64 v[204:205], v[204:205], v[210:211], v[214:215]
	v_div_fixup_f64 v[204:205], v[204:205], v[208:209], 1.0
	v_mul_f64 v[206:207], v[206:207], -v[204:205]
.LBB111_439:
	s_or_b64 exec, exec, s[2:3]
	ds_write2_b64 v201, v[204:205], v[206:207] offset1:1
.LBB111_440:
	s_or_b64 exec, exec, s[4:5]
	s_waitcnt lgkmcnt(0)
	s_barrier
	ds_read2_b64 v[224:227], v201 offset1:1
	v_cmp_lt_u32_e32 vcc, 48, v200
	s_and_saveexec_b64 s[2:3], vcc
	s_cbranch_execz .LBB111_442
; %bb.441:
	ds_read2_b64 v[204:207], v202 offset0:98 offset1:99
	s_waitcnt lgkmcnt(1)
	v_mul_f64 v[208:209], v[224:225], v[26:27]
	v_fmac_f64_e32 v[208:209], v[226:227], v[24:25]
	v_mul_f64 v[26:27], v[226:227], v[26:27]
	v_fma_f64 v[24:25], v[224:225], v[24:25], -v[26:27]
	s_waitcnt lgkmcnt(0)
	v_mul_f64 v[26:27], v[206:207], v[208:209]
	v_fma_f64 v[26:27], v[204:205], v[24:25], -v[26:27]
	v_mul_f64 v[204:205], v[204:205], v[208:209]
	v_fmac_f64_e32 v[204:205], v[206:207], v[24:25]
	v_add_f64 v[22:23], v[22:23], -v[204:205]
	ds_read2_b64 v[204:207], v202 offset0:100 offset1:101
	v_add_f64 v[20:21], v[20:21], -v[26:27]
	s_waitcnt lgkmcnt(0)
	v_mul_f64 v[26:27], v[206:207], v[208:209]
	v_fma_f64 v[26:27], v[204:205], v[24:25], -v[26:27]
	v_mul_f64 v[204:205], v[204:205], v[208:209]
	v_fmac_f64_e32 v[204:205], v[206:207], v[24:25]
	v_add_f64 v[18:19], v[18:19], -v[204:205]
	ds_read2_b64 v[204:207], v202 offset0:102 offset1:103
	v_add_f64 v[16:17], v[16:17], -v[26:27]
	;; [unrolled: 8-line block ×6, first 2 shown]
	s_waitcnt lgkmcnt(0)
	v_mul_f64 v[26:27], v[206:207], v[208:209]
	v_fma_f64 v[26:27], v[204:205], v[24:25], -v[26:27]
	v_mul_f64 v[204:205], v[204:205], v[208:209]
	v_fmac_f64_e32 v[204:205], v[206:207], v[24:25]
	s_waitcnt vmcnt(61)
	v_add_f64 v[220:221], v[220:221], -v[26:27]
	v_add_f64 v[222:223], v[222:223], -v[204:205]
	v_mov_b64_e32 v[26:27], v[208:209]
.LBB111_442:
	s_or_b64 exec, exec, s[2:3]
	v_cmp_eq_u32_e32 vcc, 49, v200
	s_waitcnt lgkmcnt(0)
	s_barrier
	s_and_saveexec_b64 s[4:5], vcc
	s_cbranch_execz .LBB111_449
; %bb.443:
	ds_write2_b64 v201, v[20:21], v[22:23] offset1:1
	ds_write2_b64 v202, v[16:17], v[18:19] offset0:100 offset1:101
	ds_write2_b64 v202, v[12:13], v[14:15] offset0:102 offset1:103
	;; [unrolled: 1-line block ×5, first 2 shown]
	s_waitcnt vmcnt(61)
	ds_write2_b64 v202, v[220:221], v[222:223] offset0:110 offset1:111
	ds_read2_b64 v[208:211], v201 offset1:1
	s_waitcnt lgkmcnt(0)
	v_cmp_neq_f64_e32 vcc, 0, v[208:209]
	v_cmp_neq_f64_e64 s[2:3], 0, v[210:211]
	s_or_b64 s[2:3], vcc, s[2:3]
	s_and_b64 exec, exec, s[2:3]
	s_cbranch_execz .LBB111_449
; %bb.444:
	v_cmp_ngt_f64_e64 s[2:3], |v[208:209]|, |v[210:211]|
                                        ; implicit-def: $vgpr204_vgpr205
	s_and_saveexec_b64 s[10:11], s[2:3]
	s_xor_b64 s[2:3], exec, s[10:11]
                                        ; implicit-def: $vgpr206_vgpr207
	s_cbranch_execz .LBB111_446
; %bb.445:
	v_div_scale_f64 v[204:205], s[10:11], v[210:211], v[210:211], v[208:209]
	v_rcp_f64_e32 v[206:207], v[204:205]
	v_div_scale_f64 v[212:213], vcc, v[208:209], v[210:211], v[208:209]
	v_fma_f64 v[214:215], -v[204:205], v[206:207], 1.0
	v_fmac_f64_e32 v[206:207], v[206:207], v[214:215]
	v_fma_f64 v[214:215], -v[204:205], v[206:207], 1.0
	v_fmac_f64_e32 v[206:207], v[206:207], v[214:215]
	v_mul_f64 v[214:215], v[212:213], v[206:207]
	v_fma_f64 v[204:205], -v[204:205], v[214:215], v[212:213]
	v_div_fmas_f64 v[204:205], v[204:205], v[206:207], v[214:215]
	v_div_fixup_f64 v[204:205], v[204:205], v[210:211], v[208:209]
	v_fmac_f64_e32 v[210:211], v[208:209], v[204:205]
	v_div_scale_f64 v[206:207], s[10:11], v[210:211], v[210:211], 1.0
	v_rcp_f64_e32 v[208:209], v[206:207]
	s_nop 0
	v_fma_f64 v[212:213], -v[206:207], v[208:209], 1.0
	v_fmac_f64_e32 v[208:209], v[208:209], v[212:213]
	v_fma_f64 v[212:213], -v[206:207], v[208:209], 1.0
	v_fmac_f64_e32 v[208:209], v[208:209], v[212:213]
	v_div_scale_f64 v[212:213], vcc, 1.0, v[210:211], 1.0
	v_mul_f64 v[214:215], v[212:213], v[208:209]
	v_fma_f64 v[206:207], -v[206:207], v[214:215], v[212:213]
	s_nop 1
	v_div_fmas_f64 v[206:207], v[206:207], v[208:209], v[214:215]
	v_div_fixup_f64 v[206:207], v[206:207], v[210:211], 1.0
	v_mul_f64 v[204:205], v[204:205], v[206:207]
	v_xor_b32_e32 v207, 0x80000000, v207
                                        ; implicit-def: $vgpr208_vgpr209
.LBB111_446:
	s_andn2_saveexec_b64 s[2:3], s[2:3]
	s_cbranch_execz .LBB111_448
; %bb.447:
	v_div_scale_f64 v[204:205], s[10:11], v[208:209], v[208:209], v[210:211]
	v_rcp_f64_e32 v[206:207], v[204:205]
	v_div_scale_f64 v[212:213], vcc, v[210:211], v[208:209], v[210:211]
	v_fma_f64 v[214:215], -v[204:205], v[206:207], 1.0
	v_fmac_f64_e32 v[206:207], v[206:207], v[214:215]
	v_fma_f64 v[214:215], -v[204:205], v[206:207], 1.0
	v_fmac_f64_e32 v[206:207], v[206:207], v[214:215]
	v_mul_f64 v[214:215], v[212:213], v[206:207]
	v_fma_f64 v[204:205], -v[204:205], v[214:215], v[212:213]
	v_div_fmas_f64 v[204:205], v[204:205], v[206:207], v[214:215]
	v_div_fixup_f64 v[206:207], v[204:205], v[208:209], v[210:211]
	v_fmac_f64_e32 v[208:209], v[210:211], v[206:207]
	v_div_scale_f64 v[204:205], s[10:11], v[208:209], v[208:209], 1.0
	v_rcp_f64_e32 v[210:211], v[204:205]
	s_nop 0
	v_fma_f64 v[212:213], -v[204:205], v[210:211], 1.0
	v_fmac_f64_e32 v[210:211], v[210:211], v[212:213]
	v_fma_f64 v[212:213], -v[204:205], v[210:211], 1.0
	v_fmac_f64_e32 v[210:211], v[210:211], v[212:213]
	v_div_scale_f64 v[212:213], vcc, 1.0, v[208:209], 1.0
	v_mul_f64 v[214:215], v[212:213], v[210:211]
	v_fma_f64 v[204:205], -v[204:205], v[214:215], v[212:213]
	s_nop 1
	v_div_fmas_f64 v[204:205], v[204:205], v[210:211], v[214:215]
	v_div_fixup_f64 v[204:205], v[204:205], v[208:209], 1.0
	v_mul_f64 v[206:207], v[206:207], -v[204:205]
.LBB111_448:
	s_or_b64 exec, exec, s[2:3]
	ds_write2_b64 v201, v[204:205], v[206:207] offset1:1
.LBB111_449:
	s_or_b64 exec, exec, s[4:5]
	s_waitcnt lgkmcnt(0)
	s_barrier
	ds_read2_b64 v[228:231], v201 offset1:1
	v_cmp_lt_u32_e32 vcc, 49, v200
	s_and_saveexec_b64 s[2:3], vcc
	s_cbranch_execz .LBB111_451
; %bb.450:
	ds_read2_b64 v[204:207], v202 offset0:100 offset1:101
	s_waitcnt lgkmcnt(1)
	v_mul_f64 v[208:209], v[228:229], v[22:23]
	v_fmac_f64_e32 v[208:209], v[230:231], v[20:21]
	v_mul_f64 v[22:23], v[230:231], v[22:23]
	v_fma_f64 v[20:21], v[228:229], v[20:21], -v[22:23]
	s_waitcnt lgkmcnt(0)
	v_mul_f64 v[22:23], v[206:207], v[208:209]
	v_fma_f64 v[22:23], v[204:205], v[20:21], -v[22:23]
	v_mul_f64 v[204:205], v[204:205], v[208:209]
	v_fmac_f64_e32 v[204:205], v[206:207], v[20:21]
	v_add_f64 v[18:19], v[18:19], -v[204:205]
	ds_read2_b64 v[204:207], v202 offset0:102 offset1:103
	v_add_f64 v[16:17], v[16:17], -v[22:23]
	s_waitcnt lgkmcnt(0)
	v_mul_f64 v[22:23], v[206:207], v[208:209]
	v_fma_f64 v[22:23], v[204:205], v[20:21], -v[22:23]
	v_mul_f64 v[204:205], v[204:205], v[208:209]
	v_fmac_f64_e32 v[204:205], v[206:207], v[20:21]
	v_add_f64 v[14:15], v[14:15], -v[204:205]
	ds_read2_b64 v[204:207], v202 offset0:104 offset1:105
	v_add_f64 v[12:13], v[12:13], -v[22:23]
	;; [unrolled: 8-line block ×5, first 2 shown]
	s_waitcnt lgkmcnt(0)
	v_mul_f64 v[22:23], v[206:207], v[208:209]
	v_fma_f64 v[22:23], v[204:205], v[20:21], -v[22:23]
	v_mul_f64 v[204:205], v[204:205], v[208:209]
	v_fmac_f64_e32 v[204:205], v[206:207], v[20:21]
	s_waitcnt vmcnt(61)
	v_add_f64 v[220:221], v[220:221], -v[22:23]
	v_add_f64 v[222:223], v[222:223], -v[204:205]
	v_mov_b64_e32 v[22:23], v[208:209]
.LBB111_451:
	s_or_b64 exec, exec, s[2:3]
	v_cmp_eq_u32_e32 vcc, 50, v200
	s_waitcnt lgkmcnt(0)
	s_barrier
	s_and_saveexec_b64 s[4:5], vcc
	s_cbranch_execz .LBB111_458
; %bb.452:
	ds_write2_b64 v201, v[16:17], v[18:19] offset1:1
	ds_write2_b64 v202, v[12:13], v[14:15] offset0:102 offset1:103
	ds_write2_b64 v202, v[8:9], v[10:11] offset0:104 offset1:105
	;; [unrolled: 1-line block ×4, first 2 shown]
	s_waitcnt vmcnt(61)
	ds_write2_b64 v202, v[220:221], v[222:223] offset0:110 offset1:111
	ds_read2_b64 v[208:211], v201 offset1:1
	s_waitcnt lgkmcnt(0)
	v_cmp_neq_f64_e32 vcc, 0, v[208:209]
	v_cmp_neq_f64_e64 s[2:3], 0, v[210:211]
	s_or_b64 s[2:3], vcc, s[2:3]
	s_and_b64 exec, exec, s[2:3]
	s_cbranch_execz .LBB111_458
; %bb.453:
	v_cmp_ngt_f64_e64 s[2:3], |v[208:209]|, |v[210:211]|
                                        ; implicit-def: $vgpr204_vgpr205
	s_and_saveexec_b64 s[10:11], s[2:3]
	s_xor_b64 s[2:3], exec, s[10:11]
                                        ; implicit-def: $vgpr206_vgpr207
	s_cbranch_execz .LBB111_455
; %bb.454:
	v_div_scale_f64 v[204:205], s[10:11], v[210:211], v[210:211], v[208:209]
	v_rcp_f64_e32 v[206:207], v[204:205]
	v_div_scale_f64 v[212:213], vcc, v[208:209], v[210:211], v[208:209]
	v_fma_f64 v[214:215], -v[204:205], v[206:207], 1.0
	v_fmac_f64_e32 v[206:207], v[206:207], v[214:215]
	v_fma_f64 v[214:215], -v[204:205], v[206:207], 1.0
	v_fmac_f64_e32 v[206:207], v[206:207], v[214:215]
	v_mul_f64 v[214:215], v[212:213], v[206:207]
	v_fma_f64 v[204:205], -v[204:205], v[214:215], v[212:213]
	v_div_fmas_f64 v[204:205], v[204:205], v[206:207], v[214:215]
	v_div_fixup_f64 v[204:205], v[204:205], v[210:211], v[208:209]
	v_fmac_f64_e32 v[210:211], v[208:209], v[204:205]
	v_div_scale_f64 v[206:207], s[10:11], v[210:211], v[210:211], 1.0
	v_rcp_f64_e32 v[208:209], v[206:207]
	s_nop 0
	v_fma_f64 v[212:213], -v[206:207], v[208:209], 1.0
	v_fmac_f64_e32 v[208:209], v[208:209], v[212:213]
	v_fma_f64 v[212:213], -v[206:207], v[208:209], 1.0
	v_fmac_f64_e32 v[208:209], v[208:209], v[212:213]
	v_div_scale_f64 v[212:213], vcc, 1.0, v[210:211], 1.0
	v_mul_f64 v[214:215], v[212:213], v[208:209]
	v_fma_f64 v[206:207], -v[206:207], v[214:215], v[212:213]
	s_nop 1
	v_div_fmas_f64 v[206:207], v[206:207], v[208:209], v[214:215]
	v_div_fixup_f64 v[206:207], v[206:207], v[210:211], 1.0
	v_mul_f64 v[204:205], v[204:205], v[206:207]
	v_xor_b32_e32 v207, 0x80000000, v207
                                        ; implicit-def: $vgpr208_vgpr209
.LBB111_455:
	s_andn2_saveexec_b64 s[2:3], s[2:3]
	s_cbranch_execz .LBB111_457
; %bb.456:
	v_div_scale_f64 v[204:205], s[10:11], v[208:209], v[208:209], v[210:211]
	v_rcp_f64_e32 v[206:207], v[204:205]
	v_div_scale_f64 v[212:213], vcc, v[210:211], v[208:209], v[210:211]
	v_fma_f64 v[214:215], -v[204:205], v[206:207], 1.0
	v_fmac_f64_e32 v[206:207], v[206:207], v[214:215]
	v_fma_f64 v[214:215], -v[204:205], v[206:207], 1.0
	v_fmac_f64_e32 v[206:207], v[206:207], v[214:215]
	v_mul_f64 v[214:215], v[212:213], v[206:207]
	v_fma_f64 v[204:205], -v[204:205], v[214:215], v[212:213]
	v_div_fmas_f64 v[204:205], v[204:205], v[206:207], v[214:215]
	v_div_fixup_f64 v[206:207], v[204:205], v[208:209], v[210:211]
	v_fmac_f64_e32 v[208:209], v[210:211], v[206:207]
	v_div_scale_f64 v[204:205], s[10:11], v[208:209], v[208:209], 1.0
	v_rcp_f64_e32 v[210:211], v[204:205]
	s_nop 0
	v_fma_f64 v[212:213], -v[204:205], v[210:211], 1.0
	v_fmac_f64_e32 v[210:211], v[210:211], v[212:213]
	v_fma_f64 v[212:213], -v[204:205], v[210:211], 1.0
	v_fmac_f64_e32 v[210:211], v[210:211], v[212:213]
	v_div_scale_f64 v[212:213], vcc, 1.0, v[208:209], 1.0
	v_mul_f64 v[214:215], v[212:213], v[210:211]
	v_fma_f64 v[204:205], -v[204:205], v[214:215], v[212:213]
	s_nop 1
	v_div_fmas_f64 v[204:205], v[204:205], v[210:211], v[214:215]
	v_div_fixup_f64 v[204:205], v[204:205], v[208:209], 1.0
	v_mul_f64 v[206:207], v[206:207], -v[204:205]
.LBB111_457:
	s_or_b64 exec, exec, s[2:3]
	ds_write2_b64 v201, v[204:205], v[206:207] offset1:1
.LBB111_458:
	s_or_b64 exec, exec, s[4:5]
	s_waitcnt lgkmcnt(0)
	s_barrier
	ds_read2_b64 v[232:235], v201 offset1:1
	v_cmp_lt_u32_e32 vcc, 50, v200
	s_and_saveexec_b64 s[2:3], vcc
	s_cbranch_execz .LBB111_460
; %bb.459:
	ds_read2_b64 v[204:207], v202 offset0:102 offset1:103
	s_waitcnt lgkmcnt(1)
	v_mul_f64 v[208:209], v[232:233], v[18:19]
	v_fmac_f64_e32 v[208:209], v[234:235], v[16:17]
	v_mul_f64 v[18:19], v[234:235], v[18:19]
	v_fma_f64 v[16:17], v[232:233], v[16:17], -v[18:19]
	s_waitcnt lgkmcnt(0)
	v_mul_f64 v[18:19], v[206:207], v[208:209]
	v_fma_f64 v[18:19], v[204:205], v[16:17], -v[18:19]
	v_mul_f64 v[204:205], v[204:205], v[208:209]
	v_fmac_f64_e32 v[204:205], v[206:207], v[16:17]
	v_add_f64 v[14:15], v[14:15], -v[204:205]
	ds_read2_b64 v[204:207], v202 offset0:104 offset1:105
	v_add_f64 v[12:13], v[12:13], -v[18:19]
	s_waitcnt lgkmcnt(0)
	v_mul_f64 v[18:19], v[206:207], v[208:209]
	v_fma_f64 v[18:19], v[204:205], v[16:17], -v[18:19]
	v_mul_f64 v[204:205], v[204:205], v[208:209]
	v_fmac_f64_e32 v[204:205], v[206:207], v[16:17]
	v_add_f64 v[10:11], v[10:11], -v[204:205]
	ds_read2_b64 v[204:207], v202 offset0:106 offset1:107
	v_add_f64 v[8:9], v[8:9], -v[18:19]
	;; [unrolled: 8-line block ×4, first 2 shown]
	s_waitcnt lgkmcnt(0)
	v_mul_f64 v[18:19], v[206:207], v[208:209]
	v_fma_f64 v[18:19], v[204:205], v[16:17], -v[18:19]
	v_mul_f64 v[204:205], v[204:205], v[208:209]
	v_fmac_f64_e32 v[204:205], v[206:207], v[16:17]
	s_waitcnt vmcnt(61)
	v_add_f64 v[220:221], v[220:221], -v[18:19]
	v_add_f64 v[222:223], v[222:223], -v[204:205]
	v_mov_b64_e32 v[18:19], v[208:209]
.LBB111_460:
	s_or_b64 exec, exec, s[2:3]
	v_cmp_eq_u32_e32 vcc, 51, v200
	s_waitcnt lgkmcnt(0)
	s_barrier
	s_and_saveexec_b64 s[4:5], vcc
	s_cbranch_execz .LBB111_467
; %bb.461:
	ds_write2_b64 v201, v[12:13], v[14:15] offset1:1
	ds_write2_b64 v202, v[8:9], v[10:11] offset0:104 offset1:105
	ds_write2_b64 v202, v[4:5], v[6:7] offset0:106 offset1:107
	;; [unrolled: 1-line block ×3, first 2 shown]
	s_waitcnt vmcnt(61)
	ds_write2_b64 v202, v[220:221], v[222:223] offset0:110 offset1:111
	ds_read2_b64 v[208:211], v201 offset1:1
	s_waitcnt lgkmcnt(0)
	v_cmp_neq_f64_e32 vcc, 0, v[208:209]
	v_cmp_neq_f64_e64 s[2:3], 0, v[210:211]
	s_or_b64 s[2:3], vcc, s[2:3]
	s_and_b64 exec, exec, s[2:3]
	s_cbranch_execz .LBB111_467
; %bb.462:
	v_cmp_ngt_f64_e64 s[2:3], |v[208:209]|, |v[210:211]|
                                        ; implicit-def: $vgpr204_vgpr205
	s_and_saveexec_b64 s[10:11], s[2:3]
	s_xor_b64 s[2:3], exec, s[10:11]
                                        ; implicit-def: $vgpr206_vgpr207
	s_cbranch_execz .LBB111_464
; %bb.463:
	v_div_scale_f64 v[204:205], s[10:11], v[210:211], v[210:211], v[208:209]
	v_rcp_f64_e32 v[206:207], v[204:205]
	v_div_scale_f64 v[212:213], vcc, v[208:209], v[210:211], v[208:209]
	v_fma_f64 v[214:215], -v[204:205], v[206:207], 1.0
	v_fmac_f64_e32 v[206:207], v[206:207], v[214:215]
	v_fma_f64 v[214:215], -v[204:205], v[206:207], 1.0
	v_fmac_f64_e32 v[206:207], v[206:207], v[214:215]
	v_mul_f64 v[214:215], v[212:213], v[206:207]
	v_fma_f64 v[204:205], -v[204:205], v[214:215], v[212:213]
	v_div_fmas_f64 v[204:205], v[204:205], v[206:207], v[214:215]
	v_div_fixup_f64 v[204:205], v[204:205], v[210:211], v[208:209]
	v_fmac_f64_e32 v[210:211], v[208:209], v[204:205]
	v_div_scale_f64 v[206:207], s[10:11], v[210:211], v[210:211], 1.0
	v_rcp_f64_e32 v[208:209], v[206:207]
	s_nop 0
	v_fma_f64 v[212:213], -v[206:207], v[208:209], 1.0
	v_fmac_f64_e32 v[208:209], v[208:209], v[212:213]
	v_fma_f64 v[212:213], -v[206:207], v[208:209], 1.0
	v_fmac_f64_e32 v[208:209], v[208:209], v[212:213]
	v_div_scale_f64 v[212:213], vcc, 1.0, v[210:211], 1.0
	v_mul_f64 v[214:215], v[212:213], v[208:209]
	v_fma_f64 v[206:207], -v[206:207], v[214:215], v[212:213]
	s_nop 1
	v_div_fmas_f64 v[206:207], v[206:207], v[208:209], v[214:215]
	v_div_fixup_f64 v[206:207], v[206:207], v[210:211], 1.0
	v_mul_f64 v[204:205], v[204:205], v[206:207]
	v_xor_b32_e32 v207, 0x80000000, v207
                                        ; implicit-def: $vgpr208_vgpr209
.LBB111_464:
	s_andn2_saveexec_b64 s[2:3], s[2:3]
	s_cbranch_execz .LBB111_466
; %bb.465:
	v_div_scale_f64 v[204:205], s[10:11], v[208:209], v[208:209], v[210:211]
	v_rcp_f64_e32 v[206:207], v[204:205]
	v_div_scale_f64 v[212:213], vcc, v[210:211], v[208:209], v[210:211]
	v_fma_f64 v[214:215], -v[204:205], v[206:207], 1.0
	v_fmac_f64_e32 v[206:207], v[206:207], v[214:215]
	v_fma_f64 v[214:215], -v[204:205], v[206:207], 1.0
	v_fmac_f64_e32 v[206:207], v[206:207], v[214:215]
	v_mul_f64 v[214:215], v[212:213], v[206:207]
	v_fma_f64 v[204:205], -v[204:205], v[214:215], v[212:213]
	v_div_fmas_f64 v[204:205], v[204:205], v[206:207], v[214:215]
	v_div_fixup_f64 v[206:207], v[204:205], v[208:209], v[210:211]
	v_fmac_f64_e32 v[208:209], v[210:211], v[206:207]
	v_div_scale_f64 v[204:205], s[10:11], v[208:209], v[208:209], 1.0
	v_rcp_f64_e32 v[210:211], v[204:205]
	s_nop 0
	v_fma_f64 v[212:213], -v[204:205], v[210:211], 1.0
	v_fmac_f64_e32 v[210:211], v[210:211], v[212:213]
	v_fma_f64 v[212:213], -v[204:205], v[210:211], 1.0
	v_fmac_f64_e32 v[210:211], v[210:211], v[212:213]
	v_div_scale_f64 v[212:213], vcc, 1.0, v[208:209], 1.0
	v_mul_f64 v[214:215], v[212:213], v[210:211]
	v_fma_f64 v[204:205], -v[204:205], v[214:215], v[212:213]
	s_nop 1
	v_div_fmas_f64 v[204:205], v[204:205], v[210:211], v[214:215]
	v_div_fixup_f64 v[204:205], v[204:205], v[208:209], 1.0
	v_mul_f64 v[206:207], v[206:207], -v[204:205]
.LBB111_466:
	s_or_b64 exec, exec, s[2:3]
	ds_write2_b64 v201, v[204:205], v[206:207] offset1:1
.LBB111_467:
	s_or_b64 exec, exec, s[4:5]
	s_waitcnt lgkmcnt(0)
	s_barrier
	ds_read2_b64 v[236:239], v201 offset1:1
	v_cmp_lt_u32_e32 vcc, 51, v200
	s_and_saveexec_b64 s[2:3], vcc
	s_cbranch_execz .LBB111_469
; %bb.468:
	ds_read2_b64 v[204:207], v202 offset0:104 offset1:105
	s_waitcnt lgkmcnt(1)
	v_mul_f64 v[208:209], v[236:237], v[14:15]
	v_fmac_f64_e32 v[208:209], v[238:239], v[12:13]
	v_mul_f64 v[14:15], v[238:239], v[14:15]
	v_fma_f64 v[12:13], v[236:237], v[12:13], -v[14:15]
	s_waitcnt lgkmcnt(0)
	v_mul_f64 v[14:15], v[206:207], v[208:209]
	v_fma_f64 v[14:15], v[204:205], v[12:13], -v[14:15]
	v_mul_f64 v[204:205], v[204:205], v[208:209]
	v_fmac_f64_e32 v[204:205], v[206:207], v[12:13]
	v_add_f64 v[10:11], v[10:11], -v[204:205]
	ds_read2_b64 v[204:207], v202 offset0:106 offset1:107
	v_add_f64 v[8:9], v[8:9], -v[14:15]
	s_waitcnt lgkmcnt(0)
	v_mul_f64 v[14:15], v[206:207], v[208:209]
	v_fma_f64 v[14:15], v[204:205], v[12:13], -v[14:15]
	v_mul_f64 v[204:205], v[204:205], v[208:209]
	v_fmac_f64_e32 v[204:205], v[206:207], v[12:13]
	v_add_f64 v[6:7], v[6:7], -v[204:205]
	ds_read2_b64 v[204:207], v202 offset0:108 offset1:109
	v_add_f64 v[4:5], v[4:5], -v[14:15]
	;; [unrolled: 8-line block ×3, first 2 shown]
	s_waitcnt lgkmcnt(0)
	v_mul_f64 v[14:15], v[206:207], v[208:209]
	v_fma_f64 v[14:15], v[204:205], v[12:13], -v[14:15]
	v_mul_f64 v[204:205], v[204:205], v[208:209]
	v_fmac_f64_e32 v[204:205], v[206:207], v[12:13]
	s_waitcnt vmcnt(61)
	v_add_f64 v[220:221], v[220:221], -v[14:15]
	v_add_f64 v[222:223], v[222:223], -v[204:205]
	v_mov_b64_e32 v[14:15], v[208:209]
.LBB111_469:
	s_or_b64 exec, exec, s[2:3]
	v_cmp_eq_u32_e32 vcc, 52, v200
	s_waitcnt lgkmcnt(0)
	s_barrier
	s_and_saveexec_b64 s[4:5], vcc
	s_cbranch_execz .LBB111_476
; %bb.470:
	ds_write2_b64 v201, v[8:9], v[10:11] offset1:1
	ds_write2_b64 v202, v[4:5], v[6:7] offset0:106 offset1:107
	ds_write2_b64 v202, v[0:1], v[2:3] offset0:108 offset1:109
	s_waitcnt vmcnt(61)
	ds_write2_b64 v202, v[220:221], v[222:223] offset0:110 offset1:111
	ds_read2_b64 v[208:211], v201 offset1:1
	s_waitcnt lgkmcnt(0)
	v_cmp_neq_f64_e32 vcc, 0, v[208:209]
	v_cmp_neq_f64_e64 s[2:3], 0, v[210:211]
	s_or_b64 s[2:3], vcc, s[2:3]
	s_and_b64 exec, exec, s[2:3]
	s_cbranch_execz .LBB111_476
; %bb.471:
	v_cmp_ngt_f64_e64 s[2:3], |v[208:209]|, |v[210:211]|
                                        ; implicit-def: $vgpr204_vgpr205
	s_and_saveexec_b64 s[10:11], s[2:3]
	s_xor_b64 s[2:3], exec, s[10:11]
                                        ; implicit-def: $vgpr206_vgpr207
	s_cbranch_execz .LBB111_473
; %bb.472:
	v_div_scale_f64 v[204:205], s[10:11], v[210:211], v[210:211], v[208:209]
	v_rcp_f64_e32 v[206:207], v[204:205]
	v_div_scale_f64 v[212:213], vcc, v[208:209], v[210:211], v[208:209]
	v_fma_f64 v[214:215], -v[204:205], v[206:207], 1.0
	v_fmac_f64_e32 v[206:207], v[206:207], v[214:215]
	v_fma_f64 v[214:215], -v[204:205], v[206:207], 1.0
	v_fmac_f64_e32 v[206:207], v[206:207], v[214:215]
	v_mul_f64 v[214:215], v[212:213], v[206:207]
	v_fma_f64 v[204:205], -v[204:205], v[214:215], v[212:213]
	v_div_fmas_f64 v[204:205], v[204:205], v[206:207], v[214:215]
	v_div_fixup_f64 v[204:205], v[204:205], v[210:211], v[208:209]
	v_fmac_f64_e32 v[210:211], v[208:209], v[204:205]
	v_div_scale_f64 v[206:207], s[10:11], v[210:211], v[210:211], 1.0
	v_rcp_f64_e32 v[208:209], v[206:207]
	s_nop 0
	v_fma_f64 v[212:213], -v[206:207], v[208:209], 1.0
	v_fmac_f64_e32 v[208:209], v[208:209], v[212:213]
	v_fma_f64 v[212:213], -v[206:207], v[208:209], 1.0
	v_fmac_f64_e32 v[208:209], v[208:209], v[212:213]
	v_div_scale_f64 v[212:213], vcc, 1.0, v[210:211], 1.0
	v_mul_f64 v[214:215], v[212:213], v[208:209]
	v_fma_f64 v[206:207], -v[206:207], v[214:215], v[212:213]
	s_nop 1
	v_div_fmas_f64 v[206:207], v[206:207], v[208:209], v[214:215]
	v_div_fixup_f64 v[206:207], v[206:207], v[210:211], 1.0
	v_mul_f64 v[204:205], v[204:205], v[206:207]
	v_xor_b32_e32 v207, 0x80000000, v207
                                        ; implicit-def: $vgpr208_vgpr209
.LBB111_473:
	s_andn2_saveexec_b64 s[2:3], s[2:3]
	s_cbranch_execz .LBB111_475
; %bb.474:
	v_div_scale_f64 v[204:205], s[10:11], v[208:209], v[208:209], v[210:211]
	v_rcp_f64_e32 v[206:207], v[204:205]
	v_div_scale_f64 v[212:213], vcc, v[210:211], v[208:209], v[210:211]
	v_fma_f64 v[214:215], -v[204:205], v[206:207], 1.0
	v_fmac_f64_e32 v[206:207], v[206:207], v[214:215]
	v_fma_f64 v[214:215], -v[204:205], v[206:207], 1.0
	v_fmac_f64_e32 v[206:207], v[206:207], v[214:215]
	v_mul_f64 v[214:215], v[212:213], v[206:207]
	v_fma_f64 v[204:205], -v[204:205], v[214:215], v[212:213]
	v_div_fmas_f64 v[204:205], v[204:205], v[206:207], v[214:215]
	v_div_fixup_f64 v[206:207], v[204:205], v[208:209], v[210:211]
	v_fmac_f64_e32 v[208:209], v[210:211], v[206:207]
	v_div_scale_f64 v[204:205], s[10:11], v[208:209], v[208:209], 1.0
	v_rcp_f64_e32 v[210:211], v[204:205]
	s_nop 0
	v_fma_f64 v[212:213], -v[204:205], v[210:211], 1.0
	v_fmac_f64_e32 v[210:211], v[210:211], v[212:213]
	v_fma_f64 v[212:213], -v[204:205], v[210:211], 1.0
	v_fmac_f64_e32 v[210:211], v[210:211], v[212:213]
	v_div_scale_f64 v[212:213], vcc, 1.0, v[208:209], 1.0
	v_mul_f64 v[214:215], v[212:213], v[210:211]
	v_fma_f64 v[204:205], -v[204:205], v[214:215], v[212:213]
	s_nop 1
	v_div_fmas_f64 v[204:205], v[204:205], v[210:211], v[214:215]
	v_div_fixup_f64 v[204:205], v[204:205], v[208:209], 1.0
	v_mul_f64 v[206:207], v[206:207], -v[204:205]
.LBB111_475:
	s_or_b64 exec, exec, s[2:3]
	ds_write2_b64 v201, v[204:205], v[206:207] offset1:1
.LBB111_476:
	s_or_b64 exec, exec, s[4:5]
	s_waitcnt lgkmcnt(0)
	s_barrier
	ds_read2_b64 v[216:219], v201 offset1:1
	v_cmp_lt_u32_e32 vcc, 52, v200
	s_and_saveexec_b64 s[2:3], vcc
	s_cbranch_execz .LBB111_478
; %bb.477:
	ds_read2_b64 v[204:207], v202 offset0:106 offset1:107
	s_waitcnt lgkmcnt(1)
	v_mul_f64 v[208:209], v[216:217], v[10:11]
	v_fmac_f64_e32 v[208:209], v[218:219], v[8:9]
	v_mul_f64 v[10:11], v[218:219], v[10:11]
	v_fma_f64 v[8:9], v[216:217], v[8:9], -v[10:11]
	s_waitcnt lgkmcnt(0)
	v_mul_f64 v[10:11], v[206:207], v[208:209]
	v_fma_f64 v[10:11], v[204:205], v[8:9], -v[10:11]
	v_mul_f64 v[204:205], v[204:205], v[208:209]
	v_fmac_f64_e32 v[204:205], v[206:207], v[8:9]
	v_add_f64 v[6:7], v[6:7], -v[204:205]
	ds_read2_b64 v[204:207], v202 offset0:108 offset1:109
	v_add_f64 v[4:5], v[4:5], -v[10:11]
	s_waitcnt lgkmcnt(0)
	v_mul_f64 v[10:11], v[206:207], v[208:209]
	v_fma_f64 v[10:11], v[204:205], v[8:9], -v[10:11]
	v_mul_f64 v[204:205], v[204:205], v[208:209]
	v_fmac_f64_e32 v[204:205], v[206:207], v[8:9]
	v_add_f64 v[2:3], v[2:3], -v[204:205]
	ds_read2_b64 v[204:207], v202 offset0:110 offset1:111
	v_add_f64 v[0:1], v[0:1], -v[10:11]
	s_waitcnt lgkmcnt(0)
	v_mul_f64 v[10:11], v[206:207], v[208:209]
	v_fma_f64 v[10:11], v[204:205], v[8:9], -v[10:11]
	v_mul_f64 v[204:205], v[204:205], v[208:209]
	v_fmac_f64_e32 v[204:205], v[206:207], v[8:9]
	s_waitcnt vmcnt(61)
	v_add_f64 v[220:221], v[220:221], -v[10:11]
	v_add_f64 v[222:223], v[222:223], -v[204:205]
	v_mov_b64_e32 v[10:11], v[208:209]
.LBB111_478:
	s_or_b64 exec, exec, s[2:3]
	v_cmp_eq_u32_e32 vcc, 53, v200
	s_waitcnt lgkmcnt(0)
	s_barrier
	s_and_saveexec_b64 s[4:5], vcc
	s_cbranch_execz .LBB111_485
; %bb.479:
	ds_write2_b64 v201, v[4:5], v[6:7] offset1:1
	ds_write2_b64 v202, v[0:1], v[2:3] offset0:108 offset1:109
	s_waitcnt vmcnt(61)
	ds_write2_b64 v202, v[220:221], v[222:223] offset0:110 offset1:111
	ds_read2_b64 v[208:211], v201 offset1:1
	s_waitcnt lgkmcnt(0)
	v_cmp_neq_f64_e32 vcc, 0, v[208:209]
	v_cmp_neq_f64_e64 s[2:3], 0, v[210:211]
	s_or_b64 s[2:3], vcc, s[2:3]
	s_and_b64 exec, exec, s[2:3]
	s_cbranch_execz .LBB111_485
; %bb.480:
	v_cmp_ngt_f64_e64 s[2:3], |v[208:209]|, |v[210:211]|
                                        ; implicit-def: $vgpr204_vgpr205
	s_and_saveexec_b64 s[10:11], s[2:3]
	s_xor_b64 s[2:3], exec, s[10:11]
                                        ; implicit-def: $vgpr206_vgpr207
	s_cbranch_execz .LBB111_482
; %bb.481:
	v_div_scale_f64 v[204:205], s[10:11], v[210:211], v[210:211], v[208:209]
	v_rcp_f64_e32 v[206:207], v[204:205]
	v_div_scale_f64 v[212:213], vcc, v[208:209], v[210:211], v[208:209]
	v_fma_f64 v[214:215], -v[204:205], v[206:207], 1.0
	v_fmac_f64_e32 v[206:207], v[206:207], v[214:215]
	v_fma_f64 v[214:215], -v[204:205], v[206:207], 1.0
	v_fmac_f64_e32 v[206:207], v[206:207], v[214:215]
	v_mul_f64 v[214:215], v[212:213], v[206:207]
	v_fma_f64 v[204:205], -v[204:205], v[214:215], v[212:213]
	v_div_fmas_f64 v[204:205], v[204:205], v[206:207], v[214:215]
	v_div_fixup_f64 v[204:205], v[204:205], v[210:211], v[208:209]
	v_fmac_f64_e32 v[210:211], v[208:209], v[204:205]
	v_div_scale_f64 v[206:207], s[10:11], v[210:211], v[210:211], 1.0
	v_rcp_f64_e32 v[208:209], v[206:207]
	s_nop 0
	v_fma_f64 v[212:213], -v[206:207], v[208:209], 1.0
	v_fmac_f64_e32 v[208:209], v[208:209], v[212:213]
	v_fma_f64 v[212:213], -v[206:207], v[208:209], 1.0
	v_fmac_f64_e32 v[208:209], v[208:209], v[212:213]
	v_div_scale_f64 v[212:213], vcc, 1.0, v[210:211], 1.0
	v_mul_f64 v[214:215], v[212:213], v[208:209]
	v_fma_f64 v[206:207], -v[206:207], v[214:215], v[212:213]
	s_nop 1
	v_div_fmas_f64 v[206:207], v[206:207], v[208:209], v[214:215]
	v_div_fixup_f64 v[206:207], v[206:207], v[210:211], 1.0
	v_mul_f64 v[204:205], v[204:205], v[206:207]
	v_xor_b32_e32 v207, 0x80000000, v207
                                        ; implicit-def: $vgpr208_vgpr209
.LBB111_482:
	s_andn2_saveexec_b64 s[2:3], s[2:3]
	s_cbranch_execz .LBB111_484
; %bb.483:
	v_div_scale_f64 v[204:205], s[10:11], v[208:209], v[208:209], v[210:211]
	v_rcp_f64_e32 v[206:207], v[204:205]
	v_div_scale_f64 v[212:213], vcc, v[210:211], v[208:209], v[210:211]
	v_fma_f64 v[214:215], -v[204:205], v[206:207], 1.0
	v_fmac_f64_e32 v[206:207], v[206:207], v[214:215]
	v_fma_f64 v[214:215], -v[204:205], v[206:207], 1.0
	v_fmac_f64_e32 v[206:207], v[206:207], v[214:215]
	v_mul_f64 v[214:215], v[212:213], v[206:207]
	v_fma_f64 v[204:205], -v[204:205], v[214:215], v[212:213]
	v_div_fmas_f64 v[204:205], v[204:205], v[206:207], v[214:215]
	v_div_fixup_f64 v[206:207], v[204:205], v[208:209], v[210:211]
	v_fmac_f64_e32 v[208:209], v[210:211], v[206:207]
	v_div_scale_f64 v[204:205], s[10:11], v[208:209], v[208:209], 1.0
	v_rcp_f64_e32 v[210:211], v[204:205]
	s_nop 0
	v_fma_f64 v[212:213], -v[204:205], v[210:211], 1.0
	v_fmac_f64_e32 v[210:211], v[210:211], v[212:213]
	v_fma_f64 v[212:213], -v[204:205], v[210:211], 1.0
	v_fmac_f64_e32 v[210:211], v[210:211], v[212:213]
	v_div_scale_f64 v[212:213], vcc, 1.0, v[208:209], 1.0
	v_mul_f64 v[214:215], v[212:213], v[210:211]
	v_fma_f64 v[204:205], -v[204:205], v[214:215], v[212:213]
	s_nop 1
	v_div_fmas_f64 v[204:205], v[204:205], v[210:211], v[214:215]
	v_div_fixup_f64 v[204:205], v[204:205], v[208:209], 1.0
	v_mul_f64 v[206:207], v[206:207], -v[204:205]
.LBB111_484:
	s_or_b64 exec, exec, s[2:3]
	ds_write2_b64 v201, v[204:205], v[206:207] offset1:1
.LBB111_485:
	s_or_b64 exec, exec, s[4:5]
	s_waitcnt lgkmcnt(0)
	s_barrier
	ds_read2_b64 v[240:243], v201 offset1:1
	v_cmp_lt_u32_e32 vcc, 53, v200
	s_and_saveexec_b64 s[2:3], vcc
	s_cbranch_execz .LBB111_487
; %bb.486:
	ds_read2_b64 v[204:207], v202 offset0:108 offset1:109
	s_waitcnt lgkmcnt(1)
	v_mul_f64 v[208:209], v[240:241], v[6:7]
	v_fmac_f64_e32 v[208:209], v[242:243], v[4:5]
	v_mul_f64 v[6:7], v[242:243], v[6:7]
	v_fma_f64 v[4:5], v[240:241], v[4:5], -v[6:7]
	s_waitcnt lgkmcnt(0)
	v_mul_f64 v[6:7], v[206:207], v[208:209]
	v_fma_f64 v[6:7], v[204:205], v[4:5], -v[6:7]
	v_mul_f64 v[204:205], v[204:205], v[208:209]
	v_fmac_f64_e32 v[204:205], v[206:207], v[4:5]
	v_add_f64 v[2:3], v[2:3], -v[204:205]
	ds_read2_b64 v[204:207], v202 offset0:110 offset1:111
	v_add_f64 v[0:1], v[0:1], -v[6:7]
	s_waitcnt lgkmcnt(0)
	v_mul_f64 v[6:7], v[206:207], v[208:209]
	v_fma_f64 v[6:7], v[204:205], v[4:5], -v[6:7]
	v_mul_f64 v[204:205], v[204:205], v[208:209]
	v_fmac_f64_e32 v[204:205], v[206:207], v[4:5]
	s_waitcnt vmcnt(61)
	v_add_f64 v[220:221], v[220:221], -v[6:7]
	v_add_f64 v[222:223], v[222:223], -v[204:205]
	v_mov_b64_e32 v[6:7], v[208:209]
.LBB111_487:
	s_or_b64 exec, exec, s[2:3]
	v_cmp_eq_u32_e32 vcc, 54, v200
	s_waitcnt lgkmcnt(0)
	s_barrier
	s_and_saveexec_b64 s[4:5], vcc
	s_cbranch_execz .LBB111_494
; %bb.488:
	ds_write2_b64 v201, v[0:1], v[2:3] offset1:1
	s_waitcnt vmcnt(61)
	ds_write2_b64 v202, v[220:221], v[222:223] offset0:110 offset1:111
	ds_read2_b64 v[208:211], v201 offset1:1
	s_waitcnt lgkmcnt(0)
	v_cmp_neq_f64_e32 vcc, 0, v[208:209]
	v_cmp_neq_f64_e64 s[2:3], 0, v[210:211]
	s_or_b64 s[2:3], vcc, s[2:3]
	s_and_b64 exec, exec, s[2:3]
	s_cbranch_execz .LBB111_494
; %bb.489:
	v_cmp_ngt_f64_e64 s[2:3], |v[208:209]|, |v[210:211]|
                                        ; implicit-def: $vgpr204_vgpr205
	s_and_saveexec_b64 s[10:11], s[2:3]
	s_xor_b64 s[2:3], exec, s[10:11]
                                        ; implicit-def: $vgpr206_vgpr207
	s_cbranch_execz .LBB111_491
; %bb.490:
	v_div_scale_f64 v[204:205], s[10:11], v[210:211], v[210:211], v[208:209]
	v_rcp_f64_e32 v[206:207], v[204:205]
	v_div_scale_f64 v[212:213], vcc, v[208:209], v[210:211], v[208:209]
	v_fma_f64 v[214:215], -v[204:205], v[206:207], 1.0
	v_fmac_f64_e32 v[206:207], v[206:207], v[214:215]
	v_fma_f64 v[214:215], -v[204:205], v[206:207], 1.0
	v_fmac_f64_e32 v[206:207], v[206:207], v[214:215]
	v_mul_f64 v[214:215], v[212:213], v[206:207]
	v_fma_f64 v[204:205], -v[204:205], v[214:215], v[212:213]
	v_div_fmas_f64 v[204:205], v[204:205], v[206:207], v[214:215]
	v_div_fixup_f64 v[204:205], v[204:205], v[210:211], v[208:209]
	v_fmac_f64_e32 v[210:211], v[208:209], v[204:205]
	v_div_scale_f64 v[206:207], s[10:11], v[210:211], v[210:211], 1.0
	v_rcp_f64_e32 v[208:209], v[206:207]
	s_nop 0
	v_fma_f64 v[212:213], -v[206:207], v[208:209], 1.0
	v_fmac_f64_e32 v[208:209], v[208:209], v[212:213]
	v_fma_f64 v[212:213], -v[206:207], v[208:209], 1.0
	v_fmac_f64_e32 v[208:209], v[208:209], v[212:213]
	v_div_scale_f64 v[212:213], vcc, 1.0, v[210:211], 1.0
	v_mul_f64 v[214:215], v[212:213], v[208:209]
	v_fma_f64 v[206:207], -v[206:207], v[214:215], v[212:213]
	s_nop 1
	v_div_fmas_f64 v[206:207], v[206:207], v[208:209], v[214:215]
	v_div_fixup_f64 v[206:207], v[206:207], v[210:211], 1.0
	v_mul_f64 v[204:205], v[204:205], v[206:207]
	v_xor_b32_e32 v207, 0x80000000, v207
                                        ; implicit-def: $vgpr208_vgpr209
.LBB111_491:
	s_andn2_saveexec_b64 s[2:3], s[2:3]
	s_cbranch_execz .LBB111_493
; %bb.492:
	v_div_scale_f64 v[204:205], s[10:11], v[208:209], v[208:209], v[210:211]
	v_rcp_f64_e32 v[206:207], v[204:205]
	v_div_scale_f64 v[212:213], vcc, v[210:211], v[208:209], v[210:211]
	v_fma_f64 v[214:215], -v[204:205], v[206:207], 1.0
	v_fmac_f64_e32 v[206:207], v[206:207], v[214:215]
	v_fma_f64 v[214:215], -v[204:205], v[206:207], 1.0
	v_fmac_f64_e32 v[206:207], v[206:207], v[214:215]
	v_mul_f64 v[214:215], v[212:213], v[206:207]
	v_fma_f64 v[204:205], -v[204:205], v[214:215], v[212:213]
	v_div_fmas_f64 v[204:205], v[204:205], v[206:207], v[214:215]
	v_div_fixup_f64 v[206:207], v[204:205], v[208:209], v[210:211]
	v_fmac_f64_e32 v[208:209], v[210:211], v[206:207]
	v_div_scale_f64 v[204:205], s[10:11], v[208:209], v[208:209], 1.0
	v_rcp_f64_e32 v[210:211], v[204:205]
	s_nop 0
	v_fma_f64 v[212:213], -v[204:205], v[210:211], 1.0
	v_fmac_f64_e32 v[210:211], v[210:211], v[212:213]
	v_fma_f64 v[212:213], -v[204:205], v[210:211], 1.0
	v_fmac_f64_e32 v[210:211], v[210:211], v[212:213]
	v_div_scale_f64 v[212:213], vcc, 1.0, v[208:209], 1.0
	v_mul_f64 v[214:215], v[212:213], v[210:211]
	v_fma_f64 v[204:205], -v[204:205], v[214:215], v[212:213]
	s_nop 1
	v_div_fmas_f64 v[204:205], v[204:205], v[210:211], v[214:215]
	v_div_fixup_f64 v[204:205], v[204:205], v[208:209], 1.0
	v_mul_f64 v[206:207], v[206:207], -v[204:205]
.LBB111_493:
	s_or_b64 exec, exec, s[2:3]
	ds_write2_b64 v201, v[204:205], v[206:207] offset1:1
.LBB111_494:
	s_or_b64 exec, exec, s[4:5]
	s_waitcnt lgkmcnt(0)
	s_barrier
	ds_read2_b64 v[212:215], v201 offset1:1
	v_cmp_lt_u32_e32 vcc, 54, v200
	s_and_saveexec_b64 s[2:3], vcc
	s_cbranch_execz .LBB111_496
; %bb.495:
	ds_read2_b64 v[202:205], v202 offset0:110 offset1:111
	s_waitcnt lgkmcnt(1)
	v_mul_f64 v[206:207], v[212:213], v[2:3]
	v_mul_f64 v[2:3], v[214:215], v[2:3]
	v_fmac_f64_e32 v[206:207], v[214:215], v[0:1]
	v_fma_f64 v[0:1], v[212:213], v[0:1], -v[2:3]
	s_waitcnt lgkmcnt(0)
	v_mul_f64 v[2:3], v[204:205], v[206:207]
	v_fma_f64 v[2:3], v[202:203], v[0:1], -v[2:3]
	v_mul_f64 v[202:203], v[202:203], v[206:207]
	v_fmac_f64_e32 v[202:203], v[204:205], v[0:1]
	s_waitcnt vmcnt(61)
	v_add_f64 v[220:221], v[220:221], -v[2:3]
	v_add_f64 v[222:223], v[222:223], -v[202:203]
	v_mov_b64_e32 v[2:3], v[206:207]
.LBB111_496:
	s_or_b64 exec, exec, s[2:3]
	v_cmp_eq_u32_e32 vcc, 55, v200
	s_waitcnt lgkmcnt(0)
	s_barrier
	s_and_saveexec_b64 s[4:5], vcc
	s_cbranch_execz .LBB111_503
; %bb.497:
	s_waitcnt vmcnt(61)
	v_cmp_neq_f64_e32 vcc, 0, v[220:221]
	v_cmp_neq_f64_e64 s[2:3], 0, v[222:223]
	s_or_b64 s[2:3], vcc, s[2:3]
	ds_write2_b64 v201, v[220:221], v[222:223] offset1:1
	s_and_b64 exec, exec, s[2:3]
	s_cbranch_execz .LBB111_503
; %bb.498:
	v_cmp_ngt_f64_e64 s[2:3], |v[220:221]|, |v[222:223]|
                                        ; implicit-def: $vgpr204_vgpr205
	s_and_saveexec_b64 s[10:11], s[2:3]
	s_xor_b64 s[2:3], exec, s[10:11]
                                        ; implicit-def: $vgpr206_vgpr207
	s_cbranch_execz .LBB111_500
; %bb.499:
	v_div_scale_f64 v[202:203], s[10:11], v[222:223], v[222:223], v[220:221]
	v_rcp_f64_e32 v[204:205], v[202:203]
	v_div_scale_f64 v[206:207], vcc, v[220:221], v[222:223], v[220:221]
	v_mov_b64_e32 v[192:193], v[196:197]
	v_fma_f64 v[208:209], -v[202:203], v[204:205], 1.0
	v_fmac_f64_e32 v[204:205], v[204:205], v[208:209]
	v_fma_f64 v[208:209], -v[202:203], v[204:205], 1.0
	v_fmac_f64_e32 v[204:205], v[204:205], v[208:209]
	v_mul_f64 v[208:209], v[206:207], v[204:205]
	v_fma_f64 v[202:203], -v[202:203], v[208:209], v[206:207]
	v_div_fmas_f64 v[202:203], v[202:203], v[204:205], v[208:209]
	v_div_fixup_f64 v[202:203], v[202:203], v[222:223], v[220:221]
	v_fma_f64 v[204:205], v[220:221], v[202:203], v[222:223]
	v_div_scale_f64 v[206:207], s[10:11], v[204:205], v[204:205], 1.0
	v_rcp_f64_e32 v[208:209], v[206:207]
	v_mov_b64_e32 v[194:195], v[198:199]
	v_fma_f64 v[210:211], -v[206:207], v[208:209], 1.0
	v_fmac_f64_e32 v[208:209], v[208:209], v[210:211]
	v_fma_f64 v[210:211], -v[206:207], v[208:209], 1.0
	v_fmac_f64_e32 v[208:209], v[208:209], v[210:211]
	v_div_scale_f64 v[210:211], vcc, 1.0, v[204:205], 1.0
	v_mul_f64 v[196:197], v[210:211], v[208:209]
	v_fma_f64 v[198:199], -v[206:207], v[196:197], v[210:211]
	s_nop 1
	v_div_fmas_f64 v[196:197], v[198:199], v[208:209], v[196:197]
	v_div_fixup_f64 v[206:207], v[196:197], v[204:205], 1.0
	v_mov_b64_e32 v[198:199], v[194:195]
	v_mov_b64_e32 v[196:197], v[192:193]
	v_mul_f64 v[204:205], v[202:203], v[206:207]
	v_xor_b32_e32 v207, 0x80000000, v207
.LBB111_500:
	s_andn2_saveexec_b64 s[2:3], s[2:3]
	s_cbranch_execz .LBB111_502
; %bb.501:
	v_mov_b64_e32 v[192:193], v[196:197]
	v_mov_b64_e32 v[194:195], v[198:199]
	v_div_scale_f64 v[196:197], s[10:11], v[220:221], v[220:221], v[222:223]
	v_rcp_f64_e32 v[198:199], v[196:197]
	v_div_scale_f64 v[202:203], vcc, v[222:223], v[220:221], v[222:223]
	v_fma_f64 v[204:205], -v[196:197], v[198:199], 1.0
	v_fmac_f64_e32 v[198:199], v[198:199], v[204:205]
	v_fma_f64 v[204:205], -v[196:197], v[198:199], 1.0
	v_fmac_f64_e32 v[198:199], v[198:199], v[204:205]
	v_mul_f64 v[204:205], v[202:203], v[198:199]
	v_fma_f64 v[196:197], -v[196:197], v[204:205], v[202:203]
	v_div_fmas_f64 v[196:197], v[196:197], v[198:199], v[204:205]
	v_div_fixup_f64 v[196:197], v[196:197], v[220:221], v[222:223]
	v_fma_f64 v[198:199], v[222:223], v[196:197], v[220:221]
	v_div_scale_f64 v[202:203], s[10:11], v[198:199], v[198:199], 1.0
	v_rcp_f64_e32 v[204:205], v[202:203]
	s_nop 0
	v_fma_f64 v[206:207], -v[202:203], v[204:205], 1.0
	v_fmac_f64_e32 v[204:205], v[204:205], v[206:207]
	v_fma_f64 v[206:207], -v[202:203], v[204:205], 1.0
	v_fmac_f64_e32 v[204:205], v[204:205], v[206:207]
	v_div_scale_f64 v[206:207], vcc, 1.0, v[198:199], 1.0
	v_mul_f64 v[208:209], v[206:207], v[204:205]
	v_fma_f64 v[202:203], -v[202:203], v[208:209], v[206:207]
	s_nop 1
	v_div_fmas_f64 v[202:203], v[202:203], v[204:205], v[208:209]
	v_div_fixup_f64 v[204:205], v[202:203], v[198:199], 1.0
	v_mul_f64 v[206:207], v[196:197], -v[204:205]
	v_mov_b64_e32 v[198:199], v[194:195]
	v_mov_b64_e32 v[196:197], v[192:193]
.LBB111_502:
	s_or_b64 exec, exec, s[2:3]
	ds_write2_b64 v201, v[204:205], v[206:207] offset1:1
.LBB111_503:
	s_or_b64 exec, exec, s[4:5]
	s_waitcnt lgkmcnt(0)
	s_barrier
	ds_read2_b64 v[208:211], v201 offset1:1
	v_mov_b64_e32 v[192:193], v[196:197]
	v_mov_b64_e32 v[194:195], v[198:199]
	s_waitcnt lgkmcnt(0)
	s_barrier
	s_and_saveexec_b64 s[2:3], s[0:1]
	s_cbranch_execz .LBB111_506
; %bb.504:
	scratch_load_dwordx4 v[196:199], off, off offset:544 ; 16-byte Folded Reload
	scratch_load_dwordx4 v[202:205], off, off offset:560 ; 16-byte Folded Reload
	s_waitcnt vmcnt(1)
	v_cmp_eq_f64_e32 vcc, 0, v[196:197]
	v_cmp_eq_f64_e64 s[0:1], 0, v[198:199]
	s_and_b64 s[4:5], vcc, s[0:1]
	s_waitcnt vmcnt(0)
	v_cmp_neq_f64_e32 vcc, 0, v[202:203]
	v_cmp_neq_f64_e64 s[0:1], 0, v[204:205]
	scratch_load_dwordx4 v[202:205], off, off offset:576 ; 16-byte Folded Reload
	s_or_b64 s[0:1], vcc, s[0:1]
	v_cndmask_b32_e64 v196, 0, 1, s[4:5]
	s_or_b64 vcc, s[0:1], s[4:5]
	v_cndmask_b32_e32 v196, 2, v196, vcc
	v_mov_b32_e32 v197, s7
	s_waitcnt vmcnt(0)
	v_cmp_eq_f64_e32 vcc, 0, v[202:203]
	v_cmp_eq_f64_e64 s[0:1], 0, v[204:205]
	scratch_load_dwordx4 v[202:205], off, off offset:592 ; 16-byte Folded Reload
	s_and_b64 s[0:1], vcc, s[0:1]
	v_cmp_eq_u32_e32 vcc, 0, v196
	s_and_b64 s[0:1], s[0:1], vcc
	v_cndmask_b32_e64 v196, v196, 3, s[0:1]
	s_waitcnt vmcnt(0)
	v_cmp_eq_f64_e32 vcc, 0, v[202:203]
	v_cmp_eq_f64_e64 s[0:1], 0, v[204:205]
	scratch_load_dwordx4 v[202:205], off, off offset:608 ; 16-byte Folded Reload
	s_and_b64 s[0:1], vcc, s[0:1]
	v_cmp_eq_u32_e32 vcc, 0, v196
	s_and_b64 s[0:1], s[0:1], vcc
	v_cndmask_b32_e64 v196, v196, 4, s[0:1]
	;; [unrolled: 8-line block ×40, first 2 shown]
	v_mov_b32_e32 v196, s6
	s_waitcnt vmcnt(0)
	v_cmp_eq_f64_e32 vcc, 0, v[202:203]
	scratch_load_dwordx2 v[202:203], off, off offset:1264 ; 8-byte Folded Reload
	v_cmp_eq_f64_e64 s[0:1], 0, v[204:205]
	s_and_b64 s[0:1], vcc, s[0:1]
	v_cmp_eq_u32_e32 vcc, 0, v198
	s_and_b64 s[0:1], s[0:1], vcc
	s_waitcnt vmcnt(0)
	v_lshl_add_u64 v[204:205], v[202:203], 2, v[196:197]
	v_cndmask_b32_e64 v197, v198, 43, s[0:1]
	v_mov_b32_e32 v202, v200
	v_mov_b64_e32 v[200:201], v[78:79]
	v_mov_b64_e32 v[198:199], v[76:77]
	;; [unrolled: 1-line block ×58, first 2 shown]
	scratch_load_dwordx4 v[188:191], off, off offset:1232 ; 16-byte Folded Reload
	global_load_dword v196, v[204:205], off
	s_waitcnt vmcnt(1)
	v_cmp_eq_f64_e32 vcc, 0, v[188:189]
	v_cmp_eq_f64_e64 s[0:1], 0, v[190:191]
	s_and_b64 s[0:1], vcc, s[0:1]
	v_cmp_eq_u32_e32 vcc, 0, v197
	s_and_b64 s[0:1], s[0:1], vcc
	v_cndmask_b32_e64 v197, v197, 44, s[0:1]
	v_cmp_eq_f64_e32 vcc, 0, v[244:245]
	v_cmp_eq_f64_e64 s[0:1], 0, v[246:247]
	scratch_load_dwordx4 v[244:247], off, off offset:1248 ; 16-byte Folded Reload
	s_and_b64 s[0:1], vcc, s[0:1]
	v_cmp_eq_u32_e32 vcc, 0, v197
	s_and_b64 s[0:1], s[0:1], vcc
	v_cndmask_b32_e64 v197, v197, 45, s[0:1]
	v_cmp_eq_f64_e32 vcc, 0, v[248:249]
	v_cmp_eq_f64_e64 s[0:1], 0, v[250:251]
	s_and_b64 s[0:1], vcc, s[0:1]
	v_cmp_eq_u32_e32 vcc, 0, v197
	s_and_b64 s[0:1], s[0:1], vcc
	v_cndmask_b32_e64 v197, v197, 46, s[0:1]
	v_cmp_eq_f64_e32 vcc, 0, v[252:253]
	v_cmp_eq_f64_e64 s[0:1], 0, v[254:255]
	v_mov_b64_e32 v[190:191], v[186:187]
	s_and_b64 s[0:1], vcc, s[0:1]
	v_cmp_eq_u32_e32 vcc, 0, v197
	v_mov_b64_e32 v[188:189], v[184:185]
	v_mov_b64_e32 v[186:187], v[182:183]
	s_and_b64 s[0:1], s[0:1], vcc
	v_mov_b64_e32 v[184:185], v[180:181]
	v_mov_b64_e32 v[182:183], v[178:179]
	v_cndmask_b32_e64 v197, v197, 47, s[0:1]
	v_mov_b64_e32 v[180:181], v[176:177]
	v_mov_b64_e32 v[178:179], v[174:175]
	;; [unrolled: 1-line block ×53, first 2 shown]
	v_mov_b32_e32 v200, v202
	s_waitcnt vmcnt(0)
	v_cmp_eq_f64_e32 vcc, 0, v[244:245]
	v_cmp_eq_f64_e64 s[0:1], 0, v[246:247]
	s_and_b64 s[0:1], vcc, s[0:1]
	v_cmp_eq_u32_e32 vcc, 0, v197
	s_and_b64 s[0:1], s[0:1], vcc
	v_cndmask_b32_e64 v197, v197, 48, s[0:1]
	v_cmp_eq_f64_e32 vcc, 0, v[224:225]
	v_cmp_eq_f64_e64 s[0:1], 0, v[226:227]
	s_and_b64 s[0:1], vcc, s[0:1]
	v_cmp_eq_u32_e32 vcc, 0, v197
	s_and_b64 s[0:1], s[0:1], vcc
	v_cndmask_b32_e64 v197, v197, 49, s[0:1]
	;; [unrolled: 6-line block ×9, first 2 shown]
	v_cmp_eq_u32_e32 vcc, 0, v196
	v_cmp_ne_u32_e64 s[0:1], 0, v201
	s_and_b64 s[0:1], vcc, s[0:1]
	s_and_b64 exec, exec, s[0:1]
	s_cbranch_execz .LBB111_506
; %bb.505:
	v_add_u32_e32 v196, s9, v201
	global_store_dword v[204:205], v196, off
.LBB111_506:
	s_or_b64 exec, exec, s[2:3]
	s_waitcnt vmcnt(61)
	v_mul_f64 v[196:197], v[210:211], v[222:223]
	v_mul_f64 v[198:199], v[208:209], v[222:223]
	v_cmp_lt_u32_e32 vcc, 55, v200
	v_fma_f64 v[196:197], v[208:209], v[220:221], -v[196:197]
	v_fmac_f64_e32 v[198:199], v[210:211], v[220:221]
	v_cndmask_b32_e32 v211, v223, v199, vcc
	v_cndmask_b32_e32 v210, v222, v198, vcc
	;; [unrolled: 1-line block ×4, first 2 shown]
	scratch_load_dwordx2 v[196:197], off, off offset:96 ; 8-byte Folded Reload
	scratch_load_dwordx4 v[198:201], off, off offset:80 ; 16-byte Folded Reload
	s_waitcnt vmcnt(0)
	global_store_dwordx4 v[196:197], v[198:201], off
	scratch_load_dwordx2 v[196:197], off, off offset:536 ; 8-byte Folded Reload
	s_nop 0
	scratch_load_dwordx4 v[198:201], off, off offset:64 ; 16-byte Folded Reload
	s_waitcnt vmcnt(0)
	global_store_dwordx4 v[196:197], v[198:201], off
	scratch_load_dwordx2 v[196:197], off, off offset:104 ; 8-byte Folded Reload
	s_nop 0
	;; [unrolled: 5-line block ×4, first 2 shown]
	scratch_load_dwordx4 v[198:201], off, off offset:16 ; 16-byte Folded Reload
	s_waitcnt vmcnt(0)
	global_store_dwordx4 v[196:197], v[198:201], off
	scratch_load_dwordx2 v[196:197], off, off offset:128 ; 8-byte Folded Reload
	s_waitcnt vmcnt(0)
	global_store_dwordx4 v[196:197], v[192:195], off
	scratch_load_dwordx2 v[196:197], off, off offset:136 ; 8-byte Folded Reload
	s_nop 0
	scratch_load_dwordx4 v[192:195], off, off ; 16-byte Folded Reload
	s_waitcnt vmcnt(0)
	global_store_dwordx4 v[196:197], v[192:195], off
	scratch_load_dwordx2 v[192:193], off, off offset:144 ; 8-byte Folded Reload
	s_waitcnt vmcnt(0)
	global_store_dwordx4 v[192:193], v[188:191], off
	scratch_load_dwordx2 v[188:189], off, off offset:152 ; 8-byte Folded Reload
	;; [unrolled: 3-line block ×49, first 2 shown]
	s_waitcnt vmcnt(0)
	global_store_dwordx4 v[0:1], v[208:211], off
.LBB111_507:
	s_endpgm
	.section	.rodata,"a",@progbits
	.p2align	6, 0x0
	.amdhsa_kernel _ZN9rocsolver6v33100L23getf2_npvt_small_kernelILi56E19rocblas_complex_numIdEiiPS3_EEvT1_T3_lS5_lPT2_S5_S5_
		.amdhsa_group_segment_fixed_size 0
		.amdhsa_private_segment_fixed_size 1276
		.amdhsa_kernarg_size 312
		.amdhsa_user_sgpr_count 2
		.amdhsa_user_sgpr_dispatch_ptr 0
		.amdhsa_user_sgpr_queue_ptr 0
		.amdhsa_user_sgpr_kernarg_segment_ptr 1
		.amdhsa_user_sgpr_dispatch_id 0
		.amdhsa_user_sgpr_kernarg_preload_length 0
		.amdhsa_user_sgpr_kernarg_preload_offset 0
		.amdhsa_user_sgpr_private_segment_size 0
		.amdhsa_uses_dynamic_stack 0
		.amdhsa_enable_private_segment 1
		.amdhsa_system_sgpr_workgroup_id_x 1
		.amdhsa_system_sgpr_workgroup_id_y 1
		.amdhsa_system_sgpr_workgroup_id_z 0
		.amdhsa_system_sgpr_workgroup_info 0
		.amdhsa_system_vgpr_workitem_id 1
		.amdhsa_next_free_vgpr 256
		.amdhsa_next_free_sgpr 18
		.amdhsa_accum_offset 256
		.amdhsa_reserve_vcc 1
		.amdhsa_float_round_mode_32 0
		.amdhsa_float_round_mode_16_64 0
		.amdhsa_float_denorm_mode_32 3
		.amdhsa_float_denorm_mode_16_64 3
		.amdhsa_dx10_clamp 1
		.amdhsa_ieee_mode 1
		.amdhsa_fp16_overflow 0
		.amdhsa_tg_split 0
		.amdhsa_exception_fp_ieee_invalid_op 0
		.amdhsa_exception_fp_denorm_src 0
		.amdhsa_exception_fp_ieee_div_zero 0
		.amdhsa_exception_fp_ieee_overflow 0
		.amdhsa_exception_fp_ieee_underflow 0
		.amdhsa_exception_fp_ieee_inexact 0
		.amdhsa_exception_int_div_zero 0
	.end_amdhsa_kernel
	.section	.text._ZN9rocsolver6v33100L23getf2_npvt_small_kernelILi56E19rocblas_complex_numIdEiiPS3_EEvT1_T3_lS5_lPT2_S5_S5_,"axG",@progbits,_ZN9rocsolver6v33100L23getf2_npvt_small_kernelILi56E19rocblas_complex_numIdEiiPS3_EEvT1_T3_lS5_lPT2_S5_S5_,comdat
.Lfunc_end111:
	.size	_ZN9rocsolver6v33100L23getf2_npvt_small_kernelILi56E19rocblas_complex_numIdEiiPS3_EEvT1_T3_lS5_lPT2_S5_S5_, .Lfunc_end111-_ZN9rocsolver6v33100L23getf2_npvt_small_kernelILi56E19rocblas_complex_numIdEiiPS3_EEvT1_T3_lS5_lPT2_S5_S5_
                                        ; -- End function
	.set _ZN9rocsolver6v33100L23getf2_npvt_small_kernelILi56E19rocblas_complex_numIdEiiPS3_EEvT1_T3_lS5_lPT2_S5_S5_.num_vgpr, 256
	.set _ZN9rocsolver6v33100L23getf2_npvt_small_kernelILi56E19rocblas_complex_numIdEiiPS3_EEvT1_T3_lS5_lPT2_S5_S5_.num_agpr, 0
	.set _ZN9rocsolver6v33100L23getf2_npvt_small_kernelILi56E19rocblas_complex_numIdEiiPS3_EEvT1_T3_lS5_lPT2_S5_S5_.numbered_sgpr, 18
	.set _ZN9rocsolver6v33100L23getf2_npvt_small_kernelILi56E19rocblas_complex_numIdEiiPS3_EEvT1_T3_lS5_lPT2_S5_S5_.num_named_barrier, 0
	.set _ZN9rocsolver6v33100L23getf2_npvt_small_kernelILi56E19rocblas_complex_numIdEiiPS3_EEvT1_T3_lS5_lPT2_S5_S5_.private_seg_size, 1276
	.set _ZN9rocsolver6v33100L23getf2_npvt_small_kernelILi56E19rocblas_complex_numIdEiiPS3_EEvT1_T3_lS5_lPT2_S5_S5_.uses_vcc, 1
	.set _ZN9rocsolver6v33100L23getf2_npvt_small_kernelILi56E19rocblas_complex_numIdEiiPS3_EEvT1_T3_lS5_lPT2_S5_S5_.uses_flat_scratch, 0
	.set _ZN9rocsolver6v33100L23getf2_npvt_small_kernelILi56E19rocblas_complex_numIdEiiPS3_EEvT1_T3_lS5_lPT2_S5_S5_.has_dyn_sized_stack, 0
	.set _ZN9rocsolver6v33100L23getf2_npvt_small_kernelILi56E19rocblas_complex_numIdEiiPS3_EEvT1_T3_lS5_lPT2_S5_S5_.has_recursion, 0
	.set _ZN9rocsolver6v33100L23getf2_npvt_small_kernelILi56E19rocblas_complex_numIdEiiPS3_EEvT1_T3_lS5_lPT2_S5_S5_.has_indirect_call, 0
	.section	.AMDGPU.csdata,"",@progbits
; Kernel info:
; codeLenInByte = 137676
; TotalNumSgprs: 24
; NumVgprs: 256
; NumAgprs: 0
; TotalNumVgprs: 256
; ScratchSize: 1276
; MemoryBound: 1
; FloatMode: 240
; IeeeMode: 1
; LDSByteSize: 0 bytes/workgroup (compile time only)
; SGPRBlocks: 2
; VGPRBlocks: 31
; NumSGPRsForWavesPerEU: 24
; NumVGPRsForWavesPerEU: 256
; AccumOffset: 256
; Occupancy: 2
; WaveLimiterHint : 0
; COMPUTE_PGM_RSRC2:SCRATCH_EN: 1
; COMPUTE_PGM_RSRC2:USER_SGPR: 2
; COMPUTE_PGM_RSRC2:TRAP_HANDLER: 0
; COMPUTE_PGM_RSRC2:TGID_X_EN: 1
; COMPUTE_PGM_RSRC2:TGID_Y_EN: 1
; COMPUTE_PGM_RSRC2:TGID_Z_EN: 0
; COMPUTE_PGM_RSRC2:TIDIG_COMP_CNT: 1
; COMPUTE_PGM_RSRC3_GFX90A:ACCUM_OFFSET: 63
; COMPUTE_PGM_RSRC3_GFX90A:TG_SPLIT: 0
	.section	.text._ZN9rocsolver6v33100L18getf2_small_kernelILi57E19rocblas_complex_numIdEiiPS3_EEvT1_T3_lS5_lPS5_llPT2_S5_S5_S7_l,"axG",@progbits,_ZN9rocsolver6v33100L18getf2_small_kernelILi57E19rocblas_complex_numIdEiiPS3_EEvT1_T3_lS5_lPS5_llPT2_S5_S5_S7_l,comdat
	.globl	_ZN9rocsolver6v33100L18getf2_small_kernelILi57E19rocblas_complex_numIdEiiPS3_EEvT1_T3_lS5_lPS5_llPT2_S5_S5_S7_l ; -- Begin function _ZN9rocsolver6v33100L18getf2_small_kernelILi57E19rocblas_complex_numIdEiiPS3_EEvT1_T3_lS5_lPS5_llPT2_S5_S5_S7_l
	.p2align	8
	.type	_ZN9rocsolver6v33100L18getf2_small_kernelILi57E19rocblas_complex_numIdEiiPS3_EEvT1_T3_lS5_lPS5_llPT2_S5_S5_S7_l,@function
_ZN9rocsolver6v33100L18getf2_small_kernelILi57E19rocblas_complex_numIdEiiPS3_EEvT1_T3_lS5_lPS5_llPT2_S5_S5_S7_l: ; @_ZN9rocsolver6v33100L18getf2_small_kernelILi57E19rocblas_complex_numIdEiiPS3_EEvT1_T3_lS5_lPS5_llPT2_S5_S5_S7_l
; %bb.0:
	s_load_dword s2, s[0:1], 0x6c
	s_load_dwordx2 s[12:13], s[0:1], 0x48
	v_bfe_u32 v228, v0, 10, 10
	s_waitcnt lgkmcnt(0)
	s_lshr_b32 s2, s2, 16
	s_mul_i32 s3, s3, s2
	v_add_u32_e32 v8, s3, v228
	v_cmp_gt_i32_e32 vcc, s12, v8
	s_and_saveexec_b64 s[2:3], vcc
	s_cbranch_execnz .LBB112_1
; %bb.1199:
	s_getpc_b64 s[24:25]
.Lpost_getpc9:
	s_add_u32 s24, s24, (.LBB112_1198-.Lpost_getpc9)&4294967295
	s_addc_u32 s25, s25, (.LBB112_1198-.Lpost_getpc9)>>32
	s_setpc_b64 s[24:25]
.LBB112_1:
	s_load_dwordx4 s[4:7], s[0:1], 0x50
	v_ashrrev_i32_e32 v9, 31, v8
	v_mov_b64_e32 v[2:3], 0
	s_waitcnt lgkmcnt(0)
	s_cmp_eq_u64 s[4:5], 0
	s_cselect_b64 s[14:15], -1, 0
	s_and_b64 vcc, exec, s[14:15]
	s_cbranch_vccnz .LBB112_3
; %bb.2:
	v_mul_lo_u32 v1, s7, v8
	v_mul_lo_u32 v4, s6, v9
	v_mad_u64_u32 v[2:3], s[2:3], s6, v8, 0
	v_add3_u32 v3, v3, v4, v1
	v_lshl_add_u64 v[2:3], v[2:3], 2, s[4:5]
.LBB112_3:
	scratch_store_dwordx2 off, v[2:3], off offset:56 ; 8-byte Folded Spill
	s_load_dwordx4 s[16:19], s[0:1], 0x8
	s_load_dwordx8 s[4:11], s[0:1], 0x20
	s_load_dword s2, s[0:1], 0x18
	s_load_dword s20, s[0:1], 0x0
	v_mov_b32_e32 v239, 0
	s_waitcnt lgkmcnt(0)
	v_mov_b32_e32 v2, s16
	v_mul_lo_u32 v1, s5, v8
	v_mul_lo_u32 v6, s4, v9
	v_mad_u64_u32 v[4:5], s[4:5], s4, v8, 0
	v_mov_b32_e32 v3, s17
	v_add3_u32 v5, v5, v6, v1
	v_lshl_add_u64 v[2:3], v[4:5], 4, v[2:3]
	v_lshl_add_u64 v[76:77], s[18:19], 4, v[2:3]
	v_and_b32_e32 v2, 0x3ff, v0
	v_lshlrev_b32_e32 v238, 4, v2
	v_lshl_add_u64 v[0:1], v[76:77], 0, v[238:239]
	s_ashr_i32 s3, s2, 31
	scratch_store_dword off, v2, off offset:64 ; 4-byte Folded Spill
	v_lshl_add_u64 v[10:11], s[2:3], 4, v[0:1]
	global_load_dwordx4 v[208:211], v[0:1], off
	global_load_dwordx4 v[14:17], v[10:11], off
	s_add_i32 s12, s2, s2
	v_add_u32_e32 v2, s12, v2
	v_add_u32_e32 v4, s2, v2
	;; [unrolled: 1-line block ×3, first 2 shown]
	v_mov_b64_e32 v[232:233], v[8:9]
	v_add_u32_e32 v8, s2, v6
	v_ashrrev_i32_e32 v9, 31, v8
	v_add_u32_e32 v12, s2, v8
                                        ; kill: killed $vgpr0_vgpr1
	v_lshl_add_u64 v[0:1], v[8:9], 4, v[76:77]
	v_ashrrev_i32_e32 v13, 31, v12
	v_add_u32_e32 v8, s2, v12
                                        ; kill: killed $vgpr10_vgpr11
	v_lshl_add_u64 v[10:11], v[12:13], 4, v[76:77]
	v_add_u32_e32 v12, s2, v8
	v_ashrrev_i32_e32 v3, 31, v2
	v_ashrrev_i32_e32 v5, 31, v4
	v_lshl_add_u64 v[2:3], v[2:3], 4, v[76:77]
	v_ashrrev_i32_e32 v7, 31, v6
	v_ashrrev_i32_e32 v9, 31, v8
	;; [unrolled: 1-line block ×3, first 2 shown]
	v_lshl_add_u64 v[4:5], v[4:5], 4, v[76:77]
	v_lshl_add_u64 v[6:7], v[6:7], 4, v[76:77]
	;; [unrolled: 1-line block ×3, first 2 shown]
	scratch_store_dwordx2 off, v[76:77], off offset:48 ; 8-byte Folded Spill
	s_load_dwordx2 s[4:5], s[0:1], 0x40
	s_max_i32 s0, s20, 57
	s_cmp_lt_i32 s20, 2
	s_waitcnt vmcnt(1)
	scratch_store_dwordx4 off, v[14:17], off offset:16 ; 16-byte Folded Spill
	s_nop 1
	v_add_u32_e32 v14, s2, v12
	v_add_u32_e32 v16, s2, v14
	;; [unrolled: 1-line block ×14, first 2 shown]
	v_ashrrev_i32_e32 v41, 31, v40
	v_lshl_add_u64 v[42:43], v[40:41], 4, v[76:77]
	v_add_u32_e32 v40, s2, v40
	v_ashrrev_i32_e32 v41, 31, v40
	v_lshl_add_u64 v[44:45], v[40:41], 4, v[76:77]
	v_add_u32_e32 v40, s2, v40
	v_ashrrev_i32_e32 v41, 31, v40
	v_lshl_add_u64 v[46:47], v[40:41], 4, v[76:77]
	v_add_u32_e32 v40, s2, v40
	v_ashrrev_i32_e32 v41, 31, v40
	v_lshl_add_u64 v[48:49], v[40:41], 4, v[76:77]
	v_add_u32_e32 v40, s2, v40
	v_ashrrev_i32_e32 v41, 31, v40
	v_lshl_add_u64 v[50:51], v[40:41], 4, v[76:77]
	v_add_u32_e32 v40, s2, v40
	v_ashrrev_i32_e32 v41, 31, v40
	v_lshl_add_u64 v[52:53], v[40:41], 4, v[76:77]
	v_add_u32_e32 v40, s2, v40
	v_ashrrev_i32_e32 v41, 31, v40
	v_lshl_add_u64 v[54:55], v[40:41], 4, v[76:77]
	v_add_u32_e32 v40, s2, v40
	v_ashrrev_i32_e32 v41, 31, v40
	v_lshl_add_u64 v[56:57], v[40:41], 4, v[76:77]
	v_add_u32_e32 v40, s2, v40
	v_ashrrev_i32_e32 v41, 31, v40
	v_lshl_add_u64 v[58:59], v[40:41], 4, v[76:77]
	v_add_u32_e32 v40, s2, v40
	v_ashrrev_i32_e32 v41, 31, v40
	v_lshl_add_u64 v[60:61], v[40:41], 4, v[76:77]
	v_add_u32_e32 v40, s2, v40
	v_ashrrev_i32_e32 v41, 31, v40
	v_lshl_add_u64 v[62:63], v[40:41], 4, v[76:77]
	v_add_u32_e32 v40, s2, v40
	v_ashrrev_i32_e32 v41, 31, v40
	v_lshl_add_u64 v[64:65], v[40:41], 4, v[76:77]
	v_add_u32_e32 v40, s2, v40
	v_ashrrev_i32_e32 v41, 31, v40
	v_lshl_add_u64 v[66:67], v[40:41], 4, v[76:77]
	v_add_u32_e32 v40, s2, v40
	v_ashrrev_i32_e32 v41, 31, v40
	v_lshl_add_u64 v[68:69], v[40:41], 4, v[76:77]
	v_add_u32_e32 v40, s2, v40
	v_ashrrev_i32_e32 v41, 31, v40
	v_lshl_add_u64 v[70:71], v[40:41], 4, v[76:77]
	v_add_u32_e32 v40, s2, v40
	v_ashrrev_i32_e32 v41, 31, v40
	v_lshl_add_u64 v[72:73], v[40:41], 4, v[76:77]
	v_add_u32_e32 v40, s2, v40
	v_ashrrev_i32_e32 v41, 31, v40
	v_lshl_add_u64 v[224:225], v[40:41], 4, v[76:77]
	v_add_u32_e32 v40, s2, v40
	v_ashrrev_i32_e32 v41, 31, v40
	v_lshl_add_u64 v[226:227], v[40:41], 4, v[76:77]
	v_add_u32_e32 v40, s2, v40
	v_ashrrev_i32_e32 v41, 31, v40
	v_lshl_add_u64 v[230:231], v[40:41], 4, v[76:77]
	v_add_u32_e32 v40, s2, v40
	v_ashrrev_i32_e32 v41, 31, v40
	v_lshl_add_u64 v[240:241], v[40:41], 4, v[76:77]
	v_add_u32_e32 v40, s2, v40
	v_ashrrev_i32_e32 v41, 31, v40
	v_lshl_add_u64 v[244:245], v[40:41], 4, v[76:77]
	v_add_u32_e32 v40, s2, v40
	v_ashrrev_i32_e32 v41, 31, v40
	v_lshl_add_u64 v[246:247], v[40:41], 4, v[76:77]
	v_add_u32_e32 v40, s2, v40
	v_ashrrev_i32_e32 v41, 31, v40
	v_lshl_add_u64 v[248:249], v[40:41], 4, v[76:77]
	v_add_u32_e32 v40, s2, v40
	v_ashrrev_i32_e32 v41, 31, v40
	v_lshl_add_u64 v[250:251], v[40:41], 4, v[76:77]
	v_add_u32_e32 v40, s2, v40
	v_ashrrev_i32_e32 v41, 31, v40
	v_lshl_add_u64 v[252:253], v[40:41], 4, v[76:77]
	v_add_u32_e32 v40, s2, v40
	v_ashrrev_i32_e32 v41, 31, v40
	v_lshl_add_u64 v[254:255], v[40:41], 4, v[76:77]
	v_add_u32_e32 v40, s2, v40
	v_ashrrev_i32_e32 v41, 31, v40
	v_lshl_add_u64 v[234:235], v[40:41], 4, v[76:77]
	v_add_u32_e32 v40, s2, v40
	v_ashrrev_i32_e32 v41, 31, v40
	v_lshl_add_u64 v[242:243], v[40:41], 4, v[76:77]
	v_add_u32_e32 v40, s2, v40
	v_ashrrev_i32_e32 v41, 31, v40
	v_lshl_add_u64 v[236:237], v[40:41], 4, v[76:77]
	v_add_u32_e32 v40, s2, v40
	v_ashrrev_i32_e32 v41, 31, v40
	v_lshl_add_u64 v[156:157], v[40:41], 4, v[76:77]
	v_add_u32_e32 v40, s2, v40
	v_ashrrev_i32_e32 v41, 31, v40
	v_lshl_add_u64 v[158:159], v[40:41], 4, v[76:77]
	v_add_u32_e32 v40, s2, v40
	v_ashrrev_i32_e32 v41, 31, v40
	v_lshl_add_u64 v[148:149], v[40:41], 4, v[76:77]
	v_add_u32_e32 v40, s2, v40
	v_ashrrev_i32_e32 v41, 31, v40
	v_lshl_add_u64 v[150:151], v[40:41], 4, v[76:77]
	v_add_u32_e32 v40, s2, v40
	v_ashrrev_i32_e32 v41, 31, v40
	v_lshl_add_u64 v[220:221], v[40:41], 4, v[76:77]
	v_add_u32_e32 v40, s2, v40
	v_ashrrev_i32_e32 v15, 31, v14
	v_ashrrev_i32_e32 v17, 31, v16
	;; [unrolled: 1-line block ×14, first 2 shown]
	v_lshl_add_u64 v[12:13], v[12:13], 4, v[76:77]
	v_lshl_add_u64 v[14:15], v[14:15], 4, v[76:77]
	;; [unrolled: 1-line block ×15, first 2 shown]
	global_load_dwordx4 v[74:77], v[2:3], off
	s_waitcnt vmcnt(0)
	scratch_store_dwordx4 off, v[74:77], off ; 16-byte Folded Spill
	global_load_dwordx4 v[212:215], v[4:5], off
	global_load_dwordx4 v[216:219], v[6:7], off
	;; [unrolled: 1-line block ×4, first 2 shown]
	s_nop 0
	global_load_dwordx4 v[8:11], v[8:9], off
	s_nop 0
	global_load_dwordx4 v[196:199], v[12:13], off
	global_load_dwordx4 v[192:195], v[14:15], off
	;; [unrolled: 1-line block ×29, first 2 shown]
	s_nop 0
	global_load_dwordx4 v[72:75], v[72:73], off
	s_nop 0
	global_load_dwordx4 v[68:71], v[224:225], off
	global_load_dwordx4 v[64:67], v[226:227], off
	;; [unrolled: 1-line block ×19, first 2 shown]
	v_mul_lo_u32 v148, s0, v228
	v_lshl_add_u32 v240, v148, 4, 0
	v_add_u32_e32 v149, v240, v238
	ds_write2_b64 v149, v[208:209], v[210:211] offset1:1
	s_waitcnt lgkmcnt(0)
	s_barrier
	ds_read2_b64 v[228:231], v240 offset1:1
	v_mov_b64_e32 v[236:237], v[210:211]
	v_mov_b64_e32 v[234:235], v[208:209]
	v_lshlrev_b32_e32 v244, 4, v148
	s_cbranch_scc1 .LBB112_6
; %bb.4:
	v_add3_u32 v238, v244, 0, 16
	s_mov_b32 s16, 1
	v_mov_b32_e32 v239, 0
.LBB112_5:                              ; =>This Inner Loop Header: Depth=1
	ds_read2_b64 v[246:249], v238 offset1:1
	s_waitcnt lgkmcnt(1)
	v_xor_b32_e32 v149, 0x80000000, v229
	v_xor_b32_e32 v151, 0x80000000, v231
	v_cmp_gt_f64_e32 vcc, 0, v[230:231]
	v_cmp_gt_f64_e64 s[0:1], 0, v[228:229]
	v_mov_b32_e32 v148, v228
	v_mov_b32_e32 v150, v230
	v_cndmask_b32_e64 v149, v229, v149, s[0:1]
	v_cndmask_b32_e32 v151, v231, v151, vcc
	v_add_f64 v[148:149], v[148:149], v[150:151]
	s_waitcnt lgkmcnt(0)
	v_xor_b32_e32 v151, 0x80000000, v247
	v_xor_b32_e32 v157, 0x80000000, v249
	v_cmp_gt_f64_e32 vcc, 0, v[248:249]
	v_cmp_gt_f64_e64 s[0:1], 0, v[246:247]
	v_mov_b32_e32 v150, v246
	v_mov_b32_e32 v156, v248
	v_cndmask_b32_e64 v151, v247, v151, s[0:1]
	v_cndmask_b32_e32 v157, v249, v157, vcc
	v_add_f64 v[150:151], v[150:151], v[156:157]
	v_mov_b32_e32 v158, s16
	s_add_i32 s16, s16, 1
	v_cmp_lt_f64_e32 vcc, v[148:149], v[150:151]
	v_add_u32_e32 v238, 16, v238
	s_cmp_eq_u32 s20, s16
	v_cndmask_b32_e32 v229, v229, v247, vcc
	v_cndmask_b32_e32 v228, v228, v246, vcc
	;; [unrolled: 1-line block ×5, first 2 shown]
	s_cbranch_scc0 .LBB112_5
.LBB112_6:
	s_waitcnt vmcnt(51)
	v_mov_b64_e32 v[210:211], v[206:207]
	v_mov_b64_e32 v[208:209], v[204:205]
	s_waitcnt vmcnt(50)
	v_mov_b64_e32 v[206:207], v[202:203]
	v_mov_b64_e32 v[222:223], v[232:233]
	;; [unrolled: 1-line block ×3, first 2 shown]
	s_waitcnt lgkmcnt(0)
	v_cmp_neq_f64_e32 vcc, 0, v[228:229]
	v_cmp_neq_f64_e64 s[0:1], 0, v[230:231]
	v_mov_b32_e32 v242, 1
	v_mov_b32_e32 v245, 1
	scratch_store_dwordx4 off, v[234:237], off offset:32 ; 16-byte Folded Spill
	s_or_b64 s[16:17], vcc, s[0:1]
	s_mov_b64 s[0:1], exec
	s_waitcnt vmcnt(50)
	v_mov_b64_e32 v[202:203], v[10:11]
	v_mov_b64_e32 v[200:201], v[8:9]
	scratch_load_dwordx2 v[8:9], off, off offset:56 ; 8-byte Folded Reload
	scratch_load_dword v236, off, off offset:64 ; 4-byte Folded Reload
	v_mov_b64_e32 v[234:235], v[214:215]
	v_mov_b64_e32 v[232:233], v[212:213]
	s_waitcnt vmcnt(6)
	v_mov_b64_e32 v[214:215], v[2:3]
	s_and_b64 s[16:17], s[0:1], s[16:17]
	v_mov_b64_e32 v[212:213], v[0:1]
	s_mov_b64 exec, s[16:17]
	s_cbranch_execz .LBB112_12
; %bb.7:
	v_cmp_ngt_f64_e64 s[16:17], |v[228:229]|, |v[230:231]|
	s_and_saveexec_b64 s[18:19], s[16:17]
	s_xor_b64 s[16:17], exec, s[18:19]
	s_cbranch_execz .LBB112_9
; %bb.8:
	v_div_scale_f64 v[148:149], s[18:19], v[230:231], v[230:231], v[228:229]
	v_rcp_f64_e32 v[150:151], v[148:149]
	v_div_scale_f64 v[156:157], vcc, v[228:229], v[230:231], v[228:229]
	v_fma_f64 v[158:159], -v[148:149], v[150:151], 1.0
	v_fmac_f64_e32 v[150:151], v[150:151], v[158:159]
	v_fma_f64 v[158:159], -v[148:149], v[150:151], 1.0
	v_fmac_f64_e32 v[150:151], v[150:151], v[158:159]
	v_mul_f64 v[158:159], v[156:157], v[150:151]
	v_fma_f64 v[148:149], -v[148:149], v[158:159], v[156:157]
	v_div_fmas_f64 v[148:149], v[148:149], v[150:151], v[158:159]
	v_div_fixup_f64 v[148:149], v[148:149], v[230:231], v[228:229]
	v_fmac_f64_e32 v[230:231], v[228:229], v[148:149]
	v_div_scale_f64 v[150:151], s[18:19], v[230:231], v[230:231], 1.0
	v_rcp_f64_e32 v[156:157], v[150:151]
	s_nop 0
	v_fma_f64 v[158:159], -v[150:151], v[156:157], 1.0
	v_fmac_f64_e32 v[156:157], v[156:157], v[158:159]
	v_fma_f64 v[158:159], -v[150:151], v[156:157], 1.0
	v_fmac_f64_e32 v[156:157], v[156:157], v[158:159]
	v_div_scale_f64 v[158:159], vcc, 1.0, v[230:231], 1.0
	v_mul_f64 v[220:221], v[158:159], v[156:157]
	v_fma_f64 v[150:151], -v[150:151], v[220:221], v[158:159]
	s_nop 1
	v_div_fmas_f64 v[150:151], v[150:151], v[156:157], v[220:221]
	v_div_fixup_f64 v[230:231], v[150:151], v[230:231], 1.0
	v_mul_f64 v[228:229], v[148:149], v[230:231]
	v_xor_b32_e32 v231, 0x80000000, v231
.LBB112_9:
	s_andn2_saveexec_b64 s[16:17], s[16:17]
	s_cbranch_execz .LBB112_11
; %bb.10:
	v_div_scale_f64 v[148:149], s[18:19], v[228:229], v[228:229], v[230:231]
	v_rcp_f64_e32 v[150:151], v[148:149]
	v_div_scale_f64 v[156:157], vcc, v[230:231], v[228:229], v[230:231]
	v_fma_f64 v[158:159], -v[148:149], v[150:151], 1.0
	v_fmac_f64_e32 v[150:151], v[150:151], v[158:159]
	v_fma_f64 v[158:159], -v[148:149], v[150:151], 1.0
	v_fmac_f64_e32 v[150:151], v[150:151], v[158:159]
	v_mul_f64 v[158:159], v[156:157], v[150:151]
	v_fma_f64 v[148:149], -v[148:149], v[158:159], v[156:157]
	v_div_fmas_f64 v[148:149], v[148:149], v[150:151], v[158:159]
	v_div_fixup_f64 v[148:149], v[148:149], v[228:229], v[230:231]
	v_fmac_f64_e32 v[228:229], v[230:231], v[148:149]
	v_div_scale_f64 v[150:151], s[18:19], v[228:229], v[228:229], 1.0
	v_rcp_f64_e32 v[156:157], v[150:151]
	s_nop 0
	v_fma_f64 v[158:159], -v[150:151], v[156:157], 1.0
	v_fmac_f64_e32 v[156:157], v[156:157], v[158:159]
	v_fma_f64 v[158:159], -v[150:151], v[156:157], 1.0
	v_fmac_f64_e32 v[156:157], v[156:157], v[158:159]
	v_div_scale_f64 v[158:159], vcc, 1.0, v[228:229], 1.0
	v_mul_f64 v[220:221], v[158:159], v[156:157]
	v_fma_f64 v[150:151], -v[150:151], v[220:221], v[158:159]
	s_nop 1
	v_div_fmas_f64 v[150:151], v[150:151], v[156:157], v[220:221]
	v_div_fixup_f64 v[228:229], v[150:151], v[228:229], 1.0
	v_mul_f64 v[230:231], v[148:149], -v[228:229]
.LBB112_11:
	s_or_b64 exec, exec, s[16:17]
	v_mov_b32_e32 v245, 0
	v_mov_b32_e32 v242, 2
.LBB112_12:
	s_or_b64 exec, exec, s[0:1]
	s_waitcnt vmcnt(0)
	v_cmp_ne_u32_e32 vcc, v236, v239
	s_and_saveexec_b64 s[0:1], vcc
	s_xor_b64 s[0:1], exec, s[0:1]
	s_cbranch_execz .LBB112_18
; %bb.13:
	v_cmp_eq_u32_e32 vcc, 0, v236
	s_and_saveexec_b64 s[16:17], vcc
	s_cbranch_execz .LBB112_17
; %bb.14:
	v_cmp_ne_u32_e32 vcc, 0, v239
	s_xor_b64 s[18:19], s[14:15], -1
	s_and_b64 s[22:23], s[18:19], vcc
	s_and_saveexec_b64 s[18:19], s[22:23]
	s_cbranch_execz .LBB112_16
; %bb.15:
	v_ashrrev_i32_e32 v149, 31, v239
	v_mov_b32_e32 v148, v239
	v_lshl_add_u64 v[148:149], v[148:149], 2, v[8:9]
	global_load_dword v150, v[148:149], off
	global_load_dword v151, v[8:9], off
	s_waitcnt vmcnt(1)
	global_store_dword v[8:9], v150, off
	s_waitcnt vmcnt(1)
	global_store_dword v[148:149], v151, off
.LBB112_16:
	s_or_b64 exec, exec, s[18:19]
	v_mov_b32_e32 v236, v239
.LBB112_17:
	s_or_b64 exec, exec, s[16:17]
.LBB112_18:
	s_or_saveexec_b64 s[0:1], s[0:1]
	v_mov_b32_e32 v241, v236
	s_xor_b64 exec, exec, s[0:1]
	s_cbranch_execz .LBB112_20
; %bb.19:
	scratch_load_dwordx4 v[0:3], off, off offset:16 ; 16-byte Folded Reload
	v_mov_b32_e32 v241, 0
	s_waitcnt vmcnt(0)
	ds_write2_b64 v240, v[0:1], v[2:3] offset0:2 offset1:3
	scratch_load_dwordx4 v[0:3], off, off   ; 16-byte Folded Reload
	s_waitcnt vmcnt(0)
	ds_write2_b64 v240, v[0:1], v[2:3] offset0:4 offset1:5
	ds_write2_b64 v240, v[232:233], v[234:235] offset0:6 offset1:7
	;; [unrolled: 1-line block ×55, first 2 shown]
.LBB112_20:
	s_or_b64 exec, exec, s[0:1]
	v_cmp_lt_i32_e32 vcc, 0, v241
	s_waitcnt lgkmcnt(0)
	s_barrier
	s_and_saveexec_b64 s[0:1], vcc
	s_cbranch_execz .LBB112_22
; %bb.21:
	scratch_load_dwordx4 v[156:159], off, off offset:32 ; 16-byte Folded Reload
	scratch_load_dwordx4 v[0:3], off, off offset:16 ; 16-byte Folded Reload
	ds_read2_b64 v[246:249], v240 offset0:2 offset1:3
	s_waitcnt vmcnt(1)
	v_mul_f64 v[148:149], v[230:231], v[158:159]
	v_mul_f64 v[158:159], v[228:229], v[158:159]
	v_fmac_f64_e32 v[158:159], v[230:231], v[156:157]
	v_fma_f64 v[238:239], v[228:229], v[156:157], -v[148:149]
	ds_read2_b64 v[228:231], v240 offset0:4 offset1:5
	s_waitcnt lgkmcnt(1)
	v_mul_f64 v[148:149], v[248:249], v[158:159]
	v_mul_f64 v[150:151], v[246:247], v[158:159]
	v_fma_f64 v[148:149], v[246:247], v[238:239], -v[148:149]
	v_fmac_f64_e32 v[150:151], v[248:249], v[238:239]
	s_waitcnt vmcnt(0)
	v_add_f64 v[0:1], v[0:1], -v[148:149]
	v_add_f64 v[2:3], v[2:3], -v[150:151]
	scratch_store_dwordx4 off, v[0:3], off offset:16 ; 16-byte Folded Spill
	scratch_load_dwordx4 v[0:3], off, off   ; 16-byte Folded Reload
	ds_read2_b64 v[246:249], v240 offset0:6 offset1:7
	s_waitcnt lgkmcnt(1)
	v_mul_f64 v[148:149], v[230:231], v[158:159]
	v_mul_f64 v[150:151], v[228:229], v[158:159]
	v_fma_f64 v[148:149], v[228:229], v[238:239], -v[148:149]
	v_fmac_f64_e32 v[150:151], v[230:231], v[238:239]
	ds_read2_b64 v[228:231], v240 offset0:8 offset1:9
	v_mov_b64_e32 v[156:157], v[238:239]
	scratch_store_dwordx4 off, v[156:159], off offset:32 ; 16-byte Folded Spill
	s_waitcnt vmcnt(1)
	v_add_f64 v[0:1], v[0:1], -v[148:149]
	v_add_f64 v[2:3], v[2:3], -v[150:151]
	s_waitcnt lgkmcnt(1)
	v_mul_f64 v[148:149], v[248:249], v[158:159]
	v_mul_f64 v[150:151], v[246:247], v[158:159]
	v_fma_f64 v[148:149], v[246:247], v[238:239], -v[148:149]
	v_fmac_f64_e32 v[150:151], v[248:249], v[238:239]
	ds_read2_b64 v[246:249], v240 offset0:10 offset1:11
	v_add_f64 v[232:233], v[232:233], -v[148:149]
	v_add_f64 v[234:235], v[234:235], -v[150:151]
	s_waitcnt lgkmcnt(1)
	v_mul_f64 v[148:149], v[230:231], v[158:159]
	v_mul_f64 v[150:151], v[228:229], v[158:159]
	v_fma_f64 v[148:149], v[228:229], v[238:239], -v[148:149]
	v_fmac_f64_e32 v[150:151], v[230:231], v[238:239]
	ds_read2_b64 v[228:231], v240 offset0:12 offset1:13
	v_add_f64 v[216:217], v[216:217], -v[148:149]
	v_add_f64 v[218:219], v[218:219], -v[150:151]
	s_waitcnt lgkmcnt(1)
	v_mul_f64 v[148:149], v[248:249], v[158:159]
	v_mul_f64 v[150:151], v[246:247], v[158:159]
	v_fma_f64 v[148:149], v[246:247], v[238:239], -v[148:149]
	v_fmac_f64_e32 v[150:151], v[248:249], v[238:239]
	ds_read2_b64 v[246:249], v240 offset0:14 offset1:15
	v_add_f64 v[208:209], v[208:209], -v[148:149]
	v_add_f64 v[210:211], v[210:211], -v[150:151]
	s_waitcnt lgkmcnt(1)
	v_mul_f64 v[148:149], v[230:231], v[158:159]
	v_mul_f64 v[150:151], v[228:229], v[158:159]
	v_fma_f64 v[148:149], v[228:229], v[238:239], -v[148:149]
	v_fmac_f64_e32 v[150:151], v[230:231], v[238:239]
	ds_read2_b64 v[228:231], v240 offset0:16 offset1:17
	v_add_f64 v[204:205], v[204:205], -v[148:149]
	v_add_f64 v[206:207], v[206:207], -v[150:151]
	s_waitcnt lgkmcnt(1)
	v_mul_f64 v[148:149], v[248:249], v[158:159]
	v_mul_f64 v[150:151], v[246:247], v[158:159]
	v_fma_f64 v[148:149], v[246:247], v[238:239], -v[148:149]
	v_fmac_f64_e32 v[150:151], v[248:249], v[238:239]
	ds_read2_b64 v[246:249], v240 offset0:18 offset1:19
	v_add_f64 v[200:201], v[200:201], -v[148:149]
	v_add_f64 v[202:203], v[202:203], -v[150:151]
	s_waitcnt lgkmcnt(1)
	v_mul_f64 v[148:149], v[230:231], v[158:159]
	v_mul_f64 v[150:151], v[228:229], v[158:159]
	v_fma_f64 v[148:149], v[228:229], v[238:239], -v[148:149]
	v_fmac_f64_e32 v[150:151], v[230:231], v[238:239]
	ds_read2_b64 v[228:231], v240 offset0:20 offset1:21
	v_add_f64 v[196:197], v[196:197], -v[148:149]
	v_add_f64 v[198:199], v[198:199], -v[150:151]
	s_waitcnt lgkmcnt(1)
	v_mul_f64 v[148:149], v[248:249], v[158:159]
	v_mul_f64 v[150:151], v[246:247], v[158:159]
	v_fma_f64 v[148:149], v[246:247], v[238:239], -v[148:149]
	v_fmac_f64_e32 v[150:151], v[248:249], v[238:239]
	ds_read2_b64 v[246:249], v240 offset0:22 offset1:23
	v_add_f64 v[192:193], v[192:193], -v[148:149]
	v_add_f64 v[194:195], v[194:195], -v[150:151]
	s_waitcnt lgkmcnt(1)
	v_mul_f64 v[148:149], v[230:231], v[158:159]
	v_mul_f64 v[150:151], v[228:229], v[158:159]
	v_fma_f64 v[148:149], v[228:229], v[238:239], -v[148:149]
	v_fmac_f64_e32 v[150:151], v[230:231], v[238:239]
	ds_read2_b64 v[228:231], v240 offset0:24 offset1:25
	v_add_f64 v[188:189], v[188:189], -v[148:149]
	v_add_f64 v[190:191], v[190:191], -v[150:151]
	s_waitcnt lgkmcnt(1)
	v_mul_f64 v[148:149], v[248:249], v[158:159]
	v_mul_f64 v[150:151], v[246:247], v[158:159]
	v_fma_f64 v[148:149], v[246:247], v[238:239], -v[148:149]
	v_fmac_f64_e32 v[150:151], v[248:249], v[238:239]
	ds_read2_b64 v[246:249], v240 offset0:26 offset1:27
	v_add_f64 v[184:185], v[184:185], -v[148:149]
	v_add_f64 v[186:187], v[186:187], -v[150:151]
	s_waitcnt lgkmcnt(1)
	v_mul_f64 v[148:149], v[230:231], v[158:159]
	v_mul_f64 v[150:151], v[228:229], v[158:159]
	v_fma_f64 v[148:149], v[228:229], v[238:239], -v[148:149]
	v_fmac_f64_e32 v[150:151], v[230:231], v[238:239]
	ds_read2_b64 v[228:231], v240 offset0:28 offset1:29
	v_add_f64 v[180:181], v[180:181], -v[148:149]
	v_add_f64 v[182:183], v[182:183], -v[150:151]
	s_waitcnt lgkmcnt(1)
	v_mul_f64 v[148:149], v[248:249], v[158:159]
	v_mul_f64 v[150:151], v[246:247], v[158:159]
	v_fma_f64 v[148:149], v[246:247], v[238:239], -v[148:149]
	v_fmac_f64_e32 v[150:151], v[248:249], v[238:239]
	ds_read2_b64 v[246:249], v240 offset0:30 offset1:31
	v_add_f64 v[176:177], v[176:177], -v[148:149]
	v_add_f64 v[178:179], v[178:179], -v[150:151]
	s_waitcnt lgkmcnt(1)
	v_mul_f64 v[148:149], v[230:231], v[158:159]
	v_mul_f64 v[150:151], v[228:229], v[158:159]
	v_fma_f64 v[148:149], v[228:229], v[238:239], -v[148:149]
	v_fmac_f64_e32 v[150:151], v[230:231], v[238:239]
	ds_read2_b64 v[228:231], v240 offset0:32 offset1:33
	v_add_f64 v[172:173], v[172:173], -v[148:149]
	v_add_f64 v[174:175], v[174:175], -v[150:151]
	s_waitcnt lgkmcnt(1)
	v_mul_f64 v[148:149], v[248:249], v[158:159]
	v_mul_f64 v[150:151], v[246:247], v[158:159]
	v_fma_f64 v[148:149], v[246:247], v[238:239], -v[148:149]
	v_fmac_f64_e32 v[150:151], v[248:249], v[238:239]
	ds_read2_b64 v[246:249], v240 offset0:34 offset1:35
	v_add_f64 v[168:169], v[168:169], -v[148:149]
	v_add_f64 v[170:171], v[170:171], -v[150:151]
	s_waitcnt lgkmcnt(1)
	v_mul_f64 v[148:149], v[230:231], v[158:159]
	v_mul_f64 v[150:151], v[228:229], v[158:159]
	v_fma_f64 v[148:149], v[228:229], v[238:239], -v[148:149]
	v_fmac_f64_e32 v[150:151], v[230:231], v[238:239]
	ds_read2_b64 v[228:231], v240 offset0:36 offset1:37
	v_add_f64 v[164:165], v[164:165], -v[148:149]
	v_add_f64 v[166:167], v[166:167], -v[150:151]
	s_waitcnt lgkmcnt(1)
	v_mul_f64 v[148:149], v[248:249], v[158:159]
	v_mul_f64 v[150:151], v[246:247], v[158:159]
	v_fma_f64 v[148:149], v[246:247], v[238:239], -v[148:149]
	v_fmac_f64_e32 v[150:151], v[248:249], v[238:239]
	ds_read2_b64 v[246:249], v240 offset0:38 offset1:39
	v_add_f64 v[160:161], v[160:161], -v[148:149]
	v_add_f64 v[162:163], v[162:163], -v[150:151]
	s_waitcnt lgkmcnt(1)
	v_mul_f64 v[148:149], v[230:231], v[158:159]
	v_mul_f64 v[150:151], v[228:229], v[158:159]
	v_fma_f64 v[148:149], v[228:229], v[238:239], -v[148:149]
	v_fmac_f64_e32 v[150:151], v[230:231], v[238:239]
	ds_read2_b64 v[228:231], v240 offset0:40 offset1:41
	v_add_f64 v[152:153], v[152:153], -v[148:149]
	v_add_f64 v[154:155], v[154:155], -v[150:151]
	s_waitcnt lgkmcnt(1)
	v_mul_f64 v[148:149], v[248:249], v[158:159]
	v_mul_f64 v[150:151], v[246:247], v[158:159]
	v_fma_f64 v[148:149], v[246:247], v[238:239], -v[148:149]
	v_fmac_f64_e32 v[150:151], v[248:249], v[238:239]
	ds_read2_b64 v[246:249], v240 offset0:42 offset1:43
	v_add_f64 v[144:145], v[144:145], -v[148:149]
	v_add_f64 v[146:147], v[146:147], -v[150:151]
	s_waitcnt lgkmcnt(1)
	v_mul_f64 v[148:149], v[230:231], v[158:159]
	v_mul_f64 v[150:151], v[228:229], v[158:159]
	v_fma_f64 v[148:149], v[228:229], v[238:239], -v[148:149]
	v_fmac_f64_e32 v[150:151], v[230:231], v[238:239]
	ds_read2_b64 v[228:231], v240 offset0:44 offset1:45
	v_add_f64 v[140:141], v[140:141], -v[148:149]
	v_add_f64 v[142:143], v[142:143], -v[150:151]
	s_waitcnt lgkmcnt(1)
	v_mul_f64 v[148:149], v[248:249], v[158:159]
	v_mul_f64 v[150:151], v[246:247], v[158:159]
	v_fma_f64 v[148:149], v[246:247], v[238:239], -v[148:149]
	v_fmac_f64_e32 v[150:151], v[248:249], v[238:239]
	ds_read2_b64 v[246:249], v240 offset0:46 offset1:47
	v_add_f64 v[136:137], v[136:137], -v[148:149]
	v_add_f64 v[138:139], v[138:139], -v[150:151]
	s_waitcnt lgkmcnt(1)
	v_mul_f64 v[148:149], v[230:231], v[158:159]
	v_mul_f64 v[150:151], v[228:229], v[158:159]
	v_fma_f64 v[148:149], v[228:229], v[238:239], -v[148:149]
	v_fmac_f64_e32 v[150:151], v[230:231], v[238:239]
	ds_read2_b64 v[228:231], v240 offset0:48 offset1:49
	v_add_f64 v[132:133], v[132:133], -v[148:149]
	v_add_f64 v[134:135], v[134:135], -v[150:151]
	s_waitcnt lgkmcnt(1)
	v_mul_f64 v[148:149], v[248:249], v[158:159]
	v_mul_f64 v[150:151], v[246:247], v[158:159]
	v_fma_f64 v[148:149], v[246:247], v[238:239], -v[148:149]
	v_fmac_f64_e32 v[150:151], v[248:249], v[238:239]
	ds_read2_b64 v[246:249], v240 offset0:50 offset1:51
	v_add_f64 v[128:129], v[128:129], -v[148:149]
	v_add_f64 v[130:131], v[130:131], -v[150:151]
	s_waitcnt lgkmcnt(1)
	v_mul_f64 v[148:149], v[230:231], v[158:159]
	v_mul_f64 v[150:151], v[228:229], v[158:159]
	v_fma_f64 v[148:149], v[228:229], v[238:239], -v[148:149]
	v_fmac_f64_e32 v[150:151], v[230:231], v[238:239]
	ds_read2_b64 v[228:231], v240 offset0:52 offset1:53
	v_add_f64 v[124:125], v[124:125], -v[148:149]
	v_add_f64 v[126:127], v[126:127], -v[150:151]
	s_waitcnt lgkmcnt(1)
	v_mul_f64 v[148:149], v[248:249], v[158:159]
	v_mul_f64 v[150:151], v[246:247], v[158:159]
	v_fma_f64 v[148:149], v[246:247], v[238:239], -v[148:149]
	v_fmac_f64_e32 v[150:151], v[248:249], v[238:239]
	ds_read2_b64 v[246:249], v240 offset0:54 offset1:55
	v_add_f64 v[120:121], v[120:121], -v[148:149]
	v_add_f64 v[122:123], v[122:123], -v[150:151]
	s_waitcnt lgkmcnt(1)
	v_mul_f64 v[148:149], v[230:231], v[158:159]
	v_mul_f64 v[150:151], v[228:229], v[158:159]
	v_fma_f64 v[148:149], v[228:229], v[238:239], -v[148:149]
	v_fmac_f64_e32 v[150:151], v[230:231], v[238:239]
	ds_read2_b64 v[228:231], v240 offset0:56 offset1:57
	v_add_f64 v[116:117], v[116:117], -v[148:149]
	v_add_f64 v[118:119], v[118:119], -v[150:151]
	s_waitcnt lgkmcnt(1)
	v_mul_f64 v[148:149], v[248:249], v[158:159]
	v_mul_f64 v[150:151], v[246:247], v[158:159]
	v_fma_f64 v[148:149], v[246:247], v[238:239], -v[148:149]
	v_fmac_f64_e32 v[150:151], v[248:249], v[238:239]
	ds_read2_b64 v[246:249], v240 offset0:58 offset1:59
	v_add_f64 v[112:113], v[112:113], -v[148:149]
	v_add_f64 v[114:115], v[114:115], -v[150:151]
	s_waitcnt lgkmcnt(1)
	v_mul_f64 v[148:149], v[230:231], v[158:159]
	v_mul_f64 v[150:151], v[228:229], v[158:159]
	v_fma_f64 v[148:149], v[228:229], v[238:239], -v[148:149]
	v_fmac_f64_e32 v[150:151], v[230:231], v[238:239]
	ds_read2_b64 v[228:231], v240 offset0:60 offset1:61
	v_add_f64 v[108:109], v[108:109], -v[148:149]
	v_add_f64 v[110:111], v[110:111], -v[150:151]
	s_waitcnt lgkmcnt(1)
	v_mul_f64 v[148:149], v[248:249], v[158:159]
	v_mul_f64 v[150:151], v[246:247], v[158:159]
	v_fma_f64 v[148:149], v[246:247], v[238:239], -v[148:149]
	v_fmac_f64_e32 v[150:151], v[248:249], v[238:239]
	ds_read2_b64 v[246:249], v240 offset0:62 offset1:63
	v_add_f64 v[104:105], v[104:105], -v[148:149]
	v_add_f64 v[106:107], v[106:107], -v[150:151]
	s_waitcnt lgkmcnt(1)
	v_mul_f64 v[148:149], v[230:231], v[158:159]
	v_mul_f64 v[150:151], v[228:229], v[158:159]
	v_fma_f64 v[148:149], v[228:229], v[238:239], -v[148:149]
	v_fmac_f64_e32 v[150:151], v[230:231], v[238:239]
	ds_read2_b64 v[228:231], v240 offset0:64 offset1:65
	v_add_f64 v[100:101], v[100:101], -v[148:149]
	v_add_f64 v[102:103], v[102:103], -v[150:151]
	s_waitcnt lgkmcnt(1)
	v_mul_f64 v[148:149], v[248:249], v[158:159]
	v_mul_f64 v[150:151], v[246:247], v[158:159]
	v_fma_f64 v[148:149], v[246:247], v[238:239], -v[148:149]
	v_fmac_f64_e32 v[150:151], v[248:249], v[238:239]
	ds_read2_b64 v[246:249], v240 offset0:66 offset1:67
	v_add_f64 v[96:97], v[96:97], -v[148:149]
	v_add_f64 v[98:99], v[98:99], -v[150:151]
	s_waitcnt lgkmcnt(1)
	v_mul_f64 v[148:149], v[230:231], v[158:159]
	v_mul_f64 v[150:151], v[228:229], v[158:159]
	v_fma_f64 v[148:149], v[228:229], v[238:239], -v[148:149]
	v_fmac_f64_e32 v[150:151], v[230:231], v[238:239]
	ds_read2_b64 v[228:231], v240 offset0:68 offset1:69
	v_add_f64 v[92:93], v[92:93], -v[148:149]
	v_add_f64 v[94:95], v[94:95], -v[150:151]
	s_waitcnt lgkmcnt(1)
	v_mul_f64 v[148:149], v[248:249], v[158:159]
	v_mul_f64 v[150:151], v[246:247], v[158:159]
	v_fma_f64 v[148:149], v[246:247], v[238:239], -v[148:149]
	v_fmac_f64_e32 v[150:151], v[248:249], v[238:239]
	ds_read2_b64 v[246:249], v240 offset0:70 offset1:71
	v_add_f64 v[88:89], v[88:89], -v[148:149]
	v_add_f64 v[90:91], v[90:91], -v[150:151]
	s_waitcnt lgkmcnt(1)
	v_mul_f64 v[148:149], v[230:231], v[158:159]
	v_mul_f64 v[150:151], v[228:229], v[158:159]
	v_fma_f64 v[148:149], v[228:229], v[238:239], -v[148:149]
	v_fmac_f64_e32 v[150:151], v[230:231], v[238:239]
	ds_read2_b64 v[228:231], v240 offset0:72 offset1:73
	v_add_f64 v[84:85], v[84:85], -v[148:149]
	v_add_f64 v[86:87], v[86:87], -v[150:151]
	s_waitcnt lgkmcnt(1)
	v_mul_f64 v[148:149], v[248:249], v[158:159]
	v_mul_f64 v[150:151], v[246:247], v[158:159]
	v_fma_f64 v[148:149], v[246:247], v[238:239], -v[148:149]
	v_fmac_f64_e32 v[150:151], v[248:249], v[238:239]
	ds_read2_b64 v[246:249], v240 offset0:74 offset1:75
	v_add_f64 v[80:81], v[80:81], -v[148:149]
	v_add_f64 v[82:83], v[82:83], -v[150:151]
	s_waitcnt lgkmcnt(1)
	v_mul_f64 v[148:149], v[230:231], v[158:159]
	v_mul_f64 v[150:151], v[228:229], v[158:159]
	v_fma_f64 v[148:149], v[228:229], v[238:239], -v[148:149]
	v_fmac_f64_e32 v[150:151], v[230:231], v[238:239]
	ds_read2_b64 v[228:231], v240 offset0:76 offset1:77
	v_add_f64 v[76:77], v[76:77], -v[148:149]
	v_add_f64 v[78:79], v[78:79], -v[150:151]
	s_waitcnt lgkmcnt(1)
	v_mul_f64 v[148:149], v[248:249], v[158:159]
	v_mul_f64 v[150:151], v[246:247], v[158:159]
	v_fma_f64 v[148:149], v[246:247], v[238:239], -v[148:149]
	v_fmac_f64_e32 v[150:151], v[248:249], v[238:239]
	ds_read2_b64 v[246:249], v240 offset0:78 offset1:79
	v_add_f64 v[72:73], v[72:73], -v[148:149]
	v_add_f64 v[74:75], v[74:75], -v[150:151]
	s_waitcnt lgkmcnt(1)
	v_mul_f64 v[148:149], v[230:231], v[158:159]
	v_mul_f64 v[150:151], v[228:229], v[158:159]
	v_fma_f64 v[148:149], v[228:229], v[238:239], -v[148:149]
	v_fmac_f64_e32 v[150:151], v[230:231], v[238:239]
	ds_read2_b64 v[228:231], v240 offset0:80 offset1:81
	v_add_f64 v[68:69], v[68:69], -v[148:149]
	v_add_f64 v[70:71], v[70:71], -v[150:151]
	s_waitcnt lgkmcnt(1)
	v_mul_f64 v[148:149], v[248:249], v[158:159]
	v_mul_f64 v[150:151], v[246:247], v[158:159]
	v_fma_f64 v[148:149], v[246:247], v[238:239], -v[148:149]
	v_fmac_f64_e32 v[150:151], v[248:249], v[238:239]
	ds_read2_b64 v[246:249], v240 offset0:82 offset1:83
	v_add_f64 v[64:65], v[64:65], -v[148:149]
	v_add_f64 v[66:67], v[66:67], -v[150:151]
	s_waitcnt lgkmcnt(1)
	v_mul_f64 v[148:149], v[230:231], v[158:159]
	v_mul_f64 v[150:151], v[228:229], v[158:159]
	v_fma_f64 v[148:149], v[228:229], v[238:239], -v[148:149]
	v_fmac_f64_e32 v[150:151], v[230:231], v[238:239]
	ds_read2_b64 v[228:231], v240 offset0:84 offset1:85
	v_add_f64 v[60:61], v[60:61], -v[148:149]
	v_add_f64 v[62:63], v[62:63], -v[150:151]
	s_waitcnt lgkmcnt(1)
	v_mul_f64 v[148:149], v[248:249], v[158:159]
	v_mul_f64 v[150:151], v[246:247], v[158:159]
	v_fma_f64 v[148:149], v[246:247], v[238:239], -v[148:149]
	v_fmac_f64_e32 v[150:151], v[248:249], v[238:239]
	ds_read2_b64 v[246:249], v240 offset0:86 offset1:87
	v_add_f64 v[56:57], v[56:57], -v[148:149]
	v_add_f64 v[58:59], v[58:59], -v[150:151]
	s_waitcnt lgkmcnt(1)
	v_mul_f64 v[148:149], v[230:231], v[158:159]
	v_mul_f64 v[150:151], v[228:229], v[158:159]
	v_fma_f64 v[148:149], v[228:229], v[238:239], -v[148:149]
	v_fmac_f64_e32 v[150:151], v[230:231], v[238:239]
	ds_read2_b64 v[228:231], v240 offset0:88 offset1:89
	v_add_f64 v[52:53], v[52:53], -v[148:149]
	v_add_f64 v[54:55], v[54:55], -v[150:151]
	s_waitcnt lgkmcnt(1)
	v_mul_f64 v[148:149], v[248:249], v[158:159]
	v_mul_f64 v[150:151], v[246:247], v[158:159]
	v_fma_f64 v[148:149], v[246:247], v[238:239], -v[148:149]
	v_fmac_f64_e32 v[150:151], v[248:249], v[238:239]
	ds_read2_b64 v[246:249], v240 offset0:90 offset1:91
	v_add_f64 v[48:49], v[48:49], -v[148:149]
	v_add_f64 v[50:51], v[50:51], -v[150:151]
	s_waitcnt lgkmcnt(1)
	v_mul_f64 v[148:149], v[230:231], v[158:159]
	v_mul_f64 v[150:151], v[228:229], v[158:159]
	v_fma_f64 v[148:149], v[228:229], v[238:239], -v[148:149]
	v_fmac_f64_e32 v[150:151], v[230:231], v[238:239]
	ds_read2_b64 v[228:231], v240 offset0:92 offset1:93
	v_add_f64 v[44:45], v[44:45], -v[148:149]
	v_add_f64 v[46:47], v[46:47], -v[150:151]
	s_waitcnt lgkmcnt(1)
	v_mul_f64 v[148:149], v[248:249], v[158:159]
	v_mul_f64 v[150:151], v[246:247], v[158:159]
	v_fma_f64 v[148:149], v[246:247], v[238:239], -v[148:149]
	v_fmac_f64_e32 v[150:151], v[248:249], v[238:239]
	ds_read2_b64 v[246:249], v240 offset0:94 offset1:95
	v_add_f64 v[40:41], v[40:41], -v[148:149]
	v_add_f64 v[42:43], v[42:43], -v[150:151]
	s_waitcnt lgkmcnt(1)
	v_mul_f64 v[148:149], v[230:231], v[158:159]
	v_mul_f64 v[150:151], v[228:229], v[158:159]
	v_fma_f64 v[148:149], v[228:229], v[238:239], -v[148:149]
	v_fmac_f64_e32 v[150:151], v[230:231], v[238:239]
	ds_read2_b64 v[228:231], v240 offset0:96 offset1:97
	v_add_f64 v[36:37], v[36:37], -v[148:149]
	v_add_f64 v[38:39], v[38:39], -v[150:151]
	s_waitcnt lgkmcnt(1)
	v_mul_f64 v[148:149], v[248:249], v[158:159]
	v_mul_f64 v[150:151], v[246:247], v[158:159]
	v_fma_f64 v[148:149], v[246:247], v[238:239], -v[148:149]
	v_fmac_f64_e32 v[150:151], v[248:249], v[238:239]
	ds_read2_b64 v[246:249], v240 offset0:98 offset1:99
	v_add_f64 v[32:33], v[32:33], -v[148:149]
	v_add_f64 v[34:35], v[34:35], -v[150:151]
	s_waitcnt lgkmcnt(1)
	v_mul_f64 v[148:149], v[230:231], v[158:159]
	v_mul_f64 v[150:151], v[228:229], v[158:159]
	v_fma_f64 v[148:149], v[228:229], v[238:239], -v[148:149]
	v_fmac_f64_e32 v[150:151], v[230:231], v[238:239]
	ds_read2_b64 v[228:231], v240 offset0:100 offset1:101
	v_add_f64 v[28:29], v[28:29], -v[148:149]
	v_add_f64 v[30:31], v[30:31], -v[150:151]
	s_waitcnt lgkmcnt(1)
	v_mul_f64 v[148:149], v[248:249], v[158:159]
	v_mul_f64 v[150:151], v[246:247], v[158:159]
	v_fma_f64 v[148:149], v[246:247], v[238:239], -v[148:149]
	v_fmac_f64_e32 v[150:151], v[248:249], v[238:239]
	ds_read2_b64 v[246:249], v240 offset0:102 offset1:103
	v_add_f64 v[24:25], v[24:25], -v[148:149]
	v_add_f64 v[26:27], v[26:27], -v[150:151]
	s_waitcnt lgkmcnt(1)
	v_mul_f64 v[148:149], v[230:231], v[158:159]
	v_mul_f64 v[150:151], v[228:229], v[158:159]
	v_fma_f64 v[148:149], v[228:229], v[238:239], -v[148:149]
	v_fmac_f64_e32 v[150:151], v[230:231], v[238:239]
	ds_read2_b64 v[228:231], v240 offset0:104 offset1:105
	v_add_f64 v[20:21], v[20:21], -v[148:149]
	v_add_f64 v[22:23], v[22:23], -v[150:151]
	s_waitcnt lgkmcnt(1)
	v_mul_f64 v[148:149], v[248:249], v[158:159]
	v_mul_f64 v[150:151], v[246:247], v[158:159]
	v_fma_f64 v[148:149], v[246:247], v[238:239], -v[148:149]
	v_fmac_f64_e32 v[150:151], v[248:249], v[238:239]
	ds_read2_b64 v[246:249], v240 offset0:106 offset1:107
	v_add_f64 v[16:17], v[16:17], -v[148:149]
	v_add_f64 v[18:19], v[18:19], -v[150:151]
	s_waitcnt lgkmcnt(1)
	v_mul_f64 v[148:149], v[230:231], v[158:159]
	v_mul_f64 v[150:151], v[228:229], v[158:159]
	v_fma_f64 v[148:149], v[228:229], v[238:239], -v[148:149]
	v_fmac_f64_e32 v[150:151], v[230:231], v[238:239]
	ds_read2_b64 v[228:231], v240 offset0:108 offset1:109
	v_add_f64 v[12:13], v[12:13], -v[148:149]
	v_add_f64 v[14:15], v[14:15], -v[150:151]
	s_waitcnt lgkmcnt(1)
	v_mul_f64 v[148:149], v[248:249], v[158:159]
	v_mul_f64 v[150:151], v[246:247], v[158:159]
	v_fma_f64 v[148:149], v[246:247], v[238:239], -v[148:149]
	v_fmac_f64_e32 v[150:151], v[248:249], v[238:239]
	ds_read2_b64 v[246:249], v240 offset0:110 offset1:111
	v_add_f64 v[212:213], v[212:213], -v[148:149]
	v_add_f64 v[214:215], v[214:215], -v[150:151]
	s_waitcnt lgkmcnt(1)
	v_mul_f64 v[148:149], v[230:231], v[158:159]
	v_mul_f64 v[150:151], v[228:229], v[158:159]
	v_fma_f64 v[148:149], v[228:229], v[238:239], -v[148:149]
	v_fmac_f64_e32 v[150:151], v[230:231], v[238:239]
	ds_read2_b64 v[228:231], v240 offset0:112 offset1:113
	v_add_f64 v[4:5], v[4:5], -v[148:149]
	v_add_f64 v[6:7], v[6:7], -v[150:151]
	s_waitcnt lgkmcnt(1)
	v_mul_f64 v[148:149], v[248:249], v[158:159]
	v_mul_f64 v[150:151], v[246:247], v[158:159]
	v_fma_f64 v[148:149], v[246:247], v[238:239], -v[148:149]
	v_fmac_f64_e32 v[150:151], v[248:249], v[238:239]
	v_add_f64 v[250:251], v[250:251], -v[148:149]
	v_add_f64 v[252:253], v[252:253], -v[150:151]
	s_waitcnt lgkmcnt(0)
	v_mul_f64 v[148:149], v[230:231], v[158:159]
	v_mul_f64 v[150:151], v[228:229], v[158:159]
	v_fma_f64 v[148:149], v[228:229], v[238:239], -v[148:149]
	v_fmac_f64_e32 v[150:151], v[230:231], v[238:239]
	v_add_f64 v[224:225], v[224:225], -v[148:149]
	v_add_f64 v[226:227], v[226:227], -v[150:151]
	scratch_store_dwordx4 off, v[0:3], off  ; 16-byte Folded Spill
.LBB112_22:
	s_or_b64 exec, exec, s[0:1]
	s_barrier
	scratch_load_dwordx4 v[0:3], off, off offset:16 ; 16-byte Folded Reload
	v_lshl_add_u32 v148, v241, 4, v240
	s_cmp_lt_i32 s20, 3
	v_mov_b32_e32 v238, 1
	s_waitcnt vmcnt(0)
	ds_write2_b64 v148, v[0:1], v[2:3] offset1:1
	s_waitcnt lgkmcnt(0)
	s_barrier
	ds_read2_b64 v[228:231], v240 offset0:2 offset1:3
	s_cbranch_scc1 .LBB112_25
; %bb.23:
	v_add3_u32 v239, v244, 0, 32
	s_mov_b32 s0, 2
	v_mov_b32_e32 v238, 1
.LBB112_24:                             ; =>This Inner Loop Header: Depth=1
	ds_read2_b64 v[246:249], v239 offset1:1
	s_waitcnt lgkmcnt(1)
	v_cmp_gt_f64_e32 vcc, 0, v[228:229]
	v_xor_b32_e32 v148, 0x80000000, v229
	v_xor_b32_e32 v150, 0x80000000, v231
	v_cndmask_b32_e32 v149, v229, v148, vcc
	v_cmp_gt_f64_e32 vcc, 0, v[230:231]
	v_mov_b32_e32 v148, v228
	s_waitcnt lgkmcnt(0)
	v_xor_b32_e32 v156, 0x80000000, v249
	v_cndmask_b32_e32 v151, v231, v150, vcc
	v_mov_b32_e32 v150, v230
	v_add_f64 v[148:149], v[148:149], v[150:151]
	v_cmp_gt_f64_e32 vcc, 0, v[246:247]
	v_xor_b32_e32 v150, 0x80000000, v247
	v_add_u32_e32 v239, 16, v239
	v_cndmask_b32_e32 v151, v247, v150, vcc
	v_cmp_gt_f64_e32 vcc, 0, v[248:249]
	v_mov_b32_e32 v150, v246
	s_nop 0
	v_cndmask_b32_e32 v157, v249, v156, vcc
	v_mov_b32_e32 v156, v248
	v_add_f64 v[150:151], v[150:151], v[156:157]
	v_cmp_lt_f64_e32 vcc, v[148:149], v[150:151]
	v_mov_b32_e32 v148, s0
	s_add_i32 s0, s0, 1
	v_cndmask_b32_e32 v229, v229, v247, vcc
	v_cndmask_b32_e32 v228, v228, v246, vcc
	;; [unrolled: 1-line block ×5, first 2 shown]
	s_cmp_lg_u32 s20, s0
	s_cbranch_scc1 .LBB112_24
.LBB112_25:
	s_waitcnt lgkmcnt(0)
	v_cmp_neq_f64_e32 vcc, 0, v[228:229]
	v_cmp_neq_f64_e64 s[0:1], 0, v[230:231]
	s_or_b64 s[16:17], vcc, s[0:1]
	s_and_saveexec_b64 s[0:1], s[16:17]
	s_cbranch_execz .LBB112_31
; %bb.26:
	v_cmp_ngt_f64_e64 s[16:17], |v[228:229]|, |v[230:231]|
	s_and_saveexec_b64 s[18:19], s[16:17]
	s_xor_b64 s[16:17], exec, s[18:19]
	s_cbranch_execz .LBB112_28
; %bb.27:
	v_div_scale_f64 v[148:149], s[18:19], v[230:231], v[230:231], v[228:229]
	v_rcp_f64_e32 v[150:151], v[148:149]
	v_div_scale_f64 v[156:157], vcc, v[228:229], v[230:231], v[228:229]
	v_fma_f64 v[158:159], -v[148:149], v[150:151], 1.0
	v_fmac_f64_e32 v[150:151], v[150:151], v[158:159]
	v_fma_f64 v[158:159], -v[148:149], v[150:151], 1.0
	v_fmac_f64_e32 v[150:151], v[150:151], v[158:159]
	v_mul_f64 v[158:159], v[156:157], v[150:151]
	v_fma_f64 v[148:149], -v[148:149], v[158:159], v[156:157]
	v_div_fmas_f64 v[148:149], v[148:149], v[150:151], v[158:159]
	v_div_fixup_f64 v[148:149], v[148:149], v[230:231], v[228:229]
	v_fmac_f64_e32 v[230:231], v[228:229], v[148:149]
	v_div_scale_f64 v[150:151], s[18:19], v[230:231], v[230:231], 1.0
	v_rcp_f64_e32 v[156:157], v[150:151]
	s_nop 0
	v_fma_f64 v[158:159], -v[150:151], v[156:157], 1.0
	v_fmac_f64_e32 v[156:157], v[156:157], v[158:159]
	v_fma_f64 v[158:159], -v[150:151], v[156:157], 1.0
	v_fmac_f64_e32 v[156:157], v[156:157], v[158:159]
	v_div_scale_f64 v[158:159], vcc, 1.0, v[230:231], 1.0
	v_mul_f64 v[220:221], v[158:159], v[156:157]
	v_fma_f64 v[150:151], -v[150:151], v[220:221], v[158:159]
	s_nop 1
	v_div_fmas_f64 v[150:151], v[150:151], v[156:157], v[220:221]
	v_div_fixup_f64 v[230:231], v[150:151], v[230:231], 1.0
	v_mul_f64 v[228:229], v[148:149], v[230:231]
	v_xor_b32_e32 v231, 0x80000000, v231
.LBB112_28:
	s_andn2_saveexec_b64 s[16:17], s[16:17]
	s_cbranch_execz .LBB112_30
; %bb.29:
	v_div_scale_f64 v[148:149], s[18:19], v[228:229], v[228:229], v[230:231]
	v_rcp_f64_e32 v[150:151], v[148:149]
	v_div_scale_f64 v[156:157], vcc, v[230:231], v[228:229], v[230:231]
	v_fma_f64 v[158:159], -v[148:149], v[150:151], 1.0
	v_fmac_f64_e32 v[150:151], v[150:151], v[158:159]
	v_fma_f64 v[158:159], -v[148:149], v[150:151], 1.0
	v_fmac_f64_e32 v[150:151], v[150:151], v[158:159]
	v_mul_f64 v[158:159], v[156:157], v[150:151]
	v_fma_f64 v[148:149], -v[148:149], v[158:159], v[156:157]
	v_div_fmas_f64 v[148:149], v[148:149], v[150:151], v[158:159]
	v_div_fixup_f64 v[148:149], v[148:149], v[228:229], v[230:231]
	v_fmac_f64_e32 v[228:229], v[230:231], v[148:149]
	v_div_scale_f64 v[150:151], s[18:19], v[228:229], v[228:229], 1.0
	v_rcp_f64_e32 v[156:157], v[150:151]
	s_nop 0
	v_fma_f64 v[158:159], -v[150:151], v[156:157], 1.0
	v_fmac_f64_e32 v[156:157], v[156:157], v[158:159]
	v_fma_f64 v[158:159], -v[150:151], v[156:157], 1.0
	v_fmac_f64_e32 v[156:157], v[156:157], v[158:159]
	v_div_scale_f64 v[158:159], vcc, 1.0, v[228:229], 1.0
	v_mul_f64 v[220:221], v[158:159], v[156:157]
	v_fma_f64 v[150:151], -v[150:151], v[220:221], v[158:159]
	s_nop 1
	v_div_fmas_f64 v[150:151], v[150:151], v[156:157], v[220:221]
	v_div_fixup_f64 v[228:229], v[150:151], v[228:229], 1.0
	v_mul_f64 v[230:231], v[148:149], -v[228:229]
.LBB112_30:
	s_or_b64 exec, exec, s[16:17]
	v_mov_b32_e32 v242, v245
.LBB112_31:
	s_or_b64 exec, exec, s[0:1]
	v_cmp_ne_u32_e32 vcc, v241, v238
	s_and_saveexec_b64 s[0:1], vcc
	s_xor_b64 s[0:1], exec, s[0:1]
	s_cbranch_execz .LBB112_37
; %bb.32:
	v_cmp_eq_u32_e32 vcc, 1, v241
	s_and_saveexec_b64 s[16:17], vcc
	s_cbranch_execz .LBB112_36
; %bb.33:
	v_cmp_ne_u32_e32 vcc, 1, v238
	s_xor_b64 s[18:19], s[14:15], -1
	s_and_b64 s[22:23], s[18:19], vcc
	s_and_saveexec_b64 s[18:19], s[22:23]
	s_cbranch_execz .LBB112_35
; %bb.34:
	v_ashrrev_i32_e32 v239, 31, v238
	v_lshl_add_u64 v[148:149], v[238:239], 2, v[8:9]
	global_load_dword v150, v[148:149], off
	global_load_dword v151, v[8:9], off offset:4
	s_waitcnt vmcnt(1)
	global_store_dword v[8:9], v150, off offset:4
	s_waitcnt vmcnt(1)
	global_store_dword v[148:149], v151, off
.LBB112_35:
	s_or_b64 exec, exec, s[18:19]
	v_mov_b32_e32 v241, v238
	v_mov_b32_e32 v236, v238
.LBB112_36:
	s_or_b64 exec, exec, s[16:17]
.LBB112_37:
	s_andn2_saveexec_b64 s[0:1], s[0:1]
	s_cbranch_execz .LBB112_39
; %bb.38:
	scratch_load_dwordx4 v[0:3], off, off   ; 16-byte Folded Reload
	v_mov_b32_e32 v241, 1
	s_waitcnt vmcnt(0)
	ds_write2_b64 v240, v[0:1], v[2:3] offset0:4 offset1:5
	ds_write2_b64 v240, v[232:233], v[234:235] offset0:6 offset1:7
	;; [unrolled: 1-line block ×55, first 2 shown]
.LBB112_39:
	s_or_b64 exec, exec, s[0:1]
	v_cmp_lt_i32_e32 vcc, 1, v241
	s_waitcnt lgkmcnt(0)
	s_barrier
	s_and_saveexec_b64 s[0:1], vcc
	s_cbranch_execz .LBB112_41
; %bb.40:
	scratch_load_dwordx4 v[156:159], off, off offset:16 ; 16-byte Folded Reload
	scratch_load_dwordx4 v[0:3], off, off   ; 16-byte Folded Reload
	ds_read2_b64 v[246:249], v240 offset0:4 offset1:5
	s_waitcnt vmcnt(1)
	v_mul_f64 v[148:149], v[230:231], v[158:159]
	v_mul_f64 v[158:159], v[228:229], v[158:159]
	v_fma_f64 v[238:239], v[228:229], v[156:157], -v[148:149]
	v_fmac_f64_e32 v[158:159], v[230:231], v[156:157]
	ds_read2_b64 v[228:231], v240 offset0:6 offset1:7
	s_waitcnt lgkmcnt(1)
	v_mul_f64 v[148:149], v[248:249], v[158:159]
	v_mul_f64 v[150:151], v[246:247], v[158:159]
	v_fma_f64 v[148:149], v[246:247], v[238:239], -v[148:149]
	v_fmac_f64_e32 v[150:151], v[248:249], v[238:239]
	ds_read2_b64 v[246:249], v240 offset0:8 offset1:9
	s_waitcnt vmcnt(0)
	v_add_f64 v[0:1], v[0:1], -v[148:149]
	v_add_f64 v[2:3], v[2:3], -v[150:151]
	s_waitcnt lgkmcnt(1)
	v_mul_f64 v[148:149], v[230:231], v[158:159]
	v_mul_f64 v[150:151], v[228:229], v[158:159]
	v_fma_f64 v[148:149], v[228:229], v[238:239], -v[148:149]
	v_fmac_f64_e32 v[150:151], v[230:231], v[238:239]
	ds_read2_b64 v[228:231], v240 offset0:10 offset1:11
	v_add_f64 v[232:233], v[232:233], -v[148:149]
	v_add_f64 v[234:235], v[234:235], -v[150:151]
	s_waitcnt lgkmcnt(1)
	v_mul_f64 v[148:149], v[248:249], v[158:159]
	v_mul_f64 v[150:151], v[246:247], v[158:159]
	v_fma_f64 v[148:149], v[246:247], v[238:239], -v[148:149]
	v_fmac_f64_e32 v[150:151], v[248:249], v[238:239]
	ds_read2_b64 v[246:249], v240 offset0:12 offset1:13
	;; [unrolled: 8-line block ×52, first 2 shown]
	v_add_f64 v[4:5], v[4:5], -v[148:149]
	v_add_f64 v[6:7], v[6:7], -v[150:151]
	s_waitcnt lgkmcnt(1)
	v_mul_f64 v[148:149], v[230:231], v[158:159]
	v_mul_f64 v[150:151], v[228:229], v[158:159]
	v_fma_f64 v[148:149], v[228:229], v[238:239], -v[148:149]
	v_fmac_f64_e32 v[150:151], v[230:231], v[238:239]
	v_add_f64 v[250:251], v[250:251], -v[148:149]
	v_add_f64 v[252:253], v[252:253], -v[150:151]
	s_waitcnt lgkmcnt(0)
	v_mul_f64 v[148:149], v[248:249], v[158:159]
	v_mul_f64 v[150:151], v[246:247], v[158:159]
	v_fma_f64 v[148:149], v[246:247], v[238:239], -v[148:149]
	v_fmac_f64_e32 v[150:151], v[248:249], v[238:239]
	v_add_f64 v[224:225], v[224:225], -v[148:149]
	v_add_f64 v[226:227], v[226:227], -v[150:151]
	v_mov_b64_e32 v[156:157], v[238:239]
	scratch_store_dwordx4 off, v[0:3], off  ; 16-byte Folded Spill
	scratch_store_dwordx4 off, v[156:159], off offset:16 ; 16-byte Folded Spill
.LBB112_41:
	s_or_b64 exec, exec, s[0:1]
	s_barrier
	scratch_load_dwordx4 v[0:3], off, off   ; 16-byte Folded Reload
	v_lshl_add_u32 v148, v241, 4, v240
	s_cmp_lt_i32 s20, 4
	v_mov_b32_e32 v238, 2
	s_waitcnt vmcnt(0)
	ds_write2_b64 v148, v[0:1], v[2:3] offset1:1
	s_waitcnt lgkmcnt(0)
	s_barrier
	ds_read2_b64 v[228:231], v240 offset0:4 offset1:5
	s_cbranch_scc1 .LBB112_44
; %bb.42:
	v_add3_u32 v239, v244, 0, 48
	s_mov_b32 s0, 3
	v_mov_b32_e32 v238, 2
.LBB112_43:                             ; =>This Inner Loop Header: Depth=1
	ds_read2_b64 v[246:249], v239 offset1:1
	s_waitcnt lgkmcnt(1)
	v_cmp_gt_f64_e32 vcc, 0, v[228:229]
	v_xor_b32_e32 v148, 0x80000000, v229
	v_xor_b32_e32 v150, 0x80000000, v231
	v_cndmask_b32_e32 v149, v229, v148, vcc
	v_cmp_gt_f64_e32 vcc, 0, v[230:231]
	v_mov_b32_e32 v148, v228
	s_waitcnt lgkmcnt(0)
	v_xor_b32_e32 v156, 0x80000000, v249
	v_cndmask_b32_e32 v151, v231, v150, vcc
	v_mov_b32_e32 v150, v230
	v_add_f64 v[148:149], v[148:149], v[150:151]
	v_cmp_gt_f64_e32 vcc, 0, v[246:247]
	v_xor_b32_e32 v150, 0x80000000, v247
	v_add_u32_e32 v239, 16, v239
	v_cndmask_b32_e32 v151, v247, v150, vcc
	v_cmp_gt_f64_e32 vcc, 0, v[248:249]
	v_mov_b32_e32 v150, v246
	s_nop 0
	v_cndmask_b32_e32 v157, v249, v156, vcc
	v_mov_b32_e32 v156, v248
	v_add_f64 v[150:151], v[150:151], v[156:157]
	v_cmp_lt_f64_e32 vcc, v[148:149], v[150:151]
	v_mov_b32_e32 v148, s0
	s_add_i32 s0, s0, 1
	v_cndmask_b32_e32 v229, v229, v247, vcc
	v_cndmask_b32_e32 v228, v228, v246, vcc
	;; [unrolled: 1-line block ×5, first 2 shown]
	s_cmp_lg_u32 s20, s0
	s_cbranch_scc1 .LBB112_43
.LBB112_44:
	s_waitcnt lgkmcnt(0)
	v_cmp_eq_f64_e32 vcc, 0, v[228:229]
	v_cmp_eq_f64_e64 s[0:1], 0, v[230:231]
	s_and_b64 s[0:1], vcc, s[0:1]
	s_and_saveexec_b64 s[16:17], s[0:1]
	s_xor_b64 s[0:1], exec, s[16:17]
; %bb.45:
	v_cmp_ne_u32_e32 vcc, 0, v242
	s_nop 1
	v_cndmask_b32_e32 v242, 3, v242, vcc
; %bb.46:
	s_andn2_saveexec_b64 s[0:1], s[0:1]
	s_cbranch_execz .LBB112_52
; %bb.47:
	v_cmp_ngt_f64_e64 s[16:17], |v[228:229]|, |v[230:231]|
	s_and_saveexec_b64 s[18:19], s[16:17]
	s_xor_b64 s[16:17], exec, s[18:19]
	s_cbranch_execz .LBB112_49
; %bb.48:
	v_div_scale_f64 v[148:149], s[18:19], v[230:231], v[230:231], v[228:229]
	v_rcp_f64_e32 v[150:151], v[148:149]
	v_div_scale_f64 v[156:157], vcc, v[228:229], v[230:231], v[228:229]
	v_fma_f64 v[158:159], -v[148:149], v[150:151], 1.0
	v_fmac_f64_e32 v[150:151], v[150:151], v[158:159]
	v_fma_f64 v[158:159], -v[148:149], v[150:151], 1.0
	v_fmac_f64_e32 v[150:151], v[150:151], v[158:159]
	v_mul_f64 v[158:159], v[156:157], v[150:151]
	v_fma_f64 v[148:149], -v[148:149], v[158:159], v[156:157]
	v_div_fmas_f64 v[148:149], v[148:149], v[150:151], v[158:159]
	v_div_fixup_f64 v[148:149], v[148:149], v[230:231], v[228:229]
	v_fmac_f64_e32 v[230:231], v[228:229], v[148:149]
	v_div_scale_f64 v[150:151], s[18:19], v[230:231], v[230:231], 1.0
	v_rcp_f64_e32 v[156:157], v[150:151]
	s_nop 0
	v_fma_f64 v[158:159], -v[150:151], v[156:157], 1.0
	v_fmac_f64_e32 v[156:157], v[156:157], v[158:159]
	v_fma_f64 v[158:159], -v[150:151], v[156:157], 1.0
	v_fmac_f64_e32 v[156:157], v[156:157], v[158:159]
	v_div_scale_f64 v[158:159], vcc, 1.0, v[230:231], 1.0
	v_mul_f64 v[220:221], v[158:159], v[156:157]
	v_fma_f64 v[150:151], -v[150:151], v[220:221], v[158:159]
	s_nop 1
	v_div_fmas_f64 v[150:151], v[150:151], v[156:157], v[220:221]
	v_div_fixup_f64 v[230:231], v[150:151], v[230:231], 1.0
	v_mul_f64 v[228:229], v[148:149], v[230:231]
	v_xor_b32_e32 v231, 0x80000000, v231
.LBB112_49:
	s_andn2_saveexec_b64 s[16:17], s[16:17]
	s_cbranch_execz .LBB112_51
; %bb.50:
	v_div_scale_f64 v[148:149], s[18:19], v[228:229], v[228:229], v[230:231]
	v_rcp_f64_e32 v[150:151], v[148:149]
	v_div_scale_f64 v[156:157], vcc, v[230:231], v[228:229], v[230:231]
	v_fma_f64 v[158:159], -v[148:149], v[150:151], 1.0
	v_fmac_f64_e32 v[150:151], v[150:151], v[158:159]
	v_fma_f64 v[158:159], -v[148:149], v[150:151], 1.0
	v_fmac_f64_e32 v[150:151], v[150:151], v[158:159]
	v_mul_f64 v[158:159], v[156:157], v[150:151]
	v_fma_f64 v[148:149], -v[148:149], v[158:159], v[156:157]
	v_div_fmas_f64 v[148:149], v[148:149], v[150:151], v[158:159]
	v_div_fixup_f64 v[148:149], v[148:149], v[228:229], v[230:231]
	v_fmac_f64_e32 v[228:229], v[230:231], v[148:149]
	v_div_scale_f64 v[150:151], s[18:19], v[228:229], v[228:229], 1.0
	v_rcp_f64_e32 v[156:157], v[150:151]
	s_nop 0
	v_fma_f64 v[158:159], -v[150:151], v[156:157], 1.0
	v_fmac_f64_e32 v[156:157], v[156:157], v[158:159]
	v_fma_f64 v[158:159], -v[150:151], v[156:157], 1.0
	v_fmac_f64_e32 v[156:157], v[156:157], v[158:159]
	v_div_scale_f64 v[158:159], vcc, 1.0, v[228:229], 1.0
	v_mul_f64 v[220:221], v[158:159], v[156:157]
	v_fma_f64 v[150:151], -v[150:151], v[220:221], v[158:159]
	s_nop 1
	v_div_fmas_f64 v[150:151], v[150:151], v[156:157], v[220:221]
	v_div_fixup_f64 v[228:229], v[150:151], v[228:229], 1.0
	v_mul_f64 v[230:231], v[148:149], -v[228:229]
.LBB112_51:
	s_or_b64 exec, exec, s[16:17]
.LBB112_52:
	s_or_b64 exec, exec, s[0:1]
	v_cmp_ne_u32_e32 vcc, v241, v238
	s_and_saveexec_b64 s[0:1], vcc
	s_xor_b64 s[0:1], exec, s[0:1]
	s_cbranch_execz .LBB112_58
; %bb.53:
	v_cmp_eq_u32_e32 vcc, 2, v241
	s_and_saveexec_b64 s[16:17], vcc
	s_cbranch_execz .LBB112_57
; %bb.54:
	v_cmp_ne_u32_e32 vcc, 2, v238
	s_xor_b64 s[18:19], s[14:15], -1
	s_and_b64 s[22:23], s[18:19], vcc
	s_and_saveexec_b64 s[18:19], s[22:23]
	s_cbranch_execz .LBB112_56
; %bb.55:
	v_ashrrev_i32_e32 v239, 31, v238
	v_lshl_add_u64 v[148:149], v[238:239], 2, v[8:9]
	global_load_dword v150, v[148:149], off
	global_load_dword v151, v[8:9], off offset:8
	s_waitcnt vmcnt(1)
	global_store_dword v[8:9], v150, off offset:8
	s_waitcnt vmcnt(1)
	global_store_dword v[148:149], v151, off
.LBB112_56:
	s_or_b64 exec, exec, s[18:19]
	v_mov_b32_e32 v241, v238
	v_mov_b32_e32 v236, v238
.LBB112_57:
	s_or_b64 exec, exec, s[16:17]
.LBB112_58:
	s_andn2_saveexec_b64 s[0:1], s[0:1]
	s_cbranch_execz .LBB112_60
; %bb.59:
	v_mov_b32_e32 v241, 2
	ds_write2_b64 v240, v[232:233], v[234:235] offset0:6 offset1:7
	ds_write2_b64 v240, v[216:217], v[218:219] offset0:8 offset1:9
	;; [unrolled: 1-line block ×54, first 2 shown]
.LBB112_60:
	s_or_b64 exec, exec, s[0:1]
	v_cmp_lt_i32_e32 vcc, 2, v241
	s_waitcnt lgkmcnt(0)
	s_barrier
	s_and_saveexec_b64 s[0:1], vcc
	s_cbranch_execz .LBB112_62
; %bb.61:
	scratch_load_dwordx4 v[0:3], off, off   ; 16-byte Folded Reload
	ds_read2_b64 v[246:249], v240 offset0:6 offset1:7
	s_waitcnt vmcnt(0)
	v_mul_f64 v[148:149], v[230:231], v[2:3]
	v_mul_f64 v[2:3], v[228:229], v[2:3]
	v_fma_f64 v[238:239], v[228:229], v[0:1], -v[148:149]
	v_fmac_f64_e32 v[2:3], v[230:231], v[0:1]
	ds_read2_b64 v[228:231], v240 offset0:8 offset1:9
	s_waitcnt lgkmcnt(1)
	v_mul_f64 v[148:149], v[248:249], v[2:3]
	v_mul_f64 v[150:151], v[246:247], v[2:3]
	v_fma_f64 v[148:149], v[246:247], v[238:239], -v[148:149]
	v_fmac_f64_e32 v[150:151], v[248:249], v[238:239]
	ds_read2_b64 v[246:249], v240 offset0:10 offset1:11
	v_add_f64 v[232:233], v[232:233], -v[148:149]
	v_add_f64 v[234:235], v[234:235], -v[150:151]
	s_waitcnt lgkmcnt(1)
	v_mul_f64 v[148:149], v[230:231], v[2:3]
	v_mul_f64 v[150:151], v[228:229], v[2:3]
	v_fma_f64 v[148:149], v[228:229], v[238:239], -v[148:149]
	v_fmac_f64_e32 v[150:151], v[230:231], v[238:239]
	ds_read2_b64 v[228:231], v240 offset0:12 offset1:13
	v_add_f64 v[216:217], v[216:217], -v[148:149]
	v_add_f64 v[218:219], v[218:219], -v[150:151]
	;; [unrolled: 8-line block ×52, first 2 shown]
	s_waitcnt lgkmcnt(1)
	v_mul_f64 v[148:149], v[248:249], v[2:3]
	v_mul_f64 v[150:151], v[246:247], v[2:3]
	v_fma_f64 v[148:149], v[246:247], v[238:239], -v[148:149]
	v_fmac_f64_e32 v[150:151], v[248:249], v[238:239]
	v_add_f64 v[250:251], v[250:251], -v[148:149]
	v_add_f64 v[252:253], v[252:253], -v[150:151]
	s_waitcnt lgkmcnt(0)
	v_mul_f64 v[148:149], v[230:231], v[2:3]
	v_mul_f64 v[150:151], v[228:229], v[2:3]
	v_fma_f64 v[148:149], v[228:229], v[238:239], -v[148:149]
	v_fmac_f64_e32 v[150:151], v[230:231], v[238:239]
	v_add_f64 v[224:225], v[224:225], -v[148:149]
	v_add_f64 v[226:227], v[226:227], -v[150:151]
	v_mov_b64_e32 v[0:1], v[238:239]
	scratch_store_dwordx4 off, v[0:3], off  ; 16-byte Folded Spill
.LBB112_62:
	s_or_b64 exec, exec, s[0:1]
	v_lshl_add_u32 v148, v241, 4, v240
	s_barrier
	ds_write2_b64 v148, v[232:233], v[234:235] offset1:1
	s_waitcnt lgkmcnt(0)
	s_barrier
	ds_read2_b64 v[228:231], v240 offset0:6 offset1:7
	s_mov_b32 s0, 4
	s_cmp_lt_i32 s20, 5
	v_mov_b32_e32 v238, 3
	s_cbranch_scc1 .LBB112_65
; %bb.63:
	v_add3_u32 v239, v244, 0, 64
	v_mov_b32_e32 v238, 3
.LBB112_64:                             ; =>This Inner Loop Header: Depth=1
	ds_read2_b64 v[244:247], v239 offset1:1
	s_waitcnt lgkmcnt(1)
	v_cmp_gt_f64_e32 vcc, 0, v[228:229]
	v_xor_b32_e32 v148, 0x80000000, v229
	v_xor_b32_e32 v150, 0x80000000, v231
	v_cndmask_b32_e32 v149, v229, v148, vcc
	v_cmp_gt_f64_e32 vcc, 0, v[230:231]
	v_mov_b32_e32 v148, v228
	s_waitcnt lgkmcnt(0)
	v_xor_b32_e32 v156, 0x80000000, v247
	v_cndmask_b32_e32 v151, v231, v150, vcc
	v_mov_b32_e32 v150, v230
	v_add_f64 v[148:149], v[148:149], v[150:151]
	v_cmp_gt_f64_e32 vcc, 0, v[244:245]
	v_xor_b32_e32 v150, 0x80000000, v245
	v_add_u32_e32 v239, 16, v239
	v_cndmask_b32_e32 v151, v245, v150, vcc
	v_cmp_gt_f64_e32 vcc, 0, v[246:247]
	v_mov_b32_e32 v150, v244
	s_nop 0
	v_cndmask_b32_e32 v157, v247, v156, vcc
	v_mov_b32_e32 v156, v246
	v_add_f64 v[150:151], v[150:151], v[156:157]
	v_cmp_lt_f64_e32 vcc, v[148:149], v[150:151]
	v_mov_b32_e32 v148, s0
	s_add_i32 s0, s0, 1
	v_cndmask_b32_e32 v229, v229, v245, vcc
	v_cndmask_b32_e32 v228, v228, v244, vcc
	;; [unrolled: 1-line block ×5, first 2 shown]
	s_cmp_lg_u32 s20, s0
	s_cbranch_scc1 .LBB112_64
.LBB112_65:
	s_waitcnt lgkmcnt(0)
	v_cmp_eq_f64_e32 vcc, 0, v[228:229]
	v_cmp_eq_f64_e64 s[0:1], 0, v[230:231]
	s_and_b64 s[0:1], vcc, s[0:1]
	s_and_saveexec_b64 s[16:17], s[0:1]
	s_xor_b64 s[0:1], exec, s[16:17]
; %bb.66:
	v_cmp_ne_u32_e32 vcc, 0, v242
	s_nop 1
	v_cndmask_b32_e32 v242, 4, v242, vcc
; %bb.67:
	s_andn2_saveexec_b64 s[0:1], s[0:1]
	s_cbranch_execz .LBB112_73
; %bb.68:
	v_cmp_ngt_f64_e64 s[16:17], |v[228:229]|, |v[230:231]|
	s_and_saveexec_b64 s[18:19], s[16:17]
	s_xor_b64 s[16:17], exec, s[18:19]
	s_cbranch_execz .LBB112_70
; %bb.69:
	v_div_scale_f64 v[148:149], s[18:19], v[230:231], v[230:231], v[228:229]
	v_rcp_f64_e32 v[150:151], v[148:149]
	v_div_scale_f64 v[156:157], vcc, v[228:229], v[230:231], v[228:229]
	v_fma_f64 v[158:159], -v[148:149], v[150:151], 1.0
	v_fmac_f64_e32 v[150:151], v[150:151], v[158:159]
	v_fma_f64 v[158:159], -v[148:149], v[150:151], 1.0
	v_fmac_f64_e32 v[150:151], v[150:151], v[158:159]
	v_mul_f64 v[158:159], v[156:157], v[150:151]
	v_fma_f64 v[148:149], -v[148:149], v[158:159], v[156:157]
	v_div_fmas_f64 v[148:149], v[148:149], v[150:151], v[158:159]
	v_div_fixup_f64 v[148:149], v[148:149], v[230:231], v[228:229]
	v_fmac_f64_e32 v[230:231], v[228:229], v[148:149]
	v_div_scale_f64 v[150:151], s[18:19], v[230:231], v[230:231], 1.0
	v_rcp_f64_e32 v[156:157], v[150:151]
	s_nop 0
	v_fma_f64 v[158:159], -v[150:151], v[156:157], 1.0
	v_fmac_f64_e32 v[156:157], v[156:157], v[158:159]
	v_fma_f64 v[158:159], -v[150:151], v[156:157], 1.0
	v_fmac_f64_e32 v[156:157], v[156:157], v[158:159]
	v_div_scale_f64 v[158:159], vcc, 1.0, v[230:231], 1.0
	v_mul_f64 v[220:221], v[158:159], v[156:157]
	v_fma_f64 v[150:151], -v[150:151], v[220:221], v[158:159]
	s_nop 1
	v_div_fmas_f64 v[150:151], v[150:151], v[156:157], v[220:221]
	v_div_fixup_f64 v[230:231], v[150:151], v[230:231], 1.0
	v_mul_f64 v[228:229], v[148:149], v[230:231]
	v_xor_b32_e32 v231, 0x80000000, v231
.LBB112_70:
	s_andn2_saveexec_b64 s[16:17], s[16:17]
	s_cbranch_execz .LBB112_72
; %bb.71:
	v_div_scale_f64 v[148:149], s[18:19], v[228:229], v[228:229], v[230:231]
	v_rcp_f64_e32 v[150:151], v[148:149]
	v_div_scale_f64 v[156:157], vcc, v[230:231], v[228:229], v[230:231]
	v_fma_f64 v[158:159], -v[148:149], v[150:151], 1.0
	v_fmac_f64_e32 v[150:151], v[150:151], v[158:159]
	v_fma_f64 v[158:159], -v[148:149], v[150:151], 1.0
	v_fmac_f64_e32 v[150:151], v[150:151], v[158:159]
	v_mul_f64 v[158:159], v[156:157], v[150:151]
	v_fma_f64 v[148:149], -v[148:149], v[158:159], v[156:157]
	v_div_fmas_f64 v[148:149], v[148:149], v[150:151], v[158:159]
	v_div_fixup_f64 v[148:149], v[148:149], v[228:229], v[230:231]
	v_fmac_f64_e32 v[228:229], v[230:231], v[148:149]
	v_div_scale_f64 v[150:151], s[18:19], v[228:229], v[228:229], 1.0
	v_rcp_f64_e32 v[156:157], v[150:151]
	s_nop 0
	v_fma_f64 v[158:159], -v[150:151], v[156:157], 1.0
	v_fmac_f64_e32 v[156:157], v[156:157], v[158:159]
	v_fma_f64 v[158:159], -v[150:151], v[156:157], 1.0
	v_fmac_f64_e32 v[156:157], v[156:157], v[158:159]
	v_div_scale_f64 v[158:159], vcc, 1.0, v[228:229], 1.0
	v_mul_f64 v[220:221], v[158:159], v[156:157]
	v_fma_f64 v[150:151], -v[150:151], v[220:221], v[158:159]
	s_nop 1
	v_div_fmas_f64 v[150:151], v[150:151], v[156:157], v[220:221]
	v_div_fixup_f64 v[228:229], v[150:151], v[228:229], 1.0
	v_mul_f64 v[230:231], v[148:149], -v[228:229]
.LBB112_72:
	s_or_b64 exec, exec, s[16:17]
.LBB112_73:
	s_or_b64 exec, exec, s[0:1]
	v_cmp_ne_u32_e32 vcc, v241, v238
	s_and_saveexec_b64 s[0:1], vcc
	s_xor_b64 s[0:1], exec, s[0:1]
	s_cbranch_execz .LBB112_79
; %bb.74:
	v_cmp_eq_u32_e32 vcc, 3, v241
	s_and_saveexec_b64 s[16:17], vcc
	s_cbranch_execz .LBB112_78
; %bb.75:
	v_cmp_ne_u32_e32 vcc, 3, v238
	s_xor_b64 s[18:19], s[14:15], -1
	s_and_b64 s[22:23], s[18:19], vcc
	s_and_saveexec_b64 s[18:19], s[22:23]
	s_cbranch_execz .LBB112_77
; %bb.76:
	v_ashrrev_i32_e32 v239, 31, v238
	v_lshl_add_u64 v[148:149], v[238:239], 2, v[8:9]
	global_load_dword v150, v[148:149], off
	global_load_dword v151, v[8:9], off offset:12
	s_waitcnt vmcnt(1)
	global_store_dword v[8:9], v150, off offset:12
	s_waitcnt vmcnt(1)
	global_store_dword v[148:149], v151, off
.LBB112_77:
	s_or_b64 exec, exec, s[18:19]
	v_mov_b32_e32 v241, v238
	v_mov_b32_e32 v236, v238
.LBB112_78:
	s_or_b64 exec, exec, s[16:17]
.LBB112_79:
	s_andn2_saveexec_b64 s[0:1], s[0:1]
	s_cbranch_execz .LBB112_81
; %bb.80:
	v_mov_b32_e32 v241, 3
	ds_write2_b64 v240, v[216:217], v[218:219] offset0:8 offset1:9
	ds_write2_b64 v240, v[208:209], v[210:211] offset0:10 offset1:11
	;; [unrolled: 1-line block ×53, first 2 shown]
.LBB112_81:
	s_or_b64 exec, exec, s[0:1]
	v_cmp_lt_i32_e32 vcc, 3, v241
	s_waitcnt lgkmcnt(0)
	s_barrier
	s_and_saveexec_b64 s[0:1], vcc
	s_cbranch_execz .LBB112_83
; %bb.82:
	ds_read2_b64 v[244:247], v240 offset0:8 offset1:9
	v_mul_f64 v[148:149], v[230:231], v[234:235]
	v_mul_f64 v[234:235], v[228:229], v[234:235]
	v_fma_f64 v[238:239], v[228:229], v[232:233], -v[148:149]
	v_fmac_f64_e32 v[234:235], v[230:231], v[232:233]
	ds_read2_b64 v[228:231], v240 offset0:10 offset1:11
	s_waitcnt lgkmcnt(1)
	v_mul_f64 v[148:149], v[246:247], v[234:235]
	v_mul_f64 v[150:151], v[244:245], v[234:235]
	v_fma_f64 v[148:149], v[244:245], v[238:239], -v[148:149]
	v_fmac_f64_e32 v[150:151], v[246:247], v[238:239]
	ds_read2_b64 v[244:247], v240 offset0:12 offset1:13
	v_add_f64 v[216:217], v[216:217], -v[148:149]
	v_add_f64 v[218:219], v[218:219], -v[150:151]
	s_waitcnt lgkmcnt(1)
	v_mul_f64 v[148:149], v[230:231], v[234:235]
	v_mul_f64 v[150:151], v[228:229], v[234:235]
	v_fma_f64 v[148:149], v[228:229], v[238:239], -v[148:149]
	v_fmac_f64_e32 v[150:151], v[230:231], v[238:239]
	ds_read2_b64 v[228:231], v240 offset0:14 offset1:15
	v_add_f64 v[208:209], v[208:209], -v[148:149]
	v_add_f64 v[210:211], v[210:211], -v[150:151]
	;; [unrolled: 8-line block ×51, first 2 shown]
	s_waitcnt lgkmcnt(1)
	v_mul_f64 v[148:149], v[230:231], v[234:235]
	v_mul_f64 v[150:151], v[228:229], v[234:235]
	v_fma_f64 v[148:149], v[228:229], v[238:239], -v[148:149]
	v_fmac_f64_e32 v[150:151], v[230:231], v[238:239]
	v_add_f64 v[250:251], v[250:251], -v[148:149]
	v_add_f64 v[252:253], v[252:253], -v[150:151]
	s_waitcnt lgkmcnt(0)
	v_mul_f64 v[148:149], v[246:247], v[234:235]
	v_mul_f64 v[150:151], v[244:245], v[234:235]
	v_fma_f64 v[148:149], v[244:245], v[238:239], -v[148:149]
	v_fmac_f64_e32 v[150:151], v[246:247], v[238:239]
	v_add_f64 v[224:225], v[224:225], -v[148:149]
	v_add_f64 v[226:227], v[226:227], -v[150:151]
	v_mov_b64_e32 v[232:233], v[238:239]
.LBB112_83:
	s_or_b64 exec, exec, s[0:1]
	v_lshl_add_u32 v148, v241, 4, v240
	s_barrier
	ds_write2_b64 v148, v[216:217], v[218:219] offset1:1
	s_waitcnt lgkmcnt(0)
	s_barrier
	ds_read2_b64 v[228:231], v240 offset0:8 offset1:9
	s_cmp_lt_i32 s20, 6
	v_mov_b32_e32 v238, 4
	s_cbranch_scc1 .LBB112_86
; %bb.84:
	v_mov_b32_e32 v238, 4
	v_add_u32_e32 v239, 0x50, v240
	s_mov_b32 s0, 5
.LBB112_85:                             ; =>This Inner Loop Header: Depth=1
	ds_read2_b64 v[244:247], v239 offset1:1
	s_waitcnt lgkmcnt(1)
	v_cmp_gt_f64_e32 vcc, 0, v[228:229]
	v_xor_b32_e32 v148, 0x80000000, v229
	v_xor_b32_e32 v150, 0x80000000, v231
	v_cndmask_b32_e32 v149, v229, v148, vcc
	v_cmp_gt_f64_e32 vcc, 0, v[230:231]
	v_mov_b32_e32 v148, v228
	s_waitcnt lgkmcnt(0)
	v_xor_b32_e32 v156, 0x80000000, v247
	v_cndmask_b32_e32 v151, v231, v150, vcc
	v_mov_b32_e32 v150, v230
	v_add_f64 v[148:149], v[148:149], v[150:151]
	v_cmp_gt_f64_e32 vcc, 0, v[244:245]
	v_xor_b32_e32 v150, 0x80000000, v245
	v_add_u32_e32 v239, 16, v239
	v_cndmask_b32_e32 v151, v245, v150, vcc
	v_cmp_gt_f64_e32 vcc, 0, v[246:247]
	v_mov_b32_e32 v150, v244
	s_nop 0
	v_cndmask_b32_e32 v157, v247, v156, vcc
	v_mov_b32_e32 v156, v246
	v_add_f64 v[150:151], v[150:151], v[156:157]
	v_cmp_lt_f64_e32 vcc, v[148:149], v[150:151]
	v_mov_b32_e32 v148, s0
	s_add_i32 s0, s0, 1
	v_cndmask_b32_e32 v229, v229, v245, vcc
	v_cndmask_b32_e32 v228, v228, v244, vcc
	;; [unrolled: 1-line block ×5, first 2 shown]
	s_cmp_lg_u32 s20, s0
	s_cbranch_scc1 .LBB112_85
.LBB112_86:
	s_waitcnt lgkmcnt(0)
	v_cmp_eq_f64_e32 vcc, 0, v[228:229]
	v_cmp_eq_f64_e64 s[0:1], 0, v[230:231]
	s_and_b64 s[0:1], vcc, s[0:1]
	s_and_saveexec_b64 s[16:17], s[0:1]
	s_xor_b64 s[0:1], exec, s[16:17]
; %bb.87:
	v_cmp_ne_u32_e32 vcc, 0, v242
	s_nop 1
	v_cndmask_b32_e32 v242, 5, v242, vcc
; %bb.88:
	s_andn2_saveexec_b64 s[0:1], s[0:1]
	s_cbranch_execz .LBB112_94
; %bb.89:
	v_cmp_ngt_f64_e64 s[16:17], |v[228:229]|, |v[230:231]|
	s_and_saveexec_b64 s[18:19], s[16:17]
	s_xor_b64 s[16:17], exec, s[18:19]
	s_cbranch_execz .LBB112_91
; %bb.90:
	v_div_scale_f64 v[148:149], s[18:19], v[230:231], v[230:231], v[228:229]
	v_rcp_f64_e32 v[150:151], v[148:149]
	v_div_scale_f64 v[156:157], vcc, v[228:229], v[230:231], v[228:229]
	v_fma_f64 v[158:159], -v[148:149], v[150:151], 1.0
	v_fmac_f64_e32 v[150:151], v[150:151], v[158:159]
	v_fma_f64 v[158:159], -v[148:149], v[150:151], 1.0
	v_fmac_f64_e32 v[150:151], v[150:151], v[158:159]
	v_mul_f64 v[158:159], v[156:157], v[150:151]
	v_fma_f64 v[148:149], -v[148:149], v[158:159], v[156:157]
	v_div_fmas_f64 v[148:149], v[148:149], v[150:151], v[158:159]
	v_div_fixup_f64 v[148:149], v[148:149], v[230:231], v[228:229]
	v_fmac_f64_e32 v[230:231], v[228:229], v[148:149]
	v_div_scale_f64 v[150:151], s[18:19], v[230:231], v[230:231], 1.0
	v_rcp_f64_e32 v[156:157], v[150:151]
	s_nop 0
	v_fma_f64 v[158:159], -v[150:151], v[156:157], 1.0
	v_fmac_f64_e32 v[156:157], v[156:157], v[158:159]
	v_fma_f64 v[158:159], -v[150:151], v[156:157], 1.0
	v_fmac_f64_e32 v[156:157], v[156:157], v[158:159]
	v_div_scale_f64 v[158:159], vcc, 1.0, v[230:231], 1.0
	v_mul_f64 v[220:221], v[158:159], v[156:157]
	v_fma_f64 v[150:151], -v[150:151], v[220:221], v[158:159]
	s_nop 1
	v_div_fmas_f64 v[150:151], v[150:151], v[156:157], v[220:221]
	v_div_fixup_f64 v[230:231], v[150:151], v[230:231], 1.0
	v_mul_f64 v[228:229], v[148:149], v[230:231]
	v_xor_b32_e32 v231, 0x80000000, v231
.LBB112_91:
	s_andn2_saveexec_b64 s[16:17], s[16:17]
	s_cbranch_execz .LBB112_93
; %bb.92:
	v_div_scale_f64 v[148:149], s[18:19], v[228:229], v[228:229], v[230:231]
	v_rcp_f64_e32 v[150:151], v[148:149]
	v_div_scale_f64 v[156:157], vcc, v[230:231], v[228:229], v[230:231]
	v_fma_f64 v[158:159], -v[148:149], v[150:151], 1.0
	v_fmac_f64_e32 v[150:151], v[150:151], v[158:159]
	v_fma_f64 v[158:159], -v[148:149], v[150:151], 1.0
	v_fmac_f64_e32 v[150:151], v[150:151], v[158:159]
	v_mul_f64 v[158:159], v[156:157], v[150:151]
	v_fma_f64 v[148:149], -v[148:149], v[158:159], v[156:157]
	v_div_fmas_f64 v[148:149], v[148:149], v[150:151], v[158:159]
	v_div_fixup_f64 v[148:149], v[148:149], v[228:229], v[230:231]
	v_fmac_f64_e32 v[228:229], v[230:231], v[148:149]
	v_div_scale_f64 v[150:151], s[18:19], v[228:229], v[228:229], 1.0
	v_rcp_f64_e32 v[156:157], v[150:151]
	s_nop 0
	v_fma_f64 v[158:159], -v[150:151], v[156:157], 1.0
	v_fmac_f64_e32 v[156:157], v[156:157], v[158:159]
	v_fma_f64 v[158:159], -v[150:151], v[156:157], 1.0
	v_fmac_f64_e32 v[156:157], v[156:157], v[158:159]
	v_div_scale_f64 v[158:159], vcc, 1.0, v[228:229], 1.0
	v_mul_f64 v[220:221], v[158:159], v[156:157]
	v_fma_f64 v[150:151], -v[150:151], v[220:221], v[158:159]
	s_nop 1
	v_div_fmas_f64 v[150:151], v[150:151], v[156:157], v[220:221]
	v_div_fixup_f64 v[228:229], v[150:151], v[228:229], 1.0
	v_mul_f64 v[230:231], v[148:149], -v[228:229]
.LBB112_93:
	s_or_b64 exec, exec, s[16:17]
.LBB112_94:
	s_or_b64 exec, exec, s[0:1]
	v_cmp_ne_u32_e32 vcc, v241, v238
	s_and_saveexec_b64 s[0:1], vcc
	s_xor_b64 s[0:1], exec, s[0:1]
	s_cbranch_execz .LBB112_100
; %bb.95:
	v_cmp_eq_u32_e32 vcc, 4, v241
	s_and_saveexec_b64 s[16:17], vcc
	s_cbranch_execz .LBB112_99
; %bb.96:
	v_cmp_ne_u32_e32 vcc, 4, v238
	s_xor_b64 s[18:19], s[14:15], -1
	s_and_b64 s[22:23], s[18:19], vcc
	s_and_saveexec_b64 s[18:19], s[22:23]
	s_cbranch_execz .LBB112_98
; %bb.97:
	v_ashrrev_i32_e32 v239, 31, v238
	v_lshl_add_u64 v[148:149], v[238:239], 2, v[8:9]
	global_load_dword v150, v[148:149], off
	global_load_dword v151, v[8:9], off offset:16
	s_waitcnt vmcnt(1)
	global_store_dword v[8:9], v150, off offset:16
	s_waitcnt vmcnt(1)
	global_store_dword v[148:149], v151, off
.LBB112_98:
	s_or_b64 exec, exec, s[18:19]
	v_mov_b32_e32 v241, v238
	v_mov_b32_e32 v236, v238
.LBB112_99:
	s_or_b64 exec, exec, s[16:17]
.LBB112_100:
	s_andn2_saveexec_b64 s[0:1], s[0:1]
	s_cbranch_execz .LBB112_102
; %bb.101:
	v_mov_b32_e32 v241, 4
	ds_write2_b64 v240, v[208:209], v[210:211] offset0:10 offset1:11
	ds_write2_b64 v240, v[204:205], v[206:207] offset0:12 offset1:13
	;; [unrolled: 1-line block ×52, first 2 shown]
.LBB112_102:
	s_or_b64 exec, exec, s[0:1]
	v_cmp_lt_i32_e32 vcc, 4, v241
	s_waitcnt lgkmcnt(0)
	s_barrier
	s_and_saveexec_b64 s[0:1], vcc
	s_cbranch_execz .LBB112_104
; %bb.103:
	ds_read2_b64 v[244:247], v240 offset0:10 offset1:11
	v_mul_f64 v[148:149], v[230:231], v[218:219]
	v_mul_f64 v[218:219], v[228:229], v[218:219]
	v_fma_f64 v[238:239], v[228:229], v[216:217], -v[148:149]
	v_fmac_f64_e32 v[218:219], v[230:231], v[216:217]
	ds_read2_b64 v[228:231], v240 offset0:12 offset1:13
	s_waitcnt lgkmcnt(1)
	v_mul_f64 v[148:149], v[246:247], v[218:219]
	v_mul_f64 v[150:151], v[244:245], v[218:219]
	v_fma_f64 v[148:149], v[244:245], v[238:239], -v[148:149]
	v_fmac_f64_e32 v[150:151], v[246:247], v[238:239]
	ds_read2_b64 v[244:247], v240 offset0:14 offset1:15
	v_add_f64 v[208:209], v[208:209], -v[148:149]
	v_add_f64 v[210:211], v[210:211], -v[150:151]
	s_waitcnt lgkmcnt(1)
	v_mul_f64 v[148:149], v[230:231], v[218:219]
	v_mul_f64 v[150:151], v[228:229], v[218:219]
	v_fma_f64 v[148:149], v[228:229], v[238:239], -v[148:149]
	v_fmac_f64_e32 v[150:151], v[230:231], v[238:239]
	ds_read2_b64 v[228:231], v240 offset0:16 offset1:17
	v_add_f64 v[204:205], v[204:205], -v[148:149]
	v_add_f64 v[206:207], v[206:207], -v[150:151]
	;; [unrolled: 8-line block ×50, first 2 shown]
	s_waitcnt lgkmcnt(1)
	v_mul_f64 v[148:149], v[246:247], v[218:219]
	v_mul_f64 v[150:151], v[244:245], v[218:219]
	v_fma_f64 v[148:149], v[244:245], v[238:239], -v[148:149]
	v_fmac_f64_e32 v[150:151], v[246:247], v[238:239]
	v_add_f64 v[250:251], v[250:251], -v[148:149]
	v_add_f64 v[252:253], v[252:253], -v[150:151]
	s_waitcnt lgkmcnt(0)
	v_mul_f64 v[148:149], v[230:231], v[218:219]
	v_mul_f64 v[150:151], v[228:229], v[218:219]
	v_fma_f64 v[148:149], v[228:229], v[238:239], -v[148:149]
	v_fmac_f64_e32 v[150:151], v[230:231], v[238:239]
	v_add_f64 v[224:225], v[224:225], -v[148:149]
	v_add_f64 v[226:227], v[226:227], -v[150:151]
	v_mov_b64_e32 v[216:217], v[238:239]
.LBB112_104:
	s_or_b64 exec, exec, s[0:1]
	v_lshl_add_u32 v148, v241, 4, v240
	s_barrier
	ds_write2_b64 v148, v[208:209], v[210:211] offset1:1
	s_waitcnt lgkmcnt(0)
	s_barrier
	ds_read2_b64 v[228:231], v240 offset0:10 offset1:11
	s_cmp_lt_i32 s20, 7
	v_mov_b32_e32 v238, 5
	s_cbranch_scc1 .LBB112_107
; %bb.105:
	v_add_u32_e32 v239, 0x60, v240
	s_mov_b32 s0, 6
	v_mov_b32_e32 v238, 5
.LBB112_106:                            ; =>This Inner Loop Header: Depth=1
	ds_read2_b64 v[244:247], v239 offset1:1
	s_waitcnt lgkmcnt(1)
	v_cmp_gt_f64_e32 vcc, 0, v[228:229]
	v_xor_b32_e32 v148, 0x80000000, v229
	v_xor_b32_e32 v150, 0x80000000, v231
	v_cndmask_b32_e32 v149, v229, v148, vcc
	v_cmp_gt_f64_e32 vcc, 0, v[230:231]
	v_mov_b32_e32 v148, v228
	s_waitcnt lgkmcnt(0)
	v_xor_b32_e32 v156, 0x80000000, v247
	v_cndmask_b32_e32 v151, v231, v150, vcc
	v_mov_b32_e32 v150, v230
	v_add_f64 v[148:149], v[148:149], v[150:151]
	v_cmp_gt_f64_e32 vcc, 0, v[244:245]
	v_xor_b32_e32 v150, 0x80000000, v245
	v_add_u32_e32 v239, 16, v239
	v_cndmask_b32_e32 v151, v245, v150, vcc
	v_cmp_gt_f64_e32 vcc, 0, v[246:247]
	v_mov_b32_e32 v150, v244
	s_nop 0
	v_cndmask_b32_e32 v157, v247, v156, vcc
	v_mov_b32_e32 v156, v246
	v_add_f64 v[150:151], v[150:151], v[156:157]
	v_cmp_lt_f64_e32 vcc, v[148:149], v[150:151]
	v_mov_b32_e32 v148, s0
	s_add_i32 s0, s0, 1
	v_cndmask_b32_e32 v229, v229, v245, vcc
	v_cndmask_b32_e32 v228, v228, v244, vcc
	;; [unrolled: 1-line block ×5, first 2 shown]
	s_cmp_lg_u32 s20, s0
	s_cbranch_scc1 .LBB112_106
.LBB112_107:
	s_waitcnt lgkmcnt(0)
	v_cmp_eq_f64_e32 vcc, 0, v[228:229]
	v_cmp_eq_f64_e64 s[0:1], 0, v[230:231]
	s_and_b64 s[0:1], vcc, s[0:1]
	s_and_saveexec_b64 s[16:17], s[0:1]
	s_xor_b64 s[0:1], exec, s[16:17]
; %bb.108:
	v_cmp_ne_u32_e32 vcc, 0, v242
	s_nop 1
	v_cndmask_b32_e32 v242, 6, v242, vcc
; %bb.109:
	s_andn2_saveexec_b64 s[0:1], s[0:1]
	s_cbranch_execz .LBB112_115
; %bb.110:
	v_cmp_ngt_f64_e64 s[16:17], |v[228:229]|, |v[230:231]|
	s_and_saveexec_b64 s[18:19], s[16:17]
	s_xor_b64 s[16:17], exec, s[18:19]
	s_cbranch_execz .LBB112_112
; %bb.111:
	v_div_scale_f64 v[148:149], s[18:19], v[230:231], v[230:231], v[228:229]
	v_rcp_f64_e32 v[150:151], v[148:149]
	v_div_scale_f64 v[156:157], vcc, v[228:229], v[230:231], v[228:229]
	v_fma_f64 v[158:159], -v[148:149], v[150:151], 1.0
	v_fmac_f64_e32 v[150:151], v[150:151], v[158:159]
	v_fma_f64 v[158:159], -v[148:149], v[150:151], 1.0
	v_fmac_f64_e32 v[150:151], v[150:151], v[158:159]
	v_mul_f64 v[158:159], v[156:157], v[150:151]
	v_fma_f64 v[148:149], -v[148:149], v[158:159], v[156:157]
	v_div_fmas_f64 v[148:149], v[148:149], v[150:151], v[158:159]
	v_div_fixup_f64 v[148:149], v[148:149], v[230:231], v[228:229]
	v_fmac_f64_e32 v[230:231], v[228:229], v[148:149]
	v_div_scale_f64 v[150:151], s[18:19], v[230:231], v[230:231], 1.0
	v_rcp_f64_e32 v[156:157], v[150:151]
	s_nop 0
	v_fma_f64 v[158:159], -v[150:151], v[156:157], 1.0
	v_fmac_f64_e32 v[156:157], v[156:157], v[158:159]
	v_fma_f64 v[158:159], -v[150:151], v[156:157], 1.0
	v_fmac_f64_e32 v[156:157], v[156:157], v[158:159]
	v_div_scale_f64 v[158:159], vcc, 1.0, v[230:231], 1.0
	v_mul_f64 v[220:221], v[158:159], v[156:157]
	v_fma_f64 v[150:151], -v[150:151], v[220:221], v[158:159]
	s_nop 1
	v_div_fmas_f64 v[150:151], v[150:151], v[156:157], v[220:221]
	v_div_fixup_f64 v[230:231], v[150:151], v[230:231], 1.0
	v_mul_f64 v[228:229], v[148:149], v[230:231]
	v_xor_b32_e32 v231, 0x80000000, v231
.LBB112_112:
	s_andn2_saveexec_b64 s[16:17], s[16:17]
	s_cbranch_execz .LBB112_114
; %bb.113:
	v_div_scale_f64 v[148:149], s[18:19], v[228:229], v[228:229], v[230:231]
	v_rcp_f64_e32 v[150:151], v[148:149]
	v_div_scale_f64 v[156:157], vcc, v[230:231], v[228:229], v[230:231]
	v_fma_f64 v[158:159], -v[148:149], v[150:151], 1.0
	v_fmac_f64_e32 v[150:151], v[150:151], v[158:159]
	v_fma_f64 v[158:159], -v[148:149], v[150:151], 1.0
	v_fmac_f64_e32 v[150:151], v[150:151], v[158:159]
	v_mul_f64 v[158:159], v[156:157], v[150:151]
	v_fma_f64 v[148:149], -v[148:149], v[158:159], v[156:157]
	v_div_fmas_f64 v[148:149], v[148:149], v[150:151], v[158:159]
	v_div_fixup_f64 v[148:149], v[148:149], v[228:229], v[230:231]
	v_fmac_f64_e32 v[228:229], v[230:231], v[148:149]
	v_div_scale_f64 v[150:151], s[18:19], v[228:229], v[228:229], 1.0
	v_rcp_f64_e32 v[156:157], v[150:151]
	s_nop 0
	v_fma_f64 v[158:159], -v[150:151], v[156:157], 1.0
	v_fmac_f64_e32 v[156:157], v[156:157], v[158:159]
	v_fma_f64 v[158:159], -v[150:151], v[156:157], 1.0
	v_fmac_f64_e32 v[156:157], v[156:157], v[158:159]
	v_div_scale_f64 v[158:159], vcc, 1.0, v[228:229], 1.0
	v_mul_f64 v[220:221], v[158:159], v[156:157]
	v_fma_f64 v[150:151], -v[150:151], v[220:221], v[158:159]
	s_nop 1
	v_div_fmas_f64 v[150:151], v[150:151], v[156:157], v[220:221]
	v_div_fixup_f64 v[228:229], v[150:151], v[228:229], 1.0
	v_mul_f64 v[230:231], v[148:149], -v[228:229]
.LBB112_114:
	s_or_b64 exec, exec, s[16:17]
.LBB112_115:
	s_or_b64 exec, exec, s[0:1]
	v_cmp_ne_u32_e32 vcc, v241, v238
	s_and_saveexec_b64 s[0:1], vcc
	s_xor_b64 s[0:1], exec, s[0:1]
	s_cbranch_execz .LBB112_121
; %bb.116:
	v_cmp_eq_u32_e32 vcc, 5, v241
	s_and_saveexec_b64 s[16:17], vcc
	s_cbranch_execz .LBB112_120
; %bb.117:
	v_cmp_ne_u32_e32 vcc, 5, v238
	s_xor_b64 s[18:19], s[14:15], -1
	s_and_b64 s[22:23], s[18:19], vcc
	s_and_saveexec_b64 s[18:19], s[22:23]
	s_cbranch_execz .LBB112_119
; %bb.118:
	v_ashrrev_i32_e32 v239, 31, v238
	v_lshl_add_u64 v[148:149], v[238:239], 2, v[8:9]
	global_load_dword v150, v[148:149], off
	global_load_dword v151, v[8:9], off offset:20
	s_waitcnt vmcnt(1)
	global_store_dword v[8:9], v150, off offset:20
	s_waitcnt vmcnt(1)
	global_store_dword v[148:149], v151, off
.LBB112_119:
	s_or_b64 exec, exec, s[18:19]
	v_mov_b32_e32 v241, v238
	v_mov_b32_e32 v236, v238
.LBB112_120:
	s_or_b64 exec, exec, s[16:17]
.LBB112_121:
	s_andn2_saveexec_b64 s[0:1], s[0:1]
	s_cbranch_execz .LBB112_123
; %bb.122:
	v_mov_b32_e32 v241, 5
	ds_write2_b64 v240, v[204:205], v[206:207] offset0:12 offset1:13
	ds_write2_b64 v240, v[200:201], v[202:203] offset0:14 offset1:15
	;; [unrolled: 1-line block ×51, first 2 shown]
.LBB112_123:
	s_or_b64 exec, exec, s[0:1]
	v_cmp_lt_i32_e32 vcc, 5, v241
	s_waitcnt lgkmcnt(0)
	s_barrier
	s_and_saveexec_b64 s[0:1], vcc
	s_cbranch_execz .LBB112_125
; %bb.124:
	ds_read2_b64 v[244:247], v240 offset0:12 offset1:13
	v_mul_f64 v[148:149], v[230:231], v[210:211]
	v_mul_f64 v[210:211], v[228:229], v[210:211]
	v_fma_f64 v[238:239], v[228:229], v[208:209], -v[148:149]
	v_fmac_f64_e32 v[210:211], v[230:231], v[208:209]
	ds_read2_b64 v[228:231], v240 offset0:14 offset1:15
	s_waitcnt lgkmcnt(1)
	v_mul_f64 v[148:149], v[246:247], v[210:211]
	v_mul_f64 v[150:151], v[244:245], v[210:211]
	v_fma_f64 v[148:149], v[244:245], v[238:239], -v[148:149]
	v_fmac_f64_e32 v[150:151], v[246:247], v[238:239]
	ds_read2_b64 v[244:247], v240 offset0:16 offset1:17
	v_add_f64 v[204:205], v[204:205], -v[148:149]
	v_add_f64 v[206:207], v[206:207], -v[150:151]
	s_waitcnt lgkmcnt(1)
	v_mul_f64 v[148:149], v[230:231], v[210:211]
	v_mul_f64 v[150:151], v[228:229], v[210:211]
	v_fma_f64 v[148:149], v[228:229], v[238:239], -v[148:149]
	v_fmac_f64_e32 v[150:151], v[230:231], v[238:239]
	ds_read2_b64 v[228:231], v240 offset0:18 offset1:19
	v_add_f64 v[200:201], v[200:201], -v[148:149]
	v_add_f64 v[202:203], v[202:203], -v[150:151]
	;; [unrolled: 8-line block ×49, first 2 shown]
	s_waitcnt lgkmcnt(1)
	v_mul_f64 v[148:149], v[230:231], v[210:211]
	v_mul_f64 v[150:151], v[228:229], v[210:211]
	v_fma_f64 v[148:149], v[228:229], v[238:239], -v[148:149]
	v_fmac_f64_e32 v[150:151], v[230:231], v[238:239]
	v_add_f64 v[250:251], v[250:251], -v[148:149]
	v_add_f64 v[252:253], v[252:253], -v[150:151]
	s_waitcnt lgkmcnt(0)
	v_mul_f64 v[148:149], v[246:247], v[210:211]
	v_mul_f64 v[150:151], v[244:245], v[210:211]
	v_fma_f64 v[148:149], v[244:245], v[238:239], -v[148:149]
	v_fmac_f64_e32 v[150:151], v[246:247], v[238:239]
	v_add_f64 v[224:225], v[224:225], -v[148:149]
	v_add_f64 v[226:227], v[226:227], -v[150:151]
	v_mov_b64_e32 v[208:209], v[238:239]
.LBB112_125:
	s_or_b64 exec, exec, s[0:1]
	v_lshl_add_u32 v148, v241, 4, v240
	s_barrier
	ds_write2_b64 v148, v[204:205], v[206:207] offset1:1
	s_waitcnt lgkmcnt(0)
	s_barrier
	ds_read2_b64 v[228:231], v240 offset0:12 offset1:13
	s_cmp_lt_i32 s20, 8
	v_mov_b32_e32 v238, 6
	s_cbranch_scc1 .LBB112_128
; %bb.126:
	v_add_u32_e32 v239, 0x70, v240
	s_mov_b32 s0, 7
	v_mov_b32_e32 v238, 6
.LBB112_127:                            ; =>This Inner Loop Header: Depth=1
	ds_read2_b64 v[244:247], v239 offset1:1
	s_waitcnt lgkmcnt(1)
	v_cmp_gt_f64_e32 vcc, 0, v[228:229]
	v_xor_b32_e32 v148, 0x80000000, v229
	v_xor_b32_e32 v150, 0x80000000, v231
	v_cndmask_b32_e32 v149, v229, v148, vcc
	v_cmp_gt_f64_e32 vcc, 0, v[230:231]
	v_mov_b32_e32 v148, v228
	s_waitcnt lgkmcnt(0)
	v_xor_b32_e32 v156, 0x80000000, v247
	v_cndmask_b32_e32 v151, v231, v150, vcc
	v_mov_b32_e32 v150, v230
	v_add_f64 v[148:149], v[148:149], v[150:151]
	v_cmp_gt_f64_e32 vcc, 0, v[244:245]
	v_xor_b32_e32 v150, 0x80000000, v245
	v_add_u32_e32 v239, 16, v239
	v_cndmask_b32_e32 v151, v245, v150, vcc
	v_cmp_gt_f64_e32 vcc, 0, v[246:247]
	v_mov_b32_e32 v150, v244
	s_nop 0
	v_cndmask_b32_e32 v157, v247, v156, vcc
	v_mov_b32_e32 v156, v246
	v_add_f64 v[150:151], v[150:151], v[156:157]
	v_cmp_lt_f64_e32 vcc, v[148:149], v[150:151]
	v_mov_b32_e32 v148, s0
	s_add_i32 s0, s0, 1
	v_cndmask_b32_e32 v229, v229, v245, vcc
	v_cndmask_b32_e32 v228, v228, v244, vcc
	;; [unrolled: 1-line block ×5, first 2 shown]
	s_cmp_lg_u32 s20, s0
	s_cbranch_scc1 .LBB112_127
.LBB112_128:
	s_waitcnt lgkmcnt(0)
	v_cmp_eq_f64_e32 vcc, 0, v[228:229]
	v_cmp_eq_f64_e64 s[0:1], 0, v[230:231]
	s_and_b64 s[0:1], vcc, s[0:1]
	s_and_saveexec_b64 s[16:17], s[0:1]
	s_xor_b64 s[0:1], exec, s[16:17]
; %bb.129:
	v_cmp_ne_u32_e32 vcc, 0, v242
	s_nop 1
	v_cndmask_b32_e32 v242, 7, v242, vcc
; %bb.130:
	s_andn2_saveexec_b64 s[0:1], s[0:1]
	s_cbranch_execz .LBB112_136
; %bb.131:
	v_cmp_ngt_f64_e64 s[16:17], |v[228:229]|, |v[230:231]|
	s_and_saveexec_b64 s[18:19], s[16:17]
	s_xor_b64 s[16:17], exec, s[18:19]
	s_cbranch_execz .LBB112_133
; %bb.132:
	v_div_scale_f64 v[148:149], s[18:19], v[230:231], v[230:231], v[228:229]
	v_rcp_f64_e32 v[150:151], v[148:149]
	v_div_scale_f64 v[156:157], vcc, v[228:229], v[230:231], v[228:229]
	v_fma_f64 v[158:159], -v[148:149], v[150:151], 1.0
	v_fmac_f64_e32 v[150:151], v[150:151], v[158:159]
	v_fma_f64 v[158:159], -v[148:149], v[150:151], 1.0
	v_fmac_f64_e32 v[150:151], v[150:151], v[158:159]
	v_mul_f64 v[158:159], v[156:157], v[150:151]
	v_fma_f64 v[148:149], -v[148:149], v[158:159], v[156:157]
	v_div_fmas_f64 v[148:149], v[148:149], v[150:151], v[158:159]
	v_div_fixup_f64 v[148:149], v[148:149], v[230:231], v[228:229]
	v_fmac_f64_e32 v[230:231], v[228:229], v[148:149]
	v_div_scale_f64 v[150:151], s[18:19], v[230:231], v[230:231], 1.0
	v_rcp_f64_e32 v[156:157], v[150:151]
	s_nop 0
	v_fma_f64 v[158:159], -v[150:151], v[156:157], 1.0
	v_fmac_f64_e32 v[156:157], v[156:157], v[158:159]
	v_fma_f64 v[158:159], -v[150:151], v[156:157], 1.0
	v_fmac_f64_e32 v[156:157], v[156:157], v[158:159]
	v_div_scale_f64 v[158:159], vcc, 1.0, v[230:231], 1.0
	v_mul_f64 v[220:221], v[158:159], v[156:157]
	v_fma_f64 v[150:151], -v[150:151], v[220:221], v[158:159]
	s_nop 1
	v_div_fmas_f64 v[150:151], v[150:151], v[156:157], v[220:221]
	v_div_fixup_f64 v[230:231], v[150:151], v[230:231], 1.0
	v_mul_f64 v[228:229], v[148:149], v[230:231]
	v_xor_b32_e32 v231, 0x80000000, v231
.LBB112_133:
	s_andn2_saveexec_b64 s[16:17], s[16:17]
	s_cbranch_execz .LBB112_135
; %bb.134:
	v_div_scale_f64 v[148:149], s[18:19], v[228:229], v[228:229], v[230:231]
	v_rcp_f64_e32 v[150:151], v[148:149]
	v_div_scale_f64 v[156:157], vcc, v[230:231], v[228:229], v[230:231]
	v_fma_f64 v[158:159], -v[148:149], v[150:151], 1.0
	v_fmac_f64_e32 v[150:151], v[150:151], v[158:159]
	v_fma_f64 v[158:159], -v[148:149], v[150:151], 1.0
	v_fmac_f64_e32 v[150:151], v[150:151], v[158:159]
	v_mul_f64 v[158:159], v[156:157], v[150:151]
	v_fma_f64 v[148:149], -v[148:149], v[158:159], v[156:157]
	v_div_fmas_f64 v[148:149], v[148:149], v[150:151], v[158:159]
	v_div_fixup_f64 v[148:149], v[148:149], v[228:229], v[230:231]
	v_fmac_f64_e32 v[228:229], v[230:231], v[148:149]
	v_div_scale_f64 v[150:151], s[18:19], v[228:229], v[228:229], 1.0
	v_rcp_f64_e32 v[156:157], v[150:151]
	s_nop 0
	v_fma_f64 v[158:159], -v[150:151], v[156:157], 1.0
	v_fmac_f64_e32 v[156:157], v[156:157], v[158:159]
	v_fma_f64 v[158:159], -v[150:151], v[156:157], 1.0
	v_fmac_f64_e32 v[156:157], v[156:157], v[158:159]
	v_div_scale_f64 v[158:159], vcc, 1.0, v[228:229], 1.0
	v_mul_f64 v[220:221], v[158:159], v[156:157]
	v_fma_f64 v[150:151], -v[150:151], v[220:221], v[158:159]
	s_nop 1
	v_div_fmas_f64 v[150:151], v[150:151], v[156:157], v[220:221]
	v_div_fixup_f64 v[228:229], v[150:151], v[228:229], 1.0
	v_mul_f64 v[230:231], v[148:149], -v[228:229]
.LBB112_135:
	s_or_b64 exec, exec, s[16:17]
.LBB112_136:
	s_or_b64 exec, exec, s[0:1]
	v_cmp_ne_u32_e32 vcc, v241, v238
	s_and_saveexec_b64 s[0:1], vcc
	s_xor_b64 s[0:1], exec, s[0:1]
	s_cbranch_execz .LBB112_142
; %bb.137:
	v_cmp_eq_u32_e32 vcc, 6, v241
	s_and_saveexec_b64 s[16:17], vcc
	s_cbranch_execz .LBB112_141
; %bb.138:
	v_cmp_ne_u32_e32 vcc, 6, v238
	s_xor_b64 s[18:19], s[14:15], -1
	s_and_b64 s[22:23], s[18:19], vcc
	s_and_saveexec_b64 s[18:19], s[22:23]
	s_cbranch_execz .LBB112_140
; %bb.139:
	v_ashrrev_i32_e32 v239, 31, v238
	v_lshl_add_u64 v[148:149], v[238:239], 2, v[8:9]
	global_load_dword v150, v[148:149], off
	global_load_dword v151, v[8:9], off offset:24
	s_waitcnt vmcnt(1)
	global_store_dword v[8:9], v150, off offset:24
	s_waitcnt vmcnt(1)
	global_store_dword v[148:149], v151, off
.LBB112_140:
	s_or_b64 exec, exec, s[18:19]
	v_mov_b32_e32 v241, v238
	v_mov_b32_e32 v236, v238
.LBB112_141:
	s_or_b64 exec, exec, s[16:17]
.LBB112_142:
	s_andn2_saveexec_b64 s[0:1], s[0:1]
	s_cbranch_execz .LBB112_144
; %bb.143:
	v_mov_b32_e32 v241, 6
	ds_write2_b64 v240, v[200:201], v[202:203] offset0:14 offset1:15
	ds_write2_b64 v240, v[196:197], v[198:199] offset0:16 offset1:17
	;; [unrolled: 1-line block ×50, first 2 shown]
.LBB112_144:
	s_or_b64 exec, exec, s[0:1]
	v_cmp_lt_i32_e32 vcc, 6, v241
	s_waitcnt lgkmcnt(0)
	s_barrier
	s_and_saveexec_b64 s[0:1], vcc
	s_cbranch_execz .LBB112_146
; %bb.145:
	ds_read2_b64 v[244:247], v240 offset0:14 offset1:15
	v_mul_f64 v[148:149], v[230:231], v[206:207]
	v_mul_f64 v[206:207], v[228:229], v[206:207]
	v_fma_f64 v[238:239], v[228:229], v[204:205], -v[148:149]
	v_fmac_f64_e32 v[206:207], v[230:231], v[204:205]
	ds_read2_b64 v[228:231], v240 offset0:16 offset1:17
	s_waitcnt lgkmcnt(1)
	v_mul_f64 v[148:149], v[246:247], v[206:207]
	v_mul_f64 v[150:151], v[244:245], v[206:207]
	v_fma_f64 v[148:149], v[244:245], v[238:239], -v[148:149]
	v_fmac_f64_e32 v[150:151], v[246:247], v[238:239]
	ds_read2_b64 v[244:247], v240 offset0:18 offset1:19
	v_add_f64 v[200:201], v[200:201], -v[148:149]
	v_add_f64 v[202:203], v[202:203], -v[150:151]
	s_waitcnt lgkmcnt(1)
	v_mul_f64 v[148:149], v[230:231], v[206:207]
	v_mul_f64 v[150:151], v[228:229], v[206:207]
	v_fma_f64 v[148:149], v[228:229], v[238:239], -v[148:149]
	v_fmac_f64_e32 v[150:151], v[230:231], v[238:239]
	ds_read2_b64 v[228:231], v240 offset0:20 offset1:21
	v_add_f64 v[196:197], v[196:197], -v[148:149]
	v_add_f64 v[198:199], v[198:199], -v[150:151]
	;; [unrolled: 8-line block ×48, first 2 shown]
	s_waitcnt lgkmcnt(1)
	v_mul_f64 v[148:149], v[246:247], v[206:207]
	v_mul_f64 v[150:151], v[244:245], v[206:207]
	v_fma_f64 v[148:149], v[244:245], v[238:239], -v[148:149]
	v_fmac_f64_e32 v[150:151], v[246:247], v[238:239]
	v_add_f64 v[250:251], v[250:251], -v[148:149]
	v_add_f64 v[252:253], v[252:253], -v[150:151]
	s_waitcnt lgkmcnt(0)
	v_mul_f64 v[148:149], v[230:231], v[206:207]
	v_mul_f64 v[150:151], v[228:229], v[206:207]
	v_fma_f64 v[148:149], v[228:229], v[238:239], -v[148:149]
	v_fmac_f64_e32 v[150:151], v[230:231], v[238:239]
	v_add_f64 v[224:225], v[224:225], -v[148:149]
	v_add_f64 v[226:227], v[226:227], -v[150:151]
	v_mov_b64_e32 v[204:205], v[238:239]
.LBB112_146:
	s_or_b64 exec, exec, s[0:1]
	v_lshl_add_u32 v148, v241, 4, v240
	s_barrier
	ds_write2_b64 v148, v[200:201], v[202:203] offset1:1
	s_waitcnt lgkmcnt(0)
	s_barrier
	ds_read2_b64 v[228:231], v240 offset0:14 offset1:15
	s_cmp_lt_i32 s20, 9
	v_mov_b32_e32 v238, 7
	s_cbranch_scc1 .LBB112_149
; %bb.147:
	v_add_u32_e32 v239, 0x80, v240
	s_mov_b32 s0, 8
	v_mov_b32_e32 v238, 7
.LBB112_148:                            ; =>This Inner Loop Header: Depth=1
	ds_read2_b64 v[244:247], v239 offset1:1
	s_waitcnt lgkmcnt(1)
	v_cmp_gt_f64_e32 vcc, 0, v[228:229]
	v_xor_b32_e32 v148, 0x80000000, v229
	v_xor_b32_e32 v150, 0x80000000, v231
	v_cndmask_b32_e32 v149, v229, v148, vcc
	v_cmp_gt_f64_e32 vcc, 0, v[230:231]
	v_mov_b32_e32 v148, v228
	s_waitcnt lgkmcnt(0)
	v_xor_b32_e32 v156, 0x80000000, v247
	v_cndmask_b32_e32 v151, v231, v150, vcc
	v_mov_b32_e32 v150, v230
	v_add_f64 v[148:149], v[148:149], v[150:151]
	v_cmp_gt_f64_e32 vcc, 0, v[244:245]
	v_xor_b32_e32 v150, 0x80000000, v245
	v_add_u32_e32 v239, 16, v239
	v_cndmask_b32_e32 v151, v245, v150, vcc
	v_cmp_gt_f64_e32 vcc, 0, v[246:247]
	v_mov_b32_e32 v150, v244
	s_nop 0
	v_cndmask_b32_e32 v157, v247, v156, vcc
	v_mov_b32_e32 v156, v246
	v_add_f64 v[150:151], v[150:151], v[156:157]
	v_cmp_lt_f64_e32 vcc, v[148:149], v[150:151]
	v_mov_b32_e32 v148, s0
	s_add_i32 s0, s0, 1
	v_cndmask_b32_e32 v229, v229, v245, vcc
	v_cndmask_b32_e32 v228, v228, v244, vcc
	;; [unrolled: 1-line block ×5, first 2 shown]
	s_cmp_lg_u32 s20, s0
	s_cbranch_scc1 .LBB112_148
.LBB112_149:
	s_waitcnt lgkmcnt(0)
	v_cmp_eq_f64_e32 vcc, 0, v[228:229]
	v_cmp_eq_f64_e64 s[0:1], 0, v[230:231]
	s_and_b64 s[0:1], vcc, s[0:1]
	s_and_saveexec_b64 s[16:17], s[0:1]
	s_xor_b64 s[0:1], exec, s[16:17]
; %bb.150:
	v_cmp_ne_u32_e32 vcc, 0, v242
	s_nop 1
	v_cndmask_b32_e32 v242, 8, v242, vcc
; %bb.151:
	s_andn2_saveexec_b64 s[0:1], s[0:1]
	s_cbranch_execz .LBB112_157
; %bb.152:
	v_cmp_ngt_f64_e64 s[16:17], |v[228:229]|, |v[230:231]|
	s_and_saveexec_b64 s[18:19], s[16:17]
	s_xor_b64 s[16:17], exec, s[18:19]
	s_cbranch_execz .LBB112_154
; %bb.153:
	v_div_scale_f64 v[148:149], s[18:19], v[230:231], v[230:231], v[228:229]
	v_rcp_f64_e32 v[150:151], v[148:149]
	v_div_scale_f64 v[156:157], vcc, v[228:229], v[230:231], v[228:229]
	v_fma_f64 v[158:159], -v[148:149], v[150:151], 1.0
	v_fmac_f64_e32 v[150:151], v[150:151], v[158:159]
	v_fma_f64 v[158:159], -v[148:149], v[150:151], 1.0
	v_fmac_f64_e32 v[150:151], v[150:151], v[158:159]
	v_mul_f64 v[158:159], v[156:157], v[150:151]
	v_fma_f64 v[148:149], -v[148:149], v[158:159], v[156:157]
	v_div_fmas_f64 v[148:149], v[148:149], v[150:151], v[158:159]
	v_div_fixup_f64 v[148:149], v[148:149], v[230:231], v[228:229]
	v_fmac_f64_e32 v[230:231], v[228:229], v[148:149]
	v_div_scale_f64 v[150:151], s[18:19], v[230:231], v[230:231], 1.0
	v_rcp_f64_e32 v[156:157], v[150:151]
	s_nop 0
	v_fma_f64 v[158:159], -v[150:151], v[156:157], 1.0
	v_fmac_f64_e32 v[156:157], v[156:157], v[158:159]
	v_fma_f64 v[158:159], -v[150:151], v[156:157], 1.0
	v_fmac_f64_e32 v[156:157], v[156:157], v[158:159]
	v_div_scale_f64 v[158:159], vcc, 1.0, v[230:231], 1.0
	v_mul_f64 v[220:221], v[158:159], v[156:157]
	v_fma_f64 v[150:151], -v[150:151], v[220:221], v[158:159]
	s_nop 1
	v_div_fmas_f64 v[150:151], v[150:151], v[156:157], v[220:221]
	v_div_fixup_f64 v[230:231], v[150:151], v[230:231], 1.0
	v_mul_f64 v[228:229], v[148:149], v[230:231]
	v_xor_b32_e32 v231, 0x80000000, v231
.LBB112_154:
	s_andn2_saveexec_b64 s[16:17], s[16:17]
	s_cbranch_execz .LBB112_156
; %bb.155:
	v_div_scale_f64 v[148:149], s[18:19], v[228:229], v[228:229], v[230:231]
	v_rcp_f64_e32 v[150:151], v[148:149]
	v_div_scale_f64 v[156:157], vcc, v[230:231], v[228:229], v[230:231]
	v_fma_f64 v[158:159], -v[148:149], v[150:151], 1.0
	v_fmac_f64_e32 v[150:151], v[150:151], v[158:159]
	v_fma_f64 v[158:159], -v[148:149], v[150:151], 1.0
	v_fmac_f64_e32 v[150:151], v[150:151], v[158:159]
	v_mul_f64 v[158:159], v[156:157], v[150:151]
	v_fma_f64 v[148:149], -v[148:149], v[158:159], v[156:157]
	v_div_fmas_f64 v[148:149], v[148:149], v[150:151], v[158:159]
	v_div_fixup_f64 v[148:149], v[148:149], v[228:229], v[230:231]
	v_fmac_f64_e32 v[228:229], v[230:231], v[148:149]
	v_div_scale_f64 v[150:151], s[18:19], v[228:229], v[228:229], 1.0
	v_rcp_f64_e32 v[156:157], v[150:151]
	s_nop 0
	v_fma_f64 v[158:159], -v[150:151], v[156:157], 1.0
	v_fmac_f64_e32 v[156:157], v[156:157], v[158:159]
	v_fma_f64 v[158:159], -v[150:151], v[156:157], 1.0
	v_fmac_f64_e32 v[156:157], v[156:157], v[158:159]
	v_div_scale_f64 v[158:159], vcc, 1.0, v[228:229], 1.0
	v_mul_f64 v[220:221], v[158:159], v[156:157]
	v_fma_f64 v[150:151], -v[150:151], v[220:221], v[158:159]
	s_nop 1
	v_div_fmas_f64 v[150:151], v[150:151], v[156:157], v[220:221]
	v_div_fixup_f64 v[228:229], v[150:151], v[228:229], 1.0
	v_mul_f64 v[230:231], v[148:149], -v[228:229]
.LBB112_156:
	s_or_b64 exec, exec, s[16:17]
.LBB112_157:
	s_or_b64 exec, exec, s[0:1]
	v_cmp_ne_u32_e32 vcc, v241, v238
	s_and_saveexec_b64 s[0:1], vcc
	s_xor_b64 s[0:1], exec, s[0:1]
	s_cbranch_execz .LBB112_163
; %bb.158:
	v_cmp_eq_u32_e32 vcc, 7, v241
	s_and_saveexec_b64 s[16:17], vcc
	s_cbranch_execz .LBB112_162
; %bb.159:
	v_cmp_ne_u32_e32 vcc, 7, v238
	s_xor_b64 s[18:19], s[14:15], -1
	s_and_b64 s[22:23], s[18:19], vcc
	s_and_saveexec_b64 s[18:19], s[22:23]
	s_cbranch_execz .LBB112_161
; %bb.160:
	v_ashrrev_i32_e32 v239, 31, v238
	v_lshl_add_u64 v[148:149], v[238:239], 2, v[8:9]
	global_load_dword v150, v[148:149], off
	global_load_dword v151, v[8:9], off offset:28
	s_waitcnt vmcnt(1)
	global_store_dword v[8:9], v150, off offset:28
	s_waitcnt vmcnt(1)
	global_store_dword v[148:149], v151, off
.LBB112_161:
	s_or_b64 exec, exec, s[18:19]
	v_mov_b32_e32 v241, v238
	v_mov_b32_e32 v236, v238
.LBB112_162:
	s_or_b64 exec, exec, s[16:17]
.LBB112_163:
	s_andn2_saveexec_b64 s[0:1], s[0:1]
	s_cbranch_execz .LBB112_165
; %bb.164:
	v_mov_b32_e32 v241, 7
	ds_write2_b64 v240, v[196:197], v[198:199] offset0:16 offset1:17
	ds_write2_b64 v240, v[192:193], v[194:195] offset0:18 offset1:19
	;; [unrolled: 1-line block ×49, first 2 shown]
.LBB112_165:
	s_or_b64 exec, exec, s[0:1]
	v_cmp_lt_i32_e32 vcc, 7, v241
	s_waitcnt lgkmcnt(0)
	s_barrier
	s_and_saveexec_b64 s[0:1], vcc
	s_cbranch_execz .LBB112_167
; %bb.166:
	ds_read2_b64 v[244:247], v240 offset0:16 offset1:17
	v_mul_f64 v[148:149], v[230:231], v[202:203]
	v_mul_f64 v[202:203], v[228:229], v[202:203]
	v_fma_f64 v[238:239], v[228:229], v[200:201], -v[148:149]
	v_fmac_f64_e32 v[202:203], v[230:231], v[200:201]
	ds_read2_b64 v[228:231], v240 offset0:18 offset1:19
	s_waitcnt lgkmcnt(1)
	v_mul_f64 v[148:149], v[246:247], v[202:203]
	v_mul_f64 v[150:151], v[244:245], v[202:203]
	v_fma_f64 v[148:149], v[244:245], v[238:239], -v[148:149]
	v_fmac_f64_e32 v[150:151], v[246:247], v[238:239]
	ds_read2_b64 v[244:247], v240 offset0:20 offset1:21
	v_add_f64 v[196:197], v[196:197], -v[148:149]
	v_add_f64 v[198:199], v[198:199], -v[150:151]
	s_waitcnt lgkmcnt(1)
	v_mul_f64 v[148:149], v[230:231], v[202:203]
	v_mul_f64 v[150:151], v[228:229], v[202:203]
	v_fma_f64 v[148:149], v[228:229], v[238:239], -v[148:149]
	v_fmac_f64_e32 v[150:151], v[230:231], v[238:239]
	ds_read2_b64 v[228:231], v240 offset0:22 offset1:23
	v_add_f64 v[192:193], v[192:193], -v[148:149]
	v_add_f64 v[194:195], v[194:195], -v[150:151]
	;; [unrolled: 8-line block ×47, first 2 shown]
	s_waitcnt lgkmcnt(1)
	v_mul_f64 v[148:149], v[230:231], v[202:203]
	v_mul_f64 v[150:151], v[228:229], v[202:203]
	v_fma_f64 v[148:149], v[228:229], v[238:239], -v[148:149]
	v_fmac_f64_e32 v[150:151], v[230:231], v[238:239]
	v_add_f64 v[250:251], v[250:251], -v[148:149]
	v_add_f64 v[252:253], v[252:253], -v[150:151]
	s_waitcnt lgkmcnt(0)
	v_mul_f64 v[148:149], v[246:247], v[202:203]
	v_mul_f64 v[150:151], v[244:245], v[202:203]
	v_fma_f64 v[148:149], v[244:245], v[238:239], -v[148:149]
	v_fmac_f64_e32 v[150:151], v[246:247], v[238:239]
	v_add_f64 v[224:225], v[224:225], -v[148:149]
	v_add_f64 v[226:227], v[226:227], -v[150:151]
	v_mov_b64_e32 v[200:201], v[238:239]
.LBB112_167:
	s_or_b64 exec, exec, s[0:1]
	v_lshl_add_u32 v148, v241, 4, v240
	s_barrier
	ds_write2_b64 v148, v[196:197], v[198:199] offset1:1
	s_waitcnt lgkmcnt(0)
	s_barrier
	ds_read2_b64 v[228:231], v240 offset0:16 offset1:17
	s_cmp_lt_i32 s20, 10
	v_mov_b32_e32 v238, 8
	s_cbranch_scc1 .LBB112_170
; %bb.168:
	v_add_u32_e32 v239, 0x90, v240
	s_mov_b32 s0, 9
	v_mov_b32_e32 v238, 8
.LBB112_169:                            ; =>This Inner Loop Header: Depth=1
	ds_read2_b64 v[244:247], v239 offset1:1
	s_waitcnt lgkmcnt(1)
	v_cmp_gt_f64_e32 vcc, 0, v[228:229]
	v_xor_b32_e32 v148, 0x80000000, v229
	v_xor_b32_e32 v150, 0x80000000, v231
	v_cndmask_b32_e32 v149, v229, v148, vcc
	v_cmp_gt_f64_e32 vcc, 0, v[230:231]
	v_mov_b32_e32 v148, v228
	s_waitcnt lgkmcnt(0)
	v_xor_b32_e32 v156, 0x80000000, v247
	v_cndmask_b32_e32 v151, v231, v150, vcc
	v_mov_b32_e32 v150, v230
	v_add_f64 v[148:149], v[148:149], v[150:151]
	v_cmp_gt_f64_e32 vcc, 0, v[244:245]
	v_xor_b32_e32 v150, 0x80000000, v245
	v_add_u32_e32 v239, 16, v239
	v_cndmask_b32_e32 v151, v245, v150, vcc
	v_cmp_gt_f64_e32 vcc, 0, v[246:247]
	v_mov_b32_e32 v150, v244
	s_nop 0
	v_cndmask_b32_e32 v157, v247, v156, vcc
	v_mov_b32_e32 v156, v246
	v_add_f64 v[150:151], v[150:151], v[156:157]
	v_cmp_lt_f64_e32 vcc, v[148:149], v[150:151]
	v_mov_b32_e32 v148, s0
	s_add_i32 s0, s0, 1
	v_cndmask_b32_e32 v229, v229, v245, vcc
	v_cndmask_b32_e32 v228, v228, v244, vcc
	;; [unrolled: 1-line block ×5, first 2 shown]
	s_cmp_lg_u32 s20, s0
	s_cbranch_scc1 .LBB112_169
.LBB112_170:
	s_waitcnt lgkmcnt(0)
	v_cmp_eq_f64_e32 vcc, 0, v[228:229]
	v_cmp_eq_f64_e64 s[0:1], 0, v[230:231]
	s_and_b64 s[0:1], vcc, s[0:1]
	s_and_saveexec_b64 s[16:17], s[0:1]
	s_xor_b64 s[0:1], exec, s[16:17]
; %bb.171:
	v_cmp_ne_u32_e32 vcc, 0, v242
	s_nop 1
	v_cndmask_b32_e32 v242, 9, v242, vcc
; %bb.172:
	s_andn2_saveexec_b64 s[0:1], s[0:1]
	s_cbranch_execz .LBB112_178
; %bb.173:
	v_cmp_ngt_f64_e64 s[16:17], |v[228:229]|, |v[230:231]|
	s_and_saveexec_b64 s[18:19], s[16:17]
	s_xor_b64 s[16:17], exec, s[18:19]
	s_cbranch_execz .LBB112_175
; %bb.174:
	v_div_scale_f64 v[148:149], s[18:19], v[230:231], v[230:231], v[228:229]
	v_rcp_f64_e32 v[150:151], v[148:149]
	v_div_scale_f64 v[156:157], vcc, v[228:229], v[230:231], v[228:229]
	v_fma_f64 v[158:159], -v[148:149], v[150:151], 1.0
	v_fmac_f64_e32 v[150:151], v[150:151], v[158:159]
	v_fma_f64 v[158:159], -v[148:149], v[150:151], 1.0
	v_fmac_f64_e32 v[150:151], v[150:151], v[158:159]
	v_mul_f64 v[158:159], v[156:157], v[150:151]
	v_fma_f64 v[148:149], -v[148:149], v[158:159], v[156:157]
	v_div_fmas_f64 v[148:149], v[148:149], v[150:151], v[158:159]
	v_div_fixup_f64 v[148:149], v[148:149], v[230:231], v[228:229]
	v_fmac_f64_e32 v[230:231], v[228:229], v[148:149]
	v_div_scale_f64 v[150:151], s[18:19], v[230:231], v[230:231], 1.0
	v_rcp_f64_e32 v[156:157], v[150:151]
	s_nop 0
	v_fma_f64 v[158:159], -v[150:151], v[156:157], 1.0
	v_fmac_f64_e32 v[156:157], v[156:157], v[158:159]
	v_fma_f64 v[158:159], -v[150:151], v[156:157], 1.0
	v_fmac_f64_e32 v[156:157], v[156:157], v[158:159]
	v_div_scale_f64 v[158:159], vcc, 1.0, v[230:231], 1.0
	v_mul_f64 v[220:221], v[158:159], v[156:157]
	v_fma_f64 v[150:151], -v[150:151], v[220:221], v[158:159]
	s_nop 1
	v_div_fmas_f64 v[150:151], v[150:151], v[156:157], v[220:221]
	v_div_fixup_f64 v[230:231], v[150:151], v[230:231], 1.0
	v_mul_f64 v[228:229], v[148:149], v[230:231]
	v_xor_b32_e32 v231, 0x80000000, v231
.LBB112_175:
	s_andn2_saveexec_b64 s[16:17], s[16:17]
	s_cbranch_execz .LBB112_177
; %bb.176:
	v_div_scale_f64 v[148:149], s[18:19], v[228:229], v[228:229], v[230:231]
	v_rcp_f64_e32 v[150:151], v[148:149]
	v_div_scale_f64 v[156:157], vcc, v[230:231], v[228:229], v[230:231]
	v_fma_f64 v[158:159], -v[148:149], v[150:151], 1.0
	v_fmac_f64_e32 v[150:151], v[150:151], v[158:159]
	v_fma_f64 v[158:159], -v[148:149], v[150:151], 1.0
	v_fmac_f64_e32 v[150:151], v[150:151], v[158:159]
	v_mul_f64 v[158:159], v[156:157], v[150:151]
	v_fma_f64 v[148:149], -v[148:149], v[158:159], v[156:157]
	v_div_fmas_f64 v[148:149], v[148:149], v[150:151], v[158:159]
	v_div_fixup_f64 v[148:149], v[148:149], v[228:229], v[230:231]
	v_fmac_f64_e32 v[228:229], v[230:231], v[148:149]
	v_div_scale_f64 v[150:151], s[18:19], v[228:229], v[228:229], 1.0
	v_rcp_f64_e32 v[156:157], v[150:151]
	s_nop 0
	v_fma_f64 v[158:159], -v[150:151], v[156:157], 1.0
	v_fmac_f64_e32 v[156:157], v[156:157], v[158:159]
	v_fma_f64 v[158:159], -v[150:151], v[156:157], 1.0
	v_fmac_f64_e32 v[156:157], v[156:157], v[158:159]
	v_div_scale_f64 v[158:159], vcc, 1.0, v[228:229], 1.0
	v_mul_f64 v[220:221], v[158:159], v[156:157]
	v_fma_f64 v[150:151], -v[150:151], v[220:221], v[158:159]
	s_nop 1
	v_div_fmas_f64 v[150:151], v[150:151], v[156:157], v[220:221]
	v_div_fixup_f64 v[228:229], v[150:151], v[228:229], 1.0
	v_mul_f64 v[230:231], v[148:149], -v[228:229]
.LBB112_177:
	s_or_b64 exec, exec, s[16:17]
.LBB112_178:
	s_or_b64 exec, exec, s[0:1]
	v_cmp_ne_u32_e32 vcc, v241, v238
	s_and_saveexec_b64 s[0:1], vcc
	s_xor_b64 s[0:1], exec, s[0:1]
	s_cbranch_execz .LBB112_184
; %bb.179:
	v_cmp_eq_u32_e32 vcc, 8, v241
	s_and_saveexec_b64 s[16:17], vcc
	s_cbranch_execz .LBB112_183
; %bb.180:
	v_cmp_ne_u32_e32 vcc, 8, v238
	s_xor_b64 s[18:19], s[14:15], -1
	s_and_b64 s[22:23], s[18:19], vcc
	s_and_saveexec_b64 s[18:19], s[22:23]
	s_cbranch_execz .LBB112_182
; %bb.181:
	v_ashrrev_i32_e32 v239, 31, v238
	v_lshl_add_u64 v[148:149], v[238:239], 2, v[8:9]
	global_load_dword v150, v[148:149], off
	global_load_dword v151, v[8:9], off offset:32
	s_waitcnt vmcnt(1)
	global_store_dword v[8:9], v150, off offset:32
	s_waitcnt vmcnt(1)
	global_store_dword v[148:149], v151, off
.LBB112_182:
	s_or_b64 exec, exec, s[18:19]
	v_mov_b32_e32 v241, v238
	v_mov_b32_e32 v236, v238
.LBB112_183:
	s_or_b64 exec, exec, s[16:17]
.LBB112_184:
	s_andn2_saveexec_b64 s[0:1], s[0:1]
	s_cbranch_execz .LBB112_186
; %bb.185:
	v_mov_b32_e32 v241, 8
	ds_write2_b64 v240, v[192:193], v[194:195] offset0:18 offset1:19
	ds_write2_b64 v240, v[188:189], v[190:191] offset0:20 offset1:21
	;; [unrolled: 1-line block ×48, first 2 shown]
.LBB112_186:
	s_or_b64 exec, exec, s[0:1]
	v_cmp_lt_i32_e32 vcc, 8, v241
	s_waitcnt lgkmcnt(0)
	s_barrier
	s_and_saveexec_b64 s[0:1], vcc
	s_cbranch_execz .LBB112_188
; %bb.187:
	ds_read2_b64 v[244:247], v240 offset0:18 offset1:19
	v_mul_f64 v[148:149], v[230:231], v[198:199]
	v_mul_f64 v[198:199], v[228:229], v[198:199]
	v_fma_f64 v[238:239], v[228:229], v[196:197], -v[148:149]
	v_fmac_f64_e32 v[198:199], v[230:231], v[196:197]
	ds_read2_b64 v[228:231], v240 offset0:20 offset1:21
	s_waitcnt lgkmcnt(1)
	v_mul_f64 v[148:149], v[246:247], v[198:199]
	v_mul_f64 v[150:151], v[244:245], v[198:199]
	v_fma_f64 v[148:149], v[244:245], v[238:239], -v[148:149]
	v_fmac_f64_e32 v[150:151], v[246:247], v[238:239]
	ds_read2_b64 v[244:247], v240 offset0:22 offset1:23
	v_add_f64 v[192:193], v[192:193], -v[148:149]
	v_add_f64 v[194:195], v[194:195], -v[150:151]
	s_waitcnt lgkmcnt(1)
	v_mul_f64 v[148:149], v[230:231], v[198:199]
	v_mul_f64 v[150:151], v[228:229], v[198:199]
	v_fma_f64 v[148:149], v[228:229], v[238:239], -v[148:149]
	v_fmac_f64_e32 v[150:151], v[230:231], v[238:239]
	ds_read2_b64 v[228:231], v240 offset0:24 offset1:25
	v_add_f64 v[188:189], v[188:189], -v[148:149]
	v_add_f64 v[190:191], v[190:191], -v[150:151]
	;; [unrolled: 8-line block ×46, first 2 shown]
	s_waitcnt lgkmcnt(1)
	v_mul_f64 v[148:149], v[246:247], v[198:199]
	v_mul_f64 v[150:151], v[244:245], v[198:199]
	v_fma_f64 v[148:149], v[244:245], v[238:239], -v[148:149]
	v_fmac_f64_e32 v[150:151], v[246:247], v[238:239]
	v_add_f64 v[250:251], v[250:251], -v[148:149]
	v_add_f64 v[252:253], v[252:253], -v[150:151]
	s_waitcnt lgkmcnt(0)
	v_mul_f64 v[148:149], v[230:231], v[198:199]
	v_mul_f64 v[150:151], v[228:229], v[198:199]
	v_fma_f64 v[148:149], v[228:229], v[238:239], -v[148:149]
	v_fmac_f64_e32 v[150:151], v[230:231], v[238:239]
	v_add_f64 v[224:225], v[224:225], -v[148:149]
	v_add_f64 v[226:227], v[226:227], -v[150:151]
	v_mov_b64_e32 v[196:197], v[238:239]
.LBB112_188:
	s_or_b64 exec, exec, s[0:1]
	v_lshl_add_u32 v148, v241, 4, v240
	s_barrier
	ds_write2_b64 v148, v[192:193], v[194:195] offset1:1
	s_waitcnt lgkmcnt(0)
	s_barrier
	ds_read2_b64 v[228:231], v240 offset0:18 offset1:19
	s_cmp_lt_i32 s20, 11
	v_mov_b32_e32 v238, 9
	s_cbranch_scc1 .LBB112_191
; %bb.189:
	v_add_u32_e32 v239, 0xa0, v240
	s_mov_b32 s0, 10
	v_mov_b32_e32 v238, 9
.LBB112_190:                            ; =>This Inner Loop Header: Depth=1
	ds_read2_b64 v[244:247], v239 offset1:1
	s_waitcnt lgkmcnt(1)
	v_cmp_gt_f64_e32 vcc, 0, v[228:229]
	v_xor_b32_e32 v148, 0x80000000, v229
	v_xor_b32_e32 v150, 0x80000000, v231
	v_cndmask_b32_e32 v149, v229, v148, vcc
	v_cmp_gt_f64_e32 vcc, 0, v[230:231]
	v_mov_b32_e32 v148, v228
	s_waitcnt lgkmcnt(0)
	v_xor_b32_e32 v156, 0x80000000, v247
	v_cndmask_b32_e32 v151, v231, v150, vcc
	v_mov_b32_e32 v150, v230
	v_add_f64 v[148:149], v[148:149], v[150:151]
	v_cmp_gt_f64_e32 vcc, 0, v[244:245]
	v_xor_b32_e32 v150, 0x80000000, v245
	v_add_u32_e32 v239, 16, v239
	v_cndmask_b32_e32 v151, v245, v150, vcc
	v_cmp_gt_f64_e32 vcc, 0, v[246:247]
	v_mov_b32_e32 v150, v244
	s_nop 0
	v_cndmask_b32_e32 v157, v247, v156, vcc
	v_mov_b32_e32 v156, v246
	v_add_f64 v[150:151], v[150:151], v[156:157]
	v_cmp_lt_f64_e32 vcc, v[148:149], v[150:151]
	v_mov_b32_e32 v148, s0
	s_add_i32 s0, s0, 1
	v_cndmask_b32_e32 v229, v229, v245, vcc
	v_cndmask_b32_e32 v228, v228, v244, vcc
	;; [unrolled: 1-line block ×5, first 2 shown]
	s_cmp_lg_u32 s20, s0
	s_cbranch_scc1 .LBB112_190
.LBB112_191:
	s_waitcnt lgkmcnt(0)
	v_cmp_eq_f64_e32 vcc, 0, v[228:229]
	v_cmp_eq_f64_e64 s[0:1], 0, v[230:231]
	s_and_b64 s[0:1], vcc, s[0:1]
	s_and_saveexec_b64 s[16:17], s[0:1]
	s_xor_b64 s[0:1], exec, s[16:17]
; %bb.192:
	v_cmp_ne_u32_e32 vcc, 0, v242
	s_nop 1
	v_cndmask_b32_e32 v242, 10, v242, vcc
; %bb.193:
	s_andn2_saveexec_b64 s[0:1], s[0:1]
	s_cbranch_execz .LBB112_199
; %bb.194:
	v_cmp_ngt_f64_e64 s[16:17], |v[228:229]|, |v[230:231]|
	s_and_saveexec_b64 s[18:19], s[16:17]
	s_xor_b64 s[16:17], exec, s[18:19]
	s_cbranch_execz .LBB112_196
; %bb.195:
	v_div_scale_f64 v[148:149], s[18:19], v[230:231], v[230:231], v[228:229]
	v_rcp_f64_e32 v[150:151], v[148:149]
	v_div_scale_f64 v[156:157], vcc, v[228:229], v[230:231], v[228:229]
	v_fma_f64 v[158:159], -v[148:149], v[150:151], 1.0
	v_fmac_f64_e32 v[150:151], v[150:151], v[158:159]
	v_fma_f64 v[158:159], -v[148:149], v[150:151], 1.0
	v_fmac_f64_e32 v[150:151], v[150:151], v[158:159]
	v_mul_f64 v[158:159], v[156:157], v[150:151]
	v_fma_f64 v[148:149], -v[148:149], v[158:159], v[156:157]
	v_div_fmas_f64 v[148:149], v[148:149], v[150:151], v[158:159]
	v_div_fixup_f64 v[148:149], v[148:149], v[230:231], v[228:229]
	v_fmac_f64_e32 v[230:231], v[228:229], v[148:149]
	v_div_scale_f64 v[150:151], s[18:19], v[230:231], v[230:231], 1.0
	v_rcp_f64_e32 v[156:157], v[150:151]
	s_nop 0
	v_fma_f64 v[158:159], -v[150:151], v[156:157], 1.0
	v_fmac_f64_e32 v[156:157], v[156:157], v[158:159]
	v_fma_f64 v[158:159], -v[150:151], v[156:157], 1.0
	v_fmac_f64_e32 v[156:157], v[156:157], v[158:159]
	v_div_scale_f64 v[158:159], vcc, 1.0, v[230:231], 1.0
	v_mul_f64 v[220:221], v[158:159], v[156:157]
	v_fma_f64 v[150:151], -v[150:151], v[220:221], v[158:159]
	s_nop 1
	v_div_fmas_f64 v[150:151], v[150:151], v[156:157], v[220:221]
	v_div_fixup_f64 v[230:231], v[150:151], v[230:231], 1.0
	v_mul_f64 v[228:229], v[148:149], v[230:231]
	v_xor_b32_e32 v231, 0x80000000, v231
.LBB112_196:
	s_andn2_saveexec_b64 s[16:17], s[16:17]
	s_cbranch_execz .LBB112_198
; %bb.197:
	v_div_scale_f64 v[148:149], s[18:19], v[228:229], v[228:229], v[230:231]
	v_rcp_f64_e32 v[150:151], v[148:149]
	v_div_scale_f64 v[156:157], vcc, v[230:231], v[228:229], v[230:231]
	v_fma_f64 v[158:159], -v[148:149], v[150:151], 1.0
	v_fmac_f64_e32 v[150:151], v[150:151], v[158:159]
	v_fma_f64 v[158:159], -v[148:149], v[150:151], 1.0
	v_fmac_f64_e32 v[150:151], v[150:151], v[158:159]
	v_mul_f64 v[158:159], v[156:157], v[150:151]
	v_fma_f64 v[148:149], -v[148:149], v[158:159], v[156:157]
	v_div_fmas_f64 v[148:149], v[148:149], v[150:151], v[158:159]
	v_div_fixup_f64 v[148:149], v[148:149], v[228:229], v[230:231]
	v_fmac_f64_e32 v[228:229], v[230:231], v[148:149]
	v_div_scale_f64 v[150:151], s[18:19], v[228:229], v[228:229], 1.0
	v_rcp_f64_e32 v[156:157], v[150:151]
	s_nop 0
	v_fma_f64 v[158:159], -v[150:151], v[156:157], 1.0
	v_fmac_f64_e32 v[156:157], v[156:157], v[158:159]
	v_fma_f64 v[158:159], -v[150:151], v[156:157], 1.0
	v_fmac_f64_e32 v[156:157], v[156:157], v[158:159]
	v_div_scale_f64 v[158:159], vcc, 1.0, v[228:229], 1.0
	v_mul_f64 v[220:221], v[158:159], v[156:157]
	v_fma_f64 v[150:151], -v[150:151], v[220:221], v[158:159]
	s_nop 1
	v_div_fmas_f64 v[150:151], v[150:151], v[156:157], v[220:221]
	v_div_fixup_f64 v[228:229], v[150:151], v[228:229], 1.0
	v_mul_f64 v[230:231], v[148:149], -v[228:229]
.LBB112_198:
	s_or_b64 exec, exec, s[16:17]
.LBB112_199:
	s_or_b64 exec, exec, s[0:1]
	v_cmp_ne_u32_e32 vcc, v241, v238
	s_and_saveexec_b64 s[0:1], vcc
	s_xor_b64 s[0:1], exec, s[0:1]
	s_cbranch_execz .LBB112_205
; %bb.200:
	v_cmp_eq_u32_e32 vcc, 9, v241
	s_and_saveexec_b64 s[16:17], vcc
	s_cbranch_execz .LBB112_204
; %bb.201:
	v_cmp_ne_u32_e32 vcc, 9, v238
	s_xor_b64 s[18:19], s[14:15], -1
	s_and_b64 s[22:23], s[18:19], vcc
	s_and_saveexec_b64 s[18:19], s[22:23]
	s_cbranch_execz .LBB112_203
; %bb.202:
	v_ashrrev_i32_e32 v239, 31, v238
	v_lshl_add_u64 v[148:149], v[238:239], 2, v[8:9]
	global_load_dword v150, v[148:149], off
	global_load_dword v151, v[8:9], off offset:36
	s_waitcnt vmcnt(1)
	global_store_dword v[8:9], v150, off offset:36
	s_waitcnt vmcnt(1)
	global_store_dword v[148:149], v151, off
.LBB112_203:
	s_or_b64 exec, exec, s[18:19]
	v_mov_b32_e32 v241, v238
	v_mov_b32_e32 v236, v238
.LBB112_204:
	s_or_b64 exec, exec, s[16:17]
.LBB112_205:
	s_andn2_saveexec_b64 s[0:1], s[0:1]
	s_cbranch_execz .LBB112_207
; %bb.206:
	v_mov_b32_e32 v241, 9
	ds_write2_b64 v240, v[188:189], v[190:191] offset0:20 offset1:21
	ds_write2_b64 v240, v[184:185], v[186:187] offset0:22 offset1:23
	ds_write2_b64 v240, v[180:181], v[182:183] offset0:24 offset1:25
	ds_write2_b64 v240, v[176:177], v[178:179] offset0:26 offset1:27
	ds_write2_b64 v240, v[172:173], v[174:175] offset0:28 offset1:29
	ds_write2_b64 v240, v[168:169], v[170:171] offset0:30 offset1:31
	ds_write2_b64 v240, v[164:165], v[166:167] offset0:32 offset1:33
	ds_write2_b64 v240, v[160:161], v[162:163] offset0:34 offset1:35
	ds_write2_b64 v240, v[152:153], v[154:155] offset0:36 offset1:37
	ds_write2_b64 v240, v[144:145], v[146:147] offset0:38 offset1:39
	ds_write2_b64 v240, v[140:141], v[142:143] offset0:40 offset1:41
	ds_write2_b64 v240, v[136:137], v[138:139] offset0:42 offset1:43
	ds_write2_b64 v240, v[132:133], v[134:135] offset0:44 offset1:45
	ds_write2_b64 v240, v[128:129], v[130:131] offset0:46 offset1:47
	ds_write2_b64 v240, v[124:125], v[126:127] offset0:48 offset1:49
	ds_write2_b64 v240, v[120:121], v[122:123] offset0:50 offset1:51
	ds_write2_b64 v240, v[116:117], v[118:119] offset0:52 offset1:53
	ds_write2_b64 v240, v[112:113], v[114:115] offset0:54 offset1:55
	ds_write2_b64 v240, v[108:109], v[110:111] offset0:56 offset1:57
	ds_write2_b64 v240, v[104:105], v[106:107] offset0:58 offset1:59
	ds_write2_b64 v240, v[100:101], v[102:103] offset0:60 offset1:61
	ds_write2_b64 v240, v[96:97], v[98:99] offset0:62 offset1:63
	ds_write2_b64 v240, v[92:93], v[94:95] offset0:64 offset1:65
	ds_write2_b64 v240, v[88:89], v[90:91] offset0:66 offset1:67
	ds_write2_b64 v240, v[84:85], v[86:87] offset0:68 offset1:69
	ds_write2_b64 v240, v[80:81], v[82:83] offset0:70 offset1:71
	ds_write2_b64 v240, v[76:77], v[78:79] offset0:72 offset1:73
	ds_write2_b64 v240, v[72:73], v[74:75] offset0:74 offset1:75
	ds_write2_b64 v240, v[68:69], v[70:71] offset0:76 offset1:77
	ds_write2_b64 v240, v[64:65], v[66:67] offset0:78 offset1:79
	ds_write2_b64 v240, v[60:61], v[62:63] offset0:80 offset1:81
	ds_write2_b64 v240, v[56:57], v[58:59] offset0:82 offset1:83
	ds_write2_b64 v240, v[52:53], v[54:55] offset0:84 offset1:85
	ds_write2_b64 v240, v[48:49], v[50:51] offset0:86 offset1:87
	ds_write2_b64 v240, v[44:45], v[46:47] offset0:88 offset1:89
	ds_write2_b64 v240, v[40:41], v[42:43] offset0:90 offset1:91
	ds_write2_b64 v240, v[36:37], v[38:39] offset0:92 offset1:93
	ds_write2_b64 v240, v[32:33], v[34:35] offset0:94 offset1:95
	ds_write2_b64 v240, v[28:29], v[30:31] offset0:96 offset1:97
	ds_write2_b64 v240, v[24:25], v[26:27] offset0:98 offset1:99
	ds_write2_b64 v240, v[20:21], v[22:23] offset0:100 offset1:101
	ds_write2_b64 v240, v[16:17], v[18:19] offset0:102 offset1:103
	ds_write2_b64 v240, v[12:13], v[14:15] offset0:104 offset1:105
	ds_write2_b64 v240, v[212:213], v[214:215] offset0:106 offset1:107
	ds_write2_b64 v240, v[4:5], v[6:7] offset0:108 offset1:109
	ds_write2_b64 v240, v[250:251], v[252:253] offset0:110 offset1:111
	ds_write2_b64 v240, v[224:225], v[226:227] offset0:112 offset1:113
.LBB112_207:
	s_or_b64 exec, exec, s[0:1]
	v_cmp_lt_i32_e32 vcc, 9, v241
	s_waitcnt lgkmcnt(0)
	s_barrier
	s_and_saveexec_b64 s[0:1], vcc
	s_cbranch_execz .LBB112_209
; %bb.208:
	ds_read2_b64 v[244:247], v240 offset0:20 offset1:21
	v_mul_f64 v[148:149], v[230:231], v[194:195]
	v_mul_f64 v[194:195], v[228:229], v[194:195]
	v_fma_f64 v[238:239], v[228:229], v[192:193], -v[148:149]
	v_fmac_f64_e32 v[194:195], v[230:231], v[192:193]
	ds_read2_b64 v[228:231], v240 offset0:22 offset1:23
	s_waitcnt lgkmcnt(1)
	v_mul_f64 v[148:149], v[246:247], v[194:195]
	v_mul_f64 v[150:151], v[244:245], v[194:195]
	v_fma_f64 v[148:149], v[244:245], v[238:239], -v[148:149]
	v_fmac_f64_e32 v[150:151], v[246:247], v[238:239]
	ds_read2_b64 v[244:247], v240 offset0:24 offset1:25
	v_add_f64 v[188:189], v[188:189], -v[148:149]
	v_add_f64 v[190:191], v[190:191], -v[150:151]
	s_waitcnt lgkmcnt(1)
	v_mul_f64 v[148:149], v[230:231], v[194:195]
	v_mul_f64 v[150:151], v[228:229], v[194:195]
	v_fma_f64 v[148:149], v[228:229], v[238:239], -v[148:149]
	v_fmac_f64_e32 v[150:151], v[230:231], v[238:239]
	ds_read2_b64 v[228:231], v240 offset0:26 offset1:27
	v_add_f64 v[184:185], v[184:185], -v[148:149]
	v_add_f64 v[186:187], v[186:187], -v[150:151]
	;; [unrolled: 8-line block ×45, first 2 shown]
	s_waitcnt lgkmcnt(1)
	v_mul_f64 v[148:149], v[230:231], v[194:195]
	v_mul_f64 v[150:151], v[228:229], v[194:195]
	v_fma_f64 v[148:149], v[228:229], v[238:239], -v[148:149]
	v_fmac_f64_e32 v[150:151], v[230:231], v[238:239]
	v_add_f64 v[250:251], v[250:251], -v[148:149]
	v_add_f64 v[252:253], v[252:253], -v[150:151]
	s_waitcnt lgkmcnt(0)
	v_mul_f64 v[148:149], v[246:247], v[194:195]
	v_mul_f64 v[150:151], v[244:245], v[194:195]
	v_fma_f64 v[148:149], v[244:245], v[238:239], -v[148:149]
	v_fmac_f64_e32 v[150:151], v[246:247], v[238:239]
	v_add_f64 v[224:225], v[224:225], -v[148:149]
	v_add_f64 v[226:227], v[226:227], -v[150:151]
	v_mov_b64_e32 v[192:193], v[238:239]
.LBB112_209:
	s_or_b64 exec, exec, s[0:1]
	v_lshl_add_u32 v148, v241, 4, v240
	s_barrier
	ds_write2_b64 v148, v[188:189], v[190:191] offset1:1
	s_waitcnt lgkmcnt(0)
	s_barrier
	ds_read2_b64 v[228:231], v240 offset0:20 offset1:21
	s_cmp_lt_i32 s20, 12
	v_mov_b32_e32 v238, 10
	s_cbranch_scc1 .LBB112_212
; %bb.210:
	v_add_u32_e32 v239, 0xb0, v240
	s_mov_b32 s0, 11
	v_mov_b32_e32 v238, 10
.LBB112_211:                            ; =>This Inner Loop Header: Depth=1
	ds_read2_b64 v[244:247], v239 offset1:1
	s_waitcnt lgkmcnt(1)
	v_cmp_gt_f64_e32 vcc, 0, v[228:229]
	v_xor_b32_e32 v148, 0x80000000, v229
	v_xor_b32_e32 v150, 0x80000000, v231
	v_cndmask_b32_e32 v149, v229, v148, vcc
	v_cmp_gt_f64_e32 vcc, 0, v[230:231]
	v_mov_b32_e32 v148, v228
	s_waitcnt lgkmcnt(0)
	v_xor_b32_e32 v156, 0x80000000, v247
	v_cndmask_b32_e32 v151, v231, v150, vcc
	v_mov_b32_e32 v150, v230
	v_add_f64 v[148:149], v[148:149], v[150:151]
	v_cmp_gt_f64_e32 vcc, 0, v[244:245]
	v_xor_b32_e32 v150, 0x80000000, v245
	v_add_u32_e32 v239, 16, v239
	v_cndmask_b32_e32 v151, v245, v150, vcc
	v_cmp_gt_f64_e32 vcc, 0, v[246:247]
	v_mov_b32_e32 v150, v244
	s_nop 0
	v_cndmask_b32_e32 v157, v247, v156, vcc
	v_mov_b32_e32 v156, v246
	v_add_f64 v[150:151], v[150:151], v[156:157]
	v_cmp_lt_f64_e32 vcc, v[148:149], v[150:151]
	v_mov_b32_e32 v148, s0
	s_add_i32 s0, s0, 1
	v_cndmask_b32_e32 v229, v229, v245, vcc
	v_cndmask_b32_e32 v228, v228, v244, vcc
	;; [unrolled: 1-line block ×5, first 2 shown]
	s_cmp_lg_u32 s20, s0
	s_cbranch_scc1 .LBB112_211
.LBB112_212:
	s_waitcnt lgkmcnt(0)
	v_cmp_eq_f64_e32 vcc, 0, v[228:229]
	v_cmp_eq_f64_e64 s[0:1], 0, v[230:231]
	s_and_b64 s[0:1], vcc, s[0:1]
	s_and_saveexec_b64 s[16:17], s[0:1]
	s_xor_b64 s[0:1], exec, s[16:17]
; %bb.213:
	v_cmp_ne_u32_e32 vcc, 0, v242
	s_nop 1
	v_cndmask_b32_e32 v242, 11, v242, vcc
; %bb.214:
	s_andn2_saveexec_b64 s[0:1], s[0:1]
	s_cbranch_execz .LBB112_220
; %bb.215:
	v_cmp_ngt_f64_e64 s[16:17], |v[228:229]|, |v[230:231]|
	s_and_saveexec_b64 s[18:19], s[16:17]
	s_xor_b64 s[16:17], exec, s[18:19]
	s_cbranch_execz .LBB112_217
; %bb.216:
	v_div_scale_f64 v[148:149], s[18:19], v[230:231], v[230:231], v[228:229]
	v_rcp_f64_e32 v[150:151], v[148:149]
	v_div_scale_f64 v[156:157], vcc, v[228:229], v[230:231], v[228:229]
	v_fma_f64 v[158:159], -v[148:149], v[150:151], 1.0
	v_fmac_f64_e32 v[150:151], v[150:151], v[158:159]
	v_fma_f64 v[158:159], -v[148:149], v[150:151], 1.0
	v_fmac_f64_e32 v[150:151], v[150:151], v[158:159]
	v_mul_f64 v[158:159], v[156:157], v[150:151]
	v_fma_f64 v[148:149], -v[148:149], v[158:159], v[156:157]
	v_div_fmas_f64 v[148:149], v[148:149], v[150:151], v[158:159]
	v_div_fixup_f64 v[148:149], v[148:149], v[230:231], v[228:229]
	v_fmac_f64_e32 v[230:231], v[228:229], v[148:149]
	v_div_scale_f64 v[150:151], s[18:19], v[230:231], v[230:231], 1.0
	v_rcp_f64_e32 v[156:157], v[150:151]
	s_nop 0
	v_fma_f64 v[158:159], -v[150:151], v[156:157], 1.0
	v_fmac_f64_e32 v[156:157], v[156:157], v[158:159]
	v_fma_f64 v[158:159], -v[150:151], v[156:157], 1.0
	v_fmac_f64_e32 v[156:157], v[156:157], v[158:159]
	v_div_scale_f64 v[158:159], vcc, 1.0, v[230:231], 1.0
	v_mul_f64 v[220:221], v[158:159], v[156:157]
	v_fma_f64 v[150:151], -v[150:151], v[220:221], v[158:159]
	s_nop 1
	v_div_fmas_f64 v[150:151], v[150:151], v[156:157], v[220:221]
	v_div_fixup_f64 v[230:231], v[150:151], v[230:231], 1.0
	v_mul_f64 v[228:229], v[148:149], v[230:231]
	v_xor_b32_e32 v231, 0x80000000, v231
.LBB112_217:
	s_andn2_saveexec_b64 s[16:17], s[16:17]
	s_cbranch_execz .LBB112_219
; %bb.218:
	v_div_scale_f64 v[148:149], s[18:19], v[228:229], v[228:229], v[230:231]
	v_rcp_f64_e32 v[150:151], v[148:149]
	v_div_scale_f64 v[156:157], vcc, v[230:231], v[228:229], v[230:231]
	v_fma_f64 v[158:159], -v[148:149], v[150:151], 1.0
	v_fmac_f64_e32 v[150:151], v[150:151], v[158:159]
	v_fma_f64 v[158:159], -v[148:149], v[150:151], 1.0
	v_fmac_f64_e32 v[150:151], v[150:151], v[158:159]
	v_mul_f64 v[158:159], v[156:157], v[150:151]
	v_fma_f64 v[148:149], -v[148:149], v[158:159], v[156:157]
	v_div_fmas_f64 v[148:149], v[148:149], v[150:151], v[158:159]
	v_div_fixup_f64 v[148:149], v[148:149], v[228:229], v[230:231]
	v_fmac_f64_e32 v[228:229], v[230:231], v[148:149]
	v_div_scale_f64 v[150:151], s[18:19], v[228:229], v[228:229], 1.0
	v_rcp_f64_e32 v[156:157], v[150:151]
	s_nop 0
	v_fma_f64 v[158:159], -v[150:151], v[156:157], 1.0
	v_fmac_f64_e32 v[156:157], v[156:157], v[158:159]
	v_fma_f64 v[158:159], -v[150:151], v[156:157], 1.0
	v_fmac_f64_e32 v[156:157], v[156:157], v[158:159]
	v_div_scale_f64 v[158:159], vcc, 1.0, v[228:229], 1.0
	v_mul_f64 v[220:221], v[158:159], v[156:157]
	v_fma_f64 v[150:151], -v[150:151], v[220:221], v[158:159]
	s_nop 1
	v_div_fmas_f64 v[150:151], v[150:151], v[156:157], v[220:221]
	v_div_fixup_f64 v[228:229], v[150:151], v[228:229], 1.0
	v_mul_f64 v[230:231], v[148:149], -v[228:229]
.LBB112_219:
	s_or_b64 exec, exec, s[16:17]
.LBB112_220:
	s_or_b64 exec, exec, s[0:1]
	v_cmp_ne_u32_e32 vcc, v241, v238
	s_and_saveexec_b64 s[0:1], vcc
	s_xor_b64 s[0:1], exec, s[0:1]
	s_cbranch_execz .LBB112_226
; %bb.221:
	v_cmp_eq_u32_e32 vcc, 10, v241
	s_and_saveexec_b64 s[16:17], vcc
	s_cbranch_execz .LBB112_225
; %bb.222:
	v_cmp_ne_u32_e32 vcc, 10, v238
	s_xor_b64 s[18:19], s[14:15], -1
	s_and_b64 s[22:23], s[18:19], vcc
	s_and_saveexec_b64 s[18:19], s[22:23]
	s_cbranch_execz .LBB112_224
; %bb.223:
	v_ashrrev_i32_e32 v239, 31, v238
	v_lshl_add_u64 v[148:149], v[238:239], 2, v[8:9]
	global_load_dword v150, v[148:149], off
	global_load_dword v151, v[8:9], off offset:40
	s_waitcnt vmcnt(1)
	global_store_dword v[8:9], v150, off offset:40
	s_waitcnt vmcnt(1)
	global_store_dword v[148:149], v151, off
.LBB112_224:
	s_or_b64 exec, exec, s[18:19]
	v_mov_b32_e32 v241, v238
	v_mov_b32_e32 v236, v238
.LBB112_225:
	s_or_b64 exec, exec, s[16:17]
.LBB112_226:
	s_andn2_saveexec_b64 s[0:1], s[0:1]
	s_cbranch_execz .LBB112_228
; %bb.227:
	v_mov_b32_e32 v241, 10
	ds_write2_b64 v240, v[184:185], v[186:187] offset0:22 offset1:23
	ds_write2_b64 v240, v[180:181], v[182:183] offset0:24 offset1:25
	;; [unrolled: 1-line block ×46, first 2 shown]
.LBB112_228:
	s_or_b64 exec, exec, s[0:1]
	v_cmp_lt_i32_e32 vcc, 10, v241
	s_waitcnt lgkmcnt(0)
	s_barrier
	s_and_saveexec_b64 s[0:1], vcc
	s_cbranch_execz .LBB112_230
; %bb.229:
	ds_read2_b64 v[244:247], v240 offset0:22 offset1:23
	v_mul_f64 v[148:149], v[230:231], v[190:191]
	v_mul_f64 v[190:191], v[228:229], v[190:191]
	v_fma_f64 v[238:239], v[228:229], v[188:189], -v[148:149]
	v_fmac_f64_e32 v[190:191], v[230:231], v[188:189]
	ds_read2_b64 v[228:231], v240 offset0:24 offset1:25
	s_waitcnt lgkmcnt(1)
	v_mul_f64 v[148:149], v[246:247], v[190:191]
	v_mul_f64 v[150:151], v[244:245], v[190:191]
	v_fma_f64 v[148:149], v[244:245], v[238:239], -v[148:149]
	v_fmac_f64_e32 v[150:151], v[246:247], v[238:239]
	ds_read2_b64 v[244:247], v240 offset0:26 offset1:27
	v_add_f64 v[184:185], v[184:185], -v[148:149]
	v_add_f64 v[186:187], v[186:187], -v[150:151]
	s_waitcnt lgkmcnt(1)
	v_mul_f64 v[148:149], v[230:231], v[190:191]
	v_mul_f64 v[150:151], v[228:229], v[190:191]
	v_fma_f64 v[148:149], v[228:229], v[238:239], -v[148:149]
	v_fmac_f64_e32 v[150:151], v[230:231], v[238:239]
	ds_read2_b64 v[228:231], v240 offset0:28 offset1:29
	v_add_f64 v[180:181], v[180:181], -v[148:149]
	v_add_f64 v[182:183], v[182:183], -v[150:151]
	;; [unrolled: 8-line block ×44, first 2 shown]
	s_waitcnt lgkmcnt(1)
	v_mul_f64 v[148:149], v[246:247], v[190:191]
	v_mul_f64 v[150:151], v[244:245], v[190:191]
	v_fma_f64 v[148:149], v[244:245], v[238:239], -v[148:149]
	v_fmac_f64_e32 v[150:151], v[246:247], v[238:239]
	v_add_f64 v[250:251], v[250:251], -v[148:149]
	v_add_f64 v[252:253], v[252:253], -v[150:151]
	s_waitcnt lgkmcnt(0)
	v_mul_f64 v[148:149], v[230:231], v[190:191]
	v_mul_f64 v[150:151], v[228:229], v[190:191]
	v_fma_f64 v[148:149], v[228:229], v[238:239], -v[148:149]
	v_fmac_f64_e32 v[150:151], v[230:231], v[238:239]
	v_add_f64 v[224:225], v[224:225], -v[148:149]
	v_add_f64 v[226:227], v[226:227], -v[150:151]
	v_mov_b64_e32 v[188:189], v[238:239]
.LBB112_230:
	s_or_b64 exec, exec, s[0:1]
	v_lshl_add_u32 v148, v241, 4, v240
	s_barrier
	ds_write2_b64 v148, v[184:185], v[186:187] offset1:1
	s_waitcnt lgkmcnt(0)
	s_barrier
	ds_read2_b64 v[228:231], v240 offset0:22 offset1:23
	s_cmp_lt_i32 s20, 13
	v_mov_b32_e32 v238, 11
	s_cbranch_scc1 .LBB112_233
; %bb.231:
	v_add_u32_e32 v239, 0xc0, v240
	s_mov_b32 s0, 12
	v_mov_b32_e32 v238, 11
.LBB112_232:                            ; =>This Inner Loop Header: Depth=1
	ds_read2_b64 v[244:247], v239 offset1:1
	s_waitcnt lgkmcnt(1)
	v_cmp_gt_f64_e32 vcc, 0, v[228:229]
	v_xor_b32_e32 v148, 0x80000000, v229
	v_xor_b32_e32 v150, 0x80000000, v231
	v_cndmask_b32_e32 v149, v229, v148, vcc
	v_cmp_gt_f64_e32 vcc, 0, v[230:231]
	v_mov_b32_e32 v148, v228
	s_waitcnt lgkmcnt(0)
	v_xor_b32_e32 v156, 0x80000000, v247
	v_cndmask_b32_e32 v151, v231, v150, vcc
	v_mov_b32_e32 v150, v230
	v_add_f64 v[148:149], v[148:149], v[150:151]
	v_cmp_gt_f64_e32 vcc, 0, v[244:245]
	v_xor_b32_e32 v150, 0x80000000, v245
	v_add_u32_e32 v239, 16, v239
	v_cndmask_b32_e32 v151, v245, v150, vcc
	v_cmp_gt_f64_e32 vcc, 0, v[246:247]
	v_mov_b32_e32 v150, v244
	s_nop 0
	v_cndmask_b32_e32 v157, v247, v156, vcc
	v_mov_b32_e32 v156, v246
	v_add_f64 v[150:151], v[150:151], v[156:157]
	v_cmp_lt_f64_e32 vcc, v[148:149], v[150:151]
	v_mov_b32_e32 v148, s0
	s_add_i32 s0, s0, 1
	v_cndmask_b32_e32 v229, v229, v245, vcc
	v_cndmask_b32_e32 v228, v228, v244, vcc
	;; [unrolled: 1-line block ×5, first 2 shown]
	s_cmp_lg_u32 s20, s0
	s_cbranch_scc1 .LBB112_232
.LBB112_233:
	s_waitcnt lgkmcnt(0)
	v_cmp_eq_f64_e32 vcc, 0, v[228:229]
	v_cmp_eq_f64_e64 s[0:1], 0, v[230:231]
	s_and_b64 s[0:1], vcc, s[0:1]
	s_and_saveexec_b64 s[16:17], s[0:1]
	s_xor_b64 s[0:1], exec, s[16:17]
; %bb.234:
	v_cmp_ne_u32_e32 vcc, 0, v242
	s_nop 1
	v_cndmask_b32_e32 v242, 12, v242, vcc
; %bb.235:
	s_andn2_saveexec_b64 s[0:1], s[0:1]
	s_cbranch_execz .LBB112_241
; %bb.236:
	v_cmp_ngt_f64_e64 s[16:17], |v[228:229]|, |v[230:231]|
	s_and_saveexec_b64 s[18:19], s[16:17]
	s_xor_b64 s[16:17], exec, s[18:19]
	s_cbranch_execz .LBB112_238
; %bb.237:
	v_div_scale_f64 v[148:149], s[18:19], v[230:231], v[230:231], v[228:229]
	v_rcp_f64_e32 v[150:151], v[148:149]
	v_div_scale_f64 v[156:157], vcc, v[228:229], v[230:231], v[228:229]
	v_fma_f64 v[158:159], -v[148:149], v[150:151], 1.0
	v_fmac_f64_e32 v[150:151], v[150:151], v[158:159]
	v_fma_f64 v[158:159], -v[148:149], v[150:151], 1.0
	v_fmac_f64_e32 v[150:151], v[150:151], v[158:159]
	v_mul_f64 v[158:159], v[156:157], v[150:151]
	v_fma_f64 v[148:149], -v[148:149], v[158:159], v[156:157]
	v_div_fmas_f64 v[148:149], v[148:149], v[150:151], v[158:159]
	v_div_fixup_f64 v[148:149], v[148:149], v[230:231], v[228:229]
	v_fmac_f64_e32 v[230:231], v[228:229], v[148:149]
	v_div_scale_f64 v[150:151], s[18:19], v[230:231], v[230:231], 1.0
	v_rcp_f64_e32 v[156:157], v[150:151]
	s_nop 0
	v_fma_f64 v[158:159], -v[150:151], v[156:157], 1.0
	v_fmac_f64_e32 v[156:157], v[156:157], v[158:159]
	v_fma_f64 v[158:159], -v[150:151], v[156:157], 1.0
	v_fmac_f64_e32 v[156:157], v[156:157], v[158:159]
	v_div_scale_f64 v[158:159], vcc, 1.0, v[230:231], 1.0
	v_mul_f64 v[220:221], v[158:159], v[156:157]
	v_fma_f64 v[150:151], -v[150:151], v[220:221], v[158:159]
	s_nop 1
	v_div_fmas_f64 v[150:151], v[150:151], v[156:157], v[220:221]
	v_div_fixup_f64 v[230:231], v[150:151], v[230:231], 1.0
	v_mul_f64 v[228:229], v[148:149], v[230:231]
	v_xor_b32_e32 v231, 0x80000000, v231
.LBB112_238:
	s_andn2_saveexec_b64 s[16:17], s[16:17]
	s_cbranch_execz .LBB112_240
; %bb.239:
	v_div_scale_f64 v[148:149], s[18:19], v[228:229], v[228:229], v[230:231]
	v_rcp_f64_e32 v[150:151], v[148:149]
	v_div_scale_f64 v[156:157], vcc, v[230:231], v[228:229], v[230:231]
	v_fma_f64 v[158:159], -v[148:149], v[150:151], 1.0
	v_fmac_f64_e32 v[150:151], v[150:151], v[158:159]
	v_fma_f64 v[158:159], -v[148:149], v[150:151], 1.0
	v_fmac_f64_e32 v[150:151], v[150:151], v[158:159]
	v_mul_f64 v[158:159], v[156:157], v[150:151]
	v_fma_f64 v[148:149], -v[148:149], v[158:159], v[156:157]
	v_div_fmas_f64 v[148:149], v[148:149], v[150:151], v[158:159]
	v_div_fixup_f64 v[148:149], v[148:149], v[228:229], v[230:231]
	v_fmac_f64_e32 v[228:229], v[230:231], v[148:149]
	v_div_scale_f64 v[150:151], s[18:19], v[228:229], v[228:229], 1.0
	v_rcp_f64_e32 v[156:157], v[150:151]
	s_nop 0
	v_fma_f64 v[158:159], -v[150:151], v[156:157], 1.0
	v_fmac_f64_e32 v[156:157], v[156:157], v[158:159]
	v_fma_f64 v[158:159], -v[150:151], v[156:157], 1.0
	v_fmac_f64_e32 v[156:157], v[156:157], v[158:159]
	v_div_scale_f64 v[158:159], vcc, 1.0, v[228:229], 1.0
	v_mul_f64 v[220:221], v[158:159], v[156:157]
	v_fma_f64 v[150:151], -v[150:151], v[220:221], v[158:159]
	s_nop 1
	v_div_fmas_f64 v[150:151], v[150:151], v[156:157], v[220:221]
	v_div_fixup_f64 v[228:229], v[150:151], v[228:229], 1.0
	v_mul_f64 v[230:231], v[148:149], -v[228:229]
.LBB112_240:
	s_or_b64 exec, exec, s[16:17]
.LBB112_241:
	s_or_b64 exec, exec, s[0:1]
	v_cmp_ne_u32_e32 vcc, v241, v238
	s_and_saveexec_b64 s[0:1], vcc
	s_xor_b64 s[0:1], exec, s[0:1]
	s_cbranch_execz .LBB112_247
; %bb.242:
	v_cmp_eq_u32_e32 vcc, 11, v241
	s_and_saveexec_b64 s[16:17], vcc
	s_cbranch_execz .LBB112_246
; %bb.243:
	v_cmp_ne_u32_e32 vcc, 11, v238
	s_xor_b64 s[18:19], s[14:15], -1
	s_and_b64 s[22:23], s[18:19], vcc
	s_and_saveexec_b64 s[18:19], s[22:23]
	s_cbranch_execz .LBB112_245
; %bb.244:
	v_ashrrev_i32_e32 v239, 31, v238
	v_lshl_add_u64 v[148:149], v[238:239], 2, v[8:9]
	global_load_dword v150, v[148:149], off
	global_load_dword v151, v[8:9], off offset:44
	s_waitcnt vmcnt(1)
	global_store_dword v[8:9], v150, off offset:44
	s_waitcnt vmcnt(1)
	global_store_dword v[148:149], v151, off
.LBB112_245:
	s_or_b64 exec, exec, s[18:19]
	v_mov_b32_e32 v241, v238
	v_mov_b32_e32 v236, v238
.LBB112_246:
	s_or_b64 exec, exec, s[16:17]
.LBB112_247:
	s_andn2_saveexec_b64 s[0:1], s[0:1]
	s_cbranch_execz .LBB112_249
; %bb.248:
	v_mov_b32_e32 v241, 11
	ds_write2_b64 v240, v[180:181], v[182:183] offset0:24 offset1:25
	ds_write2_b64 v240, v[176:177], v[178:179] offset0:26 offset1:27
	;; [unrolled: 1-line block ×45, first 2 shown]
.LBB112_249:
	s_or_b64 exec, exec, s[0:1]
	v_cmp_lt_i32_e32 vcc, 11, v241
	s_waitcnt lgkmcnt(0)
	s_barrier
	s_and_saveexec_b64 s[0:1], vcc
	s_cbranch_execz .LBB112_251
; %bb.250:
	ds_read2_b64 v[244:247], v240 offset0:24 offset1:25
	v_mul_f64 v[148:149], v[230:231], v[186:187]
	v_mul_f64 v[186:187], v[228:229], v[186:187]
	v_fma_f64 v[238:239], v[228:229], v[184:185], -v[148:149]
	v_fmac_f64_e32 v[186:187], v[230:231], v[184:185]
	ds_read2_b64 v[228:231], v240 offset0:26 offset1:27
	s_waitcnt lgkmcnt(1)
	v_mul_f64 v[148:149], v[246:247], v[186:187]
	v_mul_f64 v[150:151], v[244:245], v[186:187]
	v_fma_f64 v[148:149], v[244:245], v[238:239], -v[148:149]
	v_fmac_f64_e32 v[150:151], v[246:247], v[238:239]
	ds_read2_b64 v[244:247], v240 offset0:28 offset1:29
	v_add_f64 v[180:181], v[180:181], -v[148:149]
	v_add_f64 v[182:183], v[182:183], -v[150:151]
	s_waitcnt lgkmcnt(1)
	v_mul_f64 v[148:149], v[230:231], v[186:187]
	v_mul_f64 v[150:151], v[228:229], v[186:187]
	v_fma_f64 v[148:149], v[228:229], v[238:239], -v[148:149]
	v_fmac_f64_e32 v[150:151], v[230:231], v[238:239]
	ds_read2_b64 v[228:231], v240 offset0:30 offset1:31
	v_add_f64 v[176:177], v[176:177], -v[148:149]
	v_add_f64 v[178:179], v[178:179], -v[150:151]
	s_waitcnt lgkmcnt(1)
	v_mul_f64 v[148:149], v[246:247], v[186:187]
	v_mul_f64 v[150:151], v[244:245], v[186:187]
	v_fma_f64 v[148:149], v[244:245], v[238:239], -v[148:149]
	v_fmac_f64_e32 v[150:151], v[246:247], v[238:239]
	ds_read2_b64 v[244:247], v240 offset0:32 offset1:33
	v_add_f64 v[172:173], v[172:173], -v[148:149]
	v_add_f64 v[174:175], v[174:175], -v[150:151]
	s_waitcnt lgkmcnt(1)
	v_mul_f64 v[148:149], v[230:231], v[186:187]
	v_mul_f64 v[150:151], v[228:229], v[186:187]
	v_fma_f64 v[148:149], v[228:229], v[238:239], -v[148:149]
	v_fmac_f64_e32 v[150:151], v[230:231], v[238:239]
	ds_read2_b64 v[228:231], v240 offset0:34 offset1:35
	v_add_f64 v[168:169], v[168:169], -v[148:149]
	v_add_f64 v[170:171], v[170:171], -v[150:151]
	s_waitcnt lgkmcnt(1)
	v_mul_f64 v[148:149], v[246:247], v[186:187]
	v_mul_f64 v[150:151], v[244:245], v[186:187]
	v_fma_f64 v[148:149], v[244:245], v[238:239], -v[148:149]
	v_fmac_f64_e32 v[150:151], v[246:247], v[238:239]
	ds_read2_b64 v[244:247], v240 offset0:36 offset1:37
	v_add_f64 v[164:165], v[164:165], -v[148:149]
	v_add_f64 v[166:167], v[166:167], -v[150:151]
	s_waitcnt lgkmcnt(1)
	v_mul_f64 v[148:149], v[230:231], v[186:187]
	v_mul_f64 v[150:151], v[228:229], v[186:187]
	v_fma_f64 v[148:149], v[228:229], v[238:239], -v[148:149]
	v_fmac_f64_e32 v[150:151], v[230:231], v[238:239]
	ds_read2_b64 v[228:231], v240 offset0:38 offset1:39
	v_add_f64 v[160:161], v[160:161], -v[148:149]
	v_add_f64 v[162:163], v[162:163], -v[150:151]
	s_waitcnt lgkmcnt(1)
	v_mul_f64 v[148:149], v[246:247], v[186:187]
	v_mul_f64 v[150:151], v[244:245], v[186:187]
	v_fma_f64 v[148:149], v[244:245], v[238:239], -v[148:149]
	v_fmac_f64_e32 v[150:151], v[246:247], v[238:239]
	ds_read2_b64 v[244:247], v240 offset0:40 offset1:41
	v_add_f64 v[152:153], v[152:153], -v[148:149]
	v_add_f64 v[154:155], v[154:155], -v[150:151]
	s_waitcnt lgkmcnt(1)
	v_mul_f64 v[148:149], v[230:231], v[186:187]
	v_mul_f64 v[150:151], v[228:229], v[186:187]
	v_fma_f64 v[148:149], v[228:229], v[238:239], -v[148:149]
	v_fmac_f64_e32 v[150:151], v[230:231], v[238:239]
	ds_read2_b64 v[228:231], v240 offset0:42 offset1:43
	v_add_f64 v[144:145], v[144:145], -v[148:149]
	v_add_f64 v[146:147], v[146:147], -v[150:151]
	s_waitcnt lgkmcnt(1)
	v_mul_f64 v[148:149], v[246:247], v[186:187]
	v_mul_f64 v[150:151], v[244:245], v[186:187]
	v_fma_f64 v[148:149], v[244:245], v[238:239], -v[148:149]
	v_fmac_f64_e32 v[150:151], v[246:247], v[238:239]
	ds_read2_b64 v[244:247], v240 offset0:44 offset1:45
	v_add_f64 v[140:141], v[140:141], -v[148:149]
	v_add_f64 v[142:143], v[142:143], -v[150:151]
	s_waitcnt lgkmcnt(1)
	v_mul_f64 v[148:149], v[230:231], v[186:187]
	v_mul_f64 v[150:151], v[228:229], v[186:187]
	v_fma_f64 v[148:149], v[228:229], v[238:239], -v[148:149]
	v_fmac_f64_e32 v[150:151], v[230:231], v[238:239]
	ds_read2_b64 v[228:231], v240 offset0:46 offset1:47
	v_add_f64 v[136:137], v[136:137], -v[148:149]
	v_add_f64 v[138:139], v[138:139], -v[150:151]
	s_waitcnt lgkmcnt(1)
	v_mul_f64 v[148:149], v[246:247], v[186:187]
	v_mul_f64 v[150:151], v[244:245], v[186:187]
	v_fma_f64 v[148:149], v[244:245], v[238:239], -v[148:149]
	v_fmac_f64_e32 v[150:151], v[246:247], v[238:239]
	ds_read2_b64 v[244:247], v240 offset0:48 offset1:49
	v_add_f64 v[132:133], v[132:133], -v[148:149]
	v_add_f64 v[134:135], v[134:135], -v[150:151]
	s_waitcnt lgkmcnt(1)
	v_mul_f64 v[148:149], v[230:231], v[186:187]
	v_mul_f64 v[150:151], v[228:229], v[186:187]
	v_fma_f64 v[148:149], v[228:229], v[238:239], -v[148:149]
	v_fmac_f64_e32 v[150:151], v[230:231], v[238:239]
	ds_read2_b64 v[228:231], v240 offset0:50 offset1:51
	v_add_f64 v[128:129], v[128:129], -v[148:149]
	v_add_f64 v[130:131], v[130:131], -v[150:151]
	s_waitcnt lgkmcnt(1)
	v_mul_f64 v[148:149], v[246:247], v[186:187]
	v_mul_f64 v[150:151], v[244:245], v[186:187]
	v_fma_f64 v[148:149], v[244:245], v[238:239], -v[148:149]
	v_fmac_f64_e32 v[150:151], v[246:247], v[238:239]
	ds_read2_b64 v[244:247], v240 offset0:52 offset1:53
	v_add_f64 v[124:125], v[124:125], -v[148:149]
	v_add_f64 v[126:127], v[126:127], -v[150:151]
	s_waitcnt lgkmcnt(1)
	v_mul_f64 v[148:149], v[230:231], v[186:187]
	v_mul_f64 v[150:151], v[228:229], v[186:187]
	v_fma_f64 v[148:149], v[228:229], v[238:239], -v[148:149]
	v_fmac_f64_e32 v[150:151], v[230:231], v[238:239]
	ds_read2_b64 v[228:231], v240 offset0:54 offset1:55
	v_add_f64 v[120:121], v[120:121], -v[148:149]
	v_add_f64 v[122:123], v[122:123], -v[150:151]
	s_waitcnt lgkmcnt(1)
	v_mul_f64 v[148:149], v[246:247], v[186:187]
	v_mul_f64 v[150:151], v[244:245], v[186:187]
	v_fma_f64 v[148:149], v[244:245], v[238:239], -v[148:149]
	v_fmac_f64_e32 v[150:151], v[246:247], v[238:239]
	ds_read2_b64 v[244:247], v240 offset0:56 offset1:57
	v_add_f64 v[116:117], v[116:117], -v[148:149]
	v_add_f64 v[118:119], v[118:119], -v[150:151]
	s_waitcnt lgkmcnt(1)
	v_mul_f64 v[148:149], v[230:231], v[186:187]
	v_mul_f64 v[150:151], v[228:229], v[186:187]
	v_fma_f64 v[148:149], v[228:229], v[238:239], -v[148:149]
	v_fmac_f64_e32 v[150:151], v[230:231], v[238:239]
	ds_read2_b64 v[228:231], v240 offset0:58 offset1:59
	v_add_f64 v[112:113], v[112:113], -v[148:149]
	v_add_f64 v[114:115], v[114:115], -v[150:151]
	s_waitcnt lgkmcnt(1)
	v_mul_f64 v[148:149], v[246:247], v[186:187]
	v_mul_f64 v[150:151], v[244:245], v[186:187]
	v_fma_f64 v[148:149], v[244:245], v[238:239], -v[148:149]
	v_fmac_f64_e32 v[150:151], v[246:247], v[238:239]
	ds_read2_b64 v[244:247], v240 offset0:60 offset1:61
	v_add_f64 v[108:109], v[108:109], -v[148:149]
	v_add_f64 v[110:111], v[110:111], -v[150:151]
	s_waitcnt lgkmcnt(1)
	v_mul_f64 v[148:149], v[230:231], v[186:187]
	v_mul_f64 v[150:151], v[228:229], v[186:187]
	v_fma_f64 v[148:149], v[228:229], v[238:239], -v[148:149]
	v_fmac_f64_e32 v[150:151], v[230:231], v[238:239]
	ds_read2_b64 v[228:231], v240 offset0:62 offset1:63
	v_add_f64 v[104:105], v[104:105], -v[148:149]
	v_add_f64 v[106:107], v[106:107], -v[150:151]
	s_waitcnt lgkmcnt(1)
	v_mul_f64 v[148:149], v[246:247], v[186:187]
	v_mul_f64 v[150:151], v[244:245], v[186:187]
	v_fma_f64 v[148:149], v[244:245], v[238:239], -v[148:149]
	v_fmac_f64_e32 v[150:151], v[246:247], v[238:239]
	ds_read2_b64 v[244:247], v240 offset0:64 offset1:65
	v_add_f64 v[100:101], v[100:101], -v[148:149]
	v_add_f64 v[102:103], v[102:103], -v[150:151]
	s_waitcnt lgkmcnt(1)
	v_mul_f64 v[148:149], v[230:231], v[186:187]
	v_mul_f64 v[150:151], v[228:229], v[186:187]
	v_fma_f64 v[148:149], v[228:229], v[238:239], -v[148:149]
	v_fmac_f64_e32 v[150:151], v[230:231], v[238:239]
	ds_read2_b64 v[228:231], v240 offset0:66 offset1:67
	v_add_f64 v[96:97], v[96:97], -v[148:149]
	v_add_f64 v[98:99], v[98:99], -v[150:151]
	s_waitcnt lgkmcnt(1)
	v_mul_f64 v[148:149], v[246:247], v[186:187]
	v_mul_f64 v[150:151], v[244:245], v[186:187]
	v_fma_f64 v[148:149], v[244:245], v[238:239], -v[148:149]
	v_fmac_f64_e32 v[150:151], v[246:247], v[238:239]
	ds_read2_b64 v[244:247], v240 offset0:68 offset1:69
	v_add_f64 v[92:93], v[92:93], -v[148:149]
	v_add_f64 v[94:95], v[94:95], -v[150:151]
	s_waitcnt lgkmcnt(1)
	v_mul_f64 v[148:149], v[230:231], v[186:187]
	v_mul_f64 v[150:151], v[228:229], v[186:187]
	v_fma_f64 v[148:149], v[228:229], v[238:239], -v[148:149]
	v_fmac_f64_e32 v[150:151], v[230:231], v[238:239]
	ds_read2_b64 v[228:231], v240 offset0:70 offset1:71
	v_add_f64 v[88:89], v[88:89], -v[148:149]
	v_add_f64 v[90:91], v[90:91], -v[150:151]
	s_waitcnt lgkmcnt(1)
	v_mul_f64 v[148:149], v[246:247], v[186:187]
	v_mul_f64 v[150:151], v[244:245], v[186:187]
	v_fma_f64 v[148:149], v[244:245], v[238:239], -v[148:149]
	v_fmac_f64_e32 v[150:151], v[246:247], v[238:239]
	ds_read2_b64 v[244:247], v240 offset0:72 offset1:73
	v_add_f64 v[84:85], v[84:85], -v[148:149]
	v_add_f64 v[86:87], v[86:87], -v[150:151]
	s_waitcnt lgkmcnt(1)
	v_mul_f64 v[148:149], v[230:231], v[186:187]
	v_mul_f64 v[150:151], v[228:229], v[186:187]
	v_fma_f64 v[148:149], v[228:229], v[238:239], -v[148:149]
	v_fmac_f64_e32 v[150:151], v[230:231], v[238:239]
	ds_read2_b64 v[228:231], v240 offset0:74 offset1:75
	v_add_f64 v[80:81], v[80:81], -v[148:149]
	v_add_f64 v[82:83], v[82:83], -v[150:151]
	s_waitcnt lgkmcnt(1)
	v_mul_f64 v[148:149], v[246:247], v[186:187]
	v_mul_f64 v[150:151], v[244:245], v[186:187]
	v_fma_f64 v[148:149], v[244:245], v[238:239], -v[148:149]
	v_fmac_f64_e32 v[150:151], v[246:247], v[238:239]
	ds_read2_b64 v[244:247], v240 offset0:76 offset1:77
	v_add_f64 v[76:77], v[76:77], -v[148:149]
	v_add_f64 v[78:79], v[78:79], -v[150:151]
	s_waitcnt lgkmcnt(1)
	v_mul_f64 v[148:149], v[230:231], v[186:187]
	v_mul_f64 v[150:151], v[228:229], v[186:187]
	v_fma_f64 v[148:149], v[228:229], v[238:239], -v[148:149]
	v_fmac_f64_e32 v[150:151], v[230:231], v[238:239]
	ds_read2_b64 v[228:231], v240 offset0:78 offset1:79
	v_add_f64 v[72:73], v[72:73], -v[148:149]
	v_add_f64 v[74:75], v[74:75], -v[150:151]
	s_waitcnt lgkmcnt(1)
	v_mul_f64 v[148:149], v[246:247], v[186:187]
	v_mul_f64 v[150:151], v[244:245], v[186:187]
	v_fma_f64 v[148:149], v[244:245], v[238:239], -v[148:149]
	v_fmac_f64_e32 v[150:151], v[246:247], v[238:239]
	ds_read2_b64 v[244:247], v240 offset0:80 offset1:81
	v_add_f64 v[68:69], v[68:69], -v[148:149]
	v_add_f64 v[70:71], v[70:71], -v[150:151]
	s_waitcnt lgkmcnt(1)
	v_mul_f64 v[148:149], v[230:231], v[186:187]
	v_mul_f64 v[150:151], v[228:229], v[186:187]
	v_fma_f64 v[148:149], v[228:229], v[238:239], -v[148:149]
	v_fmac_f64_e32 v[150:151], v[230:231], v[238:239]
	ds_read2_b64 v[228:231], v240 offset0:82 offset1:83
	v_add_f64 v[64:65], v[64:65], -v[148:149]
	v_add_f64 v[66:67], v[66:67], -v[150:151]
	s_waitcnt lgkmcnt(1)
	v_mul_f64 v[148:149], v[246:247], v[186:187]
	v_mul_f64 v[150:151], v[244:245], v[186:187]
	v_fma_f64 v[148:149], v[244:245], v[238:239], -v[148:149]
	v_fmac_f64_e32 v[150:151], v[246:247], v[238:239]
	ds_read2_b64 v[244:247], v240 offset0:84 offset1:85
	v_add_f64 v[60:61], v[60:61], -v[148:149]
	v_add_f64 v[62:63], v[62:63], -v[150:151]
	s_waitcnt lgkmcnt(1)
	v_mul_f64 v[148:149], v[230:231], v[186:187]
	v_mul_f64 v[150:151], v[228:229], v[186:187]
	v_fma_f64 v[148:149], v[228:229], v[238:239], -v[148:149]
	v_fmac_f64_e32 v[150:151], v[230:231], v[238:239]
	ds_read2_b64 v[228:231], v240 offset0:86 offset1:87
	v_add_f64 v[56:57], v[56:57], -v[148:149]
	v_add_f64 v[58:59], v[58:59], -v[150:151]
	s_waitcnt lgkmcnt(1)
	v_mul_f64 v[148:149], v[246:247], v[186:187]
	v_mul_f64 v[150:151], v[244:245], v[186:187]
	v_fma_f64 v[148:149], v[244:245], v[238:239], -v[148:149]
	v_fmac_f64_e32 v[150:151], v[246:247], v[238:239]
	ds_read2_b64 v[244:247], v240 offset0:88 offset1:89
	v_add_f64 v[52:53], v[52:53], -v[148:149]
	v_add_f64 v[54:55], v[54:55], -v[150:151]
	s_waitcnt lgkmcnt(1)
	v_mul_f64 v[148:149], v[230:231], v[186:187]
	v_mul_f64 v[150:151], v[228:229], v[186:187]
	v_fma_f64 v[148:149], v[228:229], v[238:239], -v[148:149]
	v_fmac_f64_e32 v[150:151], v[230:231], v[238:239]
	ds_read2_b64 v[228:231], v240 offset0:90 offset1:91
	v_add_f64 v[48:49], v[48:49], -v[148:149]
	v_add_f64 v[50:51], v[50:51], -v[150:151]
	s_waitcnt lgkmcnt(1)
	v_mul_f64 v[148:149], v[246:247], v[186:187]
	v_mul_f64 v[150:151], v[244:245], v[186:187]
	v_fma_f64 v[148:149], v[244:245], v[238:239], -v[148:149]
	v_fmac_f64_e32 v[150:151], v[246:247], v[238:239]
	ds_read2_b64 v[244:247], v240 offset0:92 offset1:93
	v_add_f64 v[44:45], v[44:45], -v[148:149]
	v_add_f64 v[46:47], v[46:47], -v[150:151]
	s_waitcnt lgkmcnt(1)
	v_mul_f64 v[148:149], v[230:231], v[186:187]
	v_mul_f64 v[150:151], v[228:229], v[186:187]
	v_fma_f64 v[148:149], v[228:229], v[238:239], -v[148:149]
	v_fmac_f64_e32 v[150:151], v[230:231], v[238:239]
	ds_read2_b64 v[228:231], v240 offset0:94 offset1:95
	v_add_f64 v[40:41], v[40:41], -v[148:149]
	v_add_f64 v[42:43], v[42:43], -v[150:151]
	s_waitcnt lgkmcnt(1)
	v_mul_f64 v[148:149], v[246:247], v[186:187]
	v_mul_f64 v[150:151], v[244:245], v[186:187]
	v_fma_f64 v[148:149], v[244:245], v[238:239], -v[148:149]
	v_fmac_f64_e32 v[150:151], v[246:247], v[238:239]
	ds_read2_b64 v[244:247], v240 offset0:96 offset1:97
	v_add_f64 v[36:37], v[36:37], -v[148:149]
	v_add_f64 v[38:39], v[38:39], -v[150:151]
	s_waitcnt lgkmcnt(1)
	v_mul_f64 v[148:149], v[230:231], v[186:187]
	v_mul_f64 v[150:151], v[228:229], v[186:187]
	v_fma_f64 v[148:149], v[228:229], v[238:239], -v[148:149]
	v_fmac_f64_e32 v[150:151], v[230:231], v[238:239]
	ds_read2_b64 v[228:231], v240 offset0:98 offset1:99
	v_add_f64 v[32:33], v[32:33], -v[148:149]
	v_add_f64 v[34:35], v[34:35], -v[150:151]
	s_waitcnt lgkmcnt(1)
	v_mul_f64 v[148:149], v[246:247], v[186:187]
	v_mul_f64 v[150:151], v[244:245], v[186:187]
	v_fma_f64 v[148:149], v[244:245], v[238:239], -v[148:149]
	v_fmac_f64_e32 v[150:151], v[246:247], v[238:239]
	ds_read2_b64 v[244:247], v240 offset0:100 offset1:101
	v_add_f64 v[28:29], v[28:29], -v[148:149]
	v_add_f64 v[30:31], v[30:31], -v[150:151]
	s_waitcnt lgkmcnt(1)
	v_mul_f64 v[148:149], v[230:231], v[186:187]
	v_mul_f64 v[150:151], v[228:229], v[186:187]
	v_fma_f64 v[148:149], v[228:229], v[238:239], -v[148:149]
	v_fmac_f64_e32 v[150:151], v[230:231], v[238:239]
	ds_read2_b64 v[228:231], v240 offset0:102 offset1:103
	v_add_f64 v[24:25], v[24:25], -v[148:149]
	v_add_f64 v[26:27], v[26:27], -v[150:151]
	s_waitcnt lgkmcnt(1)
	v_mul_f64 v[148:149], v[246:247], v[186:187]
	v_mul_f64 v[150:151], v[244:245], v[186:187]
	v_fma_f64 v[148:149], v[244:245], v[238:239], -v[148:149]
	v_fmac_f64_e32 v[150:151], v[246:247], v[238:239]
	ds_read2_b64 v[244:247], v240 offset0:104 offset1:105
	v_add_f64 v[20:21], v[20:21], -v[148:149]
	v_add_f64 v[22:23], v[22:23], -v[150:151]
	s_waitcnt lgkmcnt(1)
	v_mul_f64 v[148:149], v[230:231], v[186:187]
	v_mul_f64 v[150:151], v[228:229], v[186:187]
	v_fma_f64 v[148:149], v[228:229], v[238:239], -v[148:149]
	v_fmac_f64_e32 v[150:151], v[230:231], v[238:239]
	ds_read2_b64 v[228:231], v240 offset0:106 offset1:107
	v_add_f64 v[16:17], v[16:17], -v[148:149]
	v_add_f64 v[18:19], v[18:19], -v[150:151]
	s_waitcnt lgkmcnt(1)
	v_mul_f64 v[148:149], v[246:247], v[186:187]
	v_mul_f64 v[150:151], v[244:245], v[186:187]
	v_fma_f64 v[148:149], v[244:245], v[238:239], -v[148:149]
	v_fmac_f64_e32 v[150:151], v[246:247], v[238:239]
	ds_read2_b64 v[244:247], v240 offset0:108 offset1:109
	v_add_f64 v[12:13], v[12:13], -v[148:149]
	v_add_f64 v[14:15], v[14:15], -v[150:151]
	s_waitcnt lgkmcnt(1)
	v_mul_f64 v[148:149], v[230:231], v[186:187]
	v_mul_f64 v[150:151], v[228:229], v[186:187]
	v_fma_f64 v[148:149], v[228:229], v[238:239], -v[148:149]
	v_fmac_f64_e32 v[150:151], v[230:231], v[238:239]
	ds_read2_b64 v[228:231], v240 offset0:110 offset1:111
	v_add_f64 v[212:213], v[212:213], -v[148:149]
	v_add_f64 v[214:215], v[214:215], -v[150:151]
	s_waitcnt lgkmcnt(1)
	v_mul_f64 v[148:149], v[246:247], v[186:187]
	v_mul_f64 v[150:151], v[244:245], v[186:187]
	v_fma_f64 v[148:149], v[244:245], v[238:239], -v[148:149]
	v_fmac_f64_e32 v[150:151], v[246:247], v[238:239]
	ds_read2_b64 v[244:247], v240 offset0:112 offset1:113
	v_add_f64 v[4:5], v[4:5], -v[148:149]
	v_add_f64 v[6:7], v[6:7], -v[150:151]
	s_waitcnt lgkmcnt(1)
	v_mul_f64 v[148:149], v[230:231], v[186:187]
	v_mul_f64 v[150:151], v[228:229], v[186:187]
	v_fma_f64 v[148:149], v[228:229], v[238:239], -v[148:149]
	v_fmac_f64_e32 v[150:151], v[230:231], v[238:239]
	v_add_f64 v[250:251], v[250:251], -v[148:149]
	v_add_f64 v[252:253], v[252:253], -v[150:151]
	s_waitcnt lgkmcnt(0)
	v_mul_f64 v[148:149], v[246:247], v[186:187]
	v_mul_f64 v[150:151], v[244:245], v[186:187]
	v_fma_f64 v[148:149], v[244:245], v[238:239], -v[148:149]
	v_fmac_f64_e32 v[150:151], v[246:247], v[238:239]
	v_add_f64 v[224:225], v[224:225], -v[148:149]
	v_add_f64 v[226:227], v[226:227], -v[150:151]
	v_mov_b64_e32 v[184:185], v[238:239]
.LBB112_251:
	s_or_b64 exec, exec, s[0:1]
	v_lshl_add_u32 v148, v241, 4, v240
	s_barrier
	ds_write2_b64 v148, v[180:181], v[182:183] offset1:1
	s_waitcnt lgkmcnt(0)
	s_barrier
	ds_read2_b64 v[228:231], v240 offset0:24 offset1:25
	s_cmp_lt_i32 s20, 14
	v_mov_b32_e32 v238, 12
	s_cbranch_scc1 .LBB112_254
; %bb.252:
	v_add_u32_e32 v239, 0xd0, v240
	s_mov_b32 s0, 13
	v_mov_b32_e32 v238, 12
.LBB112_253:                            ; =>This Inner Loop Header: Depth=1
	ds_read2_b64 v[244:247], v239 offset1:1
	s_waitcnt lgkmcnt(1)
	v_cmp_gt_f64_e32 vcc, 0, v[228:229]
	v_xor_b32_e32 v148, 0x80000000, v229
	v_xor_b32_e32 v150, 0x80000000, v231
	v_cndmask_b32_e32 v149, v229, v148, vcc
	v_cmp_gt_f64_e32 vcc, 0, v[230:231]
	v_mov_b32_e32 v148, v228
	s_waitcnt lgkmcnt(0)
	v_xor_b32_e32 v156, 0x80000000, v247
	v_cndmask_b32_e32 v151, v231, v150, vcc
	v_mov_b32_e32 v150, v230
	v_add_f64 v[148:149], v[148:149], v[150:151]
	v_cmp_gt_f64_e32 vcc, 0, v[244:245]
	v_xor_b32_e32 v150, 0x80000000, v245
	v_add_u32_e32 v239, 16, v239
	v_cndmask_b32_e32 v151, v245, v150, vcc
	v_cmp_gt_f64_e32 vcc, 0, v[246:247]
	v_mov_b32_e32 v150, v244
	s_nop 0
	v_cndmask_b32_e32 v157, v247, v156, vcc
	v_mov_b32_e32 v156, v246
	v_add_f64 v[150:151], v[150:151], v[156:157]
	v_cmp_lt_f64_e32 vcc, v[148:149], v[150:151]
	v_mov_b32_e32 v148, s0
	s_add_i32 s0, s0, 1
	v_cndmask_b32_e32 v229, v229, v245, vcc
	v_cndmask_b32_e32 v228, v228, v244, vcc
	;; [unrolled: 1-line block ×5, first 2 shown]
	s_cmp_lg_u32 s20, s0
	s_cbranch_scc1 .LBB112_253
.LBB112_254:
	s_waitcnt lgkmcnt(0)
	v_cmp_eq_f64_e32 vcc, 0, v[228:229]
	v_cmp_eq_f64_e64 s[0:1], 0, v[230:231]
	s_and_b64 s[0:1], vcc, s[0:1]
	s_and_saveexec_b64 s[16:17], s[0:1]
	s_xor_b64 s[0:1], exec, s[16:17]
; %bb.255:
	v_cmp_ne_u32_e32 vcc, 0, v242
	s_nop 1
	v_cndmask_b32_e32 v242, 13, v242, vcc
; %bb.256:
	s_andn2_saveexec_b64 s[0:1], s[0:1]
	s_cbranch_execz .LBB112_262
; %bb.257:
	v_cmp_ngt_f64_e64 s[16:17], |v[228:229]|, |v[230:231]|
	s_and_saveexec_b64 s[18:19], s[16:17]
	s_xor_b64 s[16:17], exec, s[18:19]
	s_cbranch_execz .LBB112_259
; %bb.258:
	v_div_scale_f64 v[148:149], s[18:19], v[230:231], v[230:231], v[228:229]
	v_rcp_f64_e32 v[150:151], v[148:149]
	v_div_scale_f64 v[156:157], vcc, v[228:229], v[230:231], v[228:229]
	v_fma_f64 v[158:159], -v[148:149], v[150:151], 1.0
	v_fmac_f64_e32 v[150:151], v[150:151], v[158:159]
	v_fma_f64 v[158:159], -v[148:149], v[150:151], 1.0
	v_fmac_f64_e32 v[150:151], v[150:151], v[158:159]
	v_mul_f64 v[158:159], v[156:157], v[150:151]
	v_fma_f64 v[148:149], -v[148:149], v[158:159], v[156:157]
	v_div_fmas_f64 v[148:149], v[148:149], v[150:151], v[158:159]
	v_div_fixup_f64 v[148:149], v[148:149], v[230:231], v[228:229]
	v_fmac_f64_e32 v[230:231], v[228:229], v[148:149]
	v_div_scale_f64 v[150:151], s[18:19], v[230:231], v[230:231], 1.0
	v_rcp_f64_e32 v[156:157], v[150:151]
	s_nop 0
	v_fma_f64 v[158:159], -v[150:151], v[156:157], 1.0
	v_fmac_f64_e32 v[156:157], v[156:157], v[158:159]
	v_fma_f64 v[158:159], -v[150:151], v[156:157], 1.0
	v_fmac_f64_e32 v[156:157], v[156:157], v[158:159]
	v_div_scale_f64 v[158:159], vcc, 1.0, v[230:231], 1.0
	v_mul_f64 v[220:221], v[158:159], v[156:157]
	v_fma_f64 v[150:151], -v[150:151], v[220:221], v[158:159]
	s_nop 1
	v_div_fmas_f64 v[150:151], v[150:151], v[156:157], v[220:221]
	v_div_fixup_f64 v[230:231], v[150:151], v[230:231], 1.0
	v_mul_f64 v[228:229], v[148:149], v[230:231]
	v_xor_b32_e32 v231, 0x80000000, v231
.LBB112_259:
	s_andn2_saveexec_b64 s[16:17], s[16:17]
	s_cbranch_execz .LBB112_261
; %bb.260:
	v_div_scale_f64 v[148:149], s[18:19], v[228:229], v[228:229], v[230:231]
	v_rcp_f64_e32 v[150:151], v[148:149]
	v_div_scale_f64 v[156:157], vcc, v[230:231], v[228:229], v[230:231]
	v_fma_f64 v[158:159], -v[148:149], v[150:151], 1.0
	v_fmac_f64_e32 v[150:151], v[150:151], v[158:159]
	v_fma_f64 v[158:159], -v[148:149], v[150:151], 1.0
	v_fmac_f64_e32 v[150:151], v[150:151], v[158:159]
	v_mul_f64 v[158:159], v[156:157], v[150:151]
	v_fma_f64 v[148:149], -v[148:149], v[158:159], v[156:157]
	v_div_fmas_f64 v[148:149], v[148:149], v[150:151], v[158:159]
	v_div_fixup_f64 v[148:149], v[148:149], v[228:229], v[230:231]
	v_fmac_f64_e32 v[228:229], v[230:231], v[148:149]
	v_div_scale_f64 v[150:151], s[18:19], v[228:229], v[228:229], 1.0
	v_rcp_f64_e32 v[156:157], v[150:151]
	s_nop 0
	v_fma_f64 v[158:159], -v[150:151], v[156:157], 1.0
	v_fmac_f64_e32 v[156:157], v[156:157], v[158:159]
	v_fma_f64 v[158:159], -v[150:151], v[156:157], 1.0
	v_fmac_f64_e32 v[156:157], v[156:157], v[158:159]
	v_div_scale_f64 v[158:159], vcc, 1.0, v[228:229], 1.0
	v_mul_f64 v[220:221], v[158:159], v[156:157]
	v_fma_f64 v[150:151], -v[150:151], v[220:221], v[158:159]
	s_nop 1
	v_div_fmas_f64 v[150:151], v[150:151], v[156:157], v[220:221]
	v_div_fixup_f64 v[228:229], v[150:151], v[228:229], 1.0
	v_mul_f64 v[230:231], v[148:149], -v[228:229]
.LBB112_261:
	s_or_b64 exec, exec, s[16:17]
.LBB112_262:
	s_or_b64 exec, exec, s[0:1]
	v_cmp_ne_u32_e32 vcc, v241, v238
	s_and_saveexec_b64 s[0:1], vcc
	s_xor_b64 s[0:1], exec, s[0:1]
	s_cbranch_execz .LBB112_268
; %bb.263:
	v_cmp_eq_u32_e32 vcc, 12, v241
	s_and_saveexec_b64 s[16:17], vcc
	s_cbranch_execz .LBB112_267
; %bb.264:
	v_cmp_ne_u32_e32 vcc, 12, v238
	s_xor_b64 s[18:19], s[14:15], -1
	s_and_b64 s[22:23], s[18:19], vcc
	s_and_saveexec_b64 s[18:19], s[22:23]
	s_cbranch_execz .LBB112_266
; %bb.265:
	v_ashrrev_i32_e32 v239, 31, v238
	v_lshl_add_u64 v[148:149], v[238:239], 2, v[8:9]
	global_load_dword v150, v[148:149], off
	global_load_dword v151, v[8:9], off offset:48
	s_waitcnt vmcnt(1)
	global_store_dword v[8:9], v150, off offset:48
	s_waitcnt vmcnt(1)
	global_store_dword v[148:149], v151, off
.LBB112_266:
	s_or_b64 exec, exec, s[18:19]
	v_mov_b32_e32 v241, v238
	v_mov_b32_e32 v236, v238
.LBB112_267:
	s_or_b64 exec, exec, s[16:17]
.LBB112_268:
	s_andn2_saveexec_b64 s[0:1], s[0:1]
	s_cbranch_execz .LBB112_270
; %bb.269:
	v_mov_b32_e32 v241, 12
	ds_write2_b64 v240, v[176:177], v[178:179] offset0:26 offset1:27
	ds_write2_b64 v240, v[172:173], v[174:175] offset0:28 offset1:29
	;; [unrolled: 1-line block ×44, first 2 shown]
.LBB112_270:
	s_or_b64 exec, exec, s[0:1]
	v_cmp_lt_i32_e32 vcc, 12, v241
	s_waitcnt lgkmcnt(0)
	s_barrier
	s_and_saveexec_b64 s[0:1], vcc
	s_cbranch_execz .LBB112_272
; %bb.271:
	ds_read2_b64 v[244:247], v240 offset0:26 offset1:27
	v_mul_f64 v[148:149], v[230:231], v[182:183]
	v_mul_f64 v[182:183], v[228:229], v[182:183]
	v_fma_f64 v[238:239], v[228:229], v[180:181], -v[148:149]
	v_fmac_f64_e32 v[182:183], v[230:231], v[180:181]
	ds_read2_b64 v[228:231], v240 offset0:28 offset1:29
	s_waitcnt lgkmcnt(1)
	v_mul_f64 v[148:149], v[246:247], v[182:183]
	v_mul_f64 v[150:151], v[244:245], v[182:183]
	v_fma_f64 v[148:149], v[244:245], v[238:239], -v[148:149]
	v_fmac_f64_e32 v[150:151], v[246:247], v[238:239]
	ds_read2_b64 v[244:247], v240 offset0:30 offset1:31
	v_add_f64 v[176:177], v[176:177], -v[148:149]
	v_add_f64 v[178:179], v[178:179], -v[150:151]
	s_waitcnt lgkmcnt(1)
	v_mul_f64 v[148:149], v[230:231], v[182:183]
	v_mul_f64 v[150:151], v[228:229], v[182:183]
	v_fma_f64 v[148:149], v[228:229], v[238:239], -v[148:149]
	v_fmac_f64_e32 v[150:151], v[230:231], v[238:239]
	ds_read2_b64 v[228:231], v240 offset0:32 offset1:33
	v_add_f64 v[172:173], v[172:173], -v[148:149]
	v_add_f64 v[174:175], v[174:175], -v[150:151]
	s_waitcnt lgkmcnt(1)
	v_mul_f64 v[148:149], v[246:247], v[182:183]
	v_mul_f64 v[150:151], v[244:245], v[182:183]
	v_fma_f64 v[148:149], v[244:245], v[238:239], -v[148:149]
	v_fmac_f64_e32 v[150:151], v[246:247], v[238:239]
	ds_read2_b64 v[244:247], v240 offset0:34 offset1:35
	v_add_f64 v[168:169], v[168:169], -v[148:149]
	v_add_f64 v[170:171], v[170:171], -v[150:151]
	s_waitcnt lgkmcnt(1)
	v_mul_f64 v[148:149], v[230:231], v[182:183]
	v_mul_f64 v[150:151], v[228:229], v[182:183]
	v_fma_f64 v[148:149], v[228:229], v[238:239], -v[148:149]
	v_fmac_f64_e32 v[150:151], v[230:231], v[238:239]
	ds_read2_b64 v[228:231], v240 offset0:36 offset1:37
	v_add_f64 v[164:165], v[164:165], -v[148:149]
	v_add_f64 v[166:167], v[166:167], -v[150:151]
	s_waitcnt lgkmcnt(1)
	v_mul_f64 v[148:149], v[246:247], v[182:183]
	v_mul_f64 v[150:151], v[244:245], v[182:183]
	v_fma_f64 v[148:149], v[244:245], v[238:239], -v[148:149]
	v_fmac_f64_e32 v[150:151], v[246:247], v[238:239]
	ds_read2_b64 v[244:247], v240 offset0:38 offset1:39
	v_add_f64 v[160:161], v[160:161], -v[148:149]
	v_add_f64 v[162:163], v[162:163], -v[150:151]
	s_waitcnt lgkmcnt(1)
	v_mul_f64 v[148:149], v[230:231], v[182:183]
	v_mul_f64 v[150:151], v[228:229], v[182:183]
	v_fma_f64 v[148:149], v[228:229], v[238:239], -v[148:149]
	v_fmac_f64_e32 v[150:151], v[230:231], v[238:239]
	ds_read2_b64 v[228:231], v240 offset0:40 offset1:41
	v_add_f64 v[152:153], v[152:153], -v[148:149]
	v_add_f64 v[154:155], v[154:155], -v[150:151]
	s_waitcnt lgkmcnt(1)
	v_mul_f64 v[148:149], v[246:247], v[182:183]
	v_mul_f64 v[150:151], v[244:245], v[182:183]
	v_fma_f64 v[148:149], v[244:245], v[238:239], -v[148:149]
	v_fmac_f64_e32 v[150:151], v[246:247], v[238:239]
	ds_read2_b64 v[244:247], v240 offset0:42 offset1:43
	v_add_f64 v[144:145], v[144:145], -v[148:149]
	v_add_f64 v[146:147], v[146:147], -v[150:151]
	s_waitcnt lgkmcnt(1)
	v_mul_f64 v[148:149], v[230:231], v[182:183]
	v_mul_f64 v[150:151], v[228:229], v[182:183]
	v_fma_f64 v[148:149], v[228:229], v[238:239], -v[148:149]
	v_fmac_f64_e32 v[150:151], v[230:231], v[238:239]
	ds_read2_b64 v[228:231], v240 offset0:44 offset1:45
	v_add_f64 v[140:141], v[140:141], -v[148:149]
	v_add_f64 v[142:143], v[142:143], -v[150:151]
	s_waitcnt lgkmcnt(1)
	v_mul_f64 v[148:149], v[246:247], v[182:183]
	v_mul_f64 v[150:151], v[244:245], v[182:183]
	v_fma_f64 v[148:149], v[244:245], v[238:239], -v[148:149]
	v_fmac_f64_e32 v[150:151], v[246:247], v[238:239]
	ds_read2_b64 v[244:247], v240 offset0:46 offset1:47
	v_add_f64 v[136:137], v[136:137], -v[148:149]
	v_add_f64 v[138:139], v[138:139], -v[150:151]
	s_waitcnt lgkmcnt(1)
	v_mul_f64 v[148:149], v[230:231], v[182:183]
	v_mul_f64 v[150:151], v[228:229], v[182:183]
	v_fma_f64 v[148:149], v[228:229], v[238:239], -v[148:149]
	v_fmac_f64_e32 v[150:151], v[230:231], v[238:239]
	ds_read2_b64 v[228:231], v240 offset0:48 offset1:49
	v_add_f64 v[132:133], v[132:133], -v[148:149]
	v_add_f64 v[134:135], v[134:135], -v[150:151]
	s_waitcnt lgkmcnt(1)
	v_mul_f64 v[148:149], v[246:247], v[182:183]
	v_mul_f64 v[150:151], v[244:245], v[182:183]
	v_fma_f64 v[148:149], v[244:245], v[238:239], -v[148:149]
	v_fmac_f64_e32 v[150:151], v[246:247], v[238:239]
	ds_read2_b64 v[244:247], v240 offset0:50 offset1:51
	v_add_f64 v[128:129], v[128:129], -v[148:149]
	v_add_f64 v[130:131], v[130:131], -v[150:151]
	s_waitcnt lgkmcnt(1)
	v_mul_f64 v[148:149], v[230:231], v[182:183]
	v_mul_f64 v[150:151], v[228:229], v[182:183]
	v_fma_f64 v[148:149], v[228:229], v[238:239], -v[148:149]
	v_fmac_f64_e32 v[150:151], v[230:231], v[238:239]
	ds_read2_b64 v[228:231], v240 offset0:52 offset1:53
	v_add_f64 v[124:125], v[124:125], -v[148:149]
	v_add_f64 v[126:127], v[126:127], -v[150:151]
	s_waitcnt lgkmcnt(1)
	v_mul_f64 v[148:149], v[246:247], v[182:183]
	v_mul_f64 v[150:151], v[244:245], v[182:183]
	v_fma_f64 v[148:149], v[244:245], v[238:239], -v[148:149]
	v_fmac_f64_e32 v[150:151], v[246:247], v[238:239]
	ds_read2_b64 v[244:247], v240 offset0:54 offset1:55
	v_add_f64 v[120:121], v[120:121], -v[148:149]
	v_add_f64 v[122:123], v[122:123], -v[150:151]
	s_waitcnt lgkmcnt(1)
	v_mul_f64 v[148:149], v[230:231], v[182:183]
	v_mul_f64 v[150:151], v[228:229], v[182:183]
	v_fma_f64 v[148:149], v[228:229], v[238:239], -v[148:149]
	v_fmac_f64_e32 v[150:151], v[230:231], v[238:239]
	ds_read2_b64 v[228:231], v240 offset0:56 offset1:57
	v_add_f64 v[116:117], v[116:117], -v[148:149]
	v_add_f64 v[118:119], v[118:119], -v[150:151]
	s_waitcnt lgkmcnt(1)
	v_mul_f64 v[148:149], v[246:247], v[182:183]
	v_mul_f64 v[150:151], v[244:245], v[182:183]
	v_fma_f64 v[148:149], v[244:245], v[238:239], -v[148:149]
	v_fmac_f64_e32 v[150:151], v[246:247], v[238:239]
	ds_read2_b64 v[244:247], v240 offset0:58 offset1:59
	v_add_f64 v[112:113], v[112:113], -v[148:149]
	v_add_f64 v[114:115], v[114:115], -v[150:151]
	s_waitcnt lgkmcnt(1)
	v_mul_f64 v[148:149], v[230:231], v[182:183]
	v_mul_f64 v[150:151], v[228:229], v[182:183]
	v_fma_f64 v[148:149], v[228:229], v[238:239], -v[148:149]
	v_fmac_f64_e32 v[150:151], v[230:231], v[238:239]
	ds_read2_b64 v[228:231], v240 offset0:60 offset1:61
	v_add_f64 v[108:109], v[108:109], -v[148:149]
	v_add_f64 v[110:111], v[110:111], -v[150:151]
	s_waitcnt lgkmcnt(1)
	v_mul_f64 v[148:149], v[246:247], v[182:183]
	v_mul_f64 v[150:151], v[244:245], v[182:183]
	v_fma_f64 v[148:149], v[244:245], v[238:239], -v[148:149]
	v_fmac_f64_e32 v[150:151], v[246:247], v[238:239]
	ds_read2_b64 v[244:247], v240 offset0:62 offset1:63
	v_add_f64 v[104:105], v[104:105], -v[148:149]
	v_add_f64 v[106:107], v[106:107], -v[150:151]
	s_waitcnt lgkmcnt(1)
	v_mul_f64 v[148:149], v[230:231], v[182:183]
	v_mul_f64 v[150:151], v[228:229], v[182:183]
	v_fma_f64 v[148:149], v[228:229], v[238:239], -v[148:149]
	v_fmac_f64_e32 v[150:151], v[230:231], v[238:239]
	ds_read2_b64 v[228:231], v240 offset0:64 offset1:65
	v_add_f64 v[100:101], v[100:101], -v[148:149]
	v_add_f64 v[102:103], v[102:103], -v[150:151]
	s_waitcnt lgkmcnt(1)
	v_mul_f64 v[148:149], v[246:247], v[182:183]
	v_mul_f64 v[150:151], v[244:245], v[182:183]
	v_fma_f64 v[148:149], v[244:245], v[238:239], -v[148:149]
	v_fmac_f64_e32 v[150:151], v[246:247], v[238:239]
	ds_read2_b64 v[244:247], v240 offset0:66 offset1:67
	v_add_f64 v[96:97], v[96:97], -v[148:149]
	v_add_f64 v[98:99], v[98:99], -v[150:151]
	s_waitcnt lgkmcnt(1)
	v_mul_f64 v[148:149], v[230:231], v[182:183]
	v_mul_f64 v[150:151], v[228:229], v[182:183]
	v_fma_f64 v[148:149], v[228:229], v[238:239], -v[148:149]
	v_fmac_f64_e32 v[150:151], v[230:231], v[238:239]
	ds_read2_b64 v[228:231], v240 offset0:68 offset1:69
	v_add_f64 v[92:93], v[92:93], -v[148:149]
	v_add_f64 v[94:95], v[94:95], -v[150:151]
	s_waitcnt lgkmcnt(1)
	v_mul_f64 v[148:149], v[246:247], v[182:183]
	v_mul_f64 v[150:151], v[244:245], v[182:183]
	v_fma_f64 v[148:149], v[244:245], v[238:239], -v[148:149]
	v_fmac_f64_e32 v[150:151], v[246:247], v[238:239]
	ds_read2_b64 v[244:247], v240 offset0:70 offset1:71
	v_add_f64 v[88:89], v[88:89], -v[148:149]
	v_add_f64 v[90:91], v[90:91], -v[150:151]
	s_waitcnt lgkmcnt(1)
	v_mul_f64 v[148:149], v[230:231], v[182:183]
	v_mul_f64 v[150:151], v[228:229], v[182:183]
	v_fma_f64 v[148:149], v[228:229], v[238:239], -v[148:149]
	v_fmac_f64_e32 v[150:151], v[230:231], v[238:239]
	ds_read2_b64 v[228:231], v240 offset0:72 offset1:73
	v_add_f64 v[84:85], v[84:85], -v[148:149]
	v_add_f64 v[86:87], v[86:87], -v[150:151]
	s_waitcnt lgkmcnt(1)
	v_mul_f64 v[148:149], v[246:247], v[182:183]
	v_mul_f64 v[150:151], v[244:245], v[182:183]
	v_fma_f64 v[148:149], v[244:245], v[238:239], -v[148:149]
	v_fmac_f64_e32 v[150:151], v[246:247], v[238:239]
	ds_read2_b64 v[244:247], v240 offset0:74 offset1:75
	v_add_f64 v[80:81], v[80:81], -v[148:149]
	v_add_f64 v[82:83], v[82:83], -v[150:151]
	s_waitcnt lgkmcnt(1)
	v_mul_f64 v[148:149], v[230:231], v[182:183]
	v_mul_f64 v[150:151], v[228:229], v[182:183]
	v_fma_f64 v[148:149], v[228:229], v[238:239], -v[148:149]
	v_fmac_f64_e32 v[150:151], v[230:231], v[238:239]
	ds_read2_b64 v[228:231], v240 offset0:76 offset1:77
	v_add_f64 v[76:77], v[76:77], -v[148:149]
	v_add_f64 v[78:79], v[78:79], -v[150:151]
	s_waitcnt lgkmcnt(1)
	v_mul_f64 v[148:149], v[246:247], v[182:183]
	v_mul_f64 v[150:151], v[244:245], v[182:183]
	v_fma_f64 v[148:149], v[244:245], v[238:239], -v[148:149]
	v_fmac_f64_e32 v[150:151], v[246:247], v[238:239]
	ds_read2_b64 v[244:247], v240 offset0:78 offset1:79
	v_add_f64 v[72:73], v[72:73], -v[148:149]
	v_add_f64 v[74:75], v[74:75], -v[150:151]
	s_waitcnt lgkmcnt(1)
	v_mul_f64 v[148:149], v[230:231], v[182:183]
	v_mul_f64 v[150:151], v[228:229], v[182:183]
	v_fma_f64 v[148:149], v[228:229], v[238:239], -v[148:149]
	v_fmac_f64_e32 v[150:151], v[230:231], v[238:239]
	ds_read2_b64 v[228:231], v240 offset0:80 offset1:81
	v_add_f64 v[68:69], v[68:69], -v[148:149]
	v_add_f64 v[70:71], v[70:71], -v[150:151]
	s_waitcnt lgkmcnt(1)
	v_mul_f64 v[148:149], v[246:247], v[182:183]
	v_mul_f64 v[150:151], v[244:245], v[182:183]
	v_fma_f64 v[148:149], v[244:245], v[238:239], -v[148:149]
	v_fmac_f64_e32 v[150:151], v[246:247], v[238:239]
	ds_read2_b64 v[244:247], v240 offset0:82 offset1:83
	v_add_f64 v[64:65], v[64:65], -v[148:149]
	v_add_f64 v[66:67], v[66:67], -v[150:151]
	s_waitcnt lgkmcnt(1)
	v_mul_f64 v[148:149], v[230:231], v[182:183]
	v_mul_f64 v[150:151], v[228:229], v[182:183]
	v_fma_f64 v[148:149], v[228:229], v[238:239], -v[148:149]
	v_fmac_f64_e32 v[150:151], v[230:231], v[238:239]
	ds_read2_b64 v[228:231], v240 offset0:84 offset1:85
	v_add_f64 v[60:61], v[60:61], -v[148:149]
	v_add_f64 v[62:63], v[62:63], -v[150:151]
	s_waitcnt lgkmcnt(1)
	v_mul_f64 v[148:149], v[246:247], v[182:183]
	v_mul_f64 v[150:151], v[244:245], v[182:183]
	v_fma_f64 v[148:149], v[244:245], v[238:239], -v[148:149]
	v_fmac_f64_e32 v[150:151], v[246:247], v[238:239]
	ds_read2_b64 v[244:247], v240 offset0:86 offset1:87
	v_add_f64 v[56:57], v[56:57], -v[148:149]
	v_add_f64 v[58:59], v[58:59], -v[150:151]
	s_waitcnt lgkmcnt(1)
	v_mul_f64 v[148:149], v[230:231], v[182:183]
	v_mul_f64 v[150:151], v[228:229], v[182:183]
	v_fma_f64 v[148:149], v[228:229], v[238:239], -v[148:149]
	v_fmac_f64_e32 v[150:151], v[230:231], v[238:239]
	ds_read2_b64 v[228:231], v240 offset0:88 offset1:89
	v_add_f64 v[52:53], v[52:53], -v[148:149]
	v_add_f64 v[54:55], v[54:55], -v[150:151]
	s_waitcnt lgkmcnt(1)
	v_mul_f64 v[148:149], v[246:247], v[182:183]
	v_mul_f64 v[150:151], v[244:245], v[182:183]
	v_fma_f64 v[148:149], v[244:245], v[238:239], -v[148:149]
	v_fmac_f64_e32 v[150:151], v[246:247], v[238:239]
	ds_read2_b64 v[244:247], v240 offset0:90 offset1:91
	v_add_f64 v[48:49], v[48:49], -v[148:149]
	v_add_f64 v[50:51], v[50:51], -v[150:151]
	s_waitcnt lgkmcnt(1)
	v_mul_f64 v[148:149], v[230:231], v[182:183]
	v_mul_f64 v[150:151], v[228:229], v[182:183]
	v_fma_f64 v[148:149], v[228:229], v[238:239], -v[148:149]
	v_fmac_f64_e32 v[150:151], v[230:231], v[238:239]
	ds_read2_b64 v[228:231], v240 offset0:92 offset1:93
	v_add_f64 v[44:45], v[44:45], -v[148:149]
	v_add_f64 v[46:47], v[46:47], -v[150:151]
	s_waitcnt lgkmcnt(1)
	v_mul_f64 v[148:149], v[246:247], v[182:183]
	v_mul_f64 v[150:151], v[244:245], v[182:183]
	v_fma_f64 v[148:149], v[244:245], v[238:239], -v[148:149]
	v_fmac_f64_e32 v[150:151], v[246:247], v[238:239]
	ds_read2_b64 v[244:247], v240 offset0:94 offset1:95
	v_add_f64 v[40:41], v[40:41], -v[148:149]
	v_add_f64 v[42:43], v[42:43], -v[150:151]
	s_waitcnt lgkmcnt(1)
	v_mul_f64 v[148:149], v[230:231], v[182:183]
	v_mul_f64 v[150:151], v[228:229], v[182:183]
	v_fma_f64 v[148:149], v[228:229], v[238:239], -v[148:149]
	v_fmac_f64_e32 v[150:151], v[230:231], v[238:239]
	ds_read2_b64 v[228:231], v240 offset0:96 offset1:97
	v_add_f64 v[36:37], v[36:37], -v[148:149]
	v_add_f64 v[38:39], v[38:39], -v[150:151]
	s_waitcnt lgkmcnt(1)
	v_mul_f64 v[148:149], v[246:247], v[182:183]
	v_mul_f64 v[150:151], v[244:245], v[182:183]
	v_fma_f64 v[148:149], v[244:245], v[238:239], -v[148:149]
	v_fmac_f64_e32 v[150:151], v[246:247], v[238:239]
	ds_read2_b64 v[244:247], v240 offset0:98 offset1:99
	v_add_f64 v[32:33], v[32:33], -v[148:149]
	v_add_f64 v[34:35], v[34:35], -v[150:151]
	s_waitcnt lgkmcnt(1)
	v_mul_f64 v[148:149], v[230:231], v[182:183]
	v_mul_f64 v[150:151], v[228:229], v[182:183]
	v_fma_f64 v[148:149], v[228:229], v[238:239], -v[148:149]
	v_fmac_f64_e32 v[150:151], v[230:231], v[238:239]
	ds_read2_b64 v[228:231], v240 offset0:100 offset1:101
	v_add_f64 v[28:29], v[28:29], -v[148:149]
	v_add_f64 v[30:31], v[30:31], -v[150:151]
	s_waitcnt lgkmcnt(1)
	v_mul_f64 v[148:149], v[246:247], v[182:183]
	v_mul_f64 v[150:151], v[244:245], v[182:183]
	v_fma_f64 v[148:149], v[244:245], v[238:239], -v[148:149]
	v_fmac_f64_e32 v[150:151], v[246:247], v[238:239]
	ds_read2_b64 v[244:247], v240 offset0:102 offset1:103
	v_add_f64 v[24:25], v[24:25], -v[148:149]
	v_add_f64 v[26:27], v[26:27], -v[150:151]
	s_waitcnt lgkmcnt(1)
	v_mul_f64 v[148:149], v[230:231], v[182:183]
	v_mul_f64 v[150:151], v[228:229], v[182:183]
	v_fma_f64 v[148:149], v[228:229], v[238:239], -v[148:149]
	v_fmac_f64_e32 v[150:151], v[230:231], v[238:239]
	ds_read2_b64 v[228:231], v240 offset0:104 offset1:105
	v_add_f64 v[20:21], v[20:21], -v[148:149]
	v_add_f64 v[22:23], v[22:23], -v[150:151]
	s_waitcnt lgkmcnt(1)
	v_mul_f64 v[148:149], v[246:247], v[182:183]
	v_mul_f64 v[150:151], v[244:245], v[182:183]
	v_fma_f64 v[148:149], v[244:245], v[238:239], -v[148:149]
	v_fmac_f64_e32 v[150:151], v[246:247], v[238:239]
	ds_read2_b64 v[244:247], v240 offset0:106 offset1:107
	v_add_f64 v[16:17], v[16:17], -v[148:149]
	v_add_f64 v[18:19], v[18:19], -v[150:151]
	s_waitcnt lgkmcnt(1)
	v_mul_f64 v[148:149], v[230:231], v[182:183]
	v_mul_f64 v[150:151], v[228:229], v[182:183]
	v_fma_f64 v[148:149], v[228:229], v[238:239], -v[148:149]
	v_fmac_f64_e32 v[150:151], v[230:231], v[238:239]
	ds_read2_b64 v[228:231], v240 offset0:108 offset1:109
	v_add_f64 v[12:13], v[12:13], -v[148:149]
	v_add_f64 v[14:15], v[14:15], -v[150:151]
	s_waitcnt lgkmcnt(1)
	v_mul_f64 v[148:149], v[246:247], v[182:183]
	v_mul_f64 v[150:151], v[244:245], v[182:183]
	v_fma_f64 v[148:149], v[244:245], v[238:239], -v[148:149]
	v_fmac_f64_e32 v[150:151], v[246:247], v[238:239]
	ds_read2_b64 v[244:247], v240 offset0:110 offset1:111
	v_add_f64 v[212:213], v[212:213], -v[148:149]
	v_add_f64 v[214:215], v[214:215], -v[150:151]
	s_waitcnt lgkmcnt(1)
	v_mul_f64 v[148:149], v[230:231], v[182:183]
	v_mul_f64 v[150:151], v[228:229], v[182:183]
	v_fma_f64 v[148:149], v[228:229], v[238:239], -v[148:149]
	v_fmac_f64_e32 v[150:151], v[230:231], v[238:239]
	ds_read2_b64 v[228:231], v240 offset0:112 offset1:113
	v_add_f64 v[4:5], v[4:5], -v[148:149]
	v_add_f64 v[6:7], v[6:7], -v[150:151]
	s_waitcnt lgkmcnt(1)
	v_mul_f64 v[148:149], v[246:247], v[182:183]
	v_mul_f64 v[150:151], v[244:245], v[182:183]
	v_fma_f64 v[148:149], v[244:245], v[238:239], -v[148:149]
	v_fmac_f64_e32 v[150:151], v[246:247], v[238:239]
	v_add_f64 v[250:251], v[250:251], -v[148:149]
	v_add_f64 v[252:253], v[252:253], -v[150:151]
	s_waitcnt lgkmcnt(0)
	v_mul_f64 v[148:149], v[230:231], v[182:183]
	v_mul_f64 v[150:151], v[228:229], v[182:183]
	v_fma_f64 v[148:149], v[228:229], v[238:239], -v[148:149]
	v_fmac_f64_e32 v[150:151], v[230:231], v[238:239]
	v_add_f64 v[224:225], v[224:225], -v[148:149]
	v_add_f64 v[226:227], v[226:227], -v[150:151]
	v_mov_b64_e32 v[180:181], v[238:239]
.LBB112_272:
	s_or_b64 exec, exec, s[0:1]
	v_lshl_add_u32 v148, v241, 4, v240
	s_barrier
	ds_write2_b64 v148, v[176:177], v[178:179] offset1:1
	s_waitcnt lgkmcnt(0)
	s_barrier
	ds_read2_b64 v[228:231], v240 offset0:26 offset1:27
	s_cmp_lt_i32 s20, 15
	v_mov_b32_e32 v238, 13
	s_cbranch_scc1 .LBB112_275
; %bb.273:
	v_add_u32_e32 v239, 0xe0, v240
	s_mov_b32 s0, 14
	v_mov_b32_e32 v238, 13
.LBB112_274:                            ; =>This Inner Loop Header: Depth=1
	ds_read2_b64 v[244:247], v239 offset1:1
	s_waitcnt lgkmcnt(1)
	v_cmp_gt_f64_e32 vcc, 0, v[228:229]
	v_xor_b32_e32 v148, 0x80000000, v229
	v_xor_b32_e32 v150, 0x80000000, v231
	v_cndmask_b32_e32 v149, v229, v148, vcc
	v_cmp_gt_f64_e32 vcc, 0, v[230:231]
	v_mov_b32_e32 v148, v228
	s_waitcnt lgkmcnt(0)
	v_xor_b32_e32 v156, 0x80000000, v247
	v_cndmask_b32_e32 v151, v231, v150, vcc
	v_mov_b32_e32 v150, v230
	v_add_f64 v[148:149], v[148:149], v[150:151]
	v_cmp_gt_f64_e32 vcc, 0, v[244:245]
	v_xor_b32_e32 v150, 0x80000000, v245
	v_add_u32_e32 v239, 16, v239
	v_cndmask_b32_e32 v151, v245, v150, vcc
	v_cmp_gt_f64_e32 vcc, 0, v[246:247]
	v_mov_b32_e32 v150, v244
	s_nop 0
	v_cndmask_b32_e32 v157, v247, v156, vcc
	v_mov_b32_e32 v156, v246
	v_add_f64 v[150:151], v[150:151], v[156:157]
	v_cmp_lt_f64_e32 vcc, v[148:149], v[150:151]
	v_mov_b32_e32 v148, s0
	s_add_i32 s0, s0, 1
	v_cndmask_b32_e32 v229, v229, v245, vcc
	v_cndmask_b32_e32 v228, v228, v244, vcc
	;; [unrolled: 1-line block ×5, first 2 shown]
	s_cmp_lg_u32 s20, s0
	s_cbranch_scc1 .LBB112_274
.LBB112_275:
	s_waitcnt lgkmcnt(0)
	v_cmp_eq_f64_e32 vcc, 0, v[228:229]
	v_cmp_eq_f64_e64 s[0:1], 0, v[230:231]
	s_and_b64 s[0:1], vcc, s[0:1]
	s_and_saveexec_b64 s[16:17], s[0:1]
	s_xor_b64 s[0:1], exec, s[16:17]
; %bb.276:
	v_cmp_ne_u32_e32 vcc, 0, v242
	s_nop 1
	v_cndmask_b32_e32 v242, 14, v242, vcc
; %bb.277:
	s_andn2_saveexec_b64 s[0:1], s[0:1]
	s_cbranch_execz .LBB112_283
; %bb.278:
	v_cmp_ngt_f64_e64 s[16:17], |v[228:229]|, |v[230:231]|
	s_and_saveexec_b64 s[18:19], s[16:17]
	s_xor_b64 s[16:17], exec, s[18:19]
	s_cbranch_execz .LBB112_280
; %bb.279:
	v_div_scale_f64 v[148:149], s[18:19], v[230:231], v[230:231], v[228:229]
	v_rcp_f64_e32 v[150:151], v[148:149]
	v_div_scale_f64 v[156:157], vcc, v[228:229], v[230:231], v[228:229]
	v_fma_f64 v[158:159], -v[148:149], v[150:151], 1.0
	v_fmac_f64_e32 v[150:151], v[150:151], v[158:159]
	v_fma_f64 v[158:159], -v[148:149], v[150:151], 1.0
	v_fmac_f64_e32 v[150:151], v[150:151], v[158:159]
	v_mul_f64 v[158:159], v[156:157], v[150:151]
	v_fma_f64 v[148:149], -v[148:149], v[158:159], v[156:157]
	v_div_fmas_f64 v[148:149], v[148:149], v[150:151], v[158:159]
	v_div_fixup_f64 v[148:149], v[148:149], v[230:231], v[228:229]
	v_fmac_f64_e32 v[230:231], v[228:229], v[148:149]
	v_div_scale_f64 v[150:151], s[18:19], v[230:231], v[230:231], 1.0
	v_rcp_f64_e32 v[156:157], v[150:151]
	s_nop 0
	v_fma_f64 v[158:159], -v[150:151], v[156:157], 1.0
	v_fmac_f64_e32 v[156:157], v[156:157], v[158:159]
	v_fma_f64 v[158:159], -v[150:151], v[156:157], 1.0
	v_fmac_f64_e32 v[156:157], v[156:157], v[158:159]
	v_div_scale_f64 v[158:159], vcc, 1.0, v[230:231], 1.0
	v_mul_f64 v[220:221], v[158:159], v[156:157]
	v_fma_f64 v[150:151], -v[150:151], v[220:221], v[158:159]
	s_nop 1
	v_div_fmas_f64 v[150:151], v[150:151], v[156:157], v[220:221]
	v_div_fixup_f64 v[230:231], v[150:151], v[230:231], 1.0
	v_mul_f64 v[228:229], v[148:149], v[230:231]
	v_xor_b32_e32 v231, 0x80000000, v231
.LBB112_280:
	s_andn2_saveexec_b64 s[16:17], s[16:17]
	s_cbranch_execz .LBB112_282
; %bb.281:
	v_div_scale_f64 v[148:149], s[18:19], v[228:229], v[228:229], v[230:231]
	v_rcp_f64_e32 v[150:151], v[148:149]
	v_div_scale_f64 v[156:157], vcc, v[230:231], v[228:229], v[230:231]
	v_fma_f64 v[158:159], -v[148:149], v[150:151], 1.0
	v_fmac_f64_e32 v[150:151], v[150:151], v[158:159]
	v_fma_f64 v[158:159], -v[148:149], v[150:151], 1.0
	v_fmac_f64_e32 v[150:151], v[150:151], v[158:159]
	v_mul_f64 v[158:159], v[156:157], v[150:151]
	v_fma_f64 v[148:149], -v[148:149], v[158:159], v[156:157]
	v_div_fmas_f64 v[148:149], v[148:149], v[150:151], v[158:159]
	v_div_fixup_f64 v[148:149], v[148:149], v[228:229], v[230:231]
	v_fmac_f64_e32 v[228:229], v[230:231], v[148:149]
	v_div_scale_f64 v[150:151], s[18:19], v[228:229], v[228:229], 1.0
	v_rcp_f64_e32 v[156:157], v[150:151]
	s_nop 0
	v_fma_f64 v[158:159], -v[150:151], v[156:157], 1.0
	v_fmac_f64_e32 v[156:157], v[156:157], v[158:159]
	v_fma_f64 v[158:159], -v[150:151], v[156:157], 1.0
	v_fmac_f64_e32 v[156:157], v[156:157], v[158:159]
	v_div_scale_f64 v[158:159], vcc, 1.0, v[228:229], 1.0
	v_mul_f64 v[220:221], v[158:159], v[156:157]
	v_fma_f64 v[150:151], -v[150:151], v[220:221], v[158:159]
	s_nop 1
	v_div_fmas_f64 v[150:151], v[150:151], v[156:157], v[220:221]
	v_div_fixup_f64 v[228:229], v[150:151], v[228:229], 1.0
	v_mul_f64 v[230:231], v[148:149], -v[228:229]
.LBB112_282:
	s_or_b64 exec, exec, s[16:17]
.LBB112_283:
	s_or_b64 exec, exec, s[0:1]
	v_cmp_ne_u32_e32 vcc, v241, v238
	s_and_saveexec_b64 s[0:1], vcc
	s_xor_b64 s[0:1], exec, s[0:1]
	s_cbranch_execz .LBB112_289
; %bb.284:
	v_cmp_eq_u32_e32 vcc, 13, v241
	s_and_saveexec_b64 s[16:17], vcc
	s_cbranch_execz .LBB112_288
; %bb.285:
	v_cmp_ne_u32_e32 vcc, 13, v238
	s_xor_b64 s[18:19], s[14:15], -1
	s_and_b64 s[22:23], s[18:19], vcc
	s_and_saveexec_b64 s[18:19], s[22:23]
	s_cbranch_execz .LBB112_287
; %bb.286:
	v_ashrrev_i32_e32 v239, 31, v238
	v_lshl_add_u64 v[148:149], v[238:239], 2, v[8:9]
	global_load_dword v150, v[148:149], off
	global_load_dword v151, v[8:9], off offset:52
	s_waitcnt vmcnt(1)
	global_store_dword v[8:9], v150, off offset:52
	s_waitcnt vmcnt(1)
	global_store_dword v[148:149], v151, off
.LBB112_287:
	s_or_b64 exec, exec, s[18:19]
	v_mov_b32_e32 v241, v238
	v_mov_b32_e32 v236, v238
.LBB112_288:
	s_or_b64 exec, exec, s[16:17]
.LBB112_289:
	s_andn2_saveexec_b64 s[0:1], s[0:1]
	s_cbranch_execz .LBB112_291
; %bb.290:
	v_mov_b32_e32 v241, 13
	ds_write2_b64 v240, v[172:173], v[174:175] offset0:28 offset1:29
	ds_write2_b64 v240, v[168:169], v[170:171] offset0:30 offset1:31
	;; [unrolled: 1-line block ×43, first 2 shown]
.LBB112_291:
	s_or_b64 exec, exec, s[0:1]
	v_cmp_lt_i32_e32 vcc, 13, v241
	s_waitcnt lgkmcnt(0)
	s_barrier
	s_and_saveexec_b64 s[0:1], vcc
	s_cbranch_execz .LBB112_293
; %bb.292:
	ds_read2_b64 v[244:247], v240 offset0:28 offset1:29
	v_mul_f64 v[148:149], v[230:231], v[178:179]
	v_mul_f64 v[178:179], v[228:229], v[178:179]
	v_fma_f64 v[238:239], v[228:229], v[176:177], -v[148:149]
	v_fmac_f64_e32 v[178:179], v[230:231], v[176:177]
	ds_read2_b64 v[228:231], v240 offset0:30 offset1:31
	s_waitcnt lgkmcnt(1)
	v_mul_f64 v[148:149], v[246:247], v[178:179]
	v_mul_f64 v[150:151], v[244:245], v[178:179]
	v_fma_f64 v[148:149], v[244:245], v[238:239], -v[148:149]
	v_fmac_f64_e32 v[150:151], v[246:247], v[238:239]
	ds_read2_b64 v[244:247], v240 offset0:32 offset1:33
	v_add_f64 v[172:173], v[172:173], -v[148:149]
	v_add_f64 v[174:175], v[174:175], -v[150:151]
	s_waitcnt lgkmcnt(1)
	v_mul_f64 v[148:149], v[230:231], v[178:179]
	v_mul_f64 v[150:151], v[228:229], v[178:179]
	v_fma_f64 v[148:149], v[228:229], v[238:239], -v[148:149]
	v_fmac_f64_e32 v[150:151], v[230:231], v[238:239]
	ds_read2_b64 v[228:231], v240 offset0:34 offset1:35
	v_add_f64 v[168:169], v[168:169], -v[148:149]
	v_add_f64 v[170:171], v[170:171], -v[150:151]
	;; [unrolled: 8-line block ×41, first 2 shown]
	s_waitcnt lgkmcnt(1)
	v_mul_f64 v[148:149], v[230:231], v[178:179]
	v_mul_f64 v[150:151], v[228:229], v[178:179]
	v_fma_f64 v[148:149], v[228:229], v[238:239], -v[148:149]
	v_fmac_f64_e32 v[150:151], v[230:231], v[238:239]
	v_add_f64 v[250:251], v[250:251], -v[148:149]
	v_add_f64 v[252:253], v[252:253], -v[150:151]
	s_waitcnt lgkmcnt(0)
	v_mul_f64 v[148:149], v[246:247], v[178:179]
	v_mul_f64 v[150:151], v[244:245], v[178:179]
	v_fma_f64 v[148:149], v[244:245], v[238:239], -v[148:149]
	v_fmac_f64_e32 v[150:151], v[246:247], v[238:239]
	v_add_f64 v[224:225], v[224:225], -v[148:149]
	v_add_f64 v[226:227], v[226:227], -v[150:151]
	v_mov_b64_e32 v[176:177], v[238:239]
.LBB112_293:
	s_or_b64 exec, exec, s[0:1]
	v_lshl_add_u32 v148, v241, 4, v240
	s_barrier
	ds_write2_b64 v148, v[172:173], v[174:175] offset1:1
	s_waitcnt lgkmcnt(0)
	s_barrier
	ds_read2_b64 v[228:231], v240 offset0:28 offset1:29
	s_cmp_lt_i32 s20, 16
	v_mov_b32_e32 v238, 14
	s_cbranch_scc1 .LBB112_296
; %bb.294:
	v_add_u32_e32 v239, 0xf0, v240
	s_mov_b32 s0, 15
	v_mov_b32_e32 v238, 14
.LBB112_295:                            ; =>This Inner Loop Header: Depth=1
	ds_read2_b64 v[244:247], v239 offset1:1
	s_waitcnt lgkmcnt(1)
	v_cmp_gt_f64_e32 vcc, 0, v[228:229]
	v_xor_b32_e32 v148, 0x80000000, v229
	v_xor_b32_e32 v150, 0x80000000, v231
	v_cndmask_b32_e32 v149, v229, v148, vcc
	v_cmp_gt_f64_e32 vcc, 0, v[230:231]
	v_mov_b32_e32 v148, v228
	s_waitcnt lgkmcnt(0)
	v_xor_b32_e32 v156, 0x80000000, v247
	v_cndmask_b32_e32 v151, v231, v150, vcc
	v_mov_b32_e32 v150, v230
	v_add_f64 v[148:149], v[148:149], v[150:151]
	v_cmp_gt_f64_e32 vcc, 0, v[244:245]
	v_xor_b32_e32 v150, 0x80000000, v245
	v_add_u32_e32 v239, 16, v239
	v_cndmask_b32_e32 v151, v245, v150, vcc
	v_cmp_gt_f64_e32 vcc, 0, v[246:247]
	v_mov_b32_e32 v150, v244
	s_nop 0
	v_cndmask_b32_e32 v157, v247, v156, vcc
	v_mov_b32_e32 v156, v246
	v_add_f64 v[150:151], v[150:151], v[156:157]
	v_cmp_lt_f64_e32 vcc, v[148:149], v[150:151]
	v_mov_b32_e32 v148, s0
	s_add_i32 s0, s0, 1
	v_cndmask_b32_e32 v229, v229, v245, vcc
	v_cndmask_b32_e32 v228, v228, v244, vcc
	v_cndmask_b32_e32 v231, v231, v247, vcc
	v_cndmask_b32_e32 v230, v230, v246, vcc
	v_cndmask_b32_e32 v238, v238, v148, vcc
	s_cmp_lg_u32 s20, s0
	s_cbranch_scc1 .LBB112_295
.LBB112_296:
	s_waitcnt lgkmcnt(0)
	v_cmp_eq_f64_e32 vcc, 0, v[228:229]
	v_cmp_eq_f64_e64 s[0:1], 0, v[230:231]
	s_and_b64 s[0:1], vcc, s[0:1]
	s_and_saveexec_b64 s[16:17], s[0:1]
	s_xor_b64 s[0:1], exec, s[16:17]
; %bb.297:
	v_cmp_ne_u32_e32 vcc, 0, v242
	s_nop 1
	v_cndmask_b32_e32 v242, 15, v242, vcc
; %bb.298:
	s_andn2_saveexec_b64 s[0:1], s[0:1]
	s_cbranch_execz .LBB112_304
; %bb.299:
	v_cmp_ngt_f64_e64 s[16:17], |v[228:229]|, |v[230:231]|
	s_and_saveexec_b64 s[18:19], s[16:17]
	s_xor_b64 s[16:17], exec, s[18:19]
	s_cbranch_execz .LBB112_301
; %bb.300:
	v_div_scale_f64 v[148:149], s[18:19], v[230:231], v[230:231], v[228:229]
	v_rcp_f64_e32 v[150:151], v[148:149]
	v_div_scale_f64 v[156:157], vcc, v[228:229], v[230:231], v[228:229]
	v_fma_f64 v[158:159], -v[148:149], v[150:151], 1.0
	v_fmac_f64_e32 v[150:151], v[150:151], v[158:159]
	v_fma_f64 v[158:159], -v[148:149], v[150:151], 1.0
	v_fmac_f64_e32 v[150:151], v[150:151], v[158:159]
	v_mul_f64 v[158:159], v[156:157], v[150:151]
	v_fma_f64 v[148:149], -v[148:149], v[158:159], v[156:157]
	v_div_fmas_f64 v[148:149], v[148:149], v[150:151], v[158:159]
	v_div_fixup_f64 v[148:149], v[148:149], v[230:231], v[228:229]
	v_fmac_f64_e32 v[230:231], v[228:229], v[148:149]
	v_div_scale_f64 v[150:151], s[18:19], v[230:231], v[230:231], 1.0
	v_rcp_f64_e32 v[156:157], v[150:151]
	s_nop 0
	v_fma_f64 v[158:159], -v[150:151], v[156:157], 1.0
	v_fmac_f64_e32 v[156:157], v[156:157], v[158:159]
	v_fma_f64 v[158:159], -v[150:151], v[156:157], 1.0
	v_fmac_f64_e32 v[156:157], v[156:157], v[158:159]
	v_div_scale_f64 v[158:159], vcc, 1.0, v[230:231], 1.0
	v_mul_f64 v[220:221], v[158:159], v[156:157]
	v_fma_f64 v[150:151], -v[150:151], v[220:221], v[158:159]
	s_nop 1
	v_div_fmas_f64 v[150:151], v[150:151], v[156:157], v[220:221]
	v_div_fixup_f64 v[230:231], v[150:151], v[230:231], 1.0
	v_mul_f64 v[228:229], v[148:149], v[230:231]
	v_xor_b32_e32 v231, 0x80000000, v231
.LBB112_301:
	s_andn2_saveexec_b64 s[16:17], s[16:17]
	s_cbranch_execz .LBB112_303
; %bb.302:
	v_div_scale_f64 v[148:149], s[18:19], v[228:229], v[228:229], v[230:231]
	v_rcp_f64_e32 v[150:151], v[148:149]
	v_div_scale_f64 v[156:157], vcc, v[230:231], v[228:229], v[230:231]
	v_fma_f64 v[158:159], -v[148:149], v[150:151], 1.0
	v_fmac_f64_e32 v[150:151], v[150:151], v[158:159]
	v_fma_f64 v[158:159], -v[148:149], v[150:151], 1.0
	v_fmac_f64_e32 v[150:151], v[150:151], v[158:159]
	v_mul_f64 v[158:159], v[156:157], v[150:151]
	v_fma_f64 v[148:149], -v[148:149], v[158:159], v[156:157]
	v_div_fmas_f64 v[148:149], v[148:149], v[150:151], v[158:159]
	v_div_fixup_f64 v[148:149], v[148:149], v[228:229], v[230:231]
	v_fmac_f64_e32 v[228:229], v[230:231], v[148:149]
	v_div_scale_f64 v[150:151], s[18:19], v[228:229], v[228:229], 1.0
	v_rcp_f64_e32 v[156:157], v[150:151]
	s_nop 0
	v_fma_f64 v[158:159], -v[150:151], v[156:157], 1.0
	v_fmac_f64_e32 v[156:157], v[156:157], v[158:159]
	v_fma_f64 v[158:159], -v[150:151], v[156:157], 1.0
	v_fmac_f64_e32 v[156:157], v[156:157], v[158:159]
	v_div_scale_f64 v[158:159], vcc, 1.0, v[228:229], 1.0
	v_mul_f64 v[220:221], v[158:159], v[156:157]
	v_fma_f64 v[150:151], -v[150:151], v[220:221], v[158:159]
	s_nop 1
	v_div_fmas_f64 v[150:151], v[150:151], v[156:157], v[220:221]
	v_div_fixup_f64 v[228:229], v[150:151], v[228:229], 1.0
	v_mul_f64 v[230:231], v[148:149], -v[228:229]
.LBB112_303:
	s_or_b64 exec, exec, s[16:17]
.LBB112_304:
	s_or_b64 exec, exec, s[0:1]
	v_cmp_ne_u32_e32 vcc, v241, v238
	s_and_saveexec_b64 s[0:1], vcc
	s_xor_b64 s[0:1], exec, s[0:1]
	s_cbranch_execz .LBB112_310
; %bb.305:
	v_cmp_eq_u32_e32 vcc, 14, v241
	s_and_saveexec_b64 s[16:17], vcc
	s_cbranch_execz .LBB112_309
; %bb.306:
	v_cmp_ne_u32_e32 vcc, 14, v238
	s_xor_b64 s[18:19], s[14:15], -1
	s_and_b64 s[22:23], s[18:19], vcc
	s_and_saveexec_b64 s[18:19], s[22:23]
	s_cbranch_execz .LBB112_308
; %bb.307:
	v_ashrrev_i32_e32 v239, 31, v238
	v_lshl_add_u64 v[148:149], v[238:239], 2, v[8:9]
	global_load_dword v150, v[148:149], off
	global_load_dword v151, v[8:9], off offset:56
	s_waitcnt vmcnt(1)
	global_store_dword v[8:9], v150, off offset:56
	s_waitcnt vmcnt(1)
	global_store_dword v[148:149], v151, off
.LBB112_308:
	s_or_b64 exec, exec, s[18:19]
	v_mov_b32_e32 v241, v238
	v_mov_b32_e32 v236, v238
.LBB112_309:
	s_or_b64 exec, exec, s[16:17]
.LBB112_310:
	s_andn2_saveexec_b64 s[0:1], s[0:1]
	s_cbranch_execz .LBB112_312
; %bb.311:
	v_mov_b32_e32 v241, 14
	ds_write2_b64 v240, v[168:169], v[170:171] offset0:30 offset1:31
	ds_write2_b64 v240, v[164:165], v[166:167] offset0:32 offset1:33
	;; [unrolled: 1-line block ×42, first 2 shown]
.LBB112_312:
	s_or_b64 exec, exec, s[0:1]
	v_cmp_lt_i32_e32 vcc, 14, v241
	s_waitcnt lgkmcnt(0)
	s_barrier
	s_and_saveexec_b64 s[0:1], vcc
	s_cbranch_execz .LBB112_314
; %bb.313:
	ds_read2_b64 v[244:247], v240 offset0:30 offset1:31
	v_mul_f64 v[148:149], v[230:231], v[174:175]
	v_mul_f64 v[174:175], v[228:229], v[174:175]
	v_fma_f64 v[238:239], v[228:229], v[172:173], -v[148:149]
	v_fmac_f64_e32 v[174:175], v[230:231], v[172:173]
	ds_read2_b64 v[228:231], v240 offset0:32 offset1:33
	s_waitcnt lgkmcnt(1)
	v_mul_f64 v[148:149], v[246:247], v[174:175]
	v_mul_f64 v[150:151], v[244:245], v[174:175]
	v_fma_f64 v[148:149], v[244:245], v[238:239], -v[148:149]
	v_fmac_f64_e32 v[150:151], v[246:247], v[238:239]
	ds_read2_b64 v[244:247], v240 offset0:34 offset1:35
	v_add_f64 v[168:169], v[168:169], -v[148:149]
	v_add_f64 v[170:171], v[170:171], -v[150:151]
	s_waitcnt lgkmcnt(1)
	v_mul_f64 v[148:149], v[230:231], v[174:175]
	v_mul_f64 v[150:151], v[228:229], v[174:175]
	v_fma_f64 v[148:149], v[228:229], v[238:239], -v[148:149]
	v_fmac_f64_e32 v[150:151], v[230:231], v[238:239]
	ds_read2_b64 v[228:231], v240 offset0:36 offset1:37
	v_add_f64 v[164:165], v[164:165], -v[148:149]
	v_add_f64 v[166:167], v[166:167], -v[150:151]
	s_waitcnt lgkmcnt(1)
	v_mul_f64 v[148:149], v[246:247], v[174:175]
	v_mul_f64 v[150:151], v[244:245], v[174:175]
	v_fma_f64 v[148:149], v[244:245], v[238:239], -v[148:149]
	v_fmac_f64_e32 v[150:151], v[246:247], v[238:239]
	ds_read2_b64 v[244:247], v240 offset0:38 offset1:39
	v_add_f64 v[160:161], v[160:161], -v[148:149]
	v_add_f64 v[162:163], v[162:163], -v[150:151]
	s_waitcnt lgkmcnt(1)
	v_mul_f64 v[148:149], v[230:231], v[174:175]
	v_mul_f64 v[150:151], v[228:229], v[174:175]
	v_fma_f64 v[148:149], v[228:229], v[238:239], -v[148:149]
	v_fmac_f64_e32 v[150:151], v[230:231], v[238:239]
	ds_read2_b64 v[228:231], v240 offset0:40 offset1:41
	v_add_f64 v[152:153], v[152:153], -v[148:149]
	v_add_f64 v[154:155], v[154:155], -v[150:151]
	s_waitcnt lgkmcnt(1)
	v_mul_f64 v[148:149], v[246:247], v[174:175]
	v_mul_f64 v[150:151], v[244:245], v[174:175]
	v_fma_f64 v[148:149], v[244:245], v[238:239], -v[148:149]
	v_fmac_f64_e32 v[150:151], v[246:247], v[238:239]
	ds_read2_b64 v[244:247], v240 offset0:42 offset1:43
	v_add_f64 v[144:145], v[144:145], -v[148:149]
	v_add_f64 v[146:147], v[146:147], -v[150:151]
	s_waitcnt lgkmcnt(1)
	v_mul_f64 v[148:149], v[230:231], v[174:175]
	v_mul_f64 v[150:151], v[228:229], v[174:175]
	v_fma_f64 v[148:149], v[228:229], v[238:239], -v[148:149]
	v_fmac_f64_e32 v[150:151], v[230:231], v[238:239]
	ds_read2_b64 v[228:231], v240 offset0:44 offset1:45
	v_add_f64 v[140:141], v[140:141], -v[148:149]
	v_add_f64 v[142:143], v[142:143], -v[150:151]
	s_waitcnt lgkmcnt(1)
	v_mul_f64 v[148:149], v[246:247], v[174:175]
	v_mul_f64 v[150:151], v[244:245], v[174:175]
	v_fma_f64 v[148:149], v[244:245], v[238:239], -v[148:149]
	v_fmac_f64_e32 v[150:151], v[246:247], v[238:239]
	ds_read2_b64 v[244:247], v240 offset0:46 offset1:47
	v_add_f64 v[136:137], v[136:137], -v[148:149]
	v_add_f64 v[138:139], v[138:139], -v[150:151]
	s_waitcnt lgkmcnt(1)
	v_mul_f64 v[148:149], v[230:231], v[174:175]
	v_mul_f64 v[150:151], v[228:229], v[174:175]
	v_fma_f64 v[148:149], v[228:229], v[238:239], -v[148:149]
	v_fmac_f64_e32 v[150:151], v[230:231], v[238:239]
	ds_read2_b64 v[228:231], v240 offset0:48 offset1:49
	v_add_f64 v[132:133], v[132:133], -v[148:149]
	v_add_f64 v[134:135], v[134:135], -v[150:151]
	s_waitcnt lgkmcnt(1)
	v_mul_f64 v[148:149], v[246:247], v[174:175]
	v_mul_f64 v[150:151], v[244:245], v[174:175]
	v_fma_f64 v[148:149], v[244:245], v[238:239], -v[148:149]
	v_fmac_f64_e32 v[150:151], v[246:247], v[238:239]
	ds_read2_b64 v[244:247], v240 offset0:50 offset1:51
	v_add_f64 v[128:129], v[128:129], -v[148:149]
	v_add_f64 v[130:131], v[130:131], -v[150:151]
	s_waitcnt lgkmcnt(1)
	v_mul_f64 v[148:149], v[230:231], v[174:175]
	v_mul_f64 v[150:151], v[228:229], v[174:175]
	v_fma_f64 v[148:149], v[228:229], v[238:239], -v[148:149]
	v_fmac_f64_e32 v[150:151], v[230:231], v[238:239]
	ds_read2_b64 v[228:231], v240 offset0:52 offset1:53
	v_add_f64 v[124:125], v[124:125], -v[148:149]
	v_add_f64 v[126:127], v[126:127], -v[150:151]
	s_waitcnt lgkmcnt(1)
	v_mul_f64 v[148:149], v[246:247], v[174:175]
	v_mul_f64 v[150:151], v[244:245], v[174:175]
	v_fma_f64 v[148:149], v[244:245], v[238:239], -v[148:149]
	v_fmac_f64_e32 v[150:151], v[246:247], v[238:239]
	ds_read2_b64 v[244:247], v240 offset0:54 offset1:55
	v_add_f64 v[120:121], v[120:121], -v[148:149]
	v_add_f64 v[122:123], v[122:123], -v[150:151]
	s_waitcnt lgkmcnt(1)
	v_mul_f64 v[148:149], v[230:231], v[174:175]
	v_mul_f64 v[150:151], v[228:229], v[174:175]
	v_fma_f64 v[148:149], v[228:229], v[238:239], -v[148:149]
	v_fmac_f64_e32 v[150:151], v[230:231], v[238:239]
	ds_read2_b64 v[228:231], v240 offset0:56 offset1:57
	v_add_f64 v[116:117], v[116:117], -v[148:149]
	v_add_f64 v[118:119], v[118:119], -v[150:151]
	s_waitcnt lgkmcnt(1)
	v_mul_f64 v[148:149], v[246:247], v[174:175]
	v_mul_f64 v[150:151], v[244:245], v[174:175]
	v_fma_f64 v[148:149], v[244:245], v[238:239], -v[148:149]
	v_fmac_f64_e32 v[150:151], v[246:247], v[238:239]
	ds_read2_b64 v[244:247], v240 offset0:58 offset1:59
	v_add_f64 v[112:113], v[112:113], -v[148:149]
	v_add_f64 v[114:115], v[114:115], -v[150:151]
	s_waitcnt lgkmcnt(1)
	v_mul_f64 v[148:149], v[230:231], v[174:175]
	v_mul_f64 v[150:151], v[228:229], v[174:175]
	v_fma_f64 v[148:149], v[228:229], v[238:239], -v[148:149]
	v_fmac_f64_e32 v[150:151], v[230:231], v[238:239]
	ds_read2_b64 v[228:231], v240 offset0:60 offset1:61
	v_add_f64 v[108:109], v[108:109], -v[148:149]
	v_add_f64 v[110:111], v[110:111], -v[150:151]
	s_waitcnt lgkmcnt(1)
	v_mul_f64 v[148:149], v[246:247], v[174:175]
	v_mul_f64 v[150:151], v[244:245], v[174:175]
	v_fma_f64 v[148:149], v[244:245], v[238:239], -v[148:149]
	v_fmac_f64_e32 v[150:151], v[246:247], v[238:239]
	ds_read2_b64 v[244:247], v240 offset0:62 offset1:63
	v_add_f64 v[104:105], v[104:105], -v[148:149]
	v_add_f64 v[106:107], v[106:107], -v[150:151]
	s_waitcnt lgkmcnt(1)
	v_mul_f64 v[148:149], v[230:231], v[174:175]
	v_mul_f64 v[150:151], v[228:229], v[174:175]
	v_fma_f64 v[148:149], v[228:229], v[238:239], -v[148:149]
	v_fmac_f64_e32 v[150:151], v[230:231], v[238:239]
	ds_read2_b64 v[228:231], v240 offset0:64 offset1:65
	v_add_f64 v[100:101], v[100:101], -v[148:149]
	v_add_f64 v[102:103], v[102:103], -v[150:151]
	s_waitcnt lgkmcnt(1)
	v_mul_f64 v[148:149], v[246:247], v[174:175]
	v_mul_f64 v[150:151], v[244:245], v[174:175]
	v_fma_f64 v[148:149], v[244:245], v[238:239], -v[148:149]
	v_fmac_f64_e32 v[150:151], v[246:247], v[238:239]
	ds_read2_b64 v[244:247], v240 offset0:66 offset1:67
	v_add_f64 v[96:97], v[96:97], -v[148:149]
	v_add_f64 v[98:99], v[98:99], -v[150:151]
	s_waitcnt lgkmcnt(1)
	v_mul_f64 v[148:149], v[230:231], v[174:175]
	v_mul_f64 v[150:151], v[228:229], v[174:175]
	v_fma_f64 v[148:149], v[228:229], v[238:239], -v[148:149]
	v_fmac_f64_e32 v[150:151], v[230:231], v[238:239]
	ds_read2_b64 v[228:231], v240 offset0:68 offset1:69
	v_add_f64 v[92:93], v[92:93], -v[148:149]
	v_add_f64 v[94:95], v[94:95], -v[150:151]
	s_waitcnt lgkmcnt(1)
	v_mul_f64 v[148:149], v[246:247], v[174:175]
	v_mul_f64 v[150:151], v[244:245], v[174:175]
	v_fma_f64 v[148:149], v[244:245], v[238:239], -v[148:149]
	v_fmac_f64_e32 v[150:151], v[246:247], v[238:239]
	ds_read2_b64 v[244:247], v240 offset0:70 offset1:71
	v_add_f64 v[88:89], v[88:89], -v[148:149]
	v_add_f64 v[90:91], v[90:91], -v[150:151]
	s_waitcnt lgkmcnt(1)
	v_mul_f64 v[148:149], v[230:231], v[174:175]
	v_mul_f64 v[150:151], v[228:229], v[174:175]
	v_fma_f64 v[148:149], v[228:229], v[238:239], -v[148:149]
	v_fmac_f64_e32 v[150:151], v[230:231], v[238:239]
	ds_read2_b64 v[228:231], v240 offset0:72 offset1:73
	v_add_f64 v[84:85], v[84:85], -v[148:149]
	v_add_f64 v[86:87], v[86:87], -v[150:151]
	s_waitcnt lgkmcnt(1)
	v_mul_f64 v[148:149], v[246:247], v[174:175]
	v_mul_f64 v[150:151], v[244:245], v[174:175]
	v_fma_f64 v[148:149], v[244:245], v[238:239], -v[148:149]
	v_fmac_f64_e32 v[150:151], v[246:247], v[238:239]
	ds_read2_b64 v[244:247], v240 offset0:74 offset1:75
	v_add_f64 v[80:81], v[80:81], -v[148:149]
	v_add_f64 v[82:83], v[82:83], -v[150:151]
	s_waitcnt lgkmcnt(1)
	v_mul_f64 v[148:149], v[230:231], v[174:175]
	v_mul_f64 v[150:151], v[228:229], v[174:175]
	v_fma_f64 v[148:149], v[228:229], v[238:239], -v[148:149]
	v_fmac_f64_e32 v[150:151], v[230:231], v[238:239]
	ds_read2_b64 v[228:231], v240 offset0:76 offset1:77
	v_add_f64 v[76:77], v[76:77], -v[148:149]
	v_add_f64 v[78:79], v[78:79], -v[150:151]
	s_waitcnt lgkmcnt(1)
	v_mul_f64 v[148:149], v[246:247], v[174:175]
	v_mul_f64 v[150:151], v[244:245], v[174:175]
	v_fma_f64 v[148:149], v[244:245], v[238:239], -v[148:149]
	v_fmac_f64_e32 v[150:151], v[246:247], v[238:239]
	ds_read2_b64 v[244:247], v240 offset0:78 offset1:79
	v_add_f64 v[72:73], v[72:73], -v[148:149]
	v_add_f64 v[74:75], v[74:75], -v[150:151]
	s_waitcnt lgkmcnt(1)
	v_mul_f64 v[148:149], v[230:231], v[174:175]
	v_mul_f64 v[150:151], v[228:229], v[174:175]
	v_fma_f64 v[148:149], v[228:229], v[238:239], -v[148:149]
	v_fmac_f64_e32 v[150:151], v[230:231], v[238:239]
	ds_read2_b64 v[228:231], v240 offset0:80 offset1:81
	v_add_f64 v[68:69], v[68:69], -v[148:149]
	v_add_f64 v[70:71], v[70:71], -v[150:151]
	s_waitcnt lgkmcnt(1)
	v_mul_f64 v[148:149], v[246:247], v[174:175]
	v_mul_f64 v[150:151], v[244:245], v[174:175]
	v_fma_f64 v[148:149], v[244:245], v[238:239], -v[148:149]
	v_fmac_f64_e32 v[150:151], v[246:247], v[238:239]
	ds_read2_b64 v[244:247], v240 offset0:82 offset1:83
	v_add_f64 v[64:65], v[64:65], -v[148:149]
	v_add_f64 v[66:67], v[66:67], -v[150:151]
	s_waitcnt lgkmcnt(1)
	v_mul_f64 v[148:149], v[230:231], v[174:175]
	v_mul_f64 v[150:151], v[228:229], v[174:175]
	v_fma_f64 v[148:149], v[228:229], v[238:239], -v[148:149]
	v_fmac_f64_e32 v[150:151], v[230:231], v[238:239]
	ds_read2_b64 v[228:231], v240 offset0:84 offset1:85
	v_add_f64 v[60:61], v[60:61], -v[148:149]
	v_add_f64 v[62:63], v[62:63], -v[150:151]
	s_waitcnt lgkmcnt(1)
	v_mul_f64 v[148:149], v[246:247], v[174:175]
	v_mul_f64 v[150:151], v[244:245], v[174:175]
	v_fma_f64 v[148:149], v[244:245], v[238:239], -v[148:149]
	v_fmac_f64_e32 v[150:151], v[246:247], v[238:239]
	ds_read2_b64 v[244:247], v240 offset0:86 offset1:87
	v_add_f64 v[56:57], v[56:57], -v[148:149]
	v_add_f64 v[58:59], v[58:59], -v[150:151]
	s_waitcnt lgkmcnt(1)
	v_mul_f64 v[148:149], v[230:231], v[174:175]
	v_mul_f64 v[150:151], v[228:229], v[174:175]
	v_fma_f64 v[148:149], v[228:229], v[238:239], -v[148:149]
	v_fmac_f64_e32 v[150:151], v[230:231], v[238:239]
	ds_read2_b64 v[228:231], v240 offset0:88 offset1:89
	v_add_f64 v[52:53], v[52:53], -v[148:149]
	v_add_f64 v[54:55], v[54:55], -v[150:151]
	s_waitcnt lgkmcnt(1)
	v_mul_f64 v[148:149], v[246:247], v[174:175]
	v_mul_f64 v[150:151], v[244:245], v[174:175]
	v_fma_f64 v[148:149], v[244:245], v[238:239], -v[148:149]
	v_fmac_f64_e32 v[150:151], v[246:247], v[238:239]
	ds_read2_b64 v[244:247], v240 offset0:90 offset1:91
	v_add_f64 v[48:49], v[48:49], -v[148:149]
	v_add_f64 v[50:51], v[50:51], -v[150:151]
	s_waitcnt lgkmcnt(1)
	v_mul_f64 v[148:149], v[230:231], v[174:175]
	v_mul_f64 v[150:151], v[228:229], v[174:175]
	v_fma_f64 v[148:149], v[228:229], v[238:239], -v[148:149]
	v_fmac_f64_e32 v[150:151], v[230:231], v[238:239]
	ds_read2_b64 v[228:231], v240 offset0:92 offset1:93
	v_add_f64 v[44:45], v[44:45], -v[148:149]
	v_add_f64 v[46:47], v[46:47], -v[150:151]
	s_waitcnt lgkmcnt(1)
	v_mul_f64 v[148:149], v[246:247], v[174:175]
	v_mul_f64 v[150:151], v[244:245], v[174:175]
	v_fma_f64 v[148:149], v[244:245], v[238:239], -v[148:149]
	v_fmac_f64_e32 v[150:151], v[246:247], v[238:239]
	ds_read2_b64 v[244:247], v240 offset0:94 offset1:95
	v_add_f64 v[40:41], v[40:41], -v[148:149]
	v_add_f64 v[42:43], v[42:43], -v[150:151]
	s_waitcnt lgkmcnt(1)
	v_mul_f64 v[148:149], v[230:231], v[174:175]
	v_mul_f64 v[150:151], v[228:229], v[174:175]
	v_fma_f64 v[148:149], v[228:229], v[238:239], -v[148:149]
	v_fmac_f64_e32 v[150:151], v[230:231], v[238:239]
	ds_read2_b64 v[228:231], v240 offset0:96 offset1:97
	v_add_f64 v[36:37], v[36:37], -v[148:149]
	v_add_f64 v[38:39], v[38:39], -v[150:151]
	s_waitcnt lgkmcnt(1)
	v_mul_f64 v[148:149], v[246:247], v[174:175]
	v_mul_f64 v[150:151], v[244:245], v[174:175]
	v_fma_f64 v[148:149], v[244:245], v[238:239], -v[148:149]
	v_fmac_f64_e32 v[150:151], v[246:247], v[238:239]
	ds_read2_b64 v[244:247], v240 offset0:98 offset1:99
	v_add_f64 v[32:33], v[32:33], -v[148:149]
	v_add_f64 v[34:35], v[34:35], -v[150:151]
	s_waitcnt lgkmcnt(1)
	v_mul_f64 v[148:149], v[230:231], v[174:175]
	v_mul_f64 v[150:151], v[228:229], v[174:175]
	v_fma_f64 v[148:149], v[228:229], v[238:239], -v[148:149]
	v_fmac_f64_e32 v[150:151], v[230:231], v[238:239]
	ds_read2_b64 v[228:231], v240 offset0:100 offset1:101
	v_add_f64 v[28:29], v[28:29], -v[148:149]
	v_add_f64 v[30:31], v[30:31], -v[150:151]
	s_waitcnt lgkmcnt(1)
	v_mul_f64 v[148:149], v[246:247], v[174:175]
	v_mul_f64 v[150:151], v[244:245], v[174:175]
	v_fma_f64 v[148:149], v[244:245], v[238:239], -v[148:149]
	v_fmac_f64_e32 v[150:151], v[246:247], v[238:239]
	ds_read2_b64 v[244:247], v240 offset0:102 offset1:103
	v_add_f64 v[24:25], v[24:25], -v[148:149]
	v_add_f64 v[26:27], v[26:27], -v[150:151]
	s_waitcnt lgkmcnt(1)
	v_mul_f64 v[148:149], v[230:231], v[174:175]
	v_mul_f64 v[150:151], v[228:229], v[174:175]
	v_fma_f64 v[148:149], v[228:229], v[238:239], -v[148:149]
	v_fmac_f64_e32 v[150:151], v[230:231], v[238:239]
	ds_read2_b64 v[228:231], v240 offset0:104 offset1:105
	v_add_f64 v[20:21], v[20:21], -v[148:149]
	v_add_f64 v[22:23], v[22:23], -v[150:151]
	s_waitcnt lgkmcnt(1)
	v_mul_f64 v[148:149], v[246:247], v[174:175]
	v_mul_f64 v[150:151], v[244:245], v[174:175]
	v_fma_f64 v[148:149], v[244:245], v[238:239], -v[148:149]
	v_fmac_f64_e32 v[150:151], v[246:247], v[238:239]
	ds_read2_b64 v[244:247], v240 offset0:106 offset1:107
	v_add_f64 v[16:17], v[16:17], -v[148:149]
	v_add_f64 v[18:19], v[18:19], -v[150:151]
	s_waitcnt lgkmcnt(1)
	v_mul_f64 v[148:149], v[230:231], v[174:175]
	v_mul_f64 v[150:151], v[228:229], v[174:175]
	v_fma_f64 v[148:149], v[228:229], v[238:239], -v[148:149]
	v_fmac_f64_e32 v[150:151], v[230:231], v[238:239]
	ds_read2_b64 v[228:231], v240 offset0:108 offset1:109
	v_add_f64 v[12:13], v[12:13], -v[148:149]
	v_add_f64 v[14:15], v[14:15], -v[150:151]
	s_waitcnt lgkmcnt(1)
	v_mul_f64 v[148:149], v[246:247], v[174:175]
	v_mul_f64 v[150:151], v[244:245], v[174:175]
	v_fma_f64 v[148:149], v[244:245], v[238:239], -v[148:149]
	v_fmac_f64_e32 v[150:151], v[246:247], v[238:239]
	ds_read2_b64 v[244:247], v240 offset0:110 offset1:111
	v_add_f64 v[212:213], v[212:213], -v[148:149]
	v_add_f64 v[214:215], v[214:215], -v[150:151]
	s_waitcnt lgkmcnt(1)
	v_mul_f64 v[148:149], v[230:231], v[174:175]
	v_mul_f64 v[150:151], v[228:229], v[174:175]
	v_fma_f64 v[148:149], v[228:229], v[238:239], -v[148:149]
	v_fmac_f64_e32 v[150:151], v[230:231], v[238:239]
	ds_read2_b64 v[228:231], v240 offset0:112 offset1:113
	v_add_f64 v[4:5], v[4:5], -v[148:149]
	v_add_f64 v[6:7], v[6:7], -v[150:151]
	s_waitcnt lgkmcnt(1)
	v_mul_f64 v[148:149], v[246:247], v[174:175]
	v_mul_f64 v[150:151], v[244:245], v[174:175]
	v_fma_f64 v[148:149], v[244:245], v[238:239], -v[148:149]
	v_fmac_f64_e32 v[150:151], v[246:247], v[238:239]
	v_add_f64 v[250:251], v[250:251], -v[148:149]
	v_add_f64 v[252:253], v[252:253], -v[150:151]
	s_waitcnt lgkmcnt(0)
	v_mul_f64 v[148:149], v[230:231], v[174:175]
	v_mul_f64 v[150:151], v[228:229], v[174:175]
	v_fma_f64 v[148:149], v[228:229], v[238:239], -v[148:149]
	v_fmac_f64_e32 v[150:151], v[230:231], v[238:239]
	v_add_f64 v[224:225], v[224:225], -v[148:149]
	v_add_f64 v[226:227], v[226:227], -v[150:151]
	v_mov_b64_e32 v[172:173], v[238:239]
.LBB112_314:
	s_or_b64 exec, exec, s[0:1]
	v_lshl_add_u32 v148, v241, 4, v240
	s_barrier
	ds_write2_b64 v148, v[168:169], v[170:171] offset1:1
	s_waitcnt lgkmcnt(0)
	s_barrier
	ds_read2_b64 v[228:231], v240 offset0:30 offset1:31
	s_cmp_lt_i32 s20, 17
	v_mov_b32_e32 v238, 15
	s_cbranch_scc1 .LBB112_317
; %bb.315:
	v_add_u32_e32 v239, 0x100, v240
	s_mov_b32 s0, 16
	v_mov_b32_e32 v238, 15
.LBB112_316:                            ; =>This Inner Loop Header: Depth=1
	ds_read2_b64 v[244:247], v239 offset1:1
	s_waitcnt lgkmcnt(1)
	v_cmp_gt_f64_e32 vcc, 0, v[228:229]
	v_xor_b32_e32 v148, 0x80000000, v229
	v_xor_b32_e32 v150, 0x80000000, v231
	v_cndmask_b32_e32 v149, v229, v148, vcc
	v_cmp_gt_f64_e32 vcc, 0, v[230:231]
	v_mov_b32_e32 v148, v228
	s_waitcnt lgkmcnt(0)
	v_xor_b32_e32 v156, 0x80000000, v247
	v_cndmask_b32_e32 v151, v231, v150, vcc
	v_mov_b32_e32 v150, v230
	v_add_f64 v[148:149], v[148:149], v[150:151]
	v_cmp_gt_f64_e32 vcc, 0, v[244:245]
	v_xor_b32_e32 v150, 0x80000000, v245
	v_add_u32_e32 v239, 16, v239
	v_cndmask_b32_e32 v151, v245, v150, vcc
	v_cmp_gt_f64_e32 vcc, 0, v[246:247]
	v_mov_b32_e32 v150, v244
	s_nop 0
	v_cndmask_b32_e32 v157, v247, v156, vcc
	v_mov_b32_e32 v156, v246
	v_add_f64 v[150:151], v[150:151], v[156:157]
	v_cmp_lt_f64_e32 vcc, v[148:149], v[150:151]
	v_mov_b32_e32 v148, s0
	s_add_i32 s0, s0, 1
	v_cndmask_b32_e32 v229, v229, v245, vcc
	v_cndmask_b32_e32 v228, v228, v244, vcc
	;; [unrolled: 1-line block ×5, first 2 shown]
	s_cmp_lg_u32 s20, s0
	s_cbranch_scc1 .LBB112_316
.LBB112_317:
	s_waitcnt lgkmcnt(0)
	v_cmp_eq_f64_e32 vcc, 0, v[228:229]
	v_cmp_eq_f64_e64 s[0:1], 0, v[230:231]
	s_and_b64 s[0:1], vcc, s[0:1]
	s_and_saveexec_b64 s[16:17], s[0:1]
	s_xor_b64 s[0:1], exec, s[16:17]
; %bb.318:
	v_cmp_ne_u32_e32 vcc, 0, v242
	s_nop 1
	v_cndmask_b32_e32 v242, 16, v242, vcc
; %bb.319:
	s_andn2_saveexec_b64 s[0:1], s[0:1]
	s_cbranch_execz .LBB112_325
; %bb.320:
	v_cmp_ngt_f64_e64 s[16:17], |v[228:229]|, |v[230:231]|
	s_and_saveexec_b64 s[18:19], s[16:17]
	s_xor_b64 s[16:17], exec, s[18:19]
	s_cbranch_execz .LBB112_322
; %bb.321:
	v_div_scale_f64 v[148:149], s[18:19], v[230:231], v[230:231], v[228:229]
	v_rcp_f64_e32 v[150:151], v[148:149]
	v_div_scale_f64 v[156:157], vcc, v[228:229], v[230:231], v[228:229]
	v_fma_f64 v[158:159], -v[148:149], v[150:151], 1.0
	v_fmac_f64_e32 v[150:151], v[150:151], v[158:159]
	v_fma_f64 v[158:159], -v[148:149], v[150:151], 1.0
	v_fmac_f64_e32 v[150:151], v[150:151], v[158:159]
	v_mul_f64 v[158:159], v[156:157], v[150:151]
	v_fma_f64 v[148:149], -v[148:149], v[158:159], v[156:157]
	v_div_fmas_f64 v[148:149], v[148:149], v[150:151], v[158:159]
	v_div_fixup_f64 v[148:149], v[148:149], v[230:231], v[228:229]
	v_fmac_f64_e32 v[230:231], v[228:229], v[148:149]
	v_div_scale_f64 v[150:151], s[18:19], v[230:231], v[230:231], 1.0
	v_rcp_f64_e32 v[156:157], v[150:151]
	s_nop 0
	v_fma_f64 v[158:159], -v[150:151], v[156:157], 1.0
	v_fmac_f64_e32 v[156:157], v[156:157], v[158:159]
	v_fma_f64 v[158:159], -v[150:151], v[156:157], 1.0
	v_fmac_f64_e32 v[156:157], v[156:157], v[158:159]
	v_div_scale_f64 v[158:159], vcc, 1.0, v[230:231], 1.0
	v_mul_f64 v[220:221], v[158:159], v[156:157]
	v_fma_f64 v[150:151], -v[150:151], v[220:221], v[158:159]
	s_nop 1
	v_div_fmas_f64 v[150:151], v[150:151], v[156:157], v[220:221]
	v_div_fixup_f64 v[230:231], v[150:151], v[230:231], 1.0
	v_mul_f64 v[228:229], v[148:149], v[230:231]
	v_xor_b32_e32 v231, 0x80000000, v231
.LBB112_322:
	s_andn2_saveexec_b64 s[16:17], s[16:17]
	s_cbranch_execz .LBB112_324
; %bb.323:
	v_div_scale_f64 v[148:149], s[18:19], v[228:229], v[228:229], v[230:231]
	v_rcp_f64_e32 v[150:151], v[148:149]
	v_div_scale_f64 v[156:157], vcc, v[230:231], v[228:229], v[230:231]
	v_fma_f64 v[158:159], -v[148:149], v[150:151], 1.0
	v_fmac_f64_e32 v[150:151], v[150:151], v[158:159]
	v_fma_f64 v[158:159], -v[148:149], v[150:151], 1.0
	v_fmac_f64_e32 v[150:151], v[150:151], v[158:159]
	v_mul_f64 v[158:159], v[156:157], v[150:151]
	v_fma_f64 v[148:149], -v[148:149], v[158:159], v[156:157]
	v_div_fmas_f64 v[148:149], v[148:149], v[150:151], v[158:159]
	v_div_fixup_f64 v[148:149], v[148:149], v[228:229], v[230:231]
	v_fmac_f64_e32 v[228:229], v[230:231], v[148:149]
	v_div_scale_f64 v[150:151], s[18:19], v[228:229], v[228:229], 1.0
	v_rcp_f64_e32 v[156:157], v[150:151]
	s_nop 0
	v_fma_f64 v[158:159], -v[150:151], v[156:157], 1.0
	v_fmac_f64_e32 v[156:157], v[156:157], v[158:159]
	v_fma_f64 v[158:159], -v[150:151], v[156:157], 1.0
	v_fmac_f64_e32 v[156:157], v[156:157], v[158:159]
	v_div_scale_f64 v[158:159], vcc, 1.0, v[228:229], 1.0
	v_mul_f64 v[220:221], v[158:159], v[156:157]
	v_fma_f64 v[150:151], -v[150:151], v[220:221], v[158:159]
	s_nop 1
	v_div_fmas_f64 v[150:151], v[150:151], v[156:157], v[220:221]
	v_div_fixup_f64 v[228:229], v[150:151], v[228:229], 1.0
	v_mul_f64 v[230:231], v[148:149], -v[228:229]
.LBB112_324:
	s_or_b64 exec, exec, s[16:17]
.LBB112_325:
	s_or_b64 exec, exec, s[0:1]
	v_cmp_ne_u32_e32 vcc, v241, v238
	s_and_saveexec_b64 s[0:1], vcc
	s_xor_b64 s[0:1], exec, s[0:1]
	s_cbranch_execz .LBB112_331
; %bb.326:
	v_cmp_eq_u32_e32 vcc, 15, v241
	s_and_saveexec_b64 s[16:17], vcc
	s_cbranch_execz .LBB112_330
; %bb.327:
	v_cmp_ne_u32_e32 vcc, 15, v238
	s_xor_b64 s[18:19], s[14:15], -1
	s_and_b64 s[22:23], s[18:19], vcc
	s_and_saveexec_b64 s[18:19], s[22:23]
	s_cbranch_execz .LBB112_329
; %bb.328:
	v_ashrrev_i32_e32 v239, 31, v238
	v_lshl_add_u64 v[148:149], v[238:239], 2, v[8:9]
	global_load_dword v150, v[148:149], off
	global_load_dword v151, v[8:9], off offset:60
	s_waitcnt vmcnt(1)
	global_store_dword v[8:9], v150, off offset:60
	s_waitcnt vmcnt(1)
	global_store_dword v[148:149], v151, off
.LBB112_329:
	s_or_b64 exec, exec, s[18:19]
	v_mov_b32_e32 v241, v238
	v_mov_b32_e32 v236, v238
.LBB112_330:
	s_or_b64 exec, exec, s[16:17]
.LBB112_331:
	s_andn2_saveexec_b64 s[0:1], s[0:1]
	s_cbranch_execz .LBB112_333
; %bb.332:
	v_mov_b32_e32 v241, 15
	ds_write2_b64 v240, v[164:165], v[166:167] offset0:32 offset1:33
	ds_write2_b64 v240, v[160:161], v[162:163] offset0:34 offset1:35
	ds_write2_b64 v240, v[152:153], v[154:155] offset0:36 offset1:37
	ds_write2_b64 v240, v[144:145], v[146:147] offset0:38 offset1:39
	ds_write2_b64 v240, v[140:141], v[142:143] offset0:40 offset1:41
	ds_write2_b64 v240, v[136:137], v[138:139] offset0:42 offset1:43
	ds_write2_b64 v240, v[132:133], v[134:135] offset0:44 offset1:45
	ds_write2_b64 v240, v[128:129], v[130:131] offset0:46 offset1:47
	ds_write2_b64 v240, v[124:125], v[126:127] offset0:48 offset1:49
	ds_write2_b64 v240, v[120:121], v[122:123] offset0:50 offset1:51
	ds_write2_b64 v240, v[116:117], v[118:119] offset0:52 offset1:53
	ds_write2_b64 v240, v[112:113], v[114:115] offset0:54 offset1:55
	ds_write2_b64 v240, v[108:109], v[110:111] offset0:56 offset1:57
	ds_write2_b64 v240, v[104:105], v[106:107] offset0:58 offset1:59
	ds_write2_b64 v240, v[100:101], v[102:103] offset0:60 offset1:61
	ds_write2_b64 v240, v[96:97], v[98:99] offset0:62 offset1:63
	ds_write2_b64 v240, v[92:93], v[94:95] offset0:64 offset1:65
	ds_write2_b64 v240, v[88:89], v[90:91] offset0:66 offset1:67
	ds_write2_b64 v240, v[84:85], v[86:87] offset0:68 offset1:69
	ds_write2_b64 v240, v[80:81], v[82:83] offset0:70 offset1:71
	ds_write2_b64 v240, v[76:77], v[78:79] offset0:72 offset1:73
	ds_write2_b64 v240, v[72:73], v[74:75] offset0:74 offset1:75
	ds_write2_b64 v240, v[68:69], v[70:71] offset0:76 offset1:77
	ds_write2_b64 v240, v[64:65], v[66:67] offset0:78 offset1:79
	ds_write2_b64 v240, v[60:61], v[62:63] offset0:80 offset1:81
	ds_write2_b64 v240, v[56:57], v[58:59] offset0:82 offset1:83
	ds_write2_b64 v240, v[52:53], v[54:55] offset0:84 offset1:85
	ds_write2_b64 v240, v[48:49], v[50:51] offset0:86 offset1:87
	ds_write2_b64 v240, v[44:45], v[46:47] offset0:88 offset1:89
	ds_write2_b64 v240, v[40:41], v[42:43] offset0:90 offset1:91
	ds_write2_b64 v240, v[36:37], v[38:39] offset0:92 offset1:93
	ds_write2_b64 v240, v[32:33], v[34:35] offset0:94 offset1:95
	ds_write2_b64 v240, v[28:29], v[30:31] offset0:96 offset1:97
	ds_write2_b64 v240, v[24:25], v[26:27] offset0:98 offset1:99
	ds_write2_b64 v240, v[20:21], v[22:23] offset0:100 offset1:101
	ds_write2_b64 v240, v[16:17], v[18:19] offset0:102 offset1:103
	ds_write2_b64 v240, v[12:13], v[14:15] offset0:104 offset1:105
	ds_write2_b64 v240, v[212:213], v[214:215] offset0:106 offset1:107
	ds_write2_b64 v240, v[4:5], v[6:7] offset0:108 offset1:109
	ds_write2_b64 v240, v[250:251], v[252:253] offset0:110 offset1:111
	ds_write2_b64 v240, v[224:225], v[226:227] offset0:112 offset1:113
.LBB112_333:
	s_or_b64 exec, exec, s[0:1]
	v_cmp_lt_i32_e32 vcc, 15, v241
	s_waitcnt lgkmcnt(0)
	s_barrier
	s_and_saveexec_b64 s[0:1], vcc
	s_cbranch_execz .LBB112_335
; %bb.334:
	ds_read2_b64 v[244:247], v240 offset0:32 offset1:33
	v_mul_f64 v[148:149], v[230:231], v[170:171]
	v_mul_f64 v[170:171], v[228:229], v[170:171]
	v_fma_f64 v[238:239], v[228:229], v[168:169], -v[148:149]
	v_fmac_f64_e32 v[170:171], v[230:231], v[168:169]
	ds_read2_b64 v[228:231], v240 offset0:34 offset1:35
	s_waitcnt lgkmcnt(1)
	v_mul_f64 v[148:149], v[246:247], v[170:171]
	v_mul_f64 v[150:151], v[244:245], v[170:171]
	v_fma_f64 v[148:149], v[244:245], v[238:239], -v[148:149]
	v_fmac_f64_e32 v[150:151], v[246:247], v[238:239]
	ds_read2_b64 v[244:247], v240 offset0:36 offset1:37
	v_add_f64 v[164:165], v[164:165], -v[148:149]
	v_add_f64 v[166:167], v[166:167], -v[150:151]
	s_waitcnt lgkmcnt(1)
	v_mul_f64 v[148:149], v[230:231], v[170:171]
	v_mul_f64 v[150:151], v[228:229], v[170:171]
	v_fma_f64 v[148:149], v[228:229], v[238:239], -v[148:149]
	v_fmac_f64_e32 v[150:151], v[230:231], v[238:239]
	ds_read2_b64 v[228:231], v240 offset0:38 offset1:39
	v_add_f64 v[160:161], v[160:161], -v[148:149]
	v_add_f64 v[162:163], v[162:163], -v[150:151]
	;; [unrolled: 8-line block ×39, first 2 shown]
	s_waitcnt lgkmcnt(1)
	v_mul_f64 v[148:149], v[230:231], v[170:171]
	v_mul_f64 v[150:151], v[228:229], v[170:171]
	v_fma_f64 v[148:149], v[228:229], v[238:239], -v[148:149]
	v_fmac_f64_e32 v[150:151], v[230:231], v[238:239]
	v_add_f64 v[250:251], v[250:251], -v[148:149]
	v_add_f64 v[252:253], v[252:253], -v[150:151]
	s_waitcnt lgkmcnt(0)
	v_mul_f64 v[148:149], v[246:247], v[170:171]
	v_mul_f64 v[150:151], v[244:245], v[170:171]
	v_fma_f64 v[148:149], v[244:245], v[238:239], -v[148:149]
	v_fmac_f64_e32 v[150:151], v[246:247], v[238:239]
	v_add_f64 v[224:225], v[224:225], -v[148:149]
	v_add_f64 v[226:227], v[226:227], -v[150:151]
	v_mov_b64_e32 v[168:169], v[238:239]
.LBB112_335:
	s_or_b64 exec, exec, s[0:1]
	v_lshl_add_u32 v148, v241, 4, v240
	s_barrier
	ds_write2_b64 v148, v[164:165], v[166:167] offset1:1
	s_waitcnt lgkmcnt(0)
	s_barrier
	ds_read2_b64 v[228:231], v240 offset0:32 offset1:33
	s_cmp_lt_i32 s20, 18
	v_mov_b32_e32 v238, 16
	s_cbranch_scc1 .LBB112_338
; %bb.336:
	v_add_u32_e32 v239, 0x110, v240
	s_mov_b32 s0, 17
	v_mov_b32_e32 v238, 16
.LBB112_337:                            ; =>This Inner Loop Header: Depth=1
	ds_read2_b64 v[244:247], v239 offset1:1
	s_waitcnt lgkmcnt(1)
	v_cmp_gt_f64_e32 vcc, 0, v[228:229]
	v_xor_b32_e32 v148, 0x80000000, v229
	v_xor_b32_e32 v150, 0x80000000, v231
	v_cndmask_b32_e32 v149, v229, v148, vcc
	v_cmp_gt_f64_e32 vcc, 0, v[230:231]
	v_mov_b32_e32 v148, v228
	s_waitcnt lgkmcnt(0)
	v_xor_b32_e32 v156, 0x80000000, v247
	v_cndmask_b32_e32 v151, v231, v150, vcc
	v_mov_b32_e32 v150, v230
	v_add_f64 v[148:149], v[148:149], v[150:151]
	v_cmp_gt_f64_e32 vcc, 0, v[244:245]
	v_xor_b32_e32 v150, 0x80000000, v245
	v_add_u32_e32 v239, 16, v239
	v_cndmask_b32_e32 v151, v245, v150, vcc
	v_cmp_gt_f64_e32 vcc, 0, v[246:247]
	v_mov_b32_e32 v150, v244
	s_nop 0
	v_cndmask_b32_e32 v157, v247, v156, vcc
	v_mov_b32_e32 v156, v246
	v_add_f64 v[150:151], v[150:151], v[156:157]
	v_cmp_lt_f64_e32 vcc, v[148:149], v[150:151]
	v_mov_b32_e32 v148, s0
	s_add_i32 s0, s0, 1
	v_cndmask_b32_e32 v229, v229, v245, vcc
	v_cndmask_b32_e32 v228, v228, v244, vcc
	;; [unrolled: 1-line block ×5, first 2 shown]
	s_cmp_lg_u32 s20, s0
	s_cbranch_scc1 .LBB112_337
.LBB112_338:
	s_waitcnt lgkmcnt(0)
	v_cmp_eq_f64_e32 vcc, 0, v[228:229]
	v_cmp_eq_f64_e64 s[0:1], 0, v[230:231]
	s_and_b64 s[0:1], vcc, s[0:1]
	s_and_saveexec_b64 s[16:17], s[0:1]
	s_xor_b64 s[0:1], exec, s[16:17]
; %bb.339:
	v_cmp_ne_u32_e32 vcc, 0, v242
	s_nop 1
	v_cndmask_b32_e32 v242, 17, v242, vcc
; %bb.340:
	s_andn2_saveexec_b64 s[0:1], s[0:1]
	s_cbranch_execz .LBB112_346
; %bb.341:
	v_cmp_ngt_f64_e64 s[16:17], |v[228:229]|, |v[230:231]|
	s_and_saveexec_b64 s[18:19], s[16:17]
	s_xor_b64 s[16:17], exec, s[18:19]
	s_cbranch_execz .LBB112_343
; %bb.342:
	v_div_scale_f64 v[148:149], s[18:19], v[230:231], v[230:231], v[228:229]
	v_rcp_f64_e32 v[150:151], v[148:149]
	v_div_scale_f64 v[156:157], vcc, v[228:229], v[230:231], v[228:229]
	v_fma_f64 v[158:159], -v[148:149], v[150:151], 1.0
	v_fmac_f64_e32 v[150:151], v[150:151], v[158:159]
	v_fma_f64 v[158:159], -v[148:149], v[150:151], 1.0
	v_fmac_f64_e32 v[150:151], v[150:151], v[158:159]
	v_mul_f64 v[158:159], v[156:157], v[150:151]
	v_fma_f64 v[148:149], -v[148:149], v[158:159], v[156:157]
	v_div_fmas_f64 v[148:149], v[148:149], v[150:151], v[158:159]
	v_div_fixup_f64 v[148:149], v[148:149], v[230:231], v[228:229]
	v_fmac_f64_e32 v[230:231], v[228:229], v[148:149]
	v_div_scale_f64 v[150:151], s[18:19], v[230:231], v[230:231], 1.0
	v_rcp_f64_e32 v[156:157], v[150:151]
	s_nop 0
	v_fma_f64 v[158:159], -v[150:151], v[156:157], 1.0
	v_fmac_f64_e32 v[156:157], v[156:157], v[158:159]
	v_fma_f64 v[158:159], -v[150:151], v[156:157], 1.0
	v_fmac_f64_e32 v[156:157], v[156:157], v[158:159]
	v_div_scale_f64 v[158:159], vcc, 1.0, v[230:231], 1.0
	v_mul_f64 v[220:221], v[158:159], v[156:157]
	v_fma_f64 v[150:151], -v[150:151], v[220:221], v[158:159]
	s_nop 1
	v_div_fmas_f64 v[150:151], v[150:151], v[156:157], v[220:221]
	v_div_fixup_f64 v[230:231], v[150:151], v[230:231], 1.0
	v_mul_f64 v[228:229], v[148:149], v[230:231]
	v_xor_b32_e32 v231, 0x80000000, v231
.LBB112_343:
	s_andn2_saveexec_b64 s[16:17], s[16:17]
	s_cbranch_execz .LBB112_345
; %bb.344:
	v_div_scale_f64 v[148:149], s[18:19], v[228:229], v[228:229], v[230:231]
	v_rcp_f64_e32 v[150:151], v[148:149]
	v_div_scale_f64 v[156:157], vcc, v[230:231], v[228:229], v[230:231]
	v_fma_f64 v[158:159], -v[148:149], v[150:151], 1.0
	v_fmac_f64_e32 v[150:151], v[150:151], v[158:159]
	v_fma_f64 v[158:159], -v[148:149], v[150:151], 1.0
	v_fmac_f64_e32 v[150:151], v[150:151], v[158:159]
	v_mul_f64 v[158:159], v[156:157], v[150:151]
	v_fma_f64 v[148:149], -v[148:149], v[158:159], v[156:157]
	v_div_fmas_f64 v[148:149], v[148:149], v[150:151], v[158:159]
	v_div_fixup_f64 v[148:149], v[148:149], v[228:229], v[230:231]
	v_fmac_f64_e32 v[228:229], v[230:231], v[148:149]
	v_div_scale_f64 v[150:151], s[18:19], v[228:229], v[228:229], 1.0
	v_rcp_f64_e32 v[156:157], v[150:151]
	s_nop 0
	v_fma_f64 v[158:159], -v[150:151], v[156:157], 1.0
	v_fmac_f64_e32 v[156:157], v[156:157], v[158:159]
	v_fma_f64 v[158:159], -v[150:151], v[156:157], 1.0
	v_fmac_f64_e32 v[156:157], v[156:157], v[158:159]
	v_div_scale_f64 v[158:159], vcc, 1.0, v[228:229], 1.0
	v_mul_f64 v[220:221], v[158:159], v[156:157]
	v_fma_f64 v[150:151], -v[150:151], v[220:221], v[158:159]
	s_nop 1
	v_div_fmas_f64 v[150:151], v[150:151], v[156:157], v[220:221]
	v_div_fixup_f64 v[228:229], v[150:151], v[228:229], 1.0
	v_mul_f64 v[230:231], v[148:149], -v[228:229]
.LBB112_345:
	s_or_b64 exec, exec, s[16:17]
.LBB112_346:
	s_or_b64 exec, exec, s[0:1]
	v_cmp_ne_u32_e32 vcc, v241, v238
	s_and_saveexec_b64 s[0:1], vcc
	s_xor_b64 s[0:1], exec, s[0:1]
	s_cbranch_execz .LBB112_352
; %bb.347:
	v_cmp_eq_u32_e32 vcc, 16, v241
	s_and_saveexec_b64 s[16:17], vcc
	s_cbranch_execz .LBB112_351
; %bb.348:
	v_cmp_ne_u32_e32 vcc, 16, v238
	s_xor_b64 s[18:19], s[14:15], -1
	s_and_b64 s[22:23], s[18:19], vcc
	s_and_saveexec_b64 s[18:19], s[22:23]
	s_cbranch_execz .LBB112_350
; %bb.349:
	v_ashrrev_i32_e32 v239, 31, v238
	v_lshl_add_u64 v[148:149], v[238:239], 2, v[8:9]
	global_load_dword v150, v[148:149], off
	global_load_dword v151, v[8:9], off offset:64
	s_waitcnt vmcnt(1)
	global_store_dword v[8:9], v150, off offset:64
	s_waitcnt vmcnt(1)
	global_store_dword v[148:149], v151, off
.LBB112_350:
	s_or_b64 exec, exec, s[18:19]
	v_mov_b32_e32 v241, v238
	v_mov_b32_e32 v236, v238
.LBB112_351:
	s_or_b64 exec, exec, s[16:17]
.LBB112_352:
	s_andn2_saveexec_b64 s[0:1], s[0:1]
	s_cbranch_execz .LBB112_354
; %bb.353:
	v_mov_b32_e32 v241, 16
	ds_write2_b64 v240, v[160:161], v[162:163] offset0:34 offset1:35
	ds_write2_b64 v240, v[152:153], v[154:155] offset0:36 offset1:37
	;; [unrolled: 1-line block ×40, first 2 shown]
.LBB112_354:
	s_or_b64 exec, exec, s[0:1]
	v_cmp_lt_i32_e32 vcc, 16, v241
	s_waitcnt lgkmcnt(0)
	s_barrier
	s_and_saveexec_b64 s[0:1], vcc
	s_cbranch_execz .LBB112_356
; %bb.355:
	ds_read2_b64 v[244:247], v240 offset0:34 offset1:35
	v_mul_f64 v[148:149], v[230:231], v[166:167]
	v_mul_f64 v[166:167], v[228:229], v[166:167]
	v_fma_f64 v[238:239], v[228:229], v[164:165], -v[148:149]
	v_fmac_f64_e32 v[166:167], v[230:231], v[164:165]
	ds_read2_b64 v[228:231], v240 offset0:36 offset1:37
	s_waitcnt lgkmcnt(1)
	v_mul_f64 v[148:149], v[246:247], v[166:167]
	v_mul_f64 v[150:151], v[244:245], v[166:167]
	v_fma_f64 v[148:149], v[244:245], v[238:239], -v[148:149]
	v_fmac_f64_e32 v[150:151], v[246:247], v[238:239]
	ds_read2_b64 v[244:247], v240 offset0:38 offset1:39
	v_add_f64 v[160:161], v[160:161], -v[148:149]
	v_add_f64 v[162:163], v[162:163], -v[150:151]
	s_waitcnt lgkmcnt(1)
	v_mul_f64 v[148:149], v[230:231], v[166:167]
	v_mul_f64 v[150:151], v[228:229], v[166:167]
	v_fma_f64 v[148:149], v[228:229], v[238:239], -v[148:149]
	v_fmac_f64_e32 v[150:151], v[230:231], v[238:239]
	ds_read2_b64 v[228:231], v240 offset0:40 offset1:41
	v_add_f64 v[152:153], v[152:153], -v[148:149]
	v_add_f64 v[154:155], v[154:155], -v[150:151]
	;; [unrolled: 8-line block ×38, first 2 shown]
	s_waitcnt lgkmcnt(1)
	v_mul_f64 v[148:149], v[246:247], v[166:167]
	v_mul_f64 v[150:151], v[244:245], v[166:167]
	v_fma_f64 v[148:149], v[244:245], v[238:239], -v[148:149]
	v_fmac_f64_e32 v[150:151], v[246:247], v[238:239]
	v_add_f64 v[250:251], v[250:251], -v[148:149]
	v_add_f64 v[252:253], v[252:253], -v[150:151]
	s_waitcnt lgkmcnt(0)
	v_mul_f64 v[148:149], v[230:231], v[166:167]
	v_mul_f64 v[150:151], v[228:229], v[166:167]
	v_fma_f64 v[148:149], v[228:229], v[238:239], -v[148:149]
	v_fmac_f64_e32 v[150:151], v[230:231], v[238:239]
	v_add_f64 v[224:225], v[224:225], -v[148:149]
	v_add_f64 v[226:227], v[226:227], -v[150:151]
	v_mov_b64_e32 v[164:165], v[238:239]
.LBB112_356:
	s_or_b64 exec, exec, s[0:1]
	v_lshl_add_u32 v148, v241, 4, v240
	s_barrier
	ds_write2_b64 v148, v[160:161], v[162:163] offset1:1
	s_waitcnt lgkmcnt(0)
	s_barrier
	ds_read2_b64 v[228:231], v240 offset0:34 offset1:35
	s_cmp_lt_i32 s20, 19
	v_mov_b32_e32 v238, 17
	s_cbranch_scc1 .LBB112_359
; %bb.357:
	v_add_u32_e32 v239, 0x120, v240
	s_mov_b32 s0, 18
	v_mov_b32_e32 v238, 17
.LBB112_358:                            ; =>This Inner Loop Header: Depth=1
	ds_read2_b64 v[244:247], v239 offset1:1
	s_waitcnt lgkmcnt(1)
	v_cmp_gt_f64_e32 vcc, 0, v[228:229]
	v_xor_b32_e32 v148, 0x80000000, v229
	v_xor_b32_e32 v150, 0x80000000, v231
	v_cndmask_b32_e32 v149, v229, v148, vcc
	v_cmp_gt_f64_e32 vcc, 0, v[230:231]
	v_mov_b32_e32 v148, v228
	s_waitcnt lgkmcnt(0)
	v_xor_b32_e32 v156, 0x80000000, v247
	v_cndmask_b32_e32 v151, v231, v150, vcc
	v_mov_b32_e32 v150, v230
	v_add_f64 v[148:149], v[148:149], v[150:151]
	v_cmp_gt_f64_e32 vcc, 0, v[244:245]
	v_xor_b32_e32 v150, 0x80000000, v245
	v_add_u32_e32 v239, 16, v239
	v_cndmask_b32_e32 v151, v245, v150, vcc
	v_cmp_gt_f64_e32 vcc, 0, v[246:247]
	v_mov_b32_e32 v150, v244
	s_nop 0
	v_cndmask_b32_e32 v157, v247, v156, vcc
	v_mov_b32_e32 v156, v246
	v_add_f64 v[150:151], v[150:151], v[156:157]
	v_cmp_lt_f64_e32 vcc, v[148:149], v[150:151]
	v_mov_b32_e32 v148, s0
	s_add_i32 s0, s0, 1
	v_cndmask_b32_e32 v229, v229, v245, vcc
	v_cndmask_b32_e32 v228, v228, v244, vcc
	;; [unrolled: 1-line block ×5, first 2 shown]
	s_cmp_lg_u32 s20, s0
	s_cbranch_scc1 .LBB112_358
.LBB112_359:
	s_waitcnt lgkmcnt(0)
	v_cmp_eq_f64_e32 vcc, 0, v[228:229]
	v_cmp_eq_f64_e64 s[0:1], 0, v[230:231]
	s_and_b64 s[0:1], vcc, s[0:1]
	s_and_saveexec_b64 s[16:17], s[0:1]
	s_xor_b64 s[0:1], exec, s[16:17]
; %bb.360:
	v_cmp_ne_u32_e32 vcc, 0, v242
	s_nop 1
	v_cndmask_b32_e32 v242, 18, v242, vcc
; %bb.361:
	s_andn2_saveexec_b64 s[0:1], s[0:1]
	s_cbranch_execz .LBB112_367
; %bb.362:
	v_cmp_ngt_f64_e64 s[16:17], |v[228:229]|, |v[230:231]|
	s_and_saveexec_b64 s[18:19], s[16:17]
	s_xor_b64 s[16:17], exec, s[18:19]
	s_cbranch_execz .LBB112_364
; %bb.363:
	v_div_scale_f64 v[148:149], s[18:19], v[230:231], v[230:231], v[228:229]
	v_rcp_f64_e32 v[150:151], v[148:149]
	v_div_scale_f64 v[156:157], vcc, v[228:229], v[230:231], v[228:229]
	v_fma_f64 v[158:159], -v[148:149], v[150:151], 1.0
	v_fmac_f64_e32 v[150:151], v[150:151], v[158:159]
	v_fma_f64 v[158:159], -v[148:149], v[150:151], 1.0
	v_fmac_f64_e32 v[150:151], v[150:151], v[158:159]
	v_mul_f64 v[158:159], v[156:157], v[150:151]
	v_fma_f64 v[148:149], -v[148:149], v[158:159], v[156:157]
	v_div_fmas_f64 v[148:149], v[148:149], v[150:151], v[158:159]
	v_div_fixup_f64 v[148:149], v[148:149], v[230:231], v[228:229]
	v_fmac_f64_e32 v[230:231], v[228:229], v[148:149]
	v_div_scale_f64 v[150:151], s[18:19], v[230:231], v[230:231], 1.0
	v_rcp_f64_e32 v[156:157], v[150:151]
	s_nop 0
	v_fma_f64 v[158:159], -v[150:151], v[156:157], 1.0
	v_fmac_f64_e32 v[156:157], v[156:157], v[158:159]
	v_fma_f64 v[158:159], -v[150:151], v[156:157], 1.0
	v_fmac_f64_e32 v[156:157], v[156:157], v[158:159]
	v_div_scale_f64 v[158:159], vcc, 1.0, v[230:231], 1.0
	v_mul_f64 v[220:221], v[158:159], v[156:157]
	v_fma_f64 v[150:151], -v[150:151], v[220:221], v[158:159]
	s_nop 1
	v_div_fmas_f64 v[150:151], v[150:151], v[156:157], v[220:221]
	v_div_fixup_f64 v[230:231], v[150:151], v[230:231], 1.0
	v_mul_f64 v[228:229], v[148:149], v[230:231]
	v_xor_b32_e32 v231, 0x80000000, v231
.LBB112_364:
	s_andn2_saveexec_b64 s[16:17], s[16:17]
	s_cbranch_execz .LBB112_366
; %bb.365:
	v_div_scale_f64 v[148:149], s[18:19], v[228:229], v[228:229], v[230:231]
	v_rcp_f64_e32 v[150:151], v[148:149]
	v_div_scale_f64 v[156:157], vcc, v[230:231], v[228:229], v[230:231]
	v_fma_f64 v[158:159], -v[148:149], v[150:151], 1.0
	v_fmac_f64_e32 v[150:151], v[150:151], v[158:159]
	v_fma_f64 v[158:159], -v[148:149], v[150:151], 1.0
	v_fmac_f64_e32 v[150:151], v[150:151], v[158:159]
	v_mul_f64 v[158:159], v[156:157], v[150:151]
	v_fma_f64 v[148:149], -v[148:149], v[158:159], v[156:157]
	v_div_fmas_f64 v[148:149], v[148:149], v[150:151], v[158:159]
	v_div_fixup_f64 v[148:149], v[148:149], v[228:229], v[230:231]
	v_fmac_f64_e32 v[228:229], v[230:231], v[148:149]
	v_div_scale_f64 v[150:151], s[18:19], v[228:229], v[228:229], 1.0
	v_rcp_f64_e32 v[156:157], v[150:151]
	s_nop 0
	v_fma_f64 v[158:159], -v[150:151], v[156:157], 1.0
	v_fmac_f64_e32 v[156:157], v[156:157], v[158:159]
	v_fma_f64 v[158:159], -v[150:151], v[156:157], 1.0
	v_fmac_f64_e32 v[156:157], v[156:157], v[158:159]
	v_div_scale_f64 v[158:159], vcc, 1.0, v[228:229], 1.0
	v_mul_f64 v[220:221], v[158:159], v[156:157]
	v_fma_f64 v[150:151], -v[150:151], v[220:221], v[158:159]
	s_nop 1
	v_div_fmas_f64 v[150:151], v[150:151], v[156:157], v[220:221]
	v_div_fixup_f64 v[228:229], v[150:151], v[228:229], 1.0
	v_mul_f64 v[230:231], v[148:149], -v[228:229]
.LBB112_366:
	s_or_b64 exec, exec, s[16:17]
.LBB112_367:
	s_or_b64 exec, exec, s[0:1]
	v_cmp_ne_u32_e32 vcc, v241, v238
	s_and_saveexec_b64 s[0:1], vcc
	s_xor_b64 s[0:1], exec, s[0:1]
	s_cbranch_execz .LBB112_373
; %bb.368:
	v_cmp_eq_u32_e32 vcc, 17, v241
	s_and_saveexec_b64 s[16:17], vcc
	s_cbranch_execz .LBB112_372
; %bb.369:
	v_cmp_ne_u32_e32 vcc, 17, v238
	s_xor_b64 s[18:19], s[14:15], -1
	s_and_b64 s[22:23], s[18:19], vcc
	s_and_saveexec_b64 s[18:19], s[22:23]
	s_cbranch_execz .LBB112_371
; %bb.370:
	v_ashrrev_i32_e32 v239, 31, v238
	v_lshl_add_u64 v[148:149], v[238:239], 2, v[8:9]
	global_load_dword v150, v[148:149], off
	global_load_dword v151, v[8:9], off offset:68
	s_waitcnt vmcnt(1)
	global_store_dword v[8:9], v150, off offset:68
	s_waitcnt vmcnt(1)
	global_store_dword v[148:149], v151, off
.LBB112_371:
	s_or_b64 exec, exec, s[18:19]
	v_mov_b32_e32 v241, v238
	v_mov_b32_e32 v236, v238
.LBB112_372:
	s_or_b64 exec, exec, s[16:17]
.LBB112_373:
	s_andn2_saveexec_b64 s[0:1], s[0:1]
	s_cbranch_execz .LBB112_375
; %bb.374:
	v_mov_b32_e32 v241, 17
	ds_write2_b64 v240, v[152:153], v[154:155] offset0:36 offset1:37
	ds_write2_b64 v240, v[144:145], v[146:147] offset0:38 offset1:39
	;; [unrolled: 1-line block ×39, first 2 shown]
.LBB112_375:
	s_or_b64 exec, exec, s[0:1]
	v_cmp_lt_i32_e32 vcc, 17, v241
	s_waitcnt lgkmcnt(0)
	s_barrier
	s_and_saveexec_b64 s[0:1], vcc
	s_cbranch_execz .LBB112_377
; %bb.376:
	ds_read2_b64 v[244:247], v240 offset0:36 offset1:37
	v_mul_f64 v[148:149], v[230:231], v[162:163]
	v_mul_f64 v[162:163], v[228:229], v[162:163]
	v_fma_f64 v[238:239], v[228:229], v[160:161], -v[148:149]
	v_fmac_f64_e32 v[162:163], v[230:231], v[160:161]
	ds_read2_b64 v[228:231], v240 offset0:38 offset1:39
	s_waitcnt lgkmcnt(1)
	v_mul_f64 v[148:149], v[246:247], v[162:163]
	v_mul_f64 v[150:151], v[244:245], v[162:163]
	v_fma_f64 v[148:149], v[244:245], v[238:239], -v[148:149]
	v_fmac_f64_e32 v[150:151], v[246:247], v[238:239]
	ds_read2_b64 v[244:247], v240 offset0:40 offset1:41
	v_add_f64 v[152:153], v[152:153], -v[148:149]
	v_add_f64 v[154:155], v[154:155], -v[150:151]
	s_waitcnt lgkmcnt(1)
	v_mul_f64 v[148:149], v[230:231], v[162:163]
	v_mul_f64 v[150:151], v[228:229], v[162:163]
	v_fma_f64 v[148:149], v[228:229], v[238:239], -v[148:149]
	v_fmac_f64_e32 v[150:151], v[230:231], v[238:239]
	ds_read2_b64 v[228:231], v240 offset0:42 offset1:43
	v_add_f64 v[144:145], v[144:145], -v[148:149]
	v_add_f64 v[146:147], v[146:147], -v[150:151]
	;; [unrolled: 8-line block ×37, first 2 shown]
	s_waitcnt lgkmcnt(1)
	v_mul_f64 v[148:149], v[230:231], v[162:163]
	v_mul_f64 v[150:151], v[228:229], v[162:163]
	v_fma_f64 v[148:149], v[228:229], v[238:239], -v[148:149]
	v_fmac_f64_e32 v[150:151], v[230:231], v[238:239]
	v_add_f64 v[250:251], v[250:251], -v[148:149]
	v_add_f64 v[252:253], v[252:253], -v[150:151]
	s_waitcnt lgkmcnt(0)
	v_mul_f64 v[148:149], v[246:247], v[162:163]
	v_mul_f64 v[150:151], v[244:245], v[162:163]
	v_fma_f64 v[148:149], v[244:245], v[238:239], -v[148:149]
	v_fmac_f64_e32 v[150:151], v[246:247], v[238:239]
	v_add_f64 v[224:225], v[224:225], -v[148:149]
	v_add_f64 v[226:227], v[226:227], -v[150:151]
	v_mov_b64_e32 v[160:161], v[238:239]
.LBB112_377:
	s_or_b64 exec, exec, s[0:1]
	v_lshl_add_u32 v148, v241, 4, v240
	s_barrier
	ds_write2_b64 v148, v[152:153], v[154:155] offset1:1
	s_waitcnt lgkmcnt(0)
	s_barrier
	ds_read2_b64 v[228:231], v240 offset0:36 offset1:37
	s_cmp_lt_i32 s20, 20
	v_mov_b32_e32 v238, 18
	s_cbranch_scc1 .LBB112_380
; %bb.378:
	v_add_u32_e32 v239, 0x130, v240
	s_mov_b32 s0, 19
	v_mov_b32_e32 v238, 18
.LBB112_379:                            ; =>This Inner Loop Header: Depth=1
	ds_read2_b64 v[244:247], v239 offset1:1
	s_waitcnt lgkmcnt(1)
	v_cmp_gt_f64_e32 vcc, 0, v[228:229]
	v_xor_b32_e32 v148, 0x80000000, v229
	v_xor_b32_e32 v150, 0x80000000, v231
	v_cndmask_b32_e32 v149, v229, v148, vcc
	v_cmp_gt_f64_e32 vcc, 0, v[230:231]
	v_mov_b32_e32 v148, v228
	s_waitcnt lgkmcnt(0)
	v_xor_b32_e32 v156, 0x80000000, v247
	v_cndmask_b32_e32 v151, v231, v150, vcc
	v_mov_b32_e32 v150, v230
	v_add_f64 v[148:149], v[148:149], v[150:151]
	v_cmp_gt_f64_e32 vcc, 0, v[244:245]
	v_xor_b32_e32 v150, 0x80000000, v245
	v_add_u32_e32 v239, 16, v239
	v_cndmask_b32_e32 v151, v245, v150, vcc
	v_cmp_gt_f64_e32 vcc, 0, v[246:247]
	v_mov_b32_e32 v150, v244
	s_nop 0
	v_cndmask_b32_e32 v157, v247, v156, vcc
	v_mov_b32_e32 v156, v246
	v_add_f64 v[150:151], v[150:151], v[156:157]
	v_cmp_lt_f64_e32 vcc, v[148:149], v[150:151]
	v_mov_b32_e32 v148, s0
	s_add_i32 s0, s0, 1
	v_cndmask_b32_e32 v229, v229, v245, vcc
	v_cndmask_b32_e32 v228, v228, v244, vcc
	;; [unrolled: 1-line block ×5, first 2 shown]
	s_cmp_lg_u32 s20, s0
	s_cbranch_scc1 .LBB112_379
.LBB112_380:
	s_waitcnt lgkmcnt(0)
	v_cmp_eq_f64_e32 vcc, 0, v[228:229]
	v_cmp_eq_f64_e64 s[0:1], 0, v[230:231]
	s_and_b64 s[0:1], vcc, s[0:1]
	s_and_saveexec_b64 s[16:17], s[0:1]
	s_xor_b64 s[0:1], exec, s[16:17]
; %bb.381:
	v_cmp_ne_u32_e32 vcc, 0, v242
	s_nop 1
	v_cndmask_b32_e32 v242, 19, v242, vcc
; %bb.382:
	s_andn2_saveexec_b64 s[0:1], s[0:1]
	s_cbranch_execz .LBB112_388
; %bb.383:
	v_cmp_ngt_f64_e64 s[16:17], |v[228:229]|, |v[230:231]|
	s_and_saveexec_b64 s[18:19], s[16:17]
	s_xor_b64 s[16:17], exec, s[18:19]
	s_cbranch_execz .LBB112_385
; %bb.384:
	v_div_scale_f64 v[148:149], s[18:19], v[230:231], v[230:231], v[228:229]
	v_rcp_f64_e32 v[150:151], v[148:149]
	v_div_scale_f64 v[156:157], vcc, v[228:229], v[230:231], v[228:229]
	v_fma_f64 v[158:159], -v[148:149], v[150:151], 1.0
	v_fmac_f64_e32 v[150:151], v[150:151], v[158:159]
	v_fma_f64 v[158:159], -v[148:149], v[150:151], 1.0
	v_fmac_f64_e32 v[150:151], v[150:151], v[158:159]
	v_mul_f64 v[158:159], v[156:157], v[150:151]
	v_fma_f64 v[148:149], -v[148:149], v[158:159], v[156:157]
	v_div_fmas_f64 v[148:149], v[148:149], v[150:151], v[158:159]
	v_div_fixup_f64 v[148:149], v[148:149], v[230:231], v[228:229]
	v_fmac_f64_e32 v[230:231], v[228:229], v[148:149]
	v_div_scale_f64 v[150:151], s[18:19], v[230:231], v[230:231], 1.0
	v_rcp_f64_e32 v[156:157], v[150:151]
	s_nop 0
	v_fma_f64 v[158:159], -v[150:151], v[156:157], 1.0
	v_fmac_f64_e32 v[156:157], v[156:157], v[158:159]
	v_fma_f64 v[158:159], -v[150:151], v[156:157], 1.0
	v_fmac_f64_e32 v[156:157], v[156:157], v[158:159]
	v_div_scale_f64 v[158:159], vcc, 1.0, v[230:231], 1.0
	v_mul_f64 v[220:221], v[158:159], v[156:157]
	v_fma_f64 v[150:151], -v[150:151], v[220:221], v[158:159]
	s_nop 1
	v_div_fmas_f64 v[150:151], v[150:151], v[156:157], v[220:221]
	v_div_fixup_f64 v[230:231], v[150:151], v[230:231], 1.0
	v_mul_f64 v[228:229], v[148:149], v[230:231]
	v_xor_b32_e32 v231, 0x80000000, v231
.LBB112_385:
	s_andn2_saveexec_b64 s[16:17], s[16:17]
	s_cbranch_execz .LBB112_387
; %bb.386:
	v_div_scale_f64 v[148:149], s[18:19], v[228:229], v[228:229], v[230:231]
	v_rcp_f64_e32 v[150:151], v[148:149]
	v_div_scale_f64 v[156:157], vcc, v[230:231], v[228:229], v[230:231]
	v_fma_f64 v[158:159], -v[148:149], v[150:151], 1.0
	v_fmac_f64_e32 v[150:151], v[150:151], v[158:159]
	v_fma_f64 v[158:159], -v[148:149], v[150:151], 1.0
	v_fmac_f64_e32 v[150:151], v[150:151], v[158:159]
	v_mul_f64 v[158:159], v[156:157], v[150:151]
	v_fma_f64 v[148:149], -v[148:149], v[158:159], v[156:157]
	v_div_fmas_f64 v[148:149], v[148:149], v[150:151], v[158:159]
	v_div_fixup_f64 v[148:149], v[148:149], v[228:229], v[230:231]
	v_fmac_f64_e32 v[228:229], v[230:231], v[148:149]
	v_div_scale_f64 v[150:151], s[18:19], v[228:229], v[228:229], 1.0
	v_rcp_f64_e32 v[156:157], v[150:151]
	s_nop 0
	v_fma_f64 v[158:159], -v[150:151], v[156:157], 1.0
	v_fmac_f64_e32 v[156:157], v[156:157], v[158:159]
	v_fma_f64 v[158:159], -v[150:151], v[156:157], 1.0
	v_fmac_f64_e32 v[156:157], v[156:157], v[158:159]
	v_div_scale_f64 v[158:159], vcc, 1.0, v[228:229], 1.0
	v_mul_f64 v[220:221], v[158:159], v[156:157]
	v_fma_f64 v[150:151], -v[150:151], v[220:221], v[158:159]
	s_nop 1
	v_div_fmas_f64 v[150:151], v[150:151], v[156:157], v[220:221]
	v_div_fixup_f64 v[228:229], v[150:151], v[228:229], 1.0
	v_mul_f64 v[230:231], v[148:149], -v[228:229]
.LBB112_387:
	s_or_b64 exec, exec, s[16:17]
.LBB112_388:
	s_or_b64 exec, exec, s[0:1]
	v_cmp_ne_u32_e32 vcc, v241, v238
	s_and_saveexec_b64 s[0:1], vcc
	s_xor_b64 s[0:1], exec, s[0:1]
	s_cbranch_execz .LBB112_394
; %bb.389:
	v_cmp_eq_u32_e32 vcc, 18, v241
	s_and_saveexec_b64 s[16:17], vcc
	s_cbranch_execz .LBB112_393
; %bb.390:
	v_cmp_ne_u32_e32 vcc, 18, v238
	s_xor_b64 s[18:19], s[14:15], -1
	s_and_b64 s[22:23], s[18:19], vcc
	s_and_saveexec_b64 s[18:19], s[22:23]
	s_cbranch_execz .LBB112_392
; %bb.391:
	v_ashrrev_i32_e32 v239, 31, v238
	v_lshl_add_u64 v[148:149], v[238:239], 2, v[8:9]
	global_load_dword v150, v[148:149], off
	global_load_dword v151, v[8:9], off offset:72
	s_waitcnt vmcnt(1)
	global_store_dword v[8:9], v150, off offset:72
	s_waitcnt vmcnt(1)
	global_store_dword v[148:149], v151, off
.LBB112_392:
	s_or_b64 exec, exec, s[18:19]
	v_mov_b32_e32 v241, v238
	v_mov_b32_e32 v236, v238
.LBB112_393:
	s_or_b64 exec, exec, s[16:17]
.LBB112_394:
	s_andn2_saveexec_b64 s[0:1], s[0:1]
	s_cbranch_execz .LBB112_396
; %bb.395:
	v_mov_b32_e32 v241, 18
	ds_write2_b64 v240, v[144:145], v[146:147] offset0:38 offset1:39
	ds_write2_b64 v240, v[140:141], v[142:143] offset0:40 offset1:41
	;; [unrolled: 1-line block ×38, first 2 shown]
.LBB112_396:
	s_or_b64 exec, exec, s[0:1]
	v_cmp_lt_i32_e32 vcc, 18, v241
	s_waitcnt lgkmcnt(0)
	s_barrier
	s_and_saveexec_b64 s[0:1], vcc
	s_cbranch_execz .LBB112_398
; %bb.397:
	ds_read2_b64 v[244:247], v240 offset0:38 offset1:39
	v_mul_f64 v[148:149], v[230:231], v[154:155]
	v_mul_f64 v[154:155], v[228:229], v[154:155]
	v_fma_f64 v[238:239], v[228:229], v[152:153], -v[148:149]
	v_fmac_f64_e32 v[154:155], v[230:231], v[152:153]
	ds_read2_b64 v[228:231], v240 offset0:40 offset1:41
	s_waitcnt lgkmcnt(1)
	v_mul_f64 v[148:149], v[246:247], v[154:155]
	v_mul_f64 v[150:151], v[244:245], v[154:155]
	v_fma_f64 v[148:149], v[244:245], v[238:239], -v[148:149]
	v_fmac_f64_e32 v[150:151], v[246:247], v[238:239]
	ds_read2_b64 v[244:247], v240 offset0:42 offset1:43
	v_add_f64 v[144:145], v[144:145], -v[148:149]
	v_add_f64 v[146:147], v[146:147], -v[150:151]
	s_waitcnt lgkmcnt(1)
	v_mul_f64 v[148:149], v[230:231], v[154:155]
	v_mul_f64 v[150:151], v[228:229], v[154:155]
	v_fma_f64 v[148:149], v[228:229], v[238:239], -v[148:149]
	v_fmac_f64_e32 v[150:151], v[230:231], v[238:239]
	ds_read2_b64 v[228:231], v240 offset0:44 offset1:45
	v_add_f64 v[140:141], v[140:141], -v[148:149]
	v_add_f64 v[142:143], v[142:143], -v[150:151]
	s_waitcnt lgkmcnt(1)
	v_mul_f64 v[148:149], v[246:247], v[154:155]
	v_mul_f64 v[150:151], v[244:245], v[154:155]
	v_fma_f64 v[148:149], v[244:245], v[238:239], -v[148:149]
	v_fmac_f64_e32 v[150:151], v[246:247], v[238:239]
	ds_read2_b64 v[244:247], v240 offset0:46 offset1:47
	v_add_f64 v[136:137], v[136:137], -v[148:149]
	v_add_f64 v[138:139], v[138:139], -v[150:151]
	s_waitcnt lgkmcnt(1)
	v_mul_f64 v[148:149], v[230:231], v[154:155]
	v_mul_f64 v[150:151], v[228:229], v[154:155]
	v_fma_f64 v[148:149], v[228:229], v[238:239], -v[148:149]
	v_fmac_f64_e32 v[150:151], v[230:231], v[238:239]
	ds_read2_b64 v[228:231], v240 offset0:48 offset1:49
	v_add_f64 v[132:133], v[132:133], -v[148:149]
	v_add_f64 v[134:135], v[134:135], -v[150:151]
	s_waitcnt lgkmcnt(1)
	v_mul_f64 v[148:149], v[246:247], v[154:155]
	v_mul_f64 v[150:151], v[244:245], v[154:155]
	v_fma_f64 v[148:149], v[244:245], v[238:239], -v[148:149]
	v_fmac_f64_e32 v[150:151], v[246:247], v[238:239]
	ds_read2_b64 v[244:247], v240 offset0:50 offset1:51
	v_add_f64 v[128:129], v[128:129], -v[148:149]
	v_add_f64 v[130:131], v[130:131], -v[150:151]
	s_waitcnt lgkmcnt(1)
	v_mul_f64 v[148:149], v[230:231], v[154:155]
	v_mul_f64 v[150:151], v[228:229], v[154:155]
	v_fma_f64 v[148:149], v[228:229], v[238:239], -v[148:149]
	v_fmac_f64_e32 v[150:151], v[230:231], v[238:239]
	ds_read2_b64 v[228:231], v240 offset0:52 offset1:53
	v_add_f64 v[124:125], v[124:125], -v[148:149]
	v_add_f64 v[126:127], v[126:127], -v[150:151]
	s_waitcnt lgkmcnt(1)
	v_mul_f64 v[148:149], v[246:247], v[154:155]
	v_mul_f64 v[150:151], v[244:245], v[154:155]
	v_fma_f64 v[148:149], v[244:245], v[238:239], -v[148:149]
	v_fmac_f64_e32 v[150:151], v[246:247], v[238:239]
	ds_read2_b64 v[244:247], v240 offset0:54 offset1:55
	v_add_f64 v[120:121], v[120:121], -v[148:149]
	v_add_f64 v[122:123], v[122:123], -v[150:151]
	s_waitcnt lgkmcnt(1)
	v_mul_f64 v[148:149], v[230:231], v[154:155]
	v_mul_f64 v[150:151], v[228:229], v[154:155]
	v_fma_f64 v[148:149], v[228:229], v[238:239], -v[148:149]
	v_fmac_f64_e32 v[150:151], v[230:231], v[238:239]
	ds_read2_b64 v[228:231], v240 offset0:56 offset1:57
	v_add_f64 v[116:117], v[116:117], -v[148:149]
	v_add_f64 v[118:119], v[118:119], -v[150:151]
	s_waitcnt lgkmcnt(1)
	v_mul_f64 v[148:149], v[246:247], v[154:155]
	v_mul_f64 v[150:151], v[244:245], v[154:155]
	v_fma_f64 v[148:149], v[244:245], v[238:239], -v[148:149]
	v_fmac_f64_e32 v[150:151], v[246:247], v[238:239]
	ds_read2_b64 v[244:247], v240 offset0:58 offset1:59
	v_add_f64 v[112:113], v[112:113], -v[148:149]
	v_add_f64 v[114:115], v[114:115], -v[150:151]
	s_waitcnt lgkmcnt(1)
	v_mul_f64 v[148:149], v[230:231], v[154:155]
	v_mul_f64 v[150:151], v[228:229], v[154:155]
	v_fma_f64 v[148:149], v[228:229], v[238:239], -v[148:149]
	v_fmac_f64_e32 v[150:151], v[230:231], v[238:239]
	ds_read2_b64 v[228:231], v240 offset0:60 offset1:61
	v_add_f64 v[108:109], v[108:109], -v[148:149]
	v_add_f64 v[110:111], v[110:111], -v[150:151]
	s_waitcnt lgkmcnt(1)
	v_mul_f64 v[148:149], v[246:247], v[154:155]
	v_mul_f64 v[150:151], v[244:245], v[154:155]
	v_fma_f64 v[148:149], v[244:245], v[238:239], -v[148:149]
	v_fmac_f64_e32 v[150:151], v[246:247], v[238:239]
	ds_read2_b64 v[244:247], v240 offset0:62 offset1:63
	v_add_f64 v[104:105], v[104:105], -v[148:149]
	v_add_f64 v[106:107], v[106:107], -v[150:151]
	s_waitcnt lgkmcnt(1)
	v_mul_f64 v[148:149], v[230:231], v[154:155]
	v_mul_f64 v[150:151], v[228:229], v[154:155]
	v_fma_f64 v[148:149], v[228:229], v[238:239], -v[148:149]
	v_fmac_f64_e32 v[150:151], v[230:231], v[238:239]
	ds_read2_b64 v[228:231], v240 offset0:64 offset1:65
	v_add_f64 v[100:101], v[100:101], -v[148:149]
	v_add_f64 v[102:103], v[102:103], -v[150:151]
	s_waitcnt lgkmcnt(1)
	v_mul_f64 v[148:149], v[246:247], v[154:155]
	v_mul_f64 v[150:151], v[244:245], v[154:155]
	v_fma_f64 v[148:149], v[244:245], v[238:239], -v[148:149]
	v_fmac_f64_e32 v[150:151], v[246:247], v[238:239]
	ds_read2_b64 v[244:247], v240 offset0:66 offset1:67
	v_add_f64 v[96:97], v[96:97], -v[148:149]
	v_add_f64 v[98:99], v[98:99], -v[150:151]
	s_waitcnt lgkmcnt(1)
	v_mul_f64 v[148:149], v[230:231], v[154:155]
	v_mul_f64 v[150:151], v[228:229], v[154:155]
	v_fma_f64 v[148:149], v[228:229], v[238:239], -v[148:149]
	v_fmac_f64_e32 v[150:151], v[230:231], v[238:239]
	ds_read2_b64 v[228:231], v240 offset0:68 offset1:69
	v_add_f64 v[92:93], v[92:93], -v[148:149]
	v_add_f64 v[94:95], v[94:95], -v[150:151]
	s_waitcnt lgkmcnt(1)
	v_mul_f64 v[148:149], v[246:247], v[154:155]
	v_mul_f64 v[150:151], v[244:245], v[154:155]
	v_fma_f64 v[148:149], v[244:245], v[238:239], -v[148:149]
	v_fmac_f64_e32 v[150:151], v[246:247], v[238:239]
	ds_read2_b64 v[244:247], v240 offset0:70 offset1:71
	v_add_f64 v[88:89], v[88:89], -v[148:149]
	v_add_f64 v[90:91], v[90:91], -v[150:151]
	s_waitcnt lgkmcnt(1)
	v_mul_f64 v[148:149], v[230:231], v[154:155]
	v_mul_f64 v[150:151], v[228:229], v[154:155]
	v_fma_f64 v[148:149], v[228:229], v[238:239], -v[148:149]
	v_fmac_f64_e32 v[150:151], v[230:231], v[238:239]
	ds_read2_b64 v[228:231], v240 offset0:72 offset1:73
	v_add_f64 v[84:85], v[84:85], -v[148:149]
	v_add_f64 v[86:87], v[86:87], -v[150:151]
	s_waitcnt lgkmcnt(1)
	v_mul_f64 v[148:149], v[246:247], v[154:155]
	v_mul_f64 v[150:151], v[244:245], v[154:155]
	v_fma_f64 v[148:149], v[244:245], v[238:239], -v[148:149]
	v_fmac_f64_e32 v[150:151], v[246:247], v[238:239]
	ds_read2_b64 v[244:247], v240 offset0:74 offset1:75
	v_add_f64 v[80:81], v[80:81], -v[148:149]
	v_add_f64 v[82:83], v[82:83], -v[150:151]
	s_waitcnt lgkmcnt(1)
	v_mul_f64 v[148:149], v[230:231], v[154:155]
	v_mul_f64 v[150:151], v[228:229], v[154:155]
	v_fma_f64 v[148:149], v[228:229], v[238:239], -v[148:149]
	v_fmac_f64_e32 v[150:151], v[230:231], v[238:239]
	ds_read2_b64 v[228:231], v240 offset0:76 offset1:77
	v_add_f64 v[76:77], v[76:77], -v[148:149]
	v_add_f64 v[78:79], v[78:79], -v[150:151]
	s_waitcnt lgkmcnt(1)
	v_mul_f64 v[148:149], v[246:247], v[154:155]
	v_mul_f64 v[150:151], v[244:245], v[154:155]
	v_fma_f64 v[148:149], v[244:245], v[238:239], -v[148:149]
	v_fmac_f64_e32 v[150:151], v[246:247], v[238:239]
	ds_read2_b64 v[244:247], v240 offset0:78 offset1:79
	v_add_f64 v[72:73], v[72:73], -v[148:149]
	v_add_f64 v[74:75], v[74:75], -v[150:151]
	s_waitcnt lgkmcnt(1)
	v_mul_f64 v[148:149], v[230:231], v[154:155]
	v_mul_f64 v[150:151], v[228:229], v[154:155]
	v_fma_f64 v[148:149], v[228:229], v[238:239], -v[148:149]
	v_fmac_f64_e32 v[150:151], v[230:231], v[238:239]
	ds_read2_b64 v[228:231], v240 offset0:80 offset1:81
	v_add_f64 v[68:69], v[68:69], -v[148:149]
	v_add_f64 v[70:71], v[70:71], -v[150:151]
	s_waitcnt lgkmcnt(1)
	v_mul_f64 v[148:149], v[246:247], v[154:155]
	v_mul_f64 v[150:151], v[244:245], v[154:155]
	v_fma_f64 v[148:149], v[244:245], v[238:239], -v[148:149]
	v_fmac_f64_e32 v[150:151], v[246:247], v[238:239]
	ds_read2_b64 v[244:247], v240 offset0:82 offset1:83
	v_add_f64 v[64:65], v[64:65], -v[148:149]
	v_add_f64 v[66:67], v[66:67], -v[150:151]
	s_waitcnt lgkmcnt(1)
	v_mul_f64 v[148:149], v[230:231], v[154:155]
	v_mul_f64 v[150:151], v[228:229], v[154:155]
	v_fma_f64 v[148:149], v[228:229], v[238:239], -v[148:149]
	v_fmac_f64_e32 v[150:151], v[230:231], v[238:239]
	ds_read2_b64 v[228:231], v240 offset0:84 offset1:85
	v_add_f64 v[60:61], v[60:61], -v[148:149]
	v_add_f64 v[62:63], v[62:63], -v[150:151]
	s_waitcnt lgkmcnt(1)
	v_mul_f64 v[148:149], v[246:247], v[154:155]
	v_mul_f64 v[150:151], v[244:245], v[154:155]
	v_fma_f64 v[148:149], v[244:245], v[238:239], -v[148:149]
	v_fmac_f64_e32 v[150:151], v[246:247], v[238:239]
	ds_read2_b64 v[244:247], v240 offset0:86 offset1:87
	v_add_f64 v[56:57], v[56:57], -v[148:149]
	v_add_f64 v[58:59], v[58:59], -v[150:151]
	s_waitcnt lgkmcnt(1)
	v_mul_f64 v[148:149], v[230:231], v[154:155]
	v_mul_f64 v[150:151], v[228:229], v[154:155]
	v_fma_f64 v[148:149], v[228:229], v[238:239], -v[148:149]
	v_fmac_f64_e32 v[150:151], v[230:231], v[238:239]
	ds_read2_b64 v[228:231], v240 offset0:88 offset1:89
	v_add_f64 v[52:53], v[52:53], -v[148:149]
	v_add_f64 v[54:55], v[54:55], -v[150:151]
	s_waitcnt lgkmcnt(1)
	v_mul_f64 v[148:149], v[246:247], v[154:155]
	v_mul_f64 v[150:151], v[244:245], v[154:155]
	v_fma_f64 v[148:149], v[244:245], v[238:239], -v[148:149]
	v_fmac_f64_e32 v[150:151], v[246:247], v[238:239]
	ds_read2_b64 v[244:247], v240 offset0:90 offset1:91
	v_add_f64 v[48:49], v[48:49], -v[148:149]
	v_add_f64 v[50:51], v[50:51], -v[150:151]
	s_waitcnt lgkmcnt(1)
	v_mul_f64 v[148:149], v[230:231], v[154:155]
	v_mul_f64 v[150:151], v[228:229], v[154:155]
	v_fma_f64 v[148:149], v[228:229], v[238:239], -v[148:149]
	v_fmac_f64_e32 v[150:151], v[230:231], v[238:239]
	ds_read2_b64 v[228:231], v240 offset0:92 offset1:93
	v_add_f64 v[44:45], v[44:45], -v[148:149]
	v_add_f64 v[46:47], v[46:47], -v[150:151]
	s_waitcnt lgkmcnt(1)
	v_mul_f64 v[148:149], v[246:247], v[154:155]
	v_mul_f64 v[150:151], v[244:245], v[154:155]
	v_fma_f64 v[148:149], v[244:245], v[238:239], -v[148:149]
	v_fmac_f64_e32 v[150:151], v[246:247], v[238:239]
	ds_read2_b64 v[244:247], v240 offset0:94 offset1:95
	v_add_f64 v[40:41], v[40:41], -v[148:149]
	v_add_f64 v[42:43], v[42:43], -v[150:151]
	s_waitcnt lgkmcnt(1)
	v_mul_f64 v[148:149], v[230:231], v[154:155]
	v_mul_f64 v[150:151], v[228:229], v[154:155]
	v_fma_f64 v[148:149], v[228:229], v[238:239], -v[148:149]
	v_fmac_f64_e32 v[150:151], v[230:231], v[238:239]
	ds_read2_b64 v[228:231], v240 offset0:96 offset1:97
	v_add_f64 v[36:37], v[36:37], -v[148:149]
	v_add_f64 v[38:39], v[38:39], -v[150:151]
	s_waitcnt lgkmcnt(1)
	v_mul_f64 v[148:149], v[246:247], v[154:155]
	v_mul_f64 v[150:151], v[244:245], v[154:155]
	v_fma_f64 v[148:149], v[244:245], v[238:239], -v[148:149]
	v_fmac_f64_e32 v[150:151], v[246:247], v[238:239]
	ds_read2_b64 v[244:247], v240 offset0:98 offset1:99
	v_add_f64 v[32:33], v[32:33], -v[148:149]
	v_add_f64 v[34:35], v[34:35], -v[150:151]
	s_waitcnt lgkmcnt(1)
	v_mul_f64 v[148:149], v[230:231], v[154:155]
	v_mul_f64 v[150:151], v[228:229], v[154:155]
	v_fma_f64 v[148:149], v[228:229], v[238:239], -v[148:149]
	v_fmac_f64_e32 v[150:151], v[230:231], v[238:239]
	ds_read2_b64 v[228:231], v240 offset0:100 offset1:101
	v_add_f64 v[28:29], v[28:29], -v[148:149]
	v_add_f64 v[30:31], v[30:31], -v[150:151]
	s_waitcnt lgkmcnt(1)
	v_mul_f64 v[148:149], v[246:247], v[154:155]
	v_mul_f64 v[150:151], v[244:245], v[154:155]
	v_fma_f64 v[148:149], v[244:245], v[238:239], -v[148:149]
	v_fmac_f64_e32 v[150:151], v[246:247], v[238:239]
	ds_read2_b64 v[244:247], v240 offset0:102 offset1:103
	v_add_f64 v[24:25], v[24:25], -v[148:149]
	v_add_f64 v[26:27], v[26:27], -v[150:151]
	s_waitcnt lgkmcnt(1)
	v_mul_f64 v[148:149], v[230:231], v[154:155]
	v_mul_f64 v[150:151], v[228:229], v[154:155]
	v_fma_f64 v[148:149], v[228:229], v[238:239], -v[148:149]
	v_fmac_f64_e32 v[150:151], v[230:231], v[238:239]
	ds_read2_b64 v[228:231], v240 offset0:104 offset1:105
	v_add_f64 v[20:21], v[20:21], -v[148:149]
	v_add_f64 v[22:23], v[22:23], -v[150:151]
	s_waitcnt lgkmcnt(1)
	v_mul_f64 v[148:149], v[246:247], v[154:155]
	v_mul_f64 v[150:151], v[244:245], v[154:155]
	v_fma_f64 v[148:149], v[244:245], v[238:239], -v[148:149]
	v_fmac_f64_e32 v[150:151], v[246:247], v[238:239]
	ds_read2_b64 v[244:247], v240 offset0:106 offset1:107
	v_add_f64 v[16:17], v[16:17], -v[148:149]
	v_add_f64 v[18:19], v[18:19], -v[150:151]
	s_waitcnt lgkmcnt(1)
	v_mul_f64 v[148:149], v[230:231], v[154:155]
	v_mul_f64 v[150:151], v[228:229], v[154:155]
	v_fma_f64 v[148:149], v[228:229], v[238:239], -v[148:149]
	v_fmac_f64_e32 v[150:151], v[230:231], v[238:239]
	ds_read2_b64 v[228:231], v240 offset0:108 offset1:109
	v_add_f64 v[12:13], v[12:13], -v[148:149]
	v_add_f64 v[14:15], v[14:15], -v[150:151]
	s_waitcnt lgkmcnt(1)
	v_mul_f64 v[148:149], v[246:247], v[154:155]
	v_mul_f64 v[150:151], v[244:245], v[154:155]
	v_fma_f64 v[148:149], v[244:245], v[238:239], -v[148:149]
	v_fmac_f64_e32 v[150:151], v[246:247], v[238:239]
	ds_read2_b64 v[244:247], v240 offset0:110 offset1:111
	v_add_f64 v[212:213], v[212:213], -v[148:149]
	v_add_f64 v[214:215], v[214:215], -v[150:151]
	s_waitcnt lgkmcnt(1)
	v_mul_f64 v[148:149], v[230:231], v[154:155]
	v_mul_f64 v[150:151], v[228:229], v[154:155]
	v_fma_f64 v[148:149], v[228:229], v[238:239], -v[148:149]
	v_fmac_f64_e32 v[150:151], v[230:231], v[238:239]
	ds_read2_b64 v[228:231], v240 offset0:112 offset1:113
	v_add_f64 v[4:5], v[4:5], -v[148:149]
	v_add_f64 v[6:7], v[6:7], -v[150:151]
	s_waitcnt lgkmcnt(1)
	v_mul_f64 v[148:149], v[246:247], v[154:155]
	v_mul_f64 v[150:151], v[244:245], v[154:155]
	v_fma_f64 v[148:149], v[244:245], v[238:239], -v[148:149]
	v_fmac_f64_e32 v[150:151], v[246:247], v[238:239]
	v_add_f64 v[250:251], v[250:251], -v[148:149]
	v_add_f64 v[252:253], v[252:253], -v[150:151]
	s_waitcnt lgkmcnt(0)
	v_mul_f64 v[148:149], v[230:231], v[154:155]
	v_mul_f64 v[150:151], v[228:229], v[154:155]
	v_fma_f64 v[148:149], v[228:229], v[238:239], -v[148:149]
	v_fmac_f64_e32 v[150:151], v[230:231], v[238:239]
	v_add_f64 v[224:225], v[224:225], -v[148:149]
	v_add_f64 v[226:227], v[226:227], -v[150:151]
	v_mov_b64_e32 v[152:153], v[238:239]
.LBB112_398:
	s_or_b64 exec, exec, s[0:1]
	v_lshl_add_u32 v148, v241, 4, v240
	s_barrier
	ds_write2_b64 v148, v[144:145], v[146:147] offset1:1
	s_waitcnt lgkmcnt(0)
	s_barrier
	ds_read2_b64 v[228:231], v240 offset0:38 offset1:39
	s_cmp_lt_i32 s20, 21
	v_mov_b32_e32 v238, 19
	s_cbranch_scc1 .LBB112_401
; %bb.399:
	v_add_u32_e32 v239, 0x140, v240
	s_mov_b32 s0, 20
	v_mov_b32_e32 v238, 19
.LBB112_400:                            ; =>This Inner Loop Header: Depth=1
	ds_read2_b64 v[244:247], v239 offset1:1
	s_waitcnt lgkmcnt(1)
	v_cmp_gt_f64_e32 vcc, 0, v[228:229]
	v_xor_b32_e32 v148, 0x80000000, v229
	v_xor_b32_e32 v150, 0x80000000, v231
	v_cndmask_b32_e32 v149, v229, v148, vcc
	v_cmp_gt_f64_e32 vcc, 0, v[230:231]
	v_mov_b32_e32 v148, v228
	s_waitcnt lgkmcnt(0)
	v_xor_b32_e32 v156, 0x80000000, v247
	v_cndmask_b32_e32 v151, v231, v150, vcc
	v_mov_b32_e32 v150, v230
	v_add_f64 v[148:149], v[148:149], v[150:151]
	v_cmp_gt_f64_e32 vcc, 0, v[244:245]
	v_xor_b32_e32 v150, 0x80000000, v245
	v_add_u32_e32 v239, 16, v239
	v_cndmask_b32_e32 v151, v245, v150, vcc
	v_cmp_gt_f64_e32 vcc, 0, v[246:247]
	v_mov_b32_e32 v150, v244
	s_nop 0
	v_cndmask_b32_e32 v157, v247, v156, vcc
	v_mov_b32_e32 v156, v246
	v_add_f64 v[150:151], v[150:151], v[156:157]
	v_cmp_lt_f64_e32 vcc, v[148:149], v[150:151]
	v_mov_b32_e32 v148, s0
	s_add_i32 s0, s0, 1
	v_cndmask_b32_e32 v229, v229, v245, vcc
	v_cndmask_b32_e32 v228, v228, v244, vcc
	;; [unrolled: 1-line block ×5, first 2 shown]
	s_cmp_lg_u32 s20, s0
	s_cbranch_scc1 .LBB112_400
.LBB112_401:
	s_waitcnt lgkmcnt(0)
	v_cmp_eq_f64_e32 vcc, 0, v[228:229]
	v_cmp_eq_f64_e64 s[0:1], 0, v[230:231]
	s_and_b64 s[0:1], vcc, s[0:1]
	s_and_saveexec_b64 s[16:17], s[0:1]
	s_xor_b64 s[0:1], exec, s[16:17]
; %bb.402:
	v_cmp_ne_u32_e32 vcc, 0, v242
	s_nop 1
	v_cndmask_b32_e32 v242, 20, v242, vcc
; %bb.403:
	s_andn2_saveexec_b64 s[0:1], s[0:1]
	s_cbranch_execz .LBB112_409
; %bb.404:
	v_cmp_ngt_f64_e64 s[16:17], |v[228:229]|, |v[230:231]|
	s_and_saveexec_b64 s[18:19], s[16:17]
	s_xor_b64 s[16:17], exec, s[18:19]
	s_cbranch_execz .LBB112_406
; %bb.405:
	v_div_scale_f64 v[148:149], s[18:19], v[230:231], v[230:231], v[228:229]
	v_rcp_f64_e32 v[150:151], v[148:149]
	v_div_scale_f64 v[156:157], vcc, v[228:229], v[230:231], v[228:229]
	v_fma_f64 v[158:159], -v[148:149], v[150:151], 1.0
	v_fmac_f64_e32 v[150:151], v[150:151], v[158:159]
	v_fma_f64 v[158:159], -v[148:149], v[150:151], 1.0
	v_fmac_f64_e32 v[150:151], v[150:151], v[158:159]
	v_mul_f64 v[158:159], v[156:157], v[150:151]
	v_fma_f64 v[148:149], -v[148:149], v[158:159], v[156:157]
	v_div_fmas_f64 v[148:149], v[148:149], v[150:151], v[158:159]
	v_div_fixup_f64 v[148:149], v[148:149], v[230:231], v[228:229]
	v_fmac_f64_e32 v[230:231], v[228:229], v[148:149]
	v_div_scale_f64 v[150:151], s[18:19], v[230:231], v[230:231], 1.0
	v_rcp_f64_e32 v[156:157], v[150:151]
	s_nop 0
	v_fma_f64 v[158:159], -v[150:151], v[156:157], 1.0
	v_fmac_f64_e32 v[156:157], v[156:157], v[158:159]
	v_fma_f64 v[158:159], -v[150:151], v[156:157], 1.0
	v_fmac_f64_e32 v[156:157], v[156:157], v[158:159]
	v_div_scale_f64 v[158:159], vcc, 1.0, v[230:231], 1.0
	v_mul_f64 v[220:221], v[158:159], v[156:157]
	v_fma_f64 v[150:151], -v[150:151], v[220:221], v[158:159]
	s_nop 1
	v_div_fmas_f64 v[150:151], v[150:151], v[156:157], v[220:221]
	v_div_fixup_f64 v[230:231], v[150:151], v[230:231], 1.0
	v_mul_f64 v[228:229], v[148:149], v[230:231]
	v_xor_b32_e32 v231, 0x80000000, v231
.LBB112_406:
	s_andn2_saveexec_b64 s[16:17], s[16:17]
	s_cbranch_execz .LBB112_408
; %bb.407:
	v_div_scale_f64 v[148:149], s[18:19], v[228:229], v[228:229], v[230:231]
	v_rcp_f64_e32 v[150:151], v[148:149]
	v_div_scale_f64 v[156:157], vcc, v[230:231], v[228:229], v[230:231]
	v_fma_f64 v[158:159], -v[148:149], v[150:151], 1.0
	v_fmac_f64_e32 v[150:151], v[150:151], v[158:159]
	v_fma_f64 v[158:159], -v[148:149], v[150:151], 1.0
	v_fmac_f64_e32 v[150:151], v[150:151], v[158:159]
	v_mul_f64 v[158:159], v[156:157], v[150:151]
	v_fma_f64 v[148:149], -v[148:149], v[158:159], v[156:157]
	v_div_fmas_f64 v[148:149], v[148:149], v[150:151], v[158:159]
	v_div_fixup_f64 v[148:149], v[148:149], v[228:229], v[230:231]
	v_fmac_f64_e32 v[228:229], v[230:231], v[148:149]
	v_div_scale_f64 v[150:151], s[18:19], v[228:229], v[228:229], 1.0
	v_rcp_f64_e32 v[156:157], v[150:151]
	s_nop 0
	v_fma_f64 v[158:159], -v[150:151], v[156:157], 1.0
	v_fmac_f64_e32 v[156:157], v[156:157], v[158:159]
	v_fma_f64 v[158:159], -v[150:151], v[156:157], 1.0
	v_fmac_f64_e32 v[156:157], v[156:157], v[158:159]
	v_div_scale_f64 v[158:159], vcc, 1.0, v[228:229], 1.0
	v_mul_f64 v[220:221], v[158:159], v[156:157]
	v_fma_f64 v[150:151], -v[150:151], v[220:221], v[158:159]
	s_nop 1
	v_div_fmas_f64 v[150:151], v[150:151], v[156:157], v[220:221]
	v_div_fixup_f64 v[228:229], v[150:151], v[228:229], 1.0
	v_mul_f64 v[230:231], v[148:149], -v[228:229]
.LBB112_408:
	s_or_b64 exec, exec, s[16:17]
.LBB112_409:
	s_or_b64 exec, exec, s[0:1]
	v_cmp_ne_u32_e32 vcc, v241, v238
	s_and_saveexec_b64 s[0:1], vcc
	s_xor_b64 s[0:1], exec, s[0:1]
	s_cbranch_execz .LBB112_415
; %bb.410:
	v_cmp_eq_u32_e32 vcc, 19, v241
	s_and_saveexec_b64 s[16:17], vcc
	s_cbranch_execz .LBB112_414
; %bb.411:
	v_cmp_ne_u32_e32 vcc, 19, v238
	s_xor_b64 s[18:19], s[14:15], -1
	s_and_b64 s[22:23], s[18:19], vcc
	s_and_saveexec_b64 s[18:19], s[22:23]
	s_cbranch_execz .LBB112_413
; %bb.412:
	v_ashrrev_i32_e32 v239, 31, v238
	v_lshl_add_u64 v[148:149], v[238:239], 2, v[8:9]
	global_load_dword v150, v[148:149], off
	global_load_dword v151, v[8:9], off offset:76
	s_waitcnt vmcnt(1)
	global_store_dword v[8:9], v150, off offset:76
	s_waitcnt vmcnt(1)
	global_store_dword v[148:149], v151, off
.LBB112_413:
	s_or_b64 exec, exec, s[18:19]
	v_mov_b32_e32 v241, v238
	v_mov_b32_e32 v236, v238
.LBB112_414:
	s_or_b64 exec, exec, s[16:17]
.LBB112_415:
	s_andn2_saveexec_b64 s[0:1], s[0:1]
	s_cbranch_execz .LBB112_417
; %bb.416:
	v_mov_b32_e32 v241, 19
	ds_write2_b64 v240, v[140:141], v[142:143] offset0:40 offset1:41
	ds_write2_b64 v240, v[136:137], v[138:139] offset0:42 offset1:43
	;; [unrolled: 1-line block ×37, first 2 shown]
.LBB112_417:
	s_or_b64 exec, exec, s[0:1]
	v_cmp_lt_i32_e32 vcc, 19, v241
	s_waitcnt lgkmcnt(0)
	s_barrier
	s_and_saveexec_b64 s[0:1], vcc
	s_cbranch_execz .LBB112_419
; %bb.418:
	ds_read2_b64 v[244:247], v240 offset0:40 offset1:41
	v_mul_f64 v[148:149], v[230:231], v[146:147]
	v_mul_f64 v[146:147], v[228:229], v[146:147]
	v_fma_f64 v[238:239], v[228:229], v[144:145], -v[148:149]
	v_fmac_f64_e32 v[146:147], v[230:231], v[144:145]
	ds_read2_b64 v[228:231], v240 offset0:42 offset1:43
	s_waitcnt lgkmcnt(1)
	v_mul_f64 v[144:145], v[246:247], v[146:147]
	v_mul_f64 v[148:149], v[244:245], v[146:147]
	v_fma_f64 v[144:145], v[244:245], v[238:239], -v[144:145]
	v_fmac_f64_e32 v[148:149], v[246:247], v[238:239]
	ds_read2_b64 v[244:247], v240 offset0:44 offset1:45
	v_add_f64 v[140:141], v[140:141], -v[144:145]
	v_add_f64 v[142:143], v[142:143], -v[148:149]
	s_waitcnt lgkmcnt(1)
	v_mul_f64 v[144:145], v[230:231], v[146:147]
	v_mul_f64 v[148:149], v[228:229], v[146:147]
	v_fma_f64 v[144:145], v[228:229], v[238:239], -v[144:145]
	v_fmac_f64_e32 v[148:149], v[230:231], v[238:239]
	ds_read2_b64 v[228:231], v240 offset0:46 offset1:47
	v_add_f64 v[136:137], v[136:137], -v[144:145]
	v_add_f64 v[138:139], v[138:139], -v[148:149]
	;; [unrolled: 8-line block ×35, first 2 shown]
	s_waitcnt lgkmcnt(1)
	v_mul_f64 v[144:145], v[230:231], v[146:147]
	v_mul_f64 v[148:149], v[228:229], v[146:147]
	v_fma_f64 v[144:145], v[228:229], v[238:239], -v[144:145]
	v_fmac_f64_e32 v[148:149], v[230:231], v[238:239]
	v_add_f64 v[250:251], v[250:251], -v[144:145]
	v_add_f64 v[252:253], v[252:253], -v[148:149]
	s_waitcnt lgkmcnt(0)
	v_mul_f64 v[144:145], v[246:247], v[146:147]
	v_mul_f64 v[148:149], v[244:245], v[146:147]
	v_fma_f64 v[144:145], v[244:245], v[238:239], -v[144:145]
	v_fmac_f64_e32 v[148:149], v[246:247], v[238:239]
	v_add_f64 v[224:225], v[224:225], -v[144:145]
	v_add_f64 v[226:227], v[226:227], -v[148:149]
	v_mov_b64_e32 v[144:145], v[238:239]
.LBB112_419:
	s_or_b64 exec, exec, s[0:1]
	v_lshl_add_u32 v148, v241, 4, v240
	s_barrier
	ds_write2_b64 v148, v[140:141], v[142:143] offset1:1
	s_waitcnt lgkmcnt(0)
	s_barrier
	ds_read2_b64 v[228:231], v240 offset0:40 offset1:41
	s_cmp_lt_i32 s20, 22
	v_mov_b32_e32 v238, 20
	s_cbranch_scc1 .LBB112_422
; %bb.420:
	v_add_u32_e32 v239, 0x150, v240
	s_mov_b32 s0, 21
	v_mov_b32_e32 v238, 20
.LBB112_421:                            ; =>This Inner Loop Header: Depth=1
	ds_read2_b64 v[244:247], v239 offset1:1
	s_waitcnt lgkmcnt(1)
	v_cmp_gt_f64_e32 vcc, 0, v[228:229]
	v_xor_b32_e32 v148, 0x80000000, v229
	v_xor_b32_e32 v150, 0x80000000, v231
	v_cndmask_b32_e32 v149, v229, v148, vcc
	v_cmp_gt_f64_e32 vcc, 0, v[230:231]
	v_mov_b32_e32 v148, v228
	s_waitcnt lgkmcnt(0)
	v_xor_b32_e32 v156, 0x80000000, v247
	v_cndmask_b32_e32 v151, v231, v150, vcc
	v_mov_b32_e32 v150, v230
	v_add_f64 v[148:149], v[148:149], v[150:151]
	v_cmp_gt_f64_e32 vcc, 0, v[244:245]
	v_xor_b32_e32 v150, 0x80000000, v245
	v_add_u32_e32 v239, 16, v239
	v_cndmask_b32_e32 v151, v245, v150, vcc
	v_cmp_gt_f64_e32 vcc, 0, v[246:247]
	v_mov_b32_e32 v150, v244
	s_nop 0
	v_cndmask_b32_e32 v157, v247, v156, vcc
	v_mov_b32_e32 v156, v246
	v_add_f64 v[150:151], v[150:151], v[156:157]
	v_cmp_lt_f64_e32 vcc, v[148:149], v[150:151]
	v_mov_b32_e32 v148, s0
	s_add_i32 s0, s0, 1
	v_cndmask_b32_e32 v229, v229, v245, vcc
	v_cndmask_b32_e32 v228, v228, v244, vcc
	;; [unrolled: 1-line block ×5, first 2 shown]
	s_cmp_lg_u32 s20, s0
	s_cbranch_scc1 .LBB112_421
.LBB112_422:
	s_waitcnt lgkmcnt(0)
	v_cmp_eq_f64_e32 vcc, 0, v[228:229]
	v_cmp_eq_f64_e64 s[0:1], 0, v[230:231]
	s_and_b64 s[0:1], vcc, s[0:1]
	s_and_saveexec_b64 s[16:17], s[0:1]
	s_xor_b64 s[0:1], exec, s[16:17]
; %bb.423:
	v_cmp_ne_u32_e32 vcc, 0, v242
	s_nop 1
	v_cndmask_b32_e32 v242, 21, v242, vcc
; %bb.424:
	s_andn2_saveexec_b64 s[0:1], s[0:1]
	s_cbranch_execz .LBB112_430
; %bb.425:
	v_cmp_ngt_f64_e64 s[16:17], |v[228:229]|, |v[230:231]|
	s_and_saveexec_b64 s[18:19], s[16:17]
	s_xor_b64 s[16:17], exec, s[18:19]
	s_cbranch_execz .LBB112_427
; %bb.426:
	v_div_scale_f64 v[148:149], s[18:19], v[230:231], v[230:231], v[228:229]
	v_rcp_f64_e32 v[150:151], v[148:149]
	v_div_scale_f64 v[156:157], vcc, v[228:229], v[230:231], v[228:229]
	v_fma_f64 v[158:159], -v[148:149], v[150:151], 1.0
	v_fmac_f64_e32 v[150:151], v[150:151], v[158:159]
	v_fma_f64 v[158:159], -v[148:149], v[150:151], 1.0
	v_fmac_f64_e32 v[150:151], v[150:151], v[158:159]
	v_mul_f64 v[158:159], v[156:157], v[150:151]
	v_fma_f64 v[148:149], -v[148:149], v[158:159], v[156:157]
	v_div_fmas_f64 v[148:149], v[148:149], v[150:151], v[158:159]
	v_div_fixup_f64 v[148:149], v[148:149], v[230:231], v[228:229]
	v_fmac_f64_e32 v[230:231], v[228:229], v[148:149]
	v_div_scale_f64 v[150:151], s[18:19], v[230:231], v[230:231], 1.0
	v_rcp_f64_e32 v[156:157], v[150:151]
	s_nop 0
	v_fma_f64 v[158:159], -v[150:151], v[156:157], 1.0
	v_fmac_f64_e32 v[156:157], v[156:157], v[158:159]
	v_fma_f64 v[158:159], -v[150:151], v[156:157], 1.0
	v_fmac_f64_e32 v[156:157], v[156:157], v[158:159]
	v_div_scale_f64 v[158:159], vcc, 1.0, v[230:231], 1.0
	v_mul_f64 v[220:221], v[158:159], v[156:157]
	v_fma_f64 v[150:151], -v[150:151], v[220:221], v[158:159]
	s_nop 1
	v_div_fmas_f64 v[150:151], v[150:151], v[156:157], v[220:221]
	v_div_fixup_f64 v[230:231], v[150:151], v[230:231], 1.0
	v_mul_f64 v[228:229], v[148:149], v[230:231]
	v_xor_b32_e32 v231, 0x80000000, v231
.LBB112_427:
	s_andn2_saveexec_b64 s[16:17], s[16:17]
	s_cbranch_execz .LBB112_429
; %bb.428:
	v_div_scale_f64 v[148:149], s[18:19], v[228:229], v[228:229], v[230:231]
	v_rcp_f64_e32 v[150:151], v[148:149]
	v_div_scale_f64 v[156:157], vcc, v[230:231], v[228:229], v[230:231]
	v_fma_f64 v[158:159], -v[148:149], v[150:151], 1.0
	v_fmac_f64_e32 v[150:151], v[150:151], v[158:159]
	v_fma_f64 v[158:159], -v[148:149], v[150:151], 1.0
	v_fmac_f64_e32 v[150:151], v[150:151], v[158:159]
	v_mul_f64 v[158:159], v[156:157], v[150:151]
	v_fma_f64 v[148:149], -v[148:149], v[158:159], v[156:157]
	v_div_fmas_f64 v[148:149], v[148:149], v[150:151], v[158:159]
	v_div_fixup_f64 v[148:149], v[148:149], v[228:229], v[230:231]
	v_fmac_f64_e32 v[228:229], v[230:231], v[148:149]
	v_div_scale_f64 v[150:151], s[18:19], v[228:229], v[228:229], 1.0
	v_rcp_f64_e32 v[156:157], v[150:151]
	s_nop 0
	v_fma_f64 v[158:159], -v[150:151], v[156:157], 1.0
	v_fmac_f64_e32 v[156:157], v[156:157], v[158:159]
	v_fma_f64 v[158:159], -v[150:151], v[156:157], 1.0
	v_fmac_f64_e32 v[156:157], v[156:157], v[158:159]
	v_div_scale_f64 v[158:159], vcc, 1.0, v[228:229], 1.0
	v_mul_f64 v[220:221], v[158:159], v[156:157]
	v_fma_f64 v[150:151], -v[150:151], v[220:221], v[158:159]
	s_nop 1
	v_div_fmas_f64 v[150:151], v[150:151], v[156:157], v[220:221]
	v_div_fixup_f64 v[228:229], v[150:151], v[228:229], 1.0
	v_mul_f64 v[230:231], v[148:149], -v[228:229]
.LBB112_429:
	s_or_b64 exec, exec, s[16:17]
.LBB112_430:
	s_or_b64 exec, exec, s[0:1]
	v_cmp_ne_u32_e32 vcc, v241, v238
	s_and_saveexec_b64 s[0:1], vcc
	s_xor_b64 s[0:1], exec, s[0:1]
	s_cbranch_execz .LBB112_436
; %bb.431:
	v_cmp_eq_u32_e32 vcc, 20, v241
	s_and_saveexec_b64 s[16:17], vcc
	s_cbranch_execz .LBB112_435
; %bb.432:
	v_cmp_ne_u32_e32 vcc, 20, v238
	s_xor_b64 s[18:19], s[14:15], -1
	s_and_b64 s[22:23], s[18:19], vcc
	s_and_saveexec_b64 s[18:19], s[22:23]
	s_cbranch_execz .LBB112_434
; %bb.433:
	v_ashrrev_i32_e32 v239, 31, v238
	v_lshl_add_u64 v[148:149], v[238:239], 2, v[8:9]
	global_load_dword v150, v[148:149], off
	global_load_dword v151, v[8:9], off offset:80
	s_waitcnt vmcnt(1)
	global_store_dword v[8:9], v150, off offset:80
	s_waitcnt vmcnt(1)
	global_store_dword v[148:149], v151, off
.LBB112_434:
	s_or_b64 exec, exec, s[18:19]
	v_mov_b32_e32 v241, v238
	v_mov_b32_e32 v236, v238
.LBB112_435:
	s_or_b64 exec, exec, s[16:17]
.LBB112_436:
	s_andn2_saveexec_b64 s[0:1], s[0:1]
	s_cbranch_execz .LBB112_438
; %bb.437:
	v_mov_b32_e32 v241, 20
	ds_write2_b64 v240, v[136:137], v[138:139] offset0:42 offset1:43
	ds_write2_b64 v240, v[132:133], v[134:135] offset0:44 offset1:45
	ds_write2_b64 v240, v[128:129], v[130:131] offset0:46 offset1:47
	ds_write2_b64 v240, v[124:125], v[126:127] offset0:48 offset1:49
	ds_write2_b64 v240, v[120:121], v[122:123] offset0:50 offset1:51
	ds_write2_b64 v240, v[116:117], v[118:119] offset0:52 offset1:53
	ds_write2_b64 v240, v[112:113], v[114:115] offset0:54 offset1:55
	ds_write2_b64 v240, v[108:109], v[110:111] offset0:56 offset1:57
	ds_write2_b64 v240, v[104:105], v[106:107] offset0:58 offset1:59
	ds_write2_b64 v240, v[100:101], v[102:103] offset0:60 offset1:61
	ds_write2_b64 v240, v[96:97], v[98:99] offset0:62 offset1:63
	ds_write2_b64 v240, v[92:93], v[94:95] offset0:64 offset1:65
	ds_write2_b64 v240, v[88:89], v[90:91] offset0:66 offset1:67
	ds_write2_b64 v240, v[84:85], v[86:87] offset0:68 offset1:69
	ds_write2_b64 v240, v[80:81], v[82:83] offset0:70 offset1:71
	ds_write2_b64 v240, v[76:77], v[78:79] offset0:72 offset1:73
	ds_write2_b64 v240, v[72:73], v[74:75] offset0:74 offset1:75
	ds_write2_b64 v240, v[68:69], v[70:71] offset0:76 offset1:77
	ds_write2_b64 v240, v[64:65], v[66:67] offset0:78 offset1:79
	ds_write2_b64 v240, v[60:61], v[62:63] offset0:80 offset1:81
	ds_write2_b64 v240, v[56:57], v[58:59] offset0:82 offset1:83
	ds_write2_b64 v240, v[52:53], v[54:55] offset0:84 offset1:85
	ds_write2_b64 v240, v[48:49], v[50:51] offset0:86 offset1:87
	ds_write2_b64 v240, v[44:45], v[46:47] offset0:88 offset1:89
	ds_write2_b64 v240, v[40:41], v[42:43] offset0:90 offset1:91
	ds_write2_b64 v240, v[36:37], v[38:39] offset0:92 offset1:93
	ds_write2_b64 v240, v[32:33], v[34:35] offset0:94 offset1:95
	ds_write2_b64 v240, v[28:29], v[30:31] offset0:96 offset1:97
	ds_write2_b64 v240, v[24:25], v[26:27] offset0:98 offset1:99
	ds_write2_b64 v240, v[20:21], v[22:23] offset0:100 offset1:101
	ds_write2_b64 v240, v[16:17], v[18:19] offset0:102 offset1:103
	ds_write2_b64 v240, v[12:13], v[14:15] offset0:104 offset1:105
	ds_write2_b64 v240, v[212:213], v[214:215] offset0:106 offset1:107
	ds_write2_b64 v240, v[4:5], v[6:7] offset0:108 offset1:109
	ds_write2_b64 v240, v[250:251], v[252:253] offset0:110 offset1:111
	ds_write2_b64 v240, v[224:225], v[226:227] offset0:112 offset1:113
.LBB112_438:
	s_or_b64 exec, exec, s[0:1]
	v_cmp_lt_i32_e32 vcc, 20, v241
	s_waitcnt lgkmcnt(0)
	s_barrier
	s_and_saveexec_b64 s[0:1], vcc
	s_cbranch_execz .LBB112_440
; %bb.439:
	ds_read2_b64 v[244:247], v240 offset0:42 offset1:43
	v_mul_f64 v[148:149], v[230:231], v[142:143]
	v_mul_f64 v[142:143], v[228:229], v[142:143]
	v_fma_f64 v[238:239], v[228:229], v[140:141], -v[148:149]
	v_fmac_f64_e32 v[142:143], v[230:231], v[140:141]
	ds_read2_b64 v[228:231], v240 offset0:44 offset1:45
	s_waitcnt lgkmcnt(1)
	v_mul_f64 v[140:141], v[246:247], v[142:143]
	v_mul_f64 v[148:149], v[244:245], v[142:143]
	v_fma_f64 v[140:141], v[244:245], v[238:239], -v[140:141]
	v_fmac_f64_e32 v[148:149], v[246:247], v[238:239]
	ds_read2_b64 v[244:247], v240 offset0:46 offset1:47
	v_add_f64 v[136:137], v[136:137], -v[140:141]
	v_add_f64 v[138:139], v[138:139], -v[148:149]
	s_waitcnt lgkmcnt(1)
	v_mul_f64 v[140:141], v[230:231], v[142:143]
	v_mul_f64 v[148:149], v[228:229], v[142:143]
	v_fma_f64 v[140:141], v[228:229], v[238:239], -v[140:141]
	v_fmac_f64_e32 v[148:149], v[230:231], v[238:239]
	ds_read2_b64 v[228:231], v240 offset0:48 offset1:49
	v_add_f64 v[132:133], v[132:133], -v[140:141]
	v_add_f64 v[134:135], v[134:135], -v[148:149]
	;; [unrolled: 8-line block ×34, first 2 shown]
	s_waitcnt lgkmcnt(1)
	v_mul_f64 v[140:141], v[246:247], v[142:143]
	v_mul_f64 v[148:149], v[244:245], v[142:143]
	v_fma_f64 v[140:141], v[244:245], v[238:239], -v[140:141]
	v_fmac_f64_e32 v[148:149], v[246:247], v[238:239]
	v_add_f64 v[250:251], v[250:251], -v[140:141]
	v_add_f64 v[252:253], v[252:253], -v[148:149]
	s_waitcnt lgkmcnt(0)
	v_mul_f64 v[140:141], v[230:231], v[142:143]
	v_mul_f64 v[148:149], v[228:229], v[142:143]
	v_fma_f64 v[140:141], v[228:229], v[238:239], -v[140:141]
	v_fmac_f64_e32 v[148:149], v[230:231], v[238:239]
	v_add_f64 v[224:225], v[224:225], -v[140:141]
	v_add_f64 v[226:227], v[226:227], -v[148:149]
	v_mov_b64_e32 v[140:141], v[238:239]
.LBB112_440:
	s_or_b64 exec, exec, s[0:1]
	v_lshl_add_u32 v148, v241, 4, v240
	s_barrier
	ds_write2_b64 v148, v[136:137], v[138:139] offset1:1
	s_waitcnt lgkmcnt(0)
	s_barrier
	ds_read2_b64 v[228:231], v240 offset0:42 offset1:43
	s_cmp_lt_i32 s20, 23
	v_mov_b32_e32 v238, 21
	s_cbranch_scc1 .LBB112_443
; %bb.441:
	v_add_u32_e32 v239, 0x160, v240
	s_mov_b32 s0, 22
	v_mov_b32_e32 v238, 21
.LBB112_442:                            ; =>This Inner Loop Header: Depth=1
	ds_read2_b64 v[244:247], v239 offset1:1
	s_waitcnt lgkmcnt(1)
	v_cmp_gt_f64_e32 vcc, 0, v[228:229]
	v_xor_b32_e32 v148, 0x80000000, v229
	v_xor_b32_e32 v150, 0x80000000, v231
	v_cndmask_b32_e32 v149, v229, v148, vcc
	v_cmp_gt_f64_e32 vcc, 0, v[230:231]
	v_mov_b32_e32 v148, v228
	s_waitcnt lgkmcnt(0)
	v_xor_b32_e32 v156, 0x80000000, v247
	v_cndmask_b32_e32 v151, v231, v150, vcc
	v_mov_b32_e32 v150, v230
	v_add_f64 v[148:149], v[148:149], v[150:151]
	v_cmp_gt_f64_e32 vcc, 0, v[244:245]
	v_xor_b32_e32 v150, 0x80000000, v245
	v_add_u32_e32 v239, 16, v239
	v_cndmask_b32_e32 v151, v245, v150, vcc
	v_cmp_gt_f64_e32 vcc, 0, v[246:247]
	v_mov_b32_e32 v150, v244
	s_nop 0
	v_cndmask_b32_e32 v157, v247, v156, vcc
	v_mov_b32_e32 v156, v246
	v_add_f64 v[150:151], v[150:151], v[156:157]
	v_cmp_lt_f64_e32 vcc, v[148:149], v[150:151]
	v_mov_b32_e32 v148, s0
	s_add_i32 s0, s0, 1
	v_cndmask_b32_e32 v229, v229, v245, vcc
	v_cndmask_b32_e32 v228, v228, v244, vcc
	;; [unrolled: 1-line block ×5, first 2 shown]
	s_cmp_lg_u32 s20, s0
	s_cbranch_scc1 .LBB112_442
.LBB112_443:
	s_waitcnt lgkmcnt(0)
	v_cmp_eq_f64_e32 vcc, 0, v[228:229]
	v_cmp_eq_f64_e64 s[0:1], 0, v[230:231]
	s_and_b64 s[0:1], vcc, s[0:1]
	s_and_saveexec_b64 s[16:17], s[0:1]
	s_xor_b64 s[0:1], exec, s[16:17]
; %bb.444:
	v_cmp_ne_u32_e32 vcc, 0, v242
	s_nop 1
	v_cndmask_b32_e32 v242, 22, v242, vcc
; %bb.445:
	s_andn2_saveexec_b64 s[0:1], s[0:1]
	s_cbranch_execz .LBB112_451
; %bb.446:
	v_cmp_ngt_f64_e64 s[16:17], |v[228:229]|, |v[230:231]|
	s_and_saveexec_b64 s[18:19], s[16:17]
	s_xor_b64 s[16:17], exec, s[18:19]
	s_cbranch_execz .LBB112_448
; %bb.447:
	v_div_scale_f64 v[148:149], s[18:19], v[230:231], v[230:231], v[228:229]
	v_rcp_f64_e32 v[150:151], v[148:149]
	v_div_scale_f64 v[156:157], vcc, v[228:229], v[230:231], v[228:229]
	v_fma_f64 v[158:159], -v[148:149], v[150:151], 1.0
	v_fmac_f64_e32 v[150:151], v[150:151], v[158:159]
	v_fma_f64 v[158:159], -v[148:149], v[150:151], 1.0
	v_fmac_f64_e32 v[150:151], v[150:151], v[158:159]
	v_mul_f64 v[158:159], v[156:157], v[150:151]
	v_fma_f64 v[148:149], -v[148:149], v[158:159], v[156:157]
	v_div_fmas_f64 v[148:149], v[148:149], v[150:151], v[158:159]
	v_div_fixup_f64 v[148:149], v[148:149], v[230:231], v[228:229]
	v_fmac_f64_e32 v[230:231], v[228:229], v[148:149]
	v_div_scale_f64 v[150:151], s[18:19], v[230:231], v[230:231], 1.0
	v_rcp_f64_e32 v[156:157], v[150:151]
	s_nop 0
	v_fma_f64 v[158:159], -v[150:151], v[156:157], 1.0
	v_fmac_f64_e32 v[156:157], v[156:157], v[158:159]
	v_fma_f64 v[158:159], -v[150:151], v[156:157], 1.0
	v_fmac_f64_e32 v[156:157], v[156:157], v[158:159]
	v_div_scale_f64 v[158:159], vcc, 1.0, v[230:231], 1.0
	v_mul_f64 v[220:221], v[158:159], v[156:157]
	v_fma_f64 v[150:151], -v[150:151], v[220:221], v[158:159]
	s_nop 1
	v_div_fmas_f64 v[150:151], v[150:151], v[156:157], v[220:221]
	v_div_fixup_f64 v[230:231], v[150:151], v[230:231], 1.0
	v_mul_f64 v[228:229], v[148:149], v[230:231]
	v_xor_b32_e32 v231, 0x80000000, v231
.LBB112_448:
	s_andn2_saveexec_b64 s[16:17], s[16:17]
	s_cbranch_execz .LBB112_450
; %bb.449:
	v_div_scale_f64 v[148:149], s[18:19], v[228:229], v[228:229], v[230:231]
	v_rcp_f64_e32 v[150:151], v[148:149]
	v_div_scale_f64 v[156:157], vcc, v[230:231], v[228:229], v[230:231]
	v_fma_f64 v[158:159], -v[148:149], v[150:151], 1.0
	v_fmac_f64_e32 v[150:151], v[150:151], v[158:159]
	v_fma_f64 v[158:159], -v[148:149], v[150:151], 1.0
	v_fmac_f64_e32 v[150:151], v[150:151], v[158:159]
	v_mul_f64 v[158:159], v[156:157], v[150:151]
	v_fma_f64 v[148:149], -v[148:149], v[158:159], v[156:157]
	v_div_fmas_f64 v[148:149], v[148:149], v[150:151], v[158:159]
	v_div_fixup_f64 v[148:149], v[148:149], v[228:229], v[230:231]
	v_fmac_f64_e32 v[228:229], v[230:231], v[148:149]
	v_div_scale_f64 v[150:151], s[18:19], v[228:229], v[228:229], 1.0
	v_rcp_f64_e32 v[156:157], v[150:151]
	s_nop 0
	v_fma_f64 v[158:159], -v[150:151], v[156:157], 1.0
	v_fmac_f64_e32 v[156:157], v[156:157], v[158:159]
	v_fma_f64 v[158:159], -v[150:151], v[156:157], 1.0
	v_fmac_f64_e32 v[156:157], v[156:157], v[158:159]
	v_div_scale_f64 v[158:159], vcc, 1.0, v[228:229], 1.0
	v_mul_f64 v[220:221], v[158:159], v[156:157]
	v_fma_f64 v[150:151], -v[150:151], v[220:221], v[158:159]
	s_nop 1
	v_div_fmas_f64 v[150:151], v[150:151], v[156:157], v[220:221]
	v_div_fixup_f64 v[228:229], v[150:151], v[228:229], 1.0
	v_mul_f64 v[230:231], v[148:149], -v[228:229]
.LBB112_450:
	s_or_b64 exec, exec, s[16:17]
.LBB112_451:
	s_or_b64 exec, exec, s[0:1]
	v_cmp_ne_u32_e32 vcc, v241, v238
	s_and_saveexec_b64 s[0:1], vcc
	s_xor_b64 s[0:1], exec, s[0:1]
	s_cbranch_execz .LBB112_457
; %bb.452:
	v_cmp_eq_u32_e32 vcc, 21, v241
	s_and_saveexec_b64 s[16:17], vcc
	s_cbranch_execz .LBB112_456
; %bb.453:
	v_cmp_ne_u32_e32 vcc, 21, v238
	s_xor_b64 s[18:19], s[14:15], -1
	s_and_b64 s[22:23], s[18:19], vcc
	s_and_saveexec_b64 s[18:19], s[22:23]
	s_cbranch_execz .LBB112_455
; %bb.454:
	v_ashrrev_i32_e32 v239, 31, v238
	v_lshl_add_u64 v[148:149], v[238:239], 2, v[8:9]
	global_load_dword v150, v[148:149], off
	global_load_dword v151, v[8:9], off offset:84
	s_waitcnt vmcnt(1)
	global_store_dword v[8:9], v150, off offset:84
	s_waitcnt vmcnt(1)
	global_store_dword v[148:149], v151, off
.LBB112_455:
	s_or_b64 exec, exec, s[18:19]
	v_mov_b32_e32 v241, v238
	v_mov_b32_e32 v236, v238
.LBB112_456:
	s_or_b64 exec, exec, s[16:17]
.LBB112_457:
	s_andn2_saveexec_b64 s[0:1], s[0:1]
	s_cbranch_execz .LBB112_459
; %bb.458:
	v_mov_b32_e32 v241, 21
	ds_write2_b64 v240, v[132:133], v[134:135] offset0:44 offset1:45
	ds_write2_b64 v240, v[128:129], v[130:131] offset0:46 offset1:47
	;; [unrolled: 1-line block ×35, first 2 shown]
.LBB112_459:
	s_or_b64 exec, exec, s[0:1]
	v_cmp_lt_i32_e32 vcc, 21, v241
	s_waitcnt lgkmcnt(0)
	s_barrier
	s_and_saveexec_b64 s[0:1], vcc
	s_cbranch_execz .LBB112_461
; %bb.460:
	ds_read2_b64 v[244:247], v240 offset0:44 offset1:45
	v_mul_f64 v[148:149], v[230:231], v[138:139]
	v_mul_f64 v[138:139], v[228:229], v[138:139]
	v_fma_f64 v[238:239], v[228:229], v[136:137], -v[148:149]
	v_fmac_f64_e32 v[138:139], v[230:231], v[136:137]
	ds_read2_b64 v[228:231], v240 offset0:46 offset1:47
	s_waitcnt lgkmcnt(1)
	v_mul_f64 v[136:137], v[246:247], v[138:139]
	v_mul_f64 v[148:149], v[244:245], v[138:139]
	v_fma_f64 v[136:137], v[244:245], v[238:239], -v[136:137]
	v_fmac_f64_e32 v[148:149], v[246:247], v[238:239]
	ds_read2_b64 v[244:247], v240 offset0:48 offset1:49
	v_add_f64 v[132:133], v[132:133], -v[136:137]
	v_add_f64 v[134:135], v[134:135], -v[148:149]
	s_waitcnt lgkmcnt(1)
	v_mul_f64 v[136:137], v[230:231], v[138:139]
	v_mul_f64 v[148:149], v[228:229], v[138:139]
	v_fma_f64 v[136:137], v[228:229], v[238:239], -v[136:137]
	v_fmac_f64_e32 v[148:149], v[230:231], v[238:239]
	ds_read2_b64 v[228:231], v240 offset0:50 offset1:51
	v_add_f64 v[128:129], v[128:129], -v[136:137]
	v_add_f64 v[130:131], v[130:131], -v[148:149]
	;; [unrolled: 8-line block ×33, first 2 shown]
	s_waitcnt lgkmcnt(1)
	v_mul_f64 v[136:137], v[230:231], v[138:139]
	v_mul_f64 v[148:149], v[228:229], v[138:139]
	v_fma_f64 v[136:137], v[228:229], v[238:239], -v[136:137]
	v_fmac_f64_e32 v[148:149], v[230:231], v[238:239]
	v_add_f64 v[250:251], v[250:251], -v[136:137]
	v_add_f64 v[252:253], v[252:253], -v[148:149]
	s_waitcnt lgkmcnt(0)
	v_mul_f64 v[136:137], v[246:247], v[138:139]
	v_mul_f64 v[148:149], v[244:245], v[138:139]
	v_fma_f64 v[136:137], v[244:245], v[238:239], -v[136:137]
	v_fmac_f64_e32 v[148:149], v[246:247], v[238:239]
	v_add_f64 v[224:225], v[224:225], -v[136:137]
	v_add_f64 v[226:227], v[226:227], -v[148:149]
	v_mov_b64_e32 v[136:137], v[238:239]
.LBB112_461:
	s_or_b64 exec, exec, s[0:1]
	v_lshl_add_u32 v148, v241, 4, v240
	s_barrier
	ds_write2_b64 v148, v[132:133], v[134:135] offset1:1
	s_waitcnt lgkmcnt(0)
	s_barrier
	ds_read2_b64 v[228:231], v240 offset0:44 offset1:45
	s_cmp_lt_i32 s20, 24
	v_mov_b32_e32 v238, 22
	s_cbranch_scc1 .LBB112_464
; %bb.462:
	v_add_u32_e32 v239, 0x170, v240
	s_mov_b32 s0, 23
	v_mov_b32_e32 v238, 22
.LBB112_463:                            ; =>This Inner Loop Header: Depth=1
	ds_read2_b64 v[244:247], v239 offset1:1
	s_waitcnt lgkmcnt(1)
	v_cmp_gt_f64_e32 vcc, 0, v[228:229]
	v_xor_b32_e32 v148, 0x80000000, v229
	v_xor_b32_e32 v150, 0x80000000, v231
	v_cndmask_b32_e32 v149, v229, v148, vcc
	v_cmp_gt_f64_e32 vcc, 0, v[230:231]
	v_mov_b32_e32 v148, v228
	s_waitcnt lgkmcnt(0)
	v_xor_b32_e32 v156, 0x80000000, v247
	v_cndmask_b32_e32 v151, v231, v150, vcc
	v_mov_b32_e32 v150, v230
	v_add_f64 v[148:149], v[148:149], v[150:151]
	v_cmp_gt_f64_e32 vcc, 0, v[244:245]
	v_xor_b32_e32 v150, 0x80000000, v245
	v_add_u32_e32 v239, 16, v239
	v_cndmask_b32_e32 v151, v245, v150, vcc
	v_cmp_gt_f64_e32 vcc, 0, v[246:247]
	v_mov_b32_e32 v150, v244
	s_nop 0
	v_cndmask_b32_e32 v157, v247, v156, vcc
	v_mov_b32_e32 v156, v246
	v_add_f64 v[150:151], v[150:151], v[156:157]
	v_cmp_lt_f64_e32 vcc, v[148:149], v[150:151]
	v_mov_b32_e32 v148, s0
	s_add_i32 s0, s0, 1
	v_cndmask_b32_e32 v229, v229, v245, vcc
	v_cndmask_b32_e32 v228, v228, v244, vcc
	;; [unrolled: 1-line block ×5, first 2 shown]
	s_cmp_lg_u32 s20, s0
	s_cbranch_scc1 .LBB112_463
.LBB112_464:
	s_waitcnt lgkmcnt(0)
	v_cmp_eq_f64_e32 vcc, 0, v[228:229]
	v_cmp_eq_f64_e64 s[0:1], 0, v[230:231]
	s_and_b64 s[0:1], vcc, s[0:1]
	s_and_saveexec_b64 s[16:17], s[0:1]
	s_xor_b64 s[0:1], exec, s[16:17]
; %bb.465:
	v_cmp_ne_u32_e32 vcc, 0, v242
	s_nop 1
	v_cndmask_b32_e32 v242, 23, v242, vcc
; %bb.466:
	s_andn2_saveexec_b64 s[0:1], s[0:1]
	s_cbranch_execz .LBB112_472
; %bb.467:
	v_cmp_ngt_f64_e64 s[16:17], |v[228:229]|, |v[230:231]|
	s_and_saveexec_b64 s[18:19], s[16:17]
	s_xor_b64 s[16:17], exec, s[18:19]
	s_cbranch_execz .LBB112_469
; %bb.468:
	v_div_scale_f64 v[148:149], s[18:19], v[230:231], v[230:231], v[228:229]
	v_rcp_f64_e32 v[150:151], v[148:149]
	v_div_scale_f64 v[156:157], vcc, v[228:229], v[230:231], v[228:229]
	v_fma_f64 v[158:159], -v[148:149], v[150:151], 1.0
	v_fmac_f64_e32 v[150:151], v[150:151], v[158:159]
	v_fma_f64 v[158:159], -v[148:149], v[150:151], 1.0
	v_fmac_f64_e32 v[150:151], v[150:151], v[158:159]
	v_mul_f64 v[158:159], v[156:157], v[150:151]
	v_fma_f64 v[148:149], -v[148:149], v[158:159], v[156:157]
	v_div_fmas_f64 v[148:149], v[148:149], v[150:151], v[158:159]
	v_div_fixup_f64 v[148:149], v[148:149], v[230:231], v[228:229]
	v_fmac_f64_e32 v[230:231], v[228:229], v[148:149]
	v_div_scale_f64 v[150:151], s[18:19], v[230:231], v[230:231], 1.0
	v_rcp_f64_e32 v[156:157], v[150:151]
	s_nop 0
	v_fma_f64 v[158:159], -v[150:151], v[156:157], 1.0
	v_fmac_f64_e32 v[156:157], v[156:157], v[158:159]
	v_fma_f64 v[158:159], -v[150:151], v[156:157], 1.0
	v_fmac_f64_e32 v[156:157], v[156:157], v[158:159]
	v_div_scale_f64 v[158:159], vcc, 1.0, v[230:231], 1.0
	v_mul_f64 v[220:221], v[158:159], v[156:157]
	v_fma_f64 v[150:151], -v[150:151], v[220:221], v[158:159]
	s_nop 1
	v_div_fmas_f64 v[150:151], v[150:151], v[156:157], v[220:221]
	v_div_fixup_f64 v[230:231], v[150:151], v[230:231], 1.0
	v_mul_f64 v[228:229], v[148:149], v[230:231]
	v_xor_b32_e32 v231, 0x80000000, v231
.LBB112_469:
	s_andn2_saveexec_b64 s[16:17], s[16:17]
	s_cbranch_execz .LBB112_471
; %bb.470:
	v_div_scale_f64 v[148:149], s[18:19], v[228:229], v[228:229], v[230:231]
	v_rcp_f64_e32 v[150:151], v[148:149]
	v_div_scale_f64 v[156:157], vcc, v[230:231], v[228:229], v[230:231]
	v_fma_f64 v[158:159], -v[148:149], v[150:151], 1.0
	v_fmac_f64_e32 v[150:151], v[150:151], v[158:159]
	v_fma_f64 v[158:159], -v[148:149], v[150:151], 1.0
	v_fmac_f64_e32 v[150:151], v[150:151], v[158:159]
	v_mul_f64 v[158:159], v[156:157], v[150:151]
	v_fma_f64 v[148:149], -v[148:149], v[158:159], v[156:157]
	v_div_fmas_f64 v[148:149], v[148:149], v[150:151], v[158:159]
	v_div_fixup_f64 v[148:149], v[148:149], v[228:229], v[230:231]
	v_fmac_f64_e32 v[228:229], v[230:231], v[148:149]
	v_div_scale_f64 v[150:151], s[18:19], v[228:229], v[228:229], 1.0
	v_rcp_f64_e32 v[156:157], v[150:151]
	s_nop 0
	v_fma_f64 v[158:159], -v[150:151], v[156:157], 1.0
	v_fmac_f64_e32 v[156:157], v[156:157], v[158:159]
	v_fma_f64 v[158:159], -v[150:151], v[156:157], 1.0
	v_fmac_f64_e32 v[156:157], v[156:157], v[158:159]
	v_div_scale_f64 v[158:159], vcc, 1.0, v[228:229], 1.0
	v_mul_f64 v[220:221], v[158:159], v[156:157]
	v_fma_f64 v[150:151], -v[150:151], v[220:221], v[158:159]
	s_nop 1
	v_div_fmas_f64 v[150:151], v[150:151], v[156:157], v[220:221]
	v_div_fixup_f64 v[228:229], v[150:151], v[228:229], 1.0
	v_mul_f64 v[230:231], v[148:149], -v[228:229]
.LBB112_471:
	s_or_b64 exec, exec, s[16:17]
.LBB112_472:
	s_or_b64 exec, exec, s[0:1]
	v_cmp_ne_u32_e32 vcc, v241, v238
	s_and_saveexec_b64 s[0:1], vcc
	s_xor_b64 s[0:1], exec, s[0:1]
	s_cbranch_execz .LBB112_478
; %bb.473:
	v_cmp_eq_u32_e32 vcc, 22, v241
	s_and_saveexec_b64 s[16:17], vcc
	s_cbranch_execz .LBB112_477
; %bb.474:
	v_cmp_ne_u32_e32 vcc, 22, v238
	s_xor_b64 s[18:19], s[14:15], -1
	s_and_b64 s[22:23], s[18:19], vcc
	s_and_saveexec_b64 s[18:19], s[22:23]
	s_cbranch_execz .LBB112_476
; %bb.475:
	v_ashrrev_i32_e32 v239, 31, v238
	v_lshl_add_u64 v[148:149], v[238:239], 2, v[8:9]
	global_load_dword v150, v[148:149], off
	global_load_dword v151, v[8:9], off offset:88
	s_waitcnt vmcnt(1)
	global_store_dword v[8:9], v150, off offset:88
	s_waitcnt vmcnt(1)
	global_store_dword v[148:149], v151, off
.LBB112_476:
	s_or_b64 exec, exec, s[18:19]
	v_mov_b32_e32 v241, v238
	v_mov_b32_e32 v236, v238
.LBB112_477:
	s_or_b64 exec, exec, s[16:17]
.LBB112_478:
	s_andn2_saveexec_b64 s[0:1], s[0:1]
	s_cbranch_execz .LBB112_480
; %bb.479:
	v_mov_b32_e32 v241, 22
	ds_write2_b64 v240, v[128:129], v[130:131] offset0:46 offset1:47
	ds_write2_b64 v240, v[124:125], v[126:127] offset0:48 offset1:49
	;; [unrolled: 1-line block ×34, first 2 shown]
.LBB112_480:
	s_or_b64 exec, exec, s[0:1]
	v_cmp_lt_i32_e32 vcc, 22, v241
	s_waitcnt lgkmcnt(0)
	s_barrier
	s_and_saveexec_b64 s[0:1], vcc
	s_cbranch_execz .LBB112_482
; %bb.481:
	ds_read2_b64 v[244:247], v240 offset0:46 offset1:47
	v_mul_f64 v[148:149], v[230:231], v[134:135]
	v_mul_f64 v[134:135], v[228:229], v[134:135]
	v_fma_f64 v[238:239], v[228:229], v[132:133], -v[148:149]
	v_fmac_f64_e32 v[134:135], v[230:231], v[132:133]
	ds_read2_b64 v[228:231], v240 offset0:48 offset1:49
	s_waitcnt lgkmcnt(1)
	v_mul_f64 v[132:133], v[246:247], v[134:135]
	v_mul_f64 v[148:149], v[244:245], v[134:135]
	v_fma_f64 v[132:133], v[244:245], v[238:239], -v[132:133]
	v_fmac_f64_e32 v[148:149], v[246:247], v[238:239]
	ds_read2_b64 v[244:247], v240 offset0:50 offset1:51
	v_add_f64 v[128:129], v[128:129], -v[132:133]
	v_add_f64 v[130:131], v[130:131], -v[148:149]
	s_waitcnt lgkmcnt(1)
	v_mul_f64 v[132:133], v[230:231], v[134:135]
	v_mul_f64 v[148:149], v[228:229], v[134:135]
	v_fma_f64 v[132:133], v[228:229], v[238:239], -v[132:133]
	v_fmac_f64_e32 v[148:149], v[230:231], v[238:239]
	ds_read2_b64 v[228:231], v240 offset0:52 offset1:53
	v_add_f64 v[124:125], v[124:125], -v[132:133]
	v_add_f64 v[126:127], v[126:127], -v[148:149]
	;; [unrolled: 8-line block ×32, first 2 shown]
	s_waitcnt lgkmcnt(1)
	v_mul_f64 v[132:133], v[246:247], v[134:135]
	v_mul_f64 v[148:149], v[244:245], v[134:135]
	v_fma_f64 v[132:133], v[244:245], v[238:239], -v[132:133]
	v_fmac_f64_e32 v[148:149], v[246:247], v[238:239]
	v_add_f64 v[250:251], v[250:251], -v[132:133]
	v_add_f64 v[252:253], v[252:253], -v[148:149]
	s_waitcnt lgkmcnt(0)
	v_mul_f64 v[132:133], v[230:231], v[134:135]
	v_mul_f64 v[148:149], v[228:229], v[134:135]
	v_fma_f64 v[132:133], v[228:229], v[238:239], -v[132:133]
	v_fmac_f64_e32 v[148:149], v[230:231], v[238:239]
	v_add_f64 v[224:225], v[224:225], -v[132:133]
	v_add_f64 v[226:227], v[226:227], -v[148:149]
	v_mov_b64_e32 v[132:133], v[238:239]
.LBB112_482:
	s_or_b64 exec, exec, s[0:1]
	v_lshl_add_u32 v148, v241, 4, v240
	s_barrier
	ds_write2_b64 v148, v[128:129], v[130:131] offset1:1
	s_waitcnt lgkmcnt(0)
	s_barrier
	ds_read2_b64 v[228:231], v240 offset0:46 offset1:47
	s_cmp_lt_i32 s20, 25
	v_mov_b32_e32 v238, 23
	s_cbranch_scc1 .LBB112_485
; %bb.483:
	v_add_u32_e32 v239, 0x180, v240
	s_mov_b32 s0, 24
	v_mov_b32_e32 v238, 23
.LBB112_484:                            ; =>This Inner Loop Header: Depth=1
	ds_read2_b64 v[244:247], v239 offset1:1
	s_waitcnt lgkmcnt(1)
	v_cmp_gt_f64_e32 vcc, 0, v[228:229]
	v_xor_b32_e32 v148, 0x80000000, v229
	v_xor_b32_e32 v150, 0x80000000, v231
	v_cndmask_b32_e32 v149, v229, v148, vcc
	v_cmp_gt_f64_e32 vcc, 0, v[230:231]
	v_mov_b32_e32 v148, v228
	s_waitcnt lgkmcnt(0)
	v_xor_b32_e32 v156, 0x80000000, v247
	v_cndmask_b32_e32 v151, v231, v150, vcc
	v_mov_b32_e32 v150, v230
	v_add_f64 v[148:149], v[148:149], v[150:151]
	v_cmp_gt_f64_e32 vcc, 0, v[244:245]
	v_xor_b32_e32 v150, 0x80000000, v245
	v_add_u32_e32 v239, 16, v239
	v_cndmask_b32_e32 v151, v245, v150, vcc
	v_cmp_gt_f64_e32 vcc, 0, v[246:247]
	v_mov_b32_e32 v150, v244
	s_nop 0
	v_cndmask_b32_e32 v157, v247, v156, vcc
	v_mov_b32_e32 v156, v246
	v_add_f64 v[150:151], v[150:151], v[156:157]
	v_cmp_lt_f64_e32 vcc, v[148:149], v[150:151]
	v_mov_b32_e32 v148, s0
	s_add_i32 s0, s0, 1
	v_cndmask_b32_e32 v229, v229, v245, vcc
	v_cndmask_b32_e32 v228, v228, v244, vcc
	;; [unrolled: 1-line block ×5, first 2 shown]
	s_cmp_lg_u32 s20, s0
	s_cbranch_scc1 .LBB112_484
.LBB112_485:
	s_waitcnt lgkmcnt(0)
	v_cmp_eq_f64_e32 vcc, 0, v[228:229]
	v_cmp_eq_f64_e64 s[0:1], 0, v[230:231]
	s_and_b64 s[0:1], vcc, s[0:1]
	s_and_saveexec_b64 s[16:17], s[0:1]
	s_xor_b64 s[0:1], exec, s[16:17]
; %bb.486:
	v_cmp_ne_u32_e32 vcc, 0, v242
	s_nop 1
	v_cndmask_b32_e32 v242, 24, v242, vcc
; %bb.487:
	s_andn2_saveexec_b64 s[0:1], s[0:1]
	s_cbranch_execz .LBB112_493
; %bb.488:
	v_cmp_ngt_f64_e64 s[16:17], |v[228:229]|, |v[230:231]|
	s_and_saveexec_b64 s[18:19], s[16:17]
	s_xor_b64 s[16:17], exec, s[18:19]
	s_cbranch_execz .LBB112_490
; %bb.489:
	v_div_scale_f64 v[148:149], s[18:19], v[230:231], v[230:231], v[228:229]
	v_rcp_f64_e32 v[150:151], v[148:149]
	v_div_scale_f64 v[156:157], vcc, v[228:229], v[230:231], v[228:229]
	v_fma_f64 v[158:159], -v[148:149], v[150:151], 1.0
	v_fmac_f64_e32 v[150:151], v[150:151], v[158:159]
	v_fma_f64 v[158:159], -v[148:149], v[150:151], 1.0
	v_fmac_f64_e32 v[150:151], v[150:151], v[158:159]
	v_mul_f64 v[158:159], v[156:157], v[150:151]
	v_fma_f64 v[148:149], -v[148:149], v[158:159], v[156:157]
	v_div_fmas_f64 v[148:149], v[148:149], v[150:151], v[158:159]
	v_div_fixup_f64 v[148:149], v[148:149], v[230:231], v[228:229]
	v_fmac_f64_e32 v[230:231], v[228:229], v[148:149]
	v_div_scale_f64 v[150:151], s[18:19], v[230:231], v[230:231], 1.0
	v_rcp_f64_e32 v[156:157], v[150:151]
	s_nop 0
	v_fma_f64 v[158:159], -v[150:151], v[156:157], 1.0
	v_fmac_f64_e32 v[156:157], v[156:157], v[158:159]
	v_fma_f64 v[158:159], -v[150:151], v[156:157], 1.0
	v_fmac_f64_e32 v[156:157], v[156:157], v[158:159]
	v_div_scale_f64 v[158:159], vcc, 1.0, v[230:231], 1.0
	v_mul_f64 v[220:221], v[158:159], v[156:157]
	v_fma_f64 v[150:151], -v[150:151], v[220:221], v[158:159]
	s_nop 1
	v_div_fmas_f64 v[150:151], v[150:151], v[156:157], v[220:221]
	v_div_fixup_f64 v[230:231], v[150:151], v[230:231], 1.0
	v_mul_f64 v[228:229], v[148:149], v[230:231]
	v_xor_b32_e32 v231, 0x80000000, v231
.LBB112_490:
	s_andn2_saveexec_b64 s[16:17], s[16:17]
	s_cbranch_execz .LBB112_492
; %bb.491:
	v_div_scale_f64 v[148:149], s[18:19], v[228:229], v[228:229], v[230:231]
	v_rcp_f64_e32 v[150:151], v[148:149]
	v_div_scale_f64 v[156:157], vcc, v[230:231], v[228:229], v[230:231]
	v_fma_f64 v[158:159], -v[148:149], v[150:151], 1.0
	v_fmac_f64_e32 v[150:151], v[150:151], v[158:159]
	v_fma_f64 v[158:159], -v[148:149], v[150:151], 1.0
	v_fmac_f64_e32 v[150:151], v[150:151], v[158:159]
	v_mul_f64 v[158:159], v[156:157], v[150:151]
	v_fma_f64 v[148:149], -v[148:149], v[158:159], v[156:157]
	v_div_fmas_f64 v[148:149], v[148:149], v[150:151], v[158:159]
	v_div_fixup_f64 v[148:149], v[148:149], v[228:229], v[230:231]
	v_fmac_f64_e32 v[228:229], v[230:231], v[148:149]
	v_div_scale_f64 v[150:151], s[18:19], v[228:229], v[228:229], 1.0
	v_rcp_f64_e32 v[156:157], v[150:151]
	s_nop 0
	v_fma_f64 v[158:159], -v[150:151], v[156:157], 1.0
	v_fmac_f64_e32 v[156:157], v[156:157], v[158:159]
	v_fma_f64 v[158:159], -v[150:151], v[156:157], 1.0
	v_fmac_f64_e32 v[156:157], v[156:157], v[158:159]
	v_div_scale_f64 v[158:159], vcc, 1.0, v[228:229], 1.0
	v_mul_f64 v[220:221], v[158:159], v[156:157]
	v_fma_f64 v[150:151], -v[150:151], v[220:221], v[158:159]
	s_nop 1
	v_div_fmas_f64 v[150:151], v[150:151], v[156:157], v[220:221]
	v_div_fixup_f64 v[228:229], v[150:151], v[228:229], 1.0
	v_mul_f64 v[230:231], v[148:149], -v[228:229]
.LBB112_492:
	s_or_b64 exec, exec, s[16:17]
.LBB112_493:
	s_or_b64 exec, exec, s[0:1]
	v_cmp_ne_u32_e32 vcc, v241, v238
	s_and_saveexec_b64 s[0:1], vcc
	s_xor_b64 s[0:1], exec, s[0:1]
	s_cbranch_execz .LBB112_499
; %bb.494:
	v_cmp_eq_u32_e32 vcc, 23, v241
	s_and_saveexec_b64 s[16:17], vcc
	s_cbranch_execz .LBB112_498
; %bb.495:
	v_cmp_ne_u32_e32 vcc, 23, v238
	s_xor_b64 s[18:19], s[14:15], -1
	s_and_b64 s[22:23], s[18:19], vcc
	s_and_saveexec_b64 s[18:19], s[22:23]
	s_cbranch_execz .LBB112_497
; %bb.496:
	v_ashrrev_i32_e32 v239, 31, v238
	v_lshl_add_u64 v[148:149], v[238:239], 2, v[8:9]
	global_load_dword v150, v[148:149], off
	global_load_dword v151, v[8:9], off offset:92
	s_waitcnt vmcnt(1)
	global_store_dword v[8:9], v150, off offset:92
	s_waitcnt vmcnt(1)
	global_store_dword v[148:149], v151, off
.LBB112_497:
	s_or_b64 exec, exec, s[18:19]
	v_mov_b32_e32 v241, v238
	v_mov_b32_e32 v236, v238
.LBB112_498:
	s_or_b64 exec, exec, s[16:17]
.LBB112_499:
	s_andn2_saveexec_b64 s[0:1], s[0:1]
	s_cbranch_execz .LBB112_501
; %bb.500:
	v_mov_b32_e32 v241, 23
	ds_write2_b64 v240, v[124:125], v[126:127] offset0:48 offset1:49
	ds_write2_b64 v240, v[120:121], v[122:123] offset0:50 offset1:51
	;; [unrolled: 1-line block ×33, first 2 shown]
.LBB112_501:
	s_or_b64 exec, exec, s[0:1]
	v_cmp_lt_i32_e32 vcc, 23, v241
	s_waitcnt lgkmcnt(0)
	s_barrier
	s_and_saveexec_b64 s[0:1], vcc
	s_cbranch_execz .LBB112_503
; %bb.502:
	ds_read2_b64 v[244:247], v240 offset0:48 offset1:49
	v_mul_f64 v[148:149], v[230:231], v[130:131]
	v_mul_f64 v[130:131], v[228:229], v[130:131]
	v_fma_f64 v[238:239], v[228:229], v[128:129], -v[148:149]
	v_fmac_f64_e32 v[130:131], v[230:231], v[128:129]
	ds_read2_b64 v[228:231], v240 offset0:50 offset1:51
	s_waitcnt lgkmcnt(1)
	v_mul_f64 v[128:129], v[246:247], v[130:131]
	v_mul_f64 v[148:149], v[244:245], v[130:131]
	v_fma_f64 v[128:129], v[244:245], v[238:239], -v[128:129]
	v_fmac_f64_e32 v[148:149], v[246:247], v[238:239]
	ds_read2_b64 v[244:247], v240 offset0:52 offset1:53
	v_add_f64 v[124:125], v[124:125], -v[128:129]
	v_add_f64 v[126:127], v[126:127], -v[148:149]
	s_waitcnt lgkmcnt(1)
	v_mul_f64 v[128:129], v[230:231], v[130:131]
	v_mul_f64 v[148:149], v[228:229], v[130:131]
	v_fma_f64 v[128:129], v[228:229], v[238:239], -v[128:129]
	v_fmac_f64_e32 v[148:149], v[230:231], v[238:239]
	ds_read2_b64 v[228:231], v240 offset0:54 offset1:55
	v_add_f64 v[120:121], v[120:121], -v[128:129]
	v_add_f64 v[122:123], v[122:123], -v[148:149]
	;; [unrolled: 8-line block ×31, first 2 shown]
	s_waitcnt lgkmcnt(1)
	v_mul_f64 v[128:129], v[230:231], v[130:131]
	v_mul_f64 v[148:149], v[228:229], v[130:131]
	v_fma_f64 v[128:129], v[228:229], v[238:239], -v[128:129]
	v_fmac_f64_e32 v[148:149], v[230:231], v[238:239]
	v_add_f64 v[250:251], v[250:251], -v[128:129]
	v_add_f64 v[252:253], v[252:253], -v[148:149]
	s_waitcnt lgkmcnt(0)
	v_mul_f64 v[128:129], v[246:247], v[130:131]
	v_mul_f64 v[148:149], v[244:245], v[130:131]
	v_fma_f64 v[128:129], v[244:245], v[238:239], -v[128:129]
	v_fmac_f64_e32 v[148:149], v[246:247], v[238:239]
	v_add_f64 v[224:225], v[224:225], -v[128:129]
	v_add_f64 v[226:227], v[226:227], -v[148:149]
	v_mov_b64_e32 v[128:129], v[238:239]
.LBB112_503:
	s_or_b64 exec, exec, s[0:1]
	v_lshl_add_u32 v148, v241, 4, v240
	s_barrier
	ds_write2_b64 v148, v[124:125], v[126:127] offset1:1
	s_waitcnt lgkmcnt(0)
	s_barrier
	ds_read2_b64 v[228:231], v240 offset0:48 offset1:49
	s_cmp_lt_i32 s20, 26
	v_mov_b32_e32 v238, 24
	s_cbranch_scc1 .LBB112_506
; %bb.504:
	v_add_u32_e32 v239, 0x190, v240
	s_mov_b32 s0, 25
	v_mov_b32_e32 v238, 24
.LBB112_505:                            ; =>This Inner Loop Header: Depth=1
	ds_read2_b64 v[244:247], v239 offset1:1
	s_waitcnt lgkmcnt(1)
	v_cmp_gt_f64_e32 vcc, 0, v[228:229]
	v_xor_b32_e32 v148, 0x80000000, v229
	v_xor_b32_e32 v150, 0x80000000, v231
	v_cndmask_b32_e32 v149, v229, v148, vcc
	v_cmp_gt_f64_e32 vcc, 0, v[230:231]
	v_mov_b32_e32 v148, v228
	s_waitcnt lgkmcnt(0)
	v_xor_b32_e32 v156, 0x80000000, v247
	v_cndmask_b32_e32 v151, v231, v150, vcc
	v_mov_b32_e32 v150, v230
	v_add_f64 v[148:149], v[148:149], v[150:151]
	v_cmp_gt_f64_e32 vcc, 0, v[244:245]
	v_xor_b32_e32 v150, 0x80000000, v245
	v_add_u32_e32 v239, 16, v239
	v_cndmask_b32_e32 v151, v245, v150, vcc
	v_cmp_gt_f64_e32 vcc, 0, v[246:247]
	v_mov_b32_e32 v150, v244
	s_nop 0
	v_cndmask_b32_e32 v157, v247, v156, vcc
	v_mov_b32_e32 v156, v246
	v_add_f64 v[150:151], v[150:151], v[156:157]
	v_cmp_lt_f64_e32 vcc, v[148:149], v[150:151]
	v_mov_b32_e32 v148, s0
	s_add_i32 s0, s0, 1
	v_cndmask_b32_e32 v229, v229, v245, vcc
	v_cndmask_b32_e32 v228, v228, v244, vcc
	;; [unrolled: 1-line block ×5, first 2 shown]
	s_cmp_lg_u32 s20, s0
	s_cbranch_scc1 .LBB112_505
.LBB112_506:
	s_waitcnt lgkmcnt(0)
	v_cmp_eq_f64_e32 vcc, 0, v[228:229]
	v_cmp_eq_f64_e64 s[0:1], 0, v[230:231]
	s_and_b64 s[0:1], vcc, s[0:1]
	s_and_saveexec_b64 s[16:17], s[0:1]
	s_xor_b64 s[0:1], exec, s[16:17]
; %bb.507:
	v_cmp_ne_u32_e32 vcc, 0, v242
	s_nop 1
	v_cndmask_b32_e32 v242, 25, v242, vcc
; %bb.508:
	s_andn2_saveexec_b64 s[0:1], s[0:1]
	s_cbranch_execz .LBB112_514
; %bb.509:
	v_cmp_ngt_f64_e64 s[16:17], |v[228:229]|, |v[230:231]|
	s_and_saveexec_b64 s[18:19], s[16:17]
	s_xor_b64 s[16:17], exec, s[18:19]
	s_cbranch_execz .LBB112_511
; %bb.510:
	v_div_scale_f64 v[148:149], s[18:19], v[230:231], v[230:231], v[228:229]
	v_rcp_f64_e32 v[150:151], v[148:149]
	v_div_scale_f64 v[156:157], vcc, v[228:229], v[230:231], v[228:229]
	v_fma_f64 v[158:159], -v[148:149], v[150:151], 1.0
	v_fmac_f64_e32 v[150:151], v[150:151], v[158:159]
	v_fma_f64 v[158:159], -v[148:149], v[150:151], 1.0
	v_fmac_f64_e32 v[150:151], v[150:151], v[158:159]
	v_mul_f64 v[158:159], v[156:157], v[150:151]
	v_fma_f64 v[148:149], -v[148:149], v[158:159], v[156:157]
	v_div_fmas_f64 v[148:149], v[148:149], v[150:151], v[158:159]
	v_div_fixup_f64 v[148:149], v[148:149], v[230:231], v[228:229]
	v_fmac_f64_e32 v[230:231], v[228:229], v[148:149]
	v_div_scale_f64 v[150:151], s[18:19], v[230:231], v[230:231], 1.0
	v_rcp_f64_e32 v[156:157], v[150:151]
	s_nop 0
	v_fma_f64 v[158:159], -v[150:151], v[156:157], 1.0
	v_fmac_f64_e32 v[156:157], v[156:157], v[158:159]
	v_fma_f64 v[158:159], -v[150:151], v[156:157], 1.0
	v_fmac_f64_e32 v[156:157], v[156:157], v[158:159]
	v_div_scale_f64 v[158:159], vcc, 1.0, v[230:231], 1.0
	v_mul_f64 v[220:221], v[158:159], v[156:157]
	v_fma_f64 v[150:151], -v[150:151], v[220:221], v[158:159]
	s_nop 1
	v_div_fmas_f64 v[150:151], v[150:151], v[156:157], v[220:221]
	v_div_fixup_f64 v[230:231], v[150:151], v[230:231], 1.0
	v_mul_f64 v[228:229], v[148:149], v[230:231]
	v_xor_b32_e32 v231, 0x80000000, v231
.LBB112_511:
	s_andn2_saveexec_b64 s[16:17], s[16:17]
	s_cbranch_execz .LBB112_513
; %bb.512:
	v_div_scale_f64 v[148:149], s[18:19], v[228:229], v[228:229], v[230:231]
	v_rcp_f64_e32 v[150:151], v[148:149]
	v_div_scale_f64 v[156:157], vcc, v[230:231], v[228:229], v[230:231]
	v_fma_f64 v[158:159], -v[148:149], v[150:151], 1.0
	v_fmac_f64_e32 v[150:151], v[150:151], v[158:159]
	v_fma_f64 v[158:159], -v[148:149], v[150:151], 1.0
	v_fmac_f64_e32 v[150:151], v[150:151], v[158:159]
	v_mul_f64 v[158:159], v[156:157], v[150:151]
	v_fma_f64 v[148:149], -v[148:149], v[158:159], v[156:157]
	v_div_fmas_f64 v[148:149], v[148:149], v[150:151], v[158:159]
	v_div_fixup_f64 v[148:149], v[148:149], v[228:229], v[230:231]
	v_fmac_f64_e32 v[228:229], v[230:231], v[148:149]
	v_div_scale_f64 v[150:151], s[18:19], v[228:229], v[228:229], 1.0
	v_rcp_f64_e32 v[156:157], v[150:151]
	s_nop 0
	v_fma_f64 v[158:159], -v[150:151], v[156:157], 1.0
	v_fmac_f64_e32 v[156:157], v[156:157], v[158:159]
	v_fma_f64 v[158:159], -v[150:151], v[156:157], 1.0
	v_fmac_f64_e32 v[156:157], v[156:157], v[158:159]
	v_div_scale_f64 v[158:159], vcc, 1.0, v[228:229], 1.0
	v_mul_f64 v[220:221], v[158:159], v[156:157]
	v_fma_f64 v[150:151], -v[150:151], v[220:221], v[158:159]
	s_nop 1
	v_div_fmas_f64 v[150:151], v[150:151], v[156:157], v[220:221]
	v_div_fixup_f64 v[228:229], v[150:151], v[228:229], 1.0
	v_mul_f64 v[230:231], v[148:149], -v[228:229]
.LBB112_513:
	s_or_b64 exec, exec, s[16:17]
.LBB112_514:
	s_or_b64 exec, exec, s[0:1]
	v_cmp_ne_u32_e32 vcc, v241, v238
	s_and_saveexec_b64 s[0:1], vcc
	s_xor_b64 s[0:1], exec, s[0:1]
	s_cbranch_execz .LBB112_520
; %bb.515:
	v_cmp_eq_u32_e32 vcc, 24, v241
	s_and_saveexec_b64 s[16:17], vcc
	s_cbranch_execz .LBB112_519
; %bb.516:
	v_cmp_ne_u32_e32 vcc, 24, v238
	s_xor_b64 s[18:19], s[14:15], -1
	s_and_b64 s[22:23], s[18:19], vcc
	s_and_saveexec_b64 s[18:19], s[22:23]
	s_cbranch_execz .LBB112_518
; %bb.517:
	v_ashrrev_i32_e32 v239, 31, v238
	v_lshl_add_u64 v[148:149], v[238:239], 2, v[8:9]
	global_load_dword v150, v[148:149], off
	global_load_dword v151, v[8:9], off offset:96
	s_waitcnt vmcnt(1)
	global_store_dword v[8:9], v150, off offset:96
	s_waitcnt vmcnt(1)
	global_store_dword v[148:149], v151, off
.LBB112_518:
	s_or_b64 exec, exec, s[18:19]
	v_mov_b32_e32 v241, v238
	v_mov_b32_e32 v236, v238
.LBB112_519:
	s_or_b64 exec, exec, s[16:17]
.LBB112_520:
	s_andn2_saveexec_b64 s[0:1], s[0:1]
	s_cbranch_execz .LBB112_522
; %bb.521:
	v_mov_b32_e32 v241, 24
	ds_write2_b64 v240, v[120:121], v[122:123] offset0:50 offset1:51
	ds_write2_b64 v240, v[116:117], v[118:119] offset0:52 offset1:53
	;; [unrolled: 1-line block ×32, first 2 shown]
.LBB112_522:
	s_or_b64 exec, exec, s[0:1]
	v_cmp_lt_i32_e32 vcc, 24, v241
	s_waitcnt lgkmcnt(0)
	s_barrier
	s_and_saveexec_b64 s[0:1], vcc
	s_cbranch_execz .LBB112_524
; %bb.523:
	ds_read2_b64 v[244:247], v240 offset0:50 offset1:51
	v_mul_f64 v[148:149], v[230:231], v[126:127]
	v_mul_f64 v[126:127], v[228:229], v[126:127]
	v_fma_f64 v[238:239], v[228:229], v[124:125], -v[148:149]
	v_fmac_f64_e32 v[126:127], v[230:231], v[124:125]
	ds_read2_b64 v[228:231], v240 offset0:52 offset1:53
	s_waitcnt lgkmcnt(1)
	v_mul_f64 v[124:125], v[246:247], v[126:127]
	v_mul_f64 v[148:149], v[244:245], v[126:127]
	v_fma_f64 v[124:125], v[244:245], v[238:239], -v[124:125]
	v_fmac_f64_e32 v[148:149], v[246:247], v[238:239]
	ds_read2_b64 v[244:247], v240 offset0:54 offset1:55
	v_add_f64 v[120:121], v[120:121], -v[124:125]
	v_add_f64 v[122:123], v[122:123], -v[148:149]
	s_waitcnt lgkmcnt(1)
	v_mul_f64 v[124:125], v[230:231], v[126:127]
	v_mul_f64 v[148:149], v[228:229], v[126:127]
	v_fma_f64 v[124:125], v[228:229], v[238:239], -v[124:125]
	v_fmac_f64_e32 v[148:149], v[230:231], v[238:239]
	ds_read2_b64 v[228:231], v240 offset0:56 offset1:57
	v_add_f64 v[116:117], v[116:117], -v[124:125]
	v_add_f64 v[118:119], v[118:119], -v[148:149]
	;; [unrolled: 8-line block ×30, first 2 shown]
	s_waitcnt lgkmcnt(1)
	v_mul_f64 v[124:125], v[246:247], v[126:127]
	v_mul_f64 v[148:149], v[244:245], v[126:127]
	v_fma_f64 v[124:125], v[244:245], v[238:239], -v[124:125]
	v_fmac_f64_e32 v[148:149], v[246:247], v[238:239]
	v_add_f64 v[250:251], v[250:251], -v[124:125]
	v_add_f64 v[252:253], v[252:253], -v[148:149]
	s_waitcnt lgkmcnt(0)
	v_mul_f64 v[124:125], v[230:231], v[126:127]
	v_mul_f64 v[148:149], v[228:229], v[126:127]
	v_fma_f64 v[124:125], v[228:229], v[238:239], -v[124:125]
	v_fmac_f64_e32 v[148:149], v[230:231], v[238:239]
	v_add_f64 v[224:225], v[224:225], -v[124:125]
	v_add_f64 v[226:227], v[226:227], -v[148:149]
	v_mov_b64_e32 v[124:125], v[238:239]
.LBB112_524:
	s_or_b64 exec, exec, s[0:1]
	v_lshl_add_u32 v148, v241, 4, v240
	s_barrier
	ds_write2_b64 v148, v[120:121], v[122:123] offset1:1
	s_waitcnt lgkmcnt(0)
	s_barrier
	ds_read2_b64 v[228:231], v240 offset0:50 offset1:51
	s_cmp_lt_i32 s20, 27
	v_mov_b32_e32 v238, 25
	s_cbranch_scc1 .LBB112_527
; %bb.525:
	v_add_u32_e32 v239, 0x1a0, v240
	s_mov_b32 s0, 26
	v_mov_b32_e32 v238, 25
.LBB112_526:                            ; =>This Inner Loop Header: Depth=1
	ds_read2_b64 v[244:247], v239 offset1:1
	s_waitcnt lgkmcnt(1)
	v_cmp_gt_f64_e32 vcc, 0, v[228:229]
	v_xor_b32_e32 v148, 0x80000000, v229
	v_xor_b32_e32 v150, 0x80000000, v231
	v_cndmask_b32_e32 v149, v229, v148, vcc
	v_cmp_gt_f64_e32 vcc, 0, v[230:231]
	v_mov_b32_e32 v148, v228
	s_waitcnt lgkmcnt(0)
	v_xor_b32_e32 v156, 0x80000000, v247
	v_cndmask_b32_e32 v151, v231, v150, vcc
	v_mov_b32_e32 v150, v230
	v_add_f64 v[148:149], v[148:149], v[150:151]
	v_cmp_gt_f64_e32 vcc, 0, v[244:245]
	v_xor_b32_e32 v150, 0x80000000, v245
	v_add_u32_e32 v239, 16, v239
	v_cndmask_b32_e32 v151, v245, v150, vcc
	v_cmp_gt_f64_e32 vcc, 0, v[246:247]
	v_mov_b32_e32 v150, v244
	s_nop 0
	v_cndmask_b32_e32 v157, v247, v156, vcc
	v_mov_b32_e32 v156, v246
	v_add_f64 v[150:151], v[150:151], v[156:157]
	v_cmp_lt_f64_e32 vcc, v[148:149], v[150:151]
	v_mov_b32_e32 v148, s0
	s_add_i32 s0, s0, 1
	v_cndmask_b32_e32 v229, v229, v245, vcc
	v_cndmask_b32_e32 v228, v228, v244, vcc
	;; [unrolled: 1-line block ×5, first 2 shown]
	s_cmp_lg_u32 s20, s0
	s_cbranch_scc1 .LBB112_526
.LBB112_527:
	s_waitcnt lgkmcnt(0)
	v_cmp_eq_f64_e32 vcc, 0, v[228:229]
	v_cmp_eq_f64_e64 s[0:1], 0, v[230:231]
	s_and_b64 s[0:1], vcc, s[0:1]
	s_and_saveexec_b64 s[16:17], s[0:1]
	s_xor_b64 s[0:1], exec, s[16:17]
; %bb.528:
	v_cmp_ne_u32_e32 vcc, 0, v242
	s_nop 1
	v_cndmask_b32_e32 v242, 26, v242, vcc
; %bb.529:
	s_andn2_saveexec_b64 s[0:1], s[0:1]
	s_cbranch_execz .LBB112_535
; %bb.530:
	v_cmp_ngt_f64_e64 s[16:17], |v[228:229]|, |v[230:231]|
	s_and_saveexec_b64 s[18:19], s[16:17]
	s_xor_b64 s[16:17], exec, s[18:19]
	s_cbranch_execz .LBB112_532
; %bb.531:
	v_div_scale_f64 v[148:149], s[18:19], v[230:231], v[230:231], v[228:229]
	v_rcp_f64_e32 v[150:151], v[148:149]
	v_div_scale_f64 v[156:157], vcc, v[228:229], v[230:231], v[228:229]
	v_fma_f64 v[158:159], -v[148:149], v[150:151], 1.0
	v_fmac_f64_e32 v[150:151], v[150:151], v[158:159]
	v_fma_f64 v[158:159], -v[148:149], v[150:151], 1.0
	v_fmac_f64_e32 v[150:151], v[150:151], v[158:159]
	v_mul_f64 v[158:159], v[156:157], v[150:151]
	v_fma_f64 v[148:149], -v[148:149], v[158:159], v[156:157]
	v_div_fmas_f64 v[148:149], v[148:149], v[150:151], v[158:159]
	v_div_fixup_f64 v[148:149], v[148:149], v[230:231], v[228:229]
	v_fmac_f64_e32 v[230:231], v[228:229], v[148:149]
	v_div_scale_f64 v[150:151], s[18:19], v[230:231], v[230:231], 1.0
	v_rcp_f64_e32 v[156:157], v[150:151]
	s_nop 0
	v_fma_f64 v[158:159], -v[150:151], v[156:157], 1.0
	v_fmac_f64_e32 v[156:157], v[156:157], v[158:159]
	v_fma_f64 v[158:159], -v[150:151], v[156:157], 1.0
	v_fmac_f64_e32 v[156:157], v[156:157], v[158:159]
	v_div_scale_f64 v[158:159], vcc, 1.0, v[230:231], 1.0
	v_mul_f64 v[220:221], v[158:159], v[156:157]
	v_fma_f64 v[150:151], -v[150:151], v[220:221], v[158:159]
	s_nop 1
	v_div_fmas_f64 v[150:151], v[150:151], v[156:157], v[220:221]
	v_div_fixup_f64 v[230:231], v[150:151], v[230:231], 1.0
	v_mul_f64 v[228:229], v[148:149], v[230:231]
	v_xor_b32_e32 v231, 0x80000000, v231
.LBB112_532:
	s_andn2_saveexec_b64 s[16:17], s[16:17]
	s_cbranch_execz .LBB112_534
; %bb.533:
	v_div_scale_f64 v[148:149], s[18:19], v[228:229], v[228:229], v[230:231]
	v_rcp_f64_e32 v[150:151], v[148:149]
	v_div_scale_f64 v[156:157], vcc, v[230:231], v[228:229], v[230:231]
	v_fma_f64 v[158:159], -v[148:149], v[150:151], 1.0
	v_fmac_f64_e32 v[150:151], v[150:151], v[158:159]
	v_fma_f64 v[158:159], -v[148:149], v[150:151], 1.0
	v_fmac_f64_e32 v[150:151], v[150:151], v[158:159]
	v_mul_f64 v[158:159], v[156:157], v[150:151]
	v_fma_f64 v[148:149], -v[148:149], v[158:159], v[156:157]
	v_div_fmas_f64 v[148:149], v[148:149], v[150:151], v[158:159]
	v_div_fixup_f64 v[148:149], v[148:149], v[228:229], v[230:231]
	v_fmac_f64_e32 v[228:229], v[230:231], v[148:149]
	v_div_scale_f64 v[150:151], s[18:19], v[228:229], v[228:229], 1.0
	v_rcp_f64_e32 v[156:157], v[150:151]
	s_nop 0
	v_fma_f64 v[158:159], -v[150:151], v[156:157], 1.0
	v_fmac_f64_e32 v[156:157], v[156:157], v[158:159]
	v_fma_f64 v[158:159], -v[150:151], v[156:157], 1.0
	v_fmac_f64_e32 v[156:157], v[156:157], v[158:159]
	v_div_scale_f64 v[158:159], vcc, 1.0, v[228:229], 1.0
	v_mul_f64 v[220:221], v[158:159], v[156:157]
	v_fma_f64 v[150:151], -v[150:151], v[220:221], v[158:159]
	s_nop 1
	v_div_fmas_f64 v[150:151], v[150:151], v[156:157], v[220:221]
	v_div_fixup_f64 v[228:229], v[150:151], v[228:229], 1.0
	v_mul_f64 v[230:231], v[148:149], -v[228:229]
.LBB112_534:
	s_or_b64 exec, exec, s[16:17]
.LBB112_535:
	s_or_b64 exec, exec, s[0:1]
	v_cmp_ne_u32_e32 vcc, v241, v238
	s_and_saveexec_b64 s[0:1], vcc
	s_xor_b64 s[0:1], exec, s[0:1]
	s_cbranch_execz .LBB112_541
; %bb.536:
	v_cmp_eq_u32_e32 vcc, 25, v241
	s_and_saveexec_b64 s[16:17], vcc
	s_cbranch_execz .LBB112_540
; %bb.537:
	v_cmp_ne_u32_e32 vcc, 25, v238
	s_xor_b64 s[18:19], s[14:15], -1
	s_and_b64 s[22:23], s[18:19], vcc
	s_and_saveexec_b64 s[18:19], s[22:23]
	s_cbranch_execz .LBB112_539
; %bb.538:
	v_ashrrev_i32_e32 v239, 31, v238
	v_lshl_add_u64 v[148:149], v[238:239], 2, v[8:9]
	global_load_dword v150, v[148:149], off
	global_load_dword v151, v[8:9], off offset:100
	s_waitcnt vmcnt(1)
	global_store_dword v[8:9], v150, off offset:100
	s_waitcnt vmcnt(1)
	global_store_dword v[148:149], v151, off
.LBB112_539:
	s_or_b64 exec, exec, s[18:19]
	v_mov_b32_e32 v241, v238
	v_mov_b32_e32 v236, v238
.LBB112_540:
	s_or_b64 exec, exec, s[16:17]
.LBB112_541:
	s_andn2_saveexec_b64 s[0:1], s[0:1]
	s_cbranch_execz .LBB112_543
; %bb.542:
	v_mov_b32_e32 v241, 25
	ds_write2_b64 v240, v[116:117], v[118:119] offset0:52 offset1:53
	ds_write2_b64 v240, v[112:113], v[114:115] offset0:54 offset1:55
	ds_write2_b64 v240, v[108:109], v[110:111] offset0:56 offset1:57
	ds_write2_b64 v240, v[104:105], v[106:107] offset0:58 offset1:59
	ds_write2_b64 v240, v[100:101], v[102:103] offset0:60 offset1:61
	ds_write2_b64 v240, v[96:97], v[98:99] offset0:62 offset1:63
	ds_write2_b64 v240, v[92:93], v[94:95] offset0:64 offset1:65
	ds_write2_b64 v240, v[88:89], v[90:91] offset0:66 offset1:67
	ds_write2_b64 v240, v[84:85], v[86:87] offset0:68 offset1:69
	ds_write2_b64 v240, v[80:81], v[82:83] offset0:70 offset1:71
	ds_write2_b64 v240, v[76:77], v[78:79] offset0:72 offset1:73
	ds_write2_b64 v240, v[72:73], v[74:75] offset0:74 offset1:75
	ds_write2_b64 v240, v[68:69], v[70:71] offset0:76 offset1:77
	ds_write2_b64 v240, v[64:65], v[66:67] offset0:78 offset1:79
	ds_write2_b64 v240, v[60:61], v[62:63] offset0:80 offset1:81
	ds_write2_b64 v240, v[56:57], v[58:59] offset0:82 offset1:83
	ds_write2_b64 v240, v[52:53], v[54:55] offset0:84 offset1:85
	ds_write2_b64 v240, v[48:49], v[50:51] offset0:86 offset1:87
	ds_write2_b64 v240, v[44:45], v[46:47] offset0:88 offset1:89
	ds_write2_b64 v240, v[40:41], v[42:43] offset0:90 offset1:91
	ds_write2_b64 v240, v[36:37], v[38:39] offset0:92 offset1:93
	ds_write2_b64 v240, v[32:33], v[34:35] offset0:94 offset1:95
	ds_write2_b64 v240, v[28:29], v[30:31] offset0:96 offset1:97
	ds_write2_b64 v240, v[24:25], v[26:27] offset0:98 offset1:99
	ds_write2_b64 v240, v[20:21], v[22:23] offset0:100 offset1:101
	ds_write2_b64 v240, v[16:17], v[18:19] offset0:102 offset1:103
	ds_write2_b64 v240, v[12:13], v[14:15] offset0:104 offset1:105
	ds_write2_b64 v240, v[212:213], v[214:215] offset0:106 offset1:107
	ds_write2_b64 v240, v[4:5], v[6:7] offset0:108 offset1:109
	ds_write2_b64 v240, v[250:251], v[252:253] offset0:110 offset1:111
	ds_write2_b64 v240, v[224:225], v[226:227] offset0:112 offset1:113
.LBB112_543:
	s_or_b64 exec, exec, s[0:1]
	v_cmp_lt_i32_e32 vcc, 25, v241
	s_waitcnt lgkmcnt(0)
	s_barrier
	s_and_saveexec_b64 s[0:1], vcc
	s_cbranch_execz .LBB112_545
; %bb.544:
	ds_read2_b64 v[244:247], v240 offset0:52 offset1:53
	v_mul_f64 v[148:149], v[230:231], v[122:123]
	v_mul_f64 v[122:123], v[228:229], v[122:123]
	v_fma_f64 v[238:239], v[228:229], v[120:121], -v[148:149]
	v_fmac_f64_e32 v[122:123], v[230:231], v[120:121]
	ds_read2_b64 v[228:231], v240 offset0:54 offset1:55
	s_waitcnt lgkmcnt(1)
	v_mul_f64 v[120:121], v[246:247], v[122:123]
	v_mul_f64 v[148:149], v[244:245], v[122:123]
	v_fma_f64 v[120:121], v[244:245], v[238:239], -v[120:121]
	v_fmac_f64_e32 v[148:149], v[246:247], v[238:239]
	ds_read2_b64 v[244:247], v240 offset0:56 offset1:57
	v_add_f64 v[116:117], v[116:117], -v[120:121]
	v_add_f64 v[118:119], v[118:119], -v[148:149]
	s_waitcnt lgkmcnt(1)
	v_mul_f64 v[120:121], v[230:231], v[122:123]
	v_mul_f64 v[148:149], v[228:229], v[122:123]
	v_fma_f64 v[120:121], v[228:229], v[238:239], -v[120:121]
	v_fmac_f64_e32 v[148:149], v[230:231], v[238:239]
	ds_read2_b64 v[228:231], v240 offset0:58 offset1:59
	v_add_f64 v[112:113], v[112:113], -v[120:121]
	v_add_f64 v[114:115], v[114:115], -v[148:149]
	;; [unrolled: 8-line block ×29, first 2 shown]
	s_waitcnt lgkmcnt(1)
	v_mul_f64 v[120:121], v[230:231], v[122:123]
	v_mul_f64 v[148:149], v[228:229], v[122:123]
	v_fma_f64 v[120:121], v[228:229], v[238:239], -v[120:121]
	v_fmac_f64_e32 v[148:149], v[230:231], v[238:239]
	v_add_f64 v[250:251], v[250:251], -v[120:121]
	v_add_f64 v[252:253], v[252:253], -v[148:149]
	s_waitcnt lgkmcnt(0)
	v_mul_f64 v[120:121], v[246:247], v[122:123]
	v_mul_f64 v[148:149], v[244:245], v[122:123]
	v_fma_f64 v[120:121], v[244:245], v[238:239], -v[120:121]
	v_fmac_f64_e32 v[148:149], v[246:247], v[238:239]
	v_add_f64 v[224:225], v[224:225], -v[120:121]
	v_add_f64 v[226:227], v[226:227], -v[148:149]
	v_mov_b64_e32 v[120:121], v[238:239]
.LBB112_545:
	s_or_b64 exec, exec, s[0:1]
	v_lshl_add_u32 v148, v241, 4, v240
	s_barrier
	ds_write2_b64 v148, v[116:117], v[118:119] offset1:1
	s_waitcnt lgkmcnt(0)
	s_barrier
	ds_read2_b64 v[228:231], v240 offset0:52 offset1:53
	s_cmp_lt_i32 s20, 28
	v_mov_b32_e32 v238, 26
	s_cbranch_scc1 .LBB112_548
; %bb.546:
	v_add_u32_e32 v239, 0x1b0, v240
	s_mov_b32 s0, 27
	v_mov_b32_e32 v238, 26
.LBB112_547:                            ; =>This Inner Loop Header: Depth=1
	ds_read2_b64 v[244:247], v239 offset1:1
	s_waitcnt lgkmcnt(1)
	v_cmp_gt_f64_e32 vcc, 0, v[228:229]
	v_xor_b32_e32 v148, 0x80000000, v229
	v_xor_b32_e32 v150, 0x80000000, v231
	v_cndmask_b32_e32 v149, v229, v148, vcc
	v_cmp_gt_f64_e32 vcc, 0, v[230:231]
	v_mov_b32_e32 v148, v228
	s_waitcnt lgkmcnt(0)
	v_xor_b32_e32 v156, 0x80000000, v247
	v_cndmask_b32_e32 v151, v231, v150, vcc
	v_mov_b32_e32 v150, v230
	v_add_f64 v[148:149], v[148:149], v[150:151]
	v_cmp_gt_f64_e32 vcc, 0, v[244:245]
	v_xor_b32_e32 v150, 0x80000000, v245
	v_add_u32_e32 v239, 16, v239
	v_cndmask_b32_e32 v151, v245, v150, vcc
	v_cmp_gt_f64_e32 vcc, 0, v[246:247]
	v_mov_b32_e32 v150, v244
	s_nop 0
	v_cndmask_b32_e32 v157, v247, v156, vcc
	v_mov_b32_e32 v156, v246
	v_add_f64 v[150:151], v[150:151], v[156:157]
	v_cmp_lt_f64_e32 vcc, v[148:149], v[150:151]
	v_mov_b32_e32 v148, s0
	s_add_i32 s0, s0, 1
	v_cndmask_b32_e32 v229, v229, v245, vcc
	v_cndmask_b32_e32 v228, v228, v244, vcc
	;; [unrolled: 1-line block ×5, first 2 shown]
	s_cmp_lg_u32 s20, s0
	s_cbranch_scc1 .LBB112_547
.LBB112_548:
	s_waitcnt lgkmcnt(0)
	v_cmp_eq_f64_e32 vcc, 0, v[228:229]
	v_cmp_eq_f64_e64 s[0:1], 0, v[230:231]
	s_and_b64 s[0:1], vcc, s[0:1]
	s_and_saveexec_b64 s[16:17], s[0:1]
	s_xor_b64 s[0:1], exec, s[16:17]
; %bb.549:
	v_cmp_ne_u32_e32 vcc, 0, v242
	s_nop 1
	v_cndmask_b32_e32 v242, 27, v242, vcc
; %bb.550:
	s_andn2_saveexec_b64 s[0:1], s[0:1]
	s_cbranch_execz .LBB112_556
; %bb.551:
	v_cmp_ngt_f64_e64 s[16:17], |v[228:229]|, |v[230:231]|
	s_and_saveexec_b64 s[18:19], s[16:17]
	s_xor_b64 s[16:17], exec, s[18:19]
	s_cbranch_execz .LBB112_553
; %bb.552:
	v_div_scale_f64 v[148:149], s[18:19], v[230:231], v[230:231], v[228:229]
	v_rcp_f64_e32 v[150:151], v[148:149]
	v_div_scale_f64 v[156:157], vcc, v[228:229], v[230:231], v[228:229]
	v_fma_f64 v[158:159], -v[148:149], v[150:151], 1.0
	v_fmac_f64_e32 v[150:151], v[150:151], v[158:159]
	v_fma_f64 v[158:159], -v[148:149], v[150:151], 1.0
	v_fmac_f64_e32 v[150:151], v[150:151], v[158:159]
	v_mul_f64 v[158:159], v[156:157], v[150:151]
	v_fma_f64 v[148:149], -v[148:149], v[158:159], v[156:157]
	v_div_fmas_f64 v[148:149], v[148:149], v[150:151], v[158:159]
	v_div_fixup_f64 v[148:149], v[148:149], v[230:231], v[228:229]
	v_fmac_f64_e32 v[230:231], v[228:229], v[148:149]
	v_div_scale_f64 v[150:151], s[18:19], v[230:231], v[230:231], 1.0
	v_rcp_f64_e32 v[156:157], v[150:151]
	s_nop 0
	v_fma_f64 v[158:159], -v[150:151], v[156:157], 1.0
	v_fmac_f64_e32 v[156:157], v[156:157], v[158:159]
	v_fma_f64 v[158:159], -v[150:151], v[156:157], 1.0
	v_fmac_f64_e32 v[156:157], v[156:157], v[158:159]
	v_div_scale_f64 v[158:159], vcc, 1.0, v[230:231], 1.0
	v_mul_f64 v[220:221], v[158:159], v[156:157]
	v_fma_f64 v[150:151], -v[150:151], v[220:221], v[158:159]
	s_nop 1
	v_div_fmas_f64 v[150:151], v[150:151], v[156:157], v[220:221]
	v_div_fixup_f64 v[230:231], v[150:151], v[230:231], 1.0
	v_mul_f64 v[228:229], v[148:149], v[230:231]
	v_xor_b32_e32 v231, 0x80000000, v231
.LBB112_553:
	s_andn2_saveexec_b64 s[16:17], s[16:17]
	s_cbranch_execz .LBB112_555
; %bb.554:
	v_div_scale_f64 v[148:149], s[18:19], v[228:229], v[228:229], v[230:231]
	v_rcp_f64_e32 v[150:151], v[148:149]
	v_div_scale_f64 v[156:157], vcc, v[230:231], v[228:229], v[230:231]
	v_fma_f64 v[158:159], -v[148:149], v[150:151], 1.0
	v_fmac_f64_e32 v[150:151], v[150:151], v[158:159]
	v_fma_f64 v[158:159], -v[148:149], v[150:151], 1.0
	v_fmac_f64_e32 v[150:151], v[150:151], v[158:159]
	v_mul_f64 v[158:159], v[156:157], v[150:151]
	v_fma_f64 v[148:149], -v[148:149], v[158:159], v[156:157]
	v_div_fmas_f64 v[148:149], v[148:149], v[150:151], v[158:159]
	v_div_fixup_f64 v[148:149], v[148:149], v[228:229], v[230:231]
	v_fmac_f64_e32 v[228:229], v[230:231], v[148:149]
	v_div_scale_f64 v[150:151], s[18:19], v[228:229], v[228:229], 1.0
	v_rcp_f64_e32 v[156:157], v[150:151]
	s_nop 0
	v_fma_f64 v[158:159], -v[150:151], v[156:157], 1.0
	v_fmac_f64_e32 v[156:157], v[156:157], v[158:159]
	v_fma_f64 v[158:159], -v[150:151], v[156:157], 1.0
	v_fmac_f64_e32 v[156:157], v[156:157], v[158:159]
	v_div_scale_f64 v[158:159], vcc, 1.0, v[228:229], 1.0
	v_mul_f64 v[220:221], v[158:159], v[156:157]
	v_fma_f64 v[150:151], -v[150:151], v[220:221], v[158:159]
	s_nop 1
	v_div_fmas_f64 v[150:151], v[150:151], v[156:157], v[220:221]
	v_div_fixup_f64 v[228:229], v[150:151], v[228:229], 1.0
	v_mul_f64 v[230:231], v[148:149], -v[228:229]
.LBB112_555:
	s_or_b64 exec, exec, s[16:17]
.LBB112_556:
	s_or_b64 exec, exec, s[0:1]
	v_cmp_ne_u32_e32 vcc, v241, v238
	s_and_saveexec_b64 s[0:1], vcc
	s_xor_b64 s[0:1], exec, s[0:1]
	s_cbranch_execz .LBB112_562
; %bb.557:
	v_cmp_eq_u32_e32 vcc, 26, v241
	s_and_saveexec_b64 s[16:17], vcc
	s_cbranch_execz .LBB112_561
; %bb.558:
	v_cmp_ne_u32_e32 vcc, 26, v238
	s_xor_b64 s[18:19], s[14:15], -1
	s_and_b64 s[22:23], s[18:19], vcc
	s_and_saveexec_b64 s[18:19], s[22:23]
	s_cbranch_execz .LBB112_560
; %bb.559:
	v_ashrrev_i32_e32 v239, 31, v238
	v_lshl_add_u64 v[148:149], v[238:239], 2, v[8:9]
	global_load_dword v150, v[148:149], off
	global_load_dword v151, v[8:9], off offset:104
	s_waitcnt vmcnt(1)
	global_store_dword v[8:9], v150, off offset:104
	s_waitcnt vmcnt(1)
	global_store_dword v[148:149], v151, off
.LBB112_560:
	s_or_b64 exec, exec, s[18:19]
	v_mov_b32_e32 v241, v238
	v_mov_b32_e32 v236, v238
.LBB112_561:
	s_or_b64 exec, exec, s[16:17]
.LBB112_562:
	s_andn2_saveexec_b64 s[0:1], s[0:1]
	s_cbranch_execz .LBB112_564
; %bb.563:
	v_mov_b32_e32 v241, 26
	ds_write2_b64 v240, v[112:113], v[114:115] offset0:54 offset1:55
	ds_write2_b64 v240, v[108:109], v[110:111] offset0:56 offset1:57
	ds_write2_b64 v240, v[104:105], v[106:107] offset0:58 offset1:59
	ds_write2_b64 v240, v[100:101], v[102:103] offset0:60 offset1:61
	ds_write2_b64 v240, v[96:97], v[98:99] offset0:62 offset1:63
	ds_write2_b64 v240, v[92:93], v[94:95] offset0:64 offset1:65
	ds_write2_b64 v240, v[88:89], v[90:91] offset0:66 offset1:67
	ds_write2_b64 v240, v[84:85], v[86:87] offset0:68 offset1:69
	ds_write2_b64 v240, v[80:81], v[82:83] offset0:70 offset1:71
	ds_write2_b64 v240, v[76:77], v[78:79] offset0:72 offset1:73
	ds_write2_b64 v240, v[72:73], v[74:75] offset0:74 offset1:75
	ds_write2_b64 v240, v[68:69], v[70:71] offset0:76 offset1:77
	ds_write2_b64 v240, v[64:65], v[66:67] offset0:78 offset1:79
	ds_write2_b64 v240, v[60:61], v[62:63] offset0:80 offset1:81
	ds_write2_b64 v240, v[56:57], v[58:59] offset0:82 offset1:83
	ds_write2_b64 v240, v[52:53], v[54:55] offset0:84 offset1:85
	ds_write2_b64 v240, v[48:49], v[50:51] offset0:86 offset1:87
	ds_write2_b64 v240, v[44:45], v[46:47] offset0:88 offset1:89
	ds_write2_b64 v240, v[40:41], v[42:43] offset0:90 offset1:91
	ds_write2_b64 v240, v[36:37], v[38:39] offset0:92 offset1:93
	ds_write2_b64 v240, v[32:33], v[34:35] offset0:94 offset1:95
	ds_write2_b64 v240, v[28:29], v[30:31] offset0:96 offset1:97
	ds_write2_b64 v240, v[24:25], v[26:27] offset0:98 offset1:99
	ds_write2_b64 v240, v[20:21], v[22:23] offset0:100 offset1:101
	ds_write2_b64 v240, v[16:17], v[18:19] offset0:102 offset1:103
	ds_write2_b64 v240, v[12:13], v[14:15] offset0:104 offset1:105
	ds_write2_b64 v240, v[212:213], v[214:215] offset0:106 offset1:107
	ds_write2_b64 v240, v[4:5], v[6:7] offset0:108 offset1:109
	ds_write2_b64 v240, v[250:251], v[252:253] offset0:110 offset1:111
	ds_write2_b64 v240, v[224:225], v[226:227] offset0:112 offset1:113
.LBB112_564:
	s_or_b64 exec, exec, s[0:1]
	v_cmp_lt_i32_e32 vcc, 26, v241
	s_waitcnt lgkmcnt(0)
	s_barrier
	s_and_saveexec_b64 s[0:1], vcc
	s_cbranch_execz .LBB112_566
; %bb.565:
	ds_read2_b64 v[244:247], v240 offset0:54 offset1:55
	v_mul_f64 v[148:149], v[230:231], v[118:119]
	v_mul_f64 v[118:119], v[228:229], v[118:119]
	v_fma_f64 v[238:239], v[228:229], v[116:117], -v[148:149]
	v_fmac_f64_e32 v[118:119], v[230:231], v[116:117]
	ds_read2_b64 v[228:231], v240 offset0:56 offset1:57
	s_waitcnt lgkmcnt(1)
	v_mul_f64 v[116:117], v[246:247], v[118:119]
	v_mul_f64 v[148:149], v[244:245], v[118:119]
	v_fma_f64 v[116:117], v[244:245], v[238:239], -v[116:117]
	v_fmac_f64_e32 v[148:149], v[246:247], v[238:239]
	ds_read2_b64 v[244:247], v240 offset0:58 offset1:59
	v_add_f64 v[112:113], v[112:113], -v[116:117]
	v_add_f64 v[114:115], v[114:115], -v[148:149]
	s_waitcnt lgkmcnt(1)
	v_mul_f64 v[116:117], v[230:231], v[118:119]
	v_mul_f64 v[148:149], v[228:229], v[118:119]
	v_fma_f64 v[116:117], v[228:229], v[238:239], -v[116:117]
	v_fmac_f64_e32 v[148:149], v[230:231], v[238:239]
	ds_read2_b64 v[228:231], v240 offset0:60 offset1:61
	v_add_f64 v[108:109], v[108:109], -v[116:117]
	v_add_f64 v[110:111], v[110:111], -v[148:149]
	;; [unrolled: 8-line block ×28, first 2 shown]
	s_waitcnt lgkmcnt(1)
	v_mul_f64 v[116:117], v[246:247], v[118:119]
	v_mul_f64 v[148:149], v[244:245], v[118:119]
	v_fma_f64 v[116:117], v[244:245], v[238:239], -v[116:117]
	v_fmac_f64_e32 v[148:149], v[246:247], v[238:239]
	v_add_f64 v[250:251], v[250:251], -v[116:117]
	v_add_f64 v[252:253], v[252:253], -v[148:149]
	s_waitcnt lgkmcnt(0)
	v_mul_f64 v[116:117], v[230:231], v[118:119]
	v_mul_f64 v[148:149], v[228:229], v[118:119]
	v_fma_f64 v[116:117], v[228:229], v[238:239], -v[116:117]
	v_fmac_f64_e32 v[148:149], v[230:231], v[238:239]
	v_add_f64 v[224:225], v[224:225], -v[116:117]
	v_add_f64 v[226:227], v[226:227], -v[148:149]
	v_mov_b64_e32 v[116:117], v[238:239]
.LBB112_566:
	s_or_b64 exec, exec, s[0:1]
	v_lshl_add_u32 v148, v241, 4, v240
	s_barrier
	ds_write2_b64 v148, v[112:113], v[114:115] offset1:1
	s_waitcnt lgkmcnt(0)
	s_barrier
	ds_read2_b64 v[228:231], v240 offset0:54 offset1:55
	s_cmp_lt_i32 s20, 29
	v_mov_b32_e32 v238, 27
	s_cbranch_scc1 .LBB112_569
; %bb.567:
	v_add_u32_e32 v239, 0x1c0, v240
	s_mov_b32 s0, 28
	v_mov_b32_e32 v238, 27
.LBB112_568:                            ; =>This Inner Loop Header: Depth=1
	ds_read2_b64 v[244:247], v239 offset1:1
	s_waitcnt lgkmcnt(1)
	v_cmp_gt_f64_e32 vcc, 0, v[228:229]
	v_xor_b32_e32 v148, 0x80000000, v229
	v_xor_b32_e32 v150, 0x80000000, v231
	v_cndmask_b32_e32 v149, v229, v148, vcc
	v_cmp_gt_f64_e32 vcc, 0, v[230:231]
	v_mov_b32_e32 v148, v228
	s_waitcnt lgkmcnt(0)
	v_xor_b32_e32 v156, 0x80000000, v247
	v_cndmask_b32_e32 v151, v231, v150, vcc
	v_mov_b32_e32 v150, v230
	v_add_f64 v[148:149], v[148:149], v[150:151]
	v_cmp_gt_f64_e32 vcc, 0, v[244:245]
	v_xor_b32_e32 v150, 0x80000000, v245
	v_add_u32_e32 v239, 16, v239
	v_cndmask_b32_e32 v151, v245, v150, vcc
	v_cmp_gt_f64_e32 vcc, 0, v[246:247]
	v_mov_b32_e32 v150, v244
	s_nop 0
	v_cndmask_b32_e32 v157, v247, v156, vcc
	v_mov_b32_e32 v156, v246
	v_add_f64 v[150:151], v[150:151], v[156:157]
	v_cmp_lt_f64_e32 vcc, v[148:149], v[150:151]
	v_mov_b32_e32 v148, s0
	s_add_i32 s0, s0, 1
	v_cndmask_b32_e32 v229, v229, v245, vcc
	v_cndmask_b32_e32 v228, v228, v244, vcc
	;; [unrolled: 1-line block ×5, first 2 shown]
	s_cmp_lg_u32 s20, s0
	s_cbranch_scc1 .LBB112_568
.LBB112_569:
	s_waitcnt lgkmcnt(0)
	v_cmp_eq_f64_e32 vcc, 0, v[228:229]
	v_cmp_eq_f64_e64 s[0:1], 0, v[230:231]
	s_and_b64 s[0:1], vcc, s[0:1]
	s_and_saveexec_b64 s[16:17], s[0:1]
	s_xor_b64 s[0:1], exec, s[16:17]
; %bb.570:
	v_cmp_ne_u32_e32 vcc, 0, v242
	s_nop 1
	v_cndmask_b32_e32 v242, 28, v242, vcc
; %bb.571:
	s_andn2_saveexec_b64 s[0:1], s[0:1]
	s_cbranch_execz .LBB112_577
; %bb.572:
	v_cmp_ngt_f64_e64 s[16:17], |v[228:229]|, |v[230:231]|
	s_and_saveexec_b64 s[18:19], s[16:17]
	s_xor_b64 s[16:17], exec, s[18:19]
	s_cbranch_execz .LBB112_574
; %bb.573:
	v_div_scale_f64 v[148:149], s[18:19], v[230:231], v[230:231], v[228:229]
	v_rcp_f64_e32 v[150:151], v[148:149]
	v_div_scale_f64 v[156:157], vcc, v[228:229], v[230:231], v[228:229]
	v_fma_f64 v[158:159], -v[148:149], v[150:151], 1.0
	v_fmac_f64_e32 v[150:151], v[150:151], v[158:159]
	v_fma_f64 v[158:159], -v[148:149], v[150:151], 1.0
	v_fmac_f64_e32 v[150:151], v[150:151], v[158:159]
	v_mul_f64 v[158:159], v[156:157], v[150:151]
	v_fma_f64 v[148:149], -v[148:149], v[158:159], v[156:157]
	v_div_fmas_f64 v[148:149], v[148:149], v[150:151], v[158:159]
	v_div_fixup_f64 v[148:149], v[148:149], v[230:231], v[228:229]
	v_fmac_f64_e32 v[230:231], v[228:229], v[148:149]
	v_div_scale_f64 v[150:151], s[18:19], v[230:231], v[230:231], 1.0
	v_rcp_f64_e32 v[156:157], v[150:151]
	s_nop 0
	v_fma_f64 v[158:159], -v[150:151], v[156:157], 1.0
	v_fmac_f64_e32 v[156:157], v[156:157], v[158:159]
	v_fma_f64 v[158:159], -v[150:151], v[156:157], 1.0
	v_fmac_f64_e32 v[156:157], v[156:157], v[158:159]
	v_div_scale_f64 v[158:159], vcc, 1.0, v[230:231], 1.0
	v_mul_f64 v[220:221], v[158:159], v[156:157]
	v_fma_f64 v[150:151], -v[150:151], v[220:221], v[158:159]
	s_nop 1
	v_div_fmas_f64 v[150:151], v[150:151], v[156:157], v[220:221]
	v_div_fixup_f64 v[230:231], v[150:151], v[230:231], 1.0
	v_mul_f64 v[228:229], v[148:149], v[230:231]
	v_xor_b32_e32 v231, 0x80000000, v231
.LBB112_574:
	s_andn2_saveexec_b64 s[16:17], s[16:17]
	s_cbranch_execz .LBB112_576
; %bb.575:
	v_div_scale_f64 v[148:149], s[18:19], v[228:229], v[228:229], v[230:231]
	v_rcp_f64_e32 v[150:151], v[148:149]
	v_div_scale_f64 v[156:157], vcc, v[230:231], v[228:229], v[230:231]
	v_fma_f64 v[158:159], -v[148:149], v[150:151], 1.0
	v_fmac_f64_e32 v[150:151], v[150:151], v[158:159]
	v_fma_f64 v[158:159], -v[148:149], v[150:151], 1.0
	v_fmac_f64_e32 v[150:151], v[150:151], v[158:159]
	v_mul_f64 v[158:159], v[156:157], v[150:151]
	v_fma_f64 v[148:149], -v[148:149], v[158:159], v[156:157]
	v_div_fmas_f64 v[148:149], v[148:149], v[150:151], v[158:159]
	v_div_fixup_f64 v[148:149], v[148:149], v[228:229], v[230:231]
	v_fmac_f64_e32 v[228:229], v[230:231], v[148:149]
	v_div_scale_f64 v[150:151], s[18:19], v[228:229], v[228:229], 1.0
	v_rcp_f64_e32 v[156:157], v[150:151]
	s_nop 0
	v_fma_f64 v[158:159], -v[150:151], v[156:157], 1.0
	v_fmac_f64_e32 v[156:157], v[156:157], v[158:159]
	v_fma_f64 v[158:159], -v[150:151], v[156:157], 1.0
	v_fmac_f64_e32 v[156:157], v[156:157], v[158:159]
	v_div_scale_f64 v[158:159], vcc, 1.0, v[228:229], 1.0
	v_mul_f64 v[220:221], v[158:159], v[156:157]
	v_fma_f64 v[150:151], -v[150:151], v[220:221], v[158:159]
	s_nop 1
	v_div_fmas_f64 v[150:151], v[150:151], v[156:157], v[220:221]
	v_div_fixup_f64 v[228:229], v[150:151], v[228:229], 1.0
	v_mul_f64 v[230:231], v[148:149], -v[228:229]
.LBB112_576:
	s_or_b64 exec, exec, s[16:17]
.LBB112_577:
	s_or_b64 exec, exec, s[0:1]
	v_cmp_ne_u32_e32 vcc, v241, v238
	s_and_saveexec_b64 s[0:1], vcc
	s_xor_b64 s[0:1], exec, s[0:1]
	s_cbranch_execz .LBB112_583
; %bb.578:
	v_cmp_eq_u32_e32 vcc, 27, v241
	s_and_saveexec_b64 s[16:17], vcc
	s_cbranch_execz .LBB112_582
; %bb.579:
	v_cmp_ne_u32_e32 vcc, 27, v238
	s_xor_b64 s[18:19], s[14:15], -1
	s_and_b64 s[22:23], s[18:19], vcc
	s_and_saveexec_b64 s[18:19], s[22:23]
	s_cbranch_execz .LBB112_581
; %bb.580:
	v_ashrrev_i32_e32 v239, 31, v238
	v_lshl_add_u64 v[148:149], v[238:239], 2, v[8:9]
	global_load_dword v150, v[148:149], off
	global_load_dword v151, v[8:9], off offset:108
	s_waitcnt vmcnt(1)
	global_store_dword v[8:9], v150, off offset:108
	s_waitcnt vmcnt(1)
	global_store_dword v[148:149], v151, off
.LBB112_581:
	s_or_b64 exec, exec, s[18:19]
	v_mov_b32_e32 v241, v238
	v_mov_b32_e32 v236, v238
.LBB112_582:
	s_or_b64 exec, exec, s[16:17]
.LBB112_583:
	s_andn2_saveexec_b64 s[0:1], s[0:1]
	s_cbranch_execz .LBB112_585
; %bb.584:
	v_mov_b32_e32 v241, 27
	ds_write2_b64 v240, v[108:109], v[110:111] offset0:56 offset1:57
	ds_write2_b64 v240, v[104:105], v[106:107] offset0:58 offset1:59
	;; [unrolled: 1-line block ×29, first 2 shown]
.LBB112_585:
	s_or_b64 exec, exec, s[0:1]
	v_cmp_lt_i32_e32 vcc, 27, v241
	s_waitcnt lgkmcnt(0)
	s_barrier
	s_and_saveexec_b64 s[0:1], vcc
	s_cbranch_execz .LBB112_587
; %bb.586:
	ds_read2_b64 v[244:247], v240 offset0:56 offset1:57
	v_mul_f64 v[148:149], v[230:231], v[114:115]
	v_mul_f64 v[114:115], v[228:229], v[114:115]
	v_fma_f64 v[238:239], v[228:229], v[112:113], -v[148:149]
	v_fmac_f64_e32 v[114:115], v[230:231], v[112:113]
	ds_read2_b64 v[228:231], v240 offset0:58 offset1:59
	s_waitcnt lgkmcnt(1)
	v_mul_f64 v[112:113], v[246:247], v[114:115]
	v_mul_f64 v[148:149], v[244:245], v[114:115]
	v_fma_f64 v[112:113], v[244:245], v[238:239], -v[112:113]
	v_fmac_f64_e32 v[148:149], v[246:247], v[238:239]
	ds_read2_b64 v[244:247], v240 offset0:60 offset1:61
	v_add_f64 v[108:109], v[108:109], -v[112:113]
	v_add_f64 v[110:111], v[110:111], -v[148:149]
	s_waitcnt lgkmcnt(1)
	v_mul_f64 v[112:113], v[230:231], v[114:115]
	v_mul_f64 v[148:149], v[228:229], v[114:115]
	v_fma_f64 v[112:113], v[228:229], v[238:239], -v[112:113]
	v_fmac_f64_e32 v[148:149], v[230:231], v[238:239]
	ds_read2_b64 v[228:231], v240 offset0:62 offset1:63
	v_add_f64 v[104:105], v[104:105], -v[112:113]
	v_add_f64 v[106:107], v[106:107], -v[148:149]
	;; [unrolled: 8-line block ×27, first 2 shown]
	s_waitcnt lgkmcnt(1)
	v_mul_f64 v[112:113], v[230:231], v[114:115]
	v_mul_f64 v[148:149], v[228:229], v[114:115]
	v_fma_f64 v[112:113], v[228:229], v[238:239], -v[112:113]
	v_fmac_f64_e32 v[148:149], v[230:231], v[238:239]
	v_add_f64 v[250:251], v[250:251], -v[112:113]
	v_add_f64 v[252:253], v[252:253], -v[148:149]
	s_waitcnt lgkmcnt(0)
	v_mul_f64 v[112:113], v[246:247], v[114:115]
	v_mul_f64 v[148:149], v[244:245], v[114:115]
	v_fma_f64 v[112:113], v[244:245], v[238:239], -v[112:113]
	v_fmac_f64_e32 v[148:149], v[246:247], v[238:239]
	v_add_f64 v[224:225], v[224:225], -v[112:113]
	v_add_f64 v[226:227], v[226:227], -v[148:149]
	v_mov_b64_e32 v[112:113], v[238:239]
.LBB112_587:
	s_or_b64 exec, exec, s[0:1]
	v_lshl_add_u32 v148, v241, 4, v240
	s_barrier
	ds_write2_b64 v148, v[108:109], v[110:111] offset1:1
	s_waitcnt lgkmcnt(0)
	s_barrier
	ds_read2_b64 v[228:231], v240 offset0:56 offset1:57
	s_cmp_lt_i32 s20, 30
	v_mov_b32_e32 v238, 28
	s_cbranch_scc1 .LBB112_590
; %bb.588:
	v_add_u32_e32 v239, 0x1d0, v240
	s_mov_b32 s0, 29
	v_mov_b32_e32 v238, 28
.LBB112_589:                            ; =>This Inner Loop Header: Depth=1
	ds_read2_b64 v[244:247], v239 offset1:1
	s_waitcnt lgkmcnt(1)
	v_cmp_gt_f64_e32 vcc, 0, v[228:229]
	v_xor_b32_e32 v148, 0x80000000, v229
	v_xor_b32_e32 v150, 0x80000000, v231
	v_cndmask_b32_e32 v149, v229, v148, vcc
	v_cmp_gt_f64_e32 vcc, 0, v[230:231]
	v_mov_b32_e32 v148, v228
	s_waitcnt lgkmcnt(0)
	v_xor_b32_e32 v156, 0x80000000, v247
	v_cndmask_b32_e32 v151, v231, v150, vcc
	v_mov_b32_e32 v150, v230
	v_add_f64 v[148:149], v[148:149], v[150:151]
	v_cmp_gt_f64_e32 vcc, 0, v[244:245]
	v_xor_b32_e32 v150, 0x80000000, v245
	v_add_u32_e32 v239, 16, v239
	v_cndmask_b32_e32 v151, v245, v150, vcc
	v_cmp_gt_f64_e32 vcc, 0, v[246:247]
	v_mov_b32_e32 v150, v244
	s_nop 0
	v_cndmask_b32_e32 v157, v247, v156, vcc
	v_mov_b32_e32 v156, v246
	v_add_f64 v[150:151], v[150:151], v[156:157]
	v_cmp_lt_f64_e32 vcc, v[148:149], v[150:151]
	v_mov_b32_e32 v148, s0
	s_add_i32 s0, s0, 1
	v_cndmask_b32_e32 v229, v229, v245, vcc
	v_cndmask_b32_e32 v228, v228, v244, vcc
	;; [unrolled: 1-line block ×5, first 2 shown]
	s_cmp_lg_u32 s20, s0
	s_cbranch_scc1 .LBB112_589
.LBB112_590:
	s_waitcnt lgkmcnt(0)
	v_cmp_eq_f64_e32 vcc, 0, v[228:229]
	v_cmp_eq_f64_e64 s[0:1], 0, v[230:231]
	s_and_b64 s[0:1], vcc, s[0:1]
	s_and_saveexec_b64 s[16:17], s[0:1]
	s_xor_b64 s[0:1], exec, s[16:17]
; %bb.591:
	v_cmp_ne_u32_e32 vcc, 0, v242
	s_nop 1
	v_cndmask_b32_e32 v242, 29, v242, vcc
; %bb.592:
	s_andn2_saveexec_b64 s[0:1], s[0:1]
	s_cbranch_execz .LBB112_598
; %bb.593:
	v_cmp_ngt_f64_e64 s[16:17], |v[228:229]|, |v[230:231]|
	s_and_saveexec_b64 s[18:19], s[16:17]
	s_xor_b64 s[16:17], exec, s[18:19]
	s_cbranch_execz .LBB112_595
; %bb.594:
	v_div_scale_f64 v[148:149], s[18:19], v[230:231], v[230:231], v[228:229]
	v_rcp_f64_e32 v[150:151], v[148:149]
	v_div_scale_f64 v[156:157], vcc, v[228:229], v[230:231], v[228:229]
	v_fma_f64 v[158:159], -v[148:149], v[150:151], 1.0
	v_fmac_f64_e32 v[150:151], v[150:151], v[158:159]
	v_fma_f64 v[158:159], -v[148:149], v[150:151], 1.0
	v_fmac_f64_e32 v[150:151], v[150:151], v[158:159]
	v_mul_f64 v[158:159], v[156:157], v[150:151]
	v_fma_f64 v[148:149], -v[148:149], v[158:159], v[156:157]
	v_div_fmas_f64 v[148:149], v[148:149], v[150:151], v[158:159]
	v_div_fixup_f64 v[148:149], v[148:149], v[230:231], v[228:229]
	v_fmac_f64_e32 v[230:231], v[228:229], v[148:149]
	v_div_scale_f64 v[150:151], s[18:19], v[230:231], v[230:231], 1.0
	v_rcp_f64_e32 v[156:157], v[150:151]
	s_nop 0
	v_fma_f64 v[158:159], -v[150:151], v[156:157], 1.0
	v_fmac_f64_e32 v[156:157], v[156:157], v[158:159]
	v_fma_f64 v[158:159], -v[150:151], v[156:157], 1.0
	v_fmac_f64_e32 v[156:157], v[156:157], v[158:159]
	v_div_scale_f64 v[158:159], vcc, 1.0, v[230:231], 1.0
	v_mul_f64 v[220:221], v[158:159], v[156:157]
	v_fma_f64 v[150:151], -v[150:151], v[220:221], v[158:159]
	s_nop 1
	v_div_fmas_f64 v[150:151], v[150:151], v[156:157], v[220:221]
	v_div_fixup_f64 v[230:231], v[150:151], v[230:231], 1.0
	v_mul_f64 v[228:229], v[148:149], v[230:231]
	v_xor_b32_e32 v231, 0x80000000, v231
.LBB112_595:
	s_andn2_saveexec_b64 s[16:17], s[16:17]
	s_cbranch_execz .LBB112_597
; %bb.596:
	v_div_scale_f64 v[148:149], s[18:19], v[228:229], v[228:229], v[230:231]
	v_rcp_f64_e32 v[150:151], v[148:149]
	v_div_scale_f64 v[156:157], vcc, v[230:231], v[228:229], v[230:231]
	v_fma_f64 v[158:159], -v[148:149], v[150:151], 1.0
	v_fmac_f64_e32 v[150:151], v[150:151], v[158:159]
	v_fma_f64 v[158:159], -v[148:149], v[150:151], 1.0
	v_fmac_f64_e32 v[150:151], v[150:151], v[158:159]
	v_mul_f64 v[158:159], v[156:157], v[150:151]
	v_fma_f64 v[148:149], -v[148:149], v[158:159], v[156:157]
	v_div_fmas_f64 v[148:149], v[148:149], v[150:151], v[158:159]
	v_div_fixup_f64 v[148:149], v[148:149], v[228:229], v[230:231]
	v_fmac_f64_e32 v[228:229], v[230:231], v[148:149]
	v_div_scale_f64 v[150:151], s[18:19], v[228:229], v[228:229], 1.0
	v_rcp_f64_e32 v[156:157], v[150:151]
	s_nop 0
	v_fma_f64 v[158:159], -v[150:151], v[156:157], 1.0
	v_fmac_f64_e32 v[156:157], v[156:157], v[158:159]
	v_fma_f64 v[158:159], -v[150:151], v[156:157], 1.0
	v_fmac_f64_e32 v[156:157], v[156:157], v[158:159]
	v_div_scale_f64 v[158:159], vcc, 1.0, v[228:229], 1.0
	v_mul_f64 v[220:221], v[158:159], v[156:157]
	v_fma_f64 v[150:151], -v[150:151], v[220:221], v[158:159]
	s_nop 1
	v_div_fmas_f64 v[150:151], v[150:151], v[156:157], v[220:221]
	v_div_fixup_f64 v[228:229], v[150:151], v[228:229], 1.0
	v_mul_f64 v[230:231], v[148:149], -v[228:229]
.LBB112_597:
	s_or_b64 exec, exec, s[16:17]
.LBB112_598:
	s_or_b64 exec, exec, s[0:1]
	v_cmp_ne_u32_e32 vcc, v241, v238
	s_and_saveexec_b64 s[0:1], vcc
	s_xor_b64 s[0:1], exec, s[0:1]
	s_cbranch_execz .LBB112_604
; %bb.599:
	v_cmp_eq_u32_e32 vcc, 28, v241
	s_and_saveexec_b64 s[16:17], vcc
	s_cbranch_execz .LBB112_603
; %bb.600:
	v_cmp_ne_u32_e32 vcc, 28, v238
	s_xor_b64 s[18:19], s[14:15], -1
	s_and_b64 s[22:23], s[18:19], vcc
	s_and_saveexec_b64 s[18:19], s[22:23]
	s_cbranch_execz .LBB112_602
; %bb.601:
	v_ashrrev_i32_e32 v239, 31, v238
	v_lshl_add_u64 v[148:149], v[238:239], 2, v[8:9]
	global_load_dword v150, v[148:149], off
	global_load_dword v151, v[8:9], off offset:112
	s_waitcnt vmcnt(1)
	global_store_dword v[8:9], v150, off offset:112
	s_waitcnt vmcnt(1)
	global_store_dword v[148:149], v151, off
.LBB112_602:
	s_or_b64 exec, exec, s[18:19]
	v_mov_b32_e32 v241, v238
	v_mov_b32_e32 v236, v238
.LBB112_603:
	s_or_b64 exec, exec, s[16:17]
.LBB112_604:
	s_andn2_saveexec_b64 s[0:1], s[0:1]
	s_cbranch_execz .LBB112_606
; %bb.605:
	v_mov_b32_e32 v241, 28
	ds_write2_b64 v240, v[104:105], v[106:107] offset0:58 offset1:59
	ds_write2_b64 v240, v[100:101], v[102:103] offset0:60 offset1:61
	;; [unrolled: 1-line block ×28, first 2 shown]
.LBB112_606:
	s_or_b64 exec, exec, s[0:1]
	v_cmp_lt_i32_e32 vcc, 28, v241
	s_waitcnt lgkmcnt(0)
	s_barrier
	s_and_saveexec_b64 s[0:1], vcc
	s_cbranch_execz .LBB112_608
; %bb.607:
	ds_read2_b64 v[244:247], v240 offset0:58 offset1:59
	v_mul_f64 v[148:149], v[230:231], v[110:111]
	v_mul_f64 v[110:111], v[228:229], v[110:111]
	v_fma_f64 v[238:239], v[228:229], v[108:109], -v[148:149]
	v_fmac_f64_e32 v[110:111], v[230:231], v[108:109]
	ds_read2_b64 v[228:231], v240 offset0:60 offset1:61
	s_waitcnt lgkmcnt(1)
	v_mul_f64 v[108:109], v[246:247], v[110:111]
	v_mul_f64 v[148:149], v[244:245], v[110:111]
	v_fma_f64 v[108:109], v[244:245], v[238:239], -v[108:109]
	v_fmac_f64_e32 v[148:149], v[246:247], v[238:239]
	ds_read2_b64 v[244:247], v240 offset0:62 offset1:63
	v_add_f64 v[104:105], v[104:105], -v[108:109]
	v_add_f64 v[106:107], v[106:107], -v[148:149]
	s_waitcnt lgkmcnt(1)
	v_mul_f64 v[108:109], v[230:231], v[110:111]
	v_mul_f64 v[148:149], v[228:229], v[110:111]
	v_fma_f64 v[108:109], v[228:229], v[238:239], -v[108:109]
	v_fmac_f64_e32 v[148:149], v[230:231], v[238:239]
	ds_read2_b64 v[228:231], v240 offset0:64 offset1:65
	v_add_f64 v[100:101], v[100:101], -v[108:109]
	v_add_f64 v[102:103], v[102:103], -v[148:149]
	;; [unrolled: 8-line block ×26, first 2 shown]
	s_waitcnt lgkmcnt(1)
	v_mul_f64 v[108:109], v[246:247], v[110:111]
	v_mul_f64 v[148:149], v[244:245], v[110:111]
	v_fma_f64 v[108:109], v[244:245], v[238:239], -v[108:109]
	v_fmac_f64_e32 v[148:149], v[246:247], v[238:239]
	v_add_f64 v[250:251], v[250:251], -v[108:109]
	v_add_f64 v[252:253], v[252:253], -v[148:149]
	s_waitcnt lgkmcnt(0)
	v_mul_f64 v[108:109], v[230:231], v[110:111]
	v_mul_f64 v[148:149], v[228:229], v[110:111]
	v_fma_f64 v[108:109], v[228:229], v[238:239], -v[108:109]
	v_fmac_f64_e32 v[148:149], v[230:231], v[238:239]
	v_add_f64 v[224:225], v[224:225], -v[108:109]
	v_add_f64 v[226:227], v[226:227], -v[148:149]
	v_mov_b64_e32 v[108:109], v[238:239]
.LBB112_608:
	s_or_b64 exec, exec, s[0:1]
	v_lshl_add_u32 v148, v241, 4, v240
	s_barrier
	ds_write2_b64 v148, v[104:105], v[106:107] offset1:1
	s_waitcnt lgkmcnt(0)
	s_barrier
	ds_read2_b64 v[228:231], v240 offset0:58 offset1:59
	s_cmp_lt_i32 s20, 31
	v_mov_b32_e32 v238, 29
	s_cbranch_scc1 .LBB112_611
; %bb.609:
	v_add_u32_e32 v239, 0x1e0, v240
	s_mov_b32 s0, 30
	v_mov_b32_e32 v238, 29
.LBB112_610:                            ; =>This Inner Loop Header: Depth=1
	ds_read2_b64 v[244:247], v239 offset1:1
	s_waitcnt lgkmcnt(1)
	v_cmp_gt_f64_e32 vcc, 0, v[228:229]
	v_xor_b32_e32 v148, 0x80000000, v229
	v_xor_b32_e32 v150, 0x80000000, v231
	v_cndmask_b32_e32 v149, v229, v148, vcc
	v_cmp_gt_f64_e32 vcc, 0, v[230:231]
	v_mov_b32_e32 v148, v228
	s_waitcnt lgkmcnt(0)
	v_xor_b32_e32 v156, 0x80000000, v247
	v_cndmask_b32_e32 v151, v231, v150, vcc
	v_mov_b32_e32 v150, v230
	v_add_f64 v[148:149], v[148:149], v[150:151]
	v_cmp_gt_f64_e32 vcc, 0, v[244:245]
	v_xor_b32_e32 v150, 0x80000000, v245
	v_add_u32_e32 v239, 16, v239
	v_cndmask_b32_e32 v151, v245, v150, vcc
	v_cmp_gt_f64_e32 vcc, 0, v[246:247]
	v_mov_b32_e32 v150, v244
	s_nop 0
	v_cndmask_b32_e32 v157, v247, v156, vcc
	v_mov_b32_e32 v156, v246
	v_add_f64 v[150:151], v[150:151], v[156:157]
	v_cmp_lt_f64_e32 vcc, v[148:149], v[150:151]
	v_mov_b32_e32 v148, s0
	s_add_i32 s0, s0, 1
	v_cndmask_b32_e32 v229, v229, v245, vcc
	v_cndmask_b32_e32 v228, v228, v244, vcc
	;; [unrolled: 1-line block ×5, first 2 shown]
	s_cmp_lg_u32 s20, s0
	s_cbranch_scc1 .LBB112_610
.LBB112_611:
	s_waitcnt lgkmcnt(0)
	v_cmp_eq_f64_e32 vcc, 0, v[228:229]
	v_cmp_eq_f64_e64 s[0:1], 0, v[230:231]
	s_and_b64 s[0:1], vcc, s[0:1]
	s_and_saveexec_b64 s[16:17], s[0:1]
	s_xor_b64 s[0:1], exec, s[16:17]
; %bb.612:
	v_cmp_ne_u32_e32 vcc, 0, v242
	s_nop 1
	v_cndmask_b32_e32 v242, 30, v242, vcc
; %bb.613:
	s_andn2_saveexec_b64 s[0:1], s[0:1]
	s_cbranch_execz .LBB112_619
; %bb.614:
	v_cmp_ngt_f64_e64 s[16:17], |v[228:229]|, |v[230:231]|
	s_and_saveexec_b64 s[18:19], s[16:17]
	s_xor_b64 s[16:17], exec, s[18:19]
	s_cbranch_execz .LBB112_616
; %bb.615:
	v_div_scale_f64 v[148:149], s[18:19], v[230:231], v[230:231], v[228:229]
	v_rcp_f64_e32 v[150:151], v[148:149]
	v_div_scale_f64 v[156:157], vcc, v[228:229], v[230:231], v[228:229]
	v_fma_f64 v[158:159], -v[148:149], v[150:151], 1.0
	v_fmac_f64_e32 v[150:151], v[150:151], v[158:159]
	v_fma_f64 v[158:159], -v[148:149], v[150:151], 1.0
	v_fmac_f64_e32 v[150:151], v[150:151], v[158:159]
	v_mul_f64 v[158:159], v[156:157], v[150:151]
	v_fma_f64 v[148:149], -v[148:149], v[158:159], v[156:157]
	v_div_fmas_f64 v[148:149], v[148:149], v[150:151], v[158:159]
	v_div_fixup_f64 v[148:149], v[148:149], v[230:231], v[228:229]
	v_fmac_f64_e32 v[230:231], v[228:229], v[148:149]
	v_div_scale_f64 v[150:151], s[18:19], v[230:231], v[230:231], 1.0
	v_rcp_f64_e32 v[156:157], v[150:151]
	s_nop 0
	v_fma_f64 v[158:159], -v[150:151], v[156:157], 1.0
	v_fmac_f64_e32 v[156:157], v[156:157], v[158:159]
	v_fma_f64 v[158:159], -v[150:151], v[156:157], 1.0
	v_fmac_f64_e32 v[156:157], v[156:157], v[158:159]
	v_div_scale_f64 v[158:159], vcc, 1.0, v[230:231], 1.0
	v_mul_f64 v[220:221], v[158:159], v[156:157]
	v_fma_f64 v[150:151], -v[150:151], v[220:221], v[158:159]
	s_nop 1
	v_div_fmas_f64 v[150:151], v[150:151], v[156:157], v[220:221]
	v_div_fixup_f64 v[230:231], v[150:151], v[230:231], 1.0
	v_mul_f64 v[228:229], v[148:149], v[230:231]
	v_xor_b32_e32 v231, 0x80000000, v231
.LBB112_616:
	s_andn2_saveexec_b64 s[16:17], s[16:17]
	s_cbranch_execz .LBB112_618
; %bb.617:
	v_div_scale_f64 v[148:149], s[18:19], v[228:229], v[228:229], v[230:231]
	v_rcp_f64_e32 v[150:151], v[148:149]
	v_div_scale_f64 v[156:157], vcc, v[230:231], v[228:229], v[230:231]
	v_fma_f64 v[158:159], -v[148:149], v[150:151], 1.0
	v_fmac_f64_e32 v[150:151], v[150:151], v[158:159]
	v_fma_f64 v[158:159], -v[148:149], v[150:151], 1.0
	v_fmac_f64_e32 v[150:151], v[150:151], v[158:159]
	v_mul_f64 v[158:159], v[156:157], v[150:151]
	v_fma_f64 v[148:149], -v[148:149], v[158:159], v[156:157]
	v_div_fmas_f64 v[148:149], v[148:149], v[150:151], v[158:159]
	v_div_fixup_f64 v[148:149], v[148:149], v[228:229], v[230:231]
	v_fmac_f64_e32 v[228:229], v[230:231], v[148:149]
	v_div_scale_f64 v[150:151], s[18:19], v[228:229], v[228:229], 1.0
	v_rcp_f64_e32 v[156:157], v[150:151]
	s_nop 0
	v_fma_f64 v[158:159], -v[150:151], v[156:157], 1.0
	v_fmac_f64_e32 v[156:157], v[156:157], v[158:159]
	v_fma_f64 v[158:159], -v[150:151], v[156:157], 1.0
	v_fmac_f64_e32 v[156:157], v[156:157], v[158:159]
	v_div_scale_f64 v[158:159], vcc, 1.0, v[228:229], 1.0
	v_mul_f64 v[220:221], v[158:159], v[156:157]
	v_fma_f64 v[150:151], -v[150:151], v[220:221], v[158:159]
	s_nop 1
	v_div_fmas_f64 v[150:151], v[150:151], v[156:157], v[220:221]
	v_div_fixup_f64 v[228:229], v[150:151], v[228:229], 1.0
	v_mul_f64 v[230:231], v[148:149], -v[228:229]
.LBB112_618:
	s_or_b64 exec, exec, s[16:17]
.LBB112_619:
	s_or_b64 exec, exec, s[0:1]
	v_cmp_ne_u32_e32 vcc, v241, v238
	s_and_saveexec_b64 s[0:1], vcc
	s_xor_b64 s[0:1], exec, s[0:1]
	s_cbranch_execz .LBB112_625
; %bb.620:
	v_cmp_eq_u32_e32 vcc, 29, v241
	s_and_saveexec_b64 s[16:17], vcc
	s_cbranch_execz .LBB112_624
; %bb.621:
	v_cmp_ne_u32_e32 vcc, 29, v238
	s_xor_b64 s[18:19], s[14:15], -1
	s_and_b64 s[22:23], s[18:19], vcc
	s_and_saveexec_b64 s[18:19], s[22:23]
	s_cbranch_execz .LBB112_623
; %bb.622:
	v_ashrrev_i32_e32 v239, 31, v238
	v_lshl_add_u64 v[148:149], v[238:239], 2, v[8:9]
	global_load_dword v150, v[148:149], off
	global_load_dword v151, v[8:9], off offset:116
	s_waitcnt vmcnt(1)
	global_store_dword v[8:9], v150, off offset:116
	s_waitcnt vmcnt(1)
	global_store_dword v[148:149], v151, off
.LBB112_623:
	s_or_b64 exec, exec, s[18:19]
	v_mov_b32_e32 v241, v238
	v_mov_b32_e32 v236, v238
.LBB112_624:
	s_or_b64 exec, exec, s[16:17]
.LBB112_625:
	s_andn2_saveexec_b64 s[0:1], s[0:1]
	s_cbranch_execz .LBB112_627
; %bb.626:
	v_mov_b32_e32 v241, 29
	ds_write2_b64 v240, v[100:101], v[102:103] offset0:60 offset1:61
	ds_write2_b64 v240, v[96:97], v[98:99] offset0:62 offset1:63
	;; [unrolled: 1-line block ×27, first 2 shown]
.LBB112_627:
	s_or_b64 exec, exec, s[0:1]
	v_cmp_lt_i32_e32 vcc, 29, v241
	s_waitcnt lgkmcnt(0)
	s_barrier
	s_and_saveexec_b64 s[0:1], vcc
	s_cbranch_execz .LBB112_629
; %bb.628:
	ds_read2_b64 v[244:247], v240 offset0:60 offset1:61
	v_mul_f64 v[148:149], v[230:231], v[106:107]
	v_mul_f64 v[106:107], v[228:229], v[106:107]
	v_fma_f64 v[238:239], v[228:229], v[104:105], -v[148:149]
	v_fmac_f64_e32 v[106:107], v[230:231], v[104:105]
	ds_read2_b64 v[228:231], v240 offset0:62 offset1:63
	s_waitcnt lgkmcnt(1)
	v_mul_f64 v[104:105], v[246:247], v[106:107]
	v_mul_f64 v[148:149], v[244:245], v[106:107]
	v_fma_f64 v[104:105], v[244:245], v[238:239], -v[104:105]
	v_fmac_f64_e32 v[148:149], v[246:247], v[238:239]
	ds_read2_b64 v[244:247], v240 offset0:64 offset1:65
	v_add_f64 v[100:101], v[100:101], -v[104:105]
	v_add_f64 v[102:103], v[102:103], -v[148:149]
	s_waitcnt lgkmcnt(1)
	v_mul_f64 v[104:105], v[230:231], v[106:107]
	v_mul_f64 v[148:149], v[228:229], v[106:107]
	v_fma_f64 v[104:105], v[228:229], v[238:239], -v[104:105]
	v_fmac_f64_e32 v[148:149], v[230:231], v[238:239]
	ds_read2_b64 v[228:231], v240 offset0:66 offset1:67
	v_add_f64 v[96:97], v[96:97], -v[104:105]
	v_add_f64 v[98:99], v[98:99], -v[148:149]
	;; [unrolled: 8-line block ×25, first 2 shown]
	s_waitcnt lgkmcnt(1)
	v_mul_f64 v[104:105], v[230:231], v[106:107]
	v_mul_f64 v[148:149], v[228:229], v[106:107]
	v_fma_f64 v[104:105], v[228:229], v[238:239], -v[104:105]
	v_fmac_f64_e32 v[148:149], v[230:231], v[238:239]
	v_add_f64 v[250:251], v[250:251], -v[104:105]
	v_add_f64 v[252:253], v[252:253], -v[148:149]
	s_waitcnt lgkmcnt(0)
	v_mul_f64 v[104:105], v[246:247], v[106:107]
	v_mul_f64 v[148:149], v[244:245], v[106:107]
	v_fma_f64 v[104:105], v[244:245], v[238:239], -v[104:105]
	v_fmac_f64_e32 v[148:149], v[246:247], v[238:239]
	v_add_f64 v[224:225], v[224:225], -v[104:105]
	v_add_f64 v[226:227], v[226:227], -v[148:149]
	v_mov_b64_e32 v[104:105], v[238:239]
.LBB112_629:
	s_or_b64 exec, exec, s[0:1]
	v_lshl_add_u32 v148, v241, 4, v240
	s_barrier
	ds_write2_b64 v148, v[100:101], v[102:103] offset1:1
	s_waitcnt lgkmcnt(0)
	s_barrier
	ds_read2_b64 v[228:231], v240 offset0:60 offset1:61
	s_cmp_lt_i32 s20, 32
	v_mov_b32_e32 v238, 30
	s_cbranch_scc1 .LBB112_632
; %bb.630:
	v_add_u32_e32 v239, 0x1f0, v240
	s_mov_b32 s0, 31
	v_mov_b32_e32 v238, 30
.LBB112_631:                            ; =>This Inner Loop Header: Depth=1
	ds_read2_b64 v[244:247], v239 offset1:1
	s_waitcnt lgkmcnt(1)
	v_cmp_gt_f64_e32 vcc, 0, v[228:229]
	v_xor_b32_e32 v148, 0x80000000, v229
	v_xor_b32_e32 v150, 0x80000000, v231
	v_cndmask_b32_e32 v149, v229, v148, vcc
	v_cmp_gt_f64_e32 vcc, 0, v[230:231]
	v_mov_b32_e32 v148, v228
	s_waitcnt lgkmcnt(0)
	v_xor_b32_e32 v156, 0x80000000, v247
	v_cndmask_b32_e32 v151, v231, v150, vcc
	v_mov_b32_e32 v150, v230
	v_add_f64 v[148:149], v[148:149], v[150:151]
	v_cmp_gt_f64_e32 vcc, 0, v[244:245]
	v_xor_b32_e32 v150, 0x80000000, v245
	v_add_u32_e32 v239, 16, v239
	v_cndmask_b32_e32 v151, v245, v150, vcc
	v_cmp_gt_f64_e32 vcc, 0, v[246:247]
	v_mov_b32_e32 v150, v244
	s_nop 0
	v_cndmask_b32_e32 v157, v247, v156, vcc
	v_mov_b32_e32 v156, v246
	v_add_f64 v[150:151], v[150:151], v[156:157]
	v_cmp_lt_f64_e32 vcc, v[148:149], v[150:151]
	v_mov_b32_e32 v148, s0
	s_add_i32 s0, s0, 1
	v_cndmask_b32_e32 v229, v229, v245, vcc
	v_cndmask_b32_e32 v228, v228, v244, vcc
	;; [unrolled: 1-line block ×5, first 2 shown]
	s_cmp_lg_u32 s20, s0
	s_cbranch_scc1 .LBB112_631
.LBB112_632:
	s_waitcnt lgkmcnt(0)
	v_cmp_eq_f64_e32 vcc, 0, v[228:229]
	v_cmp_eq_f64_e64 s[0:1], 0, v[230:231]
	s_and_b64 s[0:1], vcc, s[0:1]
	s_and_saveexec_b64 s[16:17], s[0:1]
	s_xor_b64 s[0:1], exec, s[16:17]
; %bb.633:
	v_cmp_ne_u32_e32 vcc, 0, v242
	s_nop 1
	v_cndmask_b32_e32 v242, 31, v242, vcc
; %bb.634:
	s_andn2_saveexec_b64 s[0:1], s[0:1]
	s_cbranch_execz .LBB112_640
; %bb.635:
	v_cmp_ngt_f64_e64 s[16:17], |v[228:229]|, |v[230:231]|
	s_and_saveexec_b64 s[18:19], s[16:17]
	s_xor_b64 s[16:17], exec, s[18:19]
	s_cbranch_execz .LBB112_637
; %bb.636:
	v_div_scale_f64 v[148:149], s[18:19], v[230:231], v[230:231], v[228:229]
	v_rcp_f64_e32 v[150:151], v[148:149]
	v_div_scale_f64 v[156:157], vcc, v[228:229], v[230:231], v[228:229]
	v_fma_f64 v[158:159], -v[148:149], v[150:151], 1.0
	v_fmac_f64_e32 v[150:151], v[150:151], v[158:159]
	v_fma_f64 v[158:159], -v[148:149], v[150:151], 1.0
	v_fmac_f64_e32 v[150:151], v[150:151], v[158:159]
	v_mul_f64 v[158:159], v[156:157], v[150:151]
	v_fma_f64 v[148:149], -v[148:149], v[158:159], v[156:157]
	v_div_fmas_f64 v[148:149], v[148:149], v[150:151], v[158:159]
	v_div_fixup_f64 v[148:149], v[148:149], v[230:231], v[228:229]
	v_fmac_f64_e32 v[230:231], v[228:229], v[148:149]
	v_div_scale_f64 v[150:151], s[18:19], v[230:231], v[230:231], 1.0
	v_rcp_f64_e32 v[156:157], v[150:151]
	s_nop 0
	v_fma_f64 v[158:159], -v[150:151], v[156:157], 1.0
	v_fmac_f64_e32 v[156:157], v[156:157], v[158:159]
	v_fma_f64 v[158:159], -v[150:151], v[156:157], 1.0
	v_fmac_f64_e32 v[156:157], v[156:157], v[158:159]
	v_div_scale_f64 v[158:159], vcc, 1.0, v[230:231], 1.0
	v_mul_f64 v[220:221], v[158:159], v[156:157]
	v_fma_f64 v[150:151], -v[150:151], v[220:221], v[158:159]
	s_nop 1
	v_div_fmas_f64 v[150:151], v[150:151], v[156:157], v[220:221]
	v_div_fixup_f64 v[230:231], v[150:151], v[230:231], 1.0
	v_mul_f64 v[228:229], v[148:149], v[230:231]
	v_xor_b32_e32 v231, 0x80000000, v231
.LBB112_637:
	s_andn2_saveexec_b64 s[16:17], s[16:17]
	s_cbranch_execz .LBB112_639
; %bb.638:
	v_div_scale_f64 v[148:149], s[18:19], v[228:229], v[228:229], v[230:231]
	v_rcp_f64_e32 v[150:151], v[148:149]
	v_div_scale_f64 v[156:157], vcc, v[230:231], v[228:229], v[230:231]
	v_fma_f64 v[158:159], -v[148:149], v[150:151], 1.0
	v_fmac_f64_e32 v[150:151], v[150:151], v[158:159]
	v_fma_f64 v[158:159], -v[148:149], v[150:151], 1.0
	v_fmac_f64_e32 v[150:151], v[150:151], v[158:159]
	v_mul_f64 v[158:159], v[156:157], v[150:151]
	v_fma_f64 v[148:149], -v[148:149], v[158:159], v[156:157]
	v_div_fmas_f64 v[148:149], v[148:149], v[150:151], v[158:159]
	v_div_fixup_f64 v[148:149], v[148:149], v[228:229], v[230:231]
	v_fmac_f64_e32 v[228:229], v[230:231], v[148:149]
	v_div_scale_f64 v[150:151], s[18:19], v[228:229], v[228:229], 1.0
	v_rcp_f64_e32 v[156:157], v[150:151]
	s_nop 0
	v_fma_f64 v[158:159], -v[150:151], v[156:157], 1.0
	v_fmac_f64_e32 v[156:157], v[156:157], v[158:159]
	v_fma_f64 v[158:159], -v[150:151], v[156:157], 1.0
	v_fmac_f64_e32 v[156:157], v[156:157], v[158:159]
	v_div_scale_f64 v[158:159], vcc, 1.0, v[228:229], 1.0
	v_mul_f64 v[220:221], v[158:159], v[156:157]
	v_fma_f64 v[150:151], -v[150:151], v[220:221], v[158:159]
	s_nop 1
	v_div_fmas_f64 v[150:151], v[150:151], v[156:157], v[220:221]
	v_div_fixup_f64 v[228:229], v[150:151], v[228:229], 1.0
	v_mul_f64 v[230:231], v[148:149], -v[228:229]
.LBB112_639:
	s_or_b64 exec, exec, s[16:17]
.LBB112_640:
	s_or_b64 exec, exec, s[0:1]
	v_cmp_ne_u32_e32 vcc, v241, v238
	s_and_saveexec_b64 s[0:1], vcc
	s_xor_b64 s[0:1], exec, s[0:1]
	s_cbranch_execz .LBB112_646
; %bb.641:
	v_cmp_eq_u32_e32 vcc, 30, v241
	s_and_saveexec_b64 s[16:17], vcc
	s_cbranch_execz .LBB112_645
; %bb.642:
	v_cmp_ne_u32_e32 vcc, 30, v238
	s_xor_b64 s[18:19], s[14:15], -1
	s_and_b64 s[22:23], s[18:19], vcc
	s_and_saveexec_b64 s[18:19], s[22:23]
	s_cbranch_execz .LBB112_644
; %bb.643:
	v_ashrrev_i32_e32 v239, 31, v238
	v_lshl_add_u64 v[148:149], v[238:239], 2, v[8:9]
	global_load_dword v150, v[148:149], off
	global_load_dword v151, v[8:9], off offset:120
	s_waitcnt vmcnt(1)
	global_store_dword v[8:9], v150, off offset:120
	s_waitcnt vmcnt(1)
	global_store_dword v[148:149], v151, off
.LBB112_644:
	s_or_b64 exec, exec, s[18:19]
	v_mov_b32_e32 v241, v238
	v_mov_b32_e32 v236, v238
.LBB112_645:
	s_or_b64 exec, exec, s[16:17]
.LBB112_646:
	s_andn2_saveexec_b64 s[0:1], s[0:1]
	s_cbranch_execz .LBB112_648
; %bb.647:
	v_mov_b32_e32 v241, 30
	ds_write2_b64 v240, v[96:97], v[98:99] offset0:62 offset1:63
	ds_write2_b64 v240, v[92:93], v[94:95] offset0:64 offset1:65
	;; [unrolled: 1-line block ×26, first 2 shown]
.LBB112_648:
	s_or_b64 exec, exec, s[0:1]
	v_cmp_lt_i32_e32 vcc, 30, v241
	s_waitcnt lgkmcnt(0)
	s_barrier
	s_and_saveexec_b64 s[0:1], vcc
	s_cbranch_execz .LBB112_650
; %bb.649:
	ds_read2_b64 v[244:247], v240 offset0:62 offset1:63
	v_mul_f64 v[148:149], v[230:231], v[102:103]
	v_mul_f64 v[102:103], v[228:229], v[102:103]
	v_fma_f64 v[238:239], v[228:229], v[100:101], -v[148:149]
	v_fmac_f64_e32 v[102:103], v[230:231], v[100:101]
	ds_read2_b64 v[228:231], v240 offset0:64 offset1:65
	s_waitcnt lgkmcnt(1)
	v_mul_f64 v[100:101], v[246:247], v[102:103]
	v_mul_f64 v[148:149], v[244:245], v[102:103]
	v_fma_f64 v[100:101], v[244:245], v[238:239], -v[100:101]
	v_fmac_f64_e32 v[148:149], v[246:247], v[238:239]
	ds_read2_b64 v[244:247], v240 offset0:66 offset1:67
	v_add_f64 v[96:97], v[96:97], -v[100:101]
	v_add_f64 v[98:99], v[98:99], -v[148:149]
	s_waitcnt lgkmcnt(1)
	v_mul_f64 v[100:101], v[230:231], v[102:103]
	v_mul_f64 v[148:149], v[228:229], v[102:103]
	v_fma_f64 v[100:101], v[228:229], v[238:239], -v[100:101]
	v_fmac_f64_e32 v[148:149], v[230:231], v[238:239]
	ds_read2_b64 v[228:231], v240 offset0:68 offset1:69
	v_add_f64 v[92:93], v[92:93], -v[100:101]
	v_add_f64 v[94:95], v[94:95], -v[148:149]
	s_waitcnt lgkmcnt(1)
	v_mul_f64 v[100:101], v[246:247], v[102:103]
	v_mul_f64 v[148:149], v[244:245], v[102:103]
	v_fma_f64 v[100:101], v[244:245], v[238:239], -v[100:101]
	v_fmac_f64_e32 v[148:149], v[246:247], v[238:239]
	ds_read2_b64 v[244:247], v240 offset0:70 offset1:71
	v_add_f64 v[88:89], v[88:89], -v[100:101]
	v_add_f64 v[90:91], v[90:91], -v[148:149]
	s_waitcnt lgkmcnt(1)
	v_mul_f64 v[100:101], v[230:231], v[102:103]
	v_mul_f64 v[148:149], v[228:229], v[102:103]
	v_fma_f64 v[100:101], v[228:229], v[238:239], -v[100:101]
	v_fmac_f64_e32 v[148:149], v[230:231], v[238:239]
	ds_read2_b64 v[228:231], v240 offset0:72 offset1:73
	v_add_f64 v[84:85], v[84:85], -v[100:101]
	v_add_f64 v[86:87], v[86:87], -v[148:149]
	s_waitcnt lgkmcnt(1)
	v_mul_f64 v[100:101], v[246:247], v[102:103]
	v_mul_f64 v[148:149], v[244:245], v[102:103]
	v_fma_f64 v[100:101], v[244:245], v[238:239], -v[100:101]
	v_fmac_f64_e32 v[148:149], v[246:247], v[238:239]
	ds_read2_b64 v[244:247], v240 offset0:74 offset1:75
	v_add_f64 v[80:81], v[80:81], -v[100:101]
	v_add_f64 v[82:83], v[82:83], -v[148:149]
	s_waitcnt lgkmcnt(1)
	v_mul_f64 v[100:101], v[230:231], v[102:103]
	v_mul_f64 v[148:149], v[228:229], v[102:103]
	v_fma_f64 v[100:101], v[228:229], v[238:239], -v[100:101]
	v_fmac_f64_e32 v[148:149], v[230:231], v[238:239]
	ds_read2_b64 v[228:231], v240 offset0:76 offset1:77
	v_add_f64 v[76:77], v[76:77], -v[100:101]
	v_add_f64 v[78:79], v[78:79], -v[148:149]
	s_waitcnt lgkmcnt(1)
	v_mul_f64 v[100:101], v[246:247], v[102:103]
	v_mul_f64 v[148:149], v[244:245], v[102:103]
	v_fma_f64 v[100:101], v[244:245], v[238:239], -v[100:101]
	v_fmac_f64_e32 v[148:149], v[246:247], v[238:239]
	ds_read2_b64 v[244:247], v240 offset0:78 offset1:79
	v_add_f64 v[72:73], v[72:73], -v[100:101]
	v_add_f64 v[74:75], v[74:75], -v[148:149]
	s_waitcnt lgkmcnt(1)
	v_mul_f64 v[100:101], v[230:231], v[102:103]
	v_mul_f64 v[148:149], v[228:229], v[102:103]
	v_fma_f64 v[100:101], v[228:229], v[238:239], -v[100:101]
	v_fmac_f64_e32 v[148:149], v[230:231], v[238:239]
	ds_read2_b64 v[228:231], v240 offset0:80 offset1:81
	v_add_f64 v[68:69], v[68:69], -v[100:101]
	v_add_f64 v[70:71], v[70:71], -v[148:149]
	s_waitcnt lgkmcnt(1)
	v_mul_f64 v[100:101], v[246:247], v[102:103]
	v_mul_f64 v[148:149], v[244:245], v[102:103]
	v_fma_f64 v[100:101], v[244:245], v[238:239], -v[100:101]
	v_fmac_f64_e32 v[148:149], v[246:247], v[238:239]
	ds_read2_b64 v[244:247], v240 offset0:82 offset1:83
	v_add_f64 v[64:65], v[64:65], -v[100:101]
	v_add_f64 v[66:67], v[66:67], -v[148:149]
	s_waitcnt lgkmcnt(1)
	v_mul_f64 v[100:101], v[230:231], v[102:103]
	v_mul_f64 v[148:149], v[228:229], v[102:103]
	v_fma_f64 v[100:101], v[228:229], v[238:239], -v[100:101]
	v_fmac_f64_e32 v[148:149], v[230:231], v[238:239]
	ds_read2_b64 v[228:231], v240 offset0:84 offset1:85
	v_add_f64 v[60:61], v[60:61], -v[100:101]
	v_add_f64 v[62:63], v[62:63], -v[148:149]
	s_waitcnt lgkmcnt(1)
	v_mul_f64 v[100:101], v[246:247], v[102:103]
	v_mul_f64 v[148:149], v[244:245], v[102:103]
	v_fma_f64 v[100:101], v[244:245], v[238:239], -v[100:101]
	v_fmac_f64_e32 v[148:149], v[246:247], v[238:239]
	ds_read2_b64 v[244:247], v240 offset0:86 offset1:87
	v_add_f64 v[56:57], v[56:57], -v[100:101]
	v_add_f64 v[58:59], v[58:59], -v[148:149]
	s_waitcnt lgkmcnt(1)
	v_mul_f64 v[100:101], v[230:231], v[102:103]
	v_mul_f64 v[148:149], v[228:229], v[102:103]
	v_fma_f64 v[100:101], v[228:229], v[238:239], -v[100:101]
	v_fmac_f64_e32 v[148:149], v[230:231], v[238:239]
	ds_read2_b64 v[228:231], v240 offset0:88 offset1:89
	v_add_f64 v[52:53], v[52:53], -v[100:101]
	v_add_f64 v[54:55], v[54:55], -v[148:149]
	s_waitcnt lgkmcnt(1)
	v_mul_f64 v[100:101], v[246:247], v[102:103]
	v_mul_f64 v[148:149], v[244:245], v[102:103]
	v_fma_f64 v[100:101], v[244:245], v[238:239], -v[100:101]
	v_fmac_f64_e32 v[148:149], v[246:247], v[238:239]
	ds_read2_b64 v[244:247], v240 offset0:90 offset1:91
	v_add_f64 v[48:49], v[48:49], -v[100:101]
	v_add_f64 v[50:51], v[50:51], -v[148:149]
	s_waitcnt lgkmcnt(1)
	v_mul_f64 v[100:101], v[230:231], v[102:103]
	v_mul_f64 v[148:149], v[228:229], v[102:103]
	v_fma_f64 v[100:101], v[228:229], v[238:239], -v[100:101]
	v_fmac_f64_e32 v[148:149], v[230:231], v[238:239]
	ds_read2_b64 v[228:231], v240 offset0:92 offset1:93
	v_add_f64 v[44:45], v[44:45], -v[100:101]
	v_add_f64 v[46:47], v[46:47], -v[148:149]
	s_waitcnt lgkmcnt(1)
	v_mul_f64 v[100:101], v[246:247], v[102:103]
	v_mul_f64 v[148:149], v[244:245], v[102:103]
	v_fma_f64 v[100:101], v[244:245], v[238:239], -v[100:101]
	v_fmac_f64_e32 v[148:149], v[246:247], v[238:239]
	ds_read2_b64 v[244:247], v240 offset0:94 offset1:95
	v_add_f64 v[40:41], v[40:41], -v[100:101]
	v_add_f64 v[42:43], v[42:43], -v[148:149]
	s_waitcnt lgkmcnt(1)
	v_mul_f64 v[100:101], v[230:231], v[102:103]
	v_mul_f64 v[148:149], v[228:229], v[102:103]
	v_fma_f64 v[100:101], v[228:229], v[238:239], -v[100:101]
	v_fmac_f64_e32 v[148:149], v[230:231], v[238:239]
	ds_read2_b64 v[228:231], v240 offset0:96 offset1:97
	v_add_f64 v[36:37], v[36:37], -v[100:101]
	v_add_f64 v[38:39], v[38:39], -v[148:149]
	s_waitcnt lgkmcnt(1)
	v_mul_f64 v[100:101], v[246:247], v[102:103]
	v_mul_f64 v[148:149], v[244:245], v[102:103]
	v_fma_f64 v[100:101], v[244:245], v[238:239], -v[100:101]
	v_fmac_f64_e32 v[148:149], v[246:247], v[238:239]
	ds_read2_b64 v[244:247], v240 offset0:98 offset1:99
	v_add_f64 v[32:33], v[32:33], -v[100:101]
	v_add_f64 v[34:35], v[34:35], -v[148:149]
	s_waitcnt lgkmcnt(1)
	v_mul_f64 v[100:101], v[230:231], v[102:103]
	v_mul_f64 v[148:149], v[228:229], v[102:103]
	v_fma_f64 v[100:101], v[228:229], v[238:239], -v[100:101]
	v_fmac_f64_e32 v[148:149], v[230:231], v[238:239]
	ds_read2_b64 v[228:231], v240 offset0:100 offset1:101
	v_add_f64 v[28:29], v[28:29], -v[100:101]
	v_add_f64 v[30:31], v[30:31], -v[148:149]
	s_waitcnt lgkmcnt(1)
	v_mul_f64 v[100:101], v[246:247], v[102:103]
	v_mul_f64 v[148:149], v[244:245], v[102:103]
	v_fma_f64 v[100:101], v[244:245], v[238:239], -v[100:101]
	v_fmac_f64_e32 v[148:149], v[246:247], v[238:239]
	ds_read2_b64 v[244:247], v240 offset0:102 offset1:103
	v_add_f64 v[24:25], v[24:25], -v[100:101]
	v_add_f64 v[26:27], v[26:27], -v[148:149]
	s_waitcnt lgkmcnt(1)
	v_mul_f64 v[100:101], v[230:231], v[102:103]
	v_mul_f64 v[148:149], v[228:229], v[102:103]
	v_fma_f64 v[100:101], v[228:229], v[238:239], -v[100:101]
	v_fmac_f64_e32 v[148:149], v[230:231], v[238:239]
	ds_read2_b64 v[228:231], v240 offset0:104 offset1:105
	v_add_f64 v[20:21], v[20:21], -v[100:101]
	v_add_f64 v[22:23], v[22:23], -v[148:149]
	s_waitcnt lgkmcnt(1)
	v_mul_f64 v[100:101], v[246:247], v[102:103]
	v_mul_f64 v[148:149], v[244:245], v[102:103]
	v_fma_f64 v[100:101], v[244:245], v[238:239], -v[100:101]
	v_fmac_f64_e32 v[148:149], v[246:247], v[238:239]
	ds_read2_b64 v[244:247], v240 offset0:106 offset1:107
	v_add_f64 v[16:17], v[16:17], -v[100:101]
	v_add_f64 v[18:19], v[18:19], -v[148:149]
	s_waitcnt lgkmcnt(1)
	v_mul_f64 v[100:101], v[230:231], v[102:103]
	v_mul_f64 v[148:149], v[228:229], v[102:103]
	v_fma_f64 v[100:101], v[228:229], v[238:239], -v[100:101]
	v_fmac_f64_e32 v[148:149], v[230:231], v[238:239]
	ds_read2_b64 v[228:231], v240 offset0:108 offset1:109
	v_add_f64 v[12:13], v[12:13], -v[100:101]
	v_add_f64 v[14:15], v[14:15], -v[148:149]
	s_waitcnt lgkmcnt(1)
	v_mul_f64 v[100:101], v[246:247], v[102:103]
	v_mul_f64 v[148:149], v[244:245], v[102:103]
	v_fma_f64 v[100:101], v[244:245], v[238:239], -v[100:101]
	v_fmac_f64_e32 v[148:149], v[246:247], v[238:239]
	ds_read2_b64 v[244:247], v240 offset0:110 offset1:111
	v_add_f64 v[212:213], v[212:213], -v[100:101]
	v_add_f64 v[214:215], v[214:215], -v[148:149]
	s_waitcnt lgkmcnt(1)
	v_mul_f64 v[100:101], v[230:231], v[102:103]
	v_mul_f64 v[148:149], v[228:229], v[102:103]
	v_fma_f64 v[100:101], v[228:229], v[238:239], -v[100:101]
	v_fmac_f64_e32 v[148:149], v[230:231], v[238:239]
	ds_read2_b64 v[228:231], v240 offset0:112 offset1:113
	v_add_f64 v[4:5], v[4:5], -v[100:101]
	v_add_f64 v[6:7], v[6:7], -v[148:149]
	s_waitcnt lgkmcnt(1)
	v_mul_f64 v[100:101], v[246:247], v[102:103]
	v_mul_f64 v[148:149], v[244:245], v[102:103]
	v_fma_f64 v[100:101], v[244:245], v[238:239], -v[100:101]
	v_fmac_f64_e32 v[148:149], v[246:247], v[238:239]
	v_add_f64 v[250:251], v[250:251], -v[100:101]
	v_add_f64 v[252:253], v[252:253], -v[148:149]
	s_waitcnt lgkmcnt(0)
	v_mul_f64 v[100:101], v[230:231], v[102:103]
	v_mul_f64 v[148:149], v[228:229], v[102:103]
	v_fma_f64 v[100:101], v[228:229], v[238:239], -v[100:101]
	v_fmac_f64_e32 v[148:149], v[230:231], v[238:239]
	v_add_f64 v[224:225], v[224:225], -v[100:101]
	v_add_f64 v[226:227], v[226:227], -v[148:149]
	v_mov_b64_e32 v[100:101], v[238:239]
.LBB112_650:
	s_or_b64 exec, exec, s[0:1]
	v_lshl_add_u32 v148, v241, 4, v240
	s_barrier
	ds_write2_b64 v148, v[96:97], v[98:99] offset1:1
	s_waitcnt lgkmcnt(0)
	s_barrier
	ds_read2_b64 v[228:231], v240 offset0:62 offset1:63
	s_cmp_lt_i32 s20, 33
	v_mov_b32_e32 v238, 31
	s_cbranch_scc1 .LBB112_653
; %bb.651:
	v_add_u32_e32 v239, 0x200, v240
	s_mov_b32 s0, 32
	v_mov_b32_e32 v238, 31
.LBB112_652:                            ; =>This Inner Loop Header: Depth=1
	ds_read2_b64 v[244:247], v239 offset1:1
	s_waitcnt lgkmcnt(1)
	v_cmp_gt_f64_e32 vcc, 0, v[228:229]
	v_xor_b32_e32 v148, 0x80000000, v229
	v_xor_b32_e32 v150, 0x80000000, v231
	v_cndmask_b32_e32 v149, v229, v148, vcc
	v_cmp_gt_f64_e32 vcc, 0, v[230:231]
	v_mov_b32_e32 v148, v228
	s_waitcnt lgkmcnt(0)
	v_xor_b32_e32 v156, 0x80000000, v247
	v_cndmask_b32_e32 v151, v231, v150, vcc
	v_mov_b32_e32 v150, v230
	v_add_f64 v[148:149], v[148:149], v[150:151]
	v_cmp_gt_f64_e32 vcc, 0, v[244:245]
	v_xor_b32_e32 v150, 0x80000000, v245
	v_add_u32_e32 v239, 16, v239
	v_cndmask_b32_e32 v151, v245, v150, vcc
	v_cmp_gt_f64_e32 vcc, 0, v[246:247]
	v_mov_b32_e32 v150, v244
	s_nop 0
	v_cndmask_b32_e32 v157, v247, v156, vcc
	v_mov_b32_e32 v156, v246
	v_add_f64 v[150:151], v[150:151], v[156:157]
	v_cmp_lt_f64_e32 vcc, v[148:149], v[150:151]
	v_mov_b32_e32 v148, s0
	s_add_i32 s0, s0, 1
	v_cndmask_b32_e32 v229, v229, v245, vcc
	v_cndmask_b32_e32 v228, v228, v244, vcc
	;; [unrolled: 1-line block ×5, first 2 shown]
	s_cmp_lg_u32 s20, s0
	s_cbranch_scc1 .LBB112_652
.LBB112_653:
	s_waitcnt lgkmcnt(0)
	v_cmp_eq_f64_e32 vcc, 0, v[228:229]
	v_cmp_eq_f64_e64 s[0:1], 0, v[230:231]
	s_and_b64 s[0:1], vcc, s[0:1]
	s_and_saveexec_b64 s[16:17], s[0:1]
	s_xor_b64 s[0:1], exec, s[16:17]
; %bb.654:
	v_cmp_ne_u32_e32 vcc, 0, v242
	s_nop 1
	v_cndmask_b32_e32 v242, 32, v242, vcc
; %bb.655:
	s_andn2_saveexec_b64 s[0:1], s[0:1]
	s_cbranch_execz .LBB112_661
; %bb.656:
	v_cmp_ngt_f64_e64 s[16:17], |v[228:229]|, |v[230:231]|
	s_and_saveexec_b64 s[18:19], s[16:17]
	s_xor_b64 s[16:17], exec, s[18:19]
	s_cbranch_execz .LBB112_658
; %bb.657:
	v_div_scale_f64 v[148:149], s[18:19], v[230:231], v[230:231], v[228:229]
	v_rcp_f64_e32 v[150:151], v[148:149]
	v_div_scale_f64 v[156:157], vcc, v[228:229], v[230:231], v[228:229]
	v_fma_f64 v[158:159], -v[148:149], v[150:151], 1.0
	v_fmac_f64_e32 v[150:151], v[150:151], v[158:159]
	v_fma_f64 v[158:159], -v[148:149], v[150:151], 1.0
	v_fmac_f64_e32 v[150:151], v[150:151], v[158:159]
	v_mul_f64 v[158:159], v[156:157], v[150:151]
	v_fma_f64 v[148:149], -v[148:149], v[158:159], v[156:157]
	v_div_fmas_f64 v[148:149], v[148:149], v[150:151], v[158:159]
	v_div_fixup_f64 v[148:149], v[148:149], v[230:231], v[228:229]
	v_fmac_f64_e32 v[230:231], v[228:229], v[148:149]
	v_div_scale_f64 v[150:151], s[18:19], v[230:231], v[230:231], 1.0
	v_rcp_f64_e32 v[156:157], v[150:151]
	s_nop 0
	v_fma_f64 v[158:159], -v[150:151], v[156:157], 1.0
	v_fmac_f64_e32 v[156:157], v[156:157], v[158:159]
	v_fma_f64 v[158:159], -v[150:151], v[156:157], 1.0
	v_fmac_f64_e32 v[156:157], v[156:157], v[158:159]
	v_div_scale_f64 v[158:159], vcc, 1.0, v[230:231], 1.0
	v_mul_f64 v[220:221], v[158:159], v[156:157]
	v_fma_f64 v[150:151], -v[150:151], v[220:221], v[158:159]
	s_nop 1
	v_div_fmas_f64 v[150:151], v[150:151], v[156:157], v[220:221]
	v_div_fixup_f64 v[230:231], v[150:151], v[230:231], 1.0
	v_mul_f64 v[228:229], v[148:149], v[230:231]
	v_xor_b32_e32 v231, 0x80000000, v231
.LBB112_658:
	s_andn2_saveexec_b64 s[16:17], s[16:17]
	s_cbranch_execz .LBB112_660
; %bb.659:
	v_div_scale_f64 v[148:149], s[18:19], v[228:229], v[228:229], v[230:231]
	v_rcp_f64_e32 v[150:151], v[148:149]
	v_div_scale_f64 v[156:157], vcc, v[230:231], v[228:229], v[230:231]
	v_fma_f64 v[158:159], -v[148:149], v[150:151], 1.0
	v_fmac_f64_e32 v[150:151], v[150:151], v[158:159]
	v_fma_f64 v[158:159], -v[148:149], v[150:151], 1.0
	v_fmac_f64_e32 v[150:151], v[150:151], v[158:159]
	v_mul_f64 v[158:159], v[156:157], v[150:151]
	v_fma_f64 v[148:149], -v[148:149], v[158:159], v[156:157]
	v_div_fmas_f64 v[148:149], v[148:149], v[150:151], v[158:159]
	v_div_fixup_f64 v[148:149], v[148:149], v[228:229], v[230:231]
	v_fmac_f64_e32 v[228:229], v[230:231], v[148:149]
	v_div_scale_f64 v[150:151], s[18:19], v[228:229], v[228:229], 1.0
	v_rcp_f64_e32 v[156:157], v[150:151]
	s_nop 0
	v_fma_f64 v[158:159], -v[150:151], v[156:157], 1.0
	v_fmac_f64_e32 v[156:157], v[156:157], v[158:159]
	v_fma_f64 v[158:159], -v[150:151], v[156:157], 1.0
	v_fmac_f64_e32 v[156:157], v[156:157], v[158:159]
	v_div_scale_f64 v[158:159], vcc, 1.0, v[228:229], 1.0
	v_mul_f64 v[220:221], v[158:159], v[156:157]
	v_fma_f64 v[150:151], -v[150:151], v[220:221], v[158:159]
	s_nop 1
	v_div_fmas_f64 v[150:151], v[150:151], v[156:157], v[220:221]
	v_div_fixup_f64 v[228:229], v[150:151], v[228:229], 1.0
	v_mul_f64 v[230:231], v[148:149], -v[228:229]
.LBB112_660:
	s_or_b64 exec, exec, s[16:17]
.LBB112_661:
	s_or_b64 exec, exec, s[0:1]
	v_cmp_ne_u32_e32 vcc, v241, v238
	s_and_saveexec_b64 s[0:1], vcc
	s_xor_b64 s[0:1], exec, s[0:1]
	s_cbranch_execz .LBB112_667
; %bb.662:
	v_cmp_eq_u32_e32 vcc, 31, v241
	s_and_saveexec_b64 s[16:17], vcc
	s_cbranch_execz .LBB112_666
; %bb.663:
	v_cmp_ne_u32_e32 vcc, 31, v238
	s_xor_b64 s[18:19], s[14:15], -1
	s_and_b64 s[22:23], s[18:19], vcc
	s_and_saveexec_b64 s[18:19], s[22:23]
	s_cbranch_execz .LBB112_665
; %bb.664:
	v_ashrrev_i32_e32 v239, 31, v238
	v_lshl_add_u64 v[148:149], v[238:239], 2, v[8:9]
	global_load_dword v150, v[148:149], off
	global_load_dword v151, v[8:9], off offset:124
	s_waitcnt vmcnt(1)
	global_store_dword v[8:9], v150, off offset:124
	s_waitcnt vmcnt(1)
	global_store_dword v[148:149], v151, off
.LBB112_665:
	s_or_b64 exec, exec, s[18:19]
	v_mov_b32_e32 v241, v238
	v_mov_b32_e32 v236, v238
.LBB112_666:
	s_or_b64 exec, exec, s[16:17]
.LBB112_667:
	s_andn2_saveexec_b64 s[0:1], s[0:1]
	s_cbranch_execz .LBB112_669
; %bb.668:
	v_mov_b32_e32 v241, 31
	ds_write2_b64 v240, v[92:93], v[94:95] offset0:64 offset1:65
	ds_write2_b64 v240, v[88:89], v[90:91] offset0:66 offset1:67
	;; [unrolled: 1-line block ×25, first 2 shown]
.LBB112_669:
	s_or_b64 exec, exec, s[0:1]
	v_cmp_lt_i32_e32 vcc, 31, v241
	s_waitcnt lgkmcnt(0)
	s_barrier
	s_and_saveexec_b64 s[0:1], vcc
	s_cbranch_execz .LBB112_671
; %bb.670:
	ds_read2_b64 v[244:247], v240 offset0:64 offset1:65
	v_mul_f64 v[148:149], v[230:231], v[98:99]
	v_mul_f64 v[98:99], v[228:229], v[98:99]
	v_fma_f64 v[238:239], v[228:229], v[96:97], -v[148:149]
	v_fmac_f64_e32 v[98:99], v[230:231], v[96:97]
	ds_read2_b64 v[228:231], v240 offset0:66 offset1:67
	s_waitcnt lgkmcnt(1)
	v_mul_f64 v[96:97], v[246:247], v[98:99]
	v_mul_f64 v[148:149], v[244:245], v[98:99]
	v_fma_f64 v[96:97], v[244:245], v[238:239], -v[96:97]
	v_fmac_f64_e32 v[148:149], v[246:247], v[238:239]
	ds_read2_b64 v[244:247], v240 offset0:68 offset1:69
	v_add_f64 v[92:93], v[92:93], -v[96:97]
	v_add_f64 v[94:95], v[94:95], -v[148:149]
	s_waitcnt lgkmcnt(1)
	v_mul_f64 v[96:97], v[230:231], v[98:99]
	v_mul_f64 v[148:149], v[228:229], v[98:99]
	v_fma_f64 v[96:97], v[228:229], v[238:239], -v[96:97]
	v_fmac_f64_e32 v[148:149], v[230:231], v[238:239]
	ds_read2_b64 v[228:231], v240 offset0:70 offset1:71
	v_add_f64 v[88:89], v[88:89], -v[96:97]
	v_add_f64 v[90:91], v[90:91], -v[148:149]
	;; [unrolled: 8-line block ×23, first 2 shown]
	s_waitcnt lgkmcnt(1)
	v_mul_f64 v[96:97], v[230:231], v[98:99]
	v_mul_f64 v[148:149], v[228:229], v[98:99]
	v_fma_f64 v[96:97], v[228:229], v[238:239], -v[96:97]
	v_fmac_f64_e32 v[148:149], v[230:231], v[238:239]
	v_add_f64 v[250:251], v[250:251], -v[96:97]
	v_add_f64 v[252:253], v[252:253], -v[148:149]
	s_waitcnt lgkmcnt(0)
	v_mul_f64 v[96:97], v[246:247], v[98:99]
	v_mul_f64 v[148:149], v[244:245], v[98:99]
	v_fma_f64 v[96:97], v[244:245], v[238:239], -v[96:97]
	v_fmac_f64_e32 v[148:149], v[246:247], v[238:239]
	v_add_f64 v[224:225], v[224:225], -v[96:97]
	v_add_f64 v[226:227], v[226:227], -v[148:149]
	v_mov_b64_e32 v[96:97], v[238:239]
.LBB112_671:
	s_or_b64 exec, exec, s[0:1]
	v_lshl_add_u32 v148, v241, 4, v240
	s_barrier
	ds_write2_b64 v148, v[92:93], v[94:95] offset1:1
	s_waitcnt lgkmcnt(0)
	s_barrier
	ds_read2_b64 v[228:231], v240 offset0:64 offset1:65
	s_cmp_lt_i32 s20, 34
	v_mov_b32_e32 v238, 32
	s_cbranch_scc1 .LBB112_674
; %bb.672:
	v_add_u32_e32 v239, 0x210, v240
	s_mov_b32 s0, 33
	v_mov_b32_e32 v238, 32
.LBB112_673:                            ; =>This Inner Loop Header: Depth=1
	ds_read2_b64 v[244:247], v239 offset1:1
	s_waitcnt lgkmcnt(1)
	v_cmp_gt_f64_e32 vcc, 0, v[228:229]
	v_xor_b32_e32 v148, 0x80000000, v229
	v_xor_b32_e32 v150, 0x80000000, v231
	v_cndmask_b32_e32 v149, v229, v148, vcc
	v_cmp_gt_f64_e32 vcc, 0, v[230:231]
	v_mov_b32_e32 v148, v228
	s_waitcnt lgkmcnt(0)
	v_xor_b32_e32 v156, 0x80000000, v247
	v_cndmask_b32_e32 v151, v231, v150, vcc
	v_mov_b32_e32 v150, v230
	v_add_f64 v[148:149], v[148:149], v[150:151]
	v_cmp_gt_f64_e32 vcc, 0, v[244:245]
	v_xor_b32_e32 v150, 0x80000000, v245
	v_add_u32_e32 v239, 16, v239
	v_cndmask_b32_e32 v151, v245, v150, vcc
	v_cmp_gt_f64_e32 vcc, 0, v[246:247]
	v_mov_b32_e32 v150, v244
	s_nop 0
	v_cndmask_b32_e32 v157, v247, v156, vcc
	v_mov_b32_e32 v156, v246
	v_add_f64 v[150:151], v[150:151], v[156:157]
	v_cmp_lt_f64_e32 vcc, v[148:149], v[150:151]
	v_mov_b32_e32 v148, s0
	s_add_i32 s0, s0, 1
	v_cndmask_b32_e32 v229, v229, v245, vcc
	v_cndmask_b32_e32 v228, v228, v244, vcc
	;; [unrolled: 1-line block ×5, first 2 shown]
	s_cmp_lg_u32 s20, s0
	s_cbranch_scc1 .LBB112_673
.LBB112_674:
	s_waitcnt lgkmcnt(0)
	v_cmp_eq_f64_e32 vcc, 0, v[228:229]
	v_cmp_eq_f64_e64 s[0:1], 0, v[230:231]
	s_and_b64 s[0:1], vcc, s[0:1]
	s_and_saveexec_b64 s[16:17], s[0:1]
	s_xor_b64 s[0:1], exec, s[16:17]
; %bb.675:
	v_cmp_ne_u32_e32 vcc, 0, v242
	s_nop 1
	v_cndmask_b32_e32 v242, 33, v242, vcc
; %bb.676:
	s_andn2_saveexec_b64 s[0:1], s[0:1]
	s_cbranch_execz .LBB112_682
; %bb.677:
	v_cmp_ngt_f64_e64 s[16:17], |v[228:229]|, |v[230:231]|
	s_and_saveexec_b64 s[18:19], s[16:17]
	s_xor_b64 s[16:17], exec, s[18:19]
	s_cbranch_execz .LBB112_679
; %bb.678:
	v_div_scale_f64 v[148:149], s[18:19], v[230:231], v[230:231], v[228:229]
	v_rcp_f64_e32 v[150:151], v[148:149]
	v_div_scale_f64 v[156:157], vcc, v[228:229], v[230:231], v[228:229]
	v_fma_f64 v[158:159], -v[148:149], v[150:151], 1.0
	v_fmac_f64_e32 v[150:151], v[150:151], v[158:159]
	v_fma_f64 v[158:159], -v[148:149], v[150:151], 1.0
	v_fmac_f64_e32 v[150:151], v[150:151], v[158:159]
	v_mul_f64 v[158:159], v[156:157], v[150:151]
	v_fma_f64 v[148:149], -v[148:149], v[158:159], v[156:157]
	v_div_fmas_f64 v[148:149], v[148:149], v[150:151], v[158:159]
	v_div_fixup_f64 v[148:149], v[148:149], v[230:231], v[228:229]
	v_fmac_f64_e32 v[230:231], v[228:229], v[148:149]
	v_div_scale_f64 v[150:151], s[18:19], v[230:231], v[230:231], 1.0
	v_rcp_f64_e32 v[156:157], v[150:151]
	s_nop 0
	v_fma_f64 v[158:159], -v[150:151], v[156:157], 1.0
	v_fmac_f64_e32 v[156:157], v[156:157], v[158:159]
	v_fma_f64 v[158:159], -v[150:151], v[156:157], 1.0
	v_fmac_f64_e32 v[156:157], v[156:157], v[158:159]
	v_div_scale_f64 v[158:159], vcc, 1.0, v[230:231], 1.0
	v_mul_f64 v[220:221], v[158:159], v[156:157]
	v_fma_f64 v[150:151], -v[150:151], v[220:221], v[158:159]
	s_nop 1
	v_div_fmas_f64 v[150:151], v[150:151], v[156:157], v[220:221]
	v_div_fixup_f64 v[230:231], v[150:151], v[230:231], 1.0
	v_mul_f64 v[228:229], v[148:149], v[230:231]
	v_xor_b32_e32 v231, 0x80000000, v231
.LBB112_679:
	s_andn2_saveexec_b64 s[16:17], s[16:17]
	s_cbranch_execz .LBB112_681
; %bb.680:
	v_div_scale_f64 v[148:149], s[18:19], v[228:229], v[228:229], v[230:231]
	v_rcp_f64_e32 v[150:151], v[148:149]
	v_div_scale_f64 v[156:157], vcc, v[230:231], v[228:229], v[230:231]
	v_fma_f64 v[158:159], -v[148:149], v[150:151], 1.0
	v_fmac_f64_e32 v[150:151], v[150:151], v[158:159]
	v_fma_f64 v[158:159], -v[148:149], v[150:151], 1.0
	v_fmac_f64_e32 v[150:151], v[150:151], v[158:159]
	v_mul_f64 v[158:159], v[156:157], v[150:151]
	v_fma_f64 v[148:149], -v[148:149], v[158:159], v[156:157]
	v_div_fmas_f64 v[148:149], v[148:149], v[150:151], v[158:159]
	v_div_fixup_f64 v[148:149], v[148:149], v[228:229], v[230:231]
	v_fmac_f64_e32 v[228:229], v[230:231], v[148:149]
	v_div_scale_f64 v[150:151], s[18:19], v[228:229], v[228:229], 1.0
	v_rcp_f64_e32 v[156:157], v[150:151]
	s_nop 0
	v_fma_f64 v[158:159], -v[150:151], v[156:157], 1.0
	v_fmac_f64_e32 v[156:157], v[156:157], v[158:159]
	v_fma_f64 v[158:159], -v[150:151], v[156:157], 1.0
	v_fmac_f64_e32 v[156:157], v[156:157], v[158:159]
	v_div_scale_f64 v[158:159], vcc, 1.0, v[228:229], 1.0
	v_mul_f64 v[220:221], v[158:159], v[156:157]
	v_fma_f64 v[150:151], -v[150:151], v[220:221], v[158:159]
	s_nop 1
	v_div_fmas_f64 v[150:151], v[150:151], v[156:157], v[220:221]
	v_div_fixup_f64 v[228:229], v[150:151], v[228:229], 1.0
	v_mul_f64 v[230:231], v[148:149], -v[228:229]
.LBB112_681:
	s_or_b64 exec, exec, s[16:17]
.LBB112_682:
	s_or_b64 exec, exec, s[0:1]
	v_cmp_ne_u32_e32 vcc, v241, v238
	s_and_saveexec_b64 s[0:1], vcc
	s_xor_b64 s[0:1], exec, s[0:1]
	s_cbranch_execz .LBB112_688
; %bb.683:
	v_cmp_eq_u32_e32 vcc, 32, v241
	s_and_saveexec_b64 s[16:17], vcc
	s_cbranch_execz .LBB112_687
; %bb.684:
	v_cmp_ne_u32_e32 vcc, 32, v238
	s_xor_b64 s[18:19], s[14:15], -1
	s_and_b64 s[22:23], s[18:19], vcc
	s_and_saveexec_b64 s[18:19], s[22:23]
	s_cbranch_execz .LBB112_686
; %bb.685:
	v_ashrrev_i32_e32 v239, 31, v238
	v_lshl_add_u64 v[148:149], v[238:239], 2, v[8:9]
	global_load_dword v150, v[148:149], off
	global_load_dword v151, v[8:9], off offset:128
	s_waitcnt vmcnt(1)
	global_store_dword v[8:9], v150, off offset:128
	s_waitcnt vmcnt(1)
	global_store_dword v[148:149], v151, off
.LBB112_686:
	s_or_b64 exec, exec, s[18:19]
	v_mov_b32_e32 v241, v238
	v_mov_b32_e32 v236, v238
.LBB112_687:
	s_or_b64 exec, exec, s[16:17]
.LBB112_688:
	s_andn2_saveexec_b64 s[0:1], s[0:1]
	s_cbranch_execz .LBB112_690
; %bb.689:
	v_mov_b32_e32 v241, 32
	ds_write2_b64 v240, v[88:89], v[90:91] offset0:66 offset1:67
	ds_write2_b64 v240, v[84:85], v[86:87] offset0:68 offset1:69
	;; [unrolled: 1-line block ×24, first 2 shown]
.LBB112_690:
	s_or_b64 exec, exec, s[0:1]
	v_cmp_lt_i32_e32 vcc, 32, v241
	s_waitcnt lgkmcnt(0)
	s_barrier
	s_and_saveexec_b64 s[0:1], vcc
	s_cbranch_execz .LBB112_692
; %bb.691:
	ds_read2_b64 v[244:247], v240 offset0:66 offset1:67
	v_mul_f64 v[148:149], v[230:231], v[94:95]
	v_mul_f64 v[94:95], v[228:229], v[94:95]
	v_fma_f64 v[238:239], v[228:229], v[92:93], -v[148:149]
	v_fmac_f64_e32 v[94:95], v[230:231], v[92:93]
	ds_read2_b64 v[228:231], v240 offset0:68 offset1:69
	s_waitcnt lgkmcnt(1)
	v_mul_f64 v[92:93], v[246:247], v[94:95]
	v_mul_f64 v[148:149], v[244:245], v[94:95]
	v_fma_f64 v[92:93], v[244:245], v[238:239], -v[92:93]
	v_fmac_f64_e32 v[148:149], v[246:247], v[238:239]
	ds_read2_b64 v[244:247], v240 offset0:70 offset1:71
	v_add_f64 v[88:89], v[88:89], -v[92:93]
	v_add_f64 v[90:91], v[90:91], -v[148:149]
	s_waitcnt lgkmcnt(1)
	v_mul_f64 v[92:93], v[230:231], v[94:95]
	v_mul_f64 v[148:149], v[228:229], v[94:95]
	v_fma_f64 v[92:93], v[228:229], v[238:239], -v[92:93]
	v_fmac_f64_e32 v[148:149], v[230:231], v[238:239]
	ds_read2_b64 v[228:231], v240 offset0:72 offset1:73
	v_add_f64 v[84:85], v[84:85], -v[92:93]
	v_add_f64 v[86:87], v[86:87], -v[148:149]
	;; [unrolled: 8-line block ×22, first 2 shown]
	s_waitcnt lgkmcnt(1)
	v_mul_f64 v[92:93], v[246:247], v[94:95]
	v_mul_f64 v[148:149], v[244:245], v[94:95]
	v_fma_f64 v[92:93], v[244:245], v[238:239], -v[92:93]
	v_fmac_f64_e32 v[148:149], v[246:247], v[238:239]
	v_add_f64 v[250:251], v[250:251], -v[92:93]
	v_add_f64 v[252:253], v[252:253], -v[148:149]
	s_waitcnt lgkmcnt(0)
	v_mul_f64 v[92:93], v[230:231], v[94:95]
	v_mul_f64 v[148:149], v[228:229], v[94:95]
	v_fma_f64 v[92:93], v[228:229], v[238:239], -v[92:93]
	v_fmac_f64_e32 v[148:149], v[230:231], v[238:239]
	v_add_f64 v[224:225], v[224:225], -v[92:93]
	v_add_f64 v[226:227], v[226:227], -v[148:149]
	v_mov_b64_e32 v[92:93], v[238:239]
.LBB112_692:
	s_or_b64 exec, exec, s[0:1]
	v_lshl_add_u32 v148, v241, 4, v240
	s_barrier
	ds_write2_b64 v148, v[88:89], v[90:91] offset1:1
	s_waitcnt lgkmcnt(0)
	s_barrier
	ds_read2_b64 v[228:231], v240 offset0:66 offset1:67
	s_cmp_lt_i32 s20, 35
	v_mov_b32_e32 v238, 33
	s_cbranch_scc1 .LBB112_695
; %bb.693:
	v_add_u32_e32 v239, 0x220, v240
	s_mov_b32 s0, 34
	v_mov_b32_e32 v238, 33
.LBB112_694:                            ; =>This Inner Loop Header: Depth=1
	ds_read2_b64 v[244:247], v239 offset1:1
	s_waitcnt lgkmcnt(1)
	v_cmp_gt_f64_e32 vcc, 0, v[228:229]
	v_xor_b32_e32 v148, 0x80000000, v229
	v_xor_b32_e32 v150, 0x80000000, v231
	v_cndmask_b32_e32 v149, v229, v148, vcc
	v_cmp_gt_f64_e32 vcc, 0, v[230:231]
	v_mov_b32_e32 v148, v228
	s_waitcnt lgkmcnt(0)
	v_xor_b32_e32 v156, 0x80000000, v247
	v_cndmask_b32_e32 v151, v231, v150, vcc
	v_mov_b32_e32 v150, v230
	v_add_f64 v[148:149], v[148:149], v[150:151]
	v_cmp_gt_f64_e32 vcc, 0, v[244:245]
	v_xor_b32_e32 v150, 0x80000000, v245
	v_add_u32_e32 v239, 16, v239
	v_cndmask_b32_e32 v151, v245, v150, vcc
	v_cmp_gt_f64_e32 vcc, 0, v[246:247]
	v_mov_b32_e32 v150, v244
	s_nop 0
	v_cndmask_b32_e32 v157, v247, v156, vcc
	v_mov_b32_e32 v156, v246
	v_add_f64 v[150:151], v[150:151], v[156:157]
	v_cmp_lt_f64_e32 vcc, v[148:149], v[150:151]
	v_mov_b32_e32 v148, s0
	s_add_i32 s0, s0, 1
	v_cndmask_b32_e32 v229, v229, v245, vcc
	v_cndmask_b32_e32 v228, v228, v244, vcc
	;; [unrolled: 1-line block ×5, first 2 shown]
	s_cmp_lg_u32 s20, s0
	s_cbranch_scc1 .LBB112_694
.LBB112_695:
	s_waitcnt lgkmcnt(0)
	v_cmp_eq_f64_e32 vcc, 0, v[228:229]
	v_cmp_eq_f64_e64 s[0:1], 0, v[230:231]
	s_and_b64 s[0:1], vcc, s[0:1]
	s_and_saveexec_b64 s[16:17], s[0:1]
	s_xor_b64 s[0:1], exec, s[16:17]
; %bb.696:
	v_cmp_ne_u32_e32 vcc, 0, v242
	s_nop 1
	v_cndmask_b32_e32 v242, 34, v242, vcc
; %bb.697:
	s_andn2_saveexec_b64 s[0:1], s[0:1]
	s_cbranch_execz .LBB112_703
; %bb.698:
	v_cmp_ngt_f64_e64 s[16:17], |v[228:229]|, |v[230:231]|
	s_and_saveexec_b64 s[18:19], s[16:17]
	s_xor_b64 s[16:17], exec, s[18:19]
	s_cbranch_execz .LBB112_700
; %bb.699:
	v_div_scale_f64 v[148:149], s[18:19], v[230:231], v[230:231], v[228:229]
	v_rcp_f64_e32 v[150:151], v[148:149]
	v_div_scale_f64 v[156:157], vcc, v[228:229], v[230:231], v[228:229]
	v_fma_f64 v[158:159], -v[148:149], v[150:151], 1.0
	v_fmac_f64_e32 v[150:151], v[150:151], v[158:159]
	v_fma_f64 v[158:159], -v[148:149], v[150:151], 1.0
	v_fmac_f64_e32 v[150:151], v[150:151], v[158:159]
	v_mul_f64 v[158:159], v[156:157], v[150:151]
	v_fma_f64 v[148:149], -v[148:149], v[158:159], v[156:157]
	v_div_fmas_f64 v[148:149], v[148:149], v[150:151], v[158:159]
	v_div_fixup_f64 v[148:149], v[148:149], v[230:231], v[228:229]
	v_fmac_f64_e32 v[230:231], v[228:229], v[148:149]
	v_div_scale_f64 v[150:151], s[18:19], v[230:231], v[230:231], 1.0
	v_rcp_f64_e32 v[156:157], v[150:151]
	s_nop 0
	v_fma_f64 v[158:159], -v[150:151], v[156:157], 1.0
	v_fmac_f64_e32 v[156:157], v[156:157], v[158:159]
	v_fma_f64 v[158:159], -v[150:151], v[156:157], 1.0
	v_fmac_f64_e32 v[156:157], v[156:157], v[158:159]
	v_div_scale_f64 v[158:159], vcc, 1.0, v[230:231], 1.0
	v_mul_f64 v[220:221], v[158:159], v[156:157]
	v_fma_f64 v[150:151], -v[150:151], v[220:221], v[158:159]
	s_nop 1
	v_div_fmas_f64 v[150:151], v[150:151], v[156:157], v[220:221]
	v_div_fixup_f64 v[230:231], v[150:151], v[230:231], 1.0
	v_mul_f64 v[228:229], v[148:149], v[230:231]
	v_xor_b32_e32 v231, 0x80000000, v231
.LBB112_700:
	s_andn2_saveexec_b64 s[16:17], s[16:17]
	s_cbranch_execz .LBB112_702
; %bb.701:
	v_div_scale_f64 v[148:149], s[18:19], v[228:229], v[228:229], v[230:231]
	v_rcp_f64_e32 v[150:151], v[148:149]
	v_div_scale_f64 v[156:157], vcc, v[230:231], v[228:229], v[230:231]
	v_fma_f64 v[158:159], -v[148:149], v[150:151], 1.0
	v_fmac_f64_e32 v[150:151], v[150:151], v[158:159]
	v_fma_f64 v[158:159], -v[148:149], v[150:151], 1.0
	v_fmac_f64_e32 v[150:151], v[150:151], v[158:159]
	v_mul_f64 v[158:159], v[156:157], v[150:151]
	v_fma_f64 v[148:149], -v[148:149], v[158:159], v[156:157]
	v_div_fmas_f64 v[148:149], v[148:149], v[150:151], v[158:159]
	v_div_fixup_f64 v[148:149], v[148:149], v[228:229], v[230:231]
	v_fmac_f64_e32 v[228:229], v[230:231], v[148:149]
	v_div_scale_f64 v[150:151], s[18:19], v[228:229], v[228:229], 1.0
	v_rcp_f64_e32 v[156:157], v[150:151]
	s_nop 0
	v_fma_f64 v[158:159], -v[150:151], v[156:157], 1.0
	v_fmac_f64_e32 v[156:157], v[156:157], v[158:159]
	v_fma_f64 v[158:159], -v[150:151], v[156:157], 1.0
	v_fmac_f64_e32 v[156:157], v[156:157], v[158:159]
	v_div_scale_f64 v[158:159], vcc, 1.0, v[228:229], 1.0
	v_mul_f64 v[220:221], v[158:159], v[156:157]
	v_fma_f64 v[150:151], -v[150:151], v[220:221], v[158:159]
	s_nop 1
	v_div_fmas_f64 v[150:151], v[150:151], v[156:157], v[220:221]
	v_div_fixup_f64 v[228:229], v[150:151], v[228:229], 1.0
	v_mul_f64 v[230:231], v[148:149], -v[228:229]
.LBB112_702:
	s_or_b64 exec, exec, s[16:17]
.LBB112_703:
	s_or_b64 exec, exec, s[0:1]
	v_cmp_ne_u32_e32 vcc, v241, v238
	s_and_saveexec_b64 s[0:1], vcc
	s_xor_b64 s[0:1], exec, s[0:1]
	s_cbranch_execz .LBB112_709
; %bb.704:
	v_cmp_eq_u32_e32 vcc, 33, v241
	s_and_saveexec_b64 s[16:17], vcc
	s_cbranch_execz .LBB112_708
; %bb.705:
	v_cmp_ne_u32_e32 vcc, 33, v238
	s_xor_b64 s[18:19], s[14:15], -1
	s_and_b64 s[22:23], s[18:19], vcc
	s_and_saveexec_b64 s[18:19], s[22:23]
	s_cbranch_execz .LBB112_707
; %bb.706:
	v_ashrrev_i32_e32 v239, 31, v238
	v_lshl_add_u64 v[148:149], v[238:239], 2, v[8:9]
	global_load_dword v150, v[148:149], off
	global_load_dword v151, v[8:9], off offset:132
	s_waitcnt vmcnt(1)
	global_store_dword v[8:9], v150, off offset:132
	s_waitcnt vmcnt(1)
	global_store_dword v[148:149], v151, off
.LBB112_707:
	s_or_b64 exec, exec, s[18:19]
	v_mov_b32_e32 v241, v238
	v_mov_b32_e32 v236, v238
.LBB112_708:
	s_or_b64 exec, exec, s[16:17]
.LBB112_709:
	s_andn2_saveexec_b64 s[0:1], s[0:1]
	s_cbranch_execz .LBB112_711
; %bb.710:
	v_mov_b32_e32 v241, 33
	ds_write2_b64 v240, v[84:85], v[86:87] offset0:68 offset1:69
	ds_write2_b64 v240, v[80:81], v[82:83] offset0:70 offset1:71
	;; [unrolled: 1-line block ×23, first 2 shown]
.LBB112_711:
	s_or_b64 exec, exec, s[0:1]
	v_cmp_lt_i32_e32 vcc, 33, v241
	s_waitcnt lgkmcnt(0)
	s_barrier
	s_and_saveexec_b64 s[0:1], vcc
	s_cbranch_execz .LBB112_713
; %bb.712:
	ds_read2_b64 v[244:247], v240 offset0:68 offset1:69
	v_mul_f64 v[148:149], v[230:231], v[90:91]
	v_mul_f64 v[90:91], v[228:229], v[90:91]
	v_fma_f64 v[238:239], v[228:229], v[88:89], -v[148:149]
	v_fmac_f64_e32 v[90:91], v[230:231], v[88:89]
	ds_read2_b64 v[228:231], v240 offset0:70 offset1:71
	s_waitcnt lgkmcnt(1)
	v_mul_f64 v[88:89], v[246:247], v[90:91]
	v_mul_f64 v[148:149], v[244:245], v[90:91]
	v_fma_f64 v[88:89], v[244:245], v[238:239], -v[88:89]
	v_fmac_f64_e32 v[148:149], v[246:247], v[238:239]
	ds_read2_b64 v[244:247], v240 offset0:72 offset1:73
	v_add_f64 v[84:85], v[84:85], -v[88:89]
	v_add_f64 v[86:87], v[86:87], -v[148:149]
	s_waitcnt lgkmcnt(1)
	v_mul_f64 v[88:89], v[230:231], v[90:91]
	v_mul_f64 v[148:149], v[228:229], v[90:91]
	v_fma_f64 v[88:89], v[228:229], v[238:239], -v[88:89]
	v_fmac_f64_e32 v[148:149], v[230:231], v[238:239]
	ds_read2_b64 v[228:231], v240 offset0:74 offset1:75
	v_add_f64 v[80:81], v[80:81], -v[88:89]
	v_add_f64 v[82:83], v[82:83], -v[148:149]
	;; [unrolled: 8-line block ×21, first 2 shown]
	s_waitcnt lgkmcnt(1)
	v_mul_f64 v[88:89], v[230:231], v[90:91]
	v_mul_f64 v[148:149], v[228:229], v[90:91]
	v_fma_f64 v[88:89], v[228:229], v[238:239], -v[88:89]
	v_fmac_f64_e32 v[148:149], v[230:231], v[238:239]
	v_add_f64 v[250:251], v[250:251], -v[88:89]
	v_add_f64 v[252:253], v[252:253], -v[148:149]
	s_waitcnt lgkmcnt(0)
	v_mul_f64 v[88:89], v[246:247], v[90:91]
	v_mul_f64 v[148:149], v[244:245], v[90:91]
	v_fma_f64 v[88:89], v[244:245], v[238:239], -v[88:89]
	v_fmac_f64_e32 v[148:149], v[246:247], v[238:239]
	v_add_f64 v[224:225], v[224:225], -v[88:89]
	v_add_f64 v[226:227], v[226:227], -v[148:149]
	v_mov_b64_e32 v[88:89], v[238:239]
.LBB112_713:
	s_or_b64 exec, exec, s[0:1]
	v_lshl_add_u32 v148, v241, 4, v240
	s_barrier
	ds_write2_b64 v148, v[84:85], v[86:87] offset1:1
	s_waitcnt lgkmcnt(0)
	s_barrier
	ds_read2_b64 v[228:231], v240 offset0:68 offset1:69
	s_cmp_lt_i32 s20, 36
	v_mov_b32_e32 v238, 34
	s_cbranch_scc1 .LBB112_716
; %bb.714:
	v_add_u32_e32 v239, 0x230, v240
	s_mov_b32 s0, 35
	v_mov_b32_e32 v238, 34
.LBB112_715:                            ; =>This Inner Loop Header: Depth=1
	ds_read2_b64 v[244:247], v239 offset1:1
	s_waitcnt lgkmcnt(1)
	v_cmp_gt_f64_e32 vcc, 0, v[228:229]
	v_xor_b32_e32 v148, 0x80000000, v229
	v_xor_b32_e32 v150, 0x80000000, v231
	v_cndmask_b32_e32 v149, v229, v148, vcc
	v_cmp_gt_f64_e32 vcc, 0, v[230:231]
	v_mov_b32_e32 v148, v228
	s_waitcnt lgkmcnt(0)
	v_xor_b32_e32 v156, 0x80000000, v247
	v_cndmask_b32_e32 v151, v231, v150, vcc
	v_mov_b32_e32 v150, v230
	v_add_f64 v[148:149], v[148:149], v[150:151]
	v_cmp_gt_f64_e32 vcc, 0, v[244:245]
	v_xor_b32_e32 v150, 0x80000000, v245
	v_add_u32_e32 v239, 16, v239
	v_cndmask_b32_e32 v151, v245, v150, vcc
	v_cmp_gt_f64_e32 vcc, 0, v[246:247]
	v_mov_b32_e32 v150, v244
	s_nop 0
	v_cndmask_b32_e32 v157, v247, v156, vcc
	v_mov_b32_e32 v156, v246
	v_add_f64 v[150:151], v[150:151], v[156:157]
	v_cmp_lt_f64_e32 vcc, v[148:149], v[150:151]
	v_mov_b32_e32 v148, s0
	s_add_i32 s0, s0, 1
	v_cndmask_b32_e32 v229, v229, v245, vcc
	v_cndmask_b32_e32 v228, v228, v244, vcc
	;; [unrolled: 1-line block ×5, first 2 shown]
	s_cmp_lg_u32 s20, s0
	s_cbranch_scc1 .LBB112_715
.LBB112_716:
	s_waitcnt lgkmcnt(0)
	v_cmp_eq_f64_e32 vcc, 0, v[228:229]
	v_cmp_eq_f64_e64 s[0:1], 0, v[230:231]
	s_and_b64 s[0:1], vcc, s[0:1]
	s_and_saveexec_b64 s[16:17], s[0:1]
	s_xor_b64 s[0:1], exec, s[16:17]
; %bb.717:
	v_cmp_ne_u32_e32 vcc, 0, v242
	s_nop 1
	v_cndmask_b32_e32 v242, 35, v242, vcc
; %bb.718:
	s_andn2_saveexec_b64 s[0:1], s[0:1]
	s_cbranch_execz .LBB112_724
; %bb.719:
	v_cmp_ngt_f64_e64 s[16:17], |v[228:229]|, |v[230:231]|
	s_and_saveexec_b64 s[18:19], s[16:17]
	s_xor_b64 s[16:17], exec, s[18:19]
	s_cbranch_execz .LBB112_721
; %bb.720:
	v_div_scale_f64 v[148:149], s[18:19], v[230:231], v[230:231], v[228:229]
	v_rcp_f64_e32 v[150:151], v[148:149]
	v_div_scale_f64 v[156:157], vcc, v[228:229], v[230:231], v[228:229]
	v_fma_f64 v[158:159], -v[148:149], v[150:151], 1.0
	v_fmac_f64_e32 v[150:151], v[150:151], v[158:159]
	v_fma_f64 v[158:159], -v[148:149], v[150:151], 1.0
	v_fmac_f64_e32 v[150:151], v[150:151], v[158:159]
	v_mul_f64 v[158:159], v[156:157], v[150:151]
	v_fma_f64 v[148:149], -v[148:149], v[158:159], v[156:157]
	v_div_fmas_f64 v[148:149], v[148:149], v[150:151], v[158:159]
	v_div_fixup_f64 v[148:149], v[148:149], v[230:231], v[228:229]
	v_fmac_f64_e32 v[230:231], v[228:229], v[148:149]
	v_div_scale_f64 v[150:151], s[18:19], v[230:231], v[230:231], 1.0
	v_rcp_f64_e32 v[156:157], v[150:151]
	s_nop 0
	v_fma_f64 v[158:159], -v[150:151], v[156:157], 1.0
	v_fmac_f64_e32 v[156:157], v[156:157], v[158:159]
	v_fma_f64 v[158:159], -v[150:151], v[156:157], 1.0
	v_fmac_f64_e32 v[156:157], v[156:157], v[158:159]
	v_div_scale_f64 v[158:159], vcc, 1.0, v[230:231], 1.0
	v_mul_f64 v[220:221], v[158:159], v[156:157]
	v_fma_f64 v[150:151], -v[150:151], v[220:221], v[158:159]
	s_nop 1
	v_div_fmas_f64 v[150:151], v[150:151], v[156:157], v[220:221]
	v_div_fixup_f64 v[230:231], v[150:151], v[230:231], 1.0
	v_mul_f64 v[228:229], v[148:149], v[230:231]
	v_xor_b32_e32 v231, 0x80000000, v231
.LBB112_721:
	s_andn2_saveexec_b64 s[16:17], s[16:17]
	s_cbranch_execz .LBB112_723
; %bb.722:
	v_div_scale_f64 v[148:149], s[18:19], v[228:229], v[228:229], v[230:231]
	v_rcp_f64_e32 v[150:151], v[148:149]
	v_div_scale_f64 v[156:157], vcc, v[230:231], v[228:229], v[230:231]
	v_fma_f64 v[158:159], -v[148:149], v[150:151], 1.0
	v_fmac_f64_e32 v[150:151], v[150:151], v[158:159]
	v_fma_f64 v[158:159], -v[148:149], v[150:151], 1.0
	v_fmac_f64_e32 v[150:151], v[150:151], v[158:159]
	v_mul_f64 v[158:159], v[156:157], v[150:151]
	v_fma_f64 v[148:149], -v[148:149], v[158:159], v[156:157]
	v_div_fmas_f64 v[148:149], v[148:149], v[150:151], v[158:159]
	v_div_fixup_f64 v[148:149], v[148:149], v[228:229], v[230:231]
	v_fmac_f64_e32 v[228:229], v[230:231], v[148:149]
	v_div_scale_f64 v[150:151], s[18:19], v[228:229], v[228:229], 1.0
	v_rcp_f64_e32 v[156:157], v[150:151]
	s_nop 0
	v_fma_f64 v[158:159], -v[150:151], v[156:157], 1.0
	v_fmac_f64_e32 v[156:157], v[156:157], v[158:159]
	v_fma_f64 v[158:159], -v[150:151], v[156:157], 1.0
	v_fmac_f64_e32 v[156:157], v[156:157], v[158:159]
	v_div_scale_f64 v[158:159], vcc, 1.0, v[228:229], 1.0
	v_mul_f64 v[220:221], v[158:159], v[156:157]
	v_fma_f64 v[150:151], -v[150:151], v[220:221], v[158:159]
	s_nop 1
	v_div_fmas_f64 v[150:151], v[150:151], v[156:157], v[220:221]
	v_div_fixup_f64 v[228:229], v[150:151], v[228:229], 1.0
	v_mul_f64 v[230:231], v[148:149], -v[228:229]
.LBB112_723:
	s_or_b64 exec, exec, s[16:17]
.LBB112_724:
	s_or_b64 exec, exec, s[0:1]
	v_cmp_ne_u32_e32 vcc, v241, v238
	s_and_saveexec_b64 s[0:1], vcc
	s_xor_b64 s[0:1], exec, s[0:1]
	s_cbranch_execz .LBB112_730
; %bb.725:
	v_cmp_eq_u32_e32 vcc, 34, v241
	s_and_saveexec_b64 s[16:17], vcc
	s_cbranch_execz .LBB112_729
; %bb.726:
	v_cmp_ne_u32_e32 vcc, 34, v238
	s_xor_b64 s[18:19], s[14:15], -1
	s_and_b64 s[22:23], s[18:19], vcc
	s_and_saveexec_b64 s[18:19], s[22:23]
	s_cbranch_execz .LBB112_728
; %bb.727:
	v_ashrrev_i32_e32 v239, 31, v238
	v_lshl_add_u64 v[148:149], v[238:239], 2, v[8:9]
	global_load_dword v150, v[148:149], off
	global_load_dword v151, v[8:9], off offset:136
	s_waitcnt vmcnt(1)
	global_store_dword v[8:9], v150, off offset:136
	s_waitcnt vmcnt(1)
	global_store_dword v[148:149], v151, off
.LBB112_728:
	s_or_b64 exec, exec, s[18:19]
	v_mov_b32_e32 v241, v238
	v_mov_b32_e32 v236, v238
.LBB112_729:
	s_or_b64 exec, exec, s[16:17]
.LBB112_730:
	s_andn2_saveexec_b64 s[0:1], s[0:1]
	s_cbranch_execz .LBB112_732
; %bb.731:
	v_mov_b32_e32 v241, 34
	ds_write2_b64 v240, v[80:81], v[82:83] offset0:70 offset1:71
	ds_write2_b64 v240, v[76:77], v[78:79] offset0:72 offset1:73
	;; [unrolled: 1-line block ×22, first 2 shown]
.LBB112_732:
	s_or_b64 exec, exec, s[0:1]
	v_cmp_lt_i32_e32 vcc, 34, v241
	s_waitcnt lgkmcnt(0)
	s_barrier
	s_and_saveexec_b64 s[0:1], vcc
	s_cbranch_execz .LBB112_734
; %bb.733:
	ds_read2_b64 v[244:247], v240 offset0:70 offset1:71
	v_mul_f64 v[148:149], v[230:231], v[86:87]
	v_mul_f64 v[86:87], v[228:229], v[86:87]
	v_fma_f64 v[238:239], v[228:229], v[84:85], -v[148:149]
	v_fmac_f64_e32 v[86:87], v[230:231], v[84:85]
	ds_read2_b64 v[228:231], v240 offset0:72 offset1:73
	s_waitcnt lgkmcnt(1)
	v_mul_f64 v[84:85], v[246:247], v[86:87]
	v_mul_f64 v[148:149], v[244:245], v[86:87]
	v_fma_f64 v[84:85], v[244:245], v[238:239], -v[84:85]
	v_fmac_f64_e32 v[148:149], v[246:247], v[238:239]
	ds_read2_b64 v[244:247], v240 offset0:74 offset1:75
	v_add_f64 v[80:81], v[80:81], -v[84:85]
	v_add_f64 v[82:83], v[82:83], -v[148:149]
	s_waitcnt lgkmcnt(1)
	v_mul_f64 v[84:85], v[230:231], v[86:87]
	v_mul_f64 v[148:149], v[228:229], v[86:87]
	v_fma_f64 v[84:85], v[228:229], v[238:239], -v[84:85]
	v_fmac_f64_e32 v[148:149], v[230:231], v[238:239]
	ds_read2_b64 v[228:231], v240 offset0:76 offset1:77
	v_add_f64 v[76:77], v[76:77], -v[84:85]
	v_add_f64 v[78:79], v[78:79], -v[148:149]
	s_waitcnt lgkmcnt(1)
	v_mul_f64 v[84:85], v[246:247], v[86:87]
	v_mul_f64 v[148:149], v[244:245], v[86:87]
	v_fma_f64 v[84:85], v[244:245], v[238:239], -v[84:85]
	v_fmac_f64_e32 v[148:149], v[246:247], v[238:239]
	ds_read2_b64 v[244:247], v240 offset0:78 offset1:79
	v_add_f64 v[72:73], v[72:73], -v[84:85]
	v_add_f64 v[74:75], v[74:75], -v[148:149]
	s_waitcnt lgkmcnt(1)
	v_mul_f64 v[84:85], v[230:231], v[86:87]
	v_mul_f64 v[148:149], v[228:229], v[86:87]
	v_fma_f64 v[84:85], v[228:229], v[238:239], -v[84:85]
	v_fmac_f64_e32 v[148:149], v[230:231], v[238:239]
	ds_read2_b64 v[228:231], v240 offset0:80 offset1:81
	v_add_f64 v[68:69], v[68:69], -v[84:85]
	v_add_f64 v[70:71], v[70:71], -v[148:149]
	s_waitcnt lgkmcnt(1)
	v_mul_f64 v[84:85], v[246:247], v[86:87]
	v_mul_f64 v[148:149], v[244:245], v[86:87]
	v_fma_f64 v[84:85], v[244:245], v[238:239], -v[84:85]
	v_fmac_f64_e32 v[148:149], v[246:247], v[238:239]
	ds_read2_b64 v[244:247], v240 offset0:82 offset1:83
	v_add_f64 v[64:65], v[64:65], -v[84:85]
	v_add_f64 v[66:67], v[66:67], -v[148:149]
	s_waitcnt lgkmcnt(1)
	v_mul_f64 v[84:85], v[230:231], v[86:87]
	v_mul_f64 v[148:149], v[228:229], v[86:87]
	v_fma_f64 v[84:85], v[228:229], v[238:239], -v[84:85]
	v_fmac_f64_e32 v[148:149], v[230:231], v[238:239]
	ds_read2_b64 v[228:231], v240 offset0:84 offset1:85
	v_add_f64 v[60:61], v[60:61], -v[84:85]
	v_add_f64 v[62:63], v[62:63], -v[148:149]
	s_waitcnt lgkmcnt(1)
	v_mul_f64 v[84:85], v[246:247], v[86:87]
	v_mul_f64 v[148:149], v[244:245], v[86:87]
	v_fma_f64 v[84:85], v[244:245], v[238:239], -v[84:85]
	v_fmac_f64_e32 v[148:149], v[246:247], v[238:239]
	ds_read2_b64 v[244:247], v240 offset0:86 offset1:87
	v_add_f64 v[56:57], v[56:57], -v[84:85]
	v_add_f64 v[58:59], v[58:59], -v[148:149]
	s_waitcnt lgkmcnt(1)
	v_mul_f64 v[84:85], v[230:231], v[86:87]
	v_mul_f64 v[148:149], v[228:229], v[86:87]
	v_fma_f64 v[84:85], v[228:229], v[238:239], -v[84:85]
	v_fmac_f64_e32 v[148:149], v[230:231], v[238:239]
	ds_read2_b64 v[228:231], v240 offset0:88 offset1:89
	v_add_f64 v[52:53], v[52:53], -v[84:85]
	v_add_f64 v[54:55], v[54:55], -v[148:149]
	s_waitcnt lgkmcnt(1)
	v_mul_f64 v[84:85], v[246:247], v[86:87]
	v_mul_f64 v[148:149], v[244:245], v[86:87]
	v_fma_f64 v[84:85], v[244:245], v[238:239], -v[84:85]
	v_fmac_f64_e32 v[148:149], v[246:247], v[238:239]
	ds_read2_b64 v[244:247], v240 offset0:90 offset1:91
	v_add_f64 v[48:49], v[48:49], -v[84:85]
	v_add_f64 v[50:51], v[50:51], -v[148:149]
	s_waitcnt lgkmcnt(1)
	v_mul_f64 v[84:85], v[230:231], v[86:87]
	v_mul_f64 v[148:149], v[228:229], v[86:87]
	v_fma_f64 v[84:85], v[228:229], v[238:239], -v[84:85]
	v_fmac_f64_e32 v[148:149], v[230:231], v[238:239]
	ds_read2_b64 v[228:231], v240 offset0:92 offset1:93
	v_add_f64 v[44:45], v[44:45], -v[84:85]
	v_add_f64 v[46:47], v[46:47], -v[148:149]
	s_waitcnt lgkmcnt(1)
	v_mul_f64 v[84:85], v[246:247], v[86:87]
	v_mul_f64 v[148:149], v[244:245], v[86:87]
	v_fma_f64 v[84:85], v[244:245], v[238:239], -v[84:85]
	v_fmac_f64_e32 v[148:149], v[246:247], v[238:239]
	ds_read2_b64 v[244:247], v240 offset0:94 offset1:95
	v_add_f64 v[40:41], v[40:41], -v[84:85]
	v_add_f64 v[42:43], v[42:43], -v[148:149]
	s_waitcnt lgkmcnt(1)
	v_mul_f64 v[84:85], v[230:231], v[86:87]
	v_mul_f64 v[148:149], v[228:229], v[86:87]
	v_fma_f64 v[84:85], v[228:229], v[238:239], -v[84:85]
	v_fmac_f64_e32 v[148:149], v[230:231], v[238:239]
	ds_read2_b64 v[228:231], v240 offset0:96 offset1:97
	v_add_f64 v[36:37], v[36:37], -v[84:85]
	v_add_f64 v[38:39], v[38:39], -v[148:149]
	s_waitcnt lgkmcnt(1)
	v_mul_f64 v[84:85], v[246:247], v[86:87]
	v_mul_f64 v[148:149], v[244:245], v[86:87]
	v_fma_f64 v[84:85], v[244:245], v[238:239], -v[84:85]
	v_fmac_f64_e32 v[148:149], v[246:247], v[238:239]
	ds_read2_b64 v[244:247], v240 offset0:98 offset1:99
	v_add_f64 v[32:33], v[32:33], -v[84:85]
	v_add_f64 v[34:35], v[34:35], -v[148:149]
	s_waitcnt lgkmcnt(1)
	v_mul_f64 v[84:85], v[230:231], v[86:87]
	v_mul_f64 v[148:149], v[228:229], v[86:87]
	v_fma_f64 v[84:85], v[228:229], v[238:239], -v[84:85]
	v_fmac_f64_e32 v[148:149], v[230:231], v[238:239]
	ds_read2_b64 v[228:231], v240 offset0:100 offset1:101
	v_add_f64 v[28:29], v[28:29], -v[84:85]
	v_add_f64 v[30:31], v[30:31], -v[148:149]
	s_waitcnt lgkmcnt(1)
	v_mul_f64 v[84:85], v[246:247], v[86:87]
	v_mul_f64 v[148:149], v[244:245], v[86:87]
	v_fma_f64 v[84:85], v[244:245], v[238:239], -v[84:85]
	v_fmac_f64_e32 v[148:149], v[246:247], v[238:239]
	ds_read2_b64 v[244:247], v240 offset0:102 offset1:103
	v_add_f64 v[24:25], v[24:25], -v[84:85]
	v_add_f64 v[26:27], v[26:27], -v[148:149]
	s_waitcnt lgkmcnt(1)
	v_mul_f64 v[84:85], v[230:231], v[86:87]
	v_mul_f64 v[148:149], v[228:229], v[86:87]
	v_fma_f64 v[84:85], v[228:229], v[238:239], -v[84:85]
	v_fmac_f64_e32 v[148:149], v[230:231], v[238:239]
	ds_read2_b64 v[228:231], v240 offset0:104 offset1:105
	v_add_f64 v[20:21], v[20:21], -v[84:85]
	v_add_f64 v[22:23], v[22:23], -v[148:149]
	s_waitcnt lgkmcnt(1)
	v_mul_f64 v[84:85], v[246:247], v[86:87]
	v_mul_f64 v[148:149], v[244:245], v[86:87]
	v_fma_f64 v[84:85], v[244:245], v[238:239], -v[84:85]
	v_fmac_f64_e32 v[148:149], v[246:247], v[238:239]
	ds_read2_b64 v[244:247], v240 offset0:106 offset1:107
	v_add_f64 v[16:17], v[16:17], -v[84:85]
	v_add_f64 v[18:19], v[18:19], -v[148:149]
	s_waitcnt lgkmcnt(1)
	v_mul_f64 v[84:85], v[230:231], v[86:87]
	v_mul_f64 v[148:149], v[228:229], v[86:87]
	v_fma_f64 v[84:85], v[228:229], v[238:239], -v[84:85]
	v_fmac_f64_e32 v[148:149], v[230:231], v[238:239]
	ds_read2_b64 v[228:231], v240 offset0:108 offset1:109
	v_add_f64 v[12:13], v[12:13], -v[84:85]
	v_add_f64 v[14:15], v[14:15], -v[148:149]
	s_waitcnt lgkmcnt(1)
	v_mul_f64 v[84:85], v[246:247], v[86:87]
	v_mul_f64 v[148:149], v[244:245], v[86:87]
	v_fma_f64 v[84:85], v[244:245], v[238:239], -v[84:85]
	v_fmac_f64_e32 v[148:149], v[246:247], v[238:239]
	ds_read2_b64 v[244:247], v240 offset0:110 offset1:111
	v_add_f64 v[212:213], v[212:213], -v[84:85]
	v_add_f64 v[214:215], v[214:215], -v[148:149]
	s_waitcnt lgkmcnt(1)
	v_mul_f64 v[84:85], v[230:231], v[86:87]
	v_mul_f64 v[148:149], v[228:229], v[86:87]
	v_fma_f64 v[84:85], v[228:229], v[238:239], -v[84:85]
	v_fmac_f64_e32 v[148:149], v[230:231], v[238:239]
	ds_read2_b64 v[228:231], v240 offset0:112 offset1:113
	v_add_f64 v[4:5], v[4:5], -v[84:85]
	v_add_f64 v[6:7], v[6:7], -v[148:149]
	s_waitcnt lgkmcnt(1)
	v_mul_f64 v[84:85], v[246:247], v[86:87]
	v_mul_f64 v[148:149], v[244:245], v[86:87]
	v_fma_f64 v[84:85], v[244:245], v[238:239], -v[84:85]
	v_fmac_f64_e32 v[148:149], v[246:247], v[238:239]
	v_add_f64 v[250:251], v[250:251], -v[84:85]
	v_add_f64 v[252:253], v[252:253], -v[148:149]
	s_waitcnt lgkmcnt(0)
	v_mul_f64 v[84:85], v[230:231], v[86:87]
	v_mul_f64 v[148:149], v[228:229], v[86:87]
	v_fma_f64 v[84:85], v[228:229], v[238:239], -v[84:85]
	v_fmac_f64_e32 v[148:149], v[230:231], v[238:239]
	v_add_f64 v[224:225], v[224:225], -v[84:85]
	v_add_f64 v[226:227], v[226:227], -v[148:149]
	v_mov_b64_e32 v[84:85], v[238:239]
.LBB112_734:
	s_or_b64 exec, exec, s[0:1]
	v_lshl_add_u32 v148, v241, 4, v240
	s_barrier
	ds_write2_b64 v148, v[80:81], v[82:83] offset1:1
	s_waitcnt lgkmcnt(0)
	s_barrier
	ds_read2_b64 v[228:231], v240 offset0:70 offset1:71
	s_cmp_lt_i32 s20, 37
	v_mov_b32_e32 v238, 35
	s_cbranch_scc1 .LBB112_737
; %bb.735:
	v_add_u32_e32 v239, 0x240, v240
	s_mov_b32 s0, 36
	v_mov_b32_e32 v238, 35
.LBB112_736:                            ; =>This Inner Loop Header: Depth=1
	ds_read2_b64 v[244:247], v239 offset1:1
	s_waitcnt lgkmcnt(1)
	v_cmp_gt_f64_e32 vcc, 0, v[228:229]
	v_xor_b32_e32 v148, 0x80000000, v229
	v_xor_b32_e32 v150, 0x80000000, v231
	v_cndmask_b32_e32 v149, v229, v148, vcc
	v_cmp_gt_f64_e32 vcc, 0, v[230:231]
	v_mov_b32_e32 v148, v228
	s_waitcnt lgkmcnt(0)
	v_xor_b32_e32 v156, 0x80000000, v247
	v_cndmask_b32_e32 v151, v231, v150, vcc
	v_mov_b32_e32 v150, v230
	v_add_f64 v[148:149], v[148:149], v[150:151]
	v_cmp_gt_f64_e32 vcc, 0, v[244:245]
	v_xor_b32_e32 v150, 0x80000000, v245
	v_add_u32_e32 v239, 16, v239
	v_cndmask_b32_e32 v151, v245, v150, vcc
	v_cmp_gt_f64_e32 vcc, 0, v[246:247]
	v_mov_b32_e32 v150, v244
	s_nop 0
	v_cndmask_b32_e32 v157, v247, v156, vcc
	v_mov_b32_e32 v156, v246
	v_add_f64 v[150:151], v[150:151], v[156:157]
	v_cmp_lt_f64_e32 vcc, v[148:149], v[150:151]
	v_mov_b32_e32 v148, s0
	s_add_i32 s0, s0, 1
	v_cndmask_b32_e32 v229, v229, v245, vcc
	v_cndmask_b32_e32 v228, v228, v244, vcc
	;; [unrolled: 1-line block ×5, first 2 shown]
	s_cmp_lg_u32 s20, s0
	s_cbranch_scc1 .LBB112_736
.LBB112_737:
	s_waitcnt lgkmcnt(0)
	v_cmp_eq_f64_e32 vcc, 0, v[228:229]
	v_cmp_eq_f64_e64 s[0:1], 0, v[230:231]
	s_and_b64 s[0:1], vcc, s[0:1]
	s_and_saveexec_b64 s[16:17], s[0:1]
	s_xor_b64 s[0:1], exec, s[16:17]
; %bb.738:
	v_cmp_ne_u32_e32 vcc, 0, v242
	s_nop 1
	v_cndmask_b32_e32 v242, 36, v242, vcc
; %bb.739:
	s_andn2_saveexec_b64 s[0:1], s[0:1]
	s_cbranch_execz .LBB112_745
; %bb.740:
	v_cmp_ngt_f64_e64 s[16:17], |v[228:229]|, |v[230:231]|
	s_and_saveexec_b64 s[18:19], s[16:17]
	s_xor_b64 s[16:17], exec, s[18:19]
	s_cbranch_execz .LBB112_742
; %bb.741:
	v_div_scale_f64 v[148:149], s[18:19], v[230:231], v[230:231], v[228:229]
	v_rcp_f64_e32 v[150:151], v[148:149]
	v_div_scale_f64 v[156:157], vcc, v[228:229], v[230:231], v[228:229]
	v_fma_f64 v[158:159], -v[148:149], v[150:151], 1.0
	v_fmac_f64_e32 v[150:151], v[150:151], v[158:159]
	v_fma_f64 v[158:159], -v[148:149], v[150:151], 1.0
	v_fmac_f64_e32 v[150:151], v[150:151], v[158:159]
	v_mul_f64 v[158:159], v[156:157], v[150:151]
	v_fma_f64 v[148:149], -v[148:149], v[158:159], v[156:157]
	v_div_fmas_f64 v[148:149], v[148:149], v[150:151], v[158:159]
	v_div_fixup_f64 v[148:149], v[148:149], v[230:231], v[228:229]
	v_fmac_f64_e32 v[230:231], v[228:229], v[148:149]
	v_div_scale_f64 v[150:151], s[18:19], v[230:231], v[230:231], 1.0
	v_rcp_f64_e32 v[156:157], v[150:151]
	s_nop 0
	v_fma_f64 v[158:159], -v[150:151], v[156:157], 1.0
	v_fmac_f64_e32 v[156:157], v[156:157], v[158:159]
	v_fma_f64 v[158:159], -v[150:151], v[156:157], 1.0
	v_fmac_f64_e32 v[156:157], v[156:157], v[158:159]
	v_div_scale_f64 v[158:159], vcc, 1.0, v[230:231], 1.0
	v_mul_f64 v[220:221], v[158:159], v[156:157]
	v_fma_f64 v[150:151], -v[150:151], v[220:221], v[158:159]
	s_nop 1
	v_div_fmas_f64 v[150:151], v[150:151], v[156:157], v[220:221]
	v_div_fixup_f64 v[230:231], v[150:151], v[230:231], 1.0
	v_mul_f64 v[228:229], v[148:149], v[230:231]
	v_xor_b32_e32 v231, 0x80000000, v231
.LBB112_742:
	s_andn2_saveexec_b64 s[16:17], s[16:17]
	s_cbranch_execz .LBB112_744
; %bb.743:
	v_div_scale_f64 v[148:149], s[18:19], v[228:229], v[228:229], v[230:231]
	v_rcp_f64_e32 v[150:151], v[148:149]
	v_div_scale_f64 v[156:157], vcc, v[230:231], v[228:229], v[230:231]
	v_fma_f64 v[158:159], -v[148:149], v[150:151], 1.0
	v_fmac_f64_e32 v[150:151], v[150:151], v[158:159]
	v_fma_f64 v[158:159], -v[148:149], v[150:151], 1.0
	v_fmac_f64_e32 v[150:151], v[150:151], v[158:159]
	v_mul_f64 v[158:159], v[156:157], v[150:151]
	v_fma_f64 v[148:149], -v[148:149], v[158:159], v[156:157]
	v_div_fmas_f64 v[148:149], v[148:149], v[150:151], v[158:159]
	v_div_fixup_f64 v[148:149], v[148:149], v[228:229], v[230:231]
	v_fmac_f64_e32 v[228:229], v[230:231], v[148:149]
	v_div_scale_f64 v[150:151], s[18:19], v[228:229], v[228:229], 1.0
	v_rcp_f64_e32 v[156:157], v[150:151]
	s_nop 0
	v_fma_f64 v[158:159], -v[150:151], v[156:157], 1.0
	v_fmac_f64_e32 v[156:157], v[156:157], v[158:159]
	v_fma_f64 v[158:159], -v[150:151], v[156:157], 1.0
	v_fmac_f64_e32 v[156:157], v[156:157], v[158:159]
	v_div_scale_f64 v[158:159], vcc, 1.0, v[228:229], 1.0
	v_mul_f64 v[220:221], v[158:159], v[156:157]
	v_fma_f64 v[150:151], -v[150:151], v[220:221], v[158:159]
	s_nop 1
	v_div_fmas_f64 v[150:151], v[150:151], v[156:157], v[220:221]
	v_div_fixup_f64 v[228:229], v[150:151], v[228:229], 1.0
	v_mul_f64 v[230:231], v[148:149], -v[228:229]
.LBB112_744:
	s_or_b64 exec, exec, s[16:17]
.LBB112_745:
	s_or_b64 exec, exec, s[0:1]
	v_cmp_ne_u32_e32 vcc, v241, v238
	s_and_saveexec_b64 s[0:1], vcc
	s_xor_b64 s[0:1], exec, s[0:1]
	s_cbranch_execz .LBB112_751
; %bb.746:
	v_cmp_eq_u32_e32 vcc, 35, v241
	s_and_saveexec_b64 s[16:17], vcc
	s_cbranch_execz .LBB112_750
; %bb.747:
	v_cmp_ne_u32_e32 vcc, 35, v238
	s_xor_b64 s[18:19], s[14:15], -1
	s_and_b64 s[22:23], s[18:19], vcc
	s_and_saveexec_b64 s[18:19], s[22:23]
	s_cbranch_execz .LBB112_749
; %bb.748:
	v_ashrrev_i32_e32 v239, 31, v238
	v_lshl_add_u64 v[148:149], v[238:239], 2, v[8:9]
	global_load_dword v150, v[148:149], off
	global_load_dword v151, v[8:9], off offset:140
	s_waitcnt vmcnt(1)
	global_store_dword v[8:9], v150, off offset:140
	s_waitcnt vmcnt(1)
	global_store_dword v[148:149], v151, off
.LBB112_749:
	s_or_b64 exec, exec, s[18:19]
	v_mov_b32_e32 v241, v238
	v_mov_b32_e32 v236, v238
.LBB112_750:
	s_or_b64 exec, exec, s[16:17]
.LBB112_751:
	s_andn2_saveexec_b64 s[0:1], s[0:1]
	s_cbranch_execz .LBB112_753
; %bb.752:
	v_mov_b32_e32 v241, 35
	ds_write2_b64 v240, v[76:77], v[78:79] offset0:72 offset1:73
	ds_write2_b64 v240, v[72:73], v[74:75] offset0:74 offset1:75
	ds_write2_b64 v240, v[68:69], v[70:71] offset0:76 offset1:77
	ds_write2_b64 v240, v[64:65], v[66:67] offset0:78 offset1:79
	ds_write2_b64 v240, v[60:61], v[62:63] offset0:80 offset1:81
	ds_write2_b64 v240, v[56:57], v[58:59] offset0:82 offset1:83
	ds_write2_b64 v240, v[52:53], v[54:55] offset0:84 offset1:85
	ds_write2_b64 v240, v[48:49], v[50:51] offset0:86 offset1:87
	ds_write2_b64 v240, v[44:45], v[46:47] offset0:88 offset1:89
	ds_write2_b64 v240, v[40:41], v[42:43] offset0:90 offset1:91
	ds_write2_b64 v240, v[36:37], v[38:39] offset0:92 offset1:93
	ds_write2_b64 v240, v[32:33], v[34:35] offset0:94 offset1:95
	ds_write2_b64 v240, v[28:29], v[30:31] offset0:96 offset1:97
	ds_write2_b64 v240, v[24:25], v[26:27] offset0:98 offset1:99
	ds_write2_b64 v240, v[20:21], v[22:23] offset0:100 offset1:101
	ds_write2_b64 v240, v[16:17], v[18:19] offset0:102 offset1:103
	ds_write2_b64 v240, v[12:13], v[14:15] offset0:104 offset1:105
	ds_write2_b64 v240, v[212:213], v[214:215] offset0:106 offset1:107
	ds_write2_b64 v240, v[4:5], v[6:7] offset0:108 offset1:109
	ds_write2_b64 v240, v[250:251], v[252:253] offset0:110 offset1:111
	ds_write2_b64 v240, v[224:225], v[226:227] offset0:112 offset1:113
.LBB112_753:
	s_or_b64 exec, exec, s[0:1]
	v_cmp_lt_i32_e32 vcc, 35, v241
	s_waitcnt lgkmcnt(0)
	s_barrier
	s_and_saveexec_b64 s[0:1], vcc
	s_cbranch_execz .LBB112_755
; %bb.754:
	ds_read2_b64 v[244:247], v240 offset0:72 offset1:73
	v_mul_f64 v[148:149], v[230:231], v[82:83]
	v_mul_f64 v[82:83], v[228:229], v[82:83]
	v_fma_f64 v[238:239], v[228:229], v[80:81], -v[148:149]
	v_fmac_f64_e32 v[82:83], v[230:231], v[80:81]
	ds_read2_b64 v[228:231], v240 offset0:74 offset1:75
	s_waitcnt lgkmcnt(1)
	v_mul_f64 v[80:81], v[246:247], v[82:83]
	v_mul_f64 v[148:149], v[244:245], v[82:83]
	v_fma_f64 v[80:81], v[244:245], v[238:239], -v[80:81]
	v_fmac_f64_e32 v[148:149], v[246:247], v[238:239]
	ds_read2_b64 v[244:247], v240 offset0:76 offset1:77
	v_add_f64 v[76:77], v[76:77], -v[80:81]
	v_add_f64 v[78:79], v[78:79], -v[148:149]
	s_waitcnt lgkmcnt(1)
	v_mul_f64 v[80:81], v[230:231], v[82:83]
	v_mul_f64 v[148:149], v[228:229], v[82:83]
	v_fma_f64 v[80:81], v[228:229], v[238:239], -v[80:81]
	v_fmac_f64_e32 v[148:149], v[230:231], v[238:239]
	ds_read2_b64 v[228:231], v240 offset0:78 offset1:79
	v_add_f64 v[72:73], v[72:73], -v[80:81]
	v_add_f64 v[74:75], v[74:75], -v[148:149]
	;; [unrolled: 8-line block ×19, first 2 shown]
	s_waitcnt lgkmcnt(1)
	v_mul_f64 v[80:81], v[230:231], v[82:83]
	v_mul_f64 v[148:149], v[228:229], v[82:83]
	v_fma_f64 v[80:81], v[228:229], v[238:239], -v[80:81]
	v_fmac_f64_e32 v[148:149], v[230:231], v[238:239]
	v_add_f64 v[250:251], v[250:251], -v[80:81]
	v_add_f64 v[252:253], v[252:253], -v[148:149]
	s_waitcnt lgkmcnt(0)
	v_mul_f64 v[80:81], v[246:247], v[82:83]
	v_mul_f64 v[148:149], v[244:245], v[82:83]
	v_fma_f64 v[80:81], v[244:245], v[238:239], -v[80:81]
	v_fmac_f64_e32 v[148:149], v[246:247], v[238:239]
	v_add_f64 v[224:225], v[224:225], -v[80:81]
	v_add_f64 v[226:227], v[226:227], -v[148:149]
	v_mov_b64_e32 v[80:81], v[238:239]
.LBB112_755:
	s_or_b64 exec, exec, s[0:1]
	v_lshl_add_u32 v148, v241, 4, v240
	s_barrier
	ds_write2_b64 v148, v[76:77], v[78:79] offset1:1
	s_waitcnt lgkmcnt(0)
	s_barrier
	ds_read2_b64 v[228:231], v240 offset0:72 offset1:73
	s_cmp_lt_i32 s20, 38
	v_mov_b32_e32 v238, 36
	s_cbranch_scc1 .LBB112_758
; %bb.756:
	v_add_u32_e32 v239, 0x250, v240
	s_mov_b32 s0, 37
	v_mov_b32_e32 v238, 36
.LBB112_757:                            ; =>This Inner Loop Header: Depth=1
	ds_read2_b64 v[244:247], v239 offset1:1
	s_waitcnt lgkmcnt(1)
	v_cmp_gt_f64_e32 vcc, 0, v[228:229]
	v_xor_b32_e32 v148, 0x80000000, v229
	v_xor_b32_e32 v150, 0x80000000, v231
	v_cndmask_b32_e32 v149, v229, v148, vcc
	v_cmp_gt_f64_e32 vcc, 0, v[230:231]
	v_mov_b32_e32 v148, v228
	s_waitcnt lgkmcnt(0)
	v_xor_b32_e32 v156, 0x80000000, v247
	v_cndmask_b32_e32 v151, v231, v150, vcc
	v_mov_b32_e32 v150, v230
	v_add_f64 v[148:149], v[148:149], v[150:151]
	v_cmp_gt_f64_e32 vcc, 0, v[244:245]
	v_xor_b32_e32 v150, 0x80000000, v245
	v_add_u32_e32 v239, 16, v239
	v_cndmask_b32_e32 v151, v245, v150, vcc
	v_cmp_gt_f64_e32 vcc, 0, v[246:247]
	v_mov_b32_e32 v150, v244
	s_nop 0
	v_cndmask_b32_e32 v157, v247, v156, vcc
	v_mov_b32_e32 v156, v246
	v_add_f64 v[150:151], v[150:151], v[156:157]
	v_cmp_lt_f64_e32 vcc, v[148:149], v[150:151]
	v_mov_b32_e32 v148, s0
	s_add_i32 s0, s0, 1
	v_cndmask_b32_e32 v229, v229, v245, vcc
	v_cndmask_b32_e32 v228, v228, v244, vcc
	;; [unrolled: 1-line block ×5, first 2 shown]
	s_cmp_lg_u32 s20, s0
	s_cbranch_scc1 .LBB112_757
.LBB112_758:
	s_waitcnt lgkmcnt(0)
	v_cmp_eq_f64_e32 vcc, 0, v[228:229]
	v_cmp_eq_f64_e64 s[0:1], 0, v[230:231]
	s_and_b64 s[0:1], vcc, s[0:1]
	s_and_saveexec_b64 s[16:17], s[0:1]
	s_xor_b64 s[0:1], exec, s[16:17]
; %bb.759:
	v_cmp_ne_u32_e32 vcc, 0, v242
	s_nop 1
	v_cndmask_b32_e32 v242, 37, v242, vcc
; %bb.760:
	s_andn2_saveexec_b64 s[0:1], s[0:1]
	s_cbranch_execz .LBB112_766
; %bb.761:
	v_cmp_ngt_f64_e64 s[16:17], |v[228:229]|, |v[230:231]|
	s_and_saveexec_b64 s[18:19], s[16:17]
	s_xor_b64 s[16:17], exec, s[18:19]
	s_cbranch_execz .LBB112_763
; %bb.762:
	v_div_scale_f64 v[148:149], s[18:19], v[230:231], v[230:231], v[228:229]
	v_rcp_f64_e32 v[150:151], v[148:149]
	v_div_scale_f64 v[156:157], vcc, v[228:229], v[230:231], v[228:229]
	v_fma_f64 v[158:159], -v[148:149], v[150:151], 1.0
	v_fmac_f64_e32 v[150:151], v[150:151], v[158:159]
	v_fma_f64 v[158:159], -v[148:149], v[150:151], 1.0
	v_fmac_f64_e32 v[150:151], v[150:151], v[158:159]
	v_mul_f64 v[158:159], v[156:157], v[150:151]
	v_fma_f64 v[148:149], -v[148:149], v[158:159], v[156:157]
	v_div_fmas_f64 v[148:149], v[148:149], v[150:151], v[158:159]
	v_div_fixup_f64 v[148:149], v[148:149], v[230:231], v[228:229]
	v_fmac_f64_e32 v[230:231], v[228:229], v[148:149]
	v_div_scale_f64 v[150:151], s[18:19], v[230:231], v[230:231], 1.0
	v_rcp_f64_e32 v[156:157], v[150:151]
	s_nop 0
	v_fma_f64 v[158:159], -v[150:151], v[156:157], 1.0
	v_fmac_f64_e32 v[156:157], v[156:157], v[158:159]
	v_fma_f64 v[158:159], -v[150:151], v[156:157], 1.0
	v_fmac_f64_e32 v[156:157], v[156:157], v[158:159]
	v_div_scale_f64 v[158:159], vcc, 1.0, v[230:231], 1.0
	v_mul_f64 v[220:221], v[158:159], v[156:157]
	v_fma_f64 v[150:151], -v[150:151], v[220:221], v[158:159]
	s_nop 1
	v_div_fmas_f64 v[150:151], v[150:151], v[156:157], v[220:221]
	v_div_fixup_f64 v[230:231], v[150:151], v[230:231], 1.0
	v_mul_f64 v[228:229], v[148:149], v[230:231]
	v_xor_b32_e32 v231, 0x80000000, v231
.LBB112_763:
	s_andn2_saveexec_b64 s[16:17], s[16:17]
	s_cbranch_execz .LBB112_765
; %bb.764:
	v_div_scale_f64 v[148:149], s[18:19], v[228:229], v[228:229], v[230:231]
	v_rcp_f64_e32 v[150:151], v[148:149]
	v_div_scale_f64 v[156:157], vcc, v[230:231], v[228:229], v[230:231]
	v_fma_f64 v[158:159], -v[148:149], v[150:151], 1.0
	v_fmac_f64_e32 v[150:151], v[150:151], v[158:159]
	v_fma_f64 v[158:159], -v[148:149], v[150:151], 1.0
	v_fmac_f64_e32 v[150:151], v[150:151], v[158:159]
	v_mul_f64 v[158:159], v[156:157], v[150:151]
	v_fma_f64 v[148:149], -v[148:149], v[158:159], v[156:157]
	v_div_fmas_f64 v[148:149], v[148:149], v[150:151], v[158:159]
	v_div_fixup_f64 v[148:149], v[148:149], v[228:229], v[230:231]
	v_fmac_f64_e32 v[228:229], v[230:231], v[148:149]
	v_div_scale_f64 v[150:151], s[18:19], v[228:229], v[228:229], 1.0
	v_rcp_f64_e32 v[156:157], v[150:151]
	s_nop 0
	v_fma_f64 v[158:159], -v[150:151], v[156:157], 1.0
	v_fmac_f64_e32 v[156:157], v[156:157], v[158:159]
	v_fma_f64 v[158:159], -v[150:151], v[156:157], 1.0
	v_fmac_f64_e32 v[156:157], v[156:157], v[158:159]
	v_div_scale_f64 v[158:159], vcc, 1.0, v[228:229], 1.0
	v_mul_f64 v[220:221], v[158:159], v[156:157]
	v_fma_f64 v[150:151], -v[150:151], v[220:221], v[158:159]
	s_nop 1
	v_div_fmas_f64 v[150:151], v[150:151], v[156:157], v[220:221]
	v_div_fixup_f64 v[228:229], v[150:151], v[228:229], 1.0
	v_mul_f64 v[230:231], v[148:149], -v[228:229]
.LBB112_765:
	s_or_b64 exec, exec, s[16:17]
.LBB112_766:
	s_or_b64 exec, exec, s[0:1]
	v_cmp_ne_u32_e32 vcc, v241, v238
	s_and_saveexec_b64 s[0:1], vcc
	s_xor_b64 s[0:1], exec, s[0:1]
	s_cbranch_execz .LBB112_772
; %bb.767:
	v_cmp_eq_u32_e32 vcc, 36, v241
	s_and_saveexec_b64 s[16:17], vcc
	s_cbranch_execz .LBB112_771
; %bb.768:
	v_cmp_ne_u32_e32 vcc, 36, v238
	s_xor_b64 s[18:19], s[14:15], -1
	s_and_b64 s[22:23], s[18:19], vcc
	s_and_saveexec_b64 s[18:19], s[22:23]
	s_cbranch_execz .LBB112_770
; %bb.769:
	v_ashrrev_i32_e32 v239, 31, v238
	v_lshl_add_u64 v[148:149], v[238:239], 2, v[8:9]
	global_load_dword v150, v[148:149], off
	global_load_dword v151, v[8:9], off offset:144
	s_waitcnt vmcnt(1)
	global_store_dword v[8:9], v150, off offset:144
	s_waitcnt vmcnt(1)
	global_store_dword v[148:149], v151, off
.LBB112_770:
	s_or_b64 exec, exec, s[18:19]
	v_mov_b32_e32 v241, v238
	v_mov_b32_e32 v236, v238
.LBB112_771:
	s_or_b64 exec, exec, s[16:17]
.LBB112_772:
	s_andn2_saveexec_b64 s[0:1], s[0:1]
	s_cbranch_execz .LBB112_774
; %bb.773:
	v_mov_b32_e32 v241, 36
	ds_write2_b64 v240, v[72:73], v[74:75] offset0:74 offset1:75
	ds_write2_b64 v240, v[68:69], v[70:71] offset0:76 offset1:77
	;; [unrolled: 1-line block ×20, first 2 shown]
.LBB112_774:
	s_or_b64 exec, exec, s[0:1]
	v_cmp_lt_i32_e32 vcc, 36, v241
	s_waitcnt lgkmcnt(0)
	s_barrier
	s_and_saveexec_b64 s[0:1], vcc
	s_cbranch_execz .LBB112_776
; %bb.775:
	ds_read2_b64 v[244:247], v240 offset0:74 offset1:75
	v_mul_f64 v[148:149], v[230:231], v[78:79]
	v_mul_f64 v[78:79], v[228:229], v[78:79]
	v_fma_f64 v[238:239], v[228:229], v[76:77], -v[148:149]
	v_fmac_f64_e32 v[78:79], v[230:231], v[76:77]
	ds_read2_b64 v[228:231], v240 offset0:76 offset1:77
	s_waitcnt lgkmcnt(1)
	v_mul_f64 v[76:77], v[246:247], v[78:79]
	v_mul_f64 v[148:149], v[244:245], v[78:79]
	v_fma_f64 v[76:77], v[244:245], v[238:239], -v[76:77]
	v_fmac_f64_e32 v[148:149], v[246:247], v[238:239]
	ds_read2_b64 v[244:247], v240 offset0:78 offset1:79
	v_add_f64 v[72:73], v[72:73], -v[76:77]
	v_add_f64 v[74:75], v[74:75], -v[148:149]
	s_waitcnt lgkmcnt(1)
	v_mul_f64 v[76:77], v[230:231], v[78:79]
	v_mul_f64 v[148:149], v[228:229], v[78:79]
	v_fma_f64 v[76:77], v[228:229], v[238:239], -v[76:77]
	v_fmac_f64_e32 v[148:149], v[230:231], v[238:239]
	ds_read2_b64 v[228:231], v240 offset0:80 offset1:81
	v_add_f64 v[68:69], v[68:69], -v[76:77]
	v_add_f64 v[70:71], v[70:71], -v[148:149]
	;; [unrolled: 8-line block ×18, first 2 shown]
	s_waitcnt lgkmcnt(1)
	v_mul_f64 v[76:77], v[246:247], v[78:79]
	v_mul_f64 v[148:149], v[244:245], v[78:79]
	v_fma_f64 v[76:77], v[244:245], v[238:239], -v[76:77]
	v_fmac_f64_e32 v[148:149], v[246:247], v[238:239]
	v_add_f64 v[250:251], v[250:251], -v[76:77]
	v_add_f64 v[252:253], v[252:253], -v[148:149]
	s_waitcnt lgkmcnt(0)
	v_mul_f64 v[76:77], v[230:231], v[78:79]
	v_mul_f64 v[148:149], v[228:229], v[78:79]
	v_fma_f64 v[76:77], v[228:229], v[238:239], -v[76:77]
	v_fmac_f64_e32 v[148:149], v[230:231], v[238:239]
	v_add_f64 v[224:225], v[224:225], -v[76:77]
	v_add_f64 v[226:227], v[226:227], -v[148:149]
	v_mov_b64_e32 v[76:77], v[238:239]
.LBB112_776:
	s_or_b64 exec, exec, s[0:1]
	v_lshl_add_u32 v148, v241, 4, v240
	s_barrier
	ds_write2_b64 v148, v[72:73], v[74:75] offset1:1
	s_waitcnt lgkmcnt(0)
	s_barrier
	ds_read2_b64 v[228:231], v240 offset0:74 offset1:75
	s_cmp_lt_i32 s20, 39
	v_mov_b32_e32 v238, 37
	s_cbranch_scc1 .LBB112_779
; %bb.777:
	v_add_u32_e32 v239, 0x260, v240
	s_mov_b32 s0, 38
	v_mov_b32_e32 v238, 37
.LBB112_778:                            ; =>This Inner Loop Header: Depth=1
	ds_read2_b64 v[244:247], v239 offset1:1
	s_waitcnt lgkmcnt(1)
	v_cmp_gt_f64_e32 vcc, 0, v[228:229]
	v_xor_b32_e32 v148, 0x80000000, v229
	v_xor_b32_e32 v150, 0x80000000, v231
	v_cndmask_b32_e32 v149, v229, v148, vcc
	v_cmp_gt_f64_e32 vcc, 0, v[230:231]
	v_mov_b32_e32 v148, v228
	s_waitcnt lgkmcnt(0)
	v_xor_b32_e32 v156, 0x80000000, v247
	v_cndmask_b32_e32 v151, v231, v150, vcc
	v_mov_b32_e32 v150, v230
	v_add_f64 v[148:149], v[148:149], v[150:151]
	v_cmp_gt_f64_e32 vcc, 0, v[244:245]
	v_xor_b32_e32 v150, 0x80000000, v245
	v_add_u32_e32 v239, 16, v239
	v_cndmask_b32_e32 v151, v245, v150, vcc
	v_cmp_gt_f64_e32 vcc, 0, v[246:247]
	v_mov_b32_e32 v150, v244
	s_nop 0
	v_cndmask_b32_e32 v157, v247, v156, vcc
	v_mov_b32_e32 v156, v246
	v_add_f64 v[150:151], v[150:151], v[156:157]
	v_cmp_lt_f64_e32 vcc, v[148:149], v[150:151]
	v_mov_b32_e32 v148, s0
	s_add_i32 s0, s0, 1
	v_cndmask_b32_e32 v229, v229, v245, vcc
	v_cndmask_b32_e32 v228, v228, v244, vcc
	;; [unrolled: 1-line block ×5, first 2 shown]
	s_cmp_lg_u32 s20, s0
	s_cbranch_scc1 .LBB112_778
.LBB112_779:
	s_waitcnt lgkmcnt(0)
	v_cmp_eq_f64_e32 vcc, 0, v[228:229]
	v_cmp_eq_f64_e64 s[0:1], 0, v[230:231]
	s_and_b64 s[0:1], vcc, s[0:1]
	s_and_saveexec_b64 s[16:17], s[0:1]
	s_xor_b64 s[0:1], exec, s[16:17]
; %bb.780:
	v_cmp_ne_u32_e32 vcc, 0, v242
	s_nop 1
	v_cndmask_b32_e32 v242, 38, v242, vcc
; %bb.781:
	s_andn2_saveexec_b64 s[0:1], s[0:1]
	s_cbranch_execz .LBB112_787
; %bb.782:
	v_cmp_ngt_f64_e64 s[16:17], |v[228:229]|, |v[230:231]|
	s_and_saveexec_b64 s[18:19], s[16:17]
	s_xor_b64 s[16:17], exec, s[18:19]
	s_cbranch_execz .LBB112_784
; %bb.783:
	v_div_scale_f64 v[148:149], s[18:19], v[230:231], v[230:231], v[228:229]
	v_rcp_f64_e32 v[150:151], v[148:149]
	v_div_scale_f64 v[156:157], vcc, v[228:229], v[230:231], v[228:229]
	v_fma_f64 v[158:159], -v[148:149], v[150:151], 1.0
	v_fmac_f64_e32 v[150:151], v[150:151], v[158:159]
	v_fma_f64 v[158:159], -v[148:149], v[150:151], 1.0
	v_fmac_f64_e32 v[150:151], v[150:151], v[158:159]
	v_mul_f64 v[158:159], v[156:157], v[150:151]
	v_fma_f64 v[148:149], -v[148:149], v[158:159], v[156:157]
	v_div_fmas_f64 v[148:149], v[148:149], v[150:151], v[158:159]
	v_div_fixup_f64 v[148:149], v[148:149], v[230:231], v[228:229]
	v_fmac_f64_e32 v[230:231], v[228:229], v[148:149]
	v_div_scale_f64 v[150:151], s[18:19], v[230:231], v[230:231], 1.0
	v_rcp_f64_e32 v[156:157], v[150:151]
	s_nop 0
	v_fma_f64 v[158:159], -v[150:151], v[156:157], 1.0
	v_fmac_f64_e32 v[156:157], v[156:157], v[158:159]
	v_fma_f64 v[158:159], -v[150:151], v[156:157], 1.0
	v_fmac_f64_e32 v[156:157], v[156:157], v[158:159]
	v_div_scale_f64 v[158:159], vcc, 1.0, v[230:231], 1.0
	v_mul_f64 v[220:221], v[158:159], v[156:157]
	v_fma_f64 v[150:151], -v[150:151], v[220:221], v[158:159]
	s_nop 1
	v_div_fmas_f64 v[150:151], v[150:151], v[156:157], v[220:221]
	v_div_fixup_f64 v[230:231], v[150:151], v[230:231], 1.0
	v_mul_f64 v[228:229], v[148:149], v[230:231]
	v_xor_b32_e32 v231, 0x80000000, v231
.LBB112_784:
	s_andn2_saveexec_b64 s[16:17], s[16:17]
	s_cbranch_execz .LBB112_786
; %bb.785:
	v_div_scale_f64 v[148:149], s[18:19], v[228:229], v[228:229], v[230:231]
	v_rcp_f64_e32 v[150:151], v[148:149]
	v_div_scale_f64 v[156:157], vcc, v[230:231], v[228:229], v[230:231]
	v_fma_f64 v[158:159], -v[148:149], v[150:151], 1.0
	v_fmac_f64_e32 v[150:151], v[150:151], v[158:159]
	v_fma_f64 v[158:159], -v[148:149], v[150:151], 1.0
	v_fmac_f64_e32 v[150:151], v[150:151], v[158:159]
	v_mul_f64 v[158:159], v[156:157], v[150:151]
	v_fma_f64 v[148:149], -v[148:149], v[158:159], v[156:157]
	v_div_fmas_f64 v[148:149], v[148:149], v[150:151], v[158:159]
	v_div_fixup_f64 v[148:149], v[148:149], v[228:229], v[230:231]
	v_fmac_f64_e32 v[228:229], v[230:231], v[148:149]
	v_div_scale_f64 v[150:151], s[18:19], v[228:229], v[228:229], 1.0
	v_rcp_f64_e32 v[156:157], v[150:151]
	s_nop 0
	v_fma_f64 v[158:159], -v[150:151], v[156:157], 1.0
	v_fmac_f64_e32 v[156:157], v[156:157], v[158:159]
	v_fma_f64 v[158:159], -v[150:151], v[156:157], 1.0
	v_fmac_f64_e32 v[156:157], v[156:157], v[158:159]
	v_div_scale_f64 v[158:159], vcc, 1.0, v[228:229], 1.0
	v_mul_f64 v[220:221], v[158:159], v[156:157]
	v_fma_f64 v[150:151], -v[150:151], v[220:221], v[158:159]
	s_nop 1
	v_div_fmas_f64 v[150:151], v[150:151], v[156:157], v[220:221]
	v_div_fixup_f64 v[228:229], v[150:151], v[228:229], 1.0
	v_mul_f64 v[230:231], v[148:149], -v[228:229]
.LBB112_786:
	s_or_b64 exec, exec, s[16:17]
.LBB112_787:
	s_or_b64 exec, exec, s[0:1]
	v_cmp_ne_u32_e32 vcc, v241, v238
	s_and_saveexec_b64 s[0:1], vcc
	s_xor_b64 s[0:1], exec, s[0:1]
	s_cbranch_execz .LBB112_793
; %bb.788:
	v_cmp_eq_u32_e32 vcc, 37, v241
	s_and_saveexec_b64 s[16:17], vcc
	s_cbranch_execz .LBB112_792
; %bb.789:
	v_cmp_ne_u32_e32 vcc, 37, v238
	s_xor_b64 s[18:19], s[14:15], -1
	s_and_b64 s[22:23], s[18:19], vcc
	s_and_saveexec_b64 s[18:19], s[22:23]
	s_cbranch_execz .LBB112_791
; %bb.790:
	v_ashrrev_i32_e32 v239, 31, v238
	v_lshl_add_u64 v[148:149], v[238:239], 2, v[8:9]
	global_load_dword v150, v[148:149], off
	global_load_dword v151, v[8:9], off offset:148
	s_waitcnt vmcnt(1)
	global_store_dword v[8:9], v150, off offset:148
	s_waitcnt vmcnt(1)
	global_store_dword v[148:149], v151, off
.LBB112_791:
	s_or_b64 exec, exec, s[18:19]
	v_mov_b32_e32 v241, v238
	v_mov_b32_e32 v236, v238
.LBB112_792:
	s_or_b64 exec, exec, s[16:17]
.LBB112_793:
	s_andn2_saveexec_b64 s[0:1], s[0:1]
	s_cbranch_execz .LBB112_795
; %bb.794:
	v_mov_b32_e32 v241, 37
	ds_write2_b64 v240, v[68:69], v[70:71] offset0:76 offset1:77
	ds_write2_b64 v240, v[64:65], v[66:67] offset0:78 offset1:79
	;; [unrolled: 1-line block ×19, first 2 shown]
.LBB112_795:
	s_or_b64 exec, exec, s[0:1]
	v_cmp_lt_i32_e32 vcc, 37, v241
	s_waitcnt lgkmcnt(0)
	s_barrier
	s_and_saveexec_b64 s[0:1], vcc
	s_cbranch_execz .LBB112_797
; %bb.796:
	ds_read2_b64 v[244:247], v240 offset0:76 offset1:77
	v_mul_f64 v[148:149], v[230:231], v[74:75]
	v_mul_f64 v[74:75], v[228:229], v[74:75]
	v_fma_f64 v[238:239], v[228:229], v[72:73], -v[148:149]
	v_fmac_f64_e32 v[74:75], v[230:231], v[72:73]
	ds_read2_b64 v[228:231], v240 offset0:78 offset1:79
	s_waitcnt lgkmcnt(1)
	v_mul_f64 v[72:73], v[246:247], v[74:75]
	v_mul_f64 v[148:149], v[244:245], v[74:75]
	v_fma_f64 v[72:73], v[244:245], v[238:239], -v[72:73]
	v_fmac_f64_e32 v[148:149], v[246:247], v[238:239]
	ds_read2_b64 v[244:247], v240 offset0:80 offset1:81
	v_add_f64 v[68:69], v[68:69], -v[72:73]
	v_add_f64 v[70:71], v[70:71], -v[148:149]
	s_waitcnt lgkmcnt(1)
	v_mul_f64 v[72:73], v[230:231], v[74:75]
	v_mul_f64 v[148:149], v[228:229], v[74:75]
	v_fma_f64 v[72:73], v[228:229], v[238:239], -v[72:73]
	v_fmac_f64_e32 v[148:149], v[230:231], v[238:239]
	ds_read2_b64 v[228:231], v240 offset0:82 offset1:83
	v_add_f64 v[64:65], v[64:65], -v[72:73]
	v_add_f64 v[66:67], v[66:67], -v[148:149]
	;; [unrolled: 8-line block ×17, first 2 shown]
	s_waitcnt lgkmcnt(1)
	v_mul_f64 v[72:73], v[230:231], v[74:75]
	v_mul_f64 v[148:149], v[228:229], v[74:75]
	v_fma_f64 v[72:73], v[228:229], v[238:239], -v[72:73]
	v_fmac_f64_e32 v[148:149], v[230:231], v[238:239]
	v_add_f64 v[250:251], v[250:251], -v[72:73]
	v_add_f64 v[252:253], v[252:253], -v[148:149]
	s_waitcnt lgkmcnt(0)
	v_mul_f64 v[72:73], v[246:247], v[74:75]
	v_mul_f64 v[148:149], v[244:245], v[74:75]
	v_fma_f64 v[72:73], v[244:245], v[238:239], -v[72:73]
	v_fmac_f64_e32 v[148:149], v[246:247], v[238:239]
	v_add_f64 v[224:225], v[224:225], -v[72:73]
	v_add_f64 v[226:227], v[226:227], -v[148:149]
	v_mov_b64_e32 v[72:73], v[238:239]
.LBB112_797:
	s_or_b64 exec, exec, s[0:1]
	v_lshl_add_u32 v148, v241, 4, v240
	s_barrier
	ds_write2_b64 v148, v[68:69], v[70:71] offset1:1
	s_waitcnt lgkmcnt(0)
	s_barrier
	ds_read2_b64 v[228:231], v240 offset0:76 offset1:77
	s_cmp_lt_i32 s20, 40
	v_mov_b32_e32 v238, 38
	s_cbranch_scc1 .LBB112_800
; %bb.798:
	v_add_u32_e32 v239, 0x270, v240
	s_mov_b32 s0, 39
	v_mov_b32_e32 v238, 38
.LBB112_799:                            ; =>This Inner Loop Header: Depth=1
	ds_read2_b64 v[244:247], v239 offset1:1
	s_waitcnt lgkmcnt(1)
	v_cmp_gt_f64_e32 vcc, 0, v[228:229]
	v_xor_b32_e32 v148, 0x80000000, v229
	v_xor_b32_e32 v150, 0x80000000, v231
	v_cndmask_b32_e32 v149, v229, v148, vcc
	v_cmp_gt_f64_e32 vcc, 0, v[230:231]
	v_mov_b32_e32 v148, v228
	s_waitcnt lgkmcnt(0)
	v_xor_b32_e32 v156, 0x80000000, v247
	v_cndmask_b32_e32 v151, v231, v150, vcc
	v_mov_b32_e32 v150, v230
	v_add_f64 v[148:149], v[148:149], v[150:151]
	v_cmp_gt_f64_e32 vcc, 0, v[244:245]
	v_xor_b32_e32 v150, 0x80000000, v245
	v_add_u32_e32 v239, 16, v239
	v_cndmask_b32_e32 v151, v245, v150, vcc
	v_cmp_gt_f64_e32 vcc, 0, v[246:247]
	v_mov_b32_e32 v150, v244
	s_nop 0
	v_cndmask_b32_e32 v157, v247, v156, vcc
	v_mov_b32_e32 v156, v246
	v_add_f64 v[150:151], v[150:151], v[156:157]
	v_cmp_lt_f64_e32 vcc, v[148:149], v[150:151]
	v_mov_b32_e32 v148, s0
	s_add_i32 s0, s0, 1
	v_cndmask_b32_e32 v229, v229, v245, vcc
	v_cndmask_b32_e32 v228, v228, v244, vcc
	;; [unrolled: 1-line block ×5, first 2 shown]
	s_cmp_lg_u32 s20, s0
	s_cbranch_scc1 .LBB112_799
.LBB112_800:
	s_waitcnt lgkmcnt(0)
	v_cmp_eq_f64_e32 vcc, 0, v[228:229]
	v_cmp_eq_f64_e64 s[0:1], 0, v[230:231]
	s_and_b64 s[0:1], vcc, s[0:1]
	s_and_saveexec_b64 s[16:17], s[0:1]
	s_xor_b64 s[0:1], exec, s[16:17]
; %bb.801:
	v_cmp_ne_u32_e32 vcc, 0, v242
	s_nop 1
	v_cndmask_b32_e32 v242, 39, v242, vcc
; %bb.802:
	s_andn2_saveexec_b64 s[0:1], s[0:1]
	s_cbranch_execz .LBB112_808
; %bb.803:
	v_cmp_ngt_f64_e64 s[16:17], |v[228:229]|, |v[230:231]|
	s_and_saveexec_b64 s[18:19], s[16:17]
	s_xor_b64 s[16:17], exec, s[18:19]
	s_cbranch_execz .LBB112_805
; %bb.804:
	v_div_scale_f64 v[148:149], s[18:19], v[230:231], v[230:231], v[228:229]
	v_rcp_f64_e32 v[150:151], v[148:149]
	v_div_scale_f64 v[156:157], vcc, v[228:229], v[230:231], v[228:229]
	v_fma_f64 v[158:159], -v[148:149], v[150:151], 1.0
	v_fmac_f64_e32 v[150:151], v[150:151], v[158:159]
	v_fma_f64 v[158:159], -v[148:149], v[150:151], 1.0
	v_fmac_f64_e32 v[150:151], v[150:151], v[158:159]
	v_mul_f64 v[158:159], v[156:157], v[150:151]
	v_fma_f64 v[148:149], -v[148:149], v[158:159], v[156:157]
	v_div_fmas_f64 v[148:149], v[148:149], v[150:151], v[158:159]
	v_div_fixup_f64 v[148:149], v[148:149], v[230:231], v[228:229]
	v_fmac_f64_e32 v[230:231], v[228:229], v[148:149]
	v_div_scale_f64 v[150:151], s[18:19], v[230:231], v[230:231], 1.0
	v_rcp_f64_e32 v[156:157], v[150:151]
	s_nop 0
	v_fma_f64 v[158:159], -v[150:151], v[156:157], 1.0
	v_fmac_f64_e32 v[156:157], v[156:157], v[158:159]
	v_fma_f64 v[158:159], -v[150:151], v[156:157], 1.0
	v_fmac_f64_e32 v[156:157], v[156:157], v[158:159]
	v_div_scale_f64 v[158:159], vcc, 1.0, v[230:231], 1.0
	v_mul_f64 v[220:221], v[158:159], v[156:157]
	v_fma_f64 v[150:151], -v[150:151], v[220:221], v[158:159]
	s_nop 1
	v_div_fmas_f64 v[150:151], v[150:151], v[156:157], v[220:221]
	v_div_fixup_f64 v[230:231], v[150:151], v[230:231], 1.0
	v_mul_f64 v[228:229], v[148:149], v[230:231]
	v_xor_b32_e32 v231, 0x80000000, v231
.LBB112_805:
	s_andn2_saveexec_b64 s[16:17], s[16:17]
	s_cbranch_execz .LBB112_807
; %bb.806:
	v_div_scale_f64 v[148:149], s[18:19], v[228:229], v[228:229], v[230:231]
	v_rcp_f64_e32 v[150:151], v[148:149]
	v_div_scale_f64 v[156:157], vcc, v[230:231], v[228:229], v[230:231]
	v_fma_f64 v[158:159], -v[148:149], v[150:151], 1.0
	v_fmac_f64_e32 v[150:151], v[150:151], v[158:159]
	v_fma_f64 v[158:159], -v[148:149], v[150:151], 1.0
	v_fmac_f64_e32 v[150:151], v[150:151], v[158:159]
	v_mul_f64 v[158:159], v[156:157], v[150:151]
	v_fma_f64 v[148:149], -v[148:149], v[158:159], v[156:157]
	v_div_fmas_f64 v[148:149], v[148:149], v[150:151], v[158:159]
	v_div_fixup_f64 v[148:149], v[148:149], v[228:229], v[230:231]
	v_fmac_f64_e32 v[228:229], v[230:231], v[148:149]
	v_div_scale_f64 v[150:151], s[18:19], v[228:229], v[228:229], 1.0
	v_rcp_f64_e32 v[156:157], v[150:151]
	s_nop 0
	v_fma_f64 v[158:159], -v[150:151], v[156:157], 1.0
	v_fmac_f64_e32 v[156:157], v[156:157], v[158:159]
	v_fma_f64 v[158:159], -v[150:151], v[156:157], 1.0
	v_fmac_f64_e32 v[156:157], v[156:157], v[158:159]
	v_div_scale_f64 v[158:159], vcc, 1.0, v[228:229], 1.0
	v_mul_f64 v[220:221], v[158:159], v[156:157]
	v_fma_f64 v[150:151], -v[150:151], v[220:221], v[158:159]
	s_nop 1
	v_div_fmas_f64 v[150:151], v[150:151], v[156:157], v[220:221]
	v_div_fixup_f64 v[228:229], v[150:151], v[228:229], 1.0
	v_mul_f64 v[230:231], v[148:149], -v[228:229]
.LBB112_807:
	s_or_b64 exec, exec, s[16:17]
.LBB112_808:
	s_or_b64 exec, exec, s[0:1]
	v_cmp_ne_u32_e32 vcc, v241, v238
	s_and_saveexec_b64 s[0:1], vcc
	s_xor_b64 s[0:1], exec, s[0:1]
	s_cbranch_execz .LBB112_814
; %bb.809:
	v_cmp_eq_u32_e32 vcc, 38, v241
	s_and_saveexec_b64 s[16:17], vcc
	s_cbranch_execz .LBB112_813
; %bb.810:
	v_cmp_ne_u32_e32 vcc, 38, v238
	s_xor_b64 s[18:19], s[14:15], -1
	s_and_b64 s[22:23], s[18:19], vcc
	s_and_saveexec_b64 s[18:19], s[22:23]
	s_cbranch_execz .LBB112_812
; %bb.811:
	v_ashrrev_i32_e32 v239, 31, v238
	v_lshl_add_u64 v[148:149], v[238:239], 2, v[8:9]
	global_load_dword v150, v[148:149], off
	global_load_dword v151, v[8:9], off offset:152
	s_waitcnt vmcnt(1)
	global_store_dword v[8:9], v150, off offset:152
	s_waitcnt vmcnt(1)
	global_store_dword v[148:149], v151, off
.LBB112_812:
	s_or_b64 exec, exec, s[18:19]
	v_mov_b32_e32 v241, v238
	v_mov_b32_e32 v236, v238
.LBB112_813:
	s_or_b64 exec, exec, s[16:17]
.LBB112_814:
	s_andn2_saveexec_b64 s[0:1], s[0:1]
	s_cbranch_execz .LBB112_816
; %bb.815:
	v_mov_b32_e32 v241, 38
	ds_write2_b64 v240, v[64:65], v[66:67] offset0:78 offset1:79
	ds_write2_b64 v240, v[60:61], v[62:63] offset0:80 offset1:81
	;; [unrolled: 1-line block ×18, first 2 shown]
.LBB112_816:
	s_or_b64 exec, exec, s[0:1]
	v_cmp_lt_i32_e32 vcc, 38, v241
	s_waitcnt lgkmcnt(0)
	s_barrier
	s_and_saveexec_b64 s[0:1], vcc
	s_cbranch_execz .LBB112_818
; %bb.817:
	ds_read2_b64 v[244:247], v240 offset0:78 offset1:79
	v_mul_f64 v[148:149], v[230:231], v[70:71]
	v_mul_f64 v[70:71], v[228:229], v[70:71]
	v_fma_f64 v[238:239], v[228:229], v[68:69], -v[148:149]
	v_fmac_f64_e32 v[70:71], v[230:231], v[68:69]
	ds_read2_b64 v[228:231], v240 offset0:80 offset1:81
	s_waitcnt lgkmcnt(1)
	v_mul_f64 v[68:69], v[246:247], v[70:71]
	v_mul_f64 v[148:149], v[244:245], v[70:71]
	v_fma_f64 v[68:69], v[244:245], v[238:239], -v[68:69]
	v_fmac_f64_e32 v[148:149], v[246:247], v[238:239]
	ds_read2_b64 v[244:247], v240 offset0:82 offset1:83
	v_add_f64 v[64:65], v[64:65], -v[68:69]
	v_add_f64 v[66:67], v[66:67], -v[148:149]
	s_waitcnt lgkmcnt(1)
	v_mul_f64 v[68:69], v[230:231], v[70:71]
	v_mul_f64 v[148:149], v[228:229], v[70:71]
	v_fma_f64 v[68:69], v[228:229], v[238:239], -v[68:69]
	v_fmac_f64_e32 v[148:149], v[230:231], v[238:239]
	ds_read2_b64 v[228:231], v240 offset0:84 offset1:85
	v_add_f64 v[60:61], v[60:61], -v[68:69]
	v_add_f64 v[62:63], v[62:63], -v[148:149]
	;; [unrolled: 8-line block ×16, first 2 shown]
	s_waitcnt lgkmcnt(1)
	v_mul_f64 v[68:69], v[246:247], v[70:71]
	v_mul_f64 v[148:149], v[244:245], v[70:71]
	v_fma_f64 v[68:69], v[244:245], v[238:239], -v[68:69]
	v_fmac_f64_e32 v[148:149], v[246:247], v[238:239]
	v_add_f64 v[250:251], v[250:251], -v[68:69]
	v_add_f64 v[252:253], v[252:253], -v[148:149]
	s_waitcnt lgkmcnt(0)
	v_mul_f64 v[68:69], v[230:231], v[70:71]
	v_mul_f64 v[148:149], v[228:229], v[70:71]
	v_fma_f64 v[68:69], v[228:229], v[238:239], -v[68:69]
	v_fmac_f64_e32 v[148:149], v[230:231], v[238:239]
	v_add_f64 v[224:225], v[224:225], -v[68:69]
	v_add_f64 v[226:227], v[226:227], -v[148:149]
	v_mov_b64_e32 v[68:69], v[238:239]
.LBB112_818:
	s_or_b64 exec, exec, s[0:1]
	v_lshl_add_u32 v148, v241, 4, v240
	s_barrier
	ds_write2_b64 v148, v[64:65], v[66:67] offset1:1
	s_waitcnt lgkmcnt(0)
	s_barrier
	ds_read2_b64 v[228:231], v240 offset0:78 offset1:79
	s_cmp_lt_i32 s20, 41
	v_mov_b32_e32 v238, 39
	s_cbranch_scc1 .LBB112_821
; %bb.819:
	v_add_u32_e32 v239, 0x280, v240
	s_mov_b32 s0, 40
	v_mov_b32_e32 v238, 39
.LBB112_820:                            ; =>This Inner Loop Header: Depth=1
	ds_read2_b64 v[244:247], v239 offset1:1
	s_waitcnt lgkmcnt(1)
	v_cmp_gt_f64_e32 vcc, 0, v[228:229]
	v_xor_b32_e32 v148, 0x80000000, v229
	v_xor_b32_e32 v150, 0x80000000, v231
	v_cndmask_b32_e32 v149, v229, v148, vcc
	v_cmp_gt_f64_e32 vcc, 0, v[230:231]
	v_mov_b32_e32 v148, v228
	s_waitcnt lgkmcnt(0)
	v_xor_b32_e32 v156, 0x80000000, v247
	v_cndmask_b32_e32 v151, v231, v150, vcc
	v_mov_b32_e32 v150, v230
	v_add_f64 v[148:149], v[148:149], v[150:151]
	v_cmp_gt_f64_e32 vcc, 0, v[244:245]
	v_xor_b32_e32 v150, 0x80000000, v245
	v_add_u32_e32 v239, 16, v239
	v_cndmask_b32_e32 v151, v245, v150, vcc
	v_cmp_gt_f64_e32 vcc, 0, v[246:247]
	v_mov_b32_e32 v150, v244
	s_nop 0
	v_cndmask_b32_e32 v157, v247, v156, vcc
	v_mov_b32_e32 v156, v246
	v_add_f64 v[150:151], v[150:151], v[156:157]
	v_cmp_lt_f64_e32 vcc, v[148:149], v[150:151]
	v_mov_b32_e32 v148, s0
	s_add_i32 s0, s0, 1
	v_cndmask_b32_e32 v229, v229, v245, vcc
	v_cndmask_b32_e32 v228, v228, v244, vcc
	;; [unrolled: 1-line block ×5, first 2 shown]
	s_cmp_lg_u32 s20, s0
	s_cbranch_scc1 .LBB112_820
.LBB112_821:
	s_waitcnt lgkmcnt(0)
	v_cmp_eq_f64_e32 vcc, 0, v[228:229]
	v_cmp_eq_f64_e64 s[0:1], 0, v[230:231]
	s_and_b64 s[0:1], vcc, s[0:1]
	s_and_saveexec_b64 s[16:17], s[0:1]
	s_xor_b64 s[0:1], exec, s[16:17]
; %bb.822:
	v_cmp_ne_u32_e32 vcc, 0, v242
	s_nop 1
	v_cndmask_b32_e32 v242, 40, v242, vcc
; %bb.823:
	s_andn2_saveexec_b64 s[0:1], s[0:1]
	s_cbranch_execz .LBB112_829
; %bb.824:
	v_cmp_ngt_f64_e64 s[16:17], |v[228:229]|, |v[230:231]|
	s_and_saveexec_b64 s[18:19], s[16:17]
	s_xor_b64 s[16:17], exec, s[18:19]
	s_cbranch_execz .LBB112_826
; %bb.825:
	v_div_scale_f64 v[148:149], s[18:19], v[230:231], v[230:231], v[228:229]
	v_rcp_f64_e32 v[150:151], v[148:149]
	v_div_scale_f64 v[156:157], vcc, v[228:229], v[230:231], v[228:229]
	v_fma_f64 v[158:159], -v[148:149], v[150:151], 1.0
	v_fmac_f64_e32 v[150:151], v[150:151], v[158:159]
	v_fma_f64 v[158:159], -v[148:149], v[150:151], 1.0
	v_fmac_f64_e32 v[150:151], v[150:151], v[158:159]
	v_mul_f64 v[158:159], v[156:157], v[150:151]
	v_fma_f64 v[148:149], -v[148:149], v[158:159], v[156:157]
	v_div_fmas_f64 v[148:149], v[148:149], v[150:151], v[158:159]
	v_div_fixup_f64 v[148:149], v[148:149], v[230:231], v[228:229]
	v_fmac_f64_e32 v[230:231], v[228:229], v[148:149]
	v_div_scale_f64 v[150:151], s[18:19], v[230:231], v[230:231], 1.0
	v_rcp_f64_e32 v[156:157], v[150:151]
	s_nop 0
	v_fma_f64 v[158:159], -v[150:151], v[156:157], 1.0
	v_fmac_f64_e32 v[156:157], v[156:157], v[158:159]
	v_fma_f64 v[158:159], -v[150:151], v[156:157], 1.0
	v_fmac_f64_e32 v[156:157], v[156:157], v[158:159]
	v_div_scale_f64 v[158:159], vcc, 1.0, v[230:231], 1.0
	v_mul_f64 v[220:221], v[158:159], v[156:157]
	v_fma_f64 v[150:151], -v[150:151], v[220:221], v[158:159]
	s_nop 1
	v_div_fmas_f64 v[150:151], v[150:151], v[156:157], v[220:221]
	v_div_fixup_f64 v[230:231], v[150:151], v[230:231], 1.0
	v_mul_f64 v[228:229], v[148:149], v[230:231]
	v_xor_b32_e32 v231, 0x80000000, v231
.LBB112_826:
	s_andn2_saveexec_b64 s[16:17], s[16:17]
	s_cbranch_execz .LBB112_828
; %bb.827:
	v_div_scale_f64 v[148:149], s[18:19], v[228:229], v[228:229], v[230:231]
	v_rcp_f64_e32 v[150:151], v[148:149]
	v_div_scale_f64 v[156:157], vcc, v[230:231], v[228:229], v[230:231]
	v_fma_f64 v[158:159], -v[148:149], v[150:151], 1.0
	v_fmac_f64_e32 v[150:151], v[150:151], v[158:159]
	v_fma_f64 v[158:159], -v[148:149], v[150:151], 1.0
	v_fmac_f64_e32 v[150:151], v[150:151], v[158:159]
	v_mul_f64 v[158:159], v[156:157], v[150:151]
	v_fma_f64 v[148:149], -v[148:149], v[158:159], v[156:157]
	v_div_fmas_f64 v[148:149], v[148:149], v[150:151], v[158:159]
	v_div_fixup_f64 v[148:149], v[148:149], v[228:229], v[230:231]
	v_fmac_f64_e32 v[228:229], v[230:231], v[148:149]
	v_div_scale_f64 v[150:151], s[18:19], v[228:229], v[228:229], 1.0
	v_rcp_f64_e32 v[156:157], v[150:151]
	s_nop 0
	v_fma_f64 v[158:159], -v[150:151], v[156:157], 1.0
	v_fmac_f64_e32 v[156:157], v[156:157], v[158:159]
	v_fma_f64 v[158:159], -v[150:151], v[156:157], 1.0
	v_fmac_f64_e32 v[156:157], v[156:157], v[158:159]
	v_div_scale_f64 v[158:159], vcc, 1.0, v[228:229], 1.0
	v_mul_f64 v[220:221], v[158:159], v[156:157]
	v_fma_f64 v[150:151], -v[150:151], v[220:221], v[158:159]
	s_nop 1
	v_div_fmas_f64 v[150:151], v[150:151], v[156:157], v[220:221]
	v_div_fixup_f64 v[228:229], v[150:151], v[228:229], 1.0
	v_mul_f64 v[230:231], v[148:149], -v[228:229]
.LBB112_828:
	s_or_b64 exec, exec, s[16:17]
.LBB112_829:
	s_or_b64 exec, exec, s[0:1]
	v_cmp_ne_u32_e32 vcc, v241, v238
	s_and_saveexec_b64 s[0:1], vcc
	s_xor_b64 s[0:1], exec, s[0:1]
	s_cbranch_execz .LBB112_835
; %bb.830:
	v_cmp_eq_u32_e32 vcc, 39, v241
	s_and_saveexec_b64 s[16:17], vcc
	s_cbranch_execz .LBB112_834
; %bb.831:
	v_cmp_ne_u32_e32 vcc, 39, v238
	s_xor_b64 s[18:19], s[14:15], -1
	s_and_b64 s[22:23], s[18:19], vcc
	s_and_saveexec_b64 s[18:19], s[22:23]
	s_cbranch_execz .LBB112_833
; %bb.832:
	v_ashrrev_i32_e32 v239, 31, v238
	v_lshl_add_u64 v[148:149], v[238:239], 2, v[8:9]
	global_load_dword v150, v[148:149], off
	global_load_dword v151, v[8:9], off offset:156
	s_waitcnt vmcnt(1)
	global_store_dword v[8:9], v150, off offset:156
	s_waitcnt vmcnt(1)
	global_store_dword v[148:149], v151, off
.LBB112_833:
	s_or_b64 exec, exec, s[18:19]
	v_mov_b32_e32 v241, v238
	v_mov_b32_e32 v236, v238
.LBB112_834:
	s_or_b64 exec, exec, s[16:17]
.LBB112_835:
	s_andn2_saveexec_b64 s[0:1], s[0:1]
	s_cbranch_execz .LBB112_837
; %bb.836:
	v_mov_b32_e32 v241, 39
	ds_write2_b64 v240, v[60:61], v[62:63] offset0:80 offset1:81
	ds_write2_b64 v240, v[56:57], v[58:59] offset0:82 offset1:83
	;; [unrolled: 1-line block ×17, first 2 shown]
.LBB112_837:
	s_or_b64 exec, exec, s[0:1]
	v_cmp_lt_i32_e32 vcc, 39, v241
	s_waitcnt lgkmcnt(0)
	s_barrier
	s_and_saveexec_b64 s[0:1], vcc
	s_cbranch_execz .LBB112_839
; %bb.838:
	ds_read2_b64 v[244:247], v240 offset0:80 offset1:81
	v_mul_f64 v[148:149], v[230:231], v[66:67]
	v_mul_f64 v[66:67], v[228:229], v[66:67]
	v_fma_f64 v[238:239], v[228:229], v[64:65], -v[148:149]
	v_fmac_f64_e32 v[66:67], v[230:231], v[64:65]
	ds_read2_b64 v[228:231], v240 offset0:82 offset1:83
	s_waitcnt lgkmcnt(1)
	v_mul_f64 v[64:65], v[246:247], v[66:67]
	v_mul_f64 v[148:149], v[244:245], v[66:67]
	v_fma_f64 v[64:65], v[244:245], v[238:239], -v[64:65]
	v_fmac_f64_e32 v[148:149], v[246:247], v[238:239]
	ds_read2_b64 v[244:247], v240 offset0:84 offset1:85
	v_add_f64 v[60:61], v[60:61], -v[64:65]
	v_add_f64 v[62:63], v[62:63], -v[148:149]
	s_waitcnt lgkmcnt(1)
	v_mul_f64 v[64:65], v[230:231], v[66:67]
	v_mul_f64 v[148:149], v[228:229], v[66:67]
	v_fma_f64 v[64:65], v[228:229], v[238:239], -v[64:65]
	v_fmac_f64_e32 v[148:149], v[230:231], v[238:239]
	ds_read2_b64 v[228:231], v240 offset0:86 offset1:87
	v_add_f64 v[56:57], v[56:57], -v[64:65]
	v_add_f64 v[58:59], v[58:59], -v[148:149]
	;; [unrolled: 8-line block ×15, first 2 shown]
	s_waitcnt lgkmcnt(1)
	v_mul_f64 v[64:65], v[230:231], v[66:67]
	v_mul_f64 v[148:149], v[228:229], v[66:67]
	v_fma_f64 v[64:65], v[228:229], v[238:239], -v[64:65]
	v_fmac_f64_e32 v[148:149], v[230:231], v[238:239]
	v_add_f64 v[250:251], v[250:251], -v[64:65]
	v_add_f64 v[252:253], v[252:253], -v[148:149]
	s_waitcnt lgkmcnt(0)
	v_mul_f64 v[64:65], v[246:247], v[66:67]
	v_mul_f64 v[148:149], v[244:245], v[66:67]
	v_fma_f64 v[64:65], v[244:245], v[238:239], -v[64:65]
	v_fmac_f64_e32 v[148:149], v[246:247], v[238:239]
	v_add_f64 v[224:225], v[224:225], -v[64:65]
	v_add_f64 v[226:227], v[226:227], -v[148:149]
	v_mov_b64_e32 v[64:65], v[238:239]
.LBB112_839:
	s_or_b64 exec, exec, s[0:1]
	v_lshl_add_u32 v148, v241, 4, v240
	s_barrier
	ds_write2_b64 v148, v[60:61], v[62:63] offset1:1
	s_waitcnt lgkmcnt(0)
	s_barrier
	ds_read2_b64 v[228:231], v240 offset0:80 offset1:81
	s_cmp_lt_i32 s20, 42
	v_mov_b32_e32 v238, 40
	s_cbranch_scc1 .LBB112_842
; %bb.840:
	v_add_u32_e32 v239, 0x290, v240
	s_mov_b32 s0, 41
	v_mov_b32_e32 v238, 40
.LBB112_841:                            ; =>This Inner Loop Header: Depth=1
	ds_read2_b64 v[244:247], v239 offset1:1
	s_waitcnt lgkmcnt(1)
	v_cmp_gt_f64_e32 vcc, 0, v[228:229]
	v_xor_b32_e32 v148, 0x80000000, v229
	v_xor_b32_e32 v150, 0x80000000, v231
	v_cndmask_b32_e32 v149, v229, v148, vcc
	v_cmp_gt_f64_e32 vcc, 0, v[230:231]
	v_mov_b32_e32 v148, v228
	s_waitcnt lgkmcnt(0)
	v_xor_b32_e32 v156, 0x80000000, v247
	v_cndmask_b32_e32 v151, v231, v150, vcc
	v_mov_b32_e32 v150, v230
	v_add_f64 v[148:149], v[148:149], v[150:151]
	v_cmp_gt_f64_e32 vcc, 0, v[244:245]
	v_xor_b32_e32 v150, 0x80000000, v245
	v_add_u32_e32 v239, 16, v239
	v_cndmask_b32_e32 v151, v245, v150, vcc
	v_cmp_gt_f64_e32 vcc, 0, v[246:247]
	v_mov_b32_e32 v150, v244
	s_nop 0
	v_cndmask_b32_e32 v157, v247, v156, vcc
	v_mov_b32_e32 v156, v246
	v_add_f64 v[150:151], v[150:151], v[156:157]
	v_cmp_lt_f64_e32 vcc, v[148:149], v[150:151]
	v_mov_b32_e32 v148, s0
	s_add_i32 s0, s0, 1
	v_cndmask_b32_e32 v229, v229, v245, vcc
	v_cndmask_b32_e32 v228, v228, v244, vcc
	;; [unrolled: 1-line block ×5, first 2 shown]
	s_cmp_lg_u32 s20, s0
	s_cbranch_scc1 .LBB112_841
.LBB112_842:
	s_waitcnt lgkmcnt(0)
	v_cmp_eq_f64_e32 vcc, 0, v[228:229]
	v_cmp_eq_f64_e64 s[0:1], 0, v[230:231]
	s_and_b64 s[0:1], vcc, s[0:1]
	s_and_saveexec_b64 s[16:17], s[0:1]
	s_xor_b64 s[0:1], exec, s[16:17]
; %bb.843:
	v_cmp_ne_u32_e32 vcc, 0, v242
	s_nop 1
	v_cndmask_b32_e32 v242, 41, v242, vcc
; %bb.844:
	s_andn2_saveexec_b64 s[0:1], s[0:1]
	s_cbranch_execz .LBB112_850
; %bb.845:
	v_cmp_ngt_f64_e64 s[16:17], |v[228:229]|, |v[230:231]|
	s_and_saveexec_b64 s[18:19], s[16:17]
	s_xor_b64 s[16:17], exec, s[18:19]
	s_cbranch_execz .LBB112_847
; %bb.846:
	v_div_scale_f64 v[148:149], s[18:19], v[230:231], v[230:231], v[228:229]
	v_rcp_f64_e32 v[150:151], v[148:149]
	v_div_scale_f64 v[156:157], vcc, v[228:229], v[230:231], v[228:229]
	v_fma_f64 v[158:159], -v[148:149], v[150:151], 1.0
	v_fmac_f64_e32 v[150:151], v[150:151], v[158:159]
	v_fma_f64 v[158:159], -v[148:149], v[150:151], 1.0
	v_fmac_f64_e32 v[150:151], v[150:151], v[158:159]
	v_mul_f64 v[158:159], v[156:157], v[150:151]
	v_fma_f64 v[148:149], -v[148:149], v[158:159], v[156:157]
	v_div_fmas_f64 v[148:149], v[148:149], v[150:151], v[158:159]
	v_div_fixup_f64 v[148:149], v[148:149], v[230:231], v[228:229]
	v_fmac_f64_e32 v[230:231], v[228:229], v[148:149]
	v_div_scale_f64 v[150:151], s[18:19], v[230:231], v[230:231], 1.0
	v_rcp_f64_e32 v[156:157], v[150:151]
	s_nop 0
	v_fma_f64 v[158:159], -v[150:151], v[156:157], 1.0
	v_fmac_f64_e32 v[156:157], v[156:157], v[158:159]
	v_fma_f64 v[158:159], -v[150:151], v[156:157], 1.0
	v_fmac_f64_e32 v[156:157], v[156:157], v[158:159]
	v_div_scale_f64 v[158:159], vcc, 1.0, v[230:231], 1.0
	v_mul_f64 v[220:221], v[158:159], v[156:157]
	v_fma_f64 v[150:151], -v[150:151], v[220:221], v[158:159]
	s_nop 1
	v_div_fmas_f64 v[150:151], v[150:151], v[156:157], v[220:221]
	v_div_fixup_f64 v[230:231], v[150:151], v[230:231], 1.0
	v_mul_f64 v[228:229], v[148:149], v[230:231]
	v_xor_b32_e32 v231, 0x80000000, v231
.LBB112_847:
	s_andn2_saveexec_b64 s[16:17], s[16:17]
	s_cbranch_execz .LBB112_849
; %bb.848:
	v_div_scale_f64 v[148:149], s[18:19], v[228:229], v[228:229], v[230:231]
	v_rcp_f64_e32 v[150:151], v[148:149]
	v_div_scale_f64 v[156:157], vcc, v[230:231], v[228:229], v[230:231]
	v_fma_f64 v[158:159], -v[148:149], v[150:151], 1.0
	v_fmac_f64_e32 v[150:151], v[150:151], v[158:159]
	v_fma_f64 v[158:159], -v[148:149], v[150:151], 1.0
	v_fmac_f64_e32 v[150:151], v[150:151], v[158:159]
	v_mul_f64 v[158:159], v[156:157], v[150:151]
	v_fma_f64 v[148:149], -v[148:149], v[158:159], v[156:157]
	v_div_fmas_f64 v[148:149], v[148:149], v[150:151], v[158:159]
	v_div_fixup_f64 v[148:149], v[148:149], v[228:229], v[230:231]
	v_fmac_f64_e32 v[228:229], v[230:231], v[148:149]
	v_div_scale_f64 v[150:151], s[18:19], v[228:229], v[228:229], 1.0
	v_rcp_f64_e32 v[156:157], v[150:151]
	s_nop 0
	v_fma_f64 v[158:159], -v[150:151], v[156:157], 1.0
	v_fmac_f64_e32 v[156:157], v[156:157], v[158:159]
	v_fma_f64 v[158:159], -v[150:151], v[156:157], 1.0
	v_fmac_f64_e32 v[156:157], v[156:157], v[158:159]
	v_div_scale_f64 v[158:159], vcc, 1.0, v[228:229], 1.0
	v_mul_f64 v[220:221], v[158:159], v[156:157]
	v_fma_f64 v[150:151], -v[150:151], v[220:221], v[158:159]
	s_nop 1
	v_div_fmas_f64 v[150:151], v[150:151], v[156:157], v[220:221]
	v_div_fixup_f64 v[228:229], v[150:151], v[228:229], 1.0
	v_mul_f64 v[230:231], v[148:149], -v[228:229]
.LBB112_849:
	s_or_b64 exec, exec, s[16:17]
.LBB112_850:
	s_or_b64 exec, exec, s[0:1]
	v_cmp_ne_u32_e32 vcc, v241, v238
	s_and_saveexec_b64 s[0:1], vcc
	s_xor_b64 s[0:1], exec, s[0:1]
	s_cbranch_execz .LBB112_856
; %bb.851:
	v_cmp_eq_u32_e32 vcc, 40, v241
	s_and_saveexec_b64 s[16:17], vcc
	s_cbranch_execz .LBB112_855
; %bb.852:
	v_cmp_ne_u32_e32 vcc, 40, v238
	s_xor_b64 s[18:19], s[14:15], -1
	s_and_b64 s[22:23], s[18:19], vcc
	s_and_saveexec_b64 s[18:19], s[22:23]
	s_cbranch_execz .LBB112_854
; %bb.853:
	v_ashrrev_i32_e32 v239, 31, v238
	v_lshl_add_u64 v[148:149], v[238:239], 2, v[8:9]
	global_load_dword v150, v[148:149], off
	global_load_dword v151, v[8:9], off offset:160
	s_waitcnt vmcnt(1)
	global_store_dword v[8:9], v150, off offset:160
	s_waitcnt vmcnt(1)
	global_store_dword v[148:149], v151, off
.LBB112_854:
	s_or_b64 exec, exec, s[18:19]
	v_mov_b32_e32 v241, v238
	v_mov_b32_e32 v236, v238
.LBB112_855:
	s_or_b64 exec, exec, s[16:17]
.LBB112_856:
	s_andn2_saveexec_b64 s[0:1], s[0:1]
	s_cbranch_execz .LBB112_858
; %bb.857:
	v_mov_b32_e32 v241, 40
	ds_write2_b64 v240, v[56:57], v[58:59] offset0:82 offset1:83
	ds_write2_b64 v240, v[52:53], v[54:55] offset0:84 offset1:85
	;; [unrolled: 1-line block ×16, first 2 shown]
.LBB112_858:
	s_or_b64 exec, exec, s[0:1]
	v_cmp_lt_i32_e32 vcc, 40, v241
	s_waitcnt lgkmcnt(0)
	s_barrier
	s_and_saveexec_b64 s[0:1], vcc
	s_cbranch_execz .LBB112_860
; %bb.859:
	ds_read2_b64 v[244:247], v240 offset0:82 offset1:83
	v_mul_f64 v[238:239], v[228:229], v[62:63]
	v_mul_f64 v[62:63], v[230:231], v[62:63]
	v_fmac_f64_e32 v[238:239], v[230:231], v[60:61]
	v_fma_f64 v[60:61], v[228:229], v[60:61], -v[62:63]
	ds_read2_b64 v[228:231], v240 offset0:84 offset1:85
	s_waitcnt lgkmcnt(1)
	v_mul_f64 v[62:63], v[246:247], v[238:239]
	v_mul_f64 v[148:149], v[244:245], v[238:239]
	v_fma_f64 v[62:63], v[244:245], v[60:61], -v[62:63]
	v_fmac_f64_e32 v[148:149], v[246:247], v[60:61]
	ds_read2_b64 v[244:247], v240 offset0:86 offset1:87
	v_add_f64 v[56:57], v[56:57], -v[62:63]
	v_add_f64 v[58:59], v[58:59], -v[148:149]
	s_waitcnt lgkmcnt(1)
	v_mul_f64 v[62:63], v[230:231], v[238:239]
	v_mul_f64 v[148:149], v[228:229], v[238:239]
	v_fma_f64 v[62:63], v[228:229], v[60:61], -v[62:63]
	v_fmac_f64_e32 v[148:149], v[230:231], v[60:61]
	ds_read2_b64 v[228:231], v240 offset0:88 offset1:89
	v_add_f64 v[52:53], v[52:53], -v[62:63]
	v_add_f64 v[54:55], v[54:55], -v[148:149]
	;; [unrolled: 8-line block ×14, first 2 shown]
	s_waitcnt lgkmcnt(1)
	v_mul_f64 v[62:63], v[246:247], v[238:239]
	v_mul_f64 v[148:149], v[244:245], v[238:239]
	v_fma_f64 v[62:63], v[244:245], v[60:61], -v[62:63]
	v_fmac_f64_e32 v[148:149], v[246:247], v[60:61]
	v_add_f64 v[250:251], v[250:251], -v[62:63]
	v_add_f64 v[252:253], v[252:253], -v[148:149]
	s_waitcnt lgkmcnt(0)
	v_mul_f64 v[62:63], v[230:231], v[238:239]
	v_mul_f64 v[148:149], v[228:229], v[238:239]
	v_fma_f64 v[62:63], v[228:229], v[60:61], -v[62:63]
	v_fmac_f64_e32 v[148:149], v[230:231], v[60:61]
	v_add_f64 v[224:225], v[224:225], -v[62:63]
	v_add_f64 v[226:227], v[226:227], -v[148:149]
	v_mov_b64_e32 v[62:63], v[238:239]
.LBB112_860:
	s_or_b64 exec, exec, s[0:1]
	v_lshl_add_u32 v148, v241, 4, v240
	s_barrier
	ds_write2_b64 v148, v[56:57], v[58:59] offset1:1
	s_waitcnt lgkmcnt(0)
	s_barrier
	ds_read2_b64 v[228:231], v240 offset0:82 offset1:83
	s_cmp_lt_i32 s20, 43
	v_mov_b32_e32 v238, 41
	s_cbranch_scc1 .LBB112_863
; %bb.861:
	v_add_u32_e32 v239, 0x2a0, v240
	s_mov_b32 s0, 42
	v_mov_b32_e32 v238, 41
.LBB112_862:                            ; =>This Inner Loop Header: Depth=1
	ds_read2_b64 v[244:247], v239 offset1:1
	s_waitcnt lgkmcnt(1)
	v_cmp_gt_f64_e32 vcc, 0, v[228:229]
	v_xor_b32_e32 v148, 0x80000000, v229
	v_xor_b32_e32 v150, 0x80000000, v231
	v_cndmask_b32_e32 v149, v229, v148, vcc
	v_cmp_gt_f64_e32 vcc, 0, v[230:231]
	v_mov_b32_e32 v148, v228
	s_waitcnt lgkmcnt(0)
	v_xor_b32_e32 v156, 0x80000000, v247
	v_cndmask_b32_e32 v151, v231, v150, vcc
	v_mov_b32_e32 v150, v230
	v_add_f64 v[148:149], v[148:149], v[150:151]
	v_cmp_gt_f64_e32 vcc, 0, v[244:245]
	v_xor_b32_e32 v150, 0x80000000, v245
	v_add_u32_e32 v239, 16, v239
	v_cndmask_b32_e32 v151, v245, v150, vcc
	v_cmp_gt_f64_e32 vcc, 0, v[246:247]
	v_mov_b32_e32 v150, v244
	s_nop 0
	v_cndmask_b32_e32 v157, v247, v156, vcc
	v_mov_b32_e32 v156, v246
	v_add_f64 v[150:151], v[150:151], v[156:157]
	v_cmp_lt_f64_e32 vcc, v[148:149], v[150:151]
	v_mov_b32_e32 v148, s0
	s_add_i32 s0, s0, 1
	v_cndmask_b32_e32 v229, v229, v245, vcc
	v_cndmask_b32_e32 v228, v228, v244, vcc
	;; [unrolled: 1-line block ×5, first 2 shown]
	s_cmp_lg_u32 s20, s0
	s_cbranch_scc1 .LBB112_862
.LBB112_863:
	s_waitcnt lgkmcnt(0)
	v_cmp_eq_f64_e32 vcc, 0, v[228:229]
	v_cmp_eq_f64_e64 s[0:1], 0, v[230:231]
	s_and_b64 s[0:1], vcc, s[0:1]
	s_and_saveexec_b64 s[16:17], s[0:1]
	s_xor_b64 s[0:1], exec, s[16:17]
; %bb.864:
	v_cmp_ne_u32_e32 vcc, 0, v242
	s_nop 1
	v_cndmask_b32_e32 v242, 42, v242, vcc
; %bb.865:
	s_andn2_saveexec_b64 s[0:1], s[0:1]
	s_cbranch_execz .LBB112_871
; %bb.866:
	v_cmp_ngt_f64_e64 s[16:17], |v[228:229]|, |v[230:231]|
	s_and_saveexec_b64 s[18:19], s[16:17]
	s_xor_b64 s[16:17], exec, s[18:19]
	s_cbranch_execz .LBB112_868
; %bb.867:
	v_div_scale_f64 v[148:149], s[18:19], v[230:231], v[230:231], v[228:229]
	v_rcp_f64_e32 v[150:151], v[148:149]
	v_div_scale_f64 v[156:157], vcc, v[228:229], v[230:231], v[228:229]
	v_fma_f64 v[158:159], -v[148:149], v[150:151], 1.0
	v_fmac_f64_e32 v[150:151], v[150:151], v[158:159]
	v_fma_f64 v[158:159], -v[148:149], v[150:151], 1.0
	v_fmac_f64_e32 v[150:151], v[150:151], v[158:159]
	v_mul_f64 v[158:159], v[156:157], v[150:151]
	v_fma_f64 v[148:149], -v[148:149], v[158:159], v[156:157]
	v_div_fmas_f64 v[148:149], v[148:149], v[150:151], v[158:159]
	v_div_fixup_f64 v[148:149], v[148:149], v[230:231], v[228:229]
	v_fmac_f64_e32 v[230:231], v[228:229], v[148:149]
	v_div_scale_f64 v[150:151], s[18:19], v[230:231], v[230:231], 1.0
	v_rcp_f64_e32 v[156:157], v[150:151]
	s_nop 0
	v_fma_f64 v[158:159], -v[150:151], v[156:157], 1.0
	v_fmac_f64_e32 v[156:157], v[156:157], v[158:159]
	v_fma_f64 v[158:159], -v[150:151], v[156:157], 1.0
	v_fmac_f64_e32 v[156:157], v[156:157], v[158:159]
	v_div_scale_f64 v[158:159], vcc, 1.0, v[230:231], 1.0
	v_mul_f64 v[220:221], v[158:159], v[156:157]
	v_fma_f64 v[150:151], -v[150:151], v[220:221], v[158:159]
	s_nop 1
	v_div_fmas_f64 v[150:151], v[150:151], v[156:157], v[220:221]
	v_div_fixup_f64 v[230:231], v[150:151], v[230:231], 1.0
	v_mul_f64 v[228:229], v[148:149], v[230:231]
	v_xor_b32_e32 v231, 0x80000000, v231
.LBB112_868:
	s_andn2_saveexec_b64 s[16:17], s[16:17]
	s_cbranch_execz .LBB112_870
; %bb.869:
	v_div_scale_f64 v[148:149], s[18:19], v[228:229], v[228:229], v[230:231]
	v_rcp_f64_e32 v[150:151], v[148:149]
	v_div_scale_f64 v[156:157], vcc, v[230:231], v[228:229], v[230:231]
	v_fma_f64 v[158:159], -v[148:149], v[150:151], 1.0
	v_fmac_f64_e32 v[150:151], v[150:151], v[158:159]
	v_fma_f64 v[158:159], -v[148:149], v[150:151], 1.0
	v_fmac_f64_e32 v[150:151], v[150:151], v[158:159]
	v_mul_f64 v[158:159], v[156:157], v[150:151]
	v_fma_f64 v[148:149], -v[148:149], v[158:159], v[156:157]
	v_div_fmas_f64 v[148:149], v[148:149], v[150:151], v[158:159]
	v_div_fixup_f64 v[148:149], v[148:149], v[228:229], v[230:231]
	v_fmac_f64_e32 v[228:229], v[230:231], v[148:149]
	v_div_scale_f64 v[150:151], s[18:19], v[228:229], v[228:229], 1.0
	v_rcp_f64_e32 v[156:157], v[150:151]
	s_nop 0
	v_fma_f64 v[158:159], -v[150:151], v[156:157], 1.0
	v_fmac_f64_e32 v[156:157], v[156:157], v[158:159]
	v_fma_f64 v[158:159], -v[150:151], v[156:157], 1.0
	v_fmac_f64_e32 v[156:157], v[156:157], v[158:159]
	v_div_scale_f64 v[158:159], vcc, 1.0, v[228:229], 1.0
	v_mul_f64 v[220:221], v[158:159], v[156:157]
	v_fma_f64 v[150:151], -v[150:151], v[220:221], v[158:159]
	s_nop 1
	v_div_fmas_f64 v[150:151], v[150:151], v[156:157], v[220:221]
	v_div_fixup_f64 v[228:229], v[150:151], v[228:229], 1.0
	v_mul_f64 v[230:231], v[148:149], -v[228:229]
.LBB112_870:
	s_or_b64 exec, exec, s[16:17]
.LBB112_871:
	s_or_b64 exec, exec, s[0:1]
	v_cmp_ne_u32_e32 vcc, v241, v238
	s_and_saveexec_b64 s[0:1], vcc
	s_xor_b64 s[0:1], exec, s[0:1]
	s_cbranch_execz .LBB112_877
; %bb.872:
	v_cmp_eq_u32_e32 vcc, 41, v241
	s_and_saveexec_b64 s[16:17], vcc
	s_cbranch_execz .LBB112_876
; %bb.873:
	v_cmp_ne_u32_e32 vcc, 41, v238
	s_xor_b64 s[18:19], s[14:15], -1
	s_and_b64 s[22:23], s[18:19], vcc
	s_and_saveexec_b64 s[18:19], s[22:23]
	s_cbranch_execz .LBB112_875
; %bb.874:
	v_ashrrev_i32_e32 v239, 31, v238
	v_lshl_add_u64 v[148:149], v[238:239], 2, v[8:9]
	global_load_dword v150, v[148:149], off
	global_load_dword v151, v[8:9], off offset:164
	s_waitcnt vmcnt(1)
	global_store_dword v[8:9], v150, off offset:164
	s_waitcnt vmcnt(1)
	global_store_dword v[148:149], v151, off
.LBB112_875:
	s_or_b64 exec, exec, s[18:19]
	v_mov_b32_e32 v241, v238
	v_mov_b32_e32 v236, v238
.LBB112_876:
	s_or_b64 exec, exec, s[16:17]
.LBB112_877:
	s_andn2_saveexec_b64 s[0:1], s[0:1]
	s_cbranch_execz .LBB112_879
; %bb.878:
	v_mov_b32_e32 v241, 41
	ds_write2_b64 v240, v[52:53], v[54:55] offset0:84 offset1:85
	ds_write2_b64 v240, v[48:49], v[50:51] offset0:86 offset1:87
	;; [unrolled: 1-line block ×15, first 2 shown]
.LBB112_879:
	s_or_b64 exec, exec, s[0:1]
	v_cmp_lt_i32_e32 vcc, 41, v241
	s_waitcnt lgkmcnt(0)
	s_barrier
	s_and_saveexec_b64 s[0:1], vcc
	s_cbranch_execz .LBB112_881
; %bb.880:
	ds_read2_b64 v[244:247], v240 offset0:84 offset1:85
	v_mul_f64 v[238:239], v[228:229], v[58:59]
	v_mul_f64 v[58:59], v[230:231], v[58:59]
	v_fmac_f64_e32 v[238:239], v[230:231], v[56:57]
	v_fma_f64 v[56:57], v[228:229], v[56:57], -v[58:59]
	ds_read2_b64 v[228:231], v240 offset0:86 offset1:87
	s_waitcnt lgkmcnt(1)
	v_mul_f64 v[58:59], v[246:247], v[238:239]
	v_mul_f64 v[148:149], v[244:245], v[238:239]
	v_fma_f64 v[58:59], v[244:245], v[56:57], -v[58:59]
	v_fmac_f64_e32 v[148:149], v[246:247], v[56:57]
	ds_read2_b64 v[244:247], v240 offset0:88 offset1:89
	v_add_f64 v[52:53], v[52:53], -v[58:59]
	v_add_f64 v[54:55], v[54:55], -v[148:149]
	s_waitcnt lgkmcnt(1)
	v_mul_f64 v[58:59], v[230:231], v[238:239]
	v_mul_f64 v[148:149], v[228:229], v[238:239]
	v_fma_f64 v[58:59], v[228:229], v[56:57], -v[58:59]
	v_fmac_f64_e32 v[148:149], v[230:231], v[56:57]
	ds_read2_b64 v[228:231], v240 offset0:90 offset1:91
	v_add_f64 v[48:49], v[48:49], -v[58:59]
	v_add_f64 v[50:51], v[50:51], -v[148:149]
	s_waitcnt lgkmcnt(1)
	v_mul_f64 v[58:59], v[246:247], v[238:239]
	v_mul_f64 v[148:149], v[244:245], v[238:239]
	v_fma_f64 v[58:59], v[244:245], v[56:57], -v[58:59]
	v_fmac_f64_e32 v[148:149], v[246:247], v[56:57]
	ds_read2_b64 v[244:247], v240 offset0:92 offset1:93
	v_add_f64 v[44:45], v[44:45], -v[58:59]
	v_add_f64 v[46:47], v[46:47], -v[148:149]
	s_waitcnt lgkmcnt(1)
	v_mul_f64 v[58:59], v[230:231], v[238:239]
	v_mul_f64 v[148:149], v[228:229], v[238:239]
	v_fma_f64 v[58:59], v[228:229], v[56:57], -v[58:59]
	v_fmac_f64_e32 v[148:149], v[230:231], v[56:57]
	ds_read2_b64 v[228:231], v240 offset0:94 offset1:95
	v_add_f64 v[40:41], v[40:41], -v[58:59]
	v_add_f64 v[42:43], v[42:43], -v[148:149]
	s_waitcnt lgkmcnt(1)
	v_mul_f64 v[58:59], v[246:247], v[238:239]
	v_mul_f64 v[148:149], v[244:245], v[238:239]
	v_fma_f64 v[58:59], v[244:245], v[56:57], -v[58:59]
	v_fmac_f64_e32 v[148:149], v[246:247], v[56:57]
	ds_read2_b64 v[244:247], v240 offset0:96 offset1:97
	v_add_f64 v[36:37], v[36:37], -v[58:59]
	v_add_f64 v[38:39], v[38:39], -v[148:149]
	s_waitcnt lgkmcnt(1)
	v_mul_f64 v[58:59], v[230:231], v[238:239]
	v_mul_f64 v[148:149], v[228:229], v[238:239]
	v_fma_f64 v[58:59], v[228:229], v[56:57], -v[58:59]
	v_fmac_f64_e32 v[148:149], v[230:231], v[56:57]
	ds_read2_b64 v[228:231], v240 offset0:98 offset1:99
	v_add_f64 v[32:33], v[32:33], -v[58:59]
	v_add_f64 v[34:35], v[34:35], -v[148:149]
	s_waitcnt lgkmcnt(1)
	v_mul_f64 v[58:59], v[246:247], v[238:239]
	v_mul_f64 v[148:149], v[244:245], v[238:239]
	v_fma_f64 v[58:59], v[244:245], v[56:57], -v[58:59]
	v_fmac_f64_e32 v[148:149], v[246:247], v[56:57]
	ds_read2_b64 v[244:247], v240 offset0:100 offset1:101
	v_add_f64 v[28:29], v[28:29], -v[58:59]
	v_add_f64 v[30:31], v[30:31], -v[148:149]
	s_waitcnt lgkmcnt(1)
	v_mul_f64 v[58:59], v[230:231], v[238:239]
	v_mul_f64 v[148:149], v[228:229], v[238:239]
	v_fma_f64 v[58:59], v[228:229], v[56:57], -v[58:59]
	v_fmac_f64_e32 v[148:149], v[230:231], v[56:57]
	ds_read2_b64 v[228:231], v240 offset0:102 offset1:103
	v_add_f64 v[24:25], v[24:25], -v[58:59]
	v_add_f64 v[26:27], v[26:27], -v[148:149]
	s_waitcnt lgkmcnt(1)
	v_mul_f64 v[58:59], v[246:247], v[238:239]
	v_mul_f64 v[148:149], v[244:245], v[238:239]
	v_fma_f64 v[58:59], v[244:245], v[56:57], -v[58:59]
	v_fmac_f64_e32 v[148:149], v[246:247], v[56:57]
	ds_read2_b64 v[244:247], v240 offset0:104 offset1:105
	v_add_f64 v[20:21], v[20:21], -v[58:59]
	v_add_f64 v[22:23], v[22:23], -v[148:149]
	s_waitcnt lgkmcnt(1)
	v_mul_f64 v[58:59], v[230:231], v[238:239]
	v_mul_f64 v[148:149], v[228:229], v[238:239]
	v_fma_f64 v[58:59], v[228:229], v[56:57], -v[58:59]
	v_fmac_f64_e32 v[148:149], v[230:231], v[56:57]
	ds_read2_b64 v[228:231], v240 offset0:106 offset1:107
	v_add_f64 v[16:17], v[16:17], -v[58:59]
	v_add_f64 v[18:19], v[18:19], -v[148:149]
	s_waitcnt lgkmcnt(1)
	v_mul_f64 v[58:59], v[246:247], v[238:239]
	v_mul_f64 v[148:149], v[244:245], v[238:239]
	v_fma_f64 v[58:59], v[244:245], v[56:57], -v[58:59]
	v_fmac_f64_e32 v[148:149], v[246:247], v[56:57]
	ds_read2_b64 v[244:247], v240 offset0:108 offset1:109
	v_add_f64 v[12:13], v[12:13], -v[58:59]
	v_add_f64 v[14:15], v[14:15], -v[148:149]
	s_waitcnt lgkmcnt(1)
	v_mul_f64 v[58:59], v[230:231], v[238:239]
	v_mul_f64 v[148:149], v[228:229], v[238:239]
	v_fma_f64 v[58:59], v[228:229], v[56:57], -v[58:59]
	v_fmac_f64_e32 v[148:149], v[230:231], v[56:57]
	ds_read2_b64 v[228:231], v240 offset0:110 offset1:111
	v_add_f64 v[212:213], v[212:213], -v[58:59]
	v_add_f64 v[214:215], v[214:215], -v[148:149]
	s_waitcnt lgkmcnt(1)
	v_mul_f64 v[58:59], v[246:247], v[238:239]
	v_mul_f64 v[148:149], v[244:245], v[238:239]
	v_fma_f64 v[58:59], v[244:245], v[56:57], -v[58:59]
	v_fmac_f64_e32 v[148:149], v[246:247], v[56:57]
	ds_read2_b64 v[244:247], v240 offset0:112 offset1:113
	v_add_f64 v[4:5], v[4:5], -v[58:59]
	v_add_f64 v[6:7], v[6:7], -v[148:149]
	s_waitcnt lgkmcnt(1)
	v_mul_f64 v[58:59], v[230:231], v[238:239]
	v_mul_f64 v[148:149], v[228:229], v[238:239]
	v_fma_f64 v[58:59], v[228:229], v[56:57], -v[58:59]
	v_fmac_f64_e32 v[148:149], v[230:231], v[56:57]
	v_add_f64 v[250:251], v[250:251], -v[58:59]
	v_add_f64 v[252:253], v[252:253], -v[148:149]
	s_waitcnt lgkmcnt(0)
	v_mul_f64 v[58:59], v[246:247], v[238:239]
	v_mul_f64 v[148:149], v[244:245], v[238:239]
	v_fma_f64 v[58:59], v[244:245], v[56:57], -v[58:59]
	v_fmac_f64_e32 v[148:149], v[246:247], v[56:57]
	v_add_f64 v[224:225], v[224:225], -v[58:59]
	v_add_f64 v[226:227], v[226:227], -v[148:149]
	v_mov_b64_e32 v[58:59], v[238:239]
.LBB112_881:
	s_or_b64 exec, exec, s[0:1]
	v_lshl_add_u32 v148, v241, 4, v240
	s_barrier
	ds_write2_b64 v148, v[52:53], v[54:55] offset1:1
	s_waitcnt lgkmcnt(0)
	s_barrier
	ds_read2_b64 v[228:231], v240 offset0:84 offset1:85
	s_cmp_lt_i32 s20, 44
	v_mov_b32_e32 v238, 42
	s_cbranch_scc1 .LBB112_884
; %bb.882:
	v_add_u32_e32 v239, 0x2b0, v240
	s_mov_b32 s0, 43
	v_mov_b32_e32 v238, 42
.LBB112_883:                            ; =>This Inner Loop Header: Depth=1
	ds_read2_b64 v[244:247], v239 offset1:1
	s_waitcnt lgkmcnt(1)
	v_cmp_gt_f64_e32 vcc, 0, v[228:229]
	v_xor_b32_e32 v148, 0x80000000, v229
	v_xor_b32_e32 v150, 0x80000000, v231
	v_cndmask_b32_e32 v149, v229, v148, vcc
	v_cmp_gt_f64_e32 vcc, 0, v[230:231]
	v_mov_b32_e32 v148, v228
	s_waitcnt lgkmcnt(0)
	v_xor_b32_e32 v156, 0x80000000, v247
	v_cndmask_b32_e32 v151, v231, v150, vcc
	v_mov_b32_e32 v150, v230
	v_add_f64 v[148:149], v[148:149], v[150:151]
	v_cmp_gt_f64_e32 vcc, 0, v[244:245]
	v_xor_b32_e32 v150, 0x80000000, v245
	v_add_u32_e32 v239, 16, v239
	v_cndmask_b32_e32 v151, v245, v150, vcc
	v_cmp_gt_f64_e32 vcc, 0, v[246:247]
	v_mov_b32_e32 v150, v244
	s_nop 0
	v_cndmask_b32_e32 v157, v247, v156, vcc
	v_mov_b32_e32 v156, v246
	v_add_f64 v[150:151], v[150:151], v[156:157]
	v_cmp_lt_f64_e32 vcc, v[148:149], v[150:151]
	v_mov_b32_e32 v148, s0
	s_add_i32 s0, s0, 1
	v_cndmask_b32_e32 v229, v229, v245, vcc
	v_cndmask_b32_e32 v228, v228, v244, vcc
	;; [unrolled: 1-line block ×5, first 2 shown]
	s_cmp_lg_u32 s20, s0
	s_cbranch_scc1 .LBB112_883
.LBB112_884:
	s_waitcnt lgkmcnt(0)
	v_cmp_eq_f64_e32 vcc, 0, v[228:229]
	v_cmp_eq_f64_e64 s[0:1], 0, v[230:231]
	s_and_b64 s[0:1], vcc, s[0:1]
	s_and_saveexec_b64 s[16:17], s[0:1]
	s_xor_b64 s[0:1], exec, s[16:17]
; %bb.885:
	v_cmp_ne_u32_e32 vcc, 0, v242
	s_nop 1
	v_cndmask_b32_e32 v242, 43, v242, vcc
; %bb.886:
	s_andn2_saveexec_b64 s[0:1], s[0:1]
	s_cbranch_execz .LBB112_892
; %bb.887:
	v_cmp_ngt_f64_e64 s[16:17], |v[228:229]|, |v[230:231]|
	s_and_saveexec_b64 s[18:19], s[16:17]
	s_xor_b64 s[16:17], exec, s[18:19]
	s_cbranch_execz .LBB112_889
; %bb.888:
	v_div_scale_f64 v[148:149], s[18:19], v[230:231], v[230:231], v[228:229]
	v_rcp_f64_e32 v[150:151], v[148:149]
	v_div_scale_f64 v[156:157], vcc, v[228:229], v[230:231], v[228:229]
	v_fma_f64 v[158:159], -v[148:149], v[150:151], 1.0
	v_fmac_f64_e32 v[150:151], v[150:151], v[158:159]
	v_fma_f64 v[158:159], -v[148:149], v[150:151], 1.0
	v_fmac_f64_e32 v[150:151], v[150:151], v[158:159]
	v_mul_f64 v[158:159], v[156:157], v[150:151]
	v_fma_f64 v[148:149], -v[148:149], v[158:159], v[156:157]
	v_div_fmas_f64 v[148:149], v[148:149], v[150:151], v[158:159]
	v_div_fixup_f64 v[148:149], v[148:149], v[230:231], v[228:229]
	v_fmac_f64_e32 v[230:231], v[228:229], v[148:149]
	v_div_scale_f64 v[150:151], s[18:19], v[230:231], v[230:231], 1.0
	v_rcp_f64_e32 v[156:157], v[150:151]
	s_nop 0
	v_fma_f64 v[158:159], -v[150:151], v[156:157], 1.0
	v_fmac_f64_e32 v[156:157], v[156:157], v[158:159]
	v_fma_f64 v[158:159], -v[150:151], v[156:157], 1.0
	v_fmac_f64_e32 v[156:157], v[156:157], v[158:159]
	v_div_scale_f64 v[158:159], vcc, 1.0, v[230:231], 1.0
	v_mul_f64 v[220:221], v[158:159], v[156:157]
	v_fma_f64 v[150:151], -v[150:151], v[220:221], v[158:159]
	s_nop 1
	v_div_fmas_f64 v[150:151], v[150:151], v[156:157], v[220:221]
	v_div_fixup_f64 v[230:231], v[150:151], v[230:231], 1.0
	v_mul_f64 v[228:229], v[148:149], v[230:231]
	v_xor_b32_e32 v231, 0x80000000, v231
.LBB112_889:
	s_andn2_saveexec_b64 s[16:17], s[16:17]
	s_cbranch_execz .LBB112_891
; %bb.890:
	v_div_scale_f64 v[148:149], s[18:19], v[228:229], v[228:229], v[230:231]
	v_rcp_f64_e32 v[150:151], v[148:149]
	v_div_scale_f64 v[156:157], vcc, v[230:231], v[228:229], v[230:231]
	v_fma_f64 v[158:159], -v[148:149], v[150:151], 1.0
	v_fmac_f64_e32 v[150:151], v[150:151], v[158:159]
	v_fma_f64 v[158:159], -v[148:149], v[150:151], 1.0
	v_fmac_f64_e32 v[150:151], v[150:151], v[158:159]
	v_mul_f64 v[158:159], v[156:157], v[150:151]
	v_fma_f64 v[148:149], -v[148:149], v[158:159], v[156:157]
	v_div_fmas_f64 v[148:149], v[148:149], v[150:151], v[158:159]
	v_div_fixup_f64 v[148:149], v[148:149], v[228:229], v[230:231]
	v_fmac_f64_e32 v[228:229], v[230:231], v[148:149]
	v_div_scale_f64 v[150:151], s[18:19], v[228:229], v[228:229], 1.0
	v_rcp_f64_e32 v[156:157], v[150:151]
	s_nop 0
	v_fma_f64 v[158:159], -v[150:151], v[156:157], 1.0
	v_fmac_f64_e32 v[156:157], v[156:157], v[158:159]
	v_fma_f64 v[158:159], -v[150:151], v[156:157], 1.0
	v_fmac_f64_e32 v[156:157], v[156:157], v[158:159]
	v_div_scale_f64 v[158:159], vcc, 1.0, v[228:229], 1.0
	v_mul_f64 v[220:221], v[158:159], v[156:157]
	v_fma_f64 v[150:151], -v[150:151], v[220:221], v[158:159]
	s_nop 1
	v_div_fmas_f64 v[150:151], v[150:151], v[156:157], v[220:221]
	v_div_fixup_f64 v[228:229], v[150:151], v[228:229], 1.0
	v_mul_f64 v[230:231], v[148:149], -v[228:229]
.LBB112_891:
	s_or_b64 exec, exec, s[16:17]
.LBB112_892:
	s_or_b64 exec, exec, s[0:1]
	v_cmp_ne_u32_e32 vcc, v241, v238
	s_and_saveexec_b64 s[0:1], vcc
	s_xor_b64 s[0:1], exec, s[0:1]
	s_cbranch_execz .LBB112_898
; %bb.893:
	v_cmp_eq_u32_e32 vcc, 42, v241
	s_and_saveexec_b64 s[16:17], vcc
	s_cbranch_execz .LBB112_897
; %bb.894:
	v_cmp_ne_u32_e32 vcc, 42, v238
	s_xor_b64 s[18:19], s[14:15], -1
	s_and_b64 s[22:23], s[18:19], vcc
	s_and_saveexec_b64 s[18:19], s[22:23]
	s_cbranch_execz .LBB112_896
; %bb.895:
	v_ashrrev_i32_e32 v239, 31, v238
	v_lshl_add_u64 v[148:149], v[238:239], 2, v[8:9]
	global_load_dword v150, v[148:149], off
	global_load_dword v151, v[8:9], off offset:168
	s_waitcnt vmcnt(1)
	global_store_dword v[8:9], v150, off offset:168
	s_waitcnt vmcnt(1)
	global_store_dword v[148:149], v151, off
.LBB112_896:
	s_or_b64 exec, exec, s[18:19]
	v_mov_b32_e32 v241, v238
	v_mov_b32_e32 v236, v238
.LBB112_897:
	s_or_b64 exec, exec, s[16:17]
.LBB112_898:
	s_andn2_saveexec_b64 s[0:1], s[0:1]
	s_cbranch_execz .LBB112_900
; %bb.899:
	v_mov_b32_e32 v241, 42
	ds_write2_b64 v240, v[48:49], v[50:51] offset0:86 offset1:87
	ds_write2_b64 v240, v[44:45], v[46:47] offset0:88 offset1:89
	;; [unrolled: 1-line block ×14, first 2 shown]
.LBB112_900:
	s_or_b64 exec, exec, s[0:1]
	v_cmp_lt_i32_e32 vcc, 42, v241
	s_waitcnt lgkmcnt(0)
	s_barrier
	s_and_saveexec_b64 s[0:1], vcc
	s_cbranch_execz .LBB112_902
; %bb.901:
	ds_read2_b64 v[244:247], v240 offset0:86 offset1:87
	v_mul_f64 v[238:239], v[228:229], v[54:55]
	v_mul_f64 v[54:55], v[230:231], v[54:55]
	v_fmac_f64_e32 v[238:239], v[230:231], v[52:53]
	v_fma_f64 v[52:53], v[228:229], v[52:53], -v[54:55]
	ds_read2_b64 v[228:231], v240 offset0:88 offset1:89
	s_waitcnt lgkmcnt(1)
	v_mul_f64 v[54:55], v[246:247], v[238:239]
	v_mul_f64 v[148:149], v[244:245], v[238:239]
	v_fma_f64 v[54:55], v[244:245], v[52:53], -v[54:55]
	v_fmac_f64_e32 v[148:149], v[246:247], v[52:53]
	ds_read2_b64 v[244:247], v240 offset0:90 offset1:91
	v_add_f64 v[48:49], v[48:49], -v[54:55]
	v_add_f64 v[50:51], v[50:51], -v[148:149]
	s_waitcnt lgkmcnt(1)
	v_mul_f64 v[54:55], v[230:231], v[238:239]
	v_mul_f64 v[148:149], v[228:229], v[238:239]
	v_fma_f64 v[54:55], v[228:229], v[52:53], -v[54:55]
	v_fmac_f64_e32 v[148:149], v[230:231], v[52:53]
	ds_read2_b64 v[228:231], v240 offset0:92 offset1:93
	v_add_f64 v[44:45], v[44:45], -v[54:55]
	v_add_f64 v[46:47], v[46:47], -v[148:149]
	;; [unrolled: 8-line block ×12, first 2 shown]
	s_waitcnt lgkmcnt(1)
	v_mul_f64 v[54:55], v[246:247], v[238:239]
	v_mul_f64 v[148:149], v[244:245], v[238:239]
	v_fma_f64 v[54:55], v[244:245], v[52:53], -v[54:55]
	v_fmac_f64_e32 v[148:149], v[246:247], v[52:53]
	v_add_f64 v[250:251], v[250:251], -v[54:55]
	v_add_f64 v[252:253], v[252:253], -v[148:149]
	s_waitcnt lgkmcnt(0)
	v_mul_f64 v[54:55], v[230:231], v[238:239]
	v_mul_f64 v[148:149], v[228:229], v[238:239]
	v_fma_f64 v[54:55], v[228:229], v[52:53], -v[54:55]
	v_fmac_f64_e32 v[148:149], v[230:231], v[52:53]
	v_add_f64 v[224:225], v[224:225], -v[54:55]
	v_add_f64 v[226:227], v[226:227], -v[148:149]
	v_mov_b64_e32 v[54:55], v[238:239]
.LBB112_902:
	s_or_b64 exec, exec, s[0:1]
	v_lshl_add_u32 v148, v241, 4, v240
	s_barrier
	ds_write2_b64 v148, v[48:49], v[50:51] offset1:1
	s_waitcnt lgkmcnt(0)
	s_barrier
	ds_read2_b64 v[228:231], v240 offset0:86 offset1:87
	s_cmp_lt_i32 s20, 45
	v_mov_b32_e32 v238, 43
	s_cbranch_scc1 .LBB112_905
; %bb.903:
	v_add_u32_e32 v239, 0x2c0, v240
	s_mov_b32 s0, 44
	v_mov_b32_e32 v238, 43
.LBB112_904:                            ; =>This Inner Loop Header: Depth=1
	ds_read2_b64 v[244:247], v239 offset1:1
	s_waitcnt lgkmcnt(1)
	v_cmp_gt_f64_e32 vcc, 0, v[228:229]
	v_xor_b32_e32 v148, 0x80000000, v229
	v_xor_b32_e32 v150, 0x80000000, v231
	v_cndmask_b32_e32 v149, v229, v148, vcc
	v_cmp_gt_f64_e32 vcc, 0, v[230:231]
	v_mov_b32_e32 v148, v228
	s_waitcnt lgkmcnt(0)
	v_xor_b32_e32 v156, 0x80000000, v247
	v_cndmask_b32_e32 v151, v231, v150, vcc
	v_mov_b32_e32 v150, v230
	v_add_f64 v[148:149], v[148:149], v[150:151]
	v_cmp_gt_f64_e32 vcc, 0, v[244:245]
	v_xor_b32_e32 v150, 0x80000000, v245
	v_add_u32_e32 v239, 16, v239
	v_cndmask_b32_e32 v151, v245, v150, vcc
	v_cmp_gt_f64_e32 vcc, 0, v[246:247]
	v_mov_b32_e32 v150, v244
	s_nop 0
	v_cndmask_b32_e32 v157, v247, v156, vcc
	v_mov_b32_e32 v156, v246
	v_add_f64 v[150:151], v[150:151], v[156:157]
	v_cmp_lt_f64_e32 vcc, v[148:149], v[150:151]
	v_mov_b32_e32 v148, s0
	s_add_i32 s0, s0, 1
	v_cndmask_b32_e32 v229, v229, v245, vcc
	v_cndmask_b32_e32 v228, v228, v244, vcc
	;; [unrolled: 1-line block ×5, first 2 shown]
	s_cmp_lg_u32 s20, s0
	s_cbranch_scc1 .LBB112_904
.LBB112_905:
	s_waitcnt lgkmcnt(0)
	v_cmp_eq_f64_e32 vcc, 0, v[228:229]
	v_cmp_eq_f64_e64 s[0:1], 0, v[230:231]
	s_and_b64 s[0:1], vcc, s[0:1]
	s_and_saveexec_b64 s[16:17], s[0:1]
	s_xor_b64 s[0:1], exec, s[16:17]
; %bb.906:
	v_cmp_ne_u32_e32 vcc, 0, v242
	s_nop 1
	v_cndmask_b32_e32 v242, 44, v242, vcc
; %bb.907:
	s_andn2_saveexec_b64 s[0:1], s[0:1]
	s_cbranch_execz .LBB112_913
; %bb.908:
	v_cmp_ngt_f64_e64 s[16:17], |v[228:229]|, |v[230:231]|
	s_and_saveexec_b64 s[18:19], s[16:17]
	s_xor_b64 s[16:17], exec, s[18:19]
	s_cbranch_execz .LBB112_910
; %bb.909:
	v_div_scale_f64 v[148:149], s[18:19], v[230:231], v[230:231], v[228:229]
	v_rcp_f64_e32 v[150:151], v[148:149]
	v_div_scale_f64 v[156:157], vcc, v[228:229], v[230:231], v[228:229]
	v_fma_f64 v[158:159], -v[148:149], v[150:151], 1.0
	v_fmac_f64_e32 v[150:151], v[150:151], v[158:159]
	v_fma_f64 v[158:159], -v[148:149], v[150:151], 1.0
	v_fmac_f64_e32 v[150:151], v[150:151], v[158:159]
	v_mul_f64 v[158:159], v[156:157], v[150:151]
	v_fma_f64 v[148:149], -v[148:149], v[158:159], v[156:157]
	v_div_fmas_f64 v[148:149], v[148:149], v[150:151], v[158:159]
	v_div_fixup_f64 v[148:149], v[148:149], v[230:231], v[228:229]
	v_fmac_f64_e32 v[230:231], v[228:229], v[148:149]
	v_div_scale_f64 v[150:151], s[18:19], v[230:231], v[230:231], 1.0
	v_rcp_f64_e32 v[156:157], v[150:151]
	s_nop 0
	v_fma_f64 v[158:159], -v[150:151], v[156:157], 1.0
	v_fmac_f64_e32 v[156:157], v[156:157], v[158:159]
	v_fma_f64 v[158:159], -v[150:151], v[156:157], 1.0
	v_fmac_f64_e32 v[156:157], v[156:157], v[158:159]
	v_div_scale_f64 v[158:159], vcc, 1.0, v[230:231], 1.0
	v_mul_f64 v[220:221], v[158:159], v[156:157]
	v_fma_f64 v[150:151], -v[150:151], v[220:221], v[158:159]
	s_nop 1
	v_div_fmas_f64 v[150:151], v[150:151], v[156:157], v[220:221]
	v_div_fixup_f64 v[230:231], v[150:151], v[230:231], 1.0
	v_mul_f64 v[228:229], v[148:149], v[230:231]
	v_xor_b32_e32 v231, 0x80000000, v231
.LBB112_910:
	s_andn2_saveexec_b64 s[16:17], s[16:17]
	s_cbranch_execz .LBB112_912
; %bb.911:
	v_div_scale_f64 v[148:149], s[18:19], v[228:229], v[228:229], v[230:231]
	v_rcp_f64_e32 v[150:151], v[148:149]
	v_div_scale_f64 v[156:157], vcc, v[230:231], v[228:229], v[230:231]
	v_fma_f64 v[158:159], -v[148:149], v[150:151], 1.0
	v_fmac_f64_e32 v[150:151], v[150:151], v[158:159]
	v_fma_f64 v[158:159], -v[148:149], v[150:151], 1.0
	v_fmac_f64_e32 v[150:151], v[150:151], v[158:159]
	v_mul_f64 v[158:159], v[156:157], v[150:151]
	v_fma_f64 v[148:149], -v[148:149], v[158:159], v[156:157]
	v_div_fmas_f64 v[148:149], v[148:149], v[150:151], v[158:159]
	v_div_fixup_f64 v[148:149], v[148:149], v[228:229], v[230:231]
	v_fmac_f64_e32 v[228:229], v[230:231], v[148:149]
	v_div_scale_f64 v[150:151], s[18:19], v[228:229], v[228:229], 1.0
	v_rcp_f64_e32 v[156:157], v[150:151]
	s_nop 0
	v_fma_f64 v[158:159], -v[150:151], v[156:157], 1.0
	v_fmac_f64_e32 v[156:157], v[156:157], v[158:159]
	v_fma_f64 v[158:159], -v[150:151], v[156:157], 1.0
	v_fmac_f64_e32 v[156:157], v[156:157], v[158:159]
	v_div_scale_f64 v[158:159], vcc, 1.0, v[228:229], 1.0
	v_mul_f64 v[220:221], v[158:159], v[156:157]
	v_fma_f64 v[150:151], -v[150:151], v[220:221], v[158:159]
	s_nop 1
	v_div_fmas_f64 v[150:151], v[150:151], v[156:157], v[220:221]
	v_div_fixup_f64 v[228:229], v[150:151], v[228:229], 1.0
	v_mul_f64 v[230:231], v[148:149], -v[228:229]
.LBB112_912:
	s_or_b64 exec, exec, s[16:17]
.LBB112_913:
	s_or_b64 exec, exec, s[0:1]
	v_cmp_ne_u32_e32 vcc, v241, v238
	s_and_saveexec_b64 s[0:1], vcc
	s_xor_b64 s[0:1], exec, s[0:1]
	s_cbranch_execz .LBB112_919
; %bb.914:
	v_cmp_eq_u32_e32 vcc, 43, v241
	s_and_saveexec_b64 s[16:17], vcc
	s_cbranch_execz .LBB112_918
; %bb.915:
	v_cmp_ne_u32_e32 vcc, 43, v238
	s_xor_b64 s[18:19], s[14:15], -1
	s_and_b64 s[22:23], s[18:19], vcc
	s_and_saveexec_b64 s[18:19], s[22:23]
	s_cbranch_execz .LBB112_917
; %bb.916:
	v_ashrrev_i32_e32 v239, 31, v238
	v_lshl_add_u64 v[148:149], v[238:239], 2, v[8:9]
	global_load_dword v150, v[148:149], off
	global_load_dword v151, v[8:9], off offset:172
	s_waitcnt vmcnt(1)
	global_store_dword v[8:9], v150, off offset:172
	s_waitcnt vmcnt(1)
	global_store_dword v[148:149], v151, off
.LBB112_917:
	s_or_b64 exec, exec, s[18:19]
	v_mov_b32_e32 v241, v238
	v_mov_b32_e32 v236, v238
.LBB112_918:
	s_or_b64 exec, exec, s[16:17]
.LBB112_919:
	s_andn2_saveexec_b64 s[0:1], s[0:1]
	s_cbranch_execz .LBB112_921
; %bb.920:
	v_mov_b32_e32 v241, 43
	ds_write2_b64 v240, v[44:45], v[46:47] offset0:88 offset1:89
	ds_write2_b64 v240, v[40:41], v[42:43] offset0:90 offset1:91
	;; [unrolled: 1-line block ×13, first 2 shown]
.LBB112_921:
	s_or_b64 exec, exec, s[0:1]
	v_cmp_lt_i32_e32 vcc, 43, v241
	s_waitcnt lgkmcnt(0)
	s_barrier
	s_and_saveexec_b64 s[0:1], vcc
	s_cbranch_execz .LBB112_923
; %bb.922:
	ds_read2_b64 v[244:247], v240 offset0:88 offset1:89
	v_mul_f64 v[148:149], v[228:229], v[50:51]
	v_mul_f64 v[50:51], v[230:231], v[50:51]
	v_fmac_f64_e32 v[148:149], v[230:231], v[48:49]
	v_fma_f64 v[48:49], v[228:229], v[48:49], -v[50:51]
	ds_read2_b64 v[228:231], v240 offset0:90 offset1:91
	s_waitcnt lgkmcnt(1)
	v_mul_f64 v[50:51], v[246:247], v[148:149]
	v_mul_f64 v[150:151], v[244:245], v[148:149]
	v_fma_f64 v[50:51], v[244:245], v[48:49], -v[50:51]
	v_fmac_f64_e32 v[150:151], v[246:247], v[48:49]
	ds_read2_b64 v[244:247], v240 offset0:92 offset1:93
	v_add_f64 v[44:45], v[44:45], -v[50:51]
	v_add_f64 v[46:47], v[46:47], -v[150:151]
	s_waitcnt lgkmcnt(1)
	v_mul_f64 v[50:51], v[230:231], v[148:149]
	v_mul_f64 v[150:151], v[228:229], v[148:149]
	v_fma_f64 v[50:51], v[228:229], v[48:49], -v[50:51]
	v_fmac_f64_e32 v[150:151], v[230:231], v[48:49]
	ds_read2_b64 v[228:231], v240 offset0:94 offset1:95
	v_add_f64 v[40:41], v[40:41], -v[50:51]
	v_add_f64 v[42:43], v[42:43], -v[150:151]
	;; [unrolled: 8-line block ×11, first 2 shown]
	s_waitcnt lgkmcnt(1)
	v_mul_f64 v[50:51], v[230:231], v[148:149]
	v_mul_f64 v[150:151], v[228:229], v[148:149]
	v_fma_f64 v[50:51], v[228:229], v[48:49], -v[50:51]
	v_fmac_f64_e32 v[150:151], v[230:231], v[48:49]
	v_add_f64 v[250:251], v[250:251], -v[50:51]
	v_add_f64 v[252:253], v[252:253], -v[150:151]
	s_waitcnt lgkmcnt(0)
	v_mul_f64 v[50:51], v[246:247], v[148:149]
	v_mul_f64 v[150:151], v[244:245], v[148:149]
	v_fma_f64 v[50:51], v[244:245], v[48:49], -v[50:51]
	v_fmac_f64_e32 v[150:151], v[246:247], v[48:49]
	v_add_f64 v[224:225], v[224:225], -v[50:51]
	v_add_f64 v[226:227], v[226:227], -v[150:151]
	v_mov_b64_e32 v[50:51], v[148:149]
.LBB112_923:
	s_or_b64 exec, exec, s[0:1]
	v_lshl_add_u32 v148, v241, 4, v240
	s_barrier
	ds_write2_b64 v148, v[44:45], v[46:47] offset1:1
	s_waitcnt lgkmcnt(0)
	s_barrier
	ds_read2_b64 v[228:231], v240 offset0:88 offset1:89
	s_cmp_lt_i32 s20, 46
	v_mov_b32_e32 v238, 44
	s_cbranch_scc1 .LBB112_926
; %bb.924:
	v_add_u32_e32 v239, 0x2d0, v240
	s_mov_b32 s0, 45
	v_mov_b32_e32 v238, 44
.LBB112_925:                            ; =>This Inner Loop Header: Depth=1
	ds_read2_b64 v[244:247], v239 offset1:1
	s_waitcnt lgkmcnt(1)
	v_cmp_gt_f64_e32 vcc, 0, v[228:229]
	v_xor_b32_e32 v148, 0x80000000, v229
	v_xor_b32_e32 v150, 0x80000000, v231
	v_cndmask_b32_e32 v149, v229, v148, vcc
	v_cmp_gt_f64_e32 vcc, 0, v[230:231]
	v_mov_b32_e32 v148, v228
	s_waitcnt lgkmcnt(0)
	v_xor_b32_e32 v156, 0x80000000, v247
	v_cndmask_b32_e32 v151, v231, v150, vcc
	v_mov_b32_e32 v150, v230
	v_add_f64 v[148:149], v[148:149], v[150:151]
	v_cmp_gt_f64_e32 vcc, 0, v[244:245]
	v_xor_b32_e32 v150, 0x80000000, v245
	v_add_u32_e32 v239, 16, v239
	v_cndmask_b32_e32 v151, v245, v150, vcc
	v_cmp_gt_f64_e32 vcc, 0, v[246:247]
	v_mov_b32_e32 v150, v244
	s_nop 0
	v_cndmask_b32_e32 v157, v247, v156, vcc
	v_mov_b32_e32 v156, v246
	v_add_f64 v[150:151], v[150:151], v[156:157]
	v_cmp_lt_f64_e32 vcc, v[148:149], v[150:151]
	v_mov_b32_e32 v148, s0
	s_add_i32 s0, s0, 1
	v_cndmask_b32_e32 v229, v229, v245, vcc
	v_cndmask_b32_e32 v228, v228, v244, vcc
	;; [unrolled: 1-line block ×5, first 2 shown]
	s_cmp_lg_u32 s20, s0
	s_cbranch_scc1 .LBB112_925
.LBB112_926:
	s_waitcnt lgkmcnt(0)
	v_cmp_eq_f64_e32 vcc, 0, v[228:229]
	v_cmp_eq_f64_e64 s[0:1], 0, v[230:231]
	s_and_b64 s[0:1], vcc, s[0:1]
	s_and_saveexec_b64 s[16:17], s[0:1]
	s_xor_b64 s[0:1], exec, s[16:17]
; %bb.927:
	v_cmp_ne_u32_e32 vcc, 0, v242
	s_nop 1
	v_cndmask_b32_e32 v242, 45, v242, vcc
; %bb.928:
	s_andn2_saveexec_b64 s[0:1], s[0:1]
	s_cbranch_execz .LBB112_934
; %bb.929:
	v_cmp_ngt_f64_e64 s[16:17], |v[228:229]|, |v[230:231]|
	s_and_saveexec_b64 s[18:19], s[16:17]
	s_xor_b64 s[16:17], exec, s[18:19]
	s_cbranch_execz .LBB112_931
; %bb.930:
	v_div_scale_f64 v[148:149], s[18:19], v[230:231], v[230:231], v[228:229]
	v_rcp_f64_e32 v[150:151], v[148:149]
	v_div_scale_f64 v[156:157], vcc, v[228:229], v[230:231], v[228:229]
	v_fma_f64 v[158:159], -v[148:149], v[150:151], 1.0
	v_fmac_f64_e32 v[150:151], v[150:151], v[158:159]
	v_fma_f64 v[158:159], -v[148:149], v[150:151], 1.0
	v_fmac_f64_e32 v[150:151], v[150:151], v[158:159]
	v_mul_f64 v[158:159], v[156:157], v[150:151]
	v_fma_f64 v[148:149], -v[148:149], v[158:159], v[156:157]
	v_div_fmas_f64 v[148:149], v[148:149], v[150:151], v[158:159]
	v_div_fixup_f64 v[148:149], v[148:149], v[230:231], v[228:229]
	v_fmac_f64_e32 v[230:231], v[228:229], v[148:149]
	v_div_scale_f64 v[150:151], s[18:19], v[230:231], v[230:231], 1.0
	v_rcp_f64_e32 v[156:157], v[150:151]
	s_nop 0
	v_fma_f64 v[158:159], -v[150:151], v[156:157], 1.0
	v_fmac_f64_e32 v[156:157], v[156:157], v[158:159]
	v_fma_f64 v[158:159], -v[150:151], v[156:157], 1.0
	v_fmac_f64_e32 v[156:157], v[156:157], v[158:159]
	v_div_scale_f64 v[158:159], vcc, 1.0, v[230:231], 1.0
	v_mul_f64 v[220:221], v[158:159], v[156:157]
	v_fma_f64 v[150:151], -v[150:151], v[220:221], v[158:159]
	s_nop 1
	v_div_fmas_f64 v[150:151], v[150:151], v[156:157], v[220:221]
	v_div_fixup_f64 v[230:231], v[150:151], v[230:231], 1.0
	v_mul_f64 v[228:229], v[148:149], v[230:231]
	v_xor_b32_e32 v231, 0x80000000, v231
.LBB112_931:
	s_andn2_saveexec_b64 s[16:17], s[16:17]
	s_cbranch_execz .LBB112_933
; %bb.932:
	v_div_scale_f64 v[148:149], s[18:19], v[228:229], v[228:229], v[230:231]
	v_rcp_f64_e32 v[150:151], v[148:149]
	v_div_scale_f64 v[156:157], vcc, v[230:231], v[228:229], v[230:231]
	v_fma_f64 v[158:159], -v[148:149], v[150:151], 1.0
	v_fmac_f64_e32 v[150:151], v[150:151], v[158:159]
	v_fma_f64 v[158:159], -v[148:149], v[150:151], 1.0
	v_fmac_f64_e32 v[150:151], v[150:151], v[158:159]
	v_mul_f64 v[158:159], v[156:157], v[150:151]
	v_fma_f64 v[148:149], -v[148:149], v[158:159], v[156:157]
	v_div_fmas_f64 v[148:149], v[148:149], v[150:151], v[158:159]
	v_div_fixup_f64 v[148:149], v[148:149], v[228:229], v[230:231]
	v_fmac_f64_e32 v[228:229], v[230:231], v[148:149]
	v_div_scale_f64 v[150:151], s[18:19], v[228:229], v[228:229], 1.0
	v_rcp_f64_e32 v[156:157], v[150:151]
	s_nop 0
	v_fma_f64 v[158:159], -v[150:151], v[156:157], 1.0
	v_fmac_f64_e32 v[156:157], v[156:157], v[158:159]
	v_fma_f64 v[158:159], -v[150:151], v[156:157], 1.0
	v_fmac_f64_e32 v[156:157], v[156:157], v[158:159]
	v_div_scale_f64 v[158:159], vcc, 1.0, v[228:229], 1.0
	v_mul_f64 v[220:221], v[158:159], v[156:157]
	v_fma_f64 v[150:151], -v[150:151], v[220:221], v[158:159]
	s_nop 1
	v_div_fmas_f64 v[150:151], v[150:151], v[156:157], v[220:221]
	v_div_fixup_f64 v[228:229], v[150:151], v[228:229], 1.0
	v_mul_f64 v[230:231], v[148:149], -v[228:229]
.LBB112_933:
	s_or_b64 exec, exec, s[16:17]
.LBB112_934:
	s_or_b64 exec, exec, s[0:1]
	v_cmp_ne_u32_e32 vcc, v241, v238
	s_and_saveexec_b64 s[0:1], vcc
	s_xor_b64 s[0:1], exec, s[0:1]
	s_cbranch_execz .LBB112_940
; %bb.935:
	v_cmp_eq_u32_e32 vcc, 44, v241
	s_and_saveexec_b64 s[16:17], vcc
	s_cbranch_execz .LBB112_939
; %bb.936:
	v_cmp_ne_u32_e32 vcc, 44, v238
	s_xor_b64 s[18:19], s[14:15], -1
	s_and_b64 s[22:23], s[18:19], vcc
	s_and_saveexec_b64 s[18:19], s[22:23]
	s_cbranch_execz .LBB112_938
; %bb.937:
	v_ashrrev_i32_e32 v239, 31, v238
	v_lshl_add_u64 v[148:149], v[238:239], 2, v[8:9]
	global_load_dword v150, v[148:149], off
	global_load_dword v151, v[8:9], off offset:176
	s_waitcnt vmcnt(1)
	global_store_dword v[8:9], v150, off offset:176
	s_waitcnt vmcnt(1)
	global_store_dword v[148:149], v151, off
.LBB112_938:
	s_or_b64 exec, exec, s[18:19]
	v_mov_b32_e32 v241, v238
	v_mov_b32_e32 v236, v238
.LBB112_939:
	s_or_b64 exec, exec, s[16:17]
.LBB112_940:
	s_andn2_saveexec_b64 s[0:1], s[0:1]
	s_cbranch_execz .LBB112_942
; %bb.941:
	v_mov_b32_e32 v241, 44
	ds_write2_b64 v240, v[40:41], v[42:43] offset0:90 offset1:91
	ds_write2_b64 v240, v[36:37], v[38:39] offset0:92 offset1:93
	;; [unrolled: 1-line block ×12, first 2 shown]
.LBB112_942:
	s_or_b64 exec, exec, s[0:1]
	v_cmp_lt_i32_e32 vcc, 44, v241
	s_waitcnt lgkmcnt(0)
	s_barrier
	s_and_saveexec_b64 s[0:1], vcc
	s_cbranch_execz .LBB112_944
; %bb.943:
	ds_read2_b64 v[244:247], v240 offset0:90 offset1:91
	v_mul_f64 v[148:149], v[228:229], v[46:47]
	v_mul_f64 v[46:47], v[230:231], v[46:47]
	v_fmac_f64_e32 v[148:149], v[230:231], v[44:45]
	v_fma_f64 v[44:45], v[228:229], v[44:45], -v[46:47]
	ds_read2_b64 v[228:231], v240 offset0:92 offset1:93
	s_waitcnt lgkmcnt(1)
	v_mul_f64 v[46:47], v[246:247], v[148:149]
	v_mul_f64 v[150:151], v[244:245], v[148:149]
	v_fma_f64 v[46:47], v[244:245], v[44:45], -v[46:47]
	v_fmac_f64_e32 v[150:151], v[246:247], v[44:45]
	ds_read2_b64 v[244:247], v240 offset0:94 offset1:95
	v_add_f64 v[40:41], v[40:41], -v[46:47]
	v_add_f64 v[42:43], v[42:43], -v[150:151]
	s_waitcnt lgkmcnt(1)
	v_mul_f64 v[46:47], v[230:231], v[148:149]
	v_mul_f64 v[150:151], v[228:229], v[148:149]
	v_fma_f64 v[46:47], v[228:229], v[44:45], -v[46:47]
	v_fmac_f64_e32 v[150:151], v[230:231], v[44:45]
	ds_read2_b64 v[228:231], v240 offset0:96 offset1:97
	v_add_f64 v[36:37], v[36:37], -v[46:47]
	v_add_f64 v[38:39], v[38:39], -v[150:151]
	;; [unrolled: 8-line block ×10, first 2 shown]
	s_waitcnt lgkmcnt(1)
	v_mul_f64 v[46:47], v[246:247], v[148:149]
	v_mul_f64 v[150:151], v[244:245], v[148:149]
	v_fma_f64 v[46:47], v[244:245], v[44:45], -v[46:47]
	v_fmac_f64_e32 v[150:151], v[246:247], v[44:45]
	v_add_f64 v[250:251], v[250:251], -v[46:47]
	v_add_f64 v[252:253], v[252:253], -v[150:151]
	s_waitcnt lgkmcnt(0)
	v_mul_f64 v[46:47], v[230:231], v[148:149]
	v_mul_f64 v[150:151], v[228:229], v[148:149]
	v_fma_f64 v[46:47], v[228:229], v[44:45], -v[46:47]
	v_fmac_f64_e32 v[150:151], v[230:231], v[44:45]
	v_add_f64 v[224:225], v[224:225], -v[46:47]
	v_add_f64 v[226:227], v[226:227], -v[150:151]
	v_mov_b64_e32 v[46:47], v[148:149]
.LBB112_944:
	s_or_b64 exec, exec, s[0:1]
	v_lshl_add_u32 v148, v241, 4, v240
	s_barrier
	ds_write2_b64 v148, v[40:41], v[42:43] offset1:1
	s_waitcnt lgkmcnt(0)
	s_barrier
	ds_read2_b64 v[228:231], v240 offset0:90 offset1:91
	s_cmp_lt_i32 s20, 47
	v_mov_b32_e32 v238, 45
	s_cbranch_scc1 .LBB112_947
; %bb.945:
	v_add_u32_e32 v239, 0x2e0, v240
	s_mov_b32 s0, 46
	v_mov_b32_e32 v238, 45
.LBB112_946:                            ; =>This Inner Loop Header: Depth=1
	ds_read2_b64 v[244:247], v239 offset1:1
	s_waitcnt lgkmcnt(1)
	v_cmp_gt_f64_e32 vcc, 0, v[228:229]
	v_xor_b32_e32 v148, 0x80000000, v229
	v_xor_b32_e32 v150, 0x80000000, v231
	v_cndmask_b32_e32 v149, v229, v148, vcc
	v_cmp_gt_f64_e32 vcc, 0, v[230:231]
	v_mov_b32_e32 v148, v228
	s_waitcnt lgkmcnt(0)
	v_xor_b32_e32 v156, 0x80000000, v247
	v_cndmask_b32_e32 v151, v231, v150, vcc
	v_mov_b32_e32 v150, v230
	v_add_f64 v[148:149], v[148:149], v[150:151]
	v_cmp_gt_f64_e32 vcc, 0, v[244:245]
	v_xor_b32_e32 v150, 0x80000000, v245
	v_add_u32_e32 v239, 16, v239
	v_cndmask_b32_e32 v151, v245, v150, vcc
	v_cmp_gt_f64_e32 vcc, 0, v[246:247]
	v_mov_b32_e32 v150, v244
	s_nop 0
	v_cndmask_b32_e32 v157, v247, v156, vcc
	v_mov_b32_e32 v156, v246
	v_add_f64 v[150:151], v[150:151], v[156:157]
	v_cmp_lt_f64_e32 vcc, v[148:149], v[150:151]
	v_mov_b32_e32 v148, s0
	s_add_i32 s0, s0, 1
	v_cndmask_b32_e32 v229, v229, v245, vcc
	v_cndmask_b32_e32 v228, v228, v244, vcc
	;; [unrolled: 1-line block ×5, first 2 shown]
	s_cmp_lg_u32 s20, s0
	s_cbranch_scc1 .LBB112_946
.LBB112_947:
	s_waitcnt lgkmcnt(0)
	v_cmp_eq_f64_e32 vcc, 0, v[228:229]
	v_cmp_eq_f64_e64 s[0:1], 0, v[230:231]
	s_and_b64 s[0:1], vcc, s[0:1]
	s_and_saveexec_b64 s[16:17], s[0:1]
	s_xor_b64 s[0:1], exec, s[16:17]
; %bb.948:
	v_cmp_ne_u32_e32 vcc, 0, v242
	s_nop 1
	v_cndmask_b32_e32 v242, 46, v242, vcc
; %bb.949:
	s_andn2_saveexec_b64 s[0:1], s[0:1]
	s_cbranch_execz .LBB112_955
; %bb.950:
	v_cmp_ngt_f64_e64 s[16:17], |v[228:229]|, |v[230:231]|
	s_and_saveexec_b64 s[18:19], s[16:17]
	s_xor_b64 s[16:17], exec, s[18:19]
	s_cbranch_execz .LBB112_952
; %bb.951:
	v_div_scale_f64 v[148:149], s[18:19], v[230:231], v[230:231], v[228:229]
	v_rcp_f64_e32 v[150:151], v[148:149]
	v_div_scale_f64 v[156:157], vcc, v[228:229], v[230:231], v[228:229]
	v_fma_f64 v[158:159], -v[148:149], v[150:151], 1.0
	v_fmac_f64_e32 v[150:151], v[150:151], v[158:159]
	v_fma_f64 v[158:159], -v[148:149], v[150:151], 1.0
	v_fmac_f64_e32 v[150:151], v[150:151], v[158:159]
	v_mul_f64 v[158:159], v[156:157], v[150:151]
	v_fma_f64 v[148:149], -v[148:149], v[158:159], v[156:157]
	v_div_fmas_f64 v[148:149], v[148:149], v[150:151], v[158:159]
	v_div_fixup_f64 v[148:149], v[148:149], v[230:231], v[228:229]
	v_fmac_f64_e32 v[230:231], v[228:229], v[148:149]
	v_div_scale_f64 v[150:151], s[18:19], v[230:231], v[230:231], 1.0
	v_rcp_f64_e32 v[156:157], v[150:151]
	s_nop 0
	v_fma_f64 v[158:159], -v[150:151], v[156:157], 1.0
	v_fmac_f64_e32 v[156:157], v[156:157], v[158:159]
	v_fma_f64 v[158:159], -v[150:151], v[156:157], 1.0
	v_fmac_f64_e32 v[156:157], v[156:157], v[158:159]
	v_div_scale_f64 v[158:159], vcc, 1.0, v[230:231], 1.0
	v_mul_f64 v[220:221], v[158:159], v[156:157]
	v_fma_f64 v[150:151], -v[150:151], v[220:221], v[158:159]
	s_nop 1
	v_div_fmas_f64 v[150:151], v[150:151], v[156:157], v[220:221]
	v_div_fixup_f64 v[230:231], v[150:151], v[230:231], 1.0
	v_mul_f64 v[228:229], v[148:149], v[230:231]
	v_xor_b32_e32 v231, 0x80000000, v231
.LBB112_952:
	s_andn2_saveexec_b64 s[16:17], s[16:17]
	s_cbranch_execz .LBB112_954
; %bb.953:
	v_div_scale_f64 v[148:149], s[18:19], v[228:229], v[228:229], v[230:231]
	v_rcp_f64_e32 v[150:151], v[148:149]
	v_div_scale_f64 v[156:157], vcc, v[230:231], v[228:229], v[230:231]
	v_fma_f64 v[158:159], -v[148:149], v[150:151], 1.0
	v_fmac_f64_e32 v[150:151], v[150:151], v[158:159]
	v_fma_f64 v[158:159], -v[148:149], v[150:151], 1.0
	v_fmac_f64_e32 v[150:151], v[150:151], v[158:159]
	v_mul_f64 v[158:159], v[156:157], v[150:151]
	v_fma_f64 v[148:149], -v[148:149], v[158:159], v[156:157]
	v_div_fmas_f64 v[148:149], v[148:149], v[150:151], v[158:159]
	v_div_fixup_f64 v[148:149], v[148:149], v[228:229], v[230:231]
	v_fmac_f64_e32 v[228:229], v[230:231], v[148:149]
	v_div_scale_f64 v[150:151], s[18:19], v[228:229], v[228:229], 1.0
	v_rcp_f64_e32 v[156:157], v[150:151]
	s_nop 0
	v_fma_f64 v[158:159], -v[150:151], v[156:157], 1.0
	v_fmac_f64_e32 v[156:157], v[156:157], v[158:159]
	v_fma_f64 v[158:159], -v[150:151], v[156:157], 1.0
	v_fmac_f64_e32 v[156:157], v[156:157], v[158:159]
	v_div_scale_f64 v[158:159], vcc, 1.0, v[228:229], 1.0
	v_mul_f64 v[220:221], v[158:159], v[156:157]
	v_fma_f64 v[150:151], -v[150:151], v[220:221], v[158:159]
	s_nop 1
	v_div_fmas_f64 v[150:151], v[150:151], v[156:157], v[220:221]
	v_div_fixup_f64 v[228:229], v[150:151], v[228:229], 1.0
	v_mul_f64 v[230:231], v[148:149], -v[228:229]
.LBB112_954:
	s_or_b64 exec, exec, s[16:17]
.LBB112_955:
	s_or_b64 exec, exec, s[0:1]
	v_cmp_ne_u32_e32 vcc, v241, v238
	s_and_saveexec_b64 s[0:1], vcc
	s_xor_b64 s[0:1], exec, s[0:1]
	s_cbranch_execz .LBB112_961
; %bb.956:
	v_cmp_eq_u32_e32 vcc, 45, v241
	s_and_saveexec_b64 s[16:17], vcc
	s_cbranch_execz .LBB112_960
; %bb.957:
	v_cmp_ne_u32_e32 vcc, 45, v238
	s_xor_b64 s[18:19], s[14:15], -1
	s_and_b64 s[22:23], s[18:19], vcc
	s_and_saveexec_b64 s[18:19], s[22:23]
	s_cbranch_execz .LBB112_959
; %bb.958:
	v_ashrrev_i32_e32 v239, 31, v238
	v_lshl_add_u64 v[148:149], v[238:239], 2, v[8:9]
	global_load_dword v150, v[148:149], off
	global_load_dword v151, v[8:9], off offset:180
	s_waitcnt vmcnt(1)
	global_store_dword v[8:9], v150, off offset:180
	s_waitcnt vmcnt(1)
	global_store_dword v[148:149], v151, off
.LBB112_959:
	s_or_b64 exec, exec, s[18:19]
	v_mov_b32_e32 v241, v238
	v_mov_b32_e32 v236, v238
.LBB112_960:
	s_or_b64 exec, exec, s[16:17]
.LBB112_961:
	s_andn2_saveexec_b64 s[0:1], s[0:1]
	s_cbranch_execz .LBB112_963
; %bb.962:
	v_mov_b32_e32 v241, 45
	ds_write2_b64 v240, v[36:37], v[38:39] offset0:92 offset1:93
	ds_write2_b64 v240, v[32:33], v[34:35] offset0:94 offset1:95
	;; [unrolled: 1-line block ×11, first 2 shown]
.LBB112_963:
	s_or_b64 exec, exec, s[0:1]
	v_cmp_lt_i32_e32 vcc, 45, v241
	s_waitcnt lgkmcnt(0)
	s_barrier
	s_and_saveexec_b64 s[0:1], vcc
	s_cbranch_execz .LBB112_965
; %bb.964:
	ds_read2_b64 v[244:247], v240 offset0:92 offset1:93
	v_mul_f64 v[148:149], v[228:229], v[42:43]
	v_mul_f64 v[42:43], v[230:231], v[42:43]
	v_fmac_f64_e32 v[148:149], v[230:231], v[40:41]
	v_fma_f64 v[40:41], v[228:229], v[40:41], -v[42:43]
	ds_read2_b64 v[228:231], v240 offset0:94 offset1:95
	s_waitcnt lgkmcnt(1)
	v_mul_f64 v[42:43], v[246:247], v[148:149]
	v_mul_f64 v[150:151], v[244:245], v[148:149]
	v_fma_f64 v[42:43], v[244:245], v[40:41], -v[42:43]
	v_fmac_f64_e32 v[150:151], v[246:247], v[40:41]
	ds_read2_b64 v[244:247], v240 offset0:96 offset1:97
	v_add_f64 v[36:37], v[36:37], -v[42:43]
	v_add_f64 v[38:39], v[38:39], -v[150:151]
	s_waitcnt lgkmcnt(1)
	v_mul_f64 v[42:43], v[230:231], v[148:149]
	v_mul_f64 v[150:151], v[228:229], v[148:149]
	v_fma_f64 v[42:43], v[228:229], v[40:41], -v[42:43]
	v_fmac_f64_e32 v[150:151], v[230:231], v[40:41]
	ds_read2_b64 v[228:231], v240 offset0:98 offset1:99
	v_add_f64 v[32:33], v[32:33], -v[42:43]
	v_add_f64 v[34:35], v[34:35], -v[150:151]
	;; [unrolled: 8-line block ×9, first 2 shown]
	s_waitcnt lgkmcnt(1)
	v_mul_f64 v[42:43], v[230:231], v[148:149]
	v_mul_f64 v[150:151], v[228:229], v[148:149]
	v_fma_f64 v[42:43], v[228:229], v[40:41], -v[42:43]
	v_fmac_f64_e32 v[150:151], v[230:231], v[40:41]
	v_add_f64 v[250:251], v[250:251], -v[42:43]
	v_add_f64 v[252:253], v[252:253], -v[150:151]
	s_waitcnt lgkmcnt(0)
	v_mul_f64 v[42:43], v[246:247], v[148:149]
	v_mul_f64 v[150:151], v[244:245], v[148:149]
	v_fma_f64 v[42:43], v[244:245], v[40:41], -v[42:43]
	v_fmac_f64_e32 v[150:151], v[246:247], v[40:41]
	v_add_f64 v[224:225], v[224:225], -v[42:43]
	v_add_f64 v[226:227], v[226:227], -v[150:151]
	v_mov_b64_e32 v[42:43], v[148:149]
.LBB112_965:
	s_or_b64 exec, exec, s[0:1]
	v_lshl_add_u32 v148, v241, 4, v240
	s_barrier
	ds_write2_b64 v148, v[36:37], v[38:39] offset1:1
	s_waitcnt lgkmcnt(0)
	s_barrier
	ds_read2_b64 v[228:231], v240 offset0:92 offset1:93
	s_cmp_lt_i32 s20, 48
	v_mov_b32_e32 v238, 46
	s_cbranch_scc1 .LBB112_968
; %bb.966:
	v_add_u32_e32 v239, 0x2f0, v240
	s_mov_b32 s0, 47
	v_mov_b32_e32 v238, 46
.LBB112_967:                            ; =>This Inner Loop Header: Depth=1
	ds_read2_b64 v[244:247], v239 offset1:1
	s_waitcnt lgkmcnt(1)
	v_cmp_gt_f64_e32 vcc, 0, v[228:229]
	v_xor_b32_e32 v148, 0x80000000, v229
	v_xor_b32_e32 v150, 0x80000000, v231
	v_cndmask_b32_e32 v149, v229, v148, vcc
	v_cmp_gt_f64_e32 vcc, 0, v[230:231]
	v_mov_b32_e32 v148, v228
	s_waitcnt lgkmcnt(0)
	v_xor_b32_e32 v156, 0x80000000, v247
	v_cndmask_b32_e32 v151, v231, v150, vcc
	v_mov_b32_e32 v150, v230
	v_add_f64 v[148:149], v[148:149], v[150:151]
	v_cmp_gt_f64_e32 vcc, 0, v[244:245]
	v_xor_b32_e32 v150, 0x80000000, v245
	v_add_u32_e32 v239, 16, v239
	v_cndmask_b32_e32 v151, v245, v150, vcc
	v_cmp_gt_f64_e32 vcc, 0, v[246:247]
	v_mov_b32_e32 v150, v244
	s_nop 0
	v_cndmask_b32_e32 v157, v247, v156, vcc
	v_mov_b32_e32 v156, v246
	v_add_f64 v[150:151], v[150:151], v[156:157]
	v_cmp_lt_f64_e32 vcc, v[148:149], v[150:151]
	v_mov_b32_e32 v148, s0
	s_add_i32 s0, s0, 1
	v_cndmask_b32_e32 v229, v229, v245, vcc
	v_cndmask_b32_e32 v228, v228, v244, vcc
	;; [unrolled: 1-line block ×5, first 2 shown]
	s_cmp_lg_u32 s20, s0
	s_cbranch_scc1 .LBB112_967
.LBB112_968:
	s_waitcnt lgkmcnt(0)
	v_cmp_eq_f64_e32 vcc, 0, v[228:229]
	v_cmp_eq_f64_e64 s[0:1], 0, v[230:231]
	s_and_b64 s[0:1], vcc, s[0:1]
	s_and_saveexec_b64 s[16:17], s[0:1]
	s_xor_b64 s[0:1], exec, s[16:17]
; %bb.969:
	v_cmp_ne_u32_e32 vcc, 0, v242
	s_nop 1
	v_cndmask_b32_e32 v242, 47, v242, vcc
; %bb.970:
	s_andn2_saveexec_b64 s[0:1], s[0:1]
	s_cbranch_execz .LBB112_976
; %bb.971:
	v_cmp_ngt_f64_e64 s[16:17], |v[228:229]|, |v[230:231]|
	s_and_saveexec_b64 s[18:19], s[16:17]
	s_xor_b64 s[16:17], exec, s[18:19]
	s_cbranch_execz .LBB112_973
; %bb.972:
	v_div_scale_f64 v[148:149], s[18:19], v[230:231], v[230:231], v[228:229]
	v_rcp_f64_e32 v[150:151], v[148:149]
	v_div_scale_f64 v[156:157], vcc, v[228:229], v[230:231], v[228:229]
	v_fma_f64 v[158:159], -v[148:149], v[150:151], 1.0
	v_fmac_f64_e32 v[150:151], v[150:151], v[158:159]
	v_fma_f64 v[158:159], -v[148:149], v[150:151], 1.0
	v_fmac_f64_e32 v[150:151], v[150:151], v[158:159]
	v_mul_f64 v[158:159], v[156:157], v[150:151]
	v_fma_f64 v[148:149], -v[148:149], v[158:159], v[156:157]
	v_div_fmas_f64 v[148:149], v[148:149], v[150:151], v[158:159]
	v_div_fixup_f64 v[148:149], v[148:149], v[230:231], v[228:229]
	v_fmac_f64_e32 v[230:231], v[228:229], v[148:149]
	v_div_scale_f64 v[150:151], s[18:19], v[230:231], v[230:231], 1.0
	v_rcp_f64_e32 v[156:157], v[150:151]
	s_nop 0
	v_fma_f64 v[158:159], -v[150:151], v[156:157], 1.0
	v_fmac_f64_e32 v[156:157], v[156:157], v[158:159]
	v_fma_f64 v[158:159], -v[150:151], v[156:157], 1.0
	v_fmac_f64_e32 v[156:157], v[156:157], v[158:159]
	v_div_scale_f64 v[158:159], vcc, 1.0, v[230:231], 1.0
	v_mul_f64 v[220:221], v[158:159], v[156:157]
	v_fma_f64 v[150:151], -v[150:151], v[220:221], v[158:159]
	s_nop 1
	v_div_fmas_f64 v[150:151], v[150:151], v[156:157], v[220:221]
	v_div_fixup_f64 v[230:231], v[150:151], v[230:231], 1.0
	v_mul_f64 v[228:229], v[148:149], v[230:231]
	v_xor_b32_e32 v231, 0x80000000, v231
.LBB112_973:
	s_andn2_saveexec_b64 s[16:17], s[16:17]
	s_cbranch_execz .LBB112_975
; %bb.974:
	v_div_scale_f64 v[148:149], s[18:19], v[228:229], v[228:229], v[230:231]
	v_rcp_f64_e32 v[150:151], v[148:149]
	v_div_scale_f64 v[156:157], vcc, v[230:231], v[228:229], v[230:231]
	v_fma_f64 v[158:159], -v[148:149], v[150:151], 1.0
	v_fmac_f64_e32 v[150:151], v[150:151], v[158:159]
	v_fma_f64 v[158:159], -v[148:149], v[150:151], 1.0
	v_fmac_f64_e32 v[150:151], v[150:151], v[158:159]
	v_mul_f64 v[158:159], v[156:157], v[150:151]
	v_fma_f64 v[148:149], -v[148:149], v[158:159], v[156:157]
	v_div_fmas_f64 v[148:149], v[148:149], v[150:151], v[158:159]
	v_div_fixup_f64 v[148:149], v[148:149], v[228:229], v[230:231]
	v_fmac_f64_e32 v[228:229], v[230:231], v[148:149]
	v_div_scale_f64 v[150:151], s[18:19], v[228:229], v[228:229], 1.0
	v_rcp_f64_e32 v[156:157], v[150:151]
	s_nop 0
	v_fma_f64 v[158:159], -v[150:151], v[156:157], 1.0
	v_fmac_f64_e32 v[156:157], v[156:157], v[158:159]
	v_fma_f64 v[158:159], -v[150:151], v[156:157], 1.0
	v_fmac_f64_e32 v[156:157], v[156:157], v[158:159]
	v_div_scale_f64 v[158:159], vcc, 1.0, v[228:229], 1.0
	v_mul_f64 v[220:221], v[158:159], v[156:157]
	v_fma_f64 v[150:151], -v[150:151], v[220:221], v[158:159]
	s_nop 1
	v_div_fmas_f64 v[150:151], v[150:151], v[156:157], v[220:221]
	v_div_fixup_f64 v[228:229], v[150:151], v[228:229], 1.0
	v_mul_f64 v[230:231], v[148:149], -v[228:229]
.LBB112_975:
	s_or_b64 exec, exec, s[16:17]
.LBB112_976:
	s_or_b64 exec, exec, s[0:1]
	v_cmp_ne_u32_e32 vcc, v241, v238
	s_and_saveexec_b64 s[0:1], vcc
	s_xor_b64 s[0:1], exec, s[0:1]
	s_cbranch_execz .LBB112_982
; %bb.977:
	v_cmp_eq_u32_e32 vcc, 46, v241
	s_and_saveexec_b64 s[16:17], vcc
	s_cbranch_execz .LBB112_981
; %bb.978:
	v_cmp_ne_u32_e32 vcc, 46, v238
	s_xor_b64 s[18:19], s[14:15], -1
	s_and_b64 s[22:23], s[18:19], vcc
	s_and_saveexec_b64 s[18:19], s[22:23]
	s_cbranch_execz .LBB112_980
; %bb.979:
	v_ashrrev_i32_e32 v239, 31, v238
	v_lshl_add_u64 v[148:149], v[238:239], 2, v[8:9]
	global_load_dword v150, v[148:149], off
	global_load_dword v151, v[8:9], off offset:184
	s_waitcnt vmcnt(1)
	global_store_dword v[8:9], v150, off offset:184
	s_waitcnt vmcnt(1)
	global_store_dword v[148:149], v151, off
.LBB112_980:
	s_or_b64 exec, exec, s[18:19]
	v_mov_b32_e32 v241, v238
	v_mov_b32_e32 v236, v238
.LBB112_981:
	s_or_b64 exec, exec, s[16:17]
.LBB112_982:
	s_andn2_saveexec_b64 s[0:1], s[0:1]
	s_cbranch_execz .LBB112_984
; %bb.983:
	v_mov_b32_e32 v241, 46
	ds_write2_b64 v240, v[32:33], v[34:35] offset0:94 offset1:95
	ds_write2_b64 v240, v[28:29], v[30:31] offset0:96 offset1:97
	;; [unrolled: 1-line block ×10, first 2 shown]
.LBB112_984:
	s_or_b64 exec, exec, s[0:1]
	v_cmp_lt_i32_e32 vcc, 46, v241
	s_waitcnt lgkmcnt(0)
	s_barrier
	s_and_saveexec_b64 s[0:1], vcc
	s_cbranch_execz .LBB112_986
; %bb.985:
	ds_read2_b64 v[244:247], v240 offset0:94 offset1:95
	v_mul_f64 v[148:149], v[228:229], v[38:39]
	v_mul_f64 v[38:39], v[230:231], v[38:39]
	v_fmac_f64_e32 v[148:149], v[230:231], v[36:37]
	v_fma_f64 v[36:37], v[228:229], v[36:37], -v[38:39]
	ds_read2_b64 v[228:231], v240 offset0:96 offset1:97
	s_waitcnt lgkmcnt(1)
	v_mul_f64 v[38:39], v[246:247], v[148:149]
	v_mul_f64 v[150:151], v[244:245], v[148:149]
	v_fma_f64 v[38:39], v[244:245], v[36:37], -v[38:39]
	v_fmac_f64_e32 v[150:151], v[246:247], v[36:37]
	ds_read2_b64 v[244:247], v240 offset0:98 offset1:99
	v_add_f64 v[32:33], v[32:33], -v[38:39]
	v_add_f64 v[34:35], v[34:35], -v[150:151]
	s_waitcnt lgkmcnt(1)
	v_mul_f64 v[38:39], v[230:231], v[148:149]
	v_mul_f64 v[150:151], v[228:229], v[148:149]
	v_fma_f64 v[38:39], v[228:229], v[36:37], -v[38:39]
	v_fmac_f64_e32 v[150:151], v[230:231], v[36:37]
	ds_read2_b64 v[228:231], v240 offset0:100 offset1:101
	v_add_f64 v[28:29], v[28:29], -v[38:39]
	v_add_f64 v[30:31], v[30:31], -v[150:151]
	;; [unrolled: 8-line block ×8, first 2 shown]
	s_waitcnt lgkmcnt(1)
	v_mul_f64 v[38:39], v[246:247], v[148:149]
	v_mul_f64 v[150:151], v[244:245], v[148:149]
	v_fma_f64 v[38:39], v[244:245], v[36:37], -v[38:39]
	v_fmac_f64_e32 v[150:151], v[246:247], v[36:37]
	v_add_f64 v[250:251], v[250:251], -v[38:39]
	v_add_f64 v[252:253], v[252:253], -v[150:151]
	s_waitcnt lgkmcnt(0)
	v_mul_f64 v[38:39], v[230:231], v[148:149]
	v_mul_f64 v[150:151], v[228:229], v[148:149]
	v_fma_f64 v[38:39], v[228:229], v[36:37], -v[38:39]
	v_fmac_f64_e32 v[150:151], v[230:231], v[36:37]
	v_add_f64 v[224:225], v[224:225], -v[38:39]
	v_add_f64 v[226:227], v[226:227], -v[150:151]
	v_mov_b64_e32 v[38:39], v[148:149]
.LBB112_986:
	s_or_b64 exec, exec, s[0:1]
	v_lshl_add_u32 v148, v241, 4, v240
	s_barrier
	ds_write2_b64 v148, v[32:33], v[34:35] offset1:1
	s_waitcnt lgkmcnt(0)
	s_barrier
	ds_read2_b64 v[228:231], v240 offset0:94 offset1:95
	s_cmp_lt_i32 s20, 49
	v_mov_b32_e32 v238, 47
	s_cbranch_scc1 .LBB112_989
; %bb.987:
	v_add_u32_e32 v239, 0x300, v240
	s_mov_b32 s0, 48
	v_mov_b32_e32 v238, 47
.LBB112_988:                            ; =>This Inner Loop Header: Depth=1
	ds_read2_b64 v[244:247], v239 offset1:1
	s_waitcnt lgkmcnt(1)
	v_cmp_gt_f64_e32 vcc, 0, v[228:229]
	v_xor_b32_e32 v148, 0x80000000, v229
	v_xor_b32_e32 v150, 0x80000000, v231
	v_cndmask_b32_e32 v149, v229, v148, vcc
	v_cmp_gt_f64_e32 vcc, 0, v[230:231]
	v_mov_b32_e32 v148, v228
	s_waitcnt lgkmcnt(0)
	v_xor_b32_e32 v156, 0x80000000, v247
	v_cndmask_b32_e32 v151, v231, v150, vcc
	v_mov_b32_e32 v150, v230
	v_add_f64 v[148:149], v[148:149], v[150:151]
	v_cmp_gt_f64_e32 vcc, 0, v[244:245]
	v_xor_b32_e32 v150, 0x80000000, v245
	v_add_u32_e32 v239, 16, v239
	v_cndmask_b32_e32 v151, v245, v150, vcc
	v_cmp_gt_f64_e32 vcc, 0, v[246:247]
	v_mov_b32_e32 v150, v244
	s_nop 0
	v_cndmask_b32_e32 v157, v247, v156, vcc
	v_mov_b32_e32 v156, v246
	v_add_f64 v[150:151], v[150:151], v[156:157]
	v_cmp_lt_f64_e32 vcc, v[148:149], v[150:151]
	v_mov_b32_e32 v148, s0
	s_add_i32 s0, s0, 1
	v_cndmask_b32_e32 v229, v229, v245, vcc
	v_cndmask_b32_e32 v228, v228, v244, vcc
	;; [unrolled: 1-line block ×5, first 2 shown]
	s_cmp_lg_u32 s20, s0
	s_cbranch_scc1 .LBB112_988
.LBB112_989:
	s_waitcnt lgkmcnt(0)
	v_cmp_eq_f64_e32 vcc, 0, v[228:229]
	v_cmp_eq_f64_e64 s[0:1], 0, v[230:231]
	s_and_b64 s[0:1], vcc, s[0:1]
	s_and_saveexec_b64 s[16:17], s[0:1]
	s_xor_b64 s[0:1], exec, s[16:17]
; %bb.990:
	v_cmp_ne_u32_e32 vcc, 0, v242
	s_nop 1
	v_cndmask_b32_e32 v242, 48, v242, vcc
; %bb.991:
	s_andn2_saveexec_b64 s[0:1], s[0:1]
	s_cbranch_execz .LBB112_997
; %bb.992:
	v_cmp_ngt_f64_e64 s[16:17], |v[228:229]|, |v[230:231]|
	s_and_saveexec_b64 s[18:19], s[16:17]
	s_xor_b64 s[16:17], exec, s[18:19]
	s_cbranch_execz .LBB112_994
; %bb.993:
	v_div_scale_f64 v[148:149], s[18:19], v[230:231], v[230:231], v[228:229]
	v_rcp_f64_e32 v[150:151], v[148:149]
	v_div_scale_f64 v[156:157], vcc, v[228:229], v[230:231], v[228:229]
	v_fma_f64 v[158:159], -v[148:149], v[150:151], 1.0
	v_fmac_f64_e32 v[150:151], v[150:151], v[158:159]
	v_fma_f64 v[158:159], -v[148:149], v[150:151], 1.0
	v_fmac_f64_e32 v[150:151], v[150:151], v[158:159]
	v_mul_f64 v[158:159], v[156:157], v[150:151]
	v_fma_f64 v[148:149], -v[148:149], v[158:159], v[156:157]
	v_div_fmas_f64 v[148:149], v[148:149], v[150:151], v[158:159]
	v_div_fixup_f64 v[148:149], v[148:149], v[230:231], v[228:229]
	v_fmac_f64_e32 v[230:231], v[228:229], v[148:149]
	v_div_scale_f64 v[150:151], s[18:19], v[230:231], v[230:231], 1.0
	v_rcp_f64_e32 v[156:157], v[150:151]
	s_nop 0
	v_fma_f64 v[158:159], -v[150:151], v[156:157], 1.0
	v_fmac_f64_e32 v[156:157], v[156:157], v[158:159]
	v_fma_f64 v[158:159], -v[150:151], v[156:157], 1.0
	v_fmac_f64_e32 v[156:157], v[156:157], v[158:159]
	v_div_scale_f64 v[158:159], vcc, 1.0, v[230:231], 1.0
	v_mul_f64 v[220:221], v[158:159], v[156:157]
	v_fma_f64 v[150:151], -v[150:151], v[220:221], v[158:159]
	s_nop 1
	v_div_fmas_f64 v[150:151], v[150:151], v[156:157], v[220:221]
	v_div_fixup_f64 v[230:231], v[150:151], v[230:231], 1.0
	v_mul_f64 v[228:229], v[148:149], v[230:231]
	v_xor_b32_e32 v231, 0x80000000, v231
.LBB112_994:
	s_andn2_saveexec_b64 s[16:17], s[16:17]
	s_cbranch_execz .LBB112_996
; %bb.995:
	v_div_scale_f64 v[148:149], s[18:19], v[228:229], v[228:229], v[230:231]
	v_rcp_f64_e32 v[150:151], v[148:149]
	v_div_scale_f64 v[156:157], vcc, v[230:231], v[228:229], v[230:231]
	v_fma_f64 v[158:159], -v[148:149], v[150:151], 1.0
	v_fmac_f64_e32 v[150:151], v[150:151], v[158:159]
	v_fma_f64 v[158:159], -v[148:149], v[150:151], 1.0
	v_fmac_f64_e32 v[150:151], v[150:151], v[158:159]
	v_mul_f64 v[158:159], v[156:157], v[150:151]
	v_fma_f64 v[148:149], -v[148:149], v[158:159], v[156:157]
	v_div_fmas_f64 v[148:149], v[148:149], v[150:151], v[158:159]
	v_div_fixup_f64 v[148:149], v[148:149], v[228:229], v[230:231]
	v_fmac_f64_e32 v[228:229], v[230:231], v[148:149]
	v_div_scale_f64 v[150:151], s[18:19], v[228:229], v[228:229], 1.0
	v_rcp_f64_e32 v[156:157], v[150:151]
	s_nop 0
	v_fma_f64 v[158:159], -v[150:151], v[156:157], 1.0
	v_fmac_f64_e32 v[156:157], v[156:157], v[158:159]
	v_fma_f64 v[158:159], -v[150:151], v[156:157], 1.0
	v_fmac_f64_e32 v[156:157], v[156:157], v[158:159]
	v_div_scale_f64 v[158:159], vcc, 1.0, v[228:229], 1.0
	v_mul_f64 v[220:221], v[158:159], v[156:157]
	v_fma_f64 v[150:151], -v[150:151], v[220:221], v[158:159]
	s_nop 1
	v_div_fmas_f64 v[150:151], v[150:151], v[156:157], v[220:221]
	v_div_fixup_f64 v[228:229], v[150:151], v[228:229], 1.0
	v_mul_f64 v[230:231], v[148:149], -v[228:229]
.LBB112_996:
	s_or_b64 exec, exec, s[16:17]
.LBB112_997:
	s_or_b64 exec, exec, s[0:1]
	v_cmp_ne_u32_e32 vcc, v241, v238
	s_and_saveexec_b64 s[0:1], vcc
	s_xor_b64 s[0:1], exec, s[0:1]
	s_cbranch_execz .LBB112_1003
; %bb.998:
	v_cmp_eq_u32_e32 vcc, 47, v241
	s_and_saveexec_b64 s[16:17], vcc
	s_cbranch_execz .LBB112_1002
; %bb.999:
	v_cmp_ne_u32_e32 vcc, 47, v238
	s_xor_b64 s[18:19], s[14:15], -1
	s_and_b64 s[22:23], s[18:19], vcc
	s_and_saveexec_b64 s[18:19], s[22:23]
	s_cbranch_execz .LBB112_1001
; %bb.1000:
	v_ashrrev_i32_e32 v239, 31, v238
	v_lshl_add_u64 v[148:149], v[238:239], 2, v[8:9]
	global_load_dword v150, v[148:149], off
	global_load_dword v151, v[8:9], off offset:188
	s_waitcnt vmcnt(1)
	global_store_dword v[8:9], v150, off offset:188
	s_waitcnt vmcnt(1)
	global_store_dword v[148:149], v151, off
.LBB112_1001:
	s_or_b64 exec, exec, s[18:19]
	v_mov_b32_e32 v241, v238
	v_mov_b32_e32 v236, v238
.LBB112_1002:
	s_or_b64 exec, exec, s[16:17]
.LBB112_1003:
	s_andn2_saveexec_b64 s[0:1], s[0:1]
	s_cbranch_execz .LBB112_1005
; %bb.1004:
	v_mov_b32_e32 v241, 47
	ds_write2_b64 v240, v[28:29], v[30:31] offset0:96 offset1:97
	ds_write2_b64 v240, v[24:25], v[26:27] offset0:98 offset1:99
	;; [unrolled: 1-line block ×9, first 2 shown]
.LBB112_1005:
	s_or_b64 exec, exec, s[0:1]
	v_cmp_lt_i32_e32 vcc, 47, v241
	s_waitcnt lgkmcnt(0)
	s_barrier
	s_and_saveexec_b64 s[0:1], vcc
	s_cbranch_execz .LBB112_1007
; %bb.1006:
	ds_read2_b64 v[244:247], v240 offset0:96 offset1:97
	v_mul_f64 v[148:149], v[228:229], v[34:35]
	v_mul_f64 v[34:35], v[230:231], v[34:35]
	v_fmac_f64_e32 v[148:149], v[230:231], v[32:33]
	v_fma_f64 v[32:33], v[228:229], v[32:33], -v[34:35]
	ds_read2_b64 v[228:231], v240 offset0:98 offset1:99
	s_waitcnt lgkmcnt(1)
	v_mul_f64 v[34:35], v[246:247], v[148:149]
	v_mul_f64 v[150:151], v[244:245], v[148:149]
	v_fma_f64 v[34:35], v[244:245], v[32:33], -v[34:35]
	v_fmac_f64_e32 v[150:151], v[246:247], v[32:33]
	ds_read2_b64 v[244:247], v240 offset0:100 offset1:101
	v_add_f64 v[28:29], v[28:29], -v[34:35]
	v_add_f64 v[30:31], v[30:31], -v[150:151]
	s_waitcnt lgkmcnt(1)
	v_mul_f64 v[34:35], v[230:231], v[148:149]
	v_mul_f64 v[150:151], v[228:229], v[148:149]
	v_fma_f64 v[34:35], v[228:229], v[32:33], -v[34:35]
	v_fmac_f64_e32 v[150:151], v[230:231], v[32:33]
	ds_read2_b64 v[228:231], v240 offset0:102 offset1:103
	v_add_f64 v[24:25], v[24:25], -v[34:35]
	v_add_f64 v[26:27], v[26:27], -v[150:151]
	;; [unrolled: 8-line block ×7, first 2 shown]
	s_waitcnt lgkmcnt(1)
	v_mul_f64 v[34:35], v[230:231], v[148:149]
	v_mul_f64 v[150:151], v[228:229], v[148:149]
	v_fma_f64 v[34:35], v[228:229], v[32:33], -v[34:35]
	v_fmac_f64_e32 v[150:151], v[230:231], v[32:33]
	v_add_f64 v[250:251], v[250:251], -v[34:35]
	v_add_f64 v[252:253], v[252:253], -v[150:151]
	s_waitcnt lgkmcnt(0)
	v_mul_f64 v[34:35], v[246:247], v[148:149]
	v_mul_f64 v[150:151], v[244:245], v[148:149]
	v_fma_f64 v[34:35], v[244:245], v[32:33], -v[34:35]
	v_fmac_f64_e32 v[150:151], v[246:247], v[32:33]
	v_add_f64 v[224:225], v[224:225], -v[34:35]
	v_add_f64 v[226:227], v[226:227], -v[150:151]
	v_mov_b64_e32 v[34:35], v[148:149]
.LBB112_1007:
	s_or_b64 exec, exec, s[0:1]
	v_lshl_add_u32 v148, v241, 4, v240
	s_barrier
	ds_write2_b64 v148, v[28:29], v[30:31] offset1:1
	s_waitcnt lgkmcnt(0)
	s_barrier
	ds_read2_b64 v[228:231], v240 offset0:96 offset1:97
	s_cmp_lt_i32 s20, 50
	v_mov_b32_e32 v238, 48
	s_cbranch_scc1 .LBB112_1010
; %bb.1008:
	v_add_u32_e32 v239, 0x310, v240
	s_mov_b32 s0, 49
	v_mov_b32_e32 v238, 48
.LBB112_1009:                           ; =>This Inner Loop Header: Depth=1
	ds_read2_b64 v[244:247], v239 offset1:1
	s_waitcnt lgkmcnt(1)
	v_cmp_gt_f64_e32 vcc, 0, v[228:229]
	v_xor_b32_e32 v148, 0x80000000, v229
	v_xor_b32_e32 v150, 0x80000000, v231
	v_cndmask_b32_e32 v149, v229, v148, vcc
	v_cmp_gt_f64_e32 vcc, 0, v[230:231]
	v_mov_b32_e32 v148, v228
	s_waitcnt lgkmcnt(0)
	v_xor_b32_e32 v156, 0x80000000, v247
	v_cndmask_b32_e32 v151, v231, v150, vcc
	v_mov_b32_e32 v150, v230
	v_add_f64 v[148:149], v[148:149], v[150:151]
	v_cmp_gt_f64_e32 vcc, 0, v[244:245]
	v_xor_b32_e32 v150, 0x80000000, v245
	v_add_u32_e32 v239, 16, v239
	v_cndmask_b32_e32 v151, v245, v150, vcc
	v_cmp_gt_f64_e32 vcc, 0, v[246:247]
	v_mov_b32_e32 v150, v244
	s_nop 0
	v_cndmask_b32_e32 v157, v247, v156, vcc
	v_mov_b32_e32 v156, v246
	v_add_f64 v[150:151], v[150:151], v[156:157]
	v_cmp_lt_f64_e32 vcc, v[148:149], v[150:151]
	v_mov_b32_e32 v148, s0
	s_add_i32 s0, s0, 1
	v_cndmask_b32_e32 v229, v229, v245, vcc
	v_cndmask_b32_e32 v228, v228, v244, vcc
	;; [unrolled: 1-line block ×5, first 2 shown]
	s_cmp_lg_u32 s20, s0
	s_cbranch_scc1 .LBB112_1009
.LBB112_1010:
	s_waitcnt lgkmcnt(0)
	v_cmp_eq_f64_e32 vcc, 0, v[228:229]
	v_cmp_eq_f64_e64 s[0:1], 0, v[230:231]
	s_and_b64 s[0:1], vcc, s[0:1]
	s_and_saveexec_b64 s[16:17], s[0:1]
	s_xor_b64 s[0:1], exec, s[16:17]
; %bb.1011:
	v_cmp_ne_u32_e32 vcc, 0, v242
	s_nop 1
	v_cndmask_b32_e32 v242, 49, v242, vcc
; %bb.1012:
	s_andn2_saveexec_b64 s[0:1], s[0:1]
	s_cbranch_execz .LBB112_1018
; %bb.1013:
	v_cmp_ngt_f64_e64 s[16:17], |v[228:229]|, |v[230:231]|
	s_and_saveexec_b64 s[18:19], s[16:17]
	s_xor_b64 s[16:17], exec, s[18:19]
	s_cbranch_execz .LBB112_1015
; %bb.1014:
	v_div_scale_f64 v[148:149], s[18:19], v[230:231], v[230:231], v[228:229]
	v_rcp_f64_e32 v[150:151], v[148:149]
	v_div_scale_f64 v[156:157], vcc, v[228:229], v[230:231], v[228:229]
	v_fma_f64 v[158:159], -v[148:149], v[150:151], 1.0
	v_fmac_f64_e32 v[150:151], v[150:151], v[158:159]
	v_fma_f64 v[158:159], -v[148:149], v[150:151], 1.0
	v_fmac_f64_e32 v[150:151], v[150:151], v[158:159]
	v_mul_f64 v[158:159], v[156:157], v[150:151]
	v_fma_f64 v[148:149], -v[148:149], v[158:159], v[156:157]
	v_div_fmas_f64 v[148:149], v[148:149], v[150:151], v[158:159]
	v_div_fixup_f64 v[148:149], v[148:149], v[230:231], v[228:229]
	v_fmac_f64_e32 v[230:231], v[228:229], v[148:149]
	v_div_scale_f64 v[150:151], s[18:19], v[230:231], v[230:231], 1.0
	v_rcp_f64_e32 v[156:157], v[150:151]
	s_nop 0
	v_fma_f64 v[158:159], -v[150:151], v[156:157], 1.0
	v_fmac_f64_e32 v[156:157], v[156:157], v[158:159]
	v_fma_f64 v[158:159], -v[150:151], v[156:157], 1.0
	v_fmac_f64_e32 v[156:157], v[156:157], v[158:159]
	v_div_scale_f64 v[158:159], vcc, 1.0, v[230:231], 1.0
	v_mul_f64 v[220:221], v[158:159], v[156:157]
	v_fma_f64 v[150:151], -v[150:151], v[220:221], v[158:159]
	s_nop 1
	v_div_fmas_f64 v[150:151], v[150:151], v[156:157], v[220:221]
	v_div_fixup_f64 v[230:231], v[150:151], v[230:231], 1.0
	v_mul_f64 v[228:229], v[148:149], v[230:231]
	v_xor_b32_e32 v231, 0x80000000, v231
.LBB112_1015:
	s_andn2_saveexec_b64 s[16:17], s[16:17]
	s_cbranch_execz .LBB112_1017
; %bb.1016:
	v_div_scale_f64 v[148:149], s[18:19], v[228:229], v[228:229], v[230:231]
	v_rcp_f64_e32 v[150:151], v[148:149]
	v_div_scale_f64 v[156:157], vcc, v[230:231], v[228:229], v[230:231]
	v_fma_f64 v[158:159], -v[148:149], v[150:151], 1.0
	v_fmac_f64_e32 v[150:151], v[150:151], v[158:159]
	v_fma_f64 v[158:159], -v[148:149], v[150:151], 1.0
	v_fmac_f64_e32 v[150:151], v[150:151], v[158:159]
	v_mul_f64 v[158:159], v[156:157], v[150:151]
	v_fma_f64 v[148:149], -v[148:149], v[158:159], v[156:157]
	v_div_fmas_f64 v[148:149], v[148:149], v[150:151], v[158:159]
	v_div_fixup_f64 v[148:149], v[148:149], v[228:229], v[230:231]
	v_fmac_f64_e32 v[228:229], v[230:231], v[148:149]
	v_div_scale_f64 v[150:151], s[18:19], v[228:229], v[228:229], 1.0
	v_rcp_f64_e32 v[156:157], v[150:151]
	s_nop 0
	v_fma_f64 v[158:159], -v[150:151], v[156:157], 1.0
	v_fmac_f64_e32 v[156:157], v[156:157], v[158:159]
	v_fma_f64 v[158:159], -v[150:151], v[156:157], 1.0
	v_fmac_f64_e32 v[156:157], v[156:157], v[158:159]
	v_div_scale_f64 v[158:159], vcc, 1.0, v[228:229], 1.0
	v_mul_f64 v[220:221], v[158:159], v[156:157]
	v_fma_f64 v[150:151], -v[150:151], v[220:221], v[158:159]
	s_nop 1
	v_div_fmas_f64 v[150:151], v[150:151], v[156:157], v[220:221]
	v_div_fixup_f64 v[228:229], v[150:151], v[228:229], 1.0
	v_mul_f64 v[230:231], v[148:149], -v[228:229]
.LBB112_1017:
	s_or_b64 exec, exec, s[16:17]
.LBB112_1018:
	s_or_b64 exec, exec, s[0:1]
	v_cmp_ne_u32_e32 vcc, v241, v238
	s_and_saveexec_b64 s[0:1], vcc
	s_xor_b64 s[0:1], exec, s[0:1]
	s_cbranch_execz .LBB112_1024
; %bb.1019:
	v_cmp_eq_u32_e32 vcc, 48, v241
	s_and_saveexec_b64 s[16:17], vcc
	s_cbranch_execz .LBB112_1023
; %bb.1020:
	v_cmp_ne_u32_e32 vcc, 48, v238
	s_xor_b64 s[18:19], s[14:15], -1
	s_and_b64 s[22:23], s[18:19], vcc
	s_and_saveexec_b64 s[18:19], s[22:23]
	s_cbranch_execz .LBB112_1022
; %bb.1021:
	v_ashrrev_i32_e32 v239, 31, v238
	v_lshl_add_u64 v[148:149], v[238:239], 2, v[8:9]
	global_load_dword v150, v[148:149], off
	global_load_dword v151, v[8:9], off offset:192
	s_waitcnt vmcnt(1)
	global_store_dword v[8:9], v150, off offset:192
	s_waitcnt vmcnt(1)
	global_store_dword v[148:149], v151, off
.LBB112_1022:
	s_or_b64 exec, exec, s[18:19]
	v_mov_b32_e32 v241, v238
	v_mov_b32_e32 v236, v238
.LBB112_1023:
	s_or_b64 exec, exec, s[16:17]
.LBB112_1024:
	s_andn2_saveexec_b64 s[0:1], s[0:1]
	s_cbranch_execz .LBB112_1026
; %bb.1025:
	v_mov_b32_e32 v241, 48
	ds_write2_b64 v240, v[24:25], v[26:27] offset0:98 offset1:99
	ds_write2_b64 v240, v[20:21], v[22:23] offset0:100 offset1:101
	;; [unrolled: 1-line block ×8, first 2 shown]
.LBB112_1026:
	s_or_b64 exec, exec, s[0:1]
	v_cmp_lt_i32_e32 vcc, 48, v241
	s_waitcnt lgkmcnt(0)
	s_barrier
	s_and_saveexec_b64 s[0:1], vcc
	s_cbranch_execz .LBB112_1028
; %bb.1027:
	ds_read2_b64 v[244:247], v240 offset0:98 offset1:99
	v_mul_f64 v[148:149], v[228:229], v[30:31]
	v_mul_f64 v[30:31], v[230:231], v[30:31]
	v_fmac_f64_e32 v[148:149], v[230:231], v[28:29]
	v_fma_f64 v[28:29], v[228:229], v[28:29], -v[30:31]
	ds_read2_b64 v[228:231], v240 offset0:100 offset1:101
	s_waitcnt lgkmcnt(1)
	v_mul_f64 v[30:31], v[246:247], v[148:149]
	v_mul_f64 v[150:151], v[244:245], v[148:149]
	v_fma_f64 v[30:31], v[244:245], v[28:29], -v[30:31]
	v_fmac_f64_e32 v[150:151], v[246:247], v[28:29]
	ds_read2_b64 v[244:247], v240 offset0:102 offset1:103
	v_add_f64 v[24:25], v[24:25], -v[30:31]
	v_add_f64 v[26:27], v[26:27], -v[150:151]
	s_waitcnt lgkmcnt(1)
	v_mul_f64 v[30:31], v[230:231], v[148:149]
	v_mul_f64 v[150:151], v[228:229], v[148:149]
	v_fma_f64 v[30:31], v[228:229], v[28:29], -v[30:31]
	v_fmac_f64_e32 v[150:151], v[230:231], v[28:29]
	ds_read2_b64 v[228:231], v240 offset0:104 offset1:105
	v_add_f64 v[20:21], v[20:21], -v[30:31]
	v_add_f64 v[22:23], v[22:23], -v[150:151]
	;; [unrolled: 8-line block ×6, first 2 shown]
	s_waitcnt lgkmcnt(1)
	v_mul_f64 v[30:31], v[246:247], v[148:149]
	v_mul_f64 v[150:151], v[244:245], v[148:149]
	v_fma_f64 v[30:31], v[244:245], v[28:29], -v[30:31]
	v_fmac_f64_e32 v[150:151], v[246:247], v[28:29]
	v_add_f64 v[250:251], v[250:251], -v[30:31]
	v_add_f64 v[252:253], v[252:253], -v[150:151]
	s_waitcnt lgkmcnt(0)
	v_mul_f64 v[30:31], v[230:231], v[148:149]
	v_mul_f64 v[150:151], v[228:229], v[148:149]
	v_fma_f64 v[30:31], v[228:229], v[28:29], -v[30:31]
	v_fmac_f64_e32 v[150:151], v[230:231], v[28:29]
	v_add_f64 v[224:225], v[224:225], -v[30:31]
	v_add_f64 v[226:227], v[226:227], -v[150:151]
	v_mov_b64_e32 v[30:31], v[148:149]
.LBB112_1028:
	s_or_b64 exec, exec, s[0:1]
	v_lshl_add_u32 v148, v241, 4, v240
	s_barrier
	ds_write2_b64 v148, v[24:25], v[26:27] offset1:1
	s_waitcnt lgkmcnt(0)
	s_barrier
	ds_read2_b64 v[228:231], v240 offset0:98 offset1:99
	s_cmp_lt_i32 s20, 51
	v_mov_b32_e32 v238, 49
	s_cbranch_scc1 .LBB112_1031
; %bb.1029:
	v_add_u32_e32 v239, 0x320, v240
	s_mov_b32 s0, 50
	v_mov_b32_e32 v238, 49
.LBB112_1030:                           ; =>This Inner Loop Header: Depth=1
	ds_read2_b64 v[244:247], v239 offset1:1
	s_waitcnt lgkmcnt(1)
	v_cmp_gt_f64_e32 vcc, 0, v[228:229]
	v_xor_b32_e32 v148, 0x80000000, v229
	v_xor_b32_e32 v150, 0x80000000, v231
	v_cndmask_b32_e32 v149, v229, v148, vcc
	v_cmp_gt_f64_e32 vcc, 0, v[230:231]
	v_mov_b32_e32 v148, v228
	s_waitcnt lgkmcnt(0)
	v_xor_b32_e32 v156, 0x80000000, v247
	v_cndmask_b32_e32 v151, v231, v150, vcc
	v_mov_b32_e32 v150, v230
	v_add_f64 v[148:149], v[148:149], v[150:151]
	v_cmp_gt_f64_e32 vcc, 0, v[244:245]
	v_xor_b32_e32 v150, 0x80000000, v245
	v_add_u32_e32 v239, 16, v239
	v_cndmask_b32_e32 v151, v245, v150, vcc
	v_cmp_gt_f64_e32 vcc, 0, v[246:247]
	v_mov_b32_e32 v150, v244
	s_nop 0
	v_cndmask_b32_e32 v157, v247, v156, vcc
	v_mov_b32_e32 v156, v246
	v_add_f64 v[150:151], v[150:151], v[156:157]
	v_cmp_lt_f64_e32 vcc, v[148:149], v[150:151]
	v_mov_b32_e32 v148, s0
	s_add_i32 s0, s0, 1
	v_cndmask_b32_e32 v229, v229, v245, vcc
	v_cndmask_b32_e32 v228, v228, v244, vcc
	v_cndmask_b32_e32 v231, v231, v247, vcc
	v_cndmask_b32_e32 v230, v230, v246, vcc
	v_cndmask_b32_e32 v238, v238, v148, vcc
	s_cmp_lg_u32 s20, s0
	s_cbranch_scc1 .LBB112_1030
.LBB112_1031:
	s_waitcnt lgkmcnt(0)
	v_cmp_eq_f64_e32 vcc, 0, v[228:229]
	v_cmp_eq_f64_e64 s[0:1], 0, v[230:231]
	s_and_b64 s[0:1], vcc, s[0:1]
	s_and_saveexec_b64 s[16:17], s[0:1]
	s_xor_b64 s[0:1], exec, s[16:17]
; %bb.1032:
	v_cmp_ne_u32_e32 vcc, 0, v242
	s_nop 1
	v_cndmask_b32_e32 v242, 50, v242, vcc
; %bb.1033:
	s_andn2_saveexec_b64 s[0:1], s[0:1]
	s_cbranch_execz .LBB112_1039
; %bb.1034:
	v_cmp_ngt_f64_e64 s[16:17], |v[228:229]|, |v[230:231]|
	s_and_saveexec_b64 s[18:19], s[16:17]
	s_xor_b64 s[16:17], exec, s[18:19]
	s_cbranch_execz .LBB112_1036
; %bb.1035:
	v_div_scale_f64 v[148:149], s[18:19], v[230:231], v[230:231], v[228:229]
	v_rcp_f64_e32 v[150:151], v[148:149]
	v_div_scale_f64 v[156:157], vcc, v[228:229], v[230:231], v[228:229]
	v_fma_f64 v[158:159], -v[148:149], v[150:151], 1.0
	v_fmac_f64_e32 v[150:151], v[150:151], v[158:159]
	v_fma_f64 v[158:159], -v[148:149], v[150:151], 1.0
	v_fmac_f64_e32 v[150:151], v[150:151], v[158:159]
	v_mul_f64 v[158:159], v[156:157], v[150:151]
	v_fma_f64 v[148:149], -v[148:149], v[158:159], v[156:157]
	v_div_fmas_f64 v[148:149], v[148:149], v[150:151], v[158:159]
	v_div_fixup_f64 v[148:149], v[148:149], v[230:231], v[228:229]
	v_fmac_f64_e32 v[230:231], v[228:229], v[148:149]
	v_div_scale_f64 v[150:151], s[18:19], v[230:231], v[230:231], 1.0
	v_rcp_f64_e32 v[156:157], v[150:151]
	s_nop 0
	v_fma_f64 v[158:159], -v[150:151], v[156:157], 1.0
	v_fmac_f64_e32 v[156:157], v[156:157], v[158:159]
	v_fma_f64 v[158:159], -v[150:151], v[156:157], 1.0
	v_fmac_f64_e32 v[156:157], v[156:157], v[158:159]
	v_div_scale_f64 v[158:159], vcc, 1.0, v[230:231], 1.0
	v_mul_f64 v[220:221], v[158:159], v[156:157]
	v_fma_f64 v[150:151], -v[150:151], v[220:221], v[158:159]
	s_nop 1
	v_div_fmas_f64 v[150:151], v[150:151], v[156:157], v[220:221]
	v_div_fixup_f64 v[230:231], v[150:151], v[230:231], 1.0
	v_mul_f64 v[228:229], v[148:149], v[230:231]
	v_xor_b32_e32 v231, 0x80000000, v231
.LBB112_1036:
	s_andn2_saveexec_b64 s[16:17], s[16:17]
	s_cbranch_execz .LBB112_1038
; %bb.1037:
	v_div_scale_f64 v[148:149], s[18:19], v[228:229], v[228:229], v[230:231]
	v_rcp_f64_e32 v[150:151], v[148:149]
	v_div_scale_f64 v[156:157], vcc, v[230:231], v[228:229], v[230:231]
	v_fma_f64 v[158:159], -v[148:149], v[150:151], 1.0
	v_fmac_f64_e32 v[150:151], v[150:151], v[158:159]
	v_fma_f64 v[158:159], -v[148:149], v[150:151], 1.0
	v_fmac_f64_e32 v[150:151], v[150:151], v[158:159]
	v_mul_f64 v[158:159], v[156:157], v[150:151]
	v_fma_f64 v[148:149], -v[148:149], v[158:159], v[156:157]
	v_div_fmas_f64 v[148:149], v[148:149], v[150:151], v[158:159]
	v_div_fixup_f64 v[148:149], v[148:149], v[228:229], v[230:231]
	v_fmac_f64_e32 v[228:229], v[230:231], v[148:149]
	v_div_scale_f64 v[150:151], s[18:19], v[228:229], v[228:229], 1.0
	v_rcp_f64_e32 v[156:157], v[150:151]
	s_nop 0
	v_fma_f64 v[158:159], -v[150:151], v[156:157], 1.0
	v_fmac_f64_e32 v[156:157], v[156:157], v[158:159]
	v_fma_f64 v[158:159], -v[150:151], v[156:157], 1.0
	v_fmac_f64_e32 v[156:157], v[156:157], v[158:159]
	v_div_scale_f64 v[158:159], vcc, 1.0, v[228:229], 1.0
	v_mul_f64 v[220:221], v[158:159], v[156:157]
	v_fma_f64 v[150:151], -v[150:151], v[220:221], v[158:159]
	s_nop 1
	v_div_fmas_f64 v[150:151], v[150:151], v[156:157], v[220:221]
	v_div_fixup_f64 v[228:229], v[150:151], v[228:229], 1.0
	v_mul_f64 v[230:231], v[148:149], -v[228:229]
.LBB112_1038:
	s_or_b64 exec, exec, s[16:17]
.LBB112_1039:
	s_or_b64 exec, exec, s[0:1]
	v_cmp_ne_u32_e32 vcc, v241, v238
	s_and_saveexec_b64 s[0:1], vcc
	s_xor_b64 s[0:1], exec, s[0:1]
	s_cbranch_execz .LBB112_1045
; %bb.1040:
	v_cmp_eq_u32_e32 vcc, 49, v241
	s_and_saveexec_b64 s[16:17], vcc
	s_cbranch_execz .LBB112_1044
; %bb.1041:
	v_cmp_ne_u32_e32 vcc, 49, v238
	s_xor_b64 s[18:19], s[14:15], -1
	s_and_b64 s[22:23], s[18:19], vcc
	s_and_saveexec_b64 s[18:19], s[22:23]
	s_cbranch_execz .LBB112_1043
; %bb.1042:
	v_ashrrev_i32_e32 v239, 31, v238
	v_lshl_add_u64 v[148:149], v[238:239], 2, v[8:9]
	global_load_dword v150, v[148:149], off
	global_load_dword v151, v[8:9], off offset:196
	s_waitcnt vmcnt(1)
	global_store_dword v[8:9], v150, off offset:196
	s_waitcnt vmcnt(1)
	global_store_dword v[148:149], v151, off
.LBB112_1043:
	s_or_b64 exec, exec, s[18:19]
	v_mov_b32_e32 v241, v238
	v_mov_b32_e32 v236, v238
.LBB112_1044:
	s_or_b64 exec, exec, s[16:17]
.LBB112_1045:
	s_andn2_saveexec_b64 s[0:1], s[0:1]
	s_cbranch_execz .LBB112_1047
; %bb.1046:
	v_mov_b32_e32 v241, 49
	ds_write2_b64 v240, v[20:21], v[22:23] offset0:100 offset1:101
	ds_write2_b64 v240, v[16:17], v[18:19] offset0:102 offset1:103
	;; [unrolled: 1-line block ×7, first 2 shown]
.LBB112_1047:
	s_or_b64 exec, exec, s[0:1]
	v_cmp_lt_i32_e32 vcc, 49, v241
	s_waitcnt lgkmcnt(0)
	s_barrier
	s_and_saveexec_b64 s[0:1], vcc
	s_cbranch_execz .LBB112_1049
; %bb.1048:
	ds_read2_b64 v[244:247], v240 offset0:100 offset1:101
	v_mul_f64 v[148:149], v[228:229], v[26:27]
	v_mul_f64 v[26:27], v[230:231], v[26:27]
	v_fmac_f64_e32 v[148:149], v[230:231], v[24:25]
	v_fma_f64 v[24:25], v[228:229], v[24:25], -v[26:27]
	ds_read2_b64 v[228:231], v240 offset0:102 offset1:103
	s_waitcnt lgkmcnt(1)
	v_mul_f64 v[26:27], v[246:247], v[148:149]
	v_mul_f64 v[150:151], v[244:245], v[148:149]
	v_fma_f64 v[26:27], v[244:245], v[24:25], -v[26:27]
	v_fmac_f64_e32 v[150:151], v[246:247], v[24:25]
	ds_read2_b64 v[244:247], v240 offset0:104 offset1:105
	v_add_f64 v[20:21], v[20:21], -v[26:27]
	v_add_f64 v[22:23], v[22:23], -v[150:151]
	s_waitcnt lgkmcnt(1)
	v_mul_f64 v[26:27], v[230:231], v[148:149]
	v_mul_f64 v[150:151], v[228:229], v[148:149]
	v_fma_f64 v[26:27], v[228:229], v[24:25], -v[26:27]
	v_fmac_f64_e32 v[150:151], v[230:231], v[24:25]
	ds_read2_b64 v[228:231], v240 offset0:106 offset1:107
	v_add_f64 v[16:17], v[16:17], -v[26:27]
	v_add_f64 v[18:19], v[18:19], -v[150:151]
	;; [unrolled: 8-line block ×5, first 2 shown]
	s_waitcnt lgkmcnt(1)
	v_mul_f64 v[26:27], v[230:231], v[148:149]
	v_mul_f64 v[150:151], v[228:229], v[148:149]
	v_fma_f64 v[26:27], v[228:229], v[24:25], -v[26:27]
	v_fmac_f64_e32 v[150:151], v[230:231], v[24:25]
	v_add_f64 v[250:251], v[250:251], -v[26:27]
	v_add_f64 v[252:253], v[252:253], -v[150:151]
	s_waitcnt lgkmcnt(0)
	v_mul_f64 v[26:27], v[246:247], v[148:149]
	v_mul_f64 v[150:151], v[244:245], v[148:149]
	v_fma_f64 v[26:27], v[244:245], v[24:25], -v[26:27]
	v_fmac_f64_e32 v[150:151], v[246:247], v[24:25]
	v_add_f64 v[224:225], v[224:225], -v[26:27]
	v_add_f64 v[226:227], v[226:227], -v[150:151]
	v_mov_b64_e32 v[26:27], v[148:149]
.LBB112_1049:
	s_or_b64 exec, exec, s[0:1]
	v_lshl_add_u32 v148, v241, 4, v240
	s_barrier
	ds_write2_b64 v148, v[20:21], v[22:23] offset1:1
	s_waitcnt lgkmcnt(0)
	s_barrier
	ds_read2_b64 v[228:231], v240 offset0:100 offset1:101
	s_cmp_lt_i32 s20, 52
	v_mov_b32_e32 v238, 50
	s_cbranch_scc1 .LBB112_1052
; %bb.1050:
	v_add_u32_e32 v239, 0x330, v240
	s_mov_b32 s0, 51
	v_mov_b32_e32 v238, 50
.LBB112_1051:                           ; =>This Inner Loop Header: Depth=1
	ds_read2_b64 v[244:247], v239 offset1:1
	s_waitcnt lgkmcnt(1)
	v_cmp_gt_f64_e32 vcc, 0, v[228:229]
	v_xor_b32_e32 v148, 0x80000000, v229
	v_xor_b32_e32 v150, 0x80000000, v231
	v_cndmask_b32_e32 v149, v229, v148, vcc
	v_cmp_gt_f64_e32 vcc, 0, v[230:231]
	v_mov_b32_e32 v148, v228
	s_waitcnt lgkmcnt(0)
	v_xor_b32_e32 v156, 0x80000000, v247
	v_cndmask_b32_e32 v151, v231, v150, vcc
	v_mov_b32_e32 v150, v230
	v_add_f64 v[148:149], v[148:149], v[150:151]
	v_cmp_gt_f64_e32 vcc, 0, v[244:245]
	v_xor_b32_e32 v150, 0x80000000, v245
	v_add_u32_e32 v239, 16, v239
	v_cndmask_b32_e32 v151, v245, v150, vcc
	v_cmp_gt_f64_e32 vcc, 0, v[246:247]
	v_mov_b32_e32 v150, v244
	s_nop 0
	v_cndmask_b32_e32 v157, v247, v156, vcc
	v_mov_b32_e32 v156, v246
	v_add_f64 v[150:151], v[150:151], v[156:157]
	v_cmp_lt_f64_e32 vcc, v[148:149], v[150:151]
	v_mov_b32_e32 v148, s0
	s_add_i32 s0, s0, 1
	v_cndmask_b32_e32 v229, v229, v245, vcc
	v_cndmask_b32_e32 v228, v228, v244, vcc
	;; [unrolled: 1-line block ×5, first 2 shown]
	s_cmp_lg_u32 s20, s0
	s_cbranch_scc1 .LBB112_1051
.LBB112_1052:
	s_waitcnt lgkmcnt(0)
	v_cmp_eq_f64_e32 vcc, 0, v[228:229]
	v_cmp_eq_f64_e64 s[0:1], 0, v[230:231]
	s_and_b64 s[0:1], vcc, s[0:1]
	s_and_saveexec_b64 s[16:17], s[0:1]
	s_xor_b64 s[0:1], exec, s[16:17]
; %bb.1053:
	v_cmp_ne_u32_e32 vcc, 0, v242
	s_nop 1
	v_cndmask_b32_e32 v242, 51, v242, vcc
; %bb.1054:
	s_andn2_saveexec_b64 s[0:1], s[0:1]
	s_cbranch_execz .LBB112_1060
; %bb.1055:
	v_cmp_ngt_f64_e64 s[16:17], |v[228:229]|, |v[230:231]|
	s_and_saveexec_b64 s[18:19], s[16:17]
	s_xor_b64 s[16:17], exec, s[18:19]
	s_cbranch_execz .LBB112_1057
; %bb.1056:
	v_div_scale_f64 v[148:149], s[18:19], v[230:231], v[230:231], v[228:229]
	v_rcp_f64_e32 v[150:151], v[148:149]
	v_div_scale_f64 v[156:157], vcc, v[228:229], v[230:231], v[228:229]
	v_fma_f64 v[158:159], -v[148:149], v[150:151], 1.0
	v_fmac_f64_e32 v[150:151], v[150:151], v[158:159]
	v_fma_f64 v[158:159], -v[148:149], v[150:151], 1.0
	v_fmac_f64_e32 v[150:151], v[150:151], v[158:159]
	v_mul_f64 v[158:159], v[156:157], v[150:151]
	v_fma_f64 v[148:149], -v[148:149], v[158:159], v[156:157]
	v_div_fmas_f64 v[148:149], v[148:149], v[150:151], v[158:159]
	v_div_fixup_f64 v[148:149], v[148:149], v[230:231], v[228:229]
	v_fmac_f64_e32 v[230:231], v[228:229], v[148:149]
	v_div_scale_f64 v[150:151], s[18:19], v[230:231], v[230:231], 1.0
	v_rcp_f64_e32 v[156:157], v[150:151]
	s_nop 0
	v_fma_f64 v[158:159], -v[150:151], v[156:157], 1.0
	v_fmac_f64_e32 v[156:157], v[156:157], v[158:159]
	v_fma_f64 v[158:159], -v[150:151], v[156:157], 1.0
	v_fmac_f64_e32 v[156:157], v[156:157], v[158:159]
	v_div_scale_f64 v[158:159], vcc, 1.0, v[230:231], 1.0
	v_mul_f64 v[220:221], v[158:159], v[156:157]
	v_fma_f64 v[150:151], -v[150:151], v[220:221], v[158:159]
	s_nop 1
	v_div_fmas_f64 v[150:151], v[150:151], v[156:157], v[220:221]
	v_div_fixup_f64 v[230:231], v[150:151], v[230:231], 1.0
	v_mul_f64 v[228:229], v[148:149], v[230:231]
	v_xor_b32_e32 v231, 0x80000000, v231
.LBB112_1057:
	s_andn2_saveexec_b64 s[16:17], s[16:17]
	s_cbranch_execz .LBB112_1059
; %bb.1058:
	v_div_scale_f64 v[148:149], s[18:19], v[228:229], v[228:229], v[230:231]
	v_rcp_f64_e32 v[150:151], v[148:149]
	v_div_scale_f64 v[156:157], vcc, v[230:231], v[228:229], v[230:231]
	v_fma_f64 v[158:159], -v[148:149], v[150:151], 1.0
	v_fmac_f64_e32 v[150:151], v[150:151], v[158:159]
	v_fma_f64 v[158:159], -v[148:149], v[150:151], 1.0
	v_fmac_f64_e32 v[150:151], v[150:151], v[158:159]
	v_mul_f64 v[158:159], v[156:157], v[150:151]
	v_fma_f64 v[148:149], -v[148:149], v[158:159], v[156:157]
	v_div_fmas_f64 v[148:149], v[148:149], v[150:151], v[158:159]
	v_div_fixup_f64 v[148:149], v[148:149], v[228:229], v[230:231]
	v_fmac_f64_e32 v[228:229], v[230:231], v[148:149]
	v_div_scale_f64 v[150:151], s[18:19], v[228:229], v[228:229], 1.0
	v_rcp_f64_e32 v[156:157], v[150:151]
	s_nop 0
	v_fma_f64 v[158:159], -v[150:151], v[156:157], 1.0
	v_fmac_f64_e32 v[156:157], v[156:157], v[158:159]
	v_fma_f64 v[158:159], -v[150:151], v[156:157], 1.0
	v_fmac_f64_e32 v[156:157], v[156:157], v[158:159]
	v_div_scale_f64 v[158:159], vcc, 1.0, v[228:229], 1.0
	v_mul_f64 v[220:221], v[158:159], v[156:157]
	v_fma_f64 v[150:151], -v[150:151], v[220:221], v[158:159]
	s_nop 1
	v_div_fmas_f64 v[150:151], v[150:151], v[156:157], v[220:221]
	v_div_fixup_f64 v[228:229], v[150:151], v[228:229], 1.0
	v_mul_f64 v[230:231], v[148:149], -v[228:229]
.LBB112_1059:
	s_or_b64 exec, exec, s[16:17]
.LBB112_1060:
	s_or_b64 exec, exec, s[0:1]
	v_cmp_ne_u32_e32 vcc, v241, v238
	s_and_saveexec_b64 s[0:1], vcc
	s_xor_b64 s[0:1], exec, s[0:1]
	s_cbranch_execz .LBB112_1066
; %bb.1061:
	v_cmp_eq_u32_e32 vcc, 50, v241
	s_and_saveexec_b64 s[16:17], vcc
	s_cbranch_execz .LBB112_1065
; %bb.1062:
	v_cmp_ne_u32_e32 vcc, 50, v238
	s_xor_b64 s[18:19], s[14:15], -1
	s_and_b64 s[22:23], s[18:19], vcc
	s_and_saveexec_b64 s[18:19], s[22:23]
	s_cbranch_execz .LBB112_1064
; %bb.1063:
	v_ashrrev_i32_e32 v239, 31, v238
	v_lshl_add_u64 v[148:149], v[238:239], 2, v[8:9]
	global_load_dword v150, v[148:149], off
	global_load_dword v151, v[8:9], off offset:200
	s_waitcnt vmcnt(1)
	global_store_dword v[8:9], v150, off offset:200
	s_waitcnt vmcnt(1)
	global_store_dword v[148:149], v151, off
.LBB112_1064:
	s_or_b64 exec, exec, s[18:19]
	v_mov_b32_e32 v241, v238
	v_mov_b32_e32 v236, v238
.LBB112_1065:
	s_or_b64 exec, exec, s[16:17]
.LBB112_1066:
	s_andn2_saveexec_b64 s[0:1], s[0:1]
	s_cbranch_execz .LBB112_1068
; %bb.1067:
	v_mov_b32_e32 v241, 50
	ds_write2_b64 v240, v[16:17], v[18:19] offset0:102 offset1:103
	ds_write2_b64 v240, v[12:13], v[14:15] offset0:104 offset1:105
	;; [unrolled: 1-line block ×6, first 2 shown]
.LBB112_1068:
	s_or_b64 exec, exec, s[0:1]
	v_cmp_lt_i32_e32 vcc, 50, v241
	s_waitcnt lgkmcnt(0)
	s_barrier
	s_and_saveexec_b64 s[0:1], vcc
	s_cbranch_execz .LBB112_1070
; %bb.1069:
	ds_read2_b64 v[244:247], v240 offset0:102 offset1:103
	v_mul_f64 v[148:149], v[228:229], v[22:23]
	v_mul_f64 v[22:23], v[230:231], v[22:23]
	v_fmac_f64_e32 v[148:149], v[230:231], v[20:21]
	v_fma_f64 v[20:21], v[228:229], v[20:21], -v[22:23]
	ds_read2_b64 v[228:231], v240 offset0:104 offset1:105
	s_waitcnt lgkmcnt(1)
	v_mul_f64 v[22:23], v[246:247], v[148:149]
	v_mul_f64 v[150:151], v[244:245], v[148:149]
	v_fma_f64 v[22:23], v[244:245], v[20:21], -v[22:23]
	v_fmac_f64_e32 v[150:151], v[246:247], v[20:21]
	ds_read2_b64 v[244:247], v240 offset0:106 offset1:107
	v_add_f64 v[16:17], v[16:17], -v[22:23]
	v_add_f64 v[18:19], v[18:19], -v[150:151]
	s_waitcnt lgkmcnt(1)
	v_mul_f64 v[22:23], v[230:231], v[148:149]
	v_mul_f64 v[150:151], v[228:229], v[148:149]
	v_fma_f64 v[22:23], v[228:229], v[20:21], -v[22:23]
	v_fmac_f64_e32 v[150:151], v[230:231], v[20:21]
	ds_read2_b64 v[228:231], v240 offset0:108 offset1:109
	v_add_f64 v[12:13], v[12:13], -v[22:23]
	v_add_f64 v[14:15], v[14:15], -v[150:151]
	;; [unrolled: 8-line block ×4, first 2 shown]
	s_waitcnt lgkmcnt(1)
	v_mul_f64 v[22:23], v[246:247], v[148:149]
	v_mul_f64 v[150:151], v[244:245], v[148:149]
	v_fma_f64 v[22:23], v[244:245], v[20:21], -v[22:23]
	v_fmac_f64_e32 v[150:151], v[246:247], v[20:21]
	v_add_f64 v[250:251], v[250:251], -v[22:23]
	v_add_f64 v[252:253], v[252:253], -v[150:151]
	s_waitcnt lgkmcnt(0)
	v_mul_f64 v[22:23], v[230:231], v[148:149]
	v_mul_f64 v[150:151], v[228:229], v[148:149]
	v_fma_f64 v[22:23], v[228:229], v[20:21], -v[22:23]
	v_fmac_f64_e32 v[150:151], v[230:231], v[20:21]
	v_add_f64 v[224:225], v[224:225], -v[22:23]
	v_add_f64 v[226:227], v[226:227], -v[150:151]
	v_mov_b64_e32 v[22:23], v[148:149]
.LBB112_1070:
	s_or_b64 exec, exec, s[0:1]
	v_lshl_add_u32 v148, v241, 4, v240
	s_barrier
	ds_write2_b64 v148, v[16:17], v[18:19] offset1:1
	s_waitcnt lgkmcnt(0)
	s_barrier
	ds_read2_b64 v[228:231], v240 offset0:102 offset1:103
	s_cmp_lt_i32 s20, 53
	v_mov_b32_e32 v238, 51
	s_cbranch_scc1 .LBB112_1073
; %bb.1071:
	v_add_u32_e32 v239, 0x340, v240
	s_mov_b32 s0, 52
	v_mov_b32_e32 v238, 51
.LBB112_1072:                           ; =>This Inner Loop Header: Depth=1
	ds_read2_b64 v[244:247], v239 offset1:1
	s_waitcnt lgkmcnt(1)
	v_cmp_gt_f64_e32 vcc, 0, v[228:229]
	v_xor_b32_e32 v148, 0x80000000, v229
	v_xor_b32_e32 v150, 0x80000000, v231
	v_cndmask_b32_e32 v149, v229, v148, vcc
	v_cmp_gt_f64_e32 vcc, 0, v[230:231]
	v_mov_b32_e32 v148, v228
	s_waitcnt lgkmcnt(0)
	v_xor_b32_e32 v156, 0x80000000, v247
	v_cndmask_b32_e32 v151, v231, v150, vcc
	v_mov_b32_e32 v150, v230
	v_add_f64 v[148:149], v[148:149], v[150:151]
	v_cmp_gt_f64_e32 vcc, 0, v[244:245]
	v_xor_b32_e32 v150, 0x80000000, v245
	v_add_u32_e32 v239, 16, v239
	v_cndmask_b32_e32 v151, v245, v150, vcc
	v_cmp_gt_f64_e32 vcc, 0, v[246:247]
	v_mov_b32_e32 v150, v244
	s_nop 0
	v_cndmask_b32_e32 v157, v247, v156, vcc
	v_mov_b32_e32 v156, v246
	v_add_f64 v[150:151], v[150:151], v[156:157]
	v_cmp_lt_f64_e32 vcc, v[148:149], v[150:151]
	v_mov_b32_e32 v148, s0
	s_add_i32 s0, s0, 1
	v_cndmask_b32_e32 v229, v229, v245, vcc
	v_cndmask_b32_e32 v228, v228, v244, vcc
	v_cndmask_b32_e32 v231, v231, v247, vcc
	v_cndmask_b32_e32 v230, v230, v246, vcc
	v_cndmask_b32_e32 v238, v238, v148, vcc
	s_cmp_lg_u32 s20, s0
	s_cbranch_scc1 .LBB112_1072
.LBB112_1073:
	s_waitcnt lgkmcnt(0)
	v_cmp_eq_f64_e32 vcc, 0, v[228:229]
	v_cmp_eq_f64_e64 s[0:1], 0, v[230:231]
	s_and_b64 s[0:1], vcc, s[0:1]
	s_and_saveexec_b64 s[16:17], s[0:1]
	s_xor_b64 s[0:1], exec, s[16:17]
; %bb.1074:
	v_cmp_ne_u32_e32 vcc, 0, v242
	s_nop 1
	v_cndmask_b32_e32 v242, 52, v242, vcc
; %bb.1075:
	s_andn2_saveexec_b64 s[0:1], s[0:1]
	s_cbranch_execz .LBB112_1081
; %bb.1076:
	v_cmp_ngt_f64_e64 s[16:17], |v[228:229]|, |v[230:231]|
	s_and_saveexec_b64 s[18:19], s[16:17]
	s_xor_b64 s[16:17], exec, s[18:19]
	s_cbranch_execz .LBB112_1078
; %bb.1077:
	v_div_scale_f64 v[148:149], s[18:19], v[230:231], v[230:231], v[228:229]
	v_rcp_f64_e32 v[150:151], v[148:149]
	v_div_scale_f64 v[156:157], vcc, v[228:229], v[230:231], v[228:229]
	v_fma_f64 v[158:159], -v[148:149], v[150:151], 1.0
	v_fmac_f64_e32 v[150:151], v[150:151], v[158:159]
	v_fma_f64 v[158:159], -v[148:149], v[150:151], 1.0
	v_fmac_f64_e32 v[150:151], v[150:151], v[158:159]
	v_mul_f64 v[158:159], v[156:157], v[150:151]
	v_fma_f64 v[148:149], -v[148:149], v[158:159], v[156:157]
	v_div_fmas_f64 v[148:149], v[148:149], v[150:151], v[158:159]
	v_div_fixup_f64 v[148:149], v[148:149], v[230:231], v[228:229]
	v_fmac_f64_e32 v[230:231], v[228:229], v[148:149]
	v_div_scale_f64 v[150:151], s[18:19], v[230:231], v[230:231], 1.0
	v_rcp_f64_e32 v[156:157], v[150:151]
	s_nop 0
	v_fma_f64 v[158:159], -v[150:151], v[156:157], 1.0
	v_fmac_f64_e32 v[156:157], v[156:157], v[158:159]
	v_fma_f64 v[158:159], -v[150:151], v[156:157], 1.0
	v_fmac_f64_e32 v[156:157], v[156:157], v[158:159]
	v_div_scale_f64 v[158:159], vcc, 1.0, v[230:231], 1.0
	v_mul_f64 v[220:221], v[158:159], v[156:157]
	v_fma_f64 v[150:151], -v[150:151], v[220:221], v[158:159]
	s_nop 1
	v_div_fmas_f64 v[150:151], v[150:151], v[156:157], v[220:221]
	v_div_fixup_f64 v[230:231], v[150:151], v[230:231], 1.0
	v_mul_f64 v[228:229], v[148:149], v[230:231]
	v_xor_b32_e32 v231, 0x80000000, v231
.LBB112_1078:
	s_andn2_saveexec_b64 s[16:17], s[16:17]
	s_cbranch_execz .LBB112_1080
; %bb.1079:
	v_div_scale_f64 v[148:149], s[18:19], v[228:229], v[228:229], v[230:231]
	v_rcp_f64_e32 v[150:151], v[148:149]
	v_div_scale_f64 v[156:157], vcc, v[230:231], v[228:229], v[230:231]
	v_fma_f64 v[158:159], -v[148:149], v[150:151], 1.0
	v_fmac_f64_e32 v[150:151], v[150:151], v[158:159]
	v_fma_f64 v[158:159], -v[148:149], v[150:151], 1.0
	v_fmac_f64_e32 v[150:151], v[150:151], v[158:159]
	v_mul_f64 v[158:159], v[156:157], v[150:151]
	v_fma_f64 v[148:149], -v[148:149], v[158:159], v[156:157]
	v_div_fmas_f64 v[148:149], v[148:149], v[150:151], v[158:159]
	v_div_fixup_f64 v[148:149], v[148:149], v[228:229], v[230:231]
	v_fmac_f64_e32 v[228:229], v[230:231], v[148:149]
	v_div_scale_f64 v[150:151], s[18:19], v[228:229], v[228:229], 1.0
	v_rcp_f64_e32 v[156:157], v[150:151]
	s_nop 0
	v_fma_f64 v[158:159], -v[150:151], v[156:157], 1.0
	v_fmac_f64_e32 v[156:157], v[156:157], v[158:159]
	v_fma_f64 v[158:159], -v[150:151], v[156:157], 1.0
	v_fmac_f64_e32 v[156:157], v[156:157], v[158:159]
	v_div_scale_f64 v[158:159], vcc, 1.0, v[228:229], 1.0
	v_mul_f64 v[220:221], v[158:159], v[156:157]
	v_fma_f64 v[150:151], -v[150:151], v[220:221], v[158:159]
	s_nop 1
	v_div_fmas_f64 v[150:151], v[150:151], v[156:157], v[220:221]
	v_div_fixup_f64 v[228:229], v[150:151], v[228:229], 1.0
	v_mul_f64 v[230:231], v[148:149], -v[228:229]
.LBB112_1080:
	s_or_b64 exec, exec, s[16:17]
.LBB112_1081:
	s_or_b64 exec, exec, s[0:1]
	v_cmp_ne_u32_e32 vcc, v241, v238
	s_and_saveexec_b64 s[0:1], vcc
	s_xor_b64 s[0:1], exec, s[0:1]
	s_cbranch_execz .LBB112_1087
; %bb.1082:
	v_cmp_eq_u32_e32 vcc, 51, v241
	s_and_saveexec_b64 s[16:17], vcc
	s_cbranch_execz .LBB112_1086
; %bb.1083:
	v_cmp_ne_u32_e32 vcc, 51, v238
	s_xor_b64 s[18:19], s[14:15], -1
	s_and_b64 s[22:23], s[18:19], vcc
	s_and_saveexec_b64 s[18:19], s[22:23]
	s_cbranch_execz .LBB112_1085
; %bb.1084:
	v_ashrrev_i32_e32 v239, 31, v238
	v_lshl_add_u64 v[148:149], v[238:239], 2, v[8:9]
	global_load_dword v150, v[148:149], off
	global_load_dword v151, v[8:9], off offset:204
	s_waitcnt vmcnt(1)
	global_store_dword v[8:9], v150, off offset:204
	s_waitcnt vmcnt(1)
	global_store_dword v[148:149], v151, off
.LBB112_1085:
	s_or_b64 exec, exec, s[18:19]
	v_mov_b32_e32 v241, v238
	v_mov_b32_e32 v236, v238
.LBB112_1086:
	s_or_b64 exec, exec, s[16:17]
.LBB112_1087:
	s_andn2_saveexec_b64 s[0:1], s[0:1]
	s_cbranch_execz .LBB112_1089
; %bb.1088:
	v_mov_b32_e32 v241, 51
	ds_write2_b64 v240, v[12:13], v[14:15] offset0:104 offset1:105
	ds_write2_b64 v240, v[212:213], v[214:215] offset0:106 offset1:107
	;; [unrolled: 1-line block ×5, first 2 shown]
.LBB112_1089:
	s_or_b64 exec, exec, s[0:1]
	v_cmp_lt_i32_e32 vcc, 51, v241
	s_waitcnt lgkmcnt(0)
	s_barrier
	s_and_saveexec_b64 s[0:1], vcc
	s_cbranch_execz .LBB112_1091
; %bb.1090:
	ds_read2_b64 v[244:247], v240 offset0:104 offset1:105
	v_mul_f64 v[148:149], v[228:229], v[18:19]
	v_mul_f64 v[18:19], v[230:231], v[18:19]
	v_fmac_f64_e32 v[148:149], v[230:231], v[16:17]
	v_fma_f64 v[16:17], v[228:229], v[16:17], -v[18:19]
	ds_read2_b64 v[228:231], v240 offset0:106 offset1:107
	s_waitcnt lgkmcnt(1)
	v_mul_f64 v[18:19], v[246:247], v[148:149]
	v_mul_f64 v[150:151], v[244:245], v[148:149]
	v_fma_f64 v[18:19], v[244:245], v[16:17], -v[18:19]
	v_fmac_f64_e32 v[150:151], v[246:247], v[16:17]
	ds_read2_b64 v[244:247], v240 offset0:108 offset1:109
	v_add_f64 v[12:13], v[12:13], -v[18:19]
	v_add_f64 v[14:15], v[14:15], -v[150:151]
	s_waitcnt lgkmcnt(1)
	v_mul_f64 v[18:19], v[230:231], v[148:149]
	v_mul_f64 v[150:151], v[228:229], v[148:149]
	v_fma_f64 v[18:19], v[228:229], v[16:17], -v[18:19]
	v_fmac_f64_e32 v[150:151], v[230:231], v[16:17]
	ds_read2_b64 v[228:231], v240 offset0:110 offset1:111
	v_add_f64 v[212:213], v[212:213], -v[18:19]
	v_add_f64 v[214:215], v[214:215], -v[150:151]
	;; [unrolled: 8-line block ×3, first 2 shown]
	s_waitcnt lgkmcnt(1)
	v_mul_f64 v[18:19], v[230:231], v[148:149]
	v_mul_f64 v[150:151], v[228:229], v[148:149]
	v_fma_f64 v[18:19], v[228:229], v[16:17], -v[18:19]
	v_fmac_f64_e32 v[150:151], v[230:231], v[16:17]
	v_add_f64 v[250:251], v[250:251], -v[18:19]
	v_add_f64 v[252:253], v[252:253], -v[150:151]
	s_waitcnt lgkmcnt(0)
	v_mul_f64 v[18:19], v[246:247], v[148:149]
	v_mul_f64 v[150:151], v[244:245], v[148:149]
	v_fma_f64 v[18:19], v[244:245], v[16:17], -v[18:19]
	v_fmac_f64_e32 v[150:151], v[246:247], v[16:17]
	v_add_f64 v[224:225], v[224:225], -v[18:19]
	v_add_f64 v[226:227], v[226:227], -v[150:151]
	v_mov_b64_e32 v[18:19], v[148:149]
.LBB112_1091:
	s_or_b64 exec, exec, s[0:1]
	v_lshl_add_u32 v148, v241, 4, v240
	s_barrier
	ds_write2_b64 v148, v[12:13], v[14:15] offset1:1
	s_waitcnt lgkmcnt(0)
	s_barrier
	ds_read2_b64 v[228:231], v240 offset0:104 offset1:105
	s_cmp_lt_i32 s20, 54
	v_mov_b32_e32 v238, 52
	s_cbranch_scc1 .LBB112_1094
; %bb.1092:
	v_add_u32_e32 v239, 0x350, v240
	s_mov_b32 s0, 53
	v_mov_b32_e32 v238, 52
.LBB112_1093:                           ; =>This Inner Loop Header: Depth=1
	ds_read2_b64 v[244:247], v239 offset1:1
	s_waitcnt lgkmcnt(1)
	v_cmp_gt_f64_e32 vcc, 0, v[228:229]
	v_xor_b32_e32 v148, 0x80000000, v229
	v_xor_b32_e32 v150, 0x80000000, v231
	v_cndmask_b32_e32 v149, v229, v148, vcc
	v_cmp_gt_f64_e32 vcc, 0, v[230:231]
	v_mov_b32_e32 v148, v228
	s_waitcnt lgkmcnt(0)
	v_xor_b32_e32 v156, 0x80000000, v247
	v_cndmask_b32_e32 v151, v231, v150, vcc
	v_mov_b32_e32 v150, v230
	v_add_f64 v[148:149], v[148:149], v[150:151]
	v_cmp_gt_f64_e32 vcc, 0, v[244:245]
	v_xor_b32_e32 v150, 0x80000000, v245
	v_add_u32_e32 v239, 16, v239
	v_cndmask_b32_e32 v151, v245, v150, vcc
	v_cmp_gt_f64_e32 vcc, 0, v[246:247]
	v_mov_b32_e32 v150, v244
	s_nop 0
	v_cndmask_b32_e32 v157, v247, v156, vcc
	v_mov_b32_e32 v156, v246
	v_add_f64 v[150:151], v[150:151], v[156:157]
	v_cmp_lt_f64_e32 vcc, v[148:149], v[150:151]
	v_mov_b32_e32 v148, s0
	s_add_i32 s0, s0, 1
	v_cndmask_b32_e32 v229, v229, v245, vcc
	v_cndmask_b32_e32 v228, v228, v244, vcc
	;; [unrolled: 1-line block ×5, first 2 shown]
	s_cmp_lg_u32 s20, s0
	s_cbranch_scc1 .LBB112_1093
.LBB112_1094:
	s_waitcnt lgkmcnt(0)
	v_cmp_eq_f64_e32 vcc, 0, v[228:229]
	v_cmp_eq_f64_e64 s[0:1], 0, v[230:231]
	s_and_b64 s[0:1], vcc, s[0:1]
	s_and_saveexec_b64 s[16:17], s[0:1]
	s_xor_b64 s[0:1], exec, s[16:17]
; %bb.1095:
	v_cmp_ne_u32_e32 vcc, 0, v242
	s_nop 1
	v_cndmask_b32_e32 v242, 53, v242, vcc
; %bb.1096:
	s_andn2_saveexec_b64 s[0:1], s[0:1]
	s_cbranch_execz .LBB112_1102
; %bb.1097:
	v_cmp_ngt_f64_e64 s[16:17], |v[228:229]|, |v[230:231]|
	s_and_saveexec_b64 s[18:19], s[16:17]
	s_xor_b64 s[16:17], exec, s[18:19]
	s_cbranch_execz .LBB112_1099
; %bb.1098:
	v_div_scale_f64 v[148:149], s[18:19], v[230:231], v[230:231], v[228:229]
	v_rcp_f64_e32 v[150:151], v[148:149]
	v_div_scale_f64 v[156:157], vcc, v[228:229], v[230:231], v[228:229]
	v_fma_f64 v[158:159], -v[148:149], v[150:151], 1.0
	v_fmac_f64_e32 v[150:151], v[150:151], v[158:159]
	v_fma_f64 v[158:159], -v[148:149], v[150:151], 1.0
	v_fmac_f64_e32 v[150:151], v[150:151], v[158:159]
	v_mul_f64 v[158:159], v[156:157], v[150:151]
	v_fma_f64 v[148:149], -v[148:149], v[158:159], v[156:157]
	v_div_fmas_f64 v[148:149], v[148:149], v[150:151], v[158:159]
	v_div_fixup_f64 v[148:149], v[148:149], v[230:231], v[228:229]
	v_fmac_f64_e32 v[230:231], v[228:229], v[148:149]
	v_div_scale_f64 v[150:151], s[18:19], v[230:231], v[230:231], 1.0
	v_rcp_f64_e32 v[156:157], v[150:151]
	s_nop 0
	v_fma_f64 v[158:159], -v[150:151], v[156:157], 1.0
	v_fmac_f64_e32 v[156:157], v[156:157], v[158:159]
	v_fma_f64 v[158:159], -v[150:151], v[156:157], 1.0
	v_fmac_f64_e32 v[156:157], v[156:157], v[158:159]
	v_div_scale_f64 v[158:159], vcc, 1.0, v[230:231], 1.0
	v_mul_f64 v[220:221], v[158:159], v[156:157]
	v_fma_f64 v[150:151], -v[150:151], v[220:221], v[158:159]
	s_nop 1
	v_div_fmas_f64 v[150:151], v[150:151], v[156:157], v[220:221]
	v_div_fixup_f64 v[230:231], v[150:151], v[230:231], 1.0
	v_mul_f64 v[228:229], v[148:149], v[230:231]
	v_xor_b32_e32 v231, 0x80000000, v231
.LBB112_1099:
	s_andn2_saveexec_b64 s[16:17], s[16:17]
	s_cbranch_execz .LBB112_1101
; %bb.1100:
	v_div_scale_f64 v[148:149], s[18:19], v[228:229], v[228:229], v[230:231]
	v_rcp_f64_e32 v[150:151], v[148:149]
	v_div_scale_f64 v[156:157], vcc, v[230:231], v[228:229], v[230:231]
	v_fma_f64 v[158:159], -v[148:149], v[150:151], 1.0
	v_fmac_f64_e32 v[150:151], v[150:151], v[158:159]
	v_fma_f64 v[158:159], -v[148:149], v[150:151], 1.0
	v_fmac_f64_e32 v[150:151], v[150:151], v[158:159]
	v_mul_f64 v[158:159], v[156:157], v[150:151]
	v_fma_f64 v[148:149], -v[148:149], v[158:159], v[156:157]
	v_div_fmas_f64 v[148:149], v[148:149], v[150:151], v[158:159]
	v_div_fixup_f64 v[148:149], v[148:149], v[228:229], v[230:231]
	v_fmac_f64_e32 v[228:229], v[230:231], v[148:149]
	v_div_scale_f64 v[150:151], s[18:19], v[228:229], v[228:229], 1.0
	v_rcp_f64_e32 v[156:157], v[150:151]
	s_nop 0
	v_fma_f64 v[158:159], -v[150:151], v[156:157], 1.0
	v_fmac_f64_e32 v[156:157], v[156:157], v[158:159]
	v_fma_f64 v[158:159], -v[150:151], v[156:157], 1.0
	v_fmac_f64_e32 v[156:157], v[156:157], v[158:159]
	v_div_scale_f64 v[158:159], vcc, 1.0, v[228:229], 1.0
	v_mul_f64 v[220:221], v[158:159], v[156:157]
	v_fma_f64 v[150:151], -v[150:151], v[220:221], v[158:159]
	s_nop 1
	v_div_fmas_f64 v[150:151], v[150:151], v[156:157], v[220:221]
	v_div_fixup_f64 v[228:229], v[150:151], v[228:229], 1.0
	v_mul_f64 v[230:231], v[148:149], -v[228:229]
.LBB112_1101:
	s_or_b64 exec, exec, s[16:17]
.LBB112_1102:
	s_or_b64 exec, exec, s[0:1]
	v_cmp_ne_u32_e32 vcc, v241, v238
	s_and_saveexec_b64 s[0:1], vcc
	s_xor_b64 s[0:1], exec, s[0:1]
	s_cbranch_execz .LBB112_1108
; %bb.1103:
	v_cmp_eq_u32_e32 vcc, 52, v241
	s_and_saveexec_b64 s[16:17], vcc
	s_cbranch_execz .LBB112_1107
; %bb.1104:
	v_cmp_ne_u32_e32 vcc, 52, v238
	s_xor_b64 s[18:19], s[14:15], -1
	s_and_b64 s[22:23], s[18:19], vcc
	s_and_saveexec_b64 s[18:19], s[22:23]
	s_cbranch_execz .LBB112_1106
; %bb.1105:
	v_ashrrev_i32_e32 v239, 31, v238
	v_lshl_add_u64 v[148:149], v[238:239], 2, v[8:9]
	global_load_dword v150, v[148:149], off
	global_load_dword v151, v[8:9], off offset:208
	s_waitcnt vmcnt(1)
	global_store_dword v[8:9], v150, off offset:208
	s_waitcnt vmcnt(1)
	global_store_dword v[148:149], v151, off
.LBB112_1106:
	s_or_b64 exec, exec, s[18:19]
	v_mov_b32_e32 v241, v238
	v_mov_b32_e32 v236, v238
.LBB112_1107:
	s_or_b64 exec, exec, s[16:17]
.LBB112_1108:
	s_andn2_saveexec_b64 s[0:1], s[0:1]
	s_cbranch_execz .LBB112_1110
; %bb.1109:
	v_mov_b32_e32 v241, 52
	ds_write2_b64 v240, v[212:213], v[214:215] offset0:106 offset1:107
	ds_write2_b64 v240, v[4:5], v[6:7] offset0:108 offset1:109
	;; [unrolled: 1-line block ×4, first 2 shown]
.LBB112_1110:
	s_or_b64 exec, exec, s[0:1]
	v_cmp_lt_i32_e32 vcc, 52, v241
	s_waitcnt lgkmcnt(0)
	s_barrier
	s_and_saveexec_b64 s[0:1], vcc
	s_cbranch_execz .LBB112_1112
; %bb.1111:
	ds_read2_b64 v[244:247], v240 offset0:106 offset1:107
	v_mul_f64 v[148:149], v[228:229], v[14:15]
	v_mul_f64 v[14:15], v[230:231], v[14:15]
	v_fmac_f64_e32 v[148:149], v[230:231], v[12:13]
	v_fma_f64 v[12:13], v[228:229], v[12:13], -v[14:15]
	ds_read2_b64 v[228:231], v240 offset0:108 offset1:109
	s_waitcnt lgkmcnt(1)
	v_mul_f64 v[14:15], v[246:247], v[148:149]
	v_mul_f64 v[150:151], v[244:245], v[148:149]
	v_fma_f64 v[14:15], v[244:245], v[12:13], -v[14:15]
	v_fmac_f64_e32 v[150:151], v[246:247], v[12:13]
	ds_read2_b64 v[244:247], v240 offset0:110 offset1:111
	v_add_f64 v[212:213], v[212:213], -v[14:15]
	v_add_f64 v[214:215], v[214:215], -v[150:151]
	s_waitcnt lgkmcnt(1)
	v_mul_f64 v[14:15], v[230:231], v[148:149]
	v_mul_f64 v[150:151], v[228:229], v[148:149]
	v_fma_f64 v[14:15], v[228:229], v[12:13], -v[14:15]
	v_fmac_f64_e32 v[150:151], v[230:231], v[12:13]
	ds_read2_b64 v[228:231], v240 offset0:112 offset1:113
	v_add_f64 v[4:5], v[4:5], -v[14:15]
	v_add_f64 v[6:7], v[6:7], -v[150:151]
	s_waitcnt lgkmcnt(1)
	v_mul_f64 v[14:15], v[246:247], v[148:149]
	v_mul_f64 v[150:151], v[244:245], v[148:149]
	v_fma_f64 v[14:15], v[244:245], v[12:13], -v[14:15]
	v_fmac_f64_e32 v[150:151], v[246:247], v[12:13]
	v_add_f64 v[250:251], v[250:251], -v[14:15]
	v_add_f64 v[252:253], v[252:253], -v[150:151]
	s_waitcnt lgkmcnt(0)
	v_mul_f64 v[14:15], v[230:231], v[148:149]
	v_mul_f64 v[150:151], v[228:229], v[148:149]
	v_fma_f64 v[14:15], v[228:229], v[12:13], -v[14:15]
	v_fmac_f64_e32 v[150:151], v[230:231], v[12:13]
	v_add_f64 v[224:225], v[224:225], -v[14:15]
	v_add_f64 v[226:227], v[226:227], -v[150:151]
	v_mov_b64_e32 v[14:15], v[148:149]
.LBB112_1112:
	s_or_b64 exec, exec, s[0:1]
	v_lshl_add_u32 v148, v241, 4, v240
	s_barrier
	ds_write2_b64 v148, v[212:213], v[214:215] offset1:1
	s_waitcnt lgkmcnt(0)
	s_barrier
	ds_read2_b64 v[228:231], v240 offset0:106 offset1:107
	s_cmp_lt_i32 s20, 55
	v_mov_b32_e32 v238, 53
	s_cbranch_scc1 .LBB112_1115
; %bb.1113:
	v_add_u32_e32 v239, 0x360, v240
	s_mov_b32 s0, 54
	v_mov_b32_e32 v238, 53
.LBB112_1114:                           ; =>This Inner Loop Header: Depth=1
	ds_read2_b64 v[244:247], v239 offset1:1
	s_waitcnt lgkmcnt(1)
	v_cmp_gt_f64_e32 vcc, 0, v[228:229]
	v_xor_b32_e32 v148, 0x80000000, v229
	v_xor_b32_e32 v150, 0x80000000, v231
	v_cndmask_b32_e32 v149, v229, v148, vcc
	v_cmp_gt_f64_e32 vcc, 0, v[230:231]
	v_mov_b32_e32 v148, v228
	s_waitcnt lgkmcnt(0)
	v_xor_b32_e32 v156, 0x80000000, v247
	v_cndmask_b32_e32 v151, v231, v150, vcc
	v_mov_b32_e32 v150, v230
	v_add_f64 v[148:149], v[148:149], v[150:151]
	v_cmp_gt_f64_e32 vcc, 0, v[244:245]
	v_xor_b32_e32 v150, 0x80000000, v245
	v_add_u32_e32 v239, 16, v239
	v_cndmask_b32_e32 v151, v245, v150, vcc
	v_cmp_gt_f64_e32 vcc, 0, v[246:247]
	v_mov_b32_e32 v150, v244
	s_nop 0
	v_cndmask_b32_e32 v157, v247, v156, vcc
	v_mov_b32_e32 v156, v246
	v_add_f64 v[150:151], v[150:151], v[156:157]
	v_cmp_lt_f64_e32 vcc, v[148:149], v[150:151]
	v_mov_b32_e32 v148, s0
	s_add_i32 s0, s0, 1
	v_cndmask_b32_e32 v229, v229, v245, vcc
	v_cndmask_b32_e32 v228, v228, v244, vcc
	;; [unrolled: 1-line block ×5, first 2 shown]
	s_cmp_lg_u32 s20, s0
	s_cbranch_scc1 .LBB112_1114
.LBB112_1115:
	s_waitcnt lgkmcnt(0)
	v_cmp_eq_f64_e32 vcc, 0, v[228:229]
	v_cmp_eq_f64_e64 s[0:1], 0, v[230:231]
	s_and_b64 s[0:1], vcc, s[0:1]
	s_and_saveexec_b64 s[16:17], s[0:1]
	s_xor_b64 s[0:1], exec, s[16:17]
; %bb.1116:
	v_cmp_ne_u32_e32 vcc, 0, v242
	s_nop 1
	v_cndmask_b32_e32 v242, 54, v242, vcc
; %bb.1117:
	s_andn2_saveexec_b64 s[0:1], s[0:1]
	s_cbranch_execz .LBB112_1123
; %bb.1118:
	v_cmp_ngt_f64_e64 s[16:17], |v[228:229]|, |v[230:231]|
	s_and_saveexec_b64 s[18:19], s[16:17]
	s_xor_b64 s[16:17], exec, s[18:19]
	s_cbranch_execz .LBB112_1120
; %bb.1119:
	v_div_scale_f64 v[148:149], s[18:19], v[230:231], v[230:231], v[228:229]
	v_rcp_f64_e32 v[150:151], v[148:149]
	v_div_scale_f64 v[156:157], vcc, v[228:229], v[230:231], v[228:229]
	v_fma_f64 v[158:159], -v[148:149], v[150:151], 1.0
	v_fmac_f64_e32 v[150:151], v[150:151], v[158:159]
	v_fma_f64 v[158:159], -v[148:149], v[150:151], 1.0
	v_fmac_f64_e32 v[150:151], v[150:151], v[158:159]
	v_mul_f64 v[158:159], v[156:157], v[150:151]
	v_fma_f64 v[148:149], -v[148:149], v[158:159], v[156:157]
	v_div_fmas_f64 v[148:149], v[148:149], v[150:151], v[158:159]
	v_div_fixup_f64 v[148:149], v[148:149], v[230:231], v[228:229]
	v_fmac_f64_e32 v[230:231], v[228:229], v[148:149]
	v_div_scale_f64 v[150:151], s[18:19], v[230:231], v[230:231], 1.0
	v_rcp_f64_e32 v[156:157], v[150:151]
	s_nop 0
	v_fma_f64 v[158:159], -v[150:151], v[156:157], 1.0
	v_fmac_f64_e32 v[156:157], v[156:157], v[158:159]
	v_fma_f64 v[158:159], -v[150:151], v[156:157], 1.0
	v_fmac_f64_e32 v[156:157], v[156:157], v[158:159]
	v_div_scale_f64 v[158:159], vcc, 1.0, v[230:231], 1.0
	v_mul_f64 v[220:221], v[158:159], v[156:157]
	v_fma_f64 v[150:151], -v[150:151], v[220:221], v[158:159]
	s_nop 1
	v_div_fmas_f64 v[150:151], v[150:151], v[156:157], v[220:221]
	v_div_fixup_f64 v[230:231], v[150:151], v[230:231], 1.0
	v_mul_f64 v[228:229], v[148:149], v[230:231]
	v_xor_b32_e32 v231, 0x80000000, v231
.LBB112_1120:
	s_andn2_saveexec_b64 s[16:17], s[16:17]
	s_cbranch_execz .LBB112_1122
; %bb.1121:
	v_div_scale_f64 v[148:149], s[18:19], v[228:229], v[228:229], v[230:231]
	v_rcp_f64_e32 v[150:151], v[148:149]
	v_div_scale_f64 v[156:157], vcc, v[230:231], v[228:229], v[230:231]
	v_fma_f64 v[158:159], -v[148:149], v[150:151], 1.0
	v_fmac_f64_e32 v[150:151], v[150:151], v[158:159]
	v_fma_f64 v[158:159], -v[148:149], v[150:151], 1.0
	v_fmac_f64_e32 v[150:151], v[150:151], v[158:159]
	v_mul_f64 v[158:159], v[156:157], v[150:151]
	v_fma_f64 v[148:149], -v[148:149], v[158:159], v[156:157]
	v_div_fmas_f64 v[148:149], v[148:149], v[150:151], v[158:159]
	v_div_fixup_f64 v[148:149], v[148:149], v[228:229], v[230:231]
	v_fmac_f64_e32 v[228:229], v[230:231], v[148:149]
	v_div_scale_f64 v[150:151], s[18:19], v[228:229], v[228:229], 1.0
	v_rcp_f64_e32 v[156:157], v[150:151]
	s_nop 0
	v_fma_f64 v[158:159], -v[150:151], v[156:157], 1.0
	v_fmac_f64_e32 v[156:157], v[156:157], v[158:159]
	v_fma_f64 v[158:159], -v[150:151], v[156:157], 1.0
	v_fmac_f64_e32 v[156:157], v[156:157], v[158:159]
	v_div_scale_f64 v[158:159], vcc, 1.0, v[228:229], 1.0
	v_mul_f64 v[220:221], v[158:159], v[156:157]
	v_fma_f64 v[150:151], -v[150:151], v[220:221], v[158:159]
	s_nop 1
	v_div_fmas_f64 v[150:151], v[150:151], v[156:157], v[220:221]
	v_div_fixup_f64 v[228:229], v[150:151], v[228:229], 1.0
	v_mul_f64 v[230:231], v[148:149], -v[228:229]
.LBB112_1122:
	s_or_b64 exec, exec, s[16:17]
.LBB112_1123:
	s_or_b64 exec, exec, s[0:1]
	v_cmp_ne_u32_e32 vcc, v241, v238
	s_and_saveexec_b64 s[0:1], vcc
	s_xor_b64 s[0:1], exec, s[0:1]
	s_cbranch_execz .LBB112_1129
; %bb.1124:
	v_cmp_eq_u32_e32 vcc, 53, v241
	s_and_saveexec_b64 s[16:17], vcc
	s_cbranch_execz .LBB112_1128
; %bb.1125:
	v_cmp_ne_u32_e32 vcc, 53, v238
	s_xor_b64 s[18:19], s[14:15], -1
	s_and_b64 s[22:23], s[18:19], vcc
	s_and_saveexec_b64 s[18:19], s[22:23]
	s_cbranch_execz .LBB112_1127
; %bb.1126:
	v_ashrrev_i32_e32 v239, 31, v238
	v_lshl_add_u64 v[148:149], v[238:239], 2, v[8:9]
	global_load_dword v150, v[148:149], off
	global_load_dword v151, v[8:9], off offset:212
	s_waitcnt vmcnt(1)
	global_store_dword v[8:9], v150, off offset:212
	s_waitcnt vmcnt(1)
	global_store_dword v[148:149], v151, off
.LBB112_1127:
	s_or_b64 exec, exec, s[18:19]
	v_mov_b32_e32 v241, v238
	v_mov_b32_e32 v236, v238
.LBB112_1128:
	s_or_b64 exec, exec, s[16:17]
.LBB112_1129:
	s_andn2_saveexec_b64 s[0:1], s[0:1]
	s_cbranch_execz .LBB112_1131
; %bb.1130:
	v_mov_b32_e32 v241, 53
	ds_write2_b64 v240, v[4:5], v[6:7] offset0:108 offset1:109
	ds_write2_b64 v240, v[250:251], v[252:253] offset0:110 offset1:111
	;; [unrolled: 1-line block ×3, first 2 shown]
.LBB112_1131:
	s_or_b64 exec, exec, s[0:1]
	v_cmp_lt_i32_e32 vcc, 53, v241
	s_waitcnt lgkmcnt(0)
	s_barrier
	s_and_saveexec_b64 s[0:1], vcc
	s_cbranch_execz .LBB112_1133
; %bb.1132:
	ds_read2_b64 v[244:247], v240 offset0:108 offset1:109
	v_mul_f64 v[148:149], v[228:229], v[214:215]
	v_mul_f64 v[10:11], v[230:231], v[214:215]
	v_fmac_f64_e32 v[148:149], v[230:231], v[212:213]
	v_fma_f64 v[212:213], v[228:229], v[212:213], -v[10:11]
	ds_read2_b64 v[228:231], v240 offset0:110 offset1:111
	s_waitcnt lgkmcnt(1)
	v_mul_f64 v[10:11], v[246:247], v[148:149]
	v_mul_f64 v[150:151], v[244:245], v[148:149]
	v_fma_f64 v[10:11], v[244:245], v[212:213], -v[10:11]
	v_fmac_f64_e32 v[150:151], v[246:247], v[212:213]
	ds_read2_b64 v[244:247], v240 offset0:112 offset1:113
	v_add_f64 v[4:5], v[4:5], -v[10:11]
	v_add_f64 v[6:7], v[6:7], -v[150:151]
	s_waitcnt lgkmcnt(1)
	v_mul_f64 v[10:11], v[230:231], v[148:149]
	v_mul_f64 v[150:151], v[228:229], v[148:149]
	v_fma_f64 v[10:11], v[228:229], v[212:213], -v[10:11]
	v_fmac_f64_e32 v[150:151], v[230:231], v[212:213]
	v_add_f64 v[250:251], v[250:251], -v[10:11]
	v_add_f64 v[252:253], v[252:253], -v[150:151]
	s_waitcnt lgkmcnt(0)
	v_mul_f64 v[10:11], v[246:247], v[148:149]
	v_mul_f64 v[150:151], v[244:245], v[148:149]
	v_fma_f64 v[10:11], v[244:245], v[212:213], -v[10:11]
	v_fmac_f64_e32 v[150:151], v[246:247], v[212:213]
	v_add_f64 v[224:225], v[224:225], -v[10:11]
	v_add_f64 v[226:227], v[226:227], -v[150:151]
	v_mov_b64_e32 v[214:215], v[148:149]
.LBB112_1133:
	s_or_b64 exec, exec, s[0:1]
	v_lshl_add_u32 v148, v241, 4, v240
	s_barrier
	ds_write2_b64 v148, v[4:5], v[6:7] offset1:1
	s_waitcnt lgkmcnt(0)
	s_barrier
	ds_read2_b64 v[228:231], v240 offset0:108 offset1:109
	s_cmp_lt_i32 s20, 56
	v_mov_b32_e32 v238, 54
	s_cbranch_scc1 .LBB112_1136
; %bb.1134:
	v_add_u32_e32 v239, 0x370, v240
	s_mov_b32 s0, 55
	v_mov_b32_e32 v238, 54
.LBB112_1135:                           ; =>This Inner Loop Header: Depth=1
	ds_read2_b64 v[244:247], v239 offset1:1
	s_waitcnt lgkmcnt(1)
	v_cmp_gt_f64_e32 vcc, 0, v[228:229]
	v_xor_b32_e32 v148, 0x80000000, v229
	v_xor_b32_e32 v150, 0x80000000, v231
	v_cndmask_b32_e32 v149, v229, v148, vcc
	v_cmp_gt_f64_e32 vcc, 0, v[230:231]
	v_mov_b32_e32 v148, v228
	s_waitcnt lgkmcnt(0)
	v_xor_b32_e32 v156, 0x80000000, v247
	v_cndmask_b32_e32 v151, v231, v150, vcc
	v_mov_b32_e32 v150, v230
	v_add_f64 v[148:149], v[148:149], v[150:151]
	v_cmp_gt_f64_e32 vcc, 0, v[244:245]
	v_xor_b32_e32 v150, 0x80000000, v245
	v_add_u32_e32 v239, 16, v239
	v_cndmask_b32_e32 v151, v245, v150, vcc
	v_cmp_gt_f64_e32 vcc, 0, v[246:247]
	v_mov_b32_e32 v150, v244
	s_nop 0
	v_cndmask_b32_e32 v157, v247, v156, vcc
	v_mov_b32_e32 v156, v246
	v_add_f64 v[150:151], v[150:151], v[156:157]
	v_cmp_lt_f64_e32 vcc, v[148:149], v[150:151]
	v_mov_b32_e32 v148, s0
	s_add_i32 s0, s0, 1
	v_cndmask_b32_e32 v229, v229, v245, vcc
	v_cndmask_b32_e32 v228, v228, v244, vcc
	;; [unrolled: 1-line block ×5, first 2 shown]
	s_cmp_lg_u32 s20, s0
	s_cbranch_scc1 .LBB112_1135
.LBB112_1136:
	s_waitcnt lgkmcnt(0)
	v_cmp_eq_f64_e32 vcc, 0, v[228:229]
	v_cmp_eq_f64_e64 s[0:1], 0, v[230:231]
	s_and_b64 s[0:1], vcc, s[0:1]
	s_and_saveexec_b64 s[16:17], s[0:1]
	s_xor_b64 s[0:1], exec, s[16:17]
; %bb.1137:
	v_cmp_ne_u32_e32 vcc, 0, v242
	s_nop 1
	v_cndmask_b32_e32 v242, 55, v242, vcc
; %bb.1138:
	s_andn2_saveexec_b64 s[0:1], s[0:1]
	s_cbranch_execz .LBB112_1144
; %bb.1139:
	v_cmp_ngt_f64_e64 s[16:17], |v[228:229]|, |v[230:231]|
	s_and_saveexec_b64 s[18:19], s[16:17]
	s_xor_b64 s[16:17], exec, s[18:19]
	s_cbranch_execz .LBB112_1141
; %bb.1140:
	v_div_scale_f64 v[148:149], s[18:19], v[230:231], v[230:231], v[228:229]
	v_rcp_f64_e32 v[150:151], v[148:149]
	v_div_scale_f64 v[156:157], vcc, v[228:229], v[230:231], v[228:229]
	v_fma_f64 v[158:159], -v[148:149], v[150:151], 1.0
	v_fmac_f64_e32 v[150:151], v[150:151], v[158:159]
	v_fma_f64 v[158:159], -v[148:149], v[150:151], 1.0
	v_fmac_f64_e32 v[150:151], v[150:151], v[158:159]
	v_mul_f64 v[158:159], v[156:157], v[150:151]
	v_fma_f64 v[148:149], -v[148:149], v[158:159], v[156:157]
	v_div_fmas_f64 v[148:149], v[148:149], v[150:151], v[158:159]
	v_div_fixup_f64 v[148:149], v[148:149], v[230:231], v[228:229]
	v_fmac_f64_e32 v[230:231], v[228:229], v[148:149]
	v_div_scale_f64 v[150:151], s[18:19], v[230:231], v[230:231], 1.0
	v_rcp_f64_e32 v[156:157], v[150:151]
	s_nop 0
	v_fma_f64 v[158:159], -v[150:151], v[156:157], 1.0
	v_fmac_f64_e32 v[156:157], v[156:157], v[158:159]
	v_fma_f64 v[158:159], -v[150:151], v[156:157], 1.0
	v_fmac_f64_e32 v[156:157], v[156:157], v[158:159]
	v_div_scale_f64 v[158:159], vcc, 1.0, v[230:231], 1.0
	v_mul_f64 v[220:221], v[158:159], v[156:157]
	v_fma_f64 v[150:151], -v[150:151], v[220:221], v[158:159]
	s_nop 1
	v_div_fmas_f64 v[150:151], v[150:151], v[156:157], v[220:221]
	v_div_fixup_f64 v[230:231], v[150:151], v[230:231], 1.0
	v_mul_f64 v[228:229], v[148:149], v[230:231]
	v_xor_b32_e32 v231, 0x80000000, v231
.LBB112_1141:
	s_andn2_saveexec_b64 s[16:17], s[16:17]
	s_cbranch_execz .LBB112_1143
; %bb.1142:
	v_div_scale_f64 v[148:149], s[18:19], v[228:229], v[228:229], v[230:231]
	v_rcp_f64_e32 v[150:151], v[148:149]
	v_div_scale_f64 v[156:157], vcc, v[230:231], v[228:229], v[230:231]
	v_fma_f64 v[158:159], -v[148:149], v[150:151], 1.0
	v_fmac_f64_e32 v[150:151], v[150:151], v[158:159]
	v_fma_f64 v[158:159], -v[148:149], v[150:151], 1.0
	v_fmac_f64_e32 v[150:151], v[150:151], v[158:159]
	v_mul_f64 v[158:159], v[156:157], v[150:151]
	v_fma_f64 v[148:149], -v[148:149], v[158:159], v[156:157]
	v_div_fmas_f64 v[148:149], v[148:149], v[150:151], v[158:159]
	v_div_fixup_f64 v[148:149], v[148:149], v[228:229], v[230:231]
	v_fmac_f64_e32 v[228:229], v[230:231], v[148:149]
	v_div_scale_f64 v[150:151], s[18:19], v[228:229], v[228:229], 1.0
	v_rcp_f64_e32 v[156:157], v[150:151]
	s_nop 0
	v_fma_f64 v[158:159], -v[150:151], v[156:157], 1.0
	v_fmac_f64_e32 v[156:157], v[156:157], v[158:159]
	v_fma_f64 v[158:159], -v[150:151], v[156:157], 1.0
	v_fmac_f64_e32 v[156:157], v[156:157], v[158:159]
	v_div_scale_f64 v[158:159], vcc, 1.0, v[228:229], 1.0
	v_mul_f64 v[220:221], v[158:159], v[156:157]
	v_fma_f64 v[150:151], -v[150:151], v[220:221], v[158:159]
	s_nop 1
	v_div_fmas_f64 v[150:151], v[150:151], v[156:157], v[220:221]
	v_div_fixup_f64 v[228:229], v[150:151], v[228:229], 1.0
	v_mul_f64 v[230:231], v[148:149], -v[228:229]
.LBB112_1143:
	s_or_b64 exec, exec, s[16:17]
.LBB112_1144:
	s_or_b64 exec, exec, s[0:1]
	v_cmp_ne_u32_e32 vcc, v241, v238
	s_and_saveexec_b64 s[0:1], vcc
	s_xor_b64 s[0:1], exec, s[0:1]
	s_cbranch_execz .LBB112_1150
; %bb.1145:
	v_cmp_eq_u32_e32 vcc, 54, v241
	s_and_saveexec_b64 s[16:17], vcc
	s_cbranch_execz .LBB112_1149
; %bb.1146:
	v_cmp_ne_u32_e32 vcc, 54, v238
	s_xor_b64 s[18:19], s[14:15], -1
	s_and_b64 s[22:23], s[18:19], vcc
	s_and_saveexec_b64 s[18:19], s[22:23]
	s_cbranch_execz .LBB112_1148
; %bb.1147:
	v_ashrrev_i32_e32 v239, 31, v238
	v_lshl_add_u64 v[148:149], v[238:239], 2, v[8:9]
	global_load_dword v150, v[148:149], off
	global_load_dword v151, v[8:9], off offset:216
	s_waitcnt vmcnt(1)
	global_store_dword v[8:9], v150, off offset:216
	s_waitcnt vmcnt(1)
	global_store_dword v[148:149], v151, off
.LBB112_1148:
	s_or_b64 exec, exec, s[18:19]
	v_mov_b32_e32 v241, v238
	v_mov_b32_e32 v236, v238
.LBB112_1149:
	s_or_b64 exec, exec, s[16:17]
.LBB112_1150:
	s_andn2_saveexec_b64 s[0:1], s[0:1]
	s_cbranch_execz .LBB112_1152
; %bb.1151:
	v_mov_b32_e32 v241, 54
	ds_write2_b64 v240, v[250:251], v[252:253] offset0:110 offset1:111
	ds_write2_b64 v240, v[224:225], v[226:227] offset0:112 offset1:113
.LBB112_1152:
	s_or_b64 exec, exec, s[0:1]
	v_cmp_lt_i32_e32 vcc, 54, v241
	s_waitcnt lgkmcnt(0)
	s_barrier
	s_and_saveexec_b64 s[0:1], vcc
	s_cbranch_execz .LBB112_1154
; %bb.1153:
	ds_read2_b64 v[244:247], v240 offset0:110 offset1:111
	v_mul_f64 v[148:149], v[228:229], v[6:7]
	v_mul_f64 v[6:7], v[230:231], v[6:7]
	v_fmac_f64_e32 v[148:149], v[230:231], v[4:5]
	v_fma_f64 v[4:5], v[228:229], v[4:5], -v[6:7]
	ds_read2_b64 v[228:231], v240 offset0:112 offset1:113
	s_waitcnt lgkmcnt(1)
	v_mul_f64 v[6:7], v[246:247], v[148:149]
	v_mul_f64 v[150:151], v[244:245], v[148:149]
	v_fma_f64 v[6:7], v[244:245], v[4:5], -v[6:7]
	v_fmac_f64_e32 v[150:151], v[246:247], v[4:5]
	v_add_f64 v[250:251], v[250:251], -v[6:7]
	v_add_f64 v[252:253], v[252:253], -v[150:151]
	s_waitcnt lgkmcnt(0)
	v_mul_f64 v[6:7], v[230:231], v[148:149]
	v_mul_f64 v[150:151], v[228:229], v[148:149]
	v_fma_f64 v[6:7], v[228:229], v[4:5], -v[6:7]
	v_fmac_f64_e32 v[150:151], v[230:231], v[4:5]
	v_add_f64 v[224:225], v[224:225], -v[6:7]
	v_add_f64 v[226:227], v[226:227], -v[150:151]
	v_mov_b64_e32 v[6:7], v[148:149]
.LBB112_1154:
	s_or_b64 exec, exec, s[0:1]
	v_lshl_add_u32 v148, v241, 4, v240
	s_barrier
	ds_write2_b64 v148, v[250:251], v[252:253] offset1:1
	s_waitcnt lgkmcnt(0)
	s_barrier
	ds_read2_b64 v[228:231], v240 offset0:110 offset1:111
	s_cmp_lt_i32 s20, 57
	v_mov_b32_e32 v238, 55
	s_cbranch_scc1 .LBB112_1157
; %bb.1155:
	v_add_u32_e32 v239, 0x380, v240
	s_mov_b32 s0, 56
	v_mov_b32_e32 v238, 55
.LBB112_1156:                           ; =>This Inner Loop Header: Depth=1
	ds_read2_b64 v[244:247], v239 offset1:1
	s_waitcnt lgkmcnt(1)
	v_cmp_gt_f64_e32 vcc, 0, v[228:229]
	v_xor_b32_e32 v148, 0x80000000, v229
	v_xor_b32_e32 v150, 0x80000000, v231
	v_cndmask_b32_e32 v149, v229, v148, vcc
	v_cmp_gt_f64_e32 vcc, 0, v[230:231]
	v_mov_b32_e32 v148, v228
	s_waitcnt lgkmcnt(0)
	v_xor_b32_e32 v156, 0x80000000, v247
	v_cndmask_b32_e32 v151, v231, v150, vcc
	v_mov_b32_e32 v150, v230
	v_add_f64 v[148:149], v[148:149], v[150:151]
	v_cmp_gt_f64_e32 vcc, 0, v[244:245]
	v_xor_b32_e32 v150, 0x80000000, v245
	v_add_u32_e32 v239, 16, v239
	v_cndmask_b32_e32 v151, v245, v150, vcc
	v_cmp_gt_f64_e32 vcc, 0, v[246:247]
	v_mov_b32_e32 v150, v244
	s_nop 0
	v_cndmask_b32_e32 v157, v247, v156, vcc
	v_mov_b32_e32 v156, v246
	v_add_f64 v[150:151], v[150:151], v[156:157]
	v_cmp_lt_f64_e32 vcc, v[148:149], v[150:151]
	v_mov_b32_e32 v148, s0
	s_add_i32 s0, s0, 1
	v_cndmask_b32_e32 v229, v229, v245, vcc
	v_cndmask_b32_e32 v228, v228, v244, vcc
	;; [unrolled: 1-line block ×5, first 2 shown]
	s_cmp_lg_u32 s20, s0
	s_cbranch_scc1 .LBB112_1156
.LBB112_1157:
	s_waitcnt lgkmcnt(0)
	v_cmp_eq_f64_e32 vcc, 0, v[228:229]
	v_cmp_eq_f64_e64 s[0:1], 0, v[230:231]
	s_and_b64 s[0:1], vcc, s[0:1]
	s_and_saveexec_b64 s[16:17], s[0:1]
	s_xor_b64 s[0:1], exec, s[16:17]
; %bb.1158:
	v_cmp_ne_u32_e32 vcc, 0, v242
	s_nop 1
	v_cndmask_b32_e32 v242, 56, v242, vcc
; %bb.1159:
	s_andn2_saveexec_b64 s[0:1], s[0:1]
	s_cbranch_execz .LBB112_1165
; %bb.1160:
	v_cmp_ngt_f64_e64 s[16:17], |v[228:229]|, |v[230:231]|
	s_and_saveexec_b64 s[18:19], s[16:17]
	s_xor_b64 s[16:17], exec, s[18:19]
	s_cbranch_execz .LBB112_1162
; %bb.1161:
	v_div_scale_f64 v[148:149], s[18:19], v[230:231], v[230:231], v[228:229]
	v_rcp_f64_e32 v[150:151], v[148:149]
	v_div_scale_f64 v[156:157], vcc, v[228:229], v[230:231], v[228:229]
	v_fma_f64 v[158:159], -v[148:149], v[150:151], 1.0
	v_fmac_f64_e32 v[150:151], v[150:151], v[158:159]
	v_fma_f64 v[158:159], -v[148:149], v[150:151], 1.0
	v_fmac_f64_e32 v[150:151], v[150:151], v[158:159]
	v_mul_f64 v[158:159], v[156:157], v[150:151]
	v_fma_f64 v[148:149], -v[148:149], v[158:159], v[156:157]
	v_div_fmas_f64 v[148:149], v[148:149], v[150:151], v[158:159]
	v_div_fixup_f64 v[148:149], v[148:149], v[230:231], v[228:229]
	v_fmac_f64_e32 v[230:231], v[228:229], v[148:149]
	v_div_scale_f64 v[150:151], s[18:19], v[230:231], v[230:231], 1.0
	v_rcp_f64_e32 v[156:157], v[150:151]
	s_nop 0
	v_fma_f64 v[158:159], -v[150:151], v[156:157], 1.0
	v_fmac_f64_e32 v[156:157], v[156:157], v[158:159]
	v_fma_f64 v[158:159], -v[150:151], v[156:157], 1.0
	v_fmac_f64_e32 v[156:157], v[156:157], v[158:159]
	v_div_scale_f64 v[158:159], vcc, 1.0, v[230:231], 1.0
	v_mul_f64 v[220:221], v[158:159], v[156:157]
	v_fma_f64 v[150:151], -v[150:151], v[220:221], v[158:159]
	s_nop 1
	v_div_fmas_f64 v[150:151], v[150:151], v[156:157], v[220:221]
	v_div_fixup_f64 v[230:231], v[150:151], v[230:231], 1.0
	v_mul_f64 v[228:229], v[148:149], v[230:231]
	v_xor_b32_e32 v231, 0x80000000, v231
.LBB112_1162:
	s_andn2_saveexec_b64 s[16:17], s[16:17]
	s_cbranch_execz .LBB112_1164
; %bb.1163:
	v_div_scale_f64 v[148:149], s[18:19], v[228:229], v[228:229], v[230:231]
	v_rcp_f64_e32 v[150:151], v[148:149]
	v_div_scale_f64 v[156:157], vcc, v[230:231], v[228:229], v[230:231]
	v_fma_f64 v[158:159], -v[148:149], v[150:151], 1.0
	v_fmac_f64_e32 v[150:151], v[150:151], v[158:159]
	v_fma_f64 v[158:159], -v[148:149], v[150:151], 1.0
	v_fmac_f64_e32 v[150:151], v[150:151], v[158:159]
	v_mul_f64 v[158:159], v[156:157], v[150:151]
	v_fma_f64 v[148:149], -v[148:149], v[158:159], v[156:157]
	v_div_fmas_f64 v[148:149], v[148:149], v[150:151], v[158:159]
	v_div_fixup_f64 v[148:149], v[148:149], v[228:229], v[230:231]
	v_fmac_f64_e32 v[228:229], v[230:231], v[148:149]
	v_div_scale_f64 v[150:151], s[18:19], v[228:229], v[228:229], 1.0
	v_rcp_f64_e32 v[156:157], v[150:151]
	s_nop 0
	v_fma_f64 v[158:159], -v[150:151], v[156:157], 1.0
	v_fmac_f64_e32 v[156:157], v[156:157], v[158:159]
	v_fma_f64 v[158:159], -v[150:151], v[156:157], 1.0
	v_fmac_f64_e32 v[156:157], v[156:157], v[158:159]
	v_div_scale_f64 v[158:159], vcc, 1.0, v[228:229], 1.0
	v_mul_f64 v[220:221], v[158:159], v[156:157]
	v_fma_f64 v[150:151], -v[150:151], v[220:221], v[158:159]
	s_nop 1
	v_div_fmas_f64 v[150:151], v[150:151], v[156:157], v[220:221]
	v_div_fixup_f64 v[228:229], v[150:151], v[228:229], 1.0
	v_mul_f64 v[230:231], v[148:149], -v[228:229]
.LBB112_1164:
	s_or_b64 exec, exec, s[16:17]
.LBB112_1165:
	s_or_b64 exec, exec, s[0:1]
	v_cmp_ne_u32_e32 vcc, v241, v238
	s_and_saveexec_b64 s[0:1], vcc
	s_xor_b64 s[0:1], exec, s[0:1]
	s_cbranch_execz .LBB112_1171
; %bb.1166:
	v_cmp_eq_u32_e32 vcc, 55, v241
	s_and_saveexec_b64 s[16:17], vcc
	s_cbranch_execz .LBB112_1170
; %bb.1167:
	v_cmp_ne_u32_e32 vcc, 55, v238
	s_xor_b64 s[18:19], s[14:15], -1
	s_and_b64 s[22:23], s[18:19], vcc
	s_and_saveexec_b64 s[18:19], s[22:23]
	s_cbranch_execz .LBB112_1169
; %bb.1168:
	v_ashrrev_i32_e32 v239, 31, v238
	v_lshl_add_u64 v[148:149], v[238:239], 2, v[8:9]
	global_load_dword v150, v[148:149], off
	global_load_dword v151, v[8:9], off offset:220
	s_waitcnt vmcnt(1)
	global_store_dword v[8:9], v150, off offset:220
	s_waitcnt vmcnt(1)
	global_store_dword v[148:149], v151, off
.LBB112_1169:
	s_or_b64 exec, exec, s[18:19]
	v_mov_b32_e32 v241, v238
	v_mov_b32_e32 v236, v238
.LBB112_1170:
	s_or_b64 exec, exec, s[16:17]
.LBB112_1171:
	s_andn2_saveexec_b64 s[0:1], s[0:1]
; %bb.1172:
	v_mov_b32_e32 v241, 55
	ds_write2_b64 v240, v[224:225], v[226:227] offset0:112 offset1:113
; %bb.1173:
	s_or_b64 exec, exec, s[0:1]
	v_cmp_lt_i32_e32 vcc, 55, v241
	s_waitcnt lgkmcnt(0)
	s_barrier
	s_and_saveexec_b64 s[0:1], vcc
	s_cbranch_execz .LBB112_1175
; %bb.1174:
	ds_read2_b64 v[244:247], v240 offset0:112 offset1:113
	v_mul_f64 v[148:149], v[228:229], v[252:253]
	v_mul_f64 v[2:3], v[230:231], v[252:253]
	v_fmac_f64_e32 v[148:149], v[230:231], v[250:251]
	v_fma_f64 v[250:251], v[228:229], v[250:251], -v[2:3]
	s_waitcnt lgkmcnt(0)
	v_mul_f64 v[2:3], v[246:247], v[148:149]
	v_mul_f64 v[150:151], v[244:245], v[148:149]
	v_fma_f64 v[2:3], v[244:245], v[250:251], -v[2:3]
	v_fmac_f64_e32 v[150:151], v[246:247], v[250:251]
	v_add_f64 v[224:225], v[224:225], -v[2:3]
	v_add_f64 v[226:227], v[226:227], -v[150:151]
	v_mov_b64_e32 v[252:253], v[148:149]
.LBB112_1175:
	s_or_b64 exec, exec, s[0:1]
	v_lshl_add_u32 v148, v241, 4, v240
	s_barrier
	ds_write2_b64 v148, v[224:225], v[226:227] offset1:1
	s_waitcnt lgkmcnt(0)
	s_barrier
	ds_read2_b64 v[228:231], v240 offset0:112 offset1:113
	s_cmp_lt_i32 s20, 58
	v_mov_b32_e32 v238, 56
	s_cbranch_scc1 .LBB112_1178
; %bb.1176:
	v_add_u32_e32 v239, 0x390, v240
	s_mov_b32 s16, 57
	v_mov_b32_e32 v238, 56
.LBB112_1177:                           ; =>This Inner Loop Header: Depth=1
	ds_read2_b64 v[244:247], v239 offset1:1
	s_waitcnt lgkmcnt(1)
	v_xor_b32_e32 v149, 0x80000000, v229
	v_xor_b32_e32 v151, 0x80000000, v231
	v_cmp_gt_f64_e32 vcc, 0, v[230:231]
	v_cmp_gt_f64_e64 s[0:1], 0, v[228:229]
	v_mov_b32_e32 v148, v228
	v_mov_b32_e32 v150, v230
	v_cndmask_b32_e64 v149, v229, v149, s[0:1]
	v_cndmask_b32_e32 v151, v231, v151, vcc
	v_add_f64 v[148:149], v[148:149], v[150:151]
	s_waitcnt lgkmcnt(0)
	v_xor_b32_e32 v151, 0x80000000, v245
	v_xor_b32_e32 v157, 0x80000000, v247
	v_cmp_gt_f64_e32 vcc, 0, v[246:247]
	v_cmp_gt_f64_e64 s[0:1], 0, v[244:245]
	v_mov_b32_e32 v150, v244
	v_mov_b32_e32 v156, v246
	v_cndmask_b32_e64 v151, v245, v151, s[0:1]
	v_cndmask_b32_e32 v157, v247, v157, vcc
	v_add_f64 v[150:151], v[150:151], v[156:157]
	v_mov_b32_e32 v158, s16
	s_add_i32 s16, s16, 1
	v_cmp_lt_f64_e32 vcc, v[148:149], v[150:151]
	v_add_u32_e32 v239, 16, v239
	s_cmp_lg_u32 s20, s16
	v_cndmask_b32_e32 v229, v229, v245, vcc
	v_cndmask_b32_e32 v228, v228, v244, vcc
	;; [unrolled: 1-line block ×5, first 2 shown]
	s_cbranch_scc1 .LBB112_1177
.LBB112_1178:
	s_waitcnt lgkmcnt(0)
	v_cmp_eq_f64_e32 vcc, 0, v[228:229]
	v_cmp_eq_f64_e64 s[0:1], 0, v[230:231]
	s_and_b64 s[0:1], vcc, s[0:1]
	s_and_saveexec_b64 s[16:17], s[0:1]
	s_xor_b64 s[0:1], exec, s[16:17]
; %bb.1179:
	v_cmp_ne_u32_e32 vcc, 0, v242
	s_nop 1
	v_cndmask_b32_e32 v242, 57, v242, vcc
; %bb.1180:
	s_andn2_saveexec_b64 s[0:1], s[0:1]
	s_cbranch_execz .LBB112_1186
; %bb.1181:
	v_cmp_ngt_f64_e64 s[16:17], |v[228:229]|, |v[230:231]|
	s_and_saveexec_b64 s[18:19], s[16:17]
	s_xor_b64 s[16:17], exec, s[18:19]
	s_cbranch_execz .LBB112_1183
; %bb.1182:
	v_div_scale_f64 v[148:149], s[18:19], v[230:231], v[230:231], v[228:229]
	v_rcp_f64_e32 v[150:151], v[148:149]
	v_div_scale_f64 v[156:157], vcc, v[228:229], v[230:231], v[228:229]
	v_fma_f64 v[158:159], -v[148:149], v[150:151], 1.0
	v_fmac_f64_e32 v[150:151], v[150:151], v[158:159]
	v_fma_f64 v[158:159], -v[148:149], v[150:151], 1.0
	v_fmac_f64_e32 v[150:151], v[150:151], v[158:159]
	v_mul_f64 v[158:159], v[156:157], v[150:151]
	v_fma_f64 v[148:149], -v[148:149], v[158:159], v[156:157]
	v_div_fmas_f64 v[148:149], v[148:149], v[150:151], v[158:159]
	v_div_fixup_f64 v[148:149], v[148:149], v[230:231], v[228:229]
	v_fmac_f64_e32 v[230:231], v[228:229], v[148:149]
	v_div_scale_f64 v[150:151], s[18:19], v[230:231], v[230:231], 1.0
	v_rcp_f64_e32 v[156:157], v[150:151]
	s_nop 0
	v_fma_f64 v[158:159], -v[150:151], v[156:157], 1.0
	v_fmac_f64_e32 v[156:157], v[156:157], v[158:159]
	v_fma_f64 v[158:159], -v[150:151], v[156:157], 1.0
	v_fmac_f64_e32 v[156:157], v[156:157], v[158:159]
	v_div_scale_f64 v[158:159], vcc, 1.0, v[230:231], 1.0
	v_mul_f64 v[220:221], v[158:159], v[156:157]
	v_fma_f64 v[150:151], -v[150:151], v[220:221], v[158:159]
	s_nop 1
	v_div_fmas_f64 v[150:151], v[150:151], v[156:157], v[220:221]
	v_div_fixup_f64 v[230:231], v[150:151], v[230:231], 1.0
	v_mul_f64 v[228:229], v[148:149], v[230:231]
	v_xor_b32_e32 v231, 0x80000000, v231
.LBB112_1183:
	s_andn2_saveexec_b64 s[16:17], s[16:17]
	s_cbranch_execz .LBB112_1185
; %bb.1184:
	v_div_scale_f64 v[148:149], s[18:19], v[228:229], v[228:229], v[230:231]
	v_rcp_f64_e32 v[150:151], v[148:149]
	v_div_scale_f64 v[156:157], vcc, v[230:231], v[228:229], v[230:231]
	v_fma_f64 v[158:159], -v[148:149], v[150:151], 1.0
	v_fmac_f64_e32 v[150:151], v[150:151], v[158:159]
	v_fma_f64 v[158:159], -v[148:149], v[150:151], 1.0
	v_fmac_f64_e32 v[150:151], v[150:151], v[158:159]
	v_mul_f64 v[158:159], v[156:157], v[150:151]
	v_fma_f64 v[148:149], -v[148:149], v[158:159], v[156:157]
	v_div_fmas_f64 v[148:149], v[148:149], v[150:151], v[158:159]
	v_div_fixup_f64 v[148:149], v[148:149], v[228:229], v[230:231]
	v_fmac_f64_e32 v[228:229], v[230:231], v[148:149]
	v_div_scale_f64 v[150:151], s[18:19], v[228:229], v[228:229], 1.0
	v_rcp_f64_e32 v[156:157], v[150:151]
	s_nop 0
	v_fma_f64 v[158:159], -v[150:151], v[156:157], 1.0
	v_fmac_f64_e32 v[156:157], v[156:157], v[158:159]
	v_fma_f64 v[158:159], -v[150:151], v[156:157], 1.0
	v_fmac_f64_e32 v[156:157], v[156:157], v[158:159]
	v_div_scale_f64 v[158:159], vcc, 1.0, v[228:229], 1.0
	v_mul_f64 v[220:221], v[158:159], v[156:157]
	v_fma_f64 v[150:151], -v[150:151], v[220:221], v[158:159]
	s_nop 1
	v_div_fmas_f64 v[150:151], v[150:151], v[156:157], v[220:221]
	v_div_fixup_f64 v[228:229], v[150:151], v[228:229], 1.0
	v_mul_f64 v[230:231], v[148:149], -v[228:229]
.LBB112_1185:
	s_or_b64 exec, exec, s[16:17]
.LBB112_1186:
	s_or_b64 exec, exec, s[0:1]
	v_mov_b64_e32 v[0:1], v[232:233]
	v_mov_b64_e32 v[2:3], v[234:235]
	v_cmp_ne_u32_e32 vcc, v241, v238
	v_mov_b32_e32 v240, 56
	s_and_saveexec_b64 s[0:1], vcc
	s_cbranch_execz .LBB112_1192
; %bb.1187:
	v_cmp_eq_u32_e32 vcc, 56, v241
	s_and_saveexec_b64 s[16:17], vcc
	s_cbranch_execz .LBB112_1191
; %bb.1188:
	v_cmp_ne_u32_e32 vcc, 56, v238
	s_xor_b64 s[14:15], s[14:15], -1
	s_and_b64 s[18:19], s[14:15], vcc
	s_and_saveexec_b64 s[14:15], s[18:19]
	s_cbranch_execz .LBB112_1190
; %bb.1189:
	v_ashrrev_i32_e32 v239, 31, v238
	v_lshl_add_u64 v[148:149], v[238:239], 2, v[8:9]
	global_load_dword v150, v[148:149], off
	global_load_dword v151, v[8:9], off offset:224
	s_waitcnt vmcnt(1)
	global_store_dword v[8:9], v150, off offset:224
	s_waitcnt vmcnt(1)
	global_store_dword v[148:149], v151, off
.LBB112_1190:
	s_or_b64 exec, exec, s[14:15]
	v_mov_b32_e32 v241, v238
	v_mov_b32_e32 v236, v238
.LBB112_1191:
	s_or_b64 exec, exec, s[16:17]
	v_mov_b32_e32 v240, v241
.LBB112_1192:
	s_or_b64 exec, exec, s[0:1]
	v_cmp_gt_i32_e32 vcc, 57, v240
	v_ashrrev_i32_e32 v241, 31, v240
	s_barrier
	s_barrier
	s_and_saveexec_b64 s[0:1], vcc
	s_cbranch_execz .LBB112_1194
; %bb.1193:
	v_mov_b32_e32 v148, s6
	v_mov_b32_e32 v149, s7
	v_mul_lo_u32 v156, s11, v222
	v_mul_lo_u32 v157, s10, v223
	v_mad_u64_u32 v[150:151], s[6:7], s10, v222, 0
	v_add3_u32 v151, v151, v157, v156
	v_lshl_add_u64 v[148:149], v[150:151], 2, v[148:149]
	v_lshl_add_u64 v[148:149], s[8:9], 2, v[148:149]
	;; [unrolled: 1-line block ×3, first 2 shown]
	v_add3_u32 v150, v236, s13, 1
	global_store_dword v[148:149], v150, off
.LBB112_1194:
	s_or_b64 exec, exec, s[0:1]
	v_cmp_eq_u32_e32 vcc, 0, v240
	s_and_saveexec_b64 s[6:7], vcc
	s_cbranch_execz .LBB112_1197
; %bb.1195:
	v_mov_b32_e32 v148, s4
	v_mov_b32_e32 v149, s5
	v_lshl_add_u64 v[234:235], v[222:223], 2, v[148:149]
	global_load_dword v148, v[234:235], off
	v_cmp_ne_u32_e64 s[0:1], 0, v242
	s_waitcnt vmcnt(0)
	v_cmp_eq_u32_e32 vcc, 0, v148
	s_and_b64 s[0:1], vcc, s[0:1]
	s_and_b64 exec, exec, s[0:1]
	s_cbranch_execz .LBB112_1197
; %bb.1196:
	v_add_u32_e32 v148, s13, v242
	global_store_dword v[234:235], v148, off
.LBB112_1197:
	s_or_b64 exec, exec, s[6:7]
	scratch_load_dwordx2 v[156:157], off, off offset:48 ; 8-byte Folded Reload
	scratch_load_dwordx4 v[8:11], off, off offset:32 ; 16-byte Folded Reload
	v_mul_f64 v[148:149], v[230:231], v[226:227]
	v_fma_f64 v[148:149], v[228:229], v[224:225], -v[148:149]
	v_mul_f64 v[150:151], v[228:229], v[226:227]
	v_cmp_lt_i32_e32 vcc, 56, v240
	v_fmac_f64_e32 v[150:151], v[230:231], v[224:225]
	s_nop 0
	v_cndmask_b32_e32 v225, v225, v149, vcc
	v_cndmask_b32_e32 v224, v224, v148, vcc
	;; [unrolled: 1-line block ×4, first 2 shown]
	s_waitcnt vmcnt(1)
	v_lshl_add_u64 v[148:149], v[240:241], 4, v[156:157]
	s_waitcnt vmcnt(0)
	global_store_dwordx4 v[148:149], v[8:11], off
	scratch_load_dwordx4 v[8:11], off, off offset:16 ; 16-byte Folded Reload
	v_lshl_add_u64 v[148:149], s[2:3], 4, v[148:149]
	s_waitcnt vmcnt(0)
	global_store_dwordx4 v[148:149], v[8:11], off
	scratch_load_dwordx4 v[8:11], off, off  ; 16-byte Folded Reload
	v_add_u32_e32 v148, s12, v240
	v_ashrrev_i32_e32 v149, 31, v148
	v_lshl_add_u64 v[150:151], v[148:149], 4, v[156:157]
	v_add_u32_e32 v148, s2, v148
	v_ashrrev_i32_e32 v149, 31, v148
	s_waitcnt vmcnt(0)
	global_store_dwordx4 v[150:151], v[8:11], off
	v_lshl_add_u64 v[150:151], v[148:149], 4, v[156:157]
	v_add_u32_e32 v148, s2, v148
	v_ashrrev_i32_e32 v149, 31, v148
	global_store_dwordx4 v[150:151], v[0:3], off
	v_lshl_add_u64 v[150:151], v[148:149], 4, v[156:157]
	v_add_u32_e32 v148, s2, v148
	v_ashrrev_i32_e32 v149, 31, v148
	;; [unrolled: 4-line block ×16, first 2 shown]
	global_store_dwordx4 v[150:151], v[152:155], off
	v_lshl_add_u64 v[150:151], v[148:149], 4, v[156:157]
	global_store_dwordx4 v[150:151], v[144:147], off
	s_nop 1
	v_add_u32_e32 v144, s2, v148
	v_ashrrev_i32_e32 v145, 31, v144
	v_lshl_add_u64 v[146:147], v[144:145], 4, v[156:157]
	global_store_dwordx4 v[146:147], v[140:143], off
	s_nop 1
	v_add_u32_e32 v140, s2, v144
	v_ashrrev_i32_e32 v141, 31, v140
	v_lshl_add_u64 v[142:143], v[140:141], 4, v[156:157]
	global_store_dwordx4 v[142:143], v[136:139], off
	s_nop 1
	v_add_u32_e32 v136, s2, v140
	v_ashrrev_i32_e32 v137, 31, v136
	v_lshl_add_u64 v[138:139], v[136:137], 4, v[156:157]
	global_store_dwordx4 v[138:139], v[132:135], off
	s_nop 1
	v_add_u32_e32 v132, s2, v136
	v_ashrrev_i32_e32 v133, 31, v132
	v_lshl_add_u64 v[134:135], v[132:133], 4, v[156:157]
	global_store_dwordx4 v[134:135], v[128:131], off
	s_nop 1
	v_add_u32_e32 v128, s2, v132
	v_ashrrev_i32_e32 v129, 31, v128
	v_lshl_add_u64 v[130:131], v[128:129], 4, v[156:157]
	global_store_dwordx4 v[130:131], v[124:127], off
	s_nop 1
	v_add_u32_e32 v124, s2, v128
	v_ashrrev_i32_e32 v125, 31, v124
	v_lshl_add_u64 v[126:127], v[124:125], 4, v[156:157]
	global_store_dwordx4 v[126:127], v[120:123], off
	s_nop 1
	v_add_u32_e32 v120, s2, v124
	v_ashrrev_i32_e32 v121, 31, v120
	v_lshl_add_u64 v[122:123], v[120:121], 4, v[156:157]
	global_store_dwordx4 v[122:123], v[116:119], off
	s_nop 1
	v_add_u32_e32 v116, s2, v120
	v_ashrrev_i32_e32 v117, 31, v116
	v_lshl_add_u64 v[118:119], v[116:117], 4, v[156:157]
	global_store_dwordx4 v[118:119], v[112:115], off
	s_nop 1
	v_add_u32_e32 v112, s2, v116
	v_ashrrev_i32_e32 v113, 31, v112
	v_lshl_add_u64 v[114:115], v[112:113], 4, v[156:157]
	global_store_dwordx4 v[114:115], v[108:111], off
	s_nop 1
	v_add_u32_e32 v108, s2, v112
	v_ashrrev_i32_e32 v109, 31, v108
	v_lshl_add_u64 v[110:111], v[108:109], 4, v[156:157]
	global_store_dwordx4 v[110:111], v[104:107], off
	s_nop 1
	v_add_u32_e32 v104, s2, v108
	v_ashrrev_i32_e32 v105, 31, v104
	v_lshl_add_u64 v[106:107], v[104:105], 4, v[156:157]
	global_store_dwordx4 v[106:107], v[100:103], off
	s_nop 1
	v_add_u32_e32 v100, s2, v104
	v_ashrrev_i32_e32 v101, 31, v100
	v_lshl_add_u64 v[102:103], v[100:101], 4, v[156:157]
	global_store_dwordx4 v[102:103], v[96:99], off
	s_nop 1
	v_add_u32_e32 v96, s2, v100
	v_ashrrev_i32_e32 v97, 31, v96
	v_lshl_add_u64 v[98:99], v[96:97], 4, v[156:157]
	global_store_dwordx4 v[98:99], v[92:95], off
	s_nop 1
	v_add_u32_e32 v92, s2, v96
	v_ashrrev_i32_e32 v93, 31, v92
	v_lshl_add_u64 v[94:95], v[92:93], 4, v[156:157]
	global_store_dwordx4 v[94:95], v[88:91], off
	s_nop 1
	v_add_u32_e32 v88, s2, v92
	v_ashrrev_i32_e32 v89, 31, v88
	v_lshl_add_u64 v[90:91], v[88:89], 4, v[156:157]
	global_store_dwordx4 v[90:91], v[84:87], off
	s_nop 1
	v_add_u32_e32 v84, s2, v88
	v_ashrrev_i32_e32 v85, 31, v84
	v_lshl_add_u64 v[86:87], v[84:85], 4, v[156:157]
	global_store_dwordx4 v[86:87], v[80:83], off
	s_nop 1
	v_add_u32_e32 v80, s2, v84
	v_ashrrev_i32_e32 v81, 31, v80
	v_lshl_add_u64 v[82:83], v[80:81], 4, v[156:157]
	global_store_dwordx4 v[82:83], v[76:79], off
	s_nop 1
	v_add_u32_e32 v76, s2, v80
	v_ashrrev_i32_e32 v77, 31, v76
	v_lshl_add_u64 v[78:79], v[76:77], 4, v[156:157]
	global_store_dwordx4 v[78:79], v[72:75], off
	s_nop 1
	v_add_u32_e32 v72, s2, v76
	v_ashrrev_i32_e32 v73, 31, v72
	v_lshl_add_u64 v[74:75], v[72:73], 4, v[156:157]
	global_store_dwordx4 v[74:75], v[68:71], off
	s_nop 1
	v_add_u32_e32 v68, s2, v72
	v_ashrrev_i32_e32 v69, 31, v68
	v_lshl_add_u64 v[70:71], v[68:69], 4, v[156:157]
	global_store_dwordx4 v[70:71], v[64:67], off
	s_nop 1
	v_add_u32_e32 v64, s2, v68
	v_ashrrev_i32_e32 v65, 31, v64
	v_lshl_add_u64 v[66:67], v[64:65], 4, v[156:157]
	global_store_dwordx4 v[66:67], v[60:63], off
	s_nop 1
	v_add_u32_e32 v60, s2, v64
	v_ashrrev_i32_e32 v61, 31, v60
	v_lshl_add_u64 v[62:63], v[60:61], 4, v[156:157]
	global_store_dwordx4 v[62:63], v[56:59], off
	s_nop 1
	v_add_u32_e32 v56, s2, v60
	v_ashrrev_i32_e32 v57, 31, v56
	v_lshl_add_u64 v[58:59], v[56:57], 4, v[156:157]
	global_store_dwordx4 v[58:59], v[52:55], off
	s_nop 1
	v_add_u32_e32 v52, s2, v56
	v_ashrrev_i32_e32 v53, 31, v52
	v_lshl_add_u64 v[54:55], v[52:53], 4, v[156:157]
	global_store_dwordx4 v[54:55], v[48:51], off
	s_nop 1
	v_add_u32_e32 v48, s2, v52
	v_ashrrev_i32_e32 v49, 31, v48
	v_lshl_add_u64 v[50:51], v[48:49], 4, v[156:157]
	global_store_dwordx4 v[50:51], v[44:47], off
	s_nop 1
	v_add_u32_e32 v44, s2, v48
	v_ashrrev_i32_e32 v45, 31, v44
	v_lshl_add_u64 v[46:47], v[44:45], 4, v[156:157]
	global_store_dwordx4 v[46:47], v[40:43], off
	s_nop 1
	v_add_u32_e32 v40, s2, v44
	v_ashrrev_i32_e32 v41, 31, v40
	v_lshl_add_u64 v[42:43], v[40:41], 4, v[156:157]
	global_store_dwordx4 v[42:43], v[36:39], off
	s_nop 1
	v_add_u32_e32 v36, s2, v40
	v_ashrrev_i32_e32 v37, 31, v36
	v_lshl_add_u64 v[38:39], v[36:37], 4, v[156:157]
	global_store_dwordx4 v[38:39], v[32:35], off
	s_nop 1
	v_add_u32_e32 v32, s2, v36
	v_ashrrev_i32_e32 v33, 31, v32
	v_lshl_add_u64 v[34:35], v[32:33], 4, v[156:157]
	global_store_dwordx4 v[34:35], v[28:31], off
	s_nop 1
	v_add_u32_e32 v28, s2, v32
	v_ashrrev_i32_e32 v29, 31, v28
	v_lshl_add_u64 v[30:31], v[28:29], 4, v[156:157]
	global_store_dwordx4 v[30:31], v[24:27], off
	s_nop 1
	v_add_u32_e32 v24, s2, v28
	v_ashrrev_i32_e32 v25, 31, v24
	v_lshl_add_u64 v[26:27], v[24:25], 4, v[156:157]
	global_store_dwordx4 v[26:27], v[20:23], off
	s_nop 1
	v_add_u32_e32 v20, s2, v24
	v_ashrrev_i32_e32 v21, 31, v20
	v_lshl_add_u64 v[22:23], v[20:21], 4, v[156:157]
	global_store_dwordx4 v[22:23], v[16:19], off
	s_nop 1
	v_add_u32_e32 v16, s2, v20
	v_ashrrev_i32_e32 v17, 31, v16
	v_lshl_add_u64 v[18:19], v[16:17], 4, v[156:157]
	global_store_dwordx4 v[18:19], v[12:15], off
	s_nop 1
	v_add_u32_e32 v12, s2, v16
	v_add_u32_e32 v8, s2, v12
	v_ashrrev_i32_e32 v13, 31, v12
	v_ashrrev_i32_e32 v9, 31, v8
	v_lshl_add_u64 v[14:15], v[12:13], 4, v[156:157]
	v_lshl_add_u64 v[10:11], v[8:9], 4, v[156:157]
	global_store_dwordx4 v[14:15], v[212:215], off
	global_store_dwordx4 v[10:11], v[4:7], off
	s_nop 1
	v_add_u32_e32 v4, s2, v8
	v_add_u32_e32 v0, s2, v4
	v_ashrrev_i32_e32 v5, 31, v4
	v_ashrrev_i32_e32 v1, 31, v0
	v_lshl_add_u64 v[6:7], v[4:5], 4, v[156:157]
	v_lshl_add_u64 v[0:1], v[0:1], 4, v[156:157]
	global_store_dwordx4 v[6:7], v[250:253], off
	global_store_dwordx4 v[0:1], v[224:227], off
.LBB112_1198:
	s_endpgm
	.section	.rodata,"a",@progbits
	.p2align	6, 0x0
	.amdhsa_kernel _ZN9rocsolver6v33100L18getf2_small_kernelILi57E19rocblas_complex_numIdEiiPS3_EEvT1_T3_lS5_lPS5_llPT2_S5_S5_S7_l
		.amdhsa_group_segment_fixed_size 0
		.amdhsa_private_segment_fixed_size 72
		.amdhsa_kernarg_size 352
		.amdhsa_user_sgpr_count 2
		.amdhsa_user_sgpr_dispatch_ptr 0
		.amdhsa_user_sgpr_queue_ptr 0
		.amdhsa_user_sgpr_kernarg_segment_ptr 1
		.amdhsa_user_sgpr_dispatch_id 0
		.amdhsa_user_sgpr_kernarg_preload_length 0
		.amdhsa_user_sgpr_kernarg_preload_offset 0
		.amdhsa_user_sgpr_private_segment_size 0
		.amdhsa_uses_dynamic_stack 0
		.amdhsa_enable_private_segment 1
		.amdhsa_system_sgpr_workgroup_id_x 1
		.amdhsa_system_sgpr_workgroup_id_y 1
		.amdhsa_system_sgpr_workgroup_id_z 0
		.amdhsa_system_sgpr_workgroup_info 0
		.amdhsa_system_vgpr_workitem_id 1
		.amdhsa_next_free_vgpr 256
		.amdhsa_next_free_sgpr 26
		.amdhsa_accum_offset 256
		.amdhsa_reserve_vcc 1
		.amdhsa_float_round_mode_32 0
		.amdhsa_float_round_mode_16_64 0
		.amdhsa_float_denorm_mode_32 3
		.amdhsa_float_denorm_mode_16_64 3
		.amdhsa_dx10_clamp 1
		.amdhsa_ieee_mode 1
		.amdhsa_fp16_overflow 0
		.amdhsa_tg_split 0
		.amdhsa_exception_fp_ieee_invalid_op 0
		.amdhsa_exception_fp_denorm_src 0
		.amdhsa_exception_fp_ieee_div_zero 0
		.amdhsa_exception_fp_ieee_overflow 0
		.amdhsa_exception_fp_ieee_underflow 0
		.amdhsa_exception_fp_ieee_inexact 0
		.amdhsa_exception_int_div_zero 0
	.end_amdhsa_kernel
	.section	.text._ZN9rocsolver6v33100L18getf2_small_kernelILi57E19rocblas_complex_numIdEiiPS3_EEvT1_T3_lS5_lPS5_llPT2_S5_S5_S7_l,"axG",@progbits,_ZN9rocsolver6v33100L18getf2_small_kernelILi57E19rocblas_complex_numIdEiiPS3_EEvT1_T3_lS5_lPS5_llPT2_S5_S5_S7_l,comdat
.Lfunc_end112:
	.size	_ZN9rocsolver6v33100L18getf2_small_kernelILi57E19rocblas_complex_numIdEiiPS3_EEvT1_T3_lS5_lPS5_llPT2_S5_S5_S7_l, .Lfunc_end112-_ZN9rocsolver6v33100L18getf2_small_kernelILi57E19rocblas_complex_numIdEiiPS3_EEvT1_T3_lS5_lPS5_llPT2_S5_S5_S7_l
                                        ; -- End function
	.set _ZN9rocsolver6v33100L18getf2_small_kernelILi57E19rocblas_complex_numIdEiiPS3_EEvT1_T3_lS5_lPS5_llPT2_S5_S5_S7_l.num_vgpr, 256
	.set _ZN9rocsolver6v33100L18getf2_small_kernelILi57E19rocblas_complex_numIdEiiPS3_EEvT1_T3_lS5_lPS5_llPT2_S5_S5_S7_l.num_agpr, 0
	.set _ZN9rocsolver6v33100L18getf2_small_kernelILi57E19rocblas_complex_numIdEiiPS3_EEvT1_T3_lS5_lPS5_llPT2_S5_S5_S7_l.numbered_sgpr, 26
	.set _ZN9rocsolver6v33100L18getf2_small_kernelILi57E19rocblas_complex_numIdEiiPS3_EEvT1_T3_lS5_lPS5_llPT2_S5_S5_S7_l.num_named_barrier, 0
	.set _ZN9rocsolver6v33100L18getf2_small_kernelILi57E19rocblas_complex_numIdEiiPS3_EEvT1_T3_lS5_lPS5_llPT2_S5_S5_S7_l.private_seg_size, 72
	.set _ZN9rocsolver6v33100L18getf2_small_kernelILi57E19rocblas_complex_numIdEiiPS3_EEvT1_T3_lS5_lPS5_llPT2_S5_S5_S7_l.uses_vcc, 1
	.set _ZN9rocsolver6v33100L18getf2_small_kernelILi57E19rocblas_complex_numIdEiiPS3_EEvT1_T3_lS5_lPS5_llPT2_S5_S5_S7_l.uses_flat_scratch, 0
	.set _ZN9rocsolver6v33100L18getf2_small_kernelILi57E19rocblas_complex_numIdEiiPS3_EEvT1_T3_lS5_lPS5_llPT2_S5_S5_S7_l.has_dyn_sized_stack, 0
	.set _ZN9rocsolver6v33100L18getf2_small_kernelILi57E19rocblas_complex_numIdEiiPS3_EEvT1_T3_lS5_lPS5_llPT2_S5_S5_S7_l.has_recursion, 0
	.set _ZN9rocsolver6v33100L18getf2_small_kernelILi57E19rocblas_complex_numIdEiiPS3_EEvT1_T3_lS5_lPS5_llPT2_S5_S5_S7_l.has_indirect_call, 0
	.section	.AMDGPU.csdata,"",@progbits
; Kernel info:
; codeLenInByte = 154212
; TotalNumSgprs: 32
; NumVgprs: 256
; NumAgprs: 0
; TotalNumVgprs: 256
; ScratchSize: 72
; MemoryBound: 0
; FloatMode: 240
; IeeeMode: 1
; LDSByteSize: 0 bytes/workgroup (compile time only)
; SGPRBlocks: 3
; VGPRBlocks: 31
; NumSGPRsForWavesPerEU: 32
; NumVGPRsForWavesPerEU: 256
; AccumOffset: 256
; Occupancy: 2
; WaveLimiterHint : 0
; COMPUTE_PGM_RSRC2:SCRATCH_EN: 1
; COMPUTE_PGM_RSRC2:USER_SGPR: 2
; COMPUTE_PGM_RSRC2:TRAP_HANDLER: 0
; COMPUTE_PGM_RSRC2:TGID_X_EN: 1
; COMPUTE_PGM_RSRC2:TGID_Y_EN: 1
; COMPUTE_PGM_RSRC2:TGID_Z_EN: 0
; COMPUTE_PGM_RSRC2:TIDIG_COMP_CNT: 1
; COMPUTE_PGM_RSRC3_GFX90A:ACCUM_OFFSET: 63
; COMPUTE_PGM_RSRC3_GFX90A:TG_SPLIT: 0
	.section	.text._ZN9rocsolver6v33100L23getf2_npvt_small_kernelILi57E19rocblas_complex_numIdEiiPS3_EEvT1_T3_lS5_lPT2_S5_S5_,"axG",@progbits,_ZN9rocsolver6v33100L23getf2_npvt_small_kernelILi57E19rocblas_complex_numIdEiiPS3_EEvT1_T3_lS5_lPT2_S5_S5_,comdat
	.globl	_ZN9rocsolver6v33100L23getf2_npvt_small_kernelILi57E19rocblas_complex_numIdEiiPS3_EEvT1_T3_lS5_lPT2_S5_S5_ ; -- Begin function _ZN9rocsolver6v33100L23getf2_npvt_small_kernelILi57E19rocblas_complex_numIdEiiPS3_EEvT1_T3_lS5_lPT2_S5_S5_
	.p2align	8
	.type	_ZN9rocsolver6v33100L23getf2_npvt_small_kernelILi57E19rocblas_complex_numIdEiiPS3_EEvT1_T3_lS5_lPT2_S5_S5_,@function
_ZN9rocsolver6v33100L23getf2_npvt_small_kernelILi57E19rocblas_complex_numIdEiiPS3_EEvT1_T3_lS5_lPT2_S5_S5_: ; @_ZN9rocsolver6v33100L23getf2_npvt_small_kernelILi57E19rocblas_complex_numIdEiiPS3_EEvT1_T3_lS5_lPT2_S5_S5_
; %bb.0:
	s_load_dword s2, s[0:1], 0x44
	s_load_dwordx2 s[8:9], s[0:1], 0x30
	v_bfe_u32 v2, v0, 10, 10
	s_waitcnt lgkmcnt(0)
	s_lshr_b32 s2, s2, 16
	s_mul_i32 s3, s3, s2
	v_add_u32_e32 v4, s3, v2
	v_cmp_gt_i32_e32 vcc, s8, v4
	s_and_saveexec_b64 s[4:5], vcc
	s_cbranch_execnz .LBB113_1
; %bb.517:
	s_getpc_b64 s[16:17]
.Lpost_getpc10:
	s_add_u32 s16, s16, (.LBB113_516-.Lpost_getpc10)&4294967295
	s_addc_u32 s17, s17, (.LBB113_516-.Lpost_getpc10)>>32
	s_setpc_b64 s[16:17]
.LBB113_1:
	s_load_dwordx4 s[12:15], s[0:1], 0x8
	s_load_dword s10, s[0:1], 0x18
	s_load_dwordx4 s[4:7], s[0:1], 0x20
	v_ashrrev_i32_e32 v5, 31, v4
	scratch_store_dwordx2 off, v[4:5], off offset:1304 ; 8-byte Folded Spill
	v_and_b32_e32 v200, 0x3ff, v0
	s_waitcnt lgkmcnt(0)
	v_mov_b32_e32 v0, s12
	v_mul_lo_u32 v3, s5, v4
	v_mul_lo_u32 v6, s4, v5
	v_mad_u64_u32 v[4:5], s[0:1], s4, v4, 0
	v_mov_b32_e32 v1, s13
	v_add3_u32 v5, v5, v6, v3
	v_lshl_add_u64 v[0:1], v[4:5], 4, v[0:1]
	v_lshl_add_u64 v[0:1], s[14:15], 4, v[0:1]
	v_lshlrev_b32_e32 v4, 4, v200
	v_mov_b32_e32 v5, 0
	s_add_i32 s0, s10, s10
	v_lshl_add_u64 v[6:7], v[0:1], 0, v[4:5]
	v_add_u32_e32 v4, s0, v200
	v_ashrrev_i32_e32 v5, 31, v4
	v_lshl_add_u64 v[8:9], v[4:5], 4, v[0:1]
	v_add_u32_e32 v4, s10, v4
	v_ashrrev_i32_e32 v5, 31, v4
	;; [unrolled: 3-line block ×54, first 2 shown]
	v_lshl_add_u64 v[236:237], v[4:5], 4, v[0:1]
	v_add_u32_e32 v4, s10, v4
	s_mulk_i32 s2, 0x390
	v_ashrrev_i32_e32 v5, 31, v4
	s_movk_i32 s0, 0x390
	s_add_i32 s1, s2, 0
	v_lshl_add_u64 v[238:239], v[4:5], 4, v[0:1]
	v_mad_u32_u24 v202, v2, s0, 0
	v_lshl_add_u32 v201, v2, 4, s1
	global_load_dwordx4 v[2:5], v[6:7], off
	s_ashr_i32 s11, s10, 31
	v_lshl_add_u64 v[0:1], s[10:11], 4, v[6:7]
	scratch_store_dwordx2 off, v[6:7], off offset:112 ; 8-byte Folded Spill
	v_cmp_ne_u32_e64 s[2:3], 0, v200
	v_cmp_eq_u32_e64 s[0:1], 0, v200
	s_waitcnt vmcnt(1)
	scratch_store_dwordx4 off, v[2:5], off offset:96 ; 16-byte Folded Spill
	scratch_store_dwordx2 off, v[0:1], off offset:560 ; 8-byte Folded Spill
	global_load_dwordx4 v[0:3], v[0:1], off
	s_waitcnt vmcnt(0)
	scratch_store_dwordx4 off, v[0:3], off offset:80 ; 16-byte Folded Spill
	scratch_store_dwordx2 off, v[8:9], off offset:120 ; 8-byte Folded Spill
	global_load_dwordx4 v[0:3], v[8:9], off
	;; [unrolled: 4-line block ×6, first 2 shown]
	s_nop 0
	global_load_dwordx4 v[4:7], v[18:19], off
	s_nop 0
	scratch_store_dwordx2 off, v[18:19], off offset:160 ; 8-byte Folded Spill
	s_waitcnt vmcnt(1)
	scratch_store_dwordx4 off, v[4:7], off  ; 16-byte Folded Spill
	scratch_store_dwordx2 off, v[20:21], off offset:168 ; 8-byte Folded Spill
	scratch_store_dwordx2 off, v[64:65], off offset:344 ; 8-byte Folded Spill
	global_load_dwordx4 v[100:103], v[64:65], off
	global_load_dwordx4 v[96:99], v[66:67], off
	;; [unrolled: 1-line block ×32, first 2 shown]
	s_nop 0
	scratch_store_dwordx2 off, v[66:67], off offset:352 ; 8-byte Folded Spill
	scratch_store_dwordx2 off, v[68:69], off offset:360 ; 8-byte Folded Spill
	;; [unrolled: 1-line block ×6, first 2 shown]
	global_load_dwordx4 v[76:79], v[76:77], off
	s_nop 0
	global_load_dwordx4 v[72:75], v[196:197], off
	global_load_dwordx4 v[68:71], v[198:199], off
	;; [unrolled: 1-line block ×3, first 2 shown]
	s_nop 0
	scratch_store_dwordx2 off, v[196:197], off offset:400 ; 8-byte Folded Spill
	scratch_store_dwordx2 off, v[198:199], off offset:408 ; 8-byte Folded Spill
	v_mov_b64_e32 v[198:199], v[2:3]
	scratch_store_dwordx2 off, v[22:23], off offset:176 ; 8-byte Folded Spill
	scratch_store_dwordx2 off, v[24:25], off offset:184 ; 8-byte Folded Spill
	;; [unrolled: 1-line block ×21, first 2 shown]
	v_mov_b64_e32 v[196:197], v[0:1]
	global_load_dwordx4 v[60:63], v[206:207], off
	global_load_dwordx4 v[56:59], v[208:209], off
	global_load_dwordx4 v[52:55], v[210:211], off
	global_load_dwordx4 v[48:51], v[212:213], off
	global_load_dwordx4 v[44:47], v[214:215], off
	global_load_dwordx4 v[40:43], v[216:217], off
	global_load_dwordx4 v[36:39], v[218:219], off
	global_load_dwordx4 v[32:35], v[220:221], off
	global_load_dwordx4 v[28:31], v[222:223], off
	global_load_dwordx4 v[24:27], v[224:225], off
	global_load_dwordx4 v[20:23], v[226:227], off
	global_load_dwordx4 v[0:3], v[236:237], off
	s_nop 0
	scratch_store_dwordx2 off, v[224:225], off offset:496 ; 8-byte Folded Spill
	scratch_store_dwordx2 off, v[226:227], off offset:504 ; 8-byte Folded Spill
	global_load_dwordx4 v[224:227], v[238:239], off
	s_nop 0
	scratch_store_dwordx2 off, v[204:205], off offset:416 ; 8-byte Folded Spill
	scratch_store_dwordx2 off, v[206:207], off offset:424 ; 8-byte Folded Spill
	;; [unrolled: 1-line block ×16, first 2 shown]
	s_and_saveexec_b64 s[10:11], s[0:1]
	s_cbranch_execz .LBB113_8
; %bb.2:
	scratch_load_dwordx4 v[192:195], off, off offset:96 ; 16-byte Folded Reload
	s_waitcnt vmcnt(0)
	ds_write2_b64 v201, v[192:193], v[194:195] offset1:1
	scratch_load_dwordx4 v[192:195], off, off offset:80 ; 16-byte Folded Reload
	s_waitcnt vmcnt(0)
	ds_write2_b64 v202, v[192:193], v[194:195] offset0:2 offset1:3
	scratch_load_dwordx4 v[192:195], off, off offset:64 ; 16-byte Folded Reload
	s_waitcnt vmcnt(0)
	ds_write2_b64 v202, v[192:193], v[194:195] offset0:4 offset1:5
	;; [unrolled: 3-line block ×5, first 2 shown]
	ds_write2_b64 v202, v[196:197], v[198:199] offset0:12 offset1:13
	scratch_load_dwordx4 v[192:195], off, off ; 16-byte Folded Reload
	s_waitcnt vmcnt(0)
	ds_write2_b64 v202, v[192:193], v[194:195] offset0:14 offset1:15
	ds_write2_b64 v202, v[188:189], v[190:191] offset0:16 offset1:17
	;; [unrolled: 1-line block ×50, first 2 shown]
	ds_read2_b64 v[208:211], v201 offset1:1
	s_waitcnt lgkmcnt(0)
	v_cmp_neq_f64_e32 vcc, 0, v[208:209]
	v_cmp_neq_f64_e64 s[4:5], 0, v[210:211]
	s_or_b64 s[4:5], vcc, s[4:5]
	s_and_b64 exec, exec, s[4:5]
	s_cbranch_execz .LBB113_8
; %bb.3:
	v_cmp_ngt_f64_e64 s[4:5], |v[208:209]|, |v[210:211]|
                                        ; implicit-def: $vgpr204_vgpr205
	s_and_saveexec_b64 s[12:13], s[4:5]
	s_xor_b64 s[4:5], exec, s[12:13]
                                        ; implicit-def: $vgpr206_vgpr207
	s_cbranch_execz .LBB113_5
; %bb.4:
	v_div_scale_f64 v[204:205], s[12:13], v[210:211], v[210:211], v[208:209]
	v_rcp_f64_e32 v[206:207], v[204:205]
	v_div_scale_f64 v[212:213], vcc, v[208:209], v[210:211], v[208:209]
	v_fma_f64 v[214:215], -v[204:205], v[206:207], 1.0
	v_fmac_f64_e32 v[206:207], v[206:207], v[214:215]
	v_fma_f64 v[214:215], -v[204:205], v[206:207], 1.0
	v_fmac_f64_e32 v[206:207], v[206:207], v[214:215]
	v_mul_f64 v[214:215], v[212:213], v[206:207]
	v_fma_f64 v[204:205], -v[204:205], v[214:215], v[212:213]
	v_div_fmas_f64 v[204:205], v[204:205], v[206:207], v[214:215]
	v_div_fixup_f64 v[204:205], v[204:205], v[210:211], v[208:209]
	v_fmac_f64_e32 v[210:211], v[208:209], v[204:205]
	v_div_scale_f64 v[206:207], s[12:13], v[210:211], v[210:211], 1.0
	v_rcp_f64_e32 v[208:209], v[206:207]
	s_nop 0
	v_fma_f64 v[212:213], -v[206:207], v[208:209], 1.0
	v_fmac_f64_e32 v[208:209], v[208:209], v[212:213]
	v_fma_f64 v[212:213], -v[206:207], v[208:209], 1.0
	v_fmac_f64_e32 v[208:209], v[208:209], v[212:213]
	v_div_scale_f64 v[212:213], vcc, 1.0, v[210:211], 1.0
	v_mul_f64 v[214:215], v[212:213], v[208:209]
	v_fma_f64 v[206:207], -v[206:207], v[214:215], v[212:213]
	s_nop 1
	v_div_fmas_f64 v[206:207], v[206:207], v[208:209], v[214:215]
	v_div_fixup_f64 v[206:207], v[206:207], v[210:211], 1.0
	v_mul_f64 v[204:205], v[204:205], v[206:207]
	v_xor_b32_e32 v207, 0x80000000, v207
                                        ; implicit-def: $vgpr208_vgpr209
.LBB113_5:
	s_andn2_saveexec_b64 s[4:5], s[4:5]
	s_cbranch_execz .LBB113_7
; %bb.6:
	v_div_scale_f64 v[204:205], s[12:13], v[208:209], v[208:209], v[210:211]
	v_rcp_f64_e32 v[206:207], v[204:205]
	v_div_scale_f64 v[212:213], vcc, v[210:211], v[208:209], v[210:211]
	v_fma_f64 v[214:215], -v[204:205], v[206:207], 1.0
	v_fmac_f64_e32 v[206:207], v[206:207], v[214:215]
	v_fma_f64 v[214:215], -v[204:205], v[206:207], 1.0
	v_fmac_f64_e32 v[206:207], v[206:207], v[214:215]
	v_mul_f64 v[214:215], v[212:213], v[206:207]
	v_fma_f64 v[204:205], -v[204:205], v[214:215], v[212:213]
	v_div_fmas_f64 v[204:205], v[204:205], v[206:207], v[214:215]
	v_div_fixup_f64 v[206:207], v[204:205], v[208:209], v[210:211]
	v_fmac_f64_e32 v[208:209], v[210:211], v[206:207]
	v_div_scale_f64 v[204:205], s[12:13], v[208:209], v[208:209], 1.0
	v_rcp_f64_e32 v[210:211], v[204:205]
	s_nop 0
	v_fma_f64 v[212:213], -v[204:205], v[210:211], 1.0
	v_fmac_f64_e32 v[210:211], v[210:211], v[212:213]
	v_fma_f64 v[212:213], -v[204:205], v[210:211], 1.0
	v_fmac_f64_e32 v[210:211], v[210:211], v[212:213]
	v_div_scale_f64 v[212:213], vcc, 1.0, v[208:209], 1.0
	v_mul_f64 v[214:215], v[212:213], v[210:211]
	v_fma_f64 v[204:205], -v[204:205], v[214:215], v[212:213]
	s_nop 1
	v_div_fmas_f64 v[204:205], v[204:205], v[210:211], v[214:215]
	v_div_fixup_f64 v[204:205], v[204:205], v[208:209], 1.0
	v_mul_f64 v[206:207], v[206:207], -v[204:205]
.LBB113_7:
	s_or_b64 exec, exec, s[4:5]
	ds_write2_b64 v201, v[204:205], v[206:207] offset1:1
.LBB113_8:
	s_or_b64 exec, exec, s[10:11]
	s_waitcnt lgkmcnt(0)
	s_barrier
	ds_read2_b64 v[192:195], v201 offset1:1
	s_waitcnt lgkmcnt(0)
	scratch_store_dwordx4 off, v[192:195], off offset:568 ; 16-byte Folded Spill
	s_and_saveexec_b64 s[4:5], s[2:3]
	s_cbranch_execz .LBB113_10
; %bb.9:
	scratch_load_dwordx4 v[210:213], off, off offset:96 ; 16-byte Folded Reload
	scratch_load_dwordx4 v[192:195], off, off offset:568 ; 16-byte Folded Reload
	s_waitcnt vmcnt(0)
	v_mul_f64 v[204:205], v[194:195], v[212:213]
	v_mul_f64 v[212:213], v[192:193], v[212:213]
	v_fma_f64 v[208:209], v[192:193], v[210:211], -v[204:205]
	v_fmac_f64_e32 v[212:213], v[194:195], v[210:211]
	scratch_load_dwordx4 v[192:195], off, off offset:80 ; 16-byte Folded Reload
	ds_read2_b64 v[204:207], v202 offset0:2 offset1:3
	s_waitcnt lgkmcnt(0)
	v_mul_f64 v[210:211], v[206:207], v[212:213]
	v_fma_f64 v[210:211], v[204:205], v[208:209], -v[210:211]
	v_mul_f64 v[204:205], v[204:205], v[212:213]
	v_fmac_f64_e32 v[204:205], v[206:207], v[208:209]
	s_waitcnt vmcnt(0)
	v_add_f64 v[192:193], v[192:193], -v[210:211]
	v_add_f64 v[194:195], v[194:195], -v[204:205]
	scratch_store_dwordx4 off, v[192:195], off offset:80 ; 16-byte Folded Spill
	scratch_load_dwordx4 v[192:195], off, off offset:64 ; 16-byte Folded Reload
	ds_read2_b64 v[204:207], v202 offset0:4 offset1:5
	s_waitcnt lgkmcnt(0)
	v_mul_f64 v[210:211], v[206:207], v[212:213]
	v_fma_f64 v[210:211], v[204:205], v[208:209], -v[210:211]
	v_mul_f64 v[204:205], v[204:205], v[212:213]
	v_fmac_f64_e32 v[204:205], v[206:207], v[208:209]
	s_waitcnt vmcnt(0)
	v_add_f64 v[192:193], v[192:193], -v[210:211]
	v_add_f64 v[194:195], v[194:195], -v[204:205]
	scratch_store_dwordx4 off, v[192:195], off offset:64 ; 16-byte Folded Spill
	;; [unrolled: 11-line block ×5, first 2 shown]
	scratch_load_dwordx4 v[192:195], off, off ; 16-byte Folded Reload
	ds_read2_b64 v[204:207], v202 offset0:12 offset1:13
	s_waitcnt lgkmcnt(0)
	v_mul_f64 v[210:211], v[206:207], v[212:213]
	v_fma_f64 v[210:211], v[204:205], v[208:209], -v[210:211]
	v_mul_f64 v[204:205], v[204:205], v[212:213]
	v_fmac_f64_e32 v[204:205], v[206:207], v[208:209]
	v_add_f64 v[198:199], v[198:199], -v[204:205]
	ds_read2_b64 v[204:207], v202 offset0:14 offset1:15
	v_add_f64 v[196:197], v[196:197], -v[210:211]
	s_waitcnt lgkmcnt(0)
	v_mul_f64 v[210:211], v[206:207], v[212:213]
	v_fma_f64 v[210:211], v[204:205], v[208:209], -v[210:211]
	v_mul_f64 v[204:205], v[204:205], v[212:213]
	v_fmac_f64_e32 v[204:205], v[206:207], v[208:209]
	s_waitcnt vmcnt(0)
	v_add_f64 v[194:195], v[194:195], -v[204:205]
	ds_read2_b64 v[204:207], v202 offset0:16 offset1:17
	v_add_f64 v[192:193], v[192:193], -v[210:211]
	scratch_store_dwordx4 off, v[192:195], off ; 16-byte Folded Spill
	s_waitcnt lgkmcnt(0)
	v_mul_f64 v[210:211], v[206:207], v[212:213]
	v_fma_f64 v[210:211], v[204:205], v[208:209], -v[210:211]
	v_mul_f64 v[204:205], v[204:205], v[212:213]
	v_fmac_f64_e32 v[204:205], v[206:207], v[208:209]
	v_add_f64 v[190:191], v[190:191], -v[204:205]
	ds_read2_b64 v[204:207], v202 offset0:18 offset1:19
	v_add_f64 v[188:189], v[188:189], -v[210:211]
	s_waitcnt lgkmcnt(0)
	v_mul_f64 v[210:211], v[206:207], v[212:213]
	v_fma_f64 v[210:211], v[204:205], v[208:209], -v[210:211]
	v_mul_f64 v[204:205], v[204:205], v[212:213]
	v_fmac_f64_e32 v[204:205], v[206:207], v[208:209]
	v_add_f64 v[186:187], v[186:187], -v[204:205]
	ds_read2_b64 v[204:207], v202 offset0:20 offset1:21
	v_add_f64 v[184:185], v[184:185], -v[210:211]
	;; [unrolled: 8-line block ×48, first 2 shown]
	s_waitcnt lgkmcnt(0)
	v_mul_f64 v[210:211], v[206:207], v[212:213]
	v_fma_f64 v[210:211], v[204:205], v[208:209], -v[210:211]
	v_mul_f64 v[204:205], v[204:205], v[212:213]
	v_fmac_f64_e32 v[204:205], v[206:207], v[208:209]
	v_add_f64 v[224:225], v[224:225], -v[210:211]
	v_add_f64 v[226:227], v[226:227], -v[204:205]
	v_mov_b64_e32 v[210:211], v[208:209]
	scratch_store_dwordx4 off, v[210:213], off offset:96 ; 16-byte Folded Spill
.LBB113_10:
	s_or_b64 exec, exec, s[4:5]
	v_cmp_eq_u32_e32 vcc, 1, v200
	s_waitcnt vmcnt(63) expcnt(7) lgkmcnt(15)
	s_barrier
	s_and_saveexec_b64 s[4:5], vcc
	s_cbranch_execz .LBB113_17
; %bb.11:
	scratch_load_dwordx4 v[192:195], off, off offset:80 ; 16-byte Folded Reload
	s_waitcnt vmcnt(0)
	ds_write2_b64 v201, v[192:193], v[194:195] offset1:1
	scratch_load_dwordx4 v[192:195], off, off offset:64 ; 16-byte Folded Reload
	s_waitcnt vmcnt(0)
	ds_write2_b64 v202, v[192:193], v[194:195] offset0:4 offset1:5
	scratch_load_dwordx4 v[192:195], off, off offset:48 ; 16-byte Folded Reload
	s_waitcnt vmcnt(0)
	ds_write2_b64 v202, v[192:193], v[194:195] offset0:6 offset1:7
	;; [unrolled: 3-line block ×4, first 2 shown]
	ds_write2_b64 v202, v[196:197], v[198:199] offset0:12 offset1:13
	scratch_load_dwordx4 v[192:195], off, off ; 16-byte Folded Reload
	s_waitcnt vmcnt(0)
	ds_write2_b64 v202, v[192:193], v[194:195] offset0:14 offset1:15
	ds_write2_b64 v202, v[188:189], v[190:191] offset0:16 offset1:17
	;; [unrolled: 1-line block ×50, first 2 shown]
	ds_read2_b64 v[208:211], v201 offset1:1
	s_waitcnt lgkmcnt(0)
	v_cmp_neq_f64_e32 vcc, 0, v[208:209]
	v_cmp_neq_f64_e64 s[2:3], 0, v[210:211]
	s_or_b64 s[2:3], vcc, s[2:3]
	s_and_b64 exec, exec, s[2:3]
	s_cbranch_execz .LBB113_17
; %bb.12:
	v_cmp_ngt_f64_e64 s[2:3], |v[208:209]|, |v[210:211]|
                                        ; implicit-def: $vgpr204_vgpr205
	s_and_saveexec_b64 s[10:11], s[2:3]
	s_xor_b64 s[2:3], exec, s[10:11]
                                        ; implicit-def: $vgpr206_vgpr207
	s_cbranch_execz .LBB113_14
; %bb.13:
	v_div_scale_f64 v[204:205], s[10:11], v[210:211], v[210:211], v[208:209]
	v_rcp_f64_e32 v[206:207], v[204:205]
	v_div_scale_f64 v[212:213], vcc, v[208:209], v[210:211], v[208:209]
	v_fma_f64 v[214:215], -v[204:205], v[206:207], 1.0
	v_fmac_f64_e32 v[206:207], v[206:207], v[214:215]
	v_fma_f64 v[214:215], -v[204:205], v[206:207], 1.0
	v_fmac_f64_e32 v[206:207], v[206:207], v[214:215]
	v_mul_f64 v[214:215], v[212:213], v[206:207]
	v_fma_f64 v[204:205], -v[204:205], v[214:215], v[212:213]
	v_div_fmas_f64 v[204:205], v[204:205], v[206:207], v[214:215]
	v_div_fixup_f64 v[204:205], v[204:205], v[210:211], v[208:209]
	v_fmac_f64_e32 v[210:211], v[208:209], v[204:205]
	v_div_scale_f64 v[206:207], s[10:11], v[210:211], v[210:211], 1.0
	v_rcp_f64_e32 v[208:209], v[206:207]
	s_nop 0
	v_fma_f64 v[212:213], -v[206:207], v[208:209], 1.0
	v_fmac_f64_e32 v[208:209], v[208:209], v[212:213]
	v_fma_f64 v[212:213], -v[206:207], v[208:209], 1.0
	v_fmac_f64_e32 v[208:209], v[208:209], v[212:213]
	v_div_scale_f64 v[212:213], vcc, 1.0, v[210:211], 1.0
	v_mul_f64 v[214:215], v[212:213], v[208:209]
	v_fma_f64 v[206:207], -v[206:207], v[214:215], v[212:213]
	s_nop 1
	v_div_fmas_f64 v[206:207], v[206:207], v[208:209], v[214:215]
	v_div_fixup_f64 v[206:207], v[206:207], v[210:211], 1.0
	v_mul_f64 v[204:205], v[204:205], v[206:207]
	v_xor_b32_e32 v207, 0x80000000, v207
                                        ; implicit-def: $vgpr208_vgpr209
.LBB113_14:
	s_andn2_saveexec_b64 s[2:3], s[2:3]
	s_cbranch_execz .LBB113_16
; %bb.15:
	v_div_scale_f64 v[204:205], s[10:11], v[208:209], v[208:209], v[210:211]
	v_rcp_f64_e32 v[206:207], v[204:205]
	v_div_scale_f64 v[212:213], vcc, v[210:211], v[208:209], v[210:211]
	v_fma_f64 v[214:215], -v[204:205], v[206:207], 1.0
	v_fmac_f64_e32 v[206:207], v[206:207], v[214:215]
	v_fma_f64 v[214:215], -v[204:205], v[206:207], 1.0
	v_fmac_f64_e32 v[206:207], v[206:207], v[214:215]
	v_mul_f64 v[214:215], v[212:213], v[206:207]
	v_fma_f64 v[204:205], -v[204:205], v[214:215], v[212:213]
	v_div_fmas_f64 v[204:205], v[204:205], v[206:207], v[214:215]
	v_div_fixup_f64 v[206:207], v[204:205], v[208:209], v[210:211]
	v_fmac_f64_e32 v[208:209], v[210:211], v[206:207]
	v_div_scale_f64 v[204:205], s[10:11], v[208:209], v[208:209], 1.0
	v_rcp_f64_e32 v[210:211], v[204:205]
	s_nop 0
	v_fma_f64 v[212:213], -v[204:205], v[210:211], 1.0
	v_fmac_f64_e32 v[210:211], v[210:211], v[212:213]
	v_fma_f64 v[212:213], -v[204:205], v[210:211], 1.0
	v_fmac_f64_e32 v[210:211], v[210:211], v[212:213]
	v_div_scale_f64 v[212:213], vcc, 1.0, v[208:209], 1.0
	v_mul_f64 v[214:215], v[212:213], v[210:211]
	v_fma_f64 v[204:205], -v[204:205], v[214:215], v[212:213]
	s_nop 1
	v_div_fmas_f64 v[204:205], v[204:205], v[210:211], v[214:215]
	v_div_fixup_f64 v[204:205], v[204:205], v[208:209], 1.0
	v_mul_f64 v[206:207], v[206:207], -v[204:205]
.LBB113_16:
	s_or_b64 exec, exec, s[2:3]
	ds_write2_b64 v201, v[204:205], v[206:207] offset1:1
.LBB113_17:
	s_or_b64 exec, exec, s[4:5]
	s_waitcnt lgkmcnt(0)
	s_barrier
	ds_read2_b64 v[192:195], v201 offset1:1
	v_cmp_lt_u32_e32 vcc, 1, v200
	s_waitcnt lgkmcnt(0)
	scratch_store_dwordx4 off, v[192:195], off offset:584 ; 16-byte Folded Spill
	s_and_saveexec_b64 s[2:3], vcc
	s_cbranch_execz .LBB113_19
; %bb.18:
	scratch_load_dwordx4 v[210:213], off, off offset:80 ; 16-byte Folded Reload
	scratch_load_dwordx4 v[192:195], off, off offset:584 ; 16-byte Folded Reload
	s_waitcnt vmcnt(0)
	v_mul_f64 v[204:205], v[194:195], v[212:213]
	v_mul_f64 v[212:213], v[192:193], v[212:213]
	v_fma_f64 v[208:209], v[192:193], v[210:211], -v[204:205]
	v_fmac_f64_e32 v[212:213], v[194:195], v[210:211]
	scratch_load_dwordx4 v[192:195], off, off offset:64 ; 16-byte Folded Reload
	ds_read2_b64 v[204:207], v202 offset0:4 offset1:5
	s_waitcnt lgkmcnt(0)
	v_mul_f64 v[210:211], v[206:207], v[212:213]
	v_fma_f64 v[210:211], v[204:205], v[208:209], -v[210:211]
	v_mul_f64 v[204:205], v[204:205], v[212:213]
	v_fmac_f64_e32 v[204:205], v[206:207], v[208:209]
	s_waitcnt vmcnt(0)
	v_add_f64 v[192:193], v[192:193], -v[210:211]
	v_add_f64 v[194:195], v[194:195], -v[204:205]
	scratch_store_dwordx4 off, v[192:195], off offset:64 ; 16-byte Folded Spill
	scratch_load_dwordx4 v[192:195], off, off offset:48 ; 16-byte Folded Reload
	ds_read2_b64 v[204:207], v202 offset0:6 offset1:7
	s_waitcnt lgkmcnt(0)
	v_mul_f64 v[210:211], v[206:207], v[212:213]
	v_fma_f64 v[210:211], v[204:205], v[208:209], -v[210:211]
	v_mul_f64 v[204:205], v[204:205], v[212:213]
	v_fmac_f64_e32 v[204:205], v[206:207], v[208:209]
	s_waitcnt vmcnt(0)
	v_add_f64 v[192:193], v[192:193], -v[210:211]
	v_add_f64 v[194:195], v[194:195], -v[204:205]
	scratch_store_dwordx4 off, v[192:195], off offset:48 ; 16-byte Folded Spill
	;; [unrolled: 11-line block ×4, first 2 shown]
	scratch_load_dwordx4 v[192:195], off, off ; 16-byte Folded Reload
	ds_read2_b64 v[204:207], v202 offset0:12 offset1:13
	s_waitcnt lgkmcnt(0)
	v_mul_f64 v[210:211], v[206:207], v[212:213]
	v_fma_f64 v[210:211], v[204:205], v[208:209], -v[210:211]
	v_mul_f64 v[204:205], v[204:205], v[212:213]
	v_fmac_f64_e32 v[204:205], v[206:207], v[208:209]
	v_add_f64 v[198:199], v[198:199], -v[204:205]
	ds_read2_b64 v[204:207], v202 offset0:14 offset1:15
	v_add_f64 v[196:197], v[196:197], -v[210:211]
	s_waitcnt lgkmcnt(0)
	v_mul_f64 v[210:211], v[206:207], v[212:213]
	v_fma_f64 v[210:211], v[204:205], v[208:209], -v[210:211]
	v_mul_f64 v[204:205], v[204:205], v[212:213]
	v_fmac_f64_e32 v[204:205], v[206:207], v[208:209]
	s_waitcnt vmcnt(0)
	v_add_f64 v[194:195], v[194:195], -v[204:205]
	ds_read2_b64 v[204:207], v202 offset0:16 offset1:17
	v_add_f64 v[192:193], v[192:193], -v[210:211]
	scratch_store_dwordx4 off, v[192:195], off ; 16-byte Folded Spill
	s_waitcnt lgkmcnt(0)
	v_mul_f64 v[210:211], v[206:207], v[212:213]
	v_fma_f64 v[210:211], v[204:205], v[208:209], -v[210:211]
	v_mul_f64 v[204:205], v[204:205], v[212:213]
	v_fmac_f64_e32 v[204:205], v[206:207], v[208:209]
	v_add_f64 v[190:191], v[190:191], -v[204:205]
	ds_read2_b64 v[204:207], v202 offset0:18 offset1:19
	v_add_f64 v[188:189], v[188:189], -v[210:211]
	s_waitcnt lgkmcnt(0)
	v_mul_f64 v[210:211], v[206:207], v[212:213]
	v_fma_f64 v[210:211], v[204:205], v[208:209], -v[210:211]
	v_mul_f64 v[204:205], v[204:205], v[212:213]
	v_fmac_f64_e32 v[204:205], v[206:207], v[208:209]
	v_add_f64 v[186:187], v[186:187], -v[204:205]
	ds_read2_b64 v[204:207], v202 offset0:20 offset1:21
	v_add_f64 v[184:185], v[184:185], -v[210:211]
	;; [unrolled: 8-line block ×48, first 2 shown]
	s_waitcnt lgkmcnt(0)
	v_mul_f64 v[210:211], v[206:207], v[212:213]
	v_fma_f64 v[210:211], v[204:205], v[208:209], -v[210:211]
	v_mul_f64 v[204:205], v[204:205], v[212:213]
	v_fmac_f64_e32 v[204:205], v[206:207], v[208:209]
	v_add_f64 v[224:225], v[224:225], -v[210:211]
	v_add_f64 v[226:227], v[226:227], -v[204:205]
	v_mov_b64_e32 v[210:211], v[208:209]
	scratch_store_dwordx4 off, v[210:213], off offset:80 ; 16-byte Folded Spill
.LBB113_19:
	s_or_b64 exec, exec, s[2:3]
	v_cmp_eq_u32_e32 vcc, 2, v200
	s_waitcnt vmcnt(63) expcnt(7) lgkmcnt(15)
	s_barrier
	s_and_saveexec_b64 s[4:5], vcc
	s_cbranch_execz .LBB113_26
; %bb.20:
	scratch_load_dwordx4 v[192:195], off, off offset:64 ; 16-byte Folded Reload
	s_waitcnt vmcnt(0)
	ds_write2_b64 v201, v[192:193], v[194:195] offset1:1
	scratch_load_dwordx4 v[192:195], off, off offset:48 ; 16-byte Folded Reload
	s_waitcnt vmcnt(0)
	ds_write2_b64 v202, v[192:193], v[194:195] offset0:6 offset1:7
	scratch_load_dwordx4 v[192:195], off, off offset:32 ; 16-byte Folded Reload
	s_waitcnt vmcnt(0)
	ds_write2_b64 v202, v[192:193], v[194:195] offset0:8 offset1:9
	;; [unrolled: 3-line block ×3, first 2 shown]
	ds_write2_b64 v202, v[196:197], v[198:199] offset0:12 offset1:13
	scratch_load_dwordx4 v[192:195], off, off ; 16-byte Folded Reload
	s_waitcnt vmcnt(0)
	ds_write2_b64 v202, v[192:193], v[194:195] offset0:14 offset1:15
	ds_write2_b64 v202, v[188:189], v[190:191] offset0:16 offset1:17
	;; [unrolled: 1-line block ×50, first 2 shown]
	ds_read2_b64 v[208:211], v201 offset1:1
	s_waitcnt lgkmcnt(0)
	v_cmp_neq_f64_e32 vcc, 0, v[208:209]
	v_cmp_neq_f64_e64 s[2:3], 0, v[210:211]
	s_or_b64 s[2:3], vcc, s[2:3]
	s_and_b64 exec, exec, s[2:3]
	s_cbranch_execz .LBB113_26
; %bb.21:
	v_cmp_ngt_f64_e64 s[2:3], |v[208:209]|, |v[210:211]|
                                        ; implicit-def: $vgpr204_vgpr205
	s_and_saveexec_b64 s[10:11], s[2:3]
	s_xor_b64 s[2:3], exec, s[10:11]
                                        ; implicit-def: $vgpr206_vgpr207
	s_cbranch_execz .LBB113_23
; %bb.22:
	v_div_scale_f64 v[204:205], s[10:11], v[210:211], v[210:211], v[208:209]
	v_rcp_f64_e32 v[206:207], v[204:205]
	v_div_scale_f64 v[212:213], vcc, v[208:209], v[210:211], v[208:209]
	v_fma_f64 v[214:215], -v[204:205], v[206:207], 1.0
	v_fmac_f64_e32 v[206:207], v[206:207], v[214:215]
	v_fma_f64 v[214:215], -v[204:205], v[206:207], 1.0
	v_fmac_f64_e32 v[206:207], v[206:207], v[214:215]
	v_mul_f64 v[214:215], v[212:213], v[206:207]
	v_fma_f64 v[204:205], -v[204:205], v[214:215], v[212:213]
	v_div_fmas_f64 v[204:205], v[204:205], v[206:207], v[214:215]
	v_div_fixup_f64 v[204:205], v[204:205], v[210:211], v[208:209]
	v_fmac_f64_e32 v[210:211], v[208:209], v[204:205]
	v_div_scale_f64 v[206:207], s[10:11], v[210:211], v[210:211], 1.0
	v_rcp_f64_e32 v[208:209], v[206:207]
	s_nop 0
	v_fma_f64 v[212:213], -v[206:207], v[208:209], 1.0
	v_fmac_f64_e32 v[208:209], v[208:209], v[212:213]
	v_fma_f64 v[212:213], -v[206:207], v[208:209], 1.0
	v_fmac_f64_e32 v[208:209], v[208:209], v[212:213]
	v_div_scale_f64 v[212:213], vcc, 1.0, v[210:211], 1.0
	v_mul_f64 v[214:215], v[212:213], v[208:209]
	v_fma_f64 v[206:207], -v[206:207], v[214:215], v[212:213]
	s_nop 1
	v_div_fmas_f64 v[206:207], v[206:207], v[208:209], v[214:215]
	v_div_fixup_f64 v[206:207], v[206:207], v[210:211], 1.0
	v_mul_f64 v[204:205], v[204:205], v[206:207]
	v_xor_b32_e32 v207, 0x80000000, v207
                                        ; implicit-def: $vgpr208_vgpr209
.LBB113_23:
	s_andn2_saveexec_b64 s[2:3], s[2:3]
	s_cbranch_execz .LBB113_25
; %bb.24:
	v_div_scale_f64 v[204:205], s[10:11], v[208:209], v[208:209], v[210:211]
	v_rcp_f64_e32 v[206:207], v[204:205]
	v_div_scale_f64 v[212:213], vcc, v[210:211], v[208:209], v[210:211]
	v_fma_f64 v[214:215], -v[204:205], v[206:207], 1.0
	v_fmac_f64_e32 v[206:207], v[206:207], v[214:215]
	v_fma_f64 v[214:215], -v[204:205], v[206:207], 1.0
	v_fmac_f64_e32 v[206:207], v[206:207], v[214:215]
	v_mul_f64 v[214:215], v[212:213], v[206:207]
	v_fma_f64 v[204:205], -v[204:205], v[214:215], v[212:213]
	v_div_fmas_f64 v[204:205], v[204:205], v[206:207], v[214:215]
	v_div_fixup_f64 v[206:207], v[204:205], v[208:209], v[210:211]
	v_fmac_f64_e32 v[208:209], v[210:211], v[206:207]
	v_div_scale_f64 v[204:205], s[10:11], v[208:209], v[208:209], 1.0
	v_rcp_f64_e32 v[210:211], v[204:205]
	s_nop 0
	v_fma_f64 v[212:213], -v[204:205], v[210:211], 1.0
	v_fmac_f64_e32 v[210:211], v[210:211], v[212:213]
	v_fma_f64 v[212:213], -v[204:205], v[210:211], 1.0
	v_fmac_f64_e32 v[210:211], v[210:211], v[212:213]
	v_div_scale_f64 v[212:213], vcc, 1.0, v[208:209], 1.0
	v_mul_f64 v[214:215], v[212:213], v[210:211]
	v_fma_f64 v[204:205], -v[204:205], v[214:215], v[212:213]
	s_nop 1
	v_div_fmas_f64 v[204:205], v[204:205], v[210:211], v[214:215]
	v_div_fixup_f64 v[204:205], v[204:205], v[208:209], 1.0
	v_mul_f64 v[206:207], v[206:207], -v[204:205]
.LBB113_25:
	s_or_b64 exec, exec, s[2:3]
	ds_write2_b64 v201, v[204:205], v[206:207] offset1:1
.LBB113_26:
	s_or_b64 exec, exec, s[4:5]
	s_waitcnt lgkmcnt(0)
	s_barrier
	ds_read2_b64 v[192:195], v201 offset1:1
	v_cmp_lt_u32_e32 vcc, 2, v200
	s_waitcnt lgkmcnt(0)
	scratch_store_dwordx4 off, v[192:195], off offset:600 ; 16-byte Folded Spill
	s_and_saveexec_b64 s[2:3], vcc
	s_cbranch_execz .LBB113_28
; %bb.27:
	scratch_load_dwordx4 v[210:213], off, off offset:64 ; 16-byte Folded Reload
	scratch_load_dwordx4 v[192:195], off, off offset:600 ; 16-byte Folded Reload
	s_waitcnt vmcnt(0)
	v_mul_f64 v[204:205], v[194:195], v[212:213]
	v_mul_f64 v[212:213], v[192:193], v[212:213]
	v_fma_f64 v[208:209], v[192:193], v[210:211], -v[204:205]
	v_fmac_f64_e32 v[212:213], v[194:195], v[210:211]
	scratch_load_dwordx4 v[192:195], off, off offset:48 ; 16-byte Folded Reload
	ds_read2_b64 v[204:207], v202 offset0:6 offset1:7
	s_waitcnt lgkmcnt(0)
	v_mul_f64 v[210:211], v[206:207], v[212:213]
	v_fma_f64 v[210:211], v[204:205], v[208:209], -v[210:211]
	v_mul_f64 v[204:205], v[204:205], v[212:213]
	v_fmac_f64_e32 v[204:205], v[206:207], v[208:209]
	s_waitcnt vmcnt(0)
	v_add_f64 v[192:193], v[192:193], -v[210:211]
	v_add_f64 v[194:195], v[194:195], -v[204:205]
	scratch_store_dwordx4 off, v[192:195], off offset:48 ; 16-byte Folded Spill
	scratch_load_dwordx4 v[192:195], off, off offset:32 ; 16-byte Folded Reload
	ds_read2_b64 v[204:207], v202 offset0:8 offset1:9
	s_waitcnt lgkmcnt(0)
	v_mul_f64 v[210:211], v[206:207], v[212:213]
	v_fma_f64 v[210:211], v[204:205], v[208:209], -v[210:211]
	v_mul_f64 v[204:205], v[204:205], v[212:213]
	v_fmac_f64_e32 v[204:205], v[206:207], v[208:209]
	s_waitcnt vmcnt(0)
	v_add_f64 v[192:193], v[192:193], -v[210:211]
	v_add_f64 v[194:195], v[194:195], -v[204:205]
	scratch_store_dwordx4 off, v[192:195], off offset:32 ; 16-byte Folded Spill
	;; [unrolled: 11-line block ×3, first 2 shown]
	scratch_load_dwordx4 v[192:195], off, off ; 16-byte Folded Reload
	ds_read2_b64 v[204:207], v202 offset0:12 offset1:13
	s_waitcnt lgkmcnt(0)
	v_mul_f64 v[210:211], v[206:207], v[212:213]
	v_fma_f64 v[210:211], v[204:205], v[208:209], -v[210:211]
	v_mul_f64 v[204:205], v[204:205], v[212:213]
	v_fmac_f64_e32 v[204:205], v[206:207], v[208:209]
	v_add_f64 v[198:199], v[198:199], -v[204:205]
	ds_read2_b64 v[204:207], v202 offset0:14 offset1:15
	v_add_f64 v[196:197], v[196:197], -v[210:211]
	s_waitcnt lgkmcnt(0)
	v_mul_f64 v[210:211], v[206:207], v[212:213]
	v_fma_f64 v[210:211], v[204:205], v[208:209], -v[210:211]
	v_mul_f64 v[204:205], v[204:205], v[212:213]
	v_fmac_f64_e32 v[204:205], v[206:207], v[208:209]
	s_waitcnt vmcnt(0)
	v_add_f64 v[194:195], v[194:195], -v[204:205]
	ds_read2_b64 v[204:207], v202 offset0:16 offset1:17
	v_add_f64 v[192:193], v[192:193], -v[210:211]
	scratch_store_dwordx4 off, v[192:195], off ; 16-byte Folded Spill
	s_waitcnt lgkmcnt(0)
	v_mul_f64 v[210:211], v[206:207], v[212:213]
	v_fma_f64 v[210:211], v[204:205], v[208:209], -v[210:211]
	v_mul_f64 v[204:205], v[204:205], v[212:213]
	v_fmac_f64_e32 v[204:205], v[206:207], v[208:209]
	v_add_f64 v[190:191], v[190:191], -v[204:205]
	ds_read2_b64 v[204:207], v202 offset0:18 offset1:19
	v_add_f64 v[188:189], v[188:189], -v[210:211]
	s_waitcnt lgkmcnt(0)
	v_mul_f64 v[210:211], v[206:207], v[212:213]
	v_fma_f64 v[210:211], v[204:205], v[208:209], -v[210:211]
	v_mul_f64 v[204:205], v[204:205], v[212:213]
	v_fmac_f64_e32 v[204:205], v[206:207], v[208:209]
	v_add_f64 v[186:187], v[186:187], -v[204:205]
	ds_read2_b64 v[204:207], v202 offset0:20 offset1:21
	v_add_f64 v[184:185], v[184:185], -v[210:211]
	;; [unrolled: 8-line block ×48, first 2 shown]
	s_waitcnt lgkmcnt(0)
	v_mul_f64 v[210:211], v[206:207], v[212:213]
	v_fma_f64 v[210:211], v[204:205], v[208:209], -v[210:211]
	v_mul_f64 v[204:205], v[204:205], v[212:213]
	v_fmac_f64_e32 v[204:205], v[206:207], v[208:209]
	v_add_f64 v[224:225], v[224:225], -v[210:211]
	v_add_f64 v[226:227], v[226:227], -v[204:205]
	v_mov_b64_e32 v[210:211], v[208:209]
	scratch_store_dwordx4 off, v[210:213], off offset:64 ; 16-byte Folded Spill
.LBB113_28:
	s_or_b64 exec, exec, s[2:3]
	v_cmp_eq_u32_e32 vcc, 3, v200
	s_waitcnt vmcnt(63) expcnt(7) lgkmcnt(15)
	s_barrier
	s_and_saveexec_b64 s[4:5], vcc
	s_cbranch_execz .LBB113_35
; %bb.29:
	scratch_load_dwordx4 v[192:195], off, off offset:48 ; 16-byte Folded Reload
	s_waitcnt vmcnt(0)
	ds_write2_b64 v201, v[192:193], v[194:195] offset1:1
	scratch_load_dwordx4 v[192:195], off, off offset:32 ; 16-byte Folded Reload
	s_waitcnt vmcnt(0)
	ds_write2_b64 v202, v[192:193], v[194:195] offset0:8 offset1:9
	scratch_load_dwordx4 v[192:195], off, off offset:16 ; 16-byte Folded Reload
	s_waitcnt vmcnt(0)
	ds_write2_b64 v202, v[192:193], v[194:195] offset0:10 offset1:11
	ds_write2_b64 v202, v[196:197], v[198:199] offset0:12 offset1:13
	scratch_load_dwordx4 v[192:195], off, off ; 16-byte Folded Reload
	s_waitcnt vmcnt(0)
	ds_write2_b64 v202, v[192:193], v[194:195] offset0:14 offset1:15
	ds_write2_b64 v202, v[188:189], v[190:191] offset0:16 offset1:17
	;; [unrolled: 1-line block ×50, first 2 shown]
	ds_read2_b64 v[208:211], v201 offset1:1
	s_waitcnt lgkmcnt(0)
	v_cmp_neq_f64_e32 vcc, 0, v[208:209]
	v_cmp_neq_f64_e64 s[2:3], 0, v[210:211]
	s_or_b64 s[2:3], vcc, s[2:3]
	s_and_b64 exec, exec, s[2:3]
	s_cbranch_execz .LBB113_35
; %bb.30:
	v_cmp_ngt_f64_e64 s[2:3], |v[208:209]|, |v[210:211]|
                                        ; implicit-def: $vgpr204_vgpr205
	s_and_saveexec_b64 s[10:11], s[2:3]
	s_xor_b64 s[2:3], exec, s[10:11]
                                        ; implicit-def: $vgpr206_vgpr207
	s_cbranch_execz .LBB113_32
; %bb.31:
	v_div_scale_f64 v[204:205], s[10:11], v[210:211], v[210:211], v[208:209]
	v_rcp_f64_e32 v[206:207], v[204:205]
	v_div_scale_f64 v[212:213], vcc, v[208:209], v[210:211], v[208:209]
	v_fma_f64 v[214:215], -v[204:205], v[206:207], 1.0
	v_fmac_f64_e32 v[206:207], v[206:207], v[214:215]
	v_fma_f64 v[214:215], -v[204:205], v[206:207], 1.0
	v_fmac_f64_e32 v[206:207], v[206:207], v[214:215]
	v_mul_f64 v[214:215], v[212:213], v[206:207]
	v_fma_f64 v[204:205], -v[204:205], v[214:215], v[212:213]
	v_div_fmas_f64 v[204:205], v[204:205], v[206:207], v[214:215]
	v_div_fixup_f64 v[204:205], v[204:205], v[210:211], v[208:209]
	v_fmac_f64_e32 v[210:211], v[208:209], v[204:205]
	v_div_scale_f64 v[206:207], s[10:11], v[210:211], v[210:211], 1.0
	v_rcp_f64_e32 v[208:209], v[206:207]
	s_nop 0
	v_fma_f64 v[212:213], -v[206:207], v[208:209], 1.0
	v_fmac_f64_e32 v[208:209], v[208:209], v[212:213]
	v_fma_f64 v[212:213], -v[206:207], v[208:209], 1.0
	v_fmac_f64_e32 v[208:209], v[208:209], v[212:213]
	v_div_scale_f64 v[212:213], vcc, 1.0, v[210:211], 1.0
	v_mul_f64 v[214:215], v[212:213], v[208:209]
	v_fma_f64 v[206:207], -v[206:207], v[214:215], v[212:213]
	s_nop 1
	v_div_fmas_f64 v[206:207], v[206:207], v[208:209], v[214:215]
	v_div_fixup_f64 v[206:207], v[206:207], v[210:211], 1.0
	v_mul_f64 v[204:205], v[204:205], v[206:207]
	v_xor_b32_e32 v207, 0x80000000, v207
                                        ; implicit-def: $vgpr208_vgpr209
.LBB113_32:
	s_andn2_saveexec_b64 s[2:3], s[2:3]
	s_cbranch_execz .LBB113_34
; %bb.33:
	v_div_scale_f64 v[204:205], s[10:11], v[208:209], v[208:209], v[210:211]
	v_rcp_f64_e32 v[206:207], v[204:205]
	v_div_scale_f64 v[212:213], vcc, v[210:211], v[208:209], v[210:211]
	v_fma_f64 v[214:215], -v[204:205], v[206:207], 1.0
	v_fmac_f64_e32 v[206:207], v[206:207], v[214:215]
	v_fma_f64 v[214:215], -v[204:205], v[206:207], 1.0
	v_fmac_f64_e32 v[206:207], v[206:207], v[214:215]
	v_mul_f64 v[214:215], v[212:213], v[206:207]
	v_fma_f64 v[204:205], -v[204:205], v[214:215], v[212:213]
	v_div_fmas_f64 v[204:205], v[204:205], v[206:207], v[214:215]
	v_div_fixup_f64 v[206:207], v[204:205], v[208:209], v[210:211]
	v_fmac_f64_e32 v[208:209], v[210:211], v[206:207]
	v_div_scale_f64 v[204:205], s[10:11], v[208:209], v[208:209], 1.0
	v_rcp_f64_e32 v[210:211], v[204:205]
	s_nop 0
	v_fma_f64 v[212:213], -v[204:205], v[210:211], 1.0
	v_fmac_f64_e32 v[210:211], v[210:211], v[212:213]
	v_fma_f64 v[212:213], -v[204:205], v[210:211], 1.0
	v_fmac_f64_e32 v[210:211], v[210:211], v[212:213]
	v_div_scale_f64 v[212:213], vcc, 1.0, v[208:209], 1.0
	v_mul_f64 v[214:215], v[212:213], v[210:211]
	v_fma_f64 v[204:205], -v[204:205], v[214:215], v[212:213]
	s_nop 1
	v_div_fmas_f64 v[204:205], v[204:205], v[210:211], v[214:215]
	v_div_fixup_f64 v[204:205], v[204:205], v[208:209], 1.0
	v_mul_f64 v[206:207], v[206:207], -v[204:205]
.LBB113_34:
	s_or_b64 exec, exec, s[2:3]
	ds_write2_b64 v201, v[204:205], v[206:207] offset1:1
.LBB113_35:
	s_or_b64 exec, exec, s[4:5]
	s_waitcnt lgkmcnt(0)
	s_barrier
	ds_read2_b64 v[192:195], v201 offset1:1
	v_cmp_lt_u32_e32 vcc, 3, v200
	s_waitcnt lgkmcnt(0)
	scratch_store_dwordx4 off, v[192:195], off offset:616 ; 16-byte Folded Spill
	s_and_saveexec_b64 s[2:3], vcc
	s_cbranch_execz .LBB113_37
; %bb.36:
	scratch_load_dwordx4 v[210:213], off, off offset:48 ; 16-byte Folded Reload
	scratch_load_dwordx4 v[192:195], off, off offset:616 ; 16-byte Folded Reload
	s_waitcnt vmcnt(0)
	v_mul_f64 v[204:205], v[194:195], v[212:213]
	v_mul_f64 v[212:213], v[192:193], v[212:213]
	v_fma_f64 v[208:209], v[192:193], v[210:211], -v[204:205]
	v_fmac_f64_e32 v[212:213], v[194:195], v[210:211]
	scratch_load_dwordx4 v[192:195], off, off offset:32 ; 16-byte Folded Reload
	ds_read2_b64 v[204:207], v202 offset0:8 offset1:9
	s_waitcnt lgkmcnt(0)
	v_mul_f64 v[210:211], v[206:207], v[212:213]
	v_fma_f64 v[210:211], v[204:205], v[208:209], -v[210:211]
	v_mul_f64 v[204:205], v[204:205], v[212:213]
	v_fmac_f64_e32 v[204:205], v[206:207], v[208:209]
	s_waitcnt vmcnt(0)
	v_add_f64 v[192:193], v[192:193], -v[210:211]
	v_add_f64 v[194:195], v[194:195], -v[204:205]
	scratch_store_dwordx4 off, v[192:195], off offset:32 ; 16-byte Folded Spill
	scratch_load_dwordx4 v[192:195], off, off offset:16 ; 16-byte Folded Reload
	ds_read2_b64 v[204:207], v202 offset0:10 offset1:11
	s_waitcnt lgkmcnt(0)
	v_mul_f64 v[210:211], v[206:207], v[212:213]
	v_fma_f64 v[210:211], v[204:205], v[208:209], -v[210:211]
	v_mul_f64 v[204:205], v[204:205], v[212:213]
	v_fmac_f64_e32 v[204:205], v[206:207], v[208:209]
	s_waitcnt vmcnt(0)
	v_add_f64 v[192:193], v[192:193], -v[210:211]
	v_add_f64 v[194:195], v[194:195], -v[204:205]
	scratch_store_dwordx4 off, v[192:195], off offset:16 ; 16-byte Folded Spill
	scratch_load_dwordx4 v[192:195], off, off ; 16-byte Folded Reload
	ds_read2_b64 v[204:207], v202 offset0:12 offset1:13
	s_waitcnt lgkmcnt(0)
	v_mul_f64 v[210:211], v[206:207], v[212:213]
	v_fma_f64 v[210:211], v[204:205], v[208:209], -v[210:211]
	v_mul_f64 v[204:205], v[204:205], v[212:213]
	v_fmac_f64_e32 v[204:205], v[206:207], v[208:209]
	v_add_f64 v[198:199], v[198:199], -v[204:205]
	ds_read2_b64 v[204:207], v202 offset0:14 offset1:15
	v_add_f64 v[196:197], v[196:197], -v[210:211]
	s_waitcnt lgkmcnt(0)
	v_mul_f64 v[210:211], v[206:207], v[212:213]
	v_fma_f64 v[210:211], v[204:205], v[208:209], -v[210:211]
	v_mul_f64 v[204:205], v[204:205], v[212:213]
	v_fmac_f64_e32 v[204:205], v[206:207], v[208:209]
	s_waitcnt vmcnt(0)
	v_add_f64 v[194:195], v[194:195], -v[204:205]
	ds_read2_b64 v[204:207], v202 offset0:16 offset1:17
	v_add_f64 v[192:193], v[192:193], -v[210:211]
	scratch_store_dwordx4 off, v[192:195], off ; 16-byte Folded Spill
	s_waitcnt lgkmcnt(0)
	v_mul_f64 v[210:211], v[206:207], v[212:213]
	v_fma_f64 v[210:211], v[204:205], v[208:209], -v[210:211]
	v_mul_f64 v[204:205], v[204:205], v[212:213]
	v_fmac_f64_e32 v[204:205], v[206:207], v[208:209]
	v_add_f64 v[190:191], v[190:191], -v[204:205]
	ds_read2_b64 v[204:207], v202 offset0:18 offset1:19
	v_add_f64 v[188:189], v[188:189], -v[210:211]
	s_waitcnt lgkmcnt(0)
	v_mul_f64 v[210:211], v[206:207], v[212:213]
	v_fma_f64 v[210:211], v[204:205], v[208:209], -v[210:211]
	v_mul_f64 v[204:205], v[204:205], v[212:213]
	v_fmac_f64_e32 v[204:205], v[206:207], v[208:209]
	v_add_f64 v[186:187], v[186:187], -v[204:205]
	ds_read2_b64 v[204:207], v202 offset0:20 offset1:21
	v_add_f64 v[184:185], v[184:185], -v[210:211]
	;; [unrolled: 8-line block ×48, first 2 shown]
	s_waitcnt lgkmcnt(0)
	v_mul_f64 v[210:211], v[206:207], v[212:213]
	v_fma_f64 v[210:211], v[204:205], v[208:209], -v[210:211]
	v_mul_f64 v[204:205], v[204:205], v[212:213]
	v_fmac_f64_e32 v[204:205], v[206:207], v[208:209]
	v_add_f64 v[224:225], v[224:225], -v[210:211]
	v_add_f64 v[226:227], v[226:227], -v[204:205]
	v_mov_b64_e32 v[210:211], v[208:209]
	scratch_store_dwordx4 off, v[210:213], off offset:48 ; 16-byte Folded Spill
.LBB113_37:
	s_or_b64 exec, exec, s[2:3]
	v_cmp_eq_u32_e32 vcc, 4, v200
	s_waitcnt vmcnt(63) expcnt(7) lgkmcnt(15)
	s_barrier
	s_and_saveexec_b64 s[4:5], vcc
	s_cbranch_execz .LBB113_44
; %bb.38:
	scratch_load_dwordx4 v[192:195], off, off offset:32 ; 16-byte Folded Reload
	s_waitcnt vmcnt(0)
	ds_write2_b64 v201, v[192:193], v[194:195] offset1:1
	scratch_load_dwordx4 v[192:195], off, off offset:16 ; 16-byte Folded Reload
	s_waitcnt vmcnt(0)
	ds_write2_b64 v202, v[192:193], v[194:195] offset0:10 offset1:11
	ds_write2_b64 v202, v[196:197], v[198:199] offset0:12 offset1:13
	scratch_load_dwordx4 v[192:195], off, off ; 16-byte Folded Reload
	s_waitcnt vmcnt(0)
	ds_write2_b64 v202, v[192:193], v[194:195] offset0:14 offset1:15
	ds_write2_b64 v202, v[188:189], v[190:191] offset0:16 offset1:17
	;; [unrolled: 1-line block ×50, first 2 shown]
	ds_read2_b64 v[208:211], v201 offset1:1
	s_waitcnt lgkmcnt(0)
	v_cmp_neq_f64_e32 vcc, 0, v[208:209]
	v_cmp_neq_f64_e64 s[2:3], 0, v[210:211]
	s_or_b64 s[2:3], vcc, s[2:3]
	s_and_b64 exec, exec, s[2:3]
	s_cbranch_execz .LBB113_44
; %bb.39:
	v_cmp_ngt_f64_e64 s[2:3], |v[208:209]|, |v[210:211]|
                                        ; implicit-def: $vgpr204_vgpr205
	s_and_saveexec_b64 s[10:11], s[2:3]
	s_xor_b64 s[2:3], exec, s[10:11]
                                        ; implicit-def: $vgpr206_vgpr207
	s_cbranch_execz .LBB113_41
; %bb.40:
	v_div_scale_f64 v[204:205], s[10:11], v[210:211], v[210:211], v[208:209]
	v_rcp_f64_e32 v[206:207], v[204:205]
	v_div_scale_f64 v[212:213], vcc, v[208:209], v[210:211], v[208:209]
	v_fma_f64 v[214:215], -v[204:205], v[206:207], 1.0
	v_fmac_f64_e32 v[206:207], v[206:207], v[214:215]
	v_fma_f64 v[214:215], -v[204:205], v[206:207], 1.0
	v_fmac_f64_e32 v[206:207], v[206:207], v[214:215]
	v_mul_f64 v[214:215], v[212:213], v[206:207]
	v_fma_f64 v[204:205], -v[204:205], v[214:215], v[212:213]
	v_div_fmas_f64 v[204:205], v[204:205], v[206:207], v[214:215]
	v_div_fixup_f64 v[204:205], v[204:205], v[210:211], v[208:209]
	v_fmac_f64_e32 v[210:211], v[208:209], v[204:205]
	v_div_scale_f64 v[206:207], s[10:11], v[210:211], v[210:211], 1.0
	v_rcp_f64_e32 v[208:209], v[206:207]
	s_nop 0
	v_fma_f64 v[212:213], -v[206:207], v[208:209], 1.0
	v_fmac_f64_e32 v[208:209], v[208:209], v[212:213]
	v_fma_f64 v[212:213], -v[206:207], v[208:209], 1.0
	v_fmac_f64_e32 v[208:209], v[208:209], v[212:213]
	v_div_scale_f64 v[212:213], vcc, 1.0, v[210:211], 1.0
	v_mul_f64 v[214:215], v[212:213], v[208:209]
	v_fma_f64 v[206:207], -v[206:207], v[214:215], v[212:213]
	s_nop 1
	v_div_fmas_f64 v[206:207], v[206:207], v[208:209], v[214:215]
	v_div_fixup_f64 v[206:207], v[206:207], v[210:211], 1.0
	v_mul_f64 v[204:205], v[204:205], v[206:207]
	v_xor_b32_e32 v207, 0x80000000, v207
                                        ; implicit-def: $vgpr208_vgpr209
.LBB113_41:
	s_andn2_saveexec_b64 s[2:3], s[2:3]
	s_cbranch_execz .LBB113_43
; %bb.42:
	v_div_scale_f64 v[204:205], s[10:11], v[208:209], v[208:209], v[210:211]
	v_rcp_f64_e32 v[206:207], v[204:205]
	v_div_scale_f64 v[212:213], vcc, v[210:211], v[208:209], v[210:211]
	v_fma_f64 v[214:215], -v[204:205], v[206:207], 1.0
	v_fmac_f64_e32 v[206:207], v[206:207], v[214:215]
	v_fma_f64 v[214:215], -v[204:205], v[206:207], 1.0
	v_fmac_f64_e32 v[206:207], v[206:207], v[214:215]
	v_mul_f64 v[214:215], v[212:213], v[206:207]
	v_fma_f64 v[204:205], -v[204:205], v[214:215], v[212:213]
	v_div_fmas_f64 v[204:205], v[204:205], v[206:207], v[214:215]
	v_div_fixup_f64 v[206:207], v[204:205], v[208:209], v[210:211]
	v_fmac_f64_e32 v[208:209], v[210:211], v[206:207]
	v_div_scale_f64 v[204:205], s[10:11], v[208:209], v[208:209], 1.0
	v_rcp_f64_e32 v[210:211], v[204:205]
	s_nop 0
	v_fma_f64 v[212:213], -v[204:205], v[210:211], 1.0
	v_fmac_f64_e32 v[210:211], v[210:211], v[212:213]
	v_fma_f64 v[212:213], -v[204:205], v[210:211], 1.0
	v_fmac_f64_e32 v[210:211], v[210:211], v[212:213]
	v_div_scale_f64 v[212:213], vcc, 1.0, v[208:209], 1.0
	v_mul_f64 v[214:215], v[212:213], v[210:211]
	v_fma_f64 v[204:205], -v[204:205], v[214:215], v[212:213]
	s_nop 1
	v_div_fmas_f64 v[204:205], v[204:205], v[210:211], v[214:215]
	v_div_fixup_f64 v[204:205], v[204:205], v[208:209], 1.0
	v_mul_f64 v[206:207], v[206:207], -v[204:205]
.LBB113_43:
	s_or_b64 exec, exec, s[2:3]
	ds_write2_b64 v201, v[204:205], v[206:207] offset1:1
.LBB113_44:
	s_or_b64 exec, exec, s[4:5]
	s_waitcnt lgkmcnt(0)
	s_barrier
	ds_read2_b64 v[192:195], v201 offset1:1
	v_cmp_lt_u32_e32 vcc, 4, v200
	s_waitcnt lgkmcnt(0)
	scratch_store_dwordx4 off, v[192:195], off offset:632 ; 16-byte Folded Spill
	s_and_saveexec_b64 s[2:3], vcc
	s_cbranch_execz .LBB113_46
; %bb.45:
	scratch_load_dwordx4 v[210:213], off, off offset:32 ; 16-byte Folded Reload
	scratch_load_dwordx4 v[192:195], off, off offset:632 ; 16-byte Folded Reload
	s_waitcnt vmcnt(0)
	v_mul_f64 v[204:205], v[194:195], v[212:213]
	v_mul_f64 v[212:213], v[192:193], v[212:213]
	v_fma_f64 v[208:209], v[192:193], v[210:211], -v[204:205]
	v_fmac_f64_e32 v[212:213], v[194:195], v[210:211]
	scratch_load_dwordx4 v[192:195], off, off offset:16 ; 16-byte Folded Reload
	ds_read2_b64 v[204:207], v202 offset0:10 offset1:11
	s_waitcnt lgkmcnt(0)
	v_mul_f64 v[210:211], v[206:207], v[212:213]
	v_fma_f64 v[210:211], v[204:205], v[208:209], -v[210:211]
	v_mul_f64 v[204:205], v[204:205], v[212:213]
	v_fmac_f64_e32 v[204:205], v[206:207], v[208:209]
	s_waitcnt vmcnt(0)
	v_add_f64 v[192:193], v[192:193], -v[210:211]
	v_add_f64 v[194:195], v[194:195], -v[204:205]
	scratch_store_dwordx4 off, v[192:195], off offset:16 ; 16-byte Folded Spill
	scratch_load_dwordx4 v[192:195], off, off ; 16-byte Folded Reload
	ds_read2_b64 v[204:207], v202 offset0:12 offset1:13
	s_waitcnt lgkmcnt(0)
	v_mul_f64 v[210:211], v[206:207], v[212:213]
	v_fma_f64 v[210:211], v[204:205], v[208:209], -v[210:211]
	v_mul_f64 v[204:205], v[204:205], v[212:213]
	v_fmac_f64_e32 v[204:205], v[206:207], v[208:209]
	v_add_f64 v[198:199], v[198:199], -v[204:205]
	ds_read2_b64 v[204:207], v202 offset0:14 offset1:15
	v_add_f64 v[196:197], v[196:197], -v[210:211]
	s_waitcnt lgkmcnt(0)
	v_mul_f64 v[210:211], v[206:207], v[212:213]
	v_fma_f64 v[210:211], v[204:205], v[208:209], -v[210:211]
	v_mul_f64 v[204:205], v[204:205], v[212:213]
	v_fmac_f64_e32 v[204:205], v[206:207], v[208:209]
	s_waitcnt vmcnt(0)
	v_add_f64 v[194:195], v[194:195], -v[204:205]
	ds_read2_b64 v[204:207], v202 offset0:16 offset1:17
	v_add_f64 v[192:193], v[192:193], -v[210:211]
	scratch_store_dwordx4 off, v[192:195], off ; 16-byte Folded Spill
	s_waitcnt lgkmcnt(0)
	v_mul_f64 v[210:211], v[206:207], v[212:213]
	v_fma_f64 v[210:211], v[204:205], v[208:209], -v[210:211]
	v_mul_f64 v[204:205], v[204:205], v[212:213]
	v_fmac_f64_e32 v[204:205], v[206:207], v[208:209]
	v_add_f64 v[190:191], v[190:191], -v[204:205]
	ds_read2_b64 v[204:207], v202 offset0:18 offset1:19
	v_add_f64 v[188:189], v[188:189], -v[210:211]
	s_waitcnt lgkmcnt(0)
	v_mul_f64 v[210:211], v[206:207], v[212:213]
	v_fma_f64 v[210:211], v[204:205], v[208:209], -v[210:211]
	v_mul_f64 v[204:205], v[204:205], v[212:213]
	v_fmac_f64_e32 v[204:205], v[206:207], v[208:209]
	v_add_f64 v[186:187], v[186:187], -v[204:205]
	ds_read2_b64 v[204:207], v202 offset0:20 offset1:21
	v_add_f64 v[184:185], v[184:185], -v[210:211]
	;; [unrolled: 8-line block ×48, first 2 shown]
	s_waitcnt lgkmcnt(0)
	v_mul_f64 v[210:211], v[206:207], v[212:213]
	v_fma_f64 v[210:211], v[204:205], v[208:209], -v[210:211]
	v_mul_f64 v[204:205], v[204:205], v[212:213]
	v_fmac_f64_e32 v[204:205], v[206:207], v[208:209]
	v_add_f64 v[224:225], v[224:225], -v[210:211]
	v_add_f64 v[226:227], v[226:227], -v[204:205]
	v_mov_b64_e32 v[210:211], v[208:209]
	scratch_store_dwordx4 off, v[210:213], off offset:32 ; 16-byte Folded Spill
.LBB113_46:
	s_or_b64 exec, exec, s[2:3]
	v_cmp_eq_u32_e32 vcc, 5, v200
	s_waitcnt vmcnt(63) expcnt(7) lgkmcnt(15)
	s_barrier
	s_and_saveexec_b64 s[4:5], vcc
	s_cbranch_execz .LBB113_53
; %bb.47:
	scratch_load_dwordx4 v[192:195], off, off offset:16 ; 16-byte Folded Reload
	s_waitcnt vmcnt(0)
	ds_write2_b64 v201, v[192:193], v[194:195] offset1:1
	ds_write2_b64 v202, v[196:197], v[198:199] offset0:12 offset1:13
	scratch_load_dwordx4 v[192:195], off, off ; 16-byte Folded Reload
	s_waitcnt vmcnt(0)
	ds_write2_b64 v202, v[192:193], v[194:195] offset0:14 offset1:15
	ds_write2_b64 v202, v[188:189], v[190:191] offset0:16 offset1:17
	;; [unrolled: 1-line block ×50, first 2 shown]
	ds_read2_b64 v[208:211], v201 offset1:1
	s_waitcnt lgkmcnt(0)
	v_cmp_neq_f64_e32 vcc, 0, v[208:209]
	v_cmp_neq_f64_e64 s[2:3], 0, v[210:211]
	s_or_b64 s[2:3], vcc, s[2:3]
	s_and_b64 exec, exec, s[2:3]
	s_cbranch_execz .LBB113_53
; %bb.48:
	v_cmp_ngt_f64_e64 s[2:3], |v[208:209]|, |v[210:211]|
                                        ; implicit-def: $vgpr204_vgpr205
	s_and_saveexec_b64 s[10:11], s[2:3]
	s_xor_b64 s[2:3], exec, s[10:11]
                                        ; implicit-def: $vgpr206_vgpr207
	s_cbranch_execz .LBB113_50
; %bb.49:
	v_div_scale_f64 v[204:205], s[10:11], v[210:211], v[210:211], v[208:209]
	v_rcp_f64_e32 v[206:207], v[204:205]
	v_div_scale_f64 v[212:213], vcc, v[208:209], v[210:211], v[208:209]
	v_fma_f64 v[214:215], -v[204:205], v[206:207], 1.0
	v_fmac_f64_e32 v[206:207], v[206:207], v[214:215]
	v_fma_f64 v[214:215], -v[204:205], v[206:207], 1.0
	v_fmac_f64_e32 v[206:207], v[206:207], v[214:215]
	v_mul_f64 v[214:215], v[212:213], v[206:207]
	v_fma_f64 v[204:205], -v[204:205], v[214:215], v[212:213]
	v_div_fmas_f64 v[204:205], v[204:205], v[206:207], v[214:215]
	v_div_fixup_f64 v[204:205], v[204:205], v[210:211], v[208:209]
	v_fmac_f64_e32 v[210:211], v[208:209], v[204:205]
	v_div_scale_f64 v[206:207], s[10:11], v[210:211], v[210:211], 1.0
	v_rcp_f64_e32 v[208:209], v[206:207]
	s_nop 0
	v_fma_f64 v[212:213], -v[206:207], v[208:209], 1.0
	v_fmac_f64_e32 v[208:209], v[208:209], v[212:213]
	v_fma_f64 v[212:213], -v[206:207], v[208:209], 1.0
	v_fmac_f64_e32 v[208:209], v[208:209], v[212:213]
	v_div_scale_f64 v[212:213], vcc, 1.0, v[210:211], 1.0
	v_mul_f64 v[214:215], v[212:213], v[208:209]
	v_fma_f64 v[206:207], -v[206:207], v[214:215], v[212:213]
	s_nop 1
	v_div_fmas_f64 v[206:207], v[206:207], v[208:209], v[214:215]
	v_div_fixup_f64 v[206:207], v[206:207], v[210:211], 1.0
	v_mul_f64 v[204:205], v[204:205], v[206:207]
	v_xor_b32_e32 v207, 0x80000000, v207
                                        ; implicit-def: $vgpr208_vgpr209
.LBB113_50:
	s_andn2_saveexec_b64 s[2:3], s[2:3]
	s_cbranch_execz .LBB113_52
; %bb.51:
	v_div_scale_f64 v[204:205], s[10:11], v[208:209], v[208:209], v[210:211]
	v_rcp_f64_e32 v[206:207], v[204:205]
	v_div_scale_f64 v[212:213], vcc, v[210:211], v[208:209], v[210:211]
	v_fma_f64 v[214:215], -v[204:205], v[206:207], 1.0
	v_fmac_f64_e32 v[206:207], v[206:207], v[214:215]
	v_fma_f64 v[214:215], -v[204:205], v[206:207], 1.0
	v_fmac_f64_e32 v[206:207], v[206:207], v[214:215]
	v_mul_f64 v[214:215], v[212:213], v[206:207]
	v_fma_f64 v[204:205], -v[204:205], v[214:215], v[212:213]
	v_div_fmas_f64 v[204:205], v[204:205], v[206:207], v[214:215]
	v_div_fixup_f64 v[206:207], v[204:205], v[208:209], v[210:211]
	v_fmac_f64_e32 v[208:209], v[210:211], v[206:207]
	v_div_scale_f64 v[204:205], s[10:11], v[208:209], v[208:209], 1.0
	v_rcp_f64_e32 v[210:211], v[204:205]
	s_nop 0
	v_fma_f64 v[212:213], -v[204:205], v[210:211], 1.0
	v_fmac_f64_e32 v[210:211], v[210:211], v[212:213]
	v_fma_f64 v[212:213], -v[204:205], v[210:211], 1.0
	v_fmac_f64_e32 v[210:211], v[210:211], v[212:213]
	v_div_scale_f64 v[212:213], vcc, 1.0, v[208:209], 1.0
	v_mul_f64 v[214:215], v[212:213], v[210:211]
	v_fma_f64 v[204:205], -v[204:205], v[214:215], v[212:213]
	s_nop 1
	v_div_fmas_f64 v[204:205], v[204:205], v[210:211], v[214:215]
	v_div_fixup_f64 v[204:205], v[204:205], v[208:209], 1.0
	v_mul_f64 v[206:207], v[206:207], -v[204:205]
.LBB113_52:
	s_or_b64 exec, exec, s[2:3]
	ds_write2_b64 v201, v[204:205], v[206:207] offset1:1
.LBB113_53:
	s_or_b64 exec, exec, s[4:5]
	s_waitcnt lgkmcnt(0)
	s_barrier
	ds_read2_b64 v[192:195], v201 offset1:1
	v_cmp_lt_u32_e32 vcc, 5, v200
	s_waitcnt lgkmcnt(0)
	scratch_store_dwordx4 off, v[192:195], off offset:648 ; 16-byte Folded Spill
	s_and_saveexec_b64 s[2:3], vcc
	s_cbranch_execz .LBB113_55
; %bb.54:
	scratch_load_dwordx4 v[210:213], off, off offset:16 ; 16-byte Folded Reload
	scratch_load_dwordx4 v[192:195], off, off offset:648 ; 16-byte Folded Reload
	s_waitcnt vmcnt(0)
	v_mul_f64 v[204:205], v[194:195], v[212:213]
	v_mul_f64 v[212:213], v[192:193], v[212:213]
	v_fma_f64 v[208:209], v[192:193], v[210:211], -v[204:205]
	v_fmac_f64_e32 v[212:213], v[194:195], v[210:211]
	scratch_load_dwordx4 v[192:195], off, off ; 16-byte Folded Reload
	ds_read2_b64 v[204:207], v202 offset0:12 offset1:13
	s_waitcnt lgkmcnt(0)
	v_mul_f64 v[210:211], v[206:207], v[212:213]
	v_fma_f64 v[210:211], v[204:205], v[208:209], -v[210:211]
	v_mul_f64 v[204:205], v[204:205], v[212:213]
	v_fmac_f64_e32 v[204:205], v[206:207], v[208:209]
	v_add_f64 v[198:199], v[198:199], -v[204:205]
	ds_read2_b64 v[204:207], v202 offset0:14 offset1:15
	v_add_f64 v[196:197], v[196:197], -v[210:211]
	s_waitcnt lgkmcnt(0)
	v_mul_f64 v[210:211], v[206:207], v[212:213]
	v_fma_f64 v[210:211], v[204:205], v[208:209], -v[210:211]
	v_mul_f64 v[204:205], v[204:205], v[212:213]
	v_fmac_f64_e32 v[204:205], v[206:207], v[208:209]
	s_waitcnt vmcnt(0)
	v_add_f64 v[194:195], v[194:195], -v[204:205]
	ds_read2_b64 v[204:207], v202 offset0:16 offset1:17
	v_add_f64 v[192:193], v[192:193], -v[210:211]
	scratch_store_dwordx4 off, v[192:195], off ; 16-byte Folded Spill
	s_waitcnt lgkmcnt(0)
	v_mul_f64 v[210:211], v[206:207], v[212:213]
	v_fma_f64 v[210:211], v[204:205], v[208:209], -v[210:211]
	v_mul_f64 v[204:205], v[204:205], v[212:213]
	v_fmac_f64_e32 v[204:205], v[206:207], v[208:209]
	v_add_f64 v[190:191], v[190:191], -v[204:205]
	ds_read2_b64 v[204:207], v202 offset0:18 offset1:19
	v_add_f64 v[188:189], v[188:189], -v[210:211]
	s_waitcnt lgkmcnt(0)
	v_mul_f64 v[210:211], v[206:207], v[212:213]
	v_fma_f64 v[210:211], v[204:205], v[208:209], -v[210:211]
	v_mul_f64 v[204:205], v[204:205], v[212:213]
	v_fmac_f64_e32 v[204:205], v[206:207], v[208:209]
	v_add_f64 v[186:187], v[186:187], -v[204:205]
	ds_read2_b64 v[204:207], v202 offset0:20 offset1:21
	v_add_f64 v[184:185], v[184:185], -v[210:211]
	;; [unrolled: 8-line block ×48, first 2 shown]
	s_waitcnt lgkmcnt(0)
	v_mul_f64 v[210:211], v[206:207], v[212:213]
	v_fma_f64 v[210:211], v[204:205], v[208:209], -v[210:211]
	v_mul_f64 v[204:205], v[204:205], v[212:213]
	v_fmac_f64_e32 v[204:205], v[206:207], v[208:209]
	v_add_f64 v[224:225], v[224:225], -v[210:211]
	v_add_f64 v[226:227], v[226:227], -v[204:205]
	v_mov_b64_e32 v[210:211], v[208:209]
	scratch_store_dwordx4 off, v[210:213], off offset:16 ; 16-byte Folded Spill
.LBB113_55:
	s_or_b64 exec, exec, s[2:3]
	v_cmp_eq_u32_e32 vcc, 6, v200
	s_waitcnt vmcnt(63) expcnt(7) lgkmcnt(15)
	s_barrier
	s_and_saveexec_b64 s[4:5], vcc
	s_cbranch_execz .LBB113_62
; %bb.56:
	scratch_load_dwordx4 v[192:195], off, off ; 16-byte Folded Reload
	ds_write2_b64 v201, v[196:197], v[198:199] offset1:1
	s_waitcnt vmcnt(0)
	ds_write2_b64 v202, v[192:193], v[194:195] offset0:14 offset1:15
	ds_write2_b64 v202, v[188:189], v[190:191] offset0:16 offset1:17
	;; [unrolled: 1-line block ×50, first 2 shown]
	ds_read2_b64 v[208:211], v201 offset1:1
	s_waitcnt lgkmcnt(0)
	v_cmp_neq_f64_e32 vcc, 0, v[208:209]
	v_cmp_neq_f64_e64 s[2:3], 0, v[210:211]
	s_or_b64 s[2:3], vcc, s[2:3]
	s_and_b64 exec, exec, s[2:3]
	s_cbranch_execz .LBB113_62
; %bb.57:
	v_cmp_ngt_f64_e64 s[2:3], |v[208:209]|, |v[210:211]|
                                        ; implicit-def: $vgpr204_vgpr205
	s_and_saveexec_b64 s[10:11], s[2:3]
	s_xor_b64 s[2:3], exec, s[10:11]
                                        ; implicit-def: $vgpr206_vgpr207
	s_cbranch_execz .LBB113_59
; %bb.58:
	v_div_scale_f64 v[204:205], s[10:11], v[210:211], v[210:211], v[208:209]
	v_rcp_f64_e32 v[206:207], v[204:205]
	v_div_scale_f64 v[212:213], vcc, v[208:209], v[210:211], v[208:209]
	v_fma_f64 v[214:215], -v[204:205], v[206:207], 1.0
	v_fmac_f64_e32 v[206:207], v[206:207], v[214:215]
	v_fma_f64 v[214:215], -v[204:205], v[206:207], 1.0
	v_fmac_f64_e32 v[206:207], v[206:207], v[214:215]
	v_mul_f64 v[214:215], v[212:213], v[206:207]
	v_fma_f64 v[204:205], -v[204:205], v[214:215], v[212:213]
	v_div_fmas_f64 v[204:205], v[204:205], v[206:207], v[214:215]
	v_div_fixup_f64 v[204:205], v[204:205], v[210:211], v[208:209]
	v_fmac_f64_e32 v[210:211], v[208:209], v[204:205]
	v_div_scale_f64 v[206:207], s[10:11], v[210:211], v[210:211], 1.0
	v_rcp_f64_e32 v[208:209], v[206:207]
	s_nop 0
	v_fma_f64 v[212:213], -v[206:207], v[208:209], 1.0
	v_fmac_f64_e32 v[208:209], v[208:209], v[212:213]
	v_fma_f64 v[212:213], -v[206:207], v[208:209], 1.0
	v_fmac_f64_e32 v[208:209], v[208:209], v[212:213]
	v_div_scale_f64 v[212:213], vcc, 1.0, v[210:211], 1.0
	v_mul_f64 v[214:215], v[212:213], v[208:209]
	v_fma_f64 v[206:207], -v[206:207], v[214:215], v[212:213]
	s_nop 1
	v_div_fmas_f64 v[206:207], v[206:207], v[208:209], v[214:215]
	v_div_fixup_f64 v[206:207], v[206:207], v[210:211], 1.0
	v_mul_f64 v[204:205], v[204:205], v[206:207]
	v_xor_b32_e32 v207, 0x80000000, v207
                                        ; implicit-def: $vgpr208_vgpr209
.LBB113_59:
	s_andn2_saveexec_b64 s[2:3], s[2:3]
	s_cbranch_execz .LBB113_61
; %bb.60:
	v_div_scale_f64 v[204:205], s[10:11], v[208:209], v[208:209], v[210:211]
	v_rcp_f64_e32 v[206:207], v[204:205]
	v_div_scale_f64 v[212:213], vcc, v[210:211], v[208:209], v[210:211]
	v_fma_f64 v[214:215], -v[204:205], v[206:207], 1.0
	v_fmac_f64_e32 v[206:207], v[206:207], v[214:215]
	v_fma_f64 v[214:215], -v[204:205], v[206:207], 1.0
	v_fmac_f64_e32 v[206:207], v[206:207], v[214:215]
	v_mul_f64 v[214:215], v[212:213], v[206:207]
	v_fma_f64 v[204:205], -v[204:205], v[214:215], v[212:213]
	v_div_fmas_f64 v[204:205], v[204:205], v[206:207], v[214:215]
	v_div_fixup_f64 v[206:207], v[204:205], v[208:209], v[210:211]
	v_fmac_f64_e32 v[208:209], v[210:211], v[206:207]
	v_div_scale_f64 v[204:205], s[10:11], v[208:209], v[208:209], 1.0
	v_rcp_f64_e32 v[210:211], v[204:205]
	s_nop 0
	v_fma_f64 v[212:213], -v[204:205], v[210:211], 1.0
	v_fmac_f64_e32 v[210:211], v[210:211], v[212:213]
	v_fma_f64 v[212:213], -v[204:205], v[210:211], 1.0
	v_fmac_f64_e32 v[210:211], v[210:211], v[212:213]
	v_div_scale_f64 v[212:213], vcc, 1.0, v[208:209], 1.0
	v_mul_f64 v[214:215], v[212:213], v[210:211]
	v_fma_f64 v[204:205], -v[204:205], v[214:215], v[212:213]
	s_nop 1
	v_div_fmas_f64 v[204:205], v[204:205], v[210:211], v[214:215]
	v_div_fixup_f64 v[204:205], v[204:205], v[208:209], 1.0
	v_mul_f64 v[206:207], v[206:207], -v[204:205]
.LBB113_61:
	s_or_b64 exec, exec, s[2:3]
	ds_write2_b64 v201, v[204:205], v[206:207] offset1:1
.LBB113_62:
	s_or_b64 exec, exec, s[4:5]
	s_waitcnt lgkmcnt(0)
	s_barrier
	ds_read2_b64 v[192:195], v201 offset1:1
	v_cmp_lt_u32_e32 vcc, 6, v200
	s_waitcnt lgkmcnt(0)
	scratch_store_dwordx4 off, v[192:195], off offset:664 ; 16-byte Folded Spill
	s_and_saveexec_b64 s[2:3], vcc
	s_cbranch_execz .LBB113_64
; %bb.63:
	scratch_load_dwordx4 v[192:195], off, off offset:664 ; 16-byte Folded Reload
	s_waitcnt vmcnt(0)
	v_mul_f64 v[204:205], v[194:195], v[198:199]
	v_mul_f64 v[198:199], v[192:193], v[198:199]
	v_fma_f64 v[208:209], v[192:193], v[196:197], -v[204:205]
	v_fmac_f64_e32 v[198:199], v[194:195], v[196:197]
	scratch_load_dwordx4 v[192:195], off, off ; 16-byte Folded Reload
	ds_read2_b64 v[204:207], v202 offset0:14 offset1:15
	s_waitcnt lgkmcnt(0)
	v_mul_f64 v[196:197], v[206:207], v[198:199]
	v_fma_f64 v[196:197], v[204:205], v[208:209], -v[196:197]
	v_mul_f64 v[204:205], v[204:205], v[198:199]
	v_fmac_f64_e32 v[204:205], v[206:207], v[208:209]
	s_waitcnt vmcnt(0)
	v_add_f64 v[194:195], v[194:195], -v[204:205]
	ds_read2_b64 v[204:207], v202 offset0:16 offset1:17
	v_add_f64 v[192:193], v[192:193], -v[196:197]
	scratch_store_dwordx4 off, v[192:195], off ; 16-byte Folded Spill
	s_waitcnt lgkmcnt(0)
	v_mul_f64 v[196:197], v[206:207], v[198:199]
	v_fma_f64 v[196:197], v[204:205], v[208:209], -v[196:197]
	v_mul_f64 v[204:205], v[204:205], v[198:199]
	v_fmac_f64_e32 v[204:205], v[206:207], v[208:209]
	v_add_f64 v[190:191], v[190:191], -v[204:205]
	ds_read2_b64 v[204:207], v202 offset0:18 offset1:19
	v_add_f64 v[188:189], v[188:189], -v[196:197]
	s_waitcnt lgkmcnt(0)
	v_mul_f64 v[196:197], v[206:207], v[198:199]
	v_fma_f64 v[196:197], v[204:205], v[208:209], -v[196:197]
	v_mul_f64 v[204:205], v[204:205], v[198:199]
	v_fmac_f64_e32 v[204:205], v[206:207], v[208:209]
	v_add_f64 v[186:187], v[186:187], -v[204:205]
	ds_read2_b64 v[204:207], v202 offset0:20 offset1:21
	v_add_f64 v[184:185], v[184:185], -v[196:197]
	;; [unrolled: 8-line block ×48, first 2 shown]
	s_waitcnt lgkmcnt(0)
	v_mul_f64 v[196:197], v[206:207], v[198:199]
	v_fma_f64 v[196:197], v[204:205], v[208:209], -v[196:197]
	v_mul_f64 v[204:205], v[204:205], v[198:199]
	v_fmac_f64_e32 v[204:205], v[206:207], v[208:209]
	v_add_f64 v[224:225], v[224:225], -v[196:197]
	v_add_f64 v[226:227], v[226:227], -v[204:205]
	v_mov_b64_e32 v[196:197], v[208:209]
.LBB113_64:
	s_or_b64 exec, exec, s[2:3]
	v_cmp_eq_u32_e32 vcc, 7, v200
	s_waitcnt vmcnt(63) expcnt(7) lgkmcnt(15)
	s_barrier
	s_and_saveexec_b64 s[4:5], vcc
	s_cbranch_execz .LBB113_71
; %bb.65:
	scratch_load_dwordx4 v[192:195], off, off ; 16-byte Folded Reload
	s_waitcnt vmcnt(0)
	ds_write2_b64 v201, v[192:193], v[194:195] offset1:1
	ds_write2_b64 v202, v[188:189], v[190:191] offset0:16 offset1:17
	ds_write2_b64 v202, v[184:185], v[186:187] offset0:18 offset1:19
	;; [unrolled: 1-line block ×49, first 2 shown]
	ds_read2_b64 v[208:211], v201 offset1:1
	s_waitcnt lgkmcnt(0)
	v_cmp_neq_f64_e32 vcc, 0, v[208:209]
	v_cmp_neq_f64_e64 s[2:3], 0, v[210:211]
	s_or_b64 s[2:3], vcc, s[2:3]
	s_and_b64 exec, exec, s[2:3]
	s_cbranch_execz .LBB113_71
; %bb.66:
	v_cmp_ngt_f64_e64 s[2:3], |v[208:209]|, |v[210:211]|
                                        ; implicit-def: $vgpr204_vgpr205
	s_and_saveexec_b64 s[10:11], s[2:3]
	s_xor_b64 s[2:3], exec, s[10:11]
                                        ; implicit-def: $vgpr206_vgpr207
	s_cbranch_execz .LBB113_68
; %bb.67:
	v_div_scale_f64 v[204:205], s[10:11], v[210:211], v[210:211], v[208:209]
	v_rcp_f64_e32 v[206:207], v[204:205]
	v_div_scale_f64 v[212:213], vcc, v[208:209], v[210:211], v[208:209]
	v_fma_f64 v[214:215], -v[204:205], v[206:207], 1.0
	v_fmac_f64_e32 v[206:207], v[206:207], v[214:215]
	v_fma_f64 v[214:215], -v[204:205], v[206:207], 1.0
	v_fmac_f64_e32 v[206:207], v[206:207], v[214:215]
	v_mul_f64 v[214:215], v[212:213], v[206:207]
	v_fma_f64 v[204:205], -v[204:205], v[214:215], v[212:213]
	v_div_fmas_f64 v[204:205], v[204:205], v[206:207], v[214:215]
	v_div_fixup_f64 v[204:205], v[204:205], v[210:211], v[208:209]
	v_fmac_f64_e32 v[210:211], v[208:209], v[204:205]
	v_div_scale_f64 v[206:207], s[10:11], v[210:211], v[210:211], 1.0
	v_rcp_f64_e32 v[208:209], v[206:207]
	s_nop 0
	v_fma_f64 v[212:213], -v[206:207], v[208:209], 1.0
	v_fmac_f64_e32 v[208:209], v[208:209], v[212:213]
	v_fma_f64 v[212:213], -v[206:207], v[208:209], 1.0
	v_fmac_f64_e32 v[208:209], v[208:209], v[212:213]
	v_div_scale_f64 v[212:213], vcc, 1.0, v[210:211], 1.0
	v_mul_f64 v[214:215], v[212:213], v[208:209]
	v_fma_f64 v[206:207], -v[206:207], v[214:215], v[212:213]
	s_nop 1
	v_div_fmas_f64 v[206:207], v[206:207], v[208:209], v[214:215]
	v_div_fixup_f64 v[206:207], v[206:207], v[210:211], 1.0
	v_mul_f64 v[204:205], v[204:205], v[206:207]
	v_xor_b32_e32 v207, 0x80000000, v207
                                        ; implicit-def: $vgpr208_vgpr209
.LBB113_68:
	s_andn2_saveexec_b64 s[2:3], s[2:3]
	s_cbranch_execz .LBB113_70
; %bb.69:
	v_div_scale_f64 v[204:205], s[10:11], v[208:209], v[208:209], v[210:211]
	v_rcp_f64_e32 v[206:207], v[204:205]
	v_div_scale_f64 v[212:213], vcc, v[210:211], v[208:209], v[210:211]
	v_fma_f64 v[214:215], -v[204:205], v[206:207], 1.0
	v_fmac_f64_e32 v[206:207], v[206:207], v[214:215]
	v_fma_f64 v[214:215], -v[204:205], v[206:207], 1.0
	v_fmac_f64_e32 v[206:207], v[206:207], v[214:215]
	v_mul_f64 v[214:215], v[212:213], v[206:207]
	v_fma_f64 v[204:205], -v[204:205], v[214:215], v[212:213]
	v_div_fmas_f64 v[204:205], v[204:205], v[206:207], v[214:215]
	v_div_fixup_f64 v[206:207], v[204:205], v[208:209], v[210:211]
	v_fmac_f64_e32 v[208:209], v[210:211], v[206:207]
	v_div_scale_f64 v[204:205], s[10:11], v[208:209], v[208:209], 1.0
	v_rcp_f64_e32 v[210:211], v[204:205]
	s_nop 0
	v_fma_f64 v[212:213], -v[204:205], v[210:211], 1.0
	v_fmac_f64_e32 v[210:211], v[210:211], v[212:213]
	v_fma_f64 v[212:213], -v[204:205], v[210:211], 1.0
	v_fmac_f64_e32 v[210:211], v[210:211], v[212:213]
	v_div_scale_f64 v[212:213], vcc, 1.0, v[208:209], 1.0
	v_mul_f64 v[214:215], v[212:213], v[210:211]
	v_fma_f64 v[204:205], -v[204:205], v[214:215], v[212:213]
	s_nop 1
	v_div_fmas_f64 v[204:205], v[204:205], v[210:211], v[214:215]
	v_div_fixup_f64 v[204:205], v[204:205], v[208:209], 1.0
	v_mul_f64 v[206:207], v[206:207], -v[204:205]
.LBB113_70:
	s_or_b64 exec, exec, s[2:3]
	ds_write2_b64 v201, v[204:205], v[206:207] offset1:1
.LBB113_71:
	s_or_b64 exec, exec, s[4:5]
	s_waitcnt lgkmcnt(0)
	s_barrier
	ds_read2_b64 v[192:195], v201 offset1:1
	v_cmp_lt_u32_e32 vcc, 7, v200
	s_waitcnt lgkmcnt(0)
	scratch_store_dwordx4 off, v[192:195], off offset:680 ; 16-byte Folded Spill
	s_and_saveexec_b64 s[2:3], vcc
	s_cbranch_execz .LBB113_73
; %bb.72:
	scratch_load_dwordx4 v[192:195], off, off ; 16-byte Folded Reload
	scratch_load_dwordx4 v[210:213], off, off offset:680 ; 16-byte Folded Reload
	s_waitcnt vmcnt(0)
	v_mul_f64 v[204:205], v[212:213], v[194:195]
	v_fma_f64 v[208:209], v[210:211], v[192:193], -v[204:205]
	ds_read2_b64 v[204:207], v202 offset0:16 offset1:17
	v_mul_f64 v[194:195], v[210:211], v[194:195]
	v_fmac_f64_e32 v[194:195], v[212:213], v[192:193]
	s_waitcnt lgkmcnt(0)
	v_mul_f64 v[192:193], v[206:207], v[194:195]
	v_fma_f64 v[192:193], v[204:205], v[208:209], -v[192:193]
	v_mul_f64 v[204:205], v[204:205], v[194:195]
	v_fmac_f64_e32 v[204:205], v[206:207], v[208:209]
	v_add_f64 v[190:191], v[190:191], -v[204:205]
	ds_read2_b64 v[204:207], v202 offset0:18 offset1:19
	v_add_f64 v[188:189], v[188:189], -v[192:193]
	s_waitcnt lgkmcnt(0)
	v_mul_f64 v[192:193], v[206:207], v[194:195]
	v_fma_f64 v[192:193], v[204:205], v[208:209], -v[192:193]
	v_mul_f64 v[204:205], v[204:205], v[194:195]
	v_fmac_f64_e32 v[204:205], v[206:207], v[208:209]
	v_add_f64 v[186:187], v[186:187], -v[204:205]
	ds_read2_b64 v[204:207], v202 offset0:20 offset1:21
	v_add_f64 v[184:185], v[184:185], -v[192:193]
	;; [unrolled: 8-line block ×48, first 2 shown]
	s_waitcnt lgkmcnt(0)
	v_mul_f64 v[192:193], v[206:207], v[194:195]
	v_fma_f64 v[192:193], v[204:205], v[208:209], -v[192:193]
	v_mul_f64 v[204:205], v[204:205], v[194:195]
	v_fmac_f64_e32 v[204:205], v[206:207], v[208:209]
	v_add_f64 v[224:225], v[224:225], -v[192:193]
	v_add_f64 v[226:227], v[226:227], -v[204:205]
	v_mov_b64_e32 v[192:193], v[208:209]
	scratch_store_dwordx4 off, v[192:195], off ; 16-byte Folded Spill
.LBB113_73:
	s_or_b64 exec, exec, s[2:3]
	v_cmp_eq_u32_e32 vcc, 8, v200
	s_waitcnt vmcnt(63) expcnt(7) lgkmcnt(15)
	s_barrier
	s_and_saveexec_b64 s[4:5], vcc
	s_cbranch_execz .LBB113_80
; %bb.74:
	ds_write2_b64 v201, v[188:189], v[190:191] offset1:1
	ds_write2_b64 v202, v[184:185], v[186:187] offset0:18 offset1:19
	ds_write2_b64 v202, v[180:181], v[182:183] offset0:20 offset1:21
	;; [unrolled: 1-line block ×30, first 2 shown]
	s_waitcnt vmcnt(62)
	ds_write2_b64 v202, v[64:65], v[66:67] offset0:78 offset1:79
	s_waitcnt vmcnt(38)
	ds_write2_b64 v202, v[60:61], v[62:63] offset0:80 offset1:81
	;; [unrolled: 2-line block ×12, first 2 shown]
	ds_write2_b64 v202, v[16:17], v[18:19] offset0:102 offset1:103
	ds_write2_b64 v202, v[12:13], v[14:15] offset0:104 offset1:105
	;; [unrolled: 1-line block ×4, first 2 shown]
	s_waitcnt vmcnt(27)
	ds_write2_b64 v202, v[0:1], v[2:3] offset0:110 offset1:111
	s_waitcnt vmcnt(24)
	ds_write2_b64 v202, v[224:225], v[226:227] offset0:112 offset1:113
	ds_read2_b64 v[208:211], v201 offset1:1
	s_waitcnt lgkmcnt(0)
	v_cmp_neq_f64_e32 vcc, 0, v[208:209]
	v_cmp_neq_f64_e64 s[2:3], 0, v[210:211]
	s_or_b64 s[2:3], vcc, s[2:3]
	s_and_b64 exec, exec, s[2:3]
	s_cbranch_execz .LBB113_80
; %bb.75:
	v_cmp_ngt_f64_e64 s[2:3], |v[208:209]|, |v[210:211]|
                                        ; implicit-def: $vgpr204_vgpr205
	s_and_saveexec_b64 s[10:11], s[2:3]
	s_xor_b64 s[2:3], exec, s[10:11]
                                        ; implicit-def: $vgpr206_vgpr207
	s_cbranch_execz .LBB113_77
; %bb.76:
	v_div_scale_f64 v[204:205], s[10:11], v[210:211], v[210:211], v[208:209]
	v_rcp_f64_e32 v[206:207], v[204:205]
	v_div_scale_f64 v[212:213], vcc, v[208:209], v[210:211], v[208:209]
	v_fma_f64 v[214:215], -v[204:205], v[206:207], 1.0
	v_fmac_f64_e32 v[206:207], v[206:207], v[214:215]
	v_fma_f64 v[214:215], -v[204:205], v[206:207], 1.0
	v_fmac_f64_e32 v[206:207], v[206:207], v[214:215]
	v_mul_f64 v[214:215], v[212:213], v[206:207]
	v_fma_f64 v[204:205], -v[204:205], v[214:215], v[212:213]
	v_div_fmas_f64 v[204:205], v[204:205], v[206:207], v[214:215]
	v_div_fixup_f64 v[204:205], v[204:205], v[210:211], v[208:209]
	v_fmac_f64_e32 v[210:211], v[208:209], v[204:205]
	v_div_scale_f64 v[206:207], s[10:11], v[210:211], v[210:211], 1.0
	v_rcp_f64_e32 v[208:209], v[206:207]
	s_nop 0
	v_fma_f64 v[212:213], -v[206:207], v[208:209], 1.0
	v_fmac_f64_e32 v[208:209], v[208:209], v[212:213]
	v_fma_f64 v[212:213], -v[206:207], v[208:209], 1.0
	v_fmac_f64_e32 v[208:209], v[208:209], v[212:213]
	v_div_scale_f64 v[212:213], vcc, 1.0, v[210:211], 1.0
	v_mul_f64 v[214:215], v[212:213], v[208:209]
	v_fma_f64 v[206:207], -v[206:207], v[214:215], v[212:213]
	s_nop 1
	v_div_fmas_f64 v[206:207], v[206:207], v[208:209], v[214:215]
	v_div_fixup_f64 v[206:207], v[206:207], v[210:211], 1.0
	v_mul_f64 v[204:205], v[204:205], v[206:207]
	v_xor_b32_e32 v207, 0x80000000, v207
                                        ; implicit-def: $vgpr208_vgpr209
.LBB113_77:
	s_andn2_saveexec_b64 s[2:3], s[2:3]
	s_cbranch_execz .LBB113_79
; %bb.78:
	v_div_scale_f64 v[204:205], s[10:11], v[208:209], v[208:209], v[210:211]
	v_rcp_f64_e32 v[206:207], v[204:205]
	v_div_scale_f64 v[212:213], vcc, v[210:211], v[208:209], v[210:211]
	v_fma_f64 v[214:215], -v[204:205], v[206:207], 1.0
	v_fmac_f64_e32 v[206:207], v[206:207], v[214:215]
	v_fma_f64 v[214:215], -v[204:205], v[206:207], 1.0
	v_fmac_f64_e32 v[206:207], v[206:207], v[214:215]
	v_mul_f64 v[214:215], v[212:213], v[206:207]
	v_fma_f64 v[204:205], -v[204:205], v[214:215], v[212:213]
	v_div_fmas_f64 v[204:205], v[204:205], v[206:207], v[214:215]
	v_div_fixup_f64 v[206:207], v[204:205], v[208:209], v[210:211]
	v_fmac_f64_e32 v[208:209], v[210:211], v[206:207]
	v_div_scale_f64 v[204:205], s[10:11], v[208:209], v[208:209], 1.0
	v_rcp_f64_e32 v[210:211], v[204:205]
	s_nop 0
	v_fma_f64 v[212:213], -v[204:205], v[210:211], 1.0
	v_fmac_f64_e32 v[210:211], v[210:211], v[212:213]
	v_fma_f64 v[212:213], -v[204:205], v[210:211], 1.0
	v_fmac_f64_e32 v[210:211], v[210:211], v[212:213]
	v_div_scale_f64 v[212:213], vcc, 1.0, v[208:209], 1.0
	v_mul_f64 v[214:215], v[212:213], v[210:211]
	v_fma_f64 v[204:205], -v[204:205], v[214:215], v[212:213]
	s_nop 1
	v_div_fmas_f64 v[204:205], v[204:205], v[210:211], v[214:215]
	v_div_fixup_f64 v[204:205], v[204:205], v[208:209], 1.0
	v_mul_f64 v[206:207], v[206:207], -v[204:205]
.LBB113_79:
	s_or_b64 exec, exec, s[2:3]
	ds_write2_b64 v201, v[204:205], v[206:207] offset1:1
.LBB113_80:
	s_or_b64 exec, exec, s[4:5]
	s_waitcnt lgkmcnt(0)
	s_barrier
	ds_read2_b64 v[192:195], v201 offset1:1
	v_cmp_lt_u32_e32 vcc, 8, v200
	s_waitcnt lgkmcnt(0)
	scratch_store_dwordx4 off, v[192:195], off offset:696 ; 16-byte Folded Spill
	s_and_saveexec_b64 s[2:3], vcc
	s_cbranch_execz .LBB113_82
; %bb.81:
	scratch_load_dwordx4 v[192:195], off, off offset:696 ; 16-byte Folded Reload
	s_waitcnt vmcnt(0)
	v_mul_f64 v[204:205], v[194:195], v[190:191]
	v_fma_f64 v[208:209], v[192:193], v[188:189], -v[204:205]
	ds_read2_b64 v[204:207], v202 offset0:18 offset1:19
	v_mul_f64 v[190:191], v[192:193], v[190:191]
	v_fmac_f64_e32 v[190:191], v[194:195], v[188:189]
	s_waitcnt lgkmcnt(0)
	v_mul_f64 v[188:189], v[206:207], v[190:191]
	v_fma_f64 v[188:189], v[204:205], v[208:209], -v[188:189]
	v_mul_f64 v[204:205], v[204:205], v[190:191]
	v_fmac_f64_e32 v[204:205], v[206:207], v[208:209]
	v_add_f64 v[186:187], v[186:187], -v[204:205]
	ds_read2_b64 v[204:207], v202 offset0:20 offset1:21
	v_add_f64 v[184:185], v[184:185], -v[188:189]
	s_waitcnt lgkmcnt(0)
	v_mul_f64 v[188:189], v[206:207], v[190:191]
	v_fma_f64 v[188:189], v[204:205], v[208:209], -v[188:189]
	v_mul_f64 v[204:205], v[204:205], v[190:191]
	v_fmac_f64_e32 v[204:205], v[206:207], v[208:209]
	v_add_f64 v[182:183], v[182:183], -v[204:205]
	ds_read2_b64 v[204:207], v202 offset0:22 offset1:23
	v_add_f64 v[180:181], v[180:181], -v[188:189]
	;; [unrolled: 8-line block ×47, first 2 shown]
	s_waitcnt lgkmcnt(0)
	v_mul_f64 v[188:189], v[206:207], v[190:191]
	v_fma_f64 v[188:189], v[204:205], v[208:209], -v[188:189]
	v_mul_f64 v[204:205], v[204:205], v[190:191]
	v_fmac_f64_e32 v[204:205], v[206:207], v[208:209]
	v_add_f64 v[224:225], v[224:225], -v[188:189]
	v_add_f64 v[226:227], v[226:227], -v[204:205]
	v_mov_b64_e32 v[188:189], v[208:209]
.LBB113_82:
	s_or_b64 exec, exec, s[2:3]
	v_cmp_eq_u32_e32 vcc, 9, v200
	s_waitcnt vmcnt(63) expcnt(7) lgkmcnt(15)
	s_barrier
	s_and_saveexec_b64 s[4:5], vcc
	s_cbranch_execz .LBB113_89
; %bb.83:
	ds_write2_b64 v201, v[184:185], v[186:187] offset1:1
	ds_write2_b64 v202, v[180:181], v[182:183] offset0:20 offset1:21
	ds_write2_b64 v202, v[176:177], v[178:179] offset0:22 offset1:23
	;; [unrolled: 1-line block ×30, first 2 shown]
	s_waitcnt vmcnt(39)
	ds_write2_b64 v202, v[60:61], v[62:63] offset0:80 offset1:81
	s_waitcnt vmcnt(38)
	ds_write2_b64 v202, v[56:57], v[58:59] offset0:82 offset1:83
	;; [unrolled: 2-line block ×11, first 2 shown]
	ds_write2_b64 v202, v[16:17], v[18:19] offset0:102 offset1:103
	ds_write2_b64 v202, v[12:13], v[14:15] offset0:104 offset1:105
	;; [unrolled: 1-line block ×4, first 2 shown]
	s_waitcnt vmcnt(28)
	ds_write2_b64 v202, v[0:1], v[2:3] offset0:110 offset1:111
	s_waitcnt vmcnt(25)
	ds_write2_b64 v202, v[224:225], v[226:227] offset0:112 offset1:113
	ds_read2_b64 v[208:211], v201 offset1:1
	s_waitcnt lgkmcnt(0)
	v_cmp_neq_f64_e32 vcc, 0, v[208:209]
	v_cmp_neq_f64_e64 s[2:3], 0, v[210:211]
	s_or_b64 s[2:3], vcc, s[2:3]
	s_and_b64 exec, exec, s[2:3]
	s_cbranch_execz .LBB113_89
; %bb.84:
	v_cmp_ngt_f64_e64 s[2:3], |v[208:209]|, |v[210:211]|
                                        ; implicit-def: $vgpr204_vgpr205
	s_and_saveexec_b64 s[10:11], s[2:3]
	s_xor_b64 s[2:3], exec, s[10:11]
                                        ; implicit-def: $vgpr206_vgpr207
	s_cbranch_execz .LBB113_86
; %bb.85:
	v_div_scale_f64 v[204:205], s[10:11], v[210:211], v[210:211], v[208:209]
	v_rcp_f64_e32 v[206:207], v[204:205]
	v_div_scale_f64 v[212:213], vcc, v[208:209], v[210:211], v[208:209]
	v_fma_f64 v[214:215], -v[204:205], v[206:207], 1.0
	v_fmac_f64_e32 v[206:207], v[206:207], v[214:215]
	v_fma_f64 v[214:215], -v[204:205], v[206:207], 1.0
	v_fmac_f64_e32 v[206:207], v[206:207], v[214:215]
	v_mul_f64 v[214:215], v[212:213], v[206:207]
	v_fma_f64 v[204:205], -v[204:205], v[214:215], v[212:213]
	v_div_fmas_f64 v[204:205], v[204:205], v[206:207], v[214:215]
	v_div_fixup_f64 v[204:205], v[204:205], v[210:211], v[208:209]
	v_fmac_f64_e32 v[210:211], v[208:209], v[204:205]
	v_div_scale_f64 v[206:207], s[10:11], v[210:211], v[210:211], 1.0
	v_rcp_f64_e32 v[208:209], v[206:207]
	s_nop 0
	v_fma_f64 v[212:213], -v[206:207], v[208:209], 1.0
	v_fmac_f64_e32 v[208:209], v[208:209], v[212:213]
	v_fma_f64 v[212:213], -v[206:207], v[208:209], 1.0
	v_fmac_f64_e32 v[208:209], v[208:209], v[212:213]
	v_div_scale_f64 v[212:213], vcc, 1.0, v[210:211], 1.0
	v_mul_f64 v[214:215], v[212:213], v[208:209]
	v_fma_f64 v[206:207], -v[206:207], v[214:215], v[212:213]
	s_nop 1
	v_div_fmas_f64 v[206:207], v[206:207], v[208:209], v[214:215]
	v_div_fixup_f64 v[206:207], v[206:207], v[210:211], 1.0
	v_mul_f64 v[204:205], v[204:205], v[206:207]
	v_xor_b32_e32 v207, 0x80000000, v207
                                        ; implicit-def: $vgpr208_vgpr209
.LBB113_86:
	s_andn2_saveexec_b64 s[2:3], s[2:3]
	s_cbranch_execz .LBB113_88
; %bb.87:
	v_div_scale_f64 v[204:205], s[10:11], v[208:209], v[208:209], v[210:211]
	v_rcp_f64_e32 v[206:207], v[204:205]
	v_div_scale_f64 v[212:213], vcc, v[210:211], v[208:209], v[210:211]
	v_fma_f64 v[214:215], -v[204:205], v[206:207], 1.0
	v_fmac_f64_e32 v[206:207], v[206:207], v[214:215]
	v_fma_f64 v[214:215], -v[204:205], v[206:207], 1.0
	v_fmac_f64_e32 v[206:207], v[206:207], v[214:215]
	v_mul_f64 v[214:215], v[212:213], v[206:207]
	v_fma_f64 v[204:205], -v[204:205], v[214:215], v[212:213]
	v_div_fmas_f64 v[204:205], v[204:205], v[206:207], v[214:215]
	v_div_fixup_f64 v[206:207], v[204:205], v[208:209], v[210:211]
	v_fmac_f64_e32 v[208:209], v[210:211], v[206:207]
	v_div_scale_f64 v[204:205], s[10:11], v[208:209], v[208:209], 1.0
	v_rcp_f64_e32 v[210:211], v[204:205]
	s_nop 0
	v_fma_f64 v[212:213], -v[204:205], v[210:211], 1.0
	v_fmac_f64_e32 v[210:211], v[210:211], v[212:213]
	v_fma_f64 v[212:213], -v[204:205], v[210:211], 1.0
	v_fmac_f64_e32 v[210:211], v[210:211], v[212:213]
	v_div_scale_f64 v[212:213], vcc, 1.0, v[208:209], 1.0
	v_mul_f64 v[214:215], v[212:213], v[210:211]
	v_fma_f64 v[204:205], -v[204:205], v[214:215], v[212:213]
	s_nop 1
	v_div_fmas_f64 v[204:205], v[204:205], v[210:211], v[214:215]
	v_div_fixup_f64 v[204:205], v[204:205], v[208:209], 1.0
	v_mul_f64 v[206:207], v[206:207], -v[204:205]
.LBB113_88:
	s_or_b64 exec, exec, s[2:3]
	ds_write2_b64 v201, v[204:205], v[206:207] offset1:1
.LBB113_89:
	s_or_b64 exec, exec, s[4:5]
	s_waitcnt lgkmcnt(0)
	s_barrier
	ds_read2_b64 v[192:195], v201 offset1:1
	v_cmp_lt_u32_e32 vcc, 9, v200
	s_waitcnt lgkmcnt(0)
	scratch_store_dwordx4 off, v[192:195], off offset:712 ; 16-byte Folded Spill
	s_and_saveexec_b64 s[2:3], vcc
	s_cbranch_execz .LBB113_91
; %bb.90:
	scratch_load_dwordx4 v[192:195], off, off offset:712 ; 16-byte Folded Reload
	s_waitcnt vmcnt(0)
	v_mul_f64 v[204:205], v[194:195], v[186:187]
	v_fma_f64 v[208:209], v[192:193], v[184:185], -v[204:205]
	ds_read2_b64 v[204:207], v202 offset0:20 offset1:21
	v_mul_f64 v[186:187], v[192:193], v[186:187]
	v_fmac_f64_e32 v[186:187], v[194:195], v[184:185]
	s_waitcnt lgkmcnt(0)
	v_mul_f64 v[184:185], v[206:207], v[186:187]
	v_fma_f64 v[184:185], v[204:205], v[208:209], -v[184:185]
	v_mul_f64 v[204:205], v[204:205], v[186:187]
	v_fmac_f64_e32 v[204:205], v[206:207], v[208:209]
	v_add_f64 v[182:183], v[182:183], -v[204:205]
	ds_read2_b64 v[204:207], v202 offset0:22 offset1:23
	v_add_f64 v[180:181], v[180:181], -v[184:185]
	s_waitcnt lgkmcnt(0)
	v_mul_f64 v[184:185], v[206:207], v[186:187]
	v_fma_f64 v[184:185], v[204:205], v[208:209], -v[184:185]
	v_mul_f64 v[204:205], v[204:205], v[186:187]
	v_fmac_f64_e32 v[204:205], v[206:207], v[208:209]
	v_add_f64 v[178:179], v[178:179], -v[204:205]
	ds_read2_b64 v[204:207], v202 offset0:24 offset1:25
	v_add_f64 v[176:177], v[176:177], -v[184:185]
	;; [unrolled: 8-line block ×46, first 2 shown]
	s_waitcnt lgkmcnt(0)
	v_mul_f64 v[184:185], v[206:207], v[186:187]
	v_fma_f64 v[184:185], v[204:205], v[208:209], -v[184:185]
	v_mul_f64 v[204:205], v[204:205], v[186:187]
	v_fmac_f64_e32 v[204:205], v[206:207], v[208:209]
	v_add_f64 v[224:225], v[224:225], -v[184:185]
	v_add_f64 v[226:227], v[226:227], -v[204:205]
	v_mov_b64_e32 v[184:185], v[208:209]
.LBB113_91:
	s_or_b64 exec, exec, s[2:3]
	v_cmp_eq_u32_e32 vcc, 10, v200
	s_waitcnt vmcnt(63) expcnt(7) lgkmcnt(15)
	s_barrier
	s_and_saveexec_b64 s[4:5], vcc
	s_cbranch_execz .LBB113_98
; %bb.92:
	ds_write2_b64 v201, v[180:181], v[182:183] offset1:1
	ds_write2_b64 v202, v[176:177], v[178:179] offset0:22 offset1:23
	ds_write2_b64 v202, v[172:173], v[174:175] offset0:24 offset1:25
	;; [unrolled: 1-line block ×29, first 2 shown]
	s_waitcnt vmcnt(40)
	ds_write2_b64 v202, v[60:61], v[62:63] offset0:80 offset1:81
	s_waitcnt vmcnt(39)
	ds_write2_b64 v202, v[56:57], v[58:59] offset0:82 offset1:83
	;; [unrolled: 2-line block ×11, first 2 shown]
	ds_write2_b64 v202, v[16:17], v[18:19] offset0:102 offset1:103
	ds_write2_b64 v202, v[12:13], v[14:15] offset0:104 offset1:105
	;; [unrolled: 1-line block ×4, first 2 shown]
	s_waitcnt vmcnt(29)
	ds_write2_b64 v202, v[0:1], v[2:3] offset0:110 offset1:111
	s_waitcnt vmcnt(26)
	ds_write2_b64 v202, v[224:225], v[226:227] offset0:112 offset1:113
	ds_read2_b64 v[208:211], v201 offset1:1
	s_waitcnt lgkmcnt(0)
	v_cmp_neq_f64_e32 vcc, 0, v[208:209]
	v_cmp_neq_f64_e64 s[2:3], 0, v[210:211]
	s_or_b64 s[2:3], vcc, s[2:3]
	s_and_b64 exec, exec, s[2:3]
	s_cbranch_execz .LBB113_98
; %bb.93:
	v_cmp_ngt_f64_e64 s[2:3], |v[208:209]|, |v[210:211]|
                                        ; implicit-def: $vgpr204_vgpr205
	s_and_saveexec_b64 s[10:11], s[2:3]
	s_xor_b64 s[2:3], exec, s[10:11]
                                        ; implicit-def: $vgpr206_vgpr207
	s_cbranch_execz .LBB113_95
; %bb.94:
	v_div_scale_f64 v[204:205], s[10:11], v[210:211], v[210:211], v[208:209]
	v_rcp_f64_e32 v[206:207], v[204:205]
	v_div_scale_f64 v[212:213], vcc, v[208:209], v[210:211], v[208:209]
	v_fma_f64 v[214:215], -v[204:205], v[206:207], 1.0
	v_fmac_f64_e32 v[206:207], v[206:207], v[214:215]
	v_fma_f64 v[214:215], -v[204:205], v[206:207], 1.0
	v_fmac_f64_e32 v[206:207], v[206:207], v[214:215]
	v_mul_f64 v[214:215], v[212:213], v[206:207]
	v_fma_f64 v[204:205], -v[204:205], v[214:215], v[212:213]
	v_div_fmas_f64 v[204:205], v[204:205], v[206:207], v[214:215]
	v_div_fixup_f64 v[204:205], v[204:205], v[210:211], v[208:209]
	v_fmac_f64_e32 v[210:211], v[208:209], v[204:205]
	v_div_scale_f64 v[206:207], s[10:11], v[210:211], v[210:211], 1.0
	v_rcp_f64_e32 v[208:209], v[206:207]
	s_nop 0
	v_fma_f64 v[212:213], -v[206:207], v[208:209], 1.0
	v_fmac_f64_e32 v[208:209], v[208:209], v[212:213]
	v_fma_f64 v[212:213], -v[206:207], v[208:209], 1.0
	v_fmac_f64_e32 v[208:209], v[208:209], v[212:213]
	v_div_scale_f64 v[212:213], vcc, 1.0, v[210:211], 1.0
	v_mul_f64 v[214:215], v[212:213], v[208:209]
	v_fma_f64 v[206:207], -v[206:207], v[214:215], v[212:213]
	s_nop 1
	v_div_fmas_f64 v[206:207], v[206:207], v[208:209], v[214:215]
	v_div_fixup_f64 v[206:207], v[206:207], v[210:211], 1.0
	v_mul_f64 v[204:205], v[204:205], v[206:207]
	v_xor_b32_e32 v207, 0x80000000, v207
                                        ; implicit-def: $vgpr208_vgpr209
.LBB113_95:
	s_andn2_saveexec_b64 s[2:3], s[2:3]
	s_cbranch_execz .LBB113_97
; %bb.96:
	v_div_scale_f64 v[204:205], s[10:11], v[208:209], v[208:209], v[210:211]
	v_rcp_f64_e32 v[206:207], v[204:205]
	v_div_scale_f64 v[212:213], vcc, v[210:211], v[208:209], v[210:211]
	v_fma_f64 v[214:215], -v[204:205], v[206:207], 1.0
	v_fmac_f64_e32 v[206:207], v[206:207], v[214:215]
	v_fma_f64 v[214:215], -v[204:205], v[206:207], 1.0
	v_fmac_f64_e32 v[206:207], v[206:207], v[214:215]
	v_mul_f64 v[214:215], v[212:213], v[206:207]
	v_fma_f64 v[204:205], -v[204:205], v[214:215], v[212:213]
	v_div_fmas_f64 v[204:205], v[204:205], v[206:207], v[214:215]
	v_div_fixup_f64 v[206:207], v[204:205], v[208:209], v[210:211]
	v_fmac_f64_e32 v[208:209], v[210:211], v[206:207]
	v_div_scale_f64 v[204:205], s[10:11], v[208:209], v[208:209], 1.0
	v_rcp_f64_e32 v[210:211], v[204:205]
	s_nop 0
	v_fma_f64 v[212:213], -v[204:205], v[210:211], 1.0
	v_fmac_f64_e32 v[210:211], v[210:211], v[212:213]
	v_fma_f64 v[212:213], -v[204:205], v[210:211], 1.0
	v_fmac_f64_e32 v[210:211], v[210:211], v[212:213]
	v_div_scale_f64 v[212:213], vcc, 1.0, v[208:209], 1.0
	v_mul_f64 v[214:215], v[212:213], v[210:211]
	v_fma_f64 v[204:205], -v[204:205], v[214:215], v[212:213]
	s_nop 1
	v_div_fmas_f64 v[204:205], v[204:205], v[210:211], v[214:215]
	v_div_fixup_f64 v[204:205], v[204:205], v[208:209], 1.0
	v_mul_f64 v[206:207], v[206:207], -v[204:205]
.LBB113_97:
	s_or_b64 exec, exec, s[2:3]
	ds_write2_b64 v201, v[204:205], v[206:207] offset1:1
.LBB113_98:
	s_or_b64 exec, exec, s[4:5]
	s_waitcnt lgkmcnt(0)
	s_barrier
	ds_read2_b64 v[192:195], v201 offset1:1
	v_cmp_lt_u32_e32 vcc, 10, v200
	s_waitcnt lgkmcnt(0)
	scratch_store_dwordx4 off, v[192:195], off offset:728 ; 16-byte Folded Spill
	s_and_saveexec_b64 s[2:3], vcc
	s_cbranch_execz .LBB113_100
; %bb.99:
	scratch_load_dwordx4 v[192:195], off, off offset:728 ; 16-byte Folded Reload
	s_waitcnt vmcnt(0)
	v_mul_f64 v[204:205], v[194:195], v[182:183]
	v_fma_f64 v[208:209], v[192:193], v[180:181], -v[204:205]
	ds_read2_b64 v[204:207], v202 offset0:22 offset1:23
	v_mul_f64 v[182:183], v[192:193], v[182:183]
	v_fmac_f64_e32 v[182:183], v[194:195], v[180:181]
	s_waitcnt lgkmcnt(0)
	v_mul_f64 v[180:181], v[206:207], v[182:183]
	v_fma_f64 v[180:181], v[204:205], v[208:209], -v[180:181]
	v_mul_f64 v[204:205], v[204:205], v[182:183]
	v_fmac_f64_e32 v[204:205], v[206:207], v[208:209]
	v_add_f64 v[178:179], v[178:179], -v[204:205]
	ds_read2_b64 v[204:207], v202 offset0:24 offset1:25
	v_add_f64 v[176:177], v[176:177], -v[180:181]
	s_waitcnt lgkmcnt(0)
	v_mul_f64 v[180:181], v[206:207], v[182:183]
	v_fma_f64 v[180:181], v[204:205], v[208:209], -v[180:181]
	v_mul_f64 v[204:205], v[204:205], v[182:183]
	v_fmac_f64_e32 v[204:205], v[206:207], v[208:209]
	v_add_f64 v[174:175], v[174:175], -v[204:205]
	ds_read2_b64 v[204:207], v202 offset0:26 offset1:27
	v_add_f64 v[172:173], v[172:173], -v[180:181]
	;; [unrolled: 8-line block ×45, first 2 shown]
	s_waitcnt lgkmcnt(0)
	v_mul_f64 v[180:181], v[206:207], v[182:183]
	v_fma_f64 v[180:181], v[204:205], v[208:209], -v[180:181]
	v_mul_f64 v[204:205], v[204:205], v[182:183]
	v_fmac_f64_e32 v[204:205], v[206:207], v[208:209]
	v_add_f64 v[224:225], v[224:225], -v[180:181]
	v_add_f64 v[226:227], v[226:227], -v[204:205]
	v_mov_b64_e32 v[180:181], v[208:209]
.LBB113_100:
	s_or_b64 exec, exec, s[2:3]
	v_cmp_eq_u32_e32 vcc, 11, v200
	s_waitcnt vmcnt(63) expcnt(7) lgkmcnt(15)
	s_barrier
	s_and_saveexec_b64 s[4:5], vcc
	s_cbranch_execz .LBB113_107
; %bb.101:
	ds_write2_b64 v201, v[176:177], v[178:179] offset1:1
	ds_write2_b64 v202, v[172:173], v[174:175] offset0:24 offset1:25
	ds_write2_b64 v202, v[168:169], v[170:171] offset0:26 offset1:27
	ds_write2_b64 v202, v[164:165], v[166:167] offset0:28 offset1:29
	ds_write2_b64 v202, v[160:161], v[162:163] offset0:30 offset1:31
	ds_write2_b64 v202, v[156:157], v[158:159] offset0:32 offset1:33
	ds_write2_b64 v202, v[152:153], v[154:155] offset0:34 offset1:35
	ds_write2_b64 v202, v[148:149], v[150:151] offset0:36 offset1:37
	ds_write2_b64 v202, v[144:145], v[146:147] offset0:38 offset1:39
	ds_write2_b64 v202, v[140:141], v[142:143] offset0:40 offset1:41
	ds_write2_b64 v202, v[136:137], v[138:139] offset0:42 offset1:43
	ds_write2_b64 v202, v[132:133], v[134:135] offset0:44 offset1:45
	ds_write2_b64 v202, v[128:129], v[130:131] offset0:46 offset1:47
	ds_write2_b64 v202, v[124:125], v[126:127] offset0:48 offset1:49
	ds_write2_b64 v202, v[120:121], v[122:123] offset0:50 offset1:51
	ds_write2_b64 v202, v[116:117], v[118:119] offset0:52 offset1:53
	ds_write2_b64 v202, v[112:113], v[114:115] offset0:54 offset1:55
	ds_write2_b64 v202, v[108:109], v[110:111] offset0:56 offset1:57
	ds_write2_b64 v202, v[104:105], v[106:107] offset0:58 offset1:59
	ds_write2_b64 v202, v[100:101], v[102:103] offset0:60 offset1:61
	ds_write2_b64 v202, v[96:97], v[98:99] offset0:62 offset1:63
	ds_write2_b64 v202, v[92:93], v[94:95] offset0:64 offset1:65
	ds_write2_b64 v202, v[88:89], v[90:91] offset0:66 offset1:67
	ds_write2_b64 v202, v[84:85], v[86:87] offset0:68 offset1:69
	ds_write2_b64 v202, v[80:81], v[82:83] offset0:70 offset1:71
	ds_write2_b64 v202, v[76:77], v[78:79] offset0:72 offset1:73
	ds_write2_b64 v202, v[72:73], v[74:75] offset0:74 offset1:75
	ds_write2_b64 v202, v[68:69], v[70:71] offset0:76 offset1:77
	ds_write2_b64 v202, v[64:65], v[66:67] offset0:78 offset1:79
	s_waitcnt vmcnt(41)
	ds_write2_b64 v202, v[60:61], v[62:63] offset0:80 offset1:81
	s_waitcnt vmcnt(40)
	ds_write2_b64 v202, v[56:57], v[58:59] offset0:82 offset1:83
	;; [unrolled: 2-line block ×11, first 2 shown]
	ds_write2_b64 v202, v[16:17], v[18:19] offset0:102 offset1:103
	ds_write2_b64 v202, v[12:13], v[14:15] offset0:104 offset1:105
	ds_write2_b64 v202, v[8:9], v[10:11] offset0:106 offset1:107
	ds_write2_b64 v202, v[4:5], v[6:7] offset0:108 offset1:109
	s_waitcnt vmcnt(30)
	ds_write2_b64 v202, v[0:1], v[2:3] offset0:110 offset1:111
	s_waitcnt vmcnt(27)
	ds_write2_b64 v202, v[224:225], v[226:227] offset0:112 offset1:113
	ds_read2_b64 v[208:211], v201 offset1:1
	s_waitcnt lgkmcnt(0)
	v_cmp_neq_f64_e32 vcc, 0, v[208:209]
	v_cmp_neq_f64_e64 s[2:3], 0, v[210:211]
	s_or_b64 s[2:3], vcc, s[2:3]
	s_and_b64 exec, exec, s[2:3]
	s_cbranch_execz .LBB113_107
; %bb.102:
	v_cmp_ngt_f64_e64 s[2:3], |v[208:209]|, |v[210:211]|
                                        ; implicit-def: $vgpr204_vgpr205
	s_and_saveexec_b64 s[10:11], s[2:3]
	s_xor_b64 s[2:3], exec, s[10:11]
                                        ; implicit-def: $vgpr206_vgpr207
	s_cbranch_execz .LBB113_104
; %bb.103:
	v_div_scale_f64 v[204:205], s[10:11], v[210:211], v[210:211], v[208:209]
	v_rcp_f64_e32 v[206:207], v[204:205]
	v_div_scale_f64 v[212:213], vcc, v[208:209], v[210:211], v[208:209]
	v_fma_f64 v[214:215], -v[204:205], v[206:207], 1.0
	v_fmac_f64_e32 v[206:207], v[206:207], v[214:215]
	v_fma_f64 v[214:215], -v[204:205], v[206:207], 1.0
	v_fmac_f64_e32 v[206:207], v[206:207], v[214:215]
	v_mul_f64 v[214:215], v[212:213], v[206:207]
	v_fma_f64 v[204:205], -v[204:205], v[214:215], v[212:213]
	v_div_fmas_f64 v[204:205], v[204:205], v[206:207], v[214:215]
	v_div_fixup_f64 v[204:205], v[204:205], v[210:211], v[208:209]
	v_fmac_f64_e32 v[210:211], v[208:209], v[204:205]
	v_div_scale_f64 v[206:207], s[10:11], v[210:211], v[210:211], 1.0
	v_rcp_f64_e32 v[208:209], v[206:207]
	s_nop 0
	v_fma_f64 v[212:213], -v[206:207], v[208:209], 1.0
	v_fmac_f64_e32 v[208:209], v[208:209], v[212:213]
	v_fma_f64 v[212:213], -v[206:207], v[208:209], 1.0
	v_fmac_f64_e32 v[208:209], v[208:209], v[212:213]
	v_div_scale_f64 v[212:213], vcc, 1.0, v[210:211], 1.0
	v_mul_f64 v[214:215], v[212:213], v[208:209]
	v_fma_f64 v[206:207], -v[206:207], v[214:215], v[212:213]
	s_nop 1
	v_div_fmas_f64 v[206:207], v[206:207], v[208:209], v[214:215]
	v_div_fixup_f64 v[206:207], v[206:207], v[210:211], 1.0
	v_mul_f64 v[204:205], v[204:205], v[206:207]
	v_xor_b32_e32 v207, 0x80000000, v207
                                        ; implicit-def: $vgpr208_vgpr209
.LBB113_104:
	s_andn2_saveexec_b64 s[2:3], s[2:3]
	s_cbranch_execz .LBB113_106
; %bb.105:
	v_div_scale_f64 v[204:205], s[10:11], v[208:209], v[208:209], v[210:211]
	v_rcp_f64_e32 v[206:207], v[204:205]
	v_div_scale_f64 v[212:213], vcc, v[210:211], v[208:209], v[210:211]
	v_fma_f64 v[214:215], -v[204:205], v[206:207], 1.0
	v_fmac_f64_e32 v[206:207], v[206:207], v[214:215]
	v_fma_f64 v[214:215], -v[204:205], v[206:207], 1.0
	v_fmac_f64_e32 v[206:207], v[206:207], v[214:215]
	v_mul_f64 v[214:215], v[212:213], v[206:207]
	v_fma_f64 v[204:205], -v[204:205], v[214:215], v[212:213]
	v_div_fmas_f64 v[204:205], v[204:205], v[206:207], v[214:215]
	v_div_fixup_f64 v[206:207], v[204:205], v[208:209], v[210:211]
	v_fmac_f64_e32 v[208:209], v[210:211], v[206:207]
	v_div_scale_f64 v[204:205], s[10:11], v[208:209], v[208:209], 1.0
	v_rcp_f64_e32 v[210:211], v[204:205]
	s_nop 0
	v_fma_f64 v[212:213], -v[204:205], v[210:211], 1.0
	v_fmac_f64_e32 v[210:211], v[210:211], v[212:213]
	v_fma_f64 v[212:213], -v[204:205], v[210:211], 1.0
	v_fmac_f64_e32 v[210:211], v[210:211], v[212:213]
	v_div_scale_f64 v[212:213], vcc, 1.0, v[208:209], 1.0
	v_mul_f64 v[214:215], v[212:213], v[210:211]
	v_fma_f64 v[204:205], -v[204:205], v[214:215], v[212:213]
	s_nop 1
	v_div_fmas_f64 v[204:205], v[204:205], v[210:211], v[214:215]
	v_div_fixup_f64 v[204:205], v[204:205], v[208:209], 1.0
	v_mul_f64 v[206:207], v[206:207], -v[204:205]
.LBB113_106:
	s_or_b64 exec, exec, s[2:3]
	ds_write2_b64 v201, v[204:205], v[206:207] offset1:1
.LBB113_107:
	s_or_b64 exec, exec, s[4:5]
	s_waitcnt lgkmcnt(0)
	s_barrier
	ds_read2_b64 v[192:195], v201 offset1:1
	v_cmp_lt_u32_e32 vcc, 11, v200
	s_waitcnt lgkmcnt(0)
	scratch_store_dwordx4 off, v[192:195], off offset:744 ; 16-byte Folded Spill
	s_and_saveexec_b64 s[2:3], vcc
	s_cbranch_execz .LBB113_109
; %bb.108:
	scratch_load_dwordx4 v[192:195], off, off offset:744 ; 16-byte Folded Reload
	s_waitcnt vmcnt(0)
	v_mul_f64 v[204:205], v[194:195], v[178:179]
	v_fma_f64 v[208:209], v[192:193], v[176:177], -v[204:205]
	ds_read2_b64 v[204:207], v202 offset0:24 offset1:25
	v_mul_f64 v[178:179], v[192:193], v[178:179]
	v_fmac_f64_e32 v[178:179], v[194:195], v[176:177]
	s_waitcnt lgkmcnt(0)
	v_mul_f64 v[176:177], v[206:207], v[178:179]
	v_fma_f64 v[176:177], v[204:205], v[208:209], -v[176:177]
	v_mul_f64 v[204:205], v[204:205], v[178:179]
	v_fmac_f64_e32 v[204:205], v[206:207], v[208:209]
	v_add_f64 v[174:175], v[174:175], -v[204:205]
	ds_read2_b64 v[204:207], v202 offset0:26 offset1:27
	v_add_f64 v[172:173], v[172:173], -v[176:177]
	s_waitcnt lgkmcnt(0)
	v_mul_f64 v[176:177], v[206:207], v[178:179]
	v_fma_f64 v[176:177], v[204:205], v[208:209], -v[176:177]
	v_mul_f64 v[204:205], v[204:205], v[178:179]
	v_fmac_f64_e32 v[204:205], v[206:207], v[208:209]
	v_add_f64 v[170:171], v[170:171], -v[204:205]
	ds_read2_b64 v[204:207], v202 offset0:28 offset1:29
	v_add_f64 v[168:169], v[168:169], -v[176:177]
	;; [unrolled: 8-line block ×44, first 2 shown]
	s_waitcnt lgkmcnt(0)
	v_mul_f64 v[176:177], v[206:207], v[178:179]
	v_fma_f64 v[176:177], v[204:205], v[208:209], -v[176:177]
	v_mul_f64 v[204:205], v[204:205], v[178:179]
	v_fmac_f64_e32 v[204:205], v[206:207], v[208:209]
	v_add_f64 v[224:225], v[224:225], -v[176:177]
	v_add_f64 v[226:227], v[226:227], -v[204:205]
	v_mov_b64_e32 v[176:177], v[208:209]
.LBB113_109:
	s_or_b64 exec, exec, s[2:3]
	v_cmp_eq_u32_e32 vcc, 12, v200
	s_waitcnt vmcnt(63) expcnt(7) lgkmcnt(15)
	s_barrier
	s_and_saveexec_b64 s[4:5], vcc
	s_cbranch_execz .LBB113_116
; %bb.110:
	ds_write2_b64 v201, v[172:173], v[174:175] offset1:1
	ds_write2_b64 v202, v[168:169], v[170:171] offset0:26 offset1:27
	ds_write2_b64 v202, v[164:165], v[166:167] offset0:28 offset1:29
	;; [unrolled: 1-line block ×27, first 2 shown]
	s_waitcnt vmcnt(42)
	ds_write2_b64 v202, v[60:61], v[62:63] offset0:80 offset1:81
	s_waitcnt vmcnt(41)
	ds_write2_b64 v202, v[56:57], v[58:59] offset0:82 offset1:83
	;; [unrolled: 2-line block ×11, first 2 shown]
	ds_write2_b64 v202, v[16:17], v[18:19] offset0:102 offset1:103
	ds_write2_b64 v202, v[12:13], v[14:15] offset0:104 offset1:105
	ds_write2_b64 v202, v[8:9], v[10:11] offset0:106 offset1:107
	ds_write2_b64 v202, v[4:5], v[6:7] offset0:108 offset1:109
	s_waitcnt vmcnt(31)
	ds_write2_b64 v202, v[0:1], v[2:3] offset0:110 offset1:111
	s_waitcnt vmcnt(28)
	ds_write2_b64 v202, v[224:225], v[226:227] offset0:112 offset1:113
	ds_read2_b64 v[208:211], v201 offset1:1
	s_waitcnt lgkmcnt(0)
	v_cmp_neq_f64_e32 vcc, 0, v[208:209]
	v_cmp_neq_f64_e64 s[2:3], 0, v[210:211]
	s_or_b64 s[2:3], vcc, s[2:3]
	s_and_b64 exec, exec, s[2:3]
	s_cbranch_execz .LBB113_116
; %bb.111:
	v_cmp_ngt_f64_e64 s[2:3], |v[208:209]|, |v[210:211]|
                                        ; implicit-def: $vgpr204_vgpr205
	s_and_saveexec_b64 s[10:11], s[2:3]
	s_xor_b64 s[2:3], exec, s[10:11]
                                        ; implicit-def: $vgpr206_vgpr207
	s_cbranch_execz .LBB113_113
; %bb.112:
	v_div_scale_f64 v[204:205], s[10:11], v[210:211], v[210:211], v[208:209]
	v_rcp_f64_e32 v[206:207], v[204:205]
	v_div_scale_f64 v[212:213], vcc, v[208:209], v[210:211], v[208:209]
	v_fma_f64 v[214:215], -v[204:205], v[206:207], 1.0
	v_fmac_f64_e32 v[206:207], v[206:207], v[214:215]
	v_fma_f64 v[214:215], -v[204:205], v[206:207], 1.0
	v_fmac_f64_e32 v[206:207], v[206:207], v[214:215]
	v_mul_f64 v[214:215], v[212:213], v[206:207]
	v_fma_f64 v[204:205], -v[204:205], v[214:215], v[212:213]
	v_div_fmas_f64 v[204:205], v[204:205], v[206:207], v[214:215]
	v_div_fixup_f64 v[204:205], v[204:205], v[210:211], v[208:209]
	v_fmac_f64_e32 v[210:211], v[208:209], v[204:205]
	v_div_scale_f64 v[206:207], s[10:11], v[210:211], v[210:211], 1.0
	v_rcp_f64_e32 v[208:209], v[206:207]
	s_nop 0
	v_fma_f64 v[212:213], -v[206:207], v[208:209], 1.0
	v_fmac_f64_e32 v[208:209], v[208:209], v[212:213]
	v_fma_f64 v[212:213], -v[206:207], v[208:209], 1.0
	v_fmac_f64_e32 v[208:209], v[208:209], v[212:213]
	v_div_scale_f64 v[212:213], vcc, 1.0, v[210:211], 1.0
	v_mul_f64 v[214:215], v[212:213], v[208:209]
	v_fma_f64 v[206:207], -v[206:207], v[214:215], v[212:213]
	s_nop 1
	v_div_fmas_f64 v[206:207], v[206:207], v[208:209], v[214:215]
	v_div_fixup_f64 v[206:207], v[206:207], v[210:211], 1.0
	v_mul_f64 v[204:205], v[204:205], v[206:207]
	v_xor_b32_e32 v207, 0x80000000, v207
                                        ; implicit-def: $vgpr208_vgpr209
.LBB113_113:
	s_andn2_saveexec_b64 s[2:3], s[2:3]
	s_cbranch_execz .LBB113_115
; %bb.114:
	v_div_scale_f64 v[204:205], s[10:11], v[208:209], v[208:209], v[210:211]
	v_rcp_f64_e32 v[206:207], v[204:205]
	v_div_scale_f64 v[212:213], vcc, v[210:211], v[208:209], v[210:211]
	v_fma_f64 v[214:215], -v[204:205], v[206:207], 1.0
	v_fmac_f64_e32 v[206:207], v[206:207], v[214:215]
	v_fma_f64 v[214:215], -v[204:205], v[206:207], 1.0
	v_fmac_f64_e32 v[206:207], v[206:207], v[214:215]
	v_mul_f64 v[214:215], v[212:213], v[206:207]
	v_fma_f64 v[204:205], -v[204:205], v[214:215], v[212:213]
	v_div_fmas_f64 v[204:205], v[204:205], v[206:207], v[214:215]
	v_div_fixup_f64 v[206:207], v[204:205], v[208:209], v[210:211]
	v_fmac_f64_e32 v[208:209], v[210:211], v[206:207]
	v_div_scale_f64 v[204:205], s[10:11], v[208:209], v[208:209], 1.0
	v_rcp_f64_e32 v[210:211], v[204:205]
	s_nop 0
	v_fma_f64 v[212:213], -v[204:205], v[210:211], 1.0
	v_fmac_f64_e32 v[210:211], v[210:211], v[212:213]
	v_fma_f64 v[212:213], -v[204:205], v[210:211], 1.0
	v_fmac_f64_e32 v[210:211], v[210:211], v[212:213]
	v_div_scale_f64 v[212:213], vcc, 1.0, v[208:209], 1.0
	v_mul_f64 v[214:215], v[212:213], v[210:211]
	v_fma_f64 v[204:205], -v[204:205], v[214:215], v[212:213]
	s_nop 1
	v_div_fmas_f64 v[204:205], v[204:205], v[210:211], v[214:215]
	v_div_fixup_f64 v[204:205], v[204:205], v[208:209], 1.0
	v_mul_f64 v[206:207], v[206:207], -v[204:205]
.LBB113_115:
	s_or_b64 exec, exec, s[2:3]
	ds_write2_b64 v201, v[204:205], v[206:207] offset1:1
.LBB113_116:
	s_or_b64 exec, exec, s[4:5]
	s_waitcnt lgkmcnt(0)
	s_barrier
	ds_read2_b64 v[192:195], v201 offset1:1
	v_cmp_lt_u32_e32 vcc, 12, v200
	s_waitcnt lgkmcnt(0)
	scratch_store_dwordx4 off, v[192:195], off offset:760 ; 16-byte Folded Spill
	s_and_saveexec_b64 s[2:3], vcc
	s_cbranch_execz .LBB113_118
; %bb.117:
	scratch_load_dwordx4 v[192:195], off, off offset:760 ; 16-byte Folded Reload
	s_waitcnt vmcnt(0)
	v_mul_f64 v[204:205], v[194:195], v[174:175]
	v_fma_f64 v[208:209], v[192:193], v[172:173], -v[204:205]
	ds_read2_b64 v[204:207], v202 offset0:26 offset1:27
	v_mul_f64 v[174:175], v[192:193], v[174:175]
	v_fmac_f64_e32 v[174:175], v[194:195], v[172:173]
	s_waitcnt lgkmcnt(0)
	v_mul_f64 v[172:173], v[206:207], v[174:175]
	v_fma_f64 v[172:173], v[204:205], v[208:209], -v[172:173]
	v_mul_f64 v[204:205], v[204:205], v[174:175]
	v_fmac_f64_e32 v[204:205], v[206:207], v[208:209]
	v_add_f64 v[170:171], v[170:171], -v[204:205]
	ds_read2_b64 v[204:207], v202 offset0:28 offset1:29
	v_add_f64 v[168:169], v[168:169], -v[172:173]
	s_waitcnt lgkmcnt(0)
	v_mul_f64 v[172:173], v[206:207], v[174:175]
	v_fma_f64 v[172:173], v[204:205], v[208:209], -v[172:173]
	v_mul_f64 v[204:205], v[204:205], v[174:175]
	v_fmac_f64_e32 v[204:205], v[206:207], v[208:209]
	v_add_f64 v[166:167], v[166:167], -v[204:205]
	ds_read2_b64 v[204:207], v202 offset0:30 offset1:31
	v_add_f64 v[164:165], v[164:165], -v[172:173]
	;; [unrolled: 8-line block ×43, first 2 shown]
	s_waitcnt lgkmcnt(0)
	v_mul_f64 v[172:173], v[206:207], v[174:175]
	v_fma_f64 v[172:173], v[204:205], v[208:209], -v[172:173]
	v_mul_f64 v[204:205], v[204:205], v[174:175]
	v_fmac_f64_e32 v[204:205], v[206:207], v[208:209]
	v_add_f64 v[224:225], v[224:225], -v[172:173]
	v_add_f64 v[226:227], v[226:227], -v[204:205]
	v_mov_b64_e32 v[172:173], v[208:209]
.LBB113_118:
	s_or_b64 exec, exec, s[2:3]
	v_cmp_eq_u32_e32 vcc, 13, v200
	s_waitcnt vmcnt(63) expcnt(7) lgkmcnt(15)
	s_barrier
	s_and_saveexec_b64 s[4:5], vcc
	s_cbranch_execz .LBB113_125
; %bb.119:
	ds_write2_b64 v201, v[168:169], v[170:171] offset1:1
	ds_write2_b64 v202, v[164:165], v[166:167] offset0:28 offset1:29
	ds_write2_b64 v202, v[160:161], v[162:163] offset0:30 offset1:31
	;; [unrolled: 1-line block ×26, first 2 shown]
	s_waitcnt vmcnt(43)
	ds_write2_b64 v202, v[60:61], v[62:63] offset0:80 offset1:81
	s_waitcnt vmcnt(42)
	ds_write2_b64 v202, v[56:57], v[58:59] offset0:82 offset1:83
	s_waitcnt vmcnt(41)
	ds_write2_b64 v202, v[52:53], v[54:55] offset0:84 offset1:85
	s_waitcnt vmcnt(40)
	ds_write2_b64 v202, v[48:49], v[50:51] offset0:86 offset1:87
	s_waitcnt vmcnt(39)
	ds_write2_b64 v202, v[44:45], v[46:47] offset0:88 offset1:89
	s_waitcnt vmcnt(38)
	ds_write2_b64 v202, v[40:41], v[42:43] offset0:90 offset1:91
	s_waitcnt vmcnt(37)
	ds_write2_b64 v202, v[36:37], v[38:39] offset0:92 offset1:93
	s_waitcnt vmcnt(36)
	ds_write2_b64 v202, v[32:33], v[34:35] offset0:94 offset1:95
	s_waitcnt vmcnt(35)
	ds_write2_b64 v202, v[28:29], v[30:31] offset0:96 offset1:97
	s_waitcnt vmcnt(34)
	ds_write2_b64 v202, v[24:25], v[26:27] offset0:98 offset1:99
	s_waitcnt vmcnt(33)
	ds_write2_b64 v202, v[20:21], v[22:23] offset0:100 offset1:101
	ds_write2_b64 v202, v[16:17], v[18:19] offset0:102 offset1:103
	ds_write2_b64 v202, v[12:13], v[14:15] offset0:104 offset1:105
	;; [unrolled: 1-line block ×4, first 2 shown]
	s_waitcnt vmcnt(32)
	ds_write2_b64 v202, v[0:1], v[2:3] offset0:110 offset1:111
	s_waitcnt vmcnt(29)
	ds_write2_b64 v202, v[224:225], v[226:227] offset0:112 offset1:113
	ds_read2_b64 v[208:211], v201 offset1:1
	s_waitcnt lgkmcnt(0)
	v_cmp_neq_f64_e32 vcc, 0, v[208:209]
	v_cmp_neq_f64_e64 s[2:3], 0, v[210:211]
	s_or_b64 s[2:3], vcc, s[2:3]
	s_and_b64 exec, exec, s[2:3]
	s_cbranch_execz .LBB113_125
; %bb.120:
	v_cmp_ngt_f64_e64 s[2:3], |v[208:209]|, |v[210:211]|
                                        ; implicit-def: $vgpr204_vgpr205
	s_and_saveexec_b64 s[10:11], s[2:3]
	s_xor_b64 s[2:3], exec, s[10:11]
                                        ; implicit-def: $vgpr206_vgpr207
	s_cbranch_execz .LBB113_122
; %bb.121:
	v_div_scale_f64 v[204:205], s[10:11], v[210:211], v[210:211], v[208:209]
	v_rcp_f64_e32 v[206:207], v[204:205]
	v_div_scale_f64 v[212:213], vcc, v[208:209], v[210:211], v[208:209]
	v_fma_f64 v[214:215], -v[204:205], v[206:207], 1.0
	v_fmac_f64_e32 v[206:207], v[206:207], v[214:215]
	v_fma_f64 v[214:215], -v[204:205], v[206:207], 1.0
	v_fmac_f64_e32 v[206:207], v[206:207], v[214:215]
	v_mul_f64 v[214:215], v[212:213], v[206:207]
	v_fma_f64 v[204:205], -v[204:205], v[214:215], v[212:213]
	v_div_fmas_f64 v[204:205], v[204:205], v[206:207], v[214:215]
	v_div_fixup_f64 v[204:205], v[204:205], v[210:211], v[208:209]
	v_fmac_f64_e32 v[210:211], v[208:209], v[204:205]
	v_div_scale_f64 v[206:207], s[10:11], v[210:211], v[210:211], 1.0
	v_rcp_f64_e32 v[208:209], v[206:207]
	s_nop 0
	v_fma_f64 v[212:213], -v[206:207], v[208:209], 1.0
	v_fmac_f64_e32 v[208:209], v[208:209], v[212:213]
	v_fma_f64 v[212:213], -v[206:207], v[208:209], 1.0
	v_fmac_f64_e32 v[208:209], v[208:209], v[212:213]
	v_div_scale_f64 v[212:213], vcc, 1.0, v[210:211], 1.0
	v_mul_f64 v[214:215], v[212:213], v[208:209]
	v_fma_f64 v[206:207], -v[206:207], v[214:215], v[212:213]
	s_nop 1
	v_div_fmas_f64 v[206:207], v[206:207], v[208:209], v[214:215]
	v_div_fixup_f64 v[206:207], v[206:207], v[210:211], 1.0
	v_mul_f64 v[204:205], v[204:205], v[206:207]
	v_xor_b32_e32 v207, 0x80000000, v207
                                        ; implicit-def: $vgpr208_vgpr209
.LBB113_122:
	s_andn2_saveexec_b64 s[2:3], s[2:3]
	s_cbranch_execz .LBB113_124
; %bb.123:
	v_div_scale_f64 v[204:205], s[10:11], v[208:209], v[208:209], v[210:211]
	v_rcp_f64_e32 v[206:207], v[204:205]
	v_div_scale_f64 v[212:213], vcc, v[210:211], v[208:209], v[210:211]
	v_fma_f64 v[214:215], -v[204:205], v[206:207], 1.0
	v_fmac_f64_e32 v[206:207], v[206:207], v[214:215]
	v_fma_f64 v[214:215], -v[204:205], v[206:207], 1.0
	v_fmac_f64_e32 v[206:207], v[206:207], v[214:215]
	v_mul_f64 v[214:215], v[212:213], v[206:207]
	v_fma_f64 v[204:205], -v[204:205], v[214:215], v[212:213]
	v_div_fmas_f64 v[204:205], v[204:205], v[206:207], v[214:215]
	v_div_fixup_f64 v[206:207], v[204:205], v[208:209], v[210:211]
	v_fmac_f64_e32 v[208:209], v[210:211], v[206:207]
	v_div_scale_f64 v[204:205], s[10:11], v[208:209], v[208:209], 1.0
	v_rcp_f64_e32 v[210:211], v[204:205]
	s_nop 0
	v_fma_f64 v[212:213], -v[204:205], v[210:211], 1.0
	v_fmac_f64_e32 v[210:211], v[210:211], v[212:213]
	v_fma_f64 v[212:213], -v[204:205], v[210:211], 1.0
	v_fmac_f64_e32 v[210:211], v[210:211], v[212:213]
	v_div_scale_f64 v[212:213], vcc, 1.0, v[208:209], 1.0
	v_mul_f64 v[214:215], v[212:213], v[210:211]
	v_fma_f64 v[204:205], -v[204:205], v[214:215], v[212:213]
	s_nop 1
	v_div_fmas_f64 v[204:205], v[204:205], v[210:211], v[214:215]
	v_div_fixup_f64 v[204:205], v[204:205], v[208:209], 1.0
	v_mul_f64 v[206:207], v[206:207], -v[204:205]
.LBB113_124:
	s_or_b64 exec, exec, s[2:3]
	ds_write2_b64 v201, v[204:205], v[206:207] offset1:1
.LBB113_125:
	s_or_b64 exec, exec, s[4:5]
	s_waitcnt lgkmcnt(0)
	s_barrier
	ds_read2_b64 v[192:195], v201 offset1:1
	v_cmp_lt_u32_e32 vcc, 13, v200
	s_waitcnt lgkmcnt(0)
	scratch_store_dwordx4 off, v[192:195], off offset:776 ; 16-byte Folded Spill
	s_and_saveexec_b64 s[2:3], vcc
	s_cbranch_execz .LBB113_127
; %bb.126:
	scratch_load_dwordx4 v[192:195], off, off offset:776 ; 16-byte Folded Reload
	s_waitcnt vmcnt(0)
	v_mul_f64 v[204:205], v[194:195], v[170:171]
	v_fma_f64 v[208:209], v[192:193], v[168:169], -v[204:205]
	ds_read2_b64 v[204:207], v202 offset0:28 offset1:29
	v_mul_f64 v[170:171], v[192:193], v[170:171]
	v_fmac_f64_e32 v[170:171], v[194:195], v[168:169]
	s_waitcnt lgkmcnt(0)
	v_mul_f64 v[168:169], v[206:207], v[170:171]
	v_fma_f64 v[168:169], v[204:205], v[208:209], -v[168:169]
	v_mul_f64 v[204:205], v[204:205], v[170:171]
	v_fmac_f64_e32 v[204:205], v[206:207], v[208:209]
	v_add_f64 v[166:167], v[166:167], -v[204:205]
	ds_read2_b64 v[204:207], v202 offset0:30 offset1:31
	v_add_f64 v[164:165], v[164:165], -v[168:169]
	s_waitcnt lgkmcnt(0)
	v_mul_f64 v[168:169], v[206:207], v[170:171]
	v_fma_f64 v[168:169], v[204:205], v[208:209], -v[168:169]
	v_mul_f64 v[204:205], v[204:205], v[170:171]
	v_fmac_f64_e32 v[204:205], v[206:207], v[208:209]
	v_add_f64 v[162:163], v[162:163], -v[204:205]
	ds_read2_b64 v[204:207], v202 offset0:32 offset1:33
	v_add_f64 v[160:161], v[160:161], -v[168:169]
	;; [unrolled: 8-line block ×42, first 2 shown]
	s_waitcnt lgkmcnt(0)
	v_mul_f64 v[168:169], v[206:207], v[170:171]
	v_fma_f64 v[168:169], v[204:205], v[208:209], -v[168:169]
	v_mul_f64 v[204:205], v[204:205], v[170:171]
	v_fmac_f64_e32 v[204:205], v[206:207], v[208:209]
	v_add_f64 v[224:225], v[224:225], -v[168:169]
	v_add_f64 v[226:227], v[226:227], -v[204:205]
	v_mov_b64_e32 v[168:169], v[208:209]
.LBB113_127:
	s_or_b64 exec, exec, s[2:3]
	v_cmp_eq_u32_e32 vcc, 14, v200
	s_waitcnt vmcnt(63) expcnt(7) lgkmcnt(15)
	s_barrier
	s_and_saveexec_b64 s[4:5], vcc
	s_cbranch_execz .LBB113_134
; %bb.128:
	ds_write2_b64 v201, v[164:165], v[166:167] offset1:1
	ds_write2_b64 v202, v[160:161], v[162:163] offset0:30 offset1:31
	ds_write2_b64 v202, v[156:157], v[158:159] offset0:32 offset1:33
	;; [unrolled: 1-line block ×25, first 2 shown]
	s_waitcnt vmcnt(44)
	ds_write2_b64 v202, v[60:61], v[62:63] offset0:80 offset1:81
	s_waitcnt vmcnt(43)
	ds_write2_b64 v202, v[56:57], v[58:59] offset0:82 offset1:83
	;; [unrolled: 2-line block ×11, first 2 shown]
	ds_write2_b64 v202, v[16:17], v[18:19] offset0:102 offset1:103
	ds_write2_b64 v202, v[12:13], v[14:15] offset0:104 offset1:105
	;; [unrolled: 1-line block ×4, first 2 shown]
	s_waitcnt vmcnt(33)
	ds_write2_b64 v202, v[0:1], v[2:3] offset0:110 offset1:111
	s_waitcnt vmcnt(30)
	ds_write2_b64 v202, v[224:225], v[226:227] offset0:112 offset1:113
	ds_read2_b64 v[208:211], v201 offset1:1
	s_waitcnt lgkmcnt(0)
	v_cmp_neq_f64_e32 vcc, 0, v[208:209]
	v_cmp_neq_f64_e64 s[2:3], 0, v[210:211]
	s_or_b64 s[2:3], vcc, s[2:3]
	s_and_b64 exec, exec, s[2:3]
	s_cbranch_execz .LBB113_134
; %bb.129:
	v_cmp_ngt_f64_e64 s[2:3], |v[208:209]|, |v[210:211]|
                                        ; implicit-def: $vgpr204_vgpr205
	s_and_saveexec_b64 s[10:11], s[2:3]
	s_xor_b64 s[2:3], exec, s[10:11]
                                        ; implicit-def: $vgpr206_vgpr207
	s_cbranch_execz .LBB113_131
; %bb.130:
	v_div_scale_f64 v[204:205], s[10:11], v[210:211], v[210:211], v[208:209]
	v_rcp_f64_e32 v[206:207], v[204:205]
	v_div_scale_f64 v[212:213], vcc, v[208:209], v[210:211], v[208:209]
	v_fma_f64 v[214:215], -v[204:205], v[206:207], 1.0
	v_fmac_f64_e32 v[206:207], v[206:207], v[214:215]
	v_fma_f64 v[214:215], -v[204:205], v[206:207], 1.0
	v_fmac_f64_e32 v[206:207], v[206:207], v[214:215]
	v_mul_f64 v[214:215], v[212:213], v[206:207]
	v_fma_f64 v[204:205], -v[204:205], v[214:215], v[212:213]
	v_div_fmas_f64 v[204:205], v[204:205], v[206:207], v[214:215]
	v_div_fixup_f64 v[204:205], v[204:205], v[210:211], v[208:209]
	v_fmac_f64_e32 v[210:211], v[208:209], v[204:205]
	v_div_scale_f64 v[206:207], s[10:11], v[210:211], v[210:211], 1.0
	v_rcp_f64_e32 v[208:209], v[206:207]
	s_nop 0
	v_fma_f64 v[212:213], -v[206:207], v[208:209], 1.0
	v_fmac_f64_e32 v[208:209], v[208:209], v[212:213]
	v_fma_f64 v[212:213], -v[206:207], v[208:209], 1.0
	v_fmac_f64_e32 v[208:209], v[208:209], v[212:213]
	v_div_scale_f64 v[212:213], vcc, 1.0, v[210:211], 1.0
	v_mul_f64 v[214:215], v[212:213], v[208:209]
	v_fma_f64 v[206:207], -v[206:207], v[214:215], v[212:213]
	s_nop 1
	v_div_fmas_f64 v[206:207], v[206:207], v[208:209], v[214:215]
	v_div_fixup_f64 v[206:207], v[206:207], v[210:211], 1.0
	v_mul_f64 v[204:205], v[204:205], v[206:207]
	v_xor_b32_e32 v207, 0x80000000, v207
                                        ; implicit-def: $vgpr208_vgpr209
.LBB113_131:
	s_andn2_saveexec_b64 s[2:3], s[2:3]
	s_cbranch_execz .LBB113_133
; %bb.132:
	v_div_scale_f64 v[204:205], s[10:11], v[208:209], v[208:209], v[210:211]
	v_rcp_f64_e32 v[206:207], v[204:205]
	v_div_scale_f64 v[212:213], vcc, v[210:211], v[208:209], v[210:211]
	v_fma_f64 v[214:215], -v[204:205], v[206:207], 1.0
	v_fmac_f64_e32 v[206:207], v[206:207], v[214:215]
	v_fma_f64 v[214:215], -v[204:205], v[206:207], 1.0
	v_fmac_f64_e32 v[206:207], v[206:207], v[214:215]
	v_mul_f64 v[214:215], v[212:213], v[206:207]
	v_fma_f64 v[204:205], -v[204:205], v[214:215], v[212:213]
	v_div_fmas_f64 v[204:205], v[204:205], v[206:207], v[214:215]
	v_div_fixup_f64 v[206:207], v[204:205], v[208:209], v[210:211]
	v_fmac_f64_e32 v[208:209], v[210:211], v[206:207]
	v_div_scale_f64 v[204:205], s[10:11], v[208:209], v[208:209], 1.0
	v_rcp_f64_e32 v[210:211], v[204:205]
	s_nop 0
	v_fma_f64 v[212:213], -v[204:205], v[210:211], 1.0
	v_fmac_f64_e32 v[210:211], v[210:211], v[212:213]
	v_fma_f64 v[212:213], -v[204:205], v[210:211], 1.0
	v_fmac_f64_e32 v[210:211], v[210:211], v[212:213]
	v_div_scale_f64 v[212:213], vcc, 1.0, v[208:209], 1.0
	v_mul_f64 v[214:215], v[212:213], v[210:211]
	v_fma_f64 v[204:205], -v[204:205], v[214:215], v[212:213]
	s_nop 1
	v_div_fmas_f64 v[204:205], v[204:205], v[210:211], v[214:215]
	v_div_fixup_f64 v[204:205], v[204:205], v[208:209], 1.0
	v_mul_f64 v[206:207], v[206:207], -v[204:205]
.LBB113_133:
	s_or_b64 exec, exec, s[2:3]
	ds_write2_b64 v201, v[204:205], v[206:207] offset1:1
.LBB113_134:
	s_or_b64 exec, exec, s[4:5]
	s_waitcnt lgkmcnt(0)
	s_barrier
	ds_read2_b64 v[192:195], v201 offset1:1
	v_cmp_lt_u32_e32 vcc, 14, v200
	s_waitcnt lgkmcnt(0)
	scratch_store_dwordx4 off, v[192:195], off offset:792 ; 16-byte Folded Spill
	s_and_saveexec_b64 s[2:3], vcc
	s_cbranch_execz .LBB113_136
; %bb.135:
	scratch_load_dwordx4 v[192:195], off, off offset:792 ; 16-byte Folded Reload
	s_waitcnt vmcnt(0)
	v_mul_f64 v[204:205], v[194:195], v[166:167]
	v_fma_f64 v[208:209], v[192:193], v[164:165], -v[204:205]
	ds_read2_b64 v[204:207], v202 offset0:30 offset1:31
	v_mul_f64 v[166:167], v[192:193], v[166:167]
	v_fmac_f64_e32 v[166:167], v[194:195], v[164:165]
	s_waitcnt lgkmcnt(0)
	v_mul_f64 v[164:165], v[206:207], v[166:167]
	v_fma_f64 v[164:165], v[204:205], v[208:209], -v[164:165]
	v_mul_f64 v[204:205], v[204:205], v[166:167]
	v_fmac_f64_e32 v[204:205], v[206:207], v[208:209]
	v_add_f64 v[162:163], v[162:163], -v[204:205]
	ds_read2_b64 v[204:207], v202 offset0:32 offset1:33
	v_add_f64 v[160:161], v[160:161], -v[164:165]
	s_waitcnt lgkmcnt(0)
	v_mul_f64 v[164:165], v[206:207], v[166:167]
	v_fma_f64 v[164:165], v[204:205], v[208:209], -v[164:165]
	v_mul_f64 v[204:205], v[204:205], v[166:167]
	v_fmac_f64_e32 v[204:205], v[206:207], v[208:209]
	v_add_f64 v[158:159], v[158:159], -v[204:205]
	ds_read2_b64 v[204:207], v202 offset0:34 offset1:35
	v_add_f64 v[156:157], v[156:157], -v[164:165]
	s_waitcnt lgkmcnt(0)
	v_mul_f64 v[164:165], v[206:207], v[166:167]
	v_fma_f64 v[164:165], v[204:205], v[208:209], -v[164:165]
	v_mul_f64 v[204:205], v[204:205], v[166:167]
	v_fmac_f64_e32 v[204:205], v[206:207], v[208:209]
	v_add_f64 v[154:155], v[154:155], -v[204:205]
	ds_read2_b64 v[204:207], v202 offset0:36 offset1:37
	v_add_f64 v[152:153], v[152:153], -v[164:165]
	s_waitcnt lgkmcnt(0)
	v_mul_f64 v[164:165], v[206:207], v[166:167]
	v_fma_f64 v[164:165], v[204:205], v[208:209], -v[164:165]
	v_mul_f64 v[204:205], v[204:205], v[166:167]
	v_fmac_f64_e32 v[204:205], v[206:207], v[208:209]
	v_add_f64 v[150:151], v[150:151], -v[204:205]
	ds_read2_b64 v[204:207], v202 offset0:38 offset1:39
	v_add_f64 v[148:149], v[148:149], -v[164:165]
	s_waitcnt lgkmcnt(0)
	v_mul_f64 v[164:165], v[206:207], v[166:167]
	v_fma_f64 v[164:165], v[204:205], v[208:209], -v[164:165]
	v_mul_f64 v[204:205], v[204:205], v[166:167]
	v_fmac_f64_e32 v[204:205], v[206:207], v[208:209]
	v_add_f64 v[146:147], v[146:147], -v[204:205]
	ds_read2_b64 v[204:207], v202 offset0:40 offset1:41
	v_add_f64 v[144:145], v[144:145], -v[164:165]
	s_waitcnt lgkmcnt(0)
	v_mul_f64 v[164:165], v[206:207], v[166:167]
	v_fma_f64 v[164:165], v[204:205], v[208:209], -v[164:165]
	v_mul_f64 v[204:205], v[204:205], v[166:167]
	v_fmac_f64_e32 v[204:205], v[206:207], v[208:209]
	v_add_f64 v[142:143], v[142:143], -v[204:205]
	ds_read2_b64 v[204:207], v202 offset0:42 offset1:43
	v_add_f64 v[140:141], v[140:141], -v[164:165]
	s_waitcnt lgkmcnt(0)
	v_mul_f64 v[164:165], v[206:207], v[166:167]
	v_fma_f64 v[164:165], v[204:205], v[208:209], -v[164:165]
	v_mul_f64 v[204:205], v[204:205], v[166:167]
	v_fmac_f64_e32 v[204:205], v[206:207], v[208:209]
	v_add_f64 v[138:139], v[138:139], -v[204:205]
	ds_read2_b64 v[204:207], v202 offset0:44 offset1:45
	v_add_f64 v[136:137], v[136:137], -v[164:165]
	s_waitcnt lgkmcnt(0)
	v_mul_f64 v[164:165], v[206:207], v[166:167]
	v_fma_f64 v[164:165], v[204:205], v[208:209], -v[164:165]
	v_mul_f64 v[204:205], v[204:205], v[166:167]
	v_fmac_f64_e32 v[204:205], v[206:207], v[208:209]
	v_add_f64 v[134:135], v[134:135], -v[204:205]
	ds_read2_b64 v[204:207], v202 offset0:46 offset1:47
	v_add_f64 v[132:133], v[132:133], -v[164:165]
	s_waitcnt lgkmcnt(0)
	v_mul_f64 v[164:165], v[206:207], v[166:167]
	v_fma_f64 v[164:165], v[204:205], v[208:209], -v[164:165]
	v_mul_f64 v[204:205], v[204:205], v[166:167]
	v_fmac_f64_e32 v[204:205], v[206:207], v[208:209]
	v_add_f64 v[130:131], v[130:131], -v[204:205]
	ds_read2_b64 v[204:207], v202 offset0:48 offset1:49
	v_add_f64 v[128:129], v[128:129], -v[164:165]
	s_waitcnt lgkmcnt(0)
	v_mul_f64 v[164:165], v[206:207], v[166:167]
	v_fma_f64 v[164:165], v[204:205], v[208:209], -v[164:165]
	v_mul_f64 v[204:205], v[204:205], v[166:167]
	v_fmac_f64_e32 v[204:205], v[206:207], v[208:209]
	v_add_f64 v[126:127], v[126:127], -v[204:205]
	ds_read2_b64 v[204:207], v202 offset0:50 offset1:51
	v_add_f64 v[124:125], v[124:125], -v[164:165]
	s_waitcnt lgkmcnt(0)
	v_mul_f64 v[164:165], v[206:207], v[166:167]
	v_fma_f64 v[164:165], v[204:205], v[208:209], -v[164:165]
	v_mul_f64 v[204:205], v[204:205], v[166:167]
	v_fmac_f64_e32 v[204:205], v[206:207], v[208:209]
	v_add_f64 v[122:123], v[122:123], -v[204:205]
	ds_read2_b64 v[204:207], v202 offset0:52 offset1:53
	v_add_f64 v[120:121], v[120:121], -v[164:165]
	s_waitcnt lgkmcnt(0)
	v_mul_f64 v[164:165], v[206:207], v[166:167]
	v_fma_f64 v[164:165], v[204:205], v[208:209], -v[164:165]
	v_mul_f64 v[204:205], v[204:205], v[166:167]
	v_fmac_f64_e32 v[204:205], v[206:207], v[208:209]
	v_add_f64 v[118:119], v[118:119], -v[204:205]
	ds_read2_b64 v[204:207], v202 offset0:54 offset1:55
	v_add_f64 v[116:117], v[116:117], -v[164:165]
	s_waitcnt lgkmcnt(0)
	v_mul_f64 v[164:165], v[206:207], v[166:167]
	v_fma_f64 v[164:165], v[204:205], v[208:209], -v[164:165]
	v_mul_f64 v[204:205], v[204:205], v[166:167]
	v_fmac_f64_e32 v[204:205], v[206:207], v[208:209]
	v_add_f64 v[114:115], v[114:115], -v[204:205]
	ds_read2_b64 v[204:207], v202 offset0:56 offset1:57
	v_add_f64 v[112:113], v[112:113], -v[164:165]
	s_waitcnt lgkmcnt(0)
	v_mul_f64 v[164:165], v[206:207], v[166:167]
	v_fma_f64 v[164:165], v[204:205], v[208:209], -v[164:165]
	v_mul_f64 v[204:205], v[204:205], v[166:167]
	v_fmac_f64_e32 v[204:205], v[206:207], v[208:209]
	v_add_f64 v[110:111], v[110:111], -v[204:205]
	ds_read2_b64 v[204:207], v202 offset0:58 offset1:59
	v_add_f64 v[108:109], v[108:109], -v[164:165]
	s_waitcnt lgkmcnt(0)
	v_mul_f64 v[164:165], v[206:207], v[166:167]
	v_fma_f64 v[164:165], v[204:205], v[208:209], -v[164:165]
	v_mul_f64 v[204:205], v[204:205], v[166:167]
	v_fmac_f64_e32 v[204:205], v[206:207], v[208:209]
	v_add_f64 v[106:107], v[106:107], -v[204:205]
	ds_read2_b64 v[204:207], v202 offset0:60 offset1:61
	v_add_f64 v[104:105], v[104:105], -v[164:165]
	s_waitcnt lgkmcnt(0)
	v_mul_f64 v[164:165], v[206:207], v[166:167]
	v_fma_f64 v[164:165], v[204:205], v[208:209], -v[164:165]
	v_mul_f64 v[204:205], v[204:205], v[166:167]
	v_fmac_f64_e32 v[204:205], v[206:207], v[208:209]
	v_add_f64 v[102:103], v[102:103], -v[204:205]
	ds_read2_b64 v[204:207], v202 offset0:62 offset1:63
	v_add_f64 v[100:101], v[100:101], -v[164:165]
	s_waitcnt lgkmcnt(0)
	v_mul_f64 v[164:165], v[206:207], v[166:167]
	v_fma_f64 v[164:165], v[204:205], v[208:209], -v[164:165]
	v_mul_f64 v[204:205], v[204:205], v[166:167]
	v_fmac_f64_e32 v[204:205], v[206:207], v[208:209]
	v_add_f64 v[98:99], v[98:99], -v[204:205]
	ds_read2_b64 v[204:207], v202 offset0:64 offset1:65
	v_add_f64 v[96:97], v[96:97], -v[164:165]
	s_waitcnt lgkmcnt(0)
	v_mul_f64 v[164:165], v[206:207], v[166:167]
	v_fma_f64 v[164:165], v[204:205], v[208:209], -v[164:165]
	v_mul_f64 v[204:205], v[204:205], v[166:167]
	v_fmac_f64_e32 v[204:205], v[206:207], v[208:209]
	v_add_f64 v[94:95], v[94:95], -v[204:205]
	ds_read2_b64 v[204:207], v202 offset0:66 offset1:67
	v_add_f64 v[92:93], v[92:93], -v[164:165]
	s_waitcnt lgkmcnt(0)
	v_mul_f64 v[164:165], v[206:207], v[166:167]
	v_fma_f64 v[164:165], v[204:205], v[208:209], -v[164:165]
	v_mul_f64 v[204:205], v[204:205], v[166:167]
	v_fmac_f64_e32 v[204:205], v[206:207], v[208:209]
	v_add_f64 v[90:91], v[90:91], -v[204:205]
	ds_read2_b64 v[204:207], v202 offset0:68 offset1:69
	v_add_f64 v[88:89], v[88:89], -v[164:165]
	s_waitcnt lgkmcnt(0)
	v_mul_f64 v[164:165], v[206:207], v[166:167]
	v_fma_f64 v[164:165], v[204:205], v[208:209], -v[164:165]
	v_mul_f64 v[204:205], v[204:205], v[166:167]
	v_fmac_f64_e32 v[204:205], v[206:207], v[208:209]
	v_add_f64 v[86:87], v[86:87], -v[204:205]
	ds_read2_b64 v[204:207], v202 offset0:70 offset1:71
	v_add_f64 v[84:85], v[84:85], -v[164:165]
	s_waitcnt lgkmcnt(0)
	v_mul_f64 v[164:165], v[206:207], v[166:167]
	v_fma_f64 v[164:165], v[204:205], v[208:209], -v[164:165]
	v_mul_f64 v[204:205], v[204:205], v[166:167]
	v_fmac_f64_e32 v[204:205], v[206:207], v[208:209]
	v_add_f64 v[82:83], v[82:83], -v[204:205]
	ds_read2_b64 v[204:207], v202 offset0:72 offset1:73
	v_add_f64 v[80:81], v[80:81], -v[164:165]
	s_waitcnt lgkmcnt(0)
	v_mul_f64 v[164:165], v[206:207], v[166:167]
	v_fma_f64 v[164:165], v[204:205], v[208:209], -v[164:165]
	v_mul_f64 v[204:205], v[204:205], v[166:167]
	v_fmac_f64_e32 v[204:205], v[206:207], v[208:209]
	v_add_f64 v[78:79], v[78:79], -v[204:205]
	ds_read2_b64 v[204:207], v202 offset0:74 offset1:75
	v_add_f64 v[76:77], v[76:77], -v[164:165]
	s_waitcnt lgkmcnt(0)
	v_mul_f64 v[164:165], v[206:207], v[166:167]
	v_fma_f64 v[164:165], v[204:205], v[208:209], -v[164:165]
	v_mul_f64 v[204:205], v[204:205], v[166:167]
	v_fmac_f64_e32 v[204:205], v[206:207], v[208:209]
	v_add_f64 v[74:75], v[74:75], -v[204:205]
	ds_read2_b64 v[204:207], v202 offset0:76 offset1:77
	v_add_f64 v[72:73], v[72:73], -v[164:165]
	s_waitcnt lgkmcnt(0)
	v_mul_f64 v[164:165], v[206:207], v[166:167]
	v_fma_f64 v[164:165], v[204:205], v[208:209], -v[164:165]
	v_mul_f64 v[204:205], v[204:205], v[166:167]
	v_fmac_f64_e32 v[204:205], v[206:207], v[208:209]
	v_add_f64 v[70:71], v[70:71], -v[204:205]
	ds_read2_b64 v[204:207], v202 offset0:78 offset1:79
	v_add_f64 v[68:69], v[68:69], -v[164:165]
	s_waitcnt lgkmcnt(0)
	v_mul_f64 v[164:165], v[206:207], v[166:167]
	v_fma_f64 v[164:165], v[204:205], v[208:209], -v[164:165]
	v_mul_f64 v[204:205], v[204:205], v[166:167]
	v_fmac_f64_e32 v[204:205], v[206:207], v[208:209]
	v_add_f64 v[66:67], v[66:67], -v[204:205]
	ds_read2_b64 v[204:207], v202 offset0:80 offset1:81
	v_add_f64 v[64:65], v[64:65], -v[164:165]
	s_waitcnt lgkmcnt(0)
	v_mul_f64 v[164:165], v[206:207], v[166:167]
	v_fma_f64 v[164:165], v[204:205], v[208:209], -v[164:165]
	v_mul_f64 v[204:205], v[204:205], v[166:167]
	v_fmac_f64_e32 v[204:205], v[206:207], v[208:209]
	v_add_f64 v[62:63], v[62:63], -v[204:205]
	ds_read2_b64 v[204:207], v202 offset0:82 offset1:83
	v_add_f64 v[60:61], v[60:61], -v[164:165]
	s_waitcnt lgkmcnt(0)
	v_mul_f64 v[164:165], v[206:207], v[166:167]
	v_fma_f64 v[164:165], v[204:205], v[208:209], -v[164:165]
	v_mul_f64 v[204:205], v[204:205], v[166:167]
	v_fmac_f64_e32 v[204:205], v[206:207], v[208:209]
	v_add_f64 v[58:59], v[58:59], -v[204:205]
	ds_read2_b64 v[204:207], v202 offset0:84 offset1:85
	v_add_f64 v[56:57], v[56:57], -v[164:165]
	s_waitcnt lgkmcnt(0)
	v_mul_f64 v[164:165], v[206:207], v[166:167]
	v_fma_f64 v[164:165], v[204:205], v[208:209], -v[164:165]
	v_mul_f64 v[204:205], v[204:205], v[166:167]
	v_fmac_f64_e32 v[204:205], v[206:207], v[208:209]
	v_add_f64 v[54:55], v[54:55], -v[204:205]
	ds_read2_b64 v[204:207], v202 offset0:86 offset1:87
	v_add_f64 v[52:53], v[52:53], -v[164:165]
	s_waitcnt lgkmcnt(0)
	v_mul_f64 v[164:165], v[206:207], v[166:167]
	v_fma_f64 v[164:165], v[204:205], v[208:209], -v[164:165]
	v_mul_f64 v[204:205], v[204:205], v[166:167]
	v_fmac_f64_e32 v[204:205], v[206:207], v[208:209]
	v_add_f64 v[50:51], v[50:51], -v[204:205]
	ds_read2_b64 v[204:207], v202 offset0:88 offset1:89
	v_add_f64 v[48:49], v[48:49], -v[164:165]
	s_waitcnt lgkmcnt(0)
	v_mul_f64 v[164:165], v[206:207], v[166:167]
	v_fma_f64 v[164:165], v[204:205], v[208:209], -v[164:165]
	v_mul_f64 v[204:205], v[204:205], v[166:167]
	v_fmac_f64_e32 v[204:205], v[206:207], v[208:209]
	v_add_f64 v[46:47], v[46:47], -v[204:205]
	ds_read2_b64 v[204:207], v202 offset0:90 offset1:91
	v_add_f64 v[44:45], v[44:45], -v[164:165]
	s_waitcnt lgkmcnt(0)
	v_mul_f64 v[164:165], v[206:207], v[166:167]
	v_fma_f64 v[164:165], v[204:205], v[208:209], -v[164:165]
	v_mul_f64 v[204:205], v[204:205], v[166:167]
	v_fmac_f64_e32 v[204:205], v[206:207], v[208:209]
	v_add_f64 v[42:43], v[42:43], -v[204:205]
	ds_read2_b64 v[204:207], v202 offset0:92 offset1:93
	v_add_f64 v[40:41], v[40:41], -v[164:165]
	s_waitcnt lgkmcnt(0)
	v_mul_f64 v[164:165], v[206:207], v[166:167]
	v_fma_f64 v[164:165], v[204:205], v[208:209], -v[164:165]
	v_mul_f64 v[204:205], v[204:205], v[166:167]
	v_fmac_f64_e32 v[204:205], v[206:207], v[208:209]
	v_add_f64 v[38:39], v[38:39], -v[204:205]
	ds_read2_b64 v[204:207], v202 offset0:94 offset1:95
	v_add_f64 v[36:37], v[36:37], -v[164:165]
	s_waitcnt lgkmcnt(0)
	v_mul_f64 v[164:165], v[206:207], v[166:167]
	v_fma_f64 v[164:165], v[204:205], v[208:209], -v[164:165]
	v_mul_f64 v[204:205], v[204:205], v[166:167]
	v_fmac_f64_e32 v[204:205], v[206:207], v[208:209]
	v_add_f64 v[34:35], v[34:35], -v[204:205]
	ds_read2_b64 v[204:207], v202 offset0:96 offset1:97
	v_add_f64 v[32:33], v[32:33], -v[164:165]
	s_waitcnt lgkmcnt(0)
	v_mul_f64 v[164:165], v[206:207], v[166:167]
	v_fma_f64 v[164:165], v[204:205], v[208:209], -v[164:165]
	v_mul_f64 v[204:205], v[204:205], v[166:167]
	v_fmac_f64_e32 v[204:205], v[206:207], v[208:209]
	v_add_f64 v[30:31], v[30:31], -v[204:205]
	ds_read2_b64 v[204:207], v202 offset0:98 offset1:99
	v_add_f64 v[28:29], v[28:29], -v[164:165]
	s_waitcnt lgkmcnt(0)
	v_mul_f64 v[164:165], v[206:207], v[166:167]
	v_fma_f64 v[164:165], v[204:205], v[208:209], -v[164:165]
	v_mul_f64 v[204:205], v[204:205], v[166:167]
	v_fmac_f64_e32 v[204:205], v[206:207], v[208:209]
	v_add_f64 v[26:27], v[26:27], -v[204:205]
	ds_read2_b64 v[204:207], v202 offset0:100 offset1:101
	v_add_f64 v[24:25], v[24:25], -v[164:165]
	s_waitcnt lgkmcnt(0)
	v_mul_f64 v[164:165], v[206:207], v[166:167]
	v_fma_f64 v[164:165], v[204:205], v[208:209], -v[164:165]
	v_mul_f64 v[204:205], v[204:205], v[166:167]
	v_fmac_f64_e32 v[204:205], v[206:207], v[208:209]
	v_add_f64 v[22:23], v[22:23], -v[204:205]
	ds_read2_b64 v[204:207], v202 offset0:102 offset1:103
	v_add_f64 v[20:21], v[20:21], -v[164:165]
	s_waitcnt lgkmcnt(0)
	v_mul_f64 v[164:165], v[206:207], v[166:167]
	v_fma_f64 v[164:165], v[204:205], v[208:209], -v[164:165]
	v_mul_f64 v[204:205], v[204:205], v[166:167]
	v_fmac_f64_e32 v[204:205], v[206:207], v[208:209]
	v_add_f64 v[18:19], v[18:19], -v[204:205]
	ds_read2_b64 v[204:207], v202 offset0:104 offset1:105
	v_add_f64 v[16:17], v[16:17], -v[164:165]
	s_waitcnt lgkmcnt(0)
	v_mul_f64 v[164:165], v[206:207], v[166:167]
	v_fma_f64 v[164:165], v[204:205], v[208:209], -v[164:165]
	v_mul_f64 v[204:205], v[204:205], v[166:167]
	v_fmac_f64_e32 v[204:205], v[206:207], v[208:209]
	v_add_f64 v[14:15], v[14:15], -v[204:205]
	ds_read2_b64 v[204:207], v202 offset0:106 offset1:107
	v_add_f64 v[12:13], v[12:13], -v[164:165]
	s_waitcnt lgkmcnt(0)
	v_mul_f64 v[164:165], v[206:207], v[166:167]
	v_fma_f64 v[164:165], v[204:205], v[208:209], -v[164:165]
	v_mul_f64 v[204:205], v[204:205], v[166:167]
	v_fmac_f64_e32 v[204:205], v[206:207], v[208:209]
	v_add_f64 v[10:11], v[10:11], -v[204:205]
	ds_read2_b64 v[204:207], v202 offset0:108 offset1:109
	v_add_f64 v[8:9], v[8:9], -v[164:165]
	s_waitcnt lgkmcnt(0)
	v_mul_f64 v[164:165], v[206:207], v[166:167]
	v_fma_f64 v[164:165], v[204:205], v[208:209], -v[164:165]
	v_mul_f64 v[204:205], v[204:205], v[166:167]
	v_fmac_f64_e32 v[204:205], v[206:207], v[208:209]
	v_add_f64 v[6:7], v[6:7], -v[204:205]
	ds_read2_b64 v[204:207], v202 offset0:110 offset1:111
	v_add_f64 v[4:5], v[4:5], -v[164:165]
	s_waitcnt lgkmcnt(0)
	v_mul_f64 v[164:165], v[206:207], v[166:167]
	v_fma_f64 v[164:165], v[204:205], v[208:209], -v[164:165]
	v_mul_f64 v[204:205], v[204:205], v[166:167]
	v_fmac_f64_e32 v[204:205], v[206:207], v[208:209]
	v_add_f64 v[2:3], v[2:3], -v[204:205]
	ds_read2_b64 v[204:207], v202 offset0:112 offset1:113
	v_add_f64 v[0:1], v[0:1], -v[164:165]
	s_waitcnt lgkmcnt(0)
	v_mul_f64 v[164:165], v[206:207], v[166:167]
	v_fma_f64 v[164:165], v[204:205], v[208:209], -v[164:165]
	v_mul_f64 v[204:205], v[204:205], v[166:167]
	v_fmac_f64_e32 v[204:205], v[206:207], v[208:209]
	v_add_f64 v[224:225], v[224:225], -v[164:165]
	v_add_f64 v[226:227], v[226:227], -v[204:205]
	v_mov_b64_e32 v[164:165], v[208:209]
.LBB113_136:
	s_or_b64 exec, exec, s[2:3]
	v_cmp_eq_u32_e32 vcc, 15, v200
	s_waitcnt vmcnt(63) expcnt(7) lgkmcnt(15)
	s_barrier
	s_and_saveexec_b64 s[4:5], vcc
	s_cbranch_execz .LBB113_143
; %bb.137:
	ds_write2_b64 v201, v[160:161], v[162:163] offset1:1
	ds_write2_b64 v202, v[156:157], v[158:159] offset0:32 offset1:33
	ds_write2_b64 v202, v[152:153], v[154:155] offset0:34 offset1:35
	;; [unrolled: 1-line block ×24, first 2 shown]
	s_waitcnt vmcnt(45)
	ds_write2_b64 v202, v[60:61], v[62:63] offset0:80 offset1:81
	s_waitcnt vmcnt(44)
	ds_write2_b64 v202, v[56:57], v[58:59] offset0:82 offset1:83
	;; [unrolled: 2-line block ×11, first 2 shown]
	ds_write2_b64 v202, v[16:17], v[18:19] offset0:102 offset1:103
	ds_write2_b64 v202, v[12:13], v[14:15] offset0:104 offset1:105
	;; [unrolled: 1-line block ×4, first 2 shown]
	s_waitcnt vmcnt(34)
	ds_write2_b64 v202, v[0:1], v[2:3] offset0:110 offset1:111
	s_waitcnt vmcnt(31)
	ds_write2_b64 v202, v[224:225], v[226:227] offset0:112 offset1:113
	ds_read2_b64 v[208:211], v201 offset1:1
	s_waitcnt lgkmcnt(0)
	v_cmp_neq_f64_e32 vcc, 0, v[208:209]
	v_cmp_neq_f64_e64 s[2:3], 0, v[210:211]
	s_or_b64 s[2:3], vcc, s[2:3]
	s_and_b64 exec, exec, s[2:3]
	s_cbranch_execz .LBB113_143
; %bb.138:
	v_cmp_ngt_f64_e64 s[2:3], |v[208:209]|, |v[210:211]|
                                        ; implicit-def: $vgpr204_vgpr205
	s_and_saveexec_b64 s[10:11], s[2:3]
	s_xor_b64 s[2:3], exec, s[10:11]
                                        ; implicit-def: $vgpr206_vgpr207
	s_cbranch_execz .LBB113_140
; %bb.139:
	v_div_scale_f64 v[204:205], s[10:11], v[210:211], v[210:211], v[208:209]
	v_rcp_f64_e32 v[206:207], v[204:205]
	v_div_scale_f64 v[212:213], vcc, v[208:209], v[210:211], v[208:209]
	v_fma_f64 v[214:215], -v[204:205], v[206:207], 1.0
	v_fmac_f64_e32 v[206:207], v[206:207], v[214:215]
	v_fma_f64 v[214:215], -v[204:205], v[206:207], 1.0
	v_fmac_f64_e32 v[206:207], v[206:207], v[214:215]
	v_mul_f64 v[214:215], v[212:213], v[206:207]
	v_fma_f64 v[204:205], -v[204:205], v[214:215], v[212:213]
	v_div_fmas_f64 v[204:205], v[204:205], v[206:207], v[214:215]
	v_div_fixup_f64 v[204:205], v[204:205], v[210:211], v[208:209]
	v_fmac_f64_e32 v[210:211], v[208:209], v[204:205]
	v_div_scale_f64 v[206:207], s[10:11], v[210:211], v[210:211], 1.0
	v_rcp_f64_e32 v[208:209], v[206:207]
	s_nop 0
	v_fma_f64 v[212:213], -v[206:207], v[208:209], 1.0
	v_fmac_f64_e32 v[208:209], v[208:209], v[212:213]
	v_fma_f64 v[212:213], -v[206:207], v[208:209], 1.0
	v_fmac_f64_e32 v[208:209], v[208:209], v[212:213]
	v_div_scale_f64 v[212:213], vcc, 1.0, v[210:211], 1.0
	v_mul_f64 v[214:215], v[212:213], v[208:209]
	v_fma_f64 v[206:207], -v[206:207], v[214:215], v[212:213]
	s_nop 1
	v_div_fmas_f64 v[206:207], v[206:207], v[208:209], v[214:215]
	v_div_fixup_f64 v[206:207], v[206:207], v[210:211], 1.0
	v_mul_f64 v[204:205], v[204:205], v[206:207]
	v_xor_b32_e32 v207, 0x80000000, v207
                                        ; implicit-def: $vgpr208_vgpr209
.LBB113_140:
	s_andn2_saveexec_b64 s[2:3], s[2:3]
	s_cbranch_execz .LBB113_142
; %bb.141:
	v_div_scale_f64 v[204:205], s[10:11], v[208:209], v[208:209], v[210:211]
	v_rcp_f64_e32 v[206:207], v[204:205]
	v_div_scale_f64 v[212:213], vcc, v[210:211], v[208:209], v[210:211]
	v_fma_f64 v[214:215], -v[204:205], v[206:207], 1.0
	v_fmac_f64_e32 v[206:207], v[206:207], v[214:215]
	v_fma_f64 v[214:215], -v[204:205], v[206:207], 1.0
	v_fmac_f64_e32 v[206:207], v[206:207], v[214:215]
	v_mul_f64 v[214:215], v[212:213], v[206:207]
	v_fma_f64 v[204:205], -v[204:205], v[214:215], v[212:213]
	v_div_fmas_f64 v[204:205], v[204:205], v[206:207], v[214:215]
	v_div_fixup_f64 v[206:207], v[204:205], v[208:209], v[210:211]
	v_fmac_f64_e32 v[208:209], v[210:211], v[206:207]
	v_div_scale_f64 v[204:205], s[10:11], v[208:209], v[208:209], 1.0
	v_rcp_f64_e32 v[210:211], v[204:205]
	s_nop 0
	v_fma_f64 v[212:213], -v[204:205], v[210:211], 1.0
	v_fmac_f64_e32 v[210:211], v[210:211], v[212:213]
	v_fma_f64 v[212:213], -v[204:205], v[210:211], 1.0
	v_fmac_f64_e32 v[210:211], v[210:211], v[212:213]
	v_div_scale_f64 v[212:213], vcc, 1.0, v[208:209], 1.0
	v_mul_f64 v[214:215], v[212:213], v[210:211]
	v_fma_f64 v[204:205], -v[204:205], v[214:215], v[212:213]
	s_nop 1
	v_div_fmas_f64 v[204:205], v[204:205], v[210:211], v[214:215]
	v_div_fixup_f64 v[204:205], v[204:205], v[208:209], 1.0
	v_mul_f64 v[206:207], v[206:207], -v[204:205]
.LBB113_142:
	s_or_b64 exec, exec, s[2:3]
	ds_write2_b64 v201, v[204:205], v[206:207] offset1:1
.LBB113_143:
	s_or_b64 exec, exec, s[4:5]
	s_waitcnt lgkmcnt(0)
	s_barrier
	ds_read2_b64 v[192:195], v201 offset1:1
	v_cmp_lt_u32_e32 vcc, 15, v200
	s_waitcnt lgkmcnt(0)
	scratch_store_dwordx4 off, v[192:195], off offset:808 ; 16-byte Folded Spill
	s_and_saveexec_b64 s[2:3], vcc
	s_cbranch_execz .LBB113_145
; %bb.144:
	scratch_load_dwordx4 v[192:195], off, off offset:808 ; 16-byte Folded Reload
	s_waitcnt vmcnt(0)
	v_mul_f64 v[204:205], v[194:195], v[162:163]
	v_fma_f64 v[208:209], v[192:193], v[160:161], -v[204:205]
	ds_read2_b64 v[204:207], v202 offset0:32 offset1:33
	v_mul_f64 v[162:163], v[192:193], v[162:163]
	v_fmac_f64_e32 v[162:163], v[194:195], v[160:161]
	s_waitcnt lgkmcnt(0)
	v_mul_f64 v[160:161], v[206:207], v[162:163]
	v_fma_f64 v[160:161], v[204:205], v[208:209], -v[160:161]
	v_mul_f64 v[204:205], v[204:205], v[162:163]
	v_fmac_f64_e32 v[204:205], v[206:207], v[208:209]
	v_add_f64 v[158:159], v[158:159], -v[204:205]
	ds_read2_b64 v[204:207], v202 offset0:34 offset1:35
	v_add_f64 v[156:157], v[156:157], -v[160:161]
	s_waitcnt lgkmcnt(0)
	v_mul_f64 v[160:161], v[206:207], v[162:163]
	v_fma_f64 v[160:161], v[204:205], v[208:209], -v[160:161]
	v_mul_f64 v[204:205], v[204:205], v[162:163]
	v_fmac_f64_e32 v[204:205], v[206:207], v[208:209]
	v_add_f64 v[154:155], v[154:155], -v[204:205]
	ds_read2_b64 v[204:207], v202 offset0:36 offset1:37
	v_add_f64 v[152:153], v[152:153], -v[160:161]
	;; [unrolled: 8-line block ×40, first 2 shown]
	s_waitcnt lgkmcnt(0)
	v_mul_f64 v[160:161], v[206:207], v[162:163]
	v_fma_f64 v[160:161], v[204:205], v[208:209], -v[160:161]
	v_mul_f64 v[204:205], v[204:205], v[162:163]
	v_fmac_f64_e32 v[204:205], v[206:207], v[208:209]
	v_add_f64 v[224:225], v[224:225], -v[160:161]
	v_add_f64 v[226:227], v[226:227], -v[204:205]
	v_mov_b64_e32 v[160:161], v[208:209]
.LBB113_145:
	s_or_b64 exec, exec, s[2:3]
	v_cmp_eq_u32_e32 vcc, 16, v200
	s_waitcnt vmcnt(63) expcnt(7) lgkmcnt(15)
	s_barrier
	s_and_saveexec_b64 s[4:5], vcc
	s_cbranch_execz .LBB113_152
; %bb.146:
	ds_write2_b64 v201, v[156:157], v[158:159] offset1:1
	ds_write2_b64 v202, v[152:153], v[154:155] offset0:34 offset1:35
	ds_write2_b64 v202, v[148:149], v[150:151] offset0:36 offset1:37
	;; [unrolled: 1-line block ×23, first 2 shown]
	s_waitcnt vmcnt(46)
	ds_write2_b64 v202, v[60:61], v[62:63] offset0:80 offset1:81
	s_waitcnt vmcnt(45)
	ds_write2_b64 v202, v[56:57], v[58:59] offset0:82 offset1:83
	;; [unrolled: 2-line block ×11, first 2 shown]
	ds_write2_b64 v202, v[16:17], v[18:19] offset0:102 offset1:103
	ds_write2_b64 v202, v[12:13], v[14:15] offset0:104 offset1:105
	;; [unrolled: 1-line block ×4, first 2 shown]
	s_waitcnt vmcnt(35)
	ds_write2_b64 v202, v[0:1], v[2:3] offset0:110 offset1:111
	s_waitcnt vmcnt(32)
	ds_write2_b64 v202, v[224:225], v[226:227] offset0:112 offset1:113
	ds_read2_b64 v[208:211], v201 offset1:1
	s_waitcnt lgkmcnt(0)
	v_cmp_neq_f64_e32 vcc, 0, v[208:209]
	v_cmp_neq_f64_e64 s[2:3], 0, v[210:211]
	s_or_b64 s[2:3], vcc, s[2:3]
	s_and_b64 exec, exec, s[2:3]
	s_cbranch_execz .LBB113_152
; %bb.147:
	v_cmp_ngt_f64_e64 s[2:3], |v[208:209]|, |v[210:211]|
                                        ; implicit-def: $vgpr204_vgpr205
	s_and_saveexec_b64 s[10:11], s[2:3]
	s_xor_b64 s[2:3], exec, s[10:11]
                                        ; implicit-def: $vgpr206_vgpr207
	s_cbranch_execz .LBB113_149
; %bb.148:
	v_div_scale_f64 v[204:205], s[10:11], v[210:211], v[210:211], v[208:209]
	v_rcp_f64_e32 v[206:207], v[204:205]
	v_div_scale_f64 v[212:213], vcc, v[208:209], v[210:211], v[208:209]
	v_fma_f64 v[214:215], -v[204:205], v[206:207], 1.0
	v_fmac_f64_e32 v[206:207], v[206:207], v[214:215]
	v_fma_f64 v[214:215], -v[204:205], v[206:207], 1.0
	v_fmac_f64_e32 v[206:207], v[206:207], v[214:215]
	v_mul_f64 v[214:215], v[212:213], v[206:207]
	v_fma_f64 v[204:205], -v[204:205], v[214:215], v[212:213]
	v_div_fmas_f64 v[204:205], v[204:205], v[206:207], v[214:215]
	v_div_fixup_f64 v[204:205], v[204:205], v[210:211], v[208:209]
	v_fmac_f64_e32 v[210:211], v[208:209], v[204:205]
	v_div_scale_f64 v[206:207], s[10:11], v[210:211], v[210:211], 1.0
	v_rcp_f64_e32 v[208:209], v[206:207]
	s_nop 0
	v_fma_f64 v[212:213], -v[206:207], v[208:209], 1.0
	v_fmac_f64_e32 v[208:209], v[208:209], v[212:213]
	v_fma_f64 v[212:213], -v[206:207], v[208:209], 1.0
	v_fmac_f64_e32 v[208:209], v[208:209], v[212:213]
	v_div_scale_f64 v[212:213], vcc, 1.0, v[210:211], 1.0
	v_mul_f64 v[214:215], v[212:213], v[208:209]
	v_fma_f64 v[206:207], -v[206:207], v[214:215], v[212:213]
	s_nop 1
	v_div_fmas_f64 v[206:207], v[206:207], v[208:209], v[214:215]
	v_div_fixup_f64 v[206:207], v[206:207], v[210:211], 1.0
	v_mul_f64 v[204:205], v[204:205], v[206:207]
	v_xor_b32_e32 v207, 0x80000000, v207
                                        ; implicit-def: $vgpr208_vgpr209
.LBB113_149:
	s_andn2_saveexec_b64 s[2:3], s[2:3]
	s_cbranch_execz .LBB113_151
; %bb.150:
	v_div_scale_f64 v[204:205], s[10:11], v[208:209], v[208:209], v[210:211]
	v_rcp_f64_e32 v[206:207], v[204:205]
	v_div_scale_f64 v[212:213], vcc, v[210:211], v[208:209], v[210:211]
	v_fma_f64 v[214:215], -v[204:205], v[206:207], 1.0
	v_fmac_f64_e32 v[206:207], v[206:207], v[214:215]
	v_fma_f64 v[214:215], -v[204:205], v[206:207], 1.0
	v_fmac_f64_e32 v[206:207], v[206:207], v[214:215]
	v_mul_f64 v[214:215], v[212:213], v[206:207]
	v_fma_f64 v[204:205], -v[204:205], v[214:215], v[212:213]
	v_div_fmas_f64 v[204:205], v[204:205], v[206:207], v[214:215]
	v_div_fixup_f64 v[206:207], v[204:205], v[208:209], v[210:211]
	v_fmac_f64_e32 v[208:209], v[210:211], v[206:207]
	v_div_scale_f64 v[204:205], s[10:11], v[208:209], v[208:209], 1.0
	v_rcp_f64_e32 v[210:211], v[204:205]
	s_nop 0
	v_fma_f64 v[212:213], -v[204:205], v[210:211], 1.0
	v_fmac_f64_e32 v[210:211], v[210:211], v[212:213]
	v_fma_f64 v[212:213], -v[204:205], v[210:211], 1.0
	v_fmac_f64_e32 v[210:211], v[210:211], v[212:213]
	v_div_scale_f64 v[212:213], vcc, 1.0, v[208:209], 1.0
	v_mul_f64 v[214:215], v[212:213], v[210:211]
	v_fma_f64 v[204:205], -v[204:205], v[214:215], v[212:213]
	s_nop 1
	v_div_fmas_f64 v[204:205], v[204:205], v[210:211], v[214:215]
	v_div_fixup_f64 v[204:205], v[204:205], v[208:209], 1.0
	v_mul_f64 v[206:207], v[206:207], -v[204:205]
.LBB113_151:
	s_or_b64 exec, exec, s[2:3]
	ds_write2_b64 v201, v[204:205], v[206:207] offset1:1
.LBB113_152:
	s_or_b64 exec, exec, s[4:5]
	s_waitcnt lgkmcnt(0)
	s_barrier
	ds_read2_b64 v[192:195], v201 offset1:1
	v_cmp_lt_u32_e32 vcc, 16, v200
	s_waitcnt lgkmcnt(0)
	scratch_store_dwordx4 off, v[192:195], off offset:824 ; 16-byte Folded Spill
	s_and_saveexec_b64 s[2:3], vcc
	s_cbranch_execz .LBB113_154
; %bb.153:
	scratch_load_dwordx4 v[192:195], off, off offset:824 ; 16-byte Folded Reload
	s_waitcnt vmcnt(0)
	v_mul_f64 v[204:205], v[194:195], v[158:159]
	v_fma_f64 v[208:209], v[192:193], v[156:157], -v[204:205]
	ds_read2_b64 v[204:207], v202 offset0:34 offset1:35
	v_mul_f64 v[158:159], v[192:193], v[158:159]
	v_fmac_f64_e32 v[158:159], v[194:195], v[156:157]
	s_waitcnt lgkmcnt(0)
	v_mul_f64 v[156:157], v[206:207], v[158:159]
	v_fma_f64 v[156:157], v[204:205], v[208:209], -v[156:157]
	v_mul_f64 v[204:205], v[204:205], v[158:159]
	v_fmac_f64_e32 v[204:205], v[206:207], v[208:209]
	v_add_f64 v[154:155], v[154:155], -v[204:205]
	ds_read2_b64 v[204:207], v202 offset0:36 offset1:37
	v_add_f64 v[152:153], v[152:153], -v[156:157]
	s_waitcnt lgkmcnt(0)
	v_mul_f64 v[156:157], v[206:207], v[158:159]
	v_fma_f64 v[156:157], v[204:205], v[208:209], -v[156:157]
	v_mul_f64 v[204:205], v[204:205], v[158:159]
	v_fmac_f64_e32 v[204:205], v[206:207], v[208:209]
	v_add_f64 v[150:151], v[150:151], -v[204:205]
	ds_read2_b64 v[204:207], v202 offset0:38 offset1:39
	v_add_f64 v[148:149], v[148:149], -v[156:157]
	;; [unrolled: 8-line block ×39, first 2 shown]
	s_waitcnt lgkmcnt(0)
	v_mul_f64 v[156:157], v[206:207], v[158:159]
	v_fma_f64 v[156:157], v[204:205], v[208:209], -v[156:157]
	v_mul_f64 v[204:205], v[204:205], v[158:159]
	v_fmac_f64_e32 v[204:205], v[206:207], v[208:209]
	v_add_f64 v[224:225], v[224:225], -v[156:157]
	v_add_f64 v[226:227], v[226:227], -v[204:205]
	v_mov_b64_e32 v[156:157], v[208:209]
.LBB113_154:
	s_or_b64 exec, exec, s[2:3]
	v_cmp_eq_u32_e32 vcc, 17, v200
	s_waitcnt vmcnt(63) expcnt(7) lgkmcnt(15)
	s_barrier
	s_and_saveexec_b64 s[4:5], vcc
	s_cbranch_execz .LBB113_161
; %bb.155:
	ds_write2_b64 v201, v[152:153], v[154:155] offset1:1
	ds_write2_b64 v202, v[148:149], v[150:151] offset0:36 offset1:37
	ds_write2_b64 v202, v[144:145], v[146:147] offset0:38 offset1:39
	ds_write2_b64 v202, v[140:141], v[142:143] offset0:40 offset1:41
	ds_write2_b64 v202, v[136:137], v[138:139] offset0:42 offset1:43
	ds_write2_b64 v202, v[132:133], v[134:135] offset0:44 offset1:45
	ds_write2_b64 v202, v[128:129], v[130:131] offset0:46 offset1:47
	ds_write2_b64 v202, v[124:125], v[126:127] offset0:48 offset1:49
	ds_write2_b64 v202, v[120:121], v[122:123] offset0:50 offset1:51
	ds_write2_b64 v202, v[116:117], v[118:119] offset0:52 offset1:53
	ds_write2_b64 v202, v[112:113], v[114:115] offset0:54 offset1:55
	ds_write2_b64 v202, v[108:109], v[110:111] offset0:56 offset1:57
	ds_write2_b64 v202, v[104:105], v[106:107] offset0:58 offset1:59
	ds_write2_b64 v202, v[100:101], v[102:103] offset0:60 offset1:61
	ds_write2_b64 v202, v[96:97], v[98:99] offset0:62 offset1:63
	ds_write2_b64 v202, v[92:93], v[94:95] offset0:64 offset1:65
	ds_write2_b64 v202, v[88:89], v[90:91] offset0:66 offset1:67
	ds_write2_b64 v202, v[84:85], v[86:87] offset0:68 offset1:69
	ds_write2_b64 v202, v[80:81], v[82:83] offset0:70 offset1:71
	ds_write2_b64 v202, v[76:77], v[78:79] offset0:72 offset1:73
	ds_write2_b64 v202, v[72:73], v[74:75] offset0:74 offset1:75
	ds_write2_b64 v202, v[68:69], v[70:71] offset0:76 offset1:77
	ds_write2_b64 v202, v[64:65], v[66:67] offset0:78 offset1:79
	s_waitcnt vmcnt(47)
	ds_write2_b64 v202, v[60:61], v[62:63] offset0:80 offset1:81
	s_waitcnt vmcnt(46)
	ds_write2_b64 v202, v[56:57], v[58:59] offset0:82 offset1:83
	;; [unrolled: 2-line block ×11, first 2 shown]
	ds_write2_b64 v202, v[16:17], v[18:19] offset0:102 offset1:103
	ds_write2_b64 v202, v[12:13], v[14:15] offset0:104 offset1:105
	;; [unrolled: 1-line block ×4, first 2 shown]
	s_waitcnt vmcnt(36)
	ds_write2_b64 v202, v[0:1], v[2:3] offset0:110 offset1:111
	s_waitcnt vmcnt(33)
	ds_write2_b64 v202, v[224:225], v[226:227] offset0:112 offset1:113
	ds_read2_b64 v[208:211], v201 offset1:1
	s_waitcnt lgkmcnt(0)
	v_cmp_neq_f64_e32 vcc, 0, v[208:209]
	v_cmp_neq_f64_e64 s[2:3], 0, v[210:211]
	s_or_b64 s[2:3], vcc, s[2:3]
	s_and_b64 exec, exec, s[2:3]
	s_cbranch_execz .LBB113_161
; %bb.156:
	v_cmp_ngt_f64_e64 s[2:3], |v[208:209]|, |v[210:211]|
                                        ; implicit-def: $vgpr204_vgpr205
	s_and_saveexec_b64 s[10:11], s[2:3]
	s_xor_b64 s[2:3], exec, s[10:11]
                                        ; implicit-def: $vgpr206_vgpr207
	s_cbranch_execz .LBB113_158
; %bb.157:
	v_div_scale_f64 v[204:205], s[10:11], v[210:211], v[210:211], v[208:209]
	v_rcp_f64_e32 v[206:207], v[204:205]
	v_div_scale_f64 v[212:213], vcc, v[208:209], v[210:211], v[208:209]
	v_fma_f64 v[214:215], -v[204:205], v[206:207], 1.0
	v_fmac_f64_e32 v[206:207], v[206:207], v[214:215]
	v_fma_f64 v[214:215], -v[204:205], v[206:207], 1.0
	v_fmac_f64_e32 v[206:207], v[206:207], v[214:215]
	v_mul_f64 v[214:215], v[212:213], v[206:207]
	v_fma_f64 v[204:205], -v[204:205], v[214:215], v[212:213]
	v_div_fmas_f64 v[204:205], v[204:205], v[206:207], v[214:215]
	v_div_fixup_f64 v[204:205], v[204:205], v[210:211], v[208:209]
	v_fmac_f64_e32 v[210:211], v[208:209], v[204:205]
	v_div_scale_f64 v[206:207], s[10:11], v[210:211], v[210:211], 1.0
	v_rcp_f64_e32 v[208:209], v[206:207]
	s_nop 0
	v_fma_f64 v[212:213], -v[206:207], v[208:209], 1.0
	v_fmac_f64_e32 v[208:209], v[208:209], v[212:213]
	v_fma_f64 v[212:213], -v[206:207], v[208:209], 1.0
	v_fmac_f64_e32 v[208:209], v[208:209], v[212:213]
	v_div_scale_f64 v[212:213], vcc, 1.0, v[210:211], 1.0
	v_mul_f64 v[214:215], v[212:213], v[208:209]
	v_fma_f64 v[206:207], -v[206:207], v[214:215], v[212:213]
	s_nop 1
	v_div_fmas_f64 v[206:207], v[206:207], v[208:209], v[214:215]
	v_div_fixup_f64 v[206:207], v[206:207], v[210:211], 1.0
	v_mul_f64 v[204:205], v[204:205], v[206:207]
	v_xor_b32_e32 v207, 0x80000000, v207
                                        ; implicit-def: $vgpr208_vgpr209
.LBB113_158:
	s_andn2_saveexec_b64 s[2:3], s[2:3]
	s_cbranch_execz .LBB113_160
; %bb.159:
	v_div_scale_f64 v[204:205], s[10:11], v[208:209], v[208:209], v[210:211]
	v_rcp_f64_e32 v[206:207], v[204:205]
	v_div_scale_f64 v[212:213], vcc, v[210:211], v[208:209], v[210:211]
	v_fma_f64 v[214:215], -v[204:205], v[206:207], 1.0
	v_fmac_f64_e32 v[206:207], v[206:207], v[214:215]
	v_fma_f64 v[214:215], -v[204:205], v[206:207], 1.0
	v_fmac_f64_e32 v[206:207], v[206:207], v[214:215]
	v_mul_f64 v[214:215], v[212:213], v[206:207]
	v_fma_f64 v[204:205], -v[204:205], v[214:215], v[212:213]
	v_div_fmas_f64 v[204:205], v[204:205], v[206:207], v[214:215]
	v_div_fixup_f64 v[206:207], v[204:205], v[208:209], v[210:211]
	v_fmac_f64_e32 v[208:209], v[210:211], v[206:207]
	v_div_scale_f64 v[204:205], s[10:11], v[208:209], v[208:209], 1.0
	v_rcp_f64_e32 v[210:211], v[204:205]
	s_nop 0
	v_fma_f64 v[212:213], -v[204:205], v[210:211], 1.0
	v_fmac_f64_e32 v[210:211], v[210:211], v[212:213]
	v_fma_f64 v[212:213], -v[204:205], v[210:211], 1.0
	v_fmac_f64_e32 v[210:211], v[210:211], v[212:213]
	v_div_scale_f64 v[212:213], vcc, 1.0, v[208:209], 1.0
	v_mul_f64 v[214:215], v[212:213], v[210:211]
	v_fma_f64 v[204:205], -v[204:205], v[214:215], v[212:213]
	s_nop 1
	v_div_fmas_f64 v[204:205], v[204:205], v[210:211], v[214:215]
	v_div_fixup_f64 v[204:205], v[204:205], v[208:209], 1.0
	v_mul_f64 v[206:207], v[206:207], -v[204:205]
.LBB113_160:
	s_or_b64 exec, exec, s[2:3]
	ds_write2_b64 v201, v[204:205], v[206:207] offset1:1
.LBB113_161:
	s_or_b64 exec, exec, s[4:5]
	s_waitcnt lgkmcnt(0)
	s_barrier
	ds_read2_b64 v[192:195], v201 offset1:1
	v_cmp_lt_u32_e32 vcc, 17, v200
	s_waitcnt lgkmcnt(0)
	scratch_store_dwordx4 off, v[192:195], off offset:840 ; 16-byte Folded Spill
	s_and_saveexec_b64 s[2:3], vcc
	s_cbranch_execz .LBB113_163
; %bb.162:
	scratch_load_dwordx4 v[192:195], off, off offset:840 ; 16-byte Folded Reload
	s_waitcnt vmcnt(0)
	v_mul_f64 v[204:205], v[194:195], v[154:155]
	v_fma_f64 v[208:209], v[192:193], v[152:153], -v[204:205]
	ds_read2_b64 v[204:207], v202 offset0:36 offset1:37
	v_mul_f64 v[154:155], v[192:193], v[154:155]
	v_fmac_f64_e32 v[154:155], v[194:195], v[152:153]
	s_waitcnt lgkmcnt(0)
	v_mul_f64 v[152:153], v[206:207], v[154:155]
	v_fma_f64 v[152:153], v[204:205], v[208:209], -v[152:153]
	v_mul_f64 v[204:205], v[204:205], v[154:155]
	v_fmac_f64_e32 v[204:205], v[206:207], v[208:209]
	v_add_f64 v[150:151], v[150:151], -v[204:205]
	ds_read2_b64 v[204:207], v202 offset0:38 offset1:39
	v_add_f64 v[148:149], v[148:149], -v[152:153]
	s_waitcnt lgkmcnt(0)
	v_mul_f64 v[152:153], v[206:207], v[154:155]
	v_fma_f64 v[152:153], v[204:205], v[208:209], -v[152:153]
	v_mul_f64 v[204:205], v[204:205], v[154:155]
	v_fmac_f64_e32 v[204:205], v[206:207], v[208:209]
	v_add_f64 v[146:147], v[146:147], -v[204:205]
	ds_read2_b64 v[204:207], v202 offset0:40 offset1:41
	v_add_f64 v[144:145], v[144:145], -v[152:153]
	;; [unrolled: 8-line block ×38, first 2 shown]
	s_waitcnt lgkmcnt(0)
	v_mul_f64 v[152:153], v[206:207], v[154:155]
	v_fma_f64 v[152:153], v[204:205], v[208:209], -v[152:153]
	v_mul_f64 v[204:205], v[204:205], v[154:155]
	v_fmac_f64_e32 v[204:205], v[206:207], v[208:209]
	v_add_f64 v[224:225], v[224:225], -v[152:153]
	v_add_f64 v[226:227], v[226:227], -v[204:205]
	v_mov_b64_e32 v[152:153], v[208:209]
.LBB113_163:
	s_or_b64 exec, exec, s[2:3]
	v_cmp_eq_u32_e32 vcc, 18, v200
	s_waitcnt vmcnt(63) expcnt(7) lgkmcnt(15)
	s_barrier
	s_and_saveexec_b64 s[4:5], vcc
	s_cbranch_execz .LBB113_170
; %bb.164:
	ds_write2_b64 v201, v[148:149], v[150:151] offset1:1
	ds_write2_b64 v202, v[144:145], v[146:147] offset0:38 offset1:39
	ds_write2_b64 v202, v[140:141], v[142:143] offset0:40 offset1:41
	;; [unrolled: 1-line block ×21, first 2 shown]
	s_waitcnt vmcnt(48)
	ds_write2_b64 v202, v[60:61], v[62:63] offset0:80 offset1:81
	s_waitcnt vmcnt(47)
	ds_write2_b64 v202, v[56:57], v[58:59] offset0:82 offset1:83
	;; [unrolled: 2-line block ×11, first 2 shown]
	ds_write2_b64 v202, v[16:17], v[18:19] offset0:102 offset1:103
	ds_write2_b64 v202, v[12:13], v[14:15] offset0:104 offset1:105
	;; [unrolled: 1-line block ×4, first 2 shown]
	s_waitcnt vmcnt(37)
	ds_write2_b64 v202, v[0:1], v[2:3] offset0:110 offset1:111
	s_waitcnt vmcnt(34)
	ds_write2_b64 v202, v[224:225], v[226:227] offset0:112 offset1:113
	ds_read2_b64 v[208:211], v201 offset1:1
	s_waitcnt lgkmcnt(0)
	v_cmp_neq_f64_e32 vcc, 0, v[208:209]
	v_cmp_neq_f64_e64 s[2:3], 0, v[210:211]
	s_or_b64 s[2:3], vcc, s[2:3]
	s_and_b64 exec, exec, s[2:3]
	s_cbranch_execz .LBB113_170
; %bb.165:
	v_cmp_ngt_f64_e64 s[2:3], |v[208:209]|, |v[210:211]|
                                        ; implicit-def: $vgpr204_vgpr205
	s_and_saveexec_b64 s[10:11], s[2:3]
	s_xor_b64 s[2:3], exec, s[10:11]
                                        ; implicit-def: $vgpr206_vgpr207
	s_cbranch_execz .LBB113_167
; %bb.166:
	v_div_scale_f64 v[204:205], s[10:11], v[210:211], v[210:211], v[208:209]
	v_rcp_f64_e32 v[206:207], v[204:205]
	v_div_scale_f64 v[212:213], vcc, v[208:209], v[210:211], v[208:209]
	v_fma_f64 v[214:215], -v[204:205], v[206:207], 1.0
	v_fmac_f64_e32 v[206:207], v[206:207], v[214:215]
	v_fma_f64 v[214:215], -v[204:205], v[206:207], 1.0
	v_fmac_f64_e32 v[206:207], v[206:207], v[214:215]
	v_mul_f64 v[214:215], v[212:213], v[206:207]
	v_fma_f64 v[204:205], -v[204:205], v[214:215], v[212:213]
	v_div_fmas_f64 v[204:205], v[204:205], v[206:207], v[214:215]
	v_div_fixup_f64 v[204:205], v[204:205], v[210:211], v[208:209]
	v_fmac_f64_e32 v[210:211], v[208:209], v[204:205]
	v_div_scale_f64 v[206:207], s[10:11], v[210:211], v[210:211], 1.0
	v_rcp_f64_e32 v[208:209], v[206:207]
	s_nop 0
	v_fma_f64 v[212:213], -v[206:207], v[208:209], 1.0
	v_fmac_f64_e32 v[208:209], v[208:209], v[212:213]
	v_fma_f64 v[212:213], -v[206:207], v[208:209], 1.0
	v_fmac_f64_e32 v[208:209], v[208:209], v[212:213]
	v_div_scale_f64 v[212:213], vcc, 1.0, v[210:211], 1.0
	v_mul_f64 v[214:215], v[212:213], v[208:209]
	v_fma_f64 v[206:207], -v[206:207], v[214:215], v[212:213]
	s_nop 1
	v_div_fmas_f64 v[206:207], v[206:207], v[208:209], v[214:215]
	v_div_fixup_f64 v[206:207], v[206:207], v[210:211], 1.0
	v_mul_f64 v[204:205], v[204:205], v[206:207]
	v_xor_b32_e32 v207, 0x80000000, v207
                                        ; implicit-def: $vgpr208_vgpr209
.LBB113_167:
	s_andn2_saveexec_b64 s[2:3], s[2:3]
	s_cbranch_execz .LBB113_169
; %bb.168:
	v_div_scale_f64 v[204:205], s[10:11], v[208:209], v[208:209], v[210:211]
	v_rcp_f64_e32 v[206:207], v[204:205]
	v_div_scale_f64 v[212:213], vcc, v[210:211], v[208:209], v[210:211]
	v_fma_f64 v[214:215], -v[204:205], v[206:207], 1.0
	v_fmac_f64_e32 v[206:207], v[206:207], v[214:215]
	v_fma_f64 v[214:215], -v[204:205], v[206:207], 1.0
	v_fmac_f64_e32 v[206:207], v[206:207], v[214:215]
	v_mul_f64 v[214:215], v[212:213], v[206:207]
	v_fma_f64 v[204:205], -v[204:205], v[214:215], v[212:213]
	v_div_fmas_f64 v[204:205], v[204:205], v[206:207], v[214:215]
	v_div_fixup_f64 v[206:207], v[204:205], v[208:209], v[210:211]
	v_fmac_f64_e32 v[208:209], v[210:211], v[206:207]
	v_div_scale_f64 v[204:205], s[10:11], v[208:209], v[208:209], 1.0
	v_rcp_f64_e32 v[210:211], v[204:205]
	s_nop 0
	v_fma_f64 v[212:213], -v[204:205], v[210:211], 1.0
	v_fmac_f64_e32 v[210:211], v[210:211], v[212:213]
	v_fma_f64 v[212:213], -v[204:205], v[210:211], 1.0
	v_fmac_f64_e32 v[210:211], v[210:211], v[212:213]
	v_div_scale_f64 v[212:213], vcc, 1.0, v[208:209], 1.0
	v_mul_f64 v[214:215], v[212:213], v[210:211]
	v_fma_f64 v[204:205], -v[204:205], v[214:215], v[212:213]
	s_nop 1
	v_div_fmas_f64 v[204:205], v[204:205], v[210:211], v[214:215]
	v_div_fixup_f64 v[204:205], v[204:205], v[208:209], 1.0
	v_mul_f64 v[206:207], v[206:207], -v[204:205]
.LBB113_169:
	s_or_b64 exec, exec, s[2:3]
	ds_write2_b64 v201, v[204:205], v[206:207] offset1:1
.LBB113_170:
	s_or_b64 exec, exec, s[4:5]
	s_waitcnt lgkmcnt(0)
	s_barrier
	ds_read2_b64 v[192:195], v201 offset1:1
	v_cmp_lt_u32_e32 vcc, 18, v200
	s_waitcnt lgkmcnt(0)
	scratch_store_dwordx4 off, v[192:195], off offset:856 ; 16-byte Folded Spill
	s_and_saveexec_b64 s[2:3], vcc
	s_cbranch_execz .LBB113_172
; %bb.171:
	scratch_load_dwordx4 v[192:195], off, off offset:856 ; 16-byte Folded Reload
	s_waitcnt vmcnt(0)
	v_mul_f64 v[204:205], v[194:195], v[150:151]
	v_fma_f64 v[208:209], v[192:193], v[148:149], -v[204:205]
	ds_read2_b64 v[204:207], v202 offset0:38 offset1:39
	v_mul_f64 v[150:151], v[192:193], v[150:151]
	v_fmac_f64_e32 v[150:151], v[194:195], v[148:149]
	s_waitcnt lgkmcnt(0)
	v_mul_f64 v[148:149], v[206:207], v[150:151]
	v_fma_f64 v[148:149], v[204:205], v[208:209], -v[148:149]
	v_mul_f64 v[204:205], v[204:205], v[150:151]
	v_fmac_f64_e32 v[204:205], v[206:207], v[208:209]
	v_add_f64 v[146:147], v[146:147], -v[204:205]
	ds_read2_b64 v[204:207], v202 offset0:40 offset1:41
	v_add_f64 v[144:145], v[144:145], -v[148:149]
	s_waitcnt lgkmcnt(0)
	v_mul_f64 v[148:149], v[206:207], v[150:151]
	v_fma_f64 v[148:149], v[204:205], v[208:209], -v[148:149]
	v_mul_f64 v[204:205], v[204:205], v[150:151]
	v_fmac_f64_e32 v[204:205], v[206:207], v[208:209]
	v_add_f64 v[142:143], v[142:143], -v[204:205]
	ds_read2_b64 v[204:207], v202 offset0:42 offset1:43
	v_add_f64 v[140:141], v[140:141], -v[148:149]
	;; [unrolled: 8-line block ×37, first 2 shown]
	s_waitcnt lgkmcnt(0)
	v_mul_f64 v[148:149], v[206:207], v[150:151]
	v_fma_f64 v[148:149], v[204:205], v[208:209], -v[148:149]
	v_mul_f64 v[204:205], v[204:205], v[150:151]
	v_fmac_f64_e32 v[204:205], v[206:207], v[208:209]
	v_add_f64 v[224:225], v[224:225], -v[148:149]
	v_add_f64 v[226:227], v[226:227], -v[204:205]
	v_mov_b64_e32 v[148:149], v[208:209]
.LBB113_172:
	s_or_b64 exec, exec, s[2:3]
	v_cmp_eq_u32_e32 vcc, 19, v200
	s_waitcnt vmcnt(63) expcnt(7) lgkmcnt(15)
	s_barrier
	s_and_saveexec_b64 s[4:5], vcc
	s_cbranch_execz .LBB113_179
; %bb.173:
	ds_write2_b64 v201, v[144:145], v[146:147] offset1:1
	ds_write2_b64 v202, v[140:141], v[142:143] offset0:40 offset1:41
	ds_write2_b64 v202, v[136:137], v[138:139] offset0:42 offset1:43
	;; [unrolled: 1-line block ×20, first 2 shown]
	s_waitcnt vmcnt(49)
	ds_write2_b64 v202, v[60:61], v[62:63] offset0:80 offset1:81
	s_waitcnt vmcnt(48)
	ds_write2_b64 v202, v[56:57], v[58:59] offset0:82 offset1:83
	;; [unrolled: 2-line block ×11, first 2 shown]
	ds_write2_b64 v202, v[16:17], v[18:19] offset0:102 offset1:103
	ds_write2_b64 v202, v[12:13], v[14:15] offset0:104 offset1:105
	;; [unrolled: 1-line block ×4, first 2 shown]
	s_waitcnt vmcnt(38)
	ds_write2_b64 v202, v[0:1], v[2:3] offset0:110 offset1:111
	s_waitcnt vmcnt(35)
	ds_write2_b64 v202, v[224:225], v[226:227] offset0:112 offset1:113
	ds_read2_b64 v[208:211], v201 offset1:1
	s_waitcnt lgkmcnt(0)
	v_cmp_neq_f64_e32 vcc, 0, v[208:209]
	v_cmp_neq_f64_e64 s[2:3], 0, v[210:211]
	s_or_b64 s[2:3], vcc, s[2:3]
	s_and_b64 exec, exec, s[2:3]
	s_cbranch_execz .LBB113_179
; %bb.174:
	v_cmp_ngt_f64_e64 s[2:3], |v[208:209]|, |v[210:211]|
                                        ; implicit-def: $vgpr204_vgpr205
	s_and_saveexec_b64 s[10:11], s[2:3]
	s_xor_b64 s[2:3], exec, s[10:11]
                                        ; implicit-def: $vgpr206_vgpr207
	s_cbranch_execz .LBB113_176
; %bb.175:
	v_div_scale_f64 v[204:205], s[10:11], v[210:211], v[210:211], v[208:209]
	v_rcp_f64_e32 v[206:207], v[204:205]
	v_div_scale_f64 v[212:213], vcc, v[208:209], v[210:211], v[208:209]
	v_fma_f64 v[214:215], -v[204:205], v[206:207], 1.0
	v_fmac_f64_e32 v[206:207], v[206:207], v[214:215]
	v_fma_f64 v[214:215], -v[204:205], v[206:207], 1.0
	v_fmac_f64_e32 v[206:207], v[206:207], v[214:215]
	v_mul_f64 v[214:215], v[212:213], v[206:207]
	v_fma_f64 v[204:205], -v[204:205], v[214:215], v[212:213]
	v_div_fmas_f64 v[204:205], v[204:205], v[206:207], v[214:215]
	v_div_fixup_f64 v[204:205], v[204:205], v[210:211], v[208:209]
	v_fmac_f64_e32 v[210:211], v[208:209], v[204:205]
	v_div_scale_f64 v[206:207], s[10:11], v[210:211], v[210:211], 1.0
	v_rcp_f64_e32 v[208:209], v[206:207]
	s_nop 0
	v_fma_f64 v[212:213], -v[206:207], v[208:209], 1.0
	v_fmac_f64_e32 v[208:209], v[208:209], v[212:213]
	v_fma_f64 v[212:213], -v[206:207], v[208:209], 1.0
	v_fmac_f64_e32 v[208:209], v[208:209], v[212:213]
	v_div_scale_f64 v[212:213], vcc, 1.0, v[210:211], 1.0
	v_mul_f64 v[214:215], v[212:213], v[208:209]
	v_fma_f64 v[206:207], -v[206:207], v[214:215], v[212:213]
	s_nop 1
	v_div_fmas_f64 v[206:207], v[206:207], v[208:209], v[214:215]
	v_div_fixup_f64 v[206:207], v[206:207], v[210:211], 1.0
	v_mul_f64 v[204:205], v[204:205], v[206:207]
	v_xor_b32_e32 v207, 0x80000000, v207
                                        ; implicit-def: $vgpr208_vgpr209
.LBB113_176:
	s_andn2_saveexec_b64 s[2:3], s[2:3]
	s_cbranch_execz .LBB113_178
; %bb.177:
	v_div_scale_f64 v[204:205], s[10:11], v[208:209], v[208:209], v[210:211]
	v_rcp_f64_e32 v[206:207], v[204:205]
	v_div_scale_f64 v[212:213], vcc, v[210:211], v[208:209], v[210:211]
	v_fma_f64 v[214:215], -v[204:205], v[206:207], 1.0
	v_fmac_f64_e32 v[206:207], v[206:207], v[214:215]
	v_fma_f64 v[214:215], -v[204:205], v[206:207], 1.0
	v_fmac_f64_e32 v[206:207], v[206:207], v[214:215]
	v_mul_f64 v[214:215], v[212:213], v[206:207]
	v_fma_f64 v[204:205], -v[204:205], v[214:215], v[212:213]
	v_div_fmas_f64 v[204:205], v[204:205], v[206:207], v[214:215]
	v_div_fixup_f64 v[206:207], v[204:205], v[208:209], v[210:211]
	v_fmac_f64_e32 v[208:209], v[210:211], v[206:207]
	v_div_scale_f64 v[204:205], s[10:11], v[208:209], v[208:209], 1.0
	v_rcp_f64_e32 v[210:211], v[204:205]
	s_nop 0
	v_fma_f64 v[212:213], -v[204:205], v[210:211], 1.0
	v_fmac_f64_e32 v[210:211], v[210:211], v[212:213]
	v_fma_f64 v[212:213], -v[204:205], v[210:211], 1.0
	v_fmac_f64_e32 v[210:211], v[210:211], v[212:213]
	v_div_scale_f64 v[212:213], vcc, 1.0, v[208:209], 1.0
	v_mul_f64 v[214:215], v[212:213], v[210:211]
	v_fma_f64 v[204:205], -v[204:205], v[214:215], v[212:213]
	s_nop 1
	v_div_fmas_f64 v[204:205], v[204:205], v[210:211], v[214:215]
	v_div_fixup_f64 v[204:205], v[204:205], v[208:209], 1.0
	v_mul_f64 v[206:207], v[206:207], -v[204:205]
.LBB113_178:
	s_or_b64 exec, exec, s[2:3]
	ds_write2_b64 v201, v[204:205], v[206:207] offset1:1
.LBB113_179:
	s_or_b64 exec, exec, s[4:5]
	s_waitcnt lgkmcnt(0)
	s_barrier
	ds_read2_b64 v[192:195], v201 offset1:1
	v_cmp_lt_u32_e32 vcc, 19, v200
	s_waitcnt lgkmcnt(0)
	scratch_store_dwordx4 off, v[192:195], off offset:872 ; 16-byte Folded Spill
	s_and_saveexec_b64 s[2:3], vcc
	s_cbranch_execz .LBB113_181
; %bb.180:
	scratch_load_dwordx4 v[192:195], off, off offset:872 ; 16-byte Folded Reload
	s_waitcnt vmcnt(0)
	v_mul_f64 v[204:205], v[194:195], v[146:147]
	v_fma_f64 v[208:209], v[192:193], v[144:145], -v[204:205]
	ds_read2_b64 v[204:207], v202 offset0:40 offset1:41
	v_mul_f64 v[146:147], v[192:193], v[146:147]
	v_fmac_f64_e32 v[146:147], v[194:195], v[144:145]
	s_waitcnt lgkmcnt(0)
	v_mul_f64 v[144:145], v[206:207], v[146:147]
	v_fma_f64 v[144:145], v[204:205], v[208:209], -v[144:145]
	v_mul_f64 v[204:205], v[204:205], v[146:147]
	v_fmac_f64_e32 v[204:205], v[206:207], v[208:209]
	v_add_f64 v[142:143], v[142:143], -v[204:205]
	ds_read2_b64 v[204:207], v202 offset0:42 offset1:43
	v_add_f64 v[140:141], v[140:141], -v[144:145]
	s_waitcnt lgkmcnt(0)
	v_mul_f64 v[144:145], v[206:207], v[146:147]
	v_fma_f64 v[144:145], v[204:205], v[208:209], -v[144:145]
	v_mul_f64 v[204:205], v[204:205], v[146:147]
	v_fmac_f64_e32 v[204:205], v[206:207], v[208:209]
	v_add_f64 v[138:139], v[138:139], -v[204:205]
	ds_read2_b64 v[204:207], v202 offset0:44 offset1:45
	v_add_f64 v[136:137], v[136:137], -v[144:145]
	;; [unrolled: 8-line block ×36, first 2 shown]
	s_waitcnt lgkmcnt(0)
	v_mul_f64 v[144:145], v[206:207], v[146:147]
	v_fma_f64 v[144:145], v[204:205], v[208:209], -v[144:145]
	v_mul_f64 v[204:205], v[204:205], v[146:147]
	v_fmac_f64_e32 v[204:205], v[206:207], v[208:209]
	v_add_f64 v[224:225], v[224:225], -v[144:145]
	v_add_f64 v[226:227], v[226:227], -v[204:205]
	v_mov_b64_e32 v[144:145], v[208:209]
.LBB113_181:
	s_or_b64 exec, exec, s[2:3]
	v_cmp_eq_u32_e32 vcc, 20, v200
	s_waitcnt vmcnt(63) expcnt(7) lgkmcnt(15)
	s_barrier
	s_and_saveexec_b64 s[4:5], vcc
	s_cbranch_execz .LBB113_188
; %bb.182:
	ds_write2_b64 v201, v[140:141], v[142:143] offset1:1
	ds_write2_b64 v202, v[136:137], v[138:139] offset0:42 offset1:43
	ds_write2_b64 v202, v[132:133], v[134:135] offset0:44 offset1:45
	;; [unrolled: 1-line block ×19, first 2 shown]
	s_waitcnt vmcnt(50)
	ds_write2_b64 v202, v[60:61], v[62:63] offset0:80 offset1:81
	s_waitcnt vmcnt(49)
	ds_write2_b64 v202, v[56:57], v[58:59] offset0:82 offset1:83
	;; [unrolled: 2-line block ×11, first 2 shown]
	ds_write2_b64 v202, v[16:17], v[18:19] offset0:102 offset1:103
	ds_write2_b64 v202, v[12:13], v[14:15] offset0:104 offset1:105
	;; [unrolled: 1-line block ×4, first 2 shown]
	s_waitcnt vmcnt(39)
	ds_write2_b64 v202, v[0:1], v[2:3] offset0:110 offset1:111
	s_waitcnt vmcnt(36)
	ds_write2_b64 v202, v[224:225], v[226:227] offset0:112 offset1:113
	ds_read2_b64 v[208:211], v201 offset1:1
	s_waitcnt lgkmcnt(0)
	v_cmp_neq_f64_e32 vcc, 0, v[208:209]
	v_cmp_neq_f64_e64 s[2:3], 0, v[210:211]
	s_or_b64 s[2:3], vcc, s[2:3]
	s_and_b64 exec, exec, s[2:3]
	s_cbranch_execz .LBB113_188
; %bb.183:
	v_cmp_ngt_f64_e64 s[2:3], |v[208:209]|, |v[210:211]|
                                        ; implicit-def: $vgpr204_vgpr205
	s_and_saveexec_b64 s[10:11], s[2:3]
	s_xor_b64 s[2:3], exec, s[10:11]
                                        ; implicit-def: $vgpr206_vgpr207
	s_cbranch_execz .LBB113_185
; %bb.184:
	v_div_scale_f64 v[204:205], s[10:11], v[210:211], v[210:211], v[208:209]
	v_rcp_f64_e32 v[206:207], v[204:205]
	v_div_scale_f64 v[212:213], vcc, v[208:209], v[210:211], v[208:209]
	v_fma_f64 v[214:215], -v[204:205], v[206:207], 1.0
	v_fmac_f64_e32 v[206:207], v[206:207], v[214:215]
	v_fma_f64 v[214:215], -v[204:205], v[206:207], 1.0
	v_fmac_f64_e32 v[206:207], v[206:207], v[214:215]
	v_mul_f64 v[214:215], v[212:213], v[206:207]
	v_fma_f64 v[204:205], -v[204:205], v[214:215], v[212:213]
	v_div_fmas_f64 v[204:205], v[204:205], v[206:207], v[214:215]
	v_div_fixup_f64 v[204:205], v[204:205], v[210:211], v[208:209]
	v_fmac_f64_e32 v[210:211], v[208:209], v[204:205]
	v_div_scale_f64 v[206:207], s[10:11], v[210:211], v[210:211], 1.0
	v_rcp_f64_e32 v[208:209], v[206:207]
	s_nop 0
	v_fma_f64 v[212:213], -v[206:207], v[208:209], 1.0
	v_fmac_f64_e32 v[208:209], v[208:209], v[212:213]
	v_fma_f64 v[212:213], -v[206:207], v[208:209], 1.0
	v_fmac_f64_e32 v[208:209], v[208:209], v[212:213]
	v_div_scale_f64 v[212:213], vcc, 1.0, v[210:211], 1.0
	v_mul_f64 v[214:215], v[212:213], v[208:209]
	v_fma_f64 v[206:207], -v[206:207], v[214:215], v[212:213]
	s_nop 1
	v_div_fmas_f64 v[206:207], v[206:207], v[208:209], v[214:215]
	v_div_fixup_f64 v[206:207], v[206:207], v[210:211], 1.0
	v_mul_f64 v[204:205], v[204:205], v[206:207]
	v_xor_b32_e32 v207, 0x80000000, v207
                                        ; implicit-def: $vgpr208_vgpr209
.LBB113_185:
	s_andn2_saveexec_b64 s[2:3], s[2:3]
	s_cbranch_execz .LBB113_187
; %bb.186:
	v_div_scale_f64 v[204:205], s[10:11], v[208:209], v[208:209], v[210:211]
	v_rcp_f64_e32 v[206:207], v[204:205]
	v_div_scale_f64 v[212:213], vcc, v[210:211], v[208:209], v[210:211]
	v_fma_f64 v[214:215], -v[204:205], v[206:207], 1.0
	v_fmac_f64_e32 v[206:207], v[206:207], v[214:215]
	v_fma_f64 v[214:215], -v[204:205], v[206:207], 1.0
	v_fmac_f64_e32 v[206:207], v[206:207], v[214:215]
	v_mul_f64 v[214:215], v[212:213], v[206:207]
	v_fma_f64 v[204:205], -v[204:205], v[214:215], v[212:213]
	v_div_fmas_f64 v[204:205], v[204:205], v[206:207], v[214:215]
	v_div_fixup_f64 v[206:207], v[204:205], v[208:209], v[210:211]
	v_fmac_f64_e32 v[208:209], v[210:211], v[206:207]
	v_div_scale_f64 v[204:205], s[10:11], v[208:209], v[208:209], 1.0
	v_rcp_f64_e32 v[210:211], v[204:205]
	s_nop 0
	v_fma_f64 v[212:213], -v[204:205], v[210:211], 1.0
	v_fmac_f64_e32 v[210:211], v[210:211], v[212:213]
	v_fma_f64 v[212:213], -v[204:205], v[210:211], 1.0
	v_fmac_f64_e32 v[210:211], v[210:211], v[212:213]
	v_div_scale_f64 v[212:213], vcc, 1.0, v[208:209], 1.0
	v_mul_f64 v[214:215], v[212:213], v[210:211]
	v_fma_f64 v[204:205], -v[204:205], v[214:215], v[212:213]
	s_nop 1
	v_div_fmas_f64 v[204:205], v[204:205], v[210:211], v[214:215]
	v_div_fixup_f64 v[204:205], v[204:205], v[208:209], 1.0
	v_mul_f64 v[206:207], v[206:207], -v[204:205]
.LBB113_187:
	s_or_b64 exec, exec, s[2:3]
	ds_write2_b64 v201, v[204:205], v[206:207] offset1:1
.LBB113_188:
	s_or_b64 exec, exec, s[4:5]
	s_waitcnt lgkmcnt(0)
	s_barrier
	ds_read2_b64 v[192:195], v201 offset1:1
	v_cmp_lt_u32_e32 vcc, 20, v200
	s_waitcnt lgkmcnt(0)
	scratch_store_dwordx4 off, v[192:195], off offset:888 ; 16-byte Folded Spill
	s_and_saveexec_b64 s[2:3], vcc
	s_cbranch_execz .LBB113_190
; %bb.189:
	scratch_load_dwordx4 v[192:195], off, off offset:888 ; 16-byte Folded Reload
	s_waitcnt vmcnt(0)
	v_mul_f64 v[204:205], v[194:195], v[142:143]
	v_fma_f64 v[208:209], v[192:193], v[140:141], -v[204:205]
	ds_read2_b64 v[204:207], v202 offset0:42 offset1:43
	v_mul_f64 v[142:143], v[192:193], v[142:143]
	v_fmac_f64_e32 v[142:143], v[194:195], v[140:141]
	s_waitcnt lgkmcnt(0)
	v_mul_f64 v[140:141], v[206:207], v[142:143]
	v_fma_f64 v[140:141], v[204:205], v[208:209], -v[140:141]
	v_mul_f64 v[204:205], v[204:205], v[142:143]
	v_fmac_f64_e32 v[204:205], v[206:207], v[208:209]
	v_add_f64 v[138:139], v[138:139], -v[204:205]
	ds_read2_b64 v[204:207], v202 offset0:44 offset1:45
	v_add_f64 v[136:137], v[136:137], -v[140:141]
	s_waitcnt lgkmcnt(0)
	v_mul_f64 v[140:141], v[206:207], v[142:143]
	v_fma_f64 v[140:141], v[204:205], v[208:209], -v[140:141]
	v_mul_f64 v[204:205], v[204:205], v[142:143]
	v_fmac_f64_e32 v[204:205], v[206:207], v[208:209]
	v_add_f64 v[134:135], v[134:135], -v[204:205]
	ds_read2_b64 v[204:207], v202 offset0:46 offset1:47
	v_add_f64 v[132:133], v[132:133], -v[140:141]
	;; [unrolled: 8-line block ×35, first 2 shown]
	s_waitcnt lgkmcnt(0)
	v_mul_f64 v[140:141], v[206:207], v[142:143]
	v_fma_f64 v[140:141], v[204:205], v[208:209], -v[140:141]
	v_mul_f64 v[204:205], v[204:205], v[142:143]
	v_fmac_f64_e32 v[204:205], v[206:207], v[208:209]
	v_add_f64 v[224:225], v[224:225], -v[140:141]
	v_add_f64 v[226:227], v[226:227], -v[204:205]
	v_mov_b64_e32 v[140:141], v[208:209]
.LBB113_190:
	s_or_b64 exec, exec, s[2:3]
	v_cmp_eq_u32_e32 vcc, 21, v200
	s_waitcnt vmcnt(63) expcnt(7) lgkmcnt(15)
	s_barrier
	s_and_saveexec_b64 s[4:5], vcc
	s_cbranch_execz .LBB113_197
; %bb.191:
	ds_write2_b64 v201, v[136:137], v[138:139] offset1:1
	ds_write2_b64 v202, v[132:133], v[134:135] offset0:44 offset1:45
	ds_write2_b64 v202, v[128:129], v[130:131] offset0:46 offset1:47
	;; [unrolled: 1-line block ×18, first 2 shown]
	s_waitcnt vmcnt(51)
	ds_write2_b64 v202, v[60:61], v[62:63] offset0:80 offset1:81
	s_waitcnt vmcnt(50)
	ds_write2_b64 v202, v[56:57], v[58:59] offset0:82 offset1:83
	s_waitcnt vmcnt(49)
	ds_write2_b64 v202, v[52:53], v[54:55] offset0:84 offset1:85
	s_waitcnt vmcnt(48)
	ds_write2_b64 v202, v[48:49], v[50:51] offset0:86 offset1:87
	s_waitcnt vmcnt(47)
	ds_write2_b64 v202, v[44:45], v[46:47] offset0:88 offset1:89
	s_waitcnt vmcnt(46)
	ds_write2_b64 v202, v[40:41], v[42:43] offset0:90 offset1:91
	s_waitcnt vmcnt(45)
	ds_write2_b64 v202, v[36:37], v[38:39] offset0:92 offset1:93
	s_waitcnt vmcnt(44)
	ds_write2_b64 v202, v[32:33], v[34:35] offset0:94 offset1:95
	s_waitcnt vmcnt(43)
	ds_write2_b64 v202, v[28:29], v[30:31] offset0:96 offset1:97
	s_waitcnt vmcnt(42)
	ds_write2_b64 v202, v[24:25], v[26:27] offset0:98 offset1:99
	s_waitcnt vmcnt(41)
	ds_write2_b64 v202, v[20:21], v[22:23] offset0:100 offset1:101
	ds_write2_b64 v202, v[16:17], v[18:19] offset0:102 offset1:103
	ds_write2_b64 v202, v[12:13], v[14:15] offset0:104 offset1:105
	ds_write2_b64 v202, v[8:9], v[10:11] offset0:106 offset1:107
	ds_write2_b64 v202, v[4:5], v[6:7] offset0:108 offset1:109
	s_waitcnt vmcnt(40)
	ds_write2_b64 v202, v[0:1], v[2:3] offset0:110 offset1:111
	s_waitcnt vmcnt(37)
	ds_write2_b64 v202, v[224:225], v[226:227] offset0:112 offset1:113
	ds_read2_b64 v[208:211], v201 offset1:1
	s_waitcnt lgkmcnt(0)
	v_cmp_neq_f64_e32 vcc, 0, v[208:209]
	v_cmp_neq_f64_e64 s[2:3], 0, v[210:211]
	s_or_b64 s[2:3], vcc, s[2:3]
	s_and_b64 exec, exec, s[2:3]
	s_cbranch_execz .LBB113_197
; %bb.192:
	v_cmp_ngt_f64_e64 s[2:3], |v[208:209]|, |v[210:211]|
                                        ; implicit-def: $vgpr204_vgpr205
	s_and_saveexec_b64 s[10:11], s[2:3]
	s_xor_b64 s[2:3], exec, s[10:11]
                                        ; implicit-def: $vgpr206_vgpr207
	s_cbranch_execz .LBB113_194
; %bb.193:
	v_div_scale_f64 v[204:205], s[10:11], v[210:211], v[210:211], v[208:209]
	v_rcp_f64_e32 v[206:207], v[204:205]
	v_div_scale_f64 v[212:213], vcc, v[208:209], v[210:211], v[208:209]
	v_fma_f64 v[214:215], -v[204:205], v[206:207], 1.0
	v_fmac_f64_e32 v[206:207], v[206:207], v[214:215]
	v_fma_f64 v[214:215], -v[204:205], v[206:207], 1.0
	v_fmac_f64_e32 v[206:207], v[206:207], v[214:215]
	v_mul_f64 v[214:215], v[212:213], v[206:207]
	v_fma_f64 v[204:205], -v[204:205], v[214:215], v[212:213]
	v_div_fmas_f64 v[204:205], v[204:205], v[206:207], v[214:215]
	v_div_fixup_f64 v[204:205], v[204:205], v[210:211], v[208:209]
	v_fmac_f64_e32 v[210:211], v[208:209], v[204:205]
	v_div_scale_f64 v[206:207], s[10:11], v[210:211], v[210:211], 1.0
	v_rcp_f64_e32 v[208:209], v[206:207]
	s_nop 0
	v_fma_f64 v[212:213], -v[206:207], v[208:209], 1.0
	v_fmac_f64_e32 v[208:209], v[208:209], v[212:213]
	v_fma_f64 v[212:213], -v[206:207], v[208:209], 1.0
	v_fmac_f64_e32 v[208:209], v[208:209], v[212:213]
	v_div_scale_f64 v[212:213], vcc, 1.0, v[210:211], 1.0
	v_mul_f64 v[214:215], v[212:213], v[208:209]
	v_fma_f64 v[206:207], -v[206:207], v[214:215], v[212:213]
	s_nop 1
	v_div_fmas_f64 v[206:207], v[206:207], v[208:209], v[214:215]
	v_div_fixup_f64 v[206:207], v[206:207], v[210:211], 1.0
	v_mul_f64 v[204:205], v[204:205], v[206:207]
	v_xor_b32_e32 v207, 0x80000000, v207
                                        ; implicit-def: $vgpr208_vgpr209
.LBB113_194:
	s_andn2_saveexec_b64 s[2:3], s[2:3]
	s_cbranch_execz .LBB113_196
; %bb.195:
	v_div_scale_f64 v[204:205], s[10:11], v[208:209], v[208:209], v[210:211]
	v_rcp_f64_e32 v[206:207], v[204:205]
	v_div_scale_f64 v[212:213], vcc, v[210:211], v[208:209], v[210:211]
	v_fma_f64 v[214:215], -v[204:205], v[206:207], 1.0
	v_fmac_f64_e32 v[206:207], v[206:207], v[214:215]
	v_fma_f64 v[214:215], -v[204:205], v[206:207], 1.0
	v_fmac_f64_e32 v[206:207], v[206:207], v[214:215]
	v_mul_f64 v[214:215], v[212:213], v[206:207]
	v_fma_f64 v[204:205], -v[204:205], v[214:215], v[212:213]
	v_div_fmas_f64 v[204:205], v[204:205], v[206:207], v[214:215]
	v_div_fixup_f64 v[206:207], v[204:205], v[208:209], v[210:211]
	v_fmac_f64_e32 v[208:209], v[210:211], v[206:207]
	v_div_scale_f64 v[204:205], s[10:11], v[208:209], v[208:209], 1.0
	v_rcp_f64_e32 v[210:211], v[204:205]
	s_nop 0
	v_fma_f64 v[212:213], -v[204:205], v[210:211], 1.0
	v_fmac_f64_e32 v[210:211], v[210:211], v[212:213]
	v_fma_f64 v[212:213], -v[204:205], v[210:211], 1.0
	v_fmac_f64_e32 v[210:211], v[210:211], v[212:213]
	v_div_scale_f64 v[212:213], vcc, 1.0, v[208:209], 1.0
	v_mul_f64 v[214:215], v[212:213], v[210:211]
	v_fma_f64 v[204:205], -v[204:205], v[214:215], v[212:213]
	s_nop 1
	v_div_fmas_f64 v[204:205], v[204:205], v[210:211], v[214:215]
	v_div_fixup_f64 v[204:205], v[204:205], v[208:209], 1.0
	v_mul_f64 v[206:207], v[206:207], -v[204:205]
.LBB113_196:
	s_or_b64 exec, exec, s[2:3]
	ds_write2_b64 v201, v[204:205], v[206:207] offset1:1
.LBB113_197:
	s_or_b64 exec, exec, s[4:5]
	s_waitcnt lgkmcnt(0)
	s_barrier
	ds_read2_b64 v[192:195], v201 offset1:1
	v_cmp_lt_u32_e32 vcc, 21, v200
	s_waitcnt lgkmcnt(0)
	scratch_store_dwordx4 off, v[192:195], off offset:904 ; 16-byte Folded Spill
	s_and_saveexec_b64 s[2:3], vcc
	s_cbranch_execz .LBB113_199
; %bb.198:
	scratch_load_dwordx4 v[192:195], off, off offset:904 ; 16-byte Folded Reload
	s_waitcnt vmcnt(0)
	v_mul_f64 v[204:205], v[194:195], v[138:139]
	v_fma_f64 v[208:209], v[192:193], v[136:137], -v[204:205]
	ds_read2_b64 v[204:207], v202 offset0:44 offset1:45
	v_mul_f64 v[138:139], v[192:193], v[138:139]
	v_fmac_f64_e32 v[138:139], v[194:195], v[136:137]
	s_waitcnt lgkmcnt(0)
	v_mul_f64 v[136:137], v[206:207], v[138:139]
	v_fma_f64 v[136:137], v[204:205], v[208:209], -v[136:137]
	v_mul_f64 v[204:205], v[204:205], v[138:139]
	v_fmac_f64_e32 v[204:205], v[206:207], v[208:209]
	v_add_f64 v[134:135], v[134:135], -v[204:205]
	ds_read2_b64 v[204:207], v202 offset0:46 offset1:47
	v_add_f64 v[132:133], v[132:133], -v[136:137]
	s_waitcnt lgkmcnt(0)
	v_mul_f64 v[136:137], v[206:207], v[138:139]
	v_fma_f64 v[136:137], v[204:205], v[208:209], -v[136:137]
	v_mul_f64 v[204:205], v[204:205], v[138:139]
	v_fmac_f64_e32 v[204:205], v[206:207], v[208:209]
	v_add_f64 v[130:131], v[130:131], -v[204:205]
	ds_read2_b64 v[204:207], v202 offset0:48 offset1:49
	v_add_f64 v[128:129], v[128:129], -v[136:137]
	s_waitcnt lgkmcnt(0)
	v_mul_f64 v[136:137], v[206:207], v[138:139]
	v_fma_f64 v[136:137], v[204:205], v[208:209], -v[136:137]
	v_mul_f64 v[204:205], v[204:205], v[138:139]
	v_fmac_f64_e32 v[204:205], v[206:207], v[208:209]
	v_add_f64 v[126:127], v[126:127], -v[204:205]
	ds_read2_b64 v[204:207], v202 offset0:50 offset1:51
	v_add_f64 v[124:125], v[124:125], -v[136:137]
	s_waitcnt lgkmcnt(0)
	v_mul_f64 v[136:137], v[206:207], v[138:139]
	v_fma_f64 v[136:137], v[204:205], v[208:209], -v[136:137]
	v_mul_f64 v[204:205], v[204:205], v[138:139]
	v_fmac_f64_e32 v[204:205], v[206:207], v[208:209]
	v_add_f64 v[122:123], v[122:123], -v[204:205]
	ds_read2_b64 v[204:207], v202 offset0:52 offset1:53
	v_add_f64 v[120:121], v[120:121], -v[136:137]
	s_waitcnt lgkmcnt(0)
	v_mul_f64 v[136:137], v[206:207], v[138:139]
	v_fma_f64 v[136:137], v[204:205], v[208:209], -v[136:137]
	v_mul_f64 v[204:205], v[204:205], v[138:139]
	v_fmac_f64_e32 v[204:205], v[206:207], v[208:209]
	v_add_f64 v[118:119], v[118:119], -v[204:205]
	ds_read2_b64 v[204:207], v202 offset0:54 offset1:55
	v_add_f64 v[116:117], v[116:117], -v[136:137]
	s_waitcnt lgkmcnt(0)
	v_mul_f64 v[136:137], v[206:207], v[138:139]
	v_fma_f64 v[136:137], v[204:205], v[208:209], -v[136:137]
	v_mul_f64 v[204:205], v[204:205], v[138:139]
	v_fmac_f64_e32 v[204:205], v[206:207], v[208:209]
	v_add_f64 v[114:115], v[114:115], -v[204:205]
	ds_read2_b64 v[204:207], v202 offset0:56 offset1:57
	v_add_f64 v[112:113], v[112:113], -v[136:137]
	s_waitcnt lgkmcnt(0)
	v_mul_f64 v[136:137], v[206:207], v[138:139]
	v_fma_f64 v[136:137], v[204:205], v[208:209], -v[136:137]
	v_mul_f64 v[204:205], v[204:205], v[138:139]
	v_fmac_f64_e32 v[204:205], v[206:207], v[208:209]
	v_add_f64 v[110:111], v[110:111], -v[204:205]
	ds_read2_b64 v[204:207], v202 offset0:58 offset1:59
	v_add_f64 v[108:109], v[108:109], -v[136:137]
	s_waitcnt lgkmcnt(0)
	v_mul_f64 v[136:137], v[206:207], v[138:139]
	v_fma_f64 v[136:137], v[204:205], v[208:209], -v[136:137]
	v_mul_f64 v[204:205], v[204:205], v[138:139]
	v_fmac_f64_e32 v[204:205], v[206:207], v[208:209]
	v_add_f64 v[106:107], v[106:107], -v[204:205]
	ds_read2_b64 v[204:207], v202 offset0:60 offset1:61
	v_add_f64 v[104:105], v[104:105], -v[136:137]
	s_waitcnt lgkmcnt(0)
	v_mul_f64 v[136:137], v[206:207], v[138:139]
	v_fma_f64 v[136:137], v[204:205], v[208:209], -v[136:137]
	v_mul_f64 v[204:205], v[204:205], v[138:139]
	v_fmac_f64_e32 v[204:205], v[206:207], v[208:209]
	v_add_f64 v[102:103], v[102:103], -v[204:205]
	ds_read2_b64 v[204:207], v202 offset0:62 offset1:63
	v_add_f64 v[100:101], v[100:101], -v[136:137]
	s_waitcnt lgkmcnt(0)
	v_mul_f64 v[136:137], v[206:207], v[138:139]
	v_fma_f64 v[136:137], v[204:205], v[208:209], -v[136:137]
	v_mul_f64 v[204:205], v[204:205], v[138:139]
	v_fmac_f64_e32 v[204:205], v[206:207], v[208:209]
	v_add_f64 v[98:99], v[98:99], -v[204:205]
	ds_read2_b64 v[204:207], v202 offset0:64 offset1:65
	v_add_f64 v[96:97], v[96:97], -v[136:137]
	s_waitcnt lgkmcnt(0)
	v_mul_f64 v[136:137], v[206:207], v[138:139]
	v_fma_f64 v[136:137], v[204:205], v[208:209], -v[136:137]
	v_mul_f64 v[204:205], v[204:205], v[138:139]
	v_fmac_f64_e32 v[204:205], v[206:207], v[208:209]
	v_add_f64 v[94:95], v[94:95], -v[204:205]
	ds_read2_b64 v[204:207], v202 offset0:66 offset1:67
	v_add_f64 v[92:93], v[92:93], -v[136:137]
	s_waitcnt lgkmcnt(0)
	v_mul_f64 v[136:137], v[206:207], v[138:139]
	v_fma_f64 v[136:137], v[204:205], v[208:209], -v[136:137]
	v_mul_f64 v[204:205], v[204:205], v[138:139]
	v_fmac_f64_e32 v[204:205], v[206:207], v[208:209]
	v_add_f64 v[90:91], v[90:91], -v[204:205]
	ds_read2_b64 v[204:207], v202 offset0:68 offset1:69
	v_add_f64 v[88:89], v[88:89], -v[136:137]
	s_waitcnt lgkmcnt(0)
	v_mul_f64 v[136:137], v[206:207], v[138:139]
	v_fma_f64 v[136:137], v[204:205], v[208:209], -v[136:137]
	v_mul_f64 v[204:205], v[204:205], v[138:139]
	v_fmac_f64_e32 v[204:205], v[206:207], v[208:209]
	v_add_f64 v[86:87], v[86:87], -v[204:205]
	ds_read2_b64 v[204:207], v202 offset0:70 offset1:71
	v_add_f64 v[84:85], v[84:85], -v[136:137]
	s_waitcnt lgkmcnt(0)
	v_mul_f64 v[136:137], v[206:207], v[138:139]
	v_fma_f64 v[136:137], v[204:205], v[208:209], -v[136:137]
	v_mul_f64 v[204:205], v[204:205], v[138:139]
	v_fmac_f64_e32 v[204:205], v[206:207], v[208:209]
	v_add_f64 v[82:83], v[82:83], -v[204:205]
	ds_read2_b64 v[204:207], v202 offset0:72 offset1:73
	v_add_f64 v[80:81], v[80:81], -v[136:137]
	s_waitcnt lgkmcnt(0)
	v_mul_f64 v[136:137], v[206:207], v[138:139]
	v_fma_f64 v[136:137], v[204:205], v[208:209], -v[136:137]
	v_mul_f64 v[204:205], v[204:205], v[138:139]
	v_fmac_f64_e32 v[204:205], v[206:207], v[208:209]
	v_add_f64 v[78:79], v[78:79], -v[204:205]
	ds_read2_b64 v[204:207], v202 offset0:74 offset1:75
	v_add_f64 v[76:77], v[76:77], -v[136:137]
	s_waitcnt lgkmcnt(0)
	v_mul_f64 v[136:137], v[206:207], v[138:139]
	v_fma_f64 v[136:137], v[204:205], v[208:209], -v[136:137]
	v_mul_f64 v[204:205], v[204:205], v[138:139]
	v_fmac_f64_e32 v[204:205], v[206:207], v[208:209]
	v_add_f64 v[74:75], v[74:75], -v[204:205]
	ds_read2_b64 v[204:207], v202 offset0:76 offset1:77
	v_add_f64 v[72:73], v[72:73], -v[136:137]
	s_waitcnt lgkmcnt(0)
	v_mul_f64 v[136:137], v[206:207], v[138:139]
	v_fma_f64 v[136:137], v[204:205], v[208:209], -v[136:137]
	v_mul_f64 v[204:205], v[204:205], v[138:139]
	v_fmac_f64_e32 v[204:205], v[206:207], v[208:209]
	v_add_f64 v[70:71], v[70:71], -v[204:205]
	ds_read2_b64 v[204:207], v202 offset0:78 offset1:79
	v_add_f64 v[68:69], v[68:69], -v[136:137]
	s_waitcnt lgkmcnt(0)
	v_mul_f64 v[136:137], v[206:207], v[138:139]
	v_fma_f64 v[136:137], v[204:205], v[208:209], -v[136:137]
	v_mul_f64 v[204:205], v[204:205], v[138:139]
	v_fmac_f64_e32 v[204:205], v[206:207], v[208:209]
	v_add_f64 v[66:67], v[66:67], -v[204:205]
	ds_read2_b64 v[204:207], v202 offset0:80 offset1:81
	v_add_f64 v[64:65], v[64:65], -v[136:137]
	s_waitcnt lgkmcnt(0)
	v_mul_f64 v[136:137], v[206:207], v[138:139]
	v_fma_f64 v[136:137], v[204:205], v[208:209], -v[136:137]
	v_mul_f64 v[204:205], v[204:205], v[138:139]
	v_fmac_f64_e32 v[204:205], v[206:207], v[208:209]
	v_add_f64 v[62:63], v[62:63], -v[204:205]
	ds_read2_b64 v[204:207], v202 offset0:82 offset1:83
	v_add_f64 v[60:61], v[60:61], -v[136:137]
	s_waitcnt lgkmcnt(0)
	v_mul_f64 v[136:137], v[206:207], v[138:139]
	v_fma_f64 v[136:137], v[204:205], v[208:209], -v[136:137]
	v_mul_f64 v[204:205], v[204:205], v[138:139]
	v_fmac_f64_e32 v[204:205], v[206:207], v[208:209]
	v_add_f64 v[58:59], v[58:59], -v[204:205]
	ds_read2_b64 v[204:207], v202 offset0:84 offset1:85
	v_add_f64 v[56:57], v[56:57], -v[136:137]
	s_waitcnt lgkmcnt(0)
	v_mul_f64 v[136:137], v[206:207], v[138:139]
	v_fma_f64 v[136:137], v[204:205], v[208:209], -v[136:137]
	v_mul_f64 v[204:205], v[204:205], v[138:139]
	v_fmac_f64_e32 v[204:205], v[206:207], v[208:209]
	v_add_f64 v[54:55], v[54:55], -v[204:205]
	ds_read2_b64 v[204:207], v202 offset0:86 offset1:87
	v_add_f64 v[52:53], v[52:53], -v[136:137]
	s_waitcnt lgkmcnt(0)
	v_mul_f64 v[136:137], v[206:207], v[138:139]
	v_fma_f64 v[136:137], v[204:205], v[208:209], -v[136:137]
	v_mul_f64 v[204:205], v[204:205], v[138:139]
	v_fmac_f64_e32 v[204:205], v[206:207], v[208:209]
	v_add_f64 v[50:51], v[50:51], -v[204:205]
	ds_read2_b64 v[204:207], v202 offset0:88 offset1:89
	v_add_f64 v[48:49], v[48:49], -v[136:137]
	s_waitcnt lgkmcnt(0)
	v_mul_f64 v[136:137], v[206:207], v[138:139]
	v_fma_f64 v[136:137], v[204:205], v[208:209], -v[136:137]
	v_mul_f64 v[204:205], v[204:205], v[138:139]
	v_fmac_f64_e32 v[204:205], v[206:207], v[208:209]
	v_add_f64 v[46:47], v[46:47], -v[204:205]
	ds_read2_b64 v[204:207], v202 offset0:90 offset1:91
	v_add_f64 v[44:45], v[44:45], -v[136:137]
	s_waitcnt lgkmcnt(0)
	v_mul_f64 v[136:137], v[206:207], v[138:139]
	v_fma_f64 v[136:137], v[204:205], v[208:209], -v[136:137]
	v_mul_f64 v[204:205], v[204:205], v[138:139]
	v_fmac_f64_e32 v[204:205], v[206:207], v[208:209]
	v_add_f64 v[42:43], v[42:43], -v[204:205]
	ds_read2_b64 v[204:207], v202 offset0:92 offset1:93
	v_add_f64 v[40:41], v[40:41], -v[136:137]
	s_waitcnt lgkmcnt(0)
	v_mul_f64 v[136:137], v[206:207], v[138:139]
	v_fma_f64 v[136:137], v[204:205], v[208:209], -v[136:137]
	v_mul_f64 v[204:205], v[204:205], v[138:139]
	v_fmac_f64_e32 v[204:205], v[206:207], v[208:209]
	v_add_f64 v[38:39], v[38:39], -v[204:205]
	ds_read2_b64 v[204:207], v202 offset0:94 offset1:95
	v_add_f64 v[36:37], v[36:37], -v[136:137]
	s_waitcnt lgkmcnt(0)
	v_mul_f64 v[136:137], v[206:207], v[138:139]
	v_fma_f64 v[136:137], v[204:205], v[208:209], -v[136:137]
	v_mul_f64 v[204:205], v[204:205], v[138:139]
	v_fmac_f64_e32 v[204:205], v[206:207], v[208:209]
	v_add_f64 v[34:35], v[34:35], -v[204:205]
	ds_read2_b64 v[204:207], v202 offset0:96 offset1:97
	v_add_f64 v[32:33], v[32:33], -v[136:137]
	s_waitcnt lgkmcnt(0)
	v_mul_f64 v[136:137], v[206:207], v[138:139]
	v_fma_f64 v[136:137], v[204:205], v[208:209], -v[136:137]
	v_mul_f64 v[204:205], v[204:205], v[138:139]
	v_fmac_f64_e32 v[204:205], v[206:207], v[208:209]
	v_add_f64 v[30:31], v[30:31], -v[204:205]
	ds_read2_b64 v[204:207], v202 offset0:98 offset1:99
	v_add_f64 v[28:29], v[28:29], -v[136:137]
	s_waitcnt lgkmcnt(0)
	v_mul_f64 v[136:137], v[206:207], v[138:139]
	v_fma_f64 v[136:137], v[204:205], v[208:209], -v[136:137]
	v_mul_f64 v[204:205], v[204:205], v[138:139]
	v_fmac_f64_e32 v[204:205], v[206:207], v[208:209]
	v_add_f64 v[26:27], v[26:27], -v[204:205]
	ds_read2_b64 v[204:207], v202 offset0:100 offset1:101
	v_add_f64 v[24:25], v[24:25], -v[136:137]
	s_waitcnt lgkmcnt(0)
	v_mul_f64 v[136:137], v[206:207], v[138:139]
	v_fma_f64 v[136:137], v[204:205], v[208:209], -v[136:137]
	v_mul_f64 v[204:205], v[204:205], v[138:139]
	v_fmac_f64_e32 v[204:205], v[206:207], v[208:209]
	v_add_f64 v[22:23], v[22:23], -v[204:205]
	ds_read2_b64 v[204:207], v202 offset0:102 offset1:103
	v_add_f64 v[20:21], v[20:21], -v[136:137]
	s_waitcnt lgkmcnt(0)
	v_mul_f64 v[136:137], v[206:207], v[138:139]
	v_fma_f64 v[136:137], v[204:205], v[208:209], -v[136:137]
	v_mul_f64 v[204:205], v[204:205], v[138:139]
	v_fmac_f64_e32 v[204:205], v[206:207], v[208:209]
	v_add_f64 v[18:19], v[18:19], -v[204:205]
	ds_read2_b64 v[204:207], v202 offset0:104 offset1:105
	v_add_f64 v[16:17], v[16:17], -v[136:137]
	s_waitcnt lgkmcnt(0)
	v_mul_f64 v[136:137], v[206:207], v[138:139]
	v_fma_f64 v[136:137], v[204:205], v[208:209], -v[136:137]
	v_mul_f64 v[204:205], v[204:205], v[138:139]
	v_fmac_f64_e32 v[204:205], v[206:207], v[208:209]
	v_add_f64 v[14:15], v[14:15], -v[204:205]
	ds_read2_b64 v[204:207], v202 offset0:106 offset1:107
	v_add_f64 v[12:13], v[12:13], -v[136:137]
	s_waitcnt lgkmcnt(0)
	v_mul_f64 v[136:137], v[206:207], v[138:139]
	v_fma_f64 v[136:137], v[204:205], v[208:209], -v[136:137]
	v_mul_f64 v[204:205], v[204:205], v[138:139]
	v_fmac_f64_e32 v[204:205], v[206:207], v[208:209]
	v_add_f64 v[10:11], v[10:11], -v[204:205]
	ds_read2_b64 v[204:207], v202 offset0:108 offset1:109
	v_add_f64 v[8:9], v[8:9], -v[136:137]
	s_waitcnt lgkmcnt(0)
	v_mul_f64 v[136:137], v[206:207], v[138:139]
	v_fma_f64 v[136:137], v[204:205], v[208:209], -v[136:137]
	v_mul_f64 v[204:205], v[204:205], v[138:139]
	v_fmac_f64_e32 v[204:205], v[206:207], v[208:209]
	v_add_f64 v[6:7], v[6:7], -v[204:205]
	ds_read2_b64 v[204:207], v202 offset0:110 offset1:111
	v_add_f64 v[4:5], v[4:5], -v[136:137]
	s_waitcnt lgkmcnt(0)
	v_mul_f64 v[136:137], v[206:207], v[138:139]
	v_fma_f64 v[136:137], v[204:205], v[208:209], -v[136:137]
	v_mul_f64 v[204:205], v[204:205], v[138:139]
	v_fmac_f64_e32 v[204:205], v[206:207], v[208:209]
	v_add_f64 v[2:3], v[2:3], -v[204:205]
	ds_read2_b64 v[204:207], v202 offset0:112 offset1:113
	v_add_f64 v[0:1], v[0:1], -v[136:137]
	s_waitcnt lgkmcnt(0)
	v_mul_f64 v[136:137], v[206:207], v[138:139]
	v_fma_f64 v[136:137], v[204:205], v[208:209], -v[136:137]
	v_mul_f64 v[204:205], v[204:205], v[138:139]
	v_fmac_f64_e32 v[204:205], v[206:207], v[208:209]
	v_add_f64 v[224:225], v[224:225], -v[136:137]
	v_add_f64 v[226:227], v[226:227], -v[204:205]
	v_mov_b64_e32 v[136:137], v[208:209]
.LBB113_199:
	s_or_b64 exec, exec, s[2:3]
	v_cmp_eq_u32_e32 vcc, 22, v200
	s_waitcnt vmcnt(63) expcnt(7) lgkmcnt(15)
	s_barrier
	s_and_saveexec_b64 s[4:5], vcc
	s_cbranch_execz .LBB113_206
; %bb.200:
	ds_write2_b64 v201, v[132:133], v[134:135] offset1:1
	ds_write2_b64 v202, v[128:129], v[130:131] offset0:46 offset1:47
	ds_write2_b64 v202, v[124:125], v[126:127] offset0:48 offset1:49
	;; [unrolled: 1-line block ×17, first 2 shown]
	s_waitcnt vmcnt(52)
	ds_write2_b64 v202, v[60:61], v[62:63] offset0:80 offset1:81
	s_waitcnt vmcnt(51)
	ds_write2_b64 v202, v[56:57], v[58:59] offset0:82 offset1:83
	;; [unrolled: 2-line block ×11, first 2 shown]
	ds_write2_b64 v202, v[16:17], v[18:19] offset0:102 offset1:103
	ds_write2_b64 v202, v[12:13], v[14:15] offset0:104 offset1:105
	;; [unrolled: 1-line block ×4, first 2 shown]
	s_waitcnt vmcnt(41)
	ds_write2_b64 v202, v[0:1], v[2:3] offset0:110 offset1:111
	s_waitcnt vmcnt(38)
	ds_write2_b64 v202, v[224:225], v[226:227] offset0:112 offset1:113
	ds_read2_b64 v[208:211], v201 offset1:1
	s_waitcnt lgkmcnt(0)
	v_cmp_neq_f64_e32 vcc, 0, v[208:209]
	v_cmp_neq_f64_e64 s[2:3], 0, v[210:211]
	s_or_b64 s[2:3], vcc, s[2:3]
	s_and_b64 exec, exec, s[2:3]
	s_cbranch_execz .LBB113_206
; %bb.201:
	v_cmp_ngt_f64_e64 s[2:3], |v[208:209]|, |v[210:211]|
                                        ; implicit-def: $vgpr204_vgpr205
	s_and_saveexec_b64 s[10:11], s[2:3]
	s_xor_b64 s[2:3], exec, s[10:11]
                                        ; implicit-def: $vgpr206_vgpr207
	s_cbranch_execz .LBB113_203
; %bb.202:
	v_div_scale_f64 v[204:205], s[10:11], v[210:211], v[210:211], v[208:209]
	v_rcp_f64_e32 v[206:207], v[204:205]
	v_div_scale_f64 v[212:213], vcc, v[208:209], v[210:211], v[208:209]
	v_fma_f64 v[214:215], -v[204:205], v[206:207], 1.0
	v_fmac_f64_e32 v[206:207], v[206:207], v[214:215]
	v_fma_f64 v[214:215], -v[204:205], v[206:207], 1.0
	v_fmac_f64_e32 v[206:207], v[206:207], v[214:215]
	v_mul_f64 v[214:215], v[212:213], v[206:207]
	v_fma_f64 v[204:205], -v[204:205], v[214:215], v[212:213]
	v_div_fmas_f64 v[204:205], v[204:205], v[206:207], v[214:215]
	v_div_fixup_f64 v[204:205], v[204:205], v[210:211], v[208:209]
	v_fmac_f64_e32 v[210:211], v[208:209], v[204:205]
	v_div_scale_f64 v[206:207], s[10:11], v[210:211], v[210:211], 1.0
	v_rcp_f64_e32 v[208:209], v[206:207]
	s_nop 0
	v_fma_f64 v[212:213], -v[206:207], v[208:209], 1.0
	v_fmac_f64_e32 v[208:209], v[208:209], v[212:213]
	v_fma_f64 v[212:213], -v[206:207], v[208:209], 1.0
	v_fmac_f64_e32 v[208:209], v[208:209], v[212:213]
	v_div_scale_f64 v[212:213], vcc, 1.0, v[210:211], 1.0
	v_mul_f64 v[214:215], v[212:213], v[208:209]
	v_fma_f64 v[206:207], -v[206:207], v[214:215], v[212:213]
	s_nop 1
	v_div_fmas_f64 v[206:207], v[206:207], v[208:209], v[214:215]
	v_div_fixup_f64 v[206:207], v[206:207], v[210:211], 1.0
	v_mul_f64 v[204:205], v[204:205], v[206:207]
	v_xor_b32_e32 v207, 0x80000000, v207
                                        ; implicit-def: $vgpr208_vgpr209
.LBB113_203:
	s_andn2_saveexec_b64 s[2:3], s[2:3]
	s_cbranch_execz .LBB113_205
; %bb.204:
	v_div_scale_f64 v[204:205], s[10:11], v[208:209], v[208:209], v[210:211]
	v_rcp_f64_e32 v[206:207], v[204:205]
	v_div_scale_f64 v[212:213], vcc, v[210:211], v[208:209], v[210:211]
	v_fma_f64 v[214:215], -v[204:205], v[206:207], 1.0
	v_fmac_f64_e32 v[206:207], v[206:207], v[214:215]
	v_fma_f64 v[214:215], -v[204:205], v[206:207], 1.0
	v_fmac_f64_e32 v[206:207], v[206:207], v[214:215]
	v_mul_f64 v[214:215], v[212:213], v[206:207]
	v_fma_f64 v[204:205], -v[204:205], v[214:215], v[212:213]
	v_div_fmas_f64 v[204:205], v[204:205], v[206:207], v[214:215]
	v_div_fixup_f64 v[206:207], v[204:205], v[208:209], v[210:211]
	v_fmac_f64_e32 v[208:209], v[210:211], v[206:207]
	v_div_scale_f64 v[204:205], s[10:11], v[208:209], v[208:209], 1.0
	v_rcp_f64_e32 v[210:211], v[204:205]
	s_nop 0
	v_fma_f64 v[212:213], -v[204:205], v[210:211], 1.0
	v_fmac_f64_e32 v[210:211], v[210:211], v[212:213]
	v_fma_f64 v[212:213], -v[204:205], v[210:211], 1.0
	v_fmac_f64_e32 v[210:211], v[210:211], v[212:213]
	v_div_scale_f64 v[212:213], vcc, 1.0, v[208:209], 1.0
	v_mul_f64 v[214:215], v[212:213], v[210:211]
	v_fma_f64 v[204:205], -v[204:205], v[214:215], v[212:213]
	s_nop 1
	v_div_fmas_f64 v[204:205], v[204:205], v[210:211], v[214:215]
	v_div_fixup_f64 v[204:205], v[204:205], v[208:209], 1.0
	v_mul_f64 v[206:207], v[206:207], -v[204:205]
.LBB113_205:
	s_or_b64 exec, exec, s[2:3]
	ds_write2_b64 v201, v[204:205], v[206:207] offset1:1
.LBB113_206:
	s_or_b64 exec, exec, s[4:5]
	s_waitcnt lgkmcnt(0)
	s_barrier
	ds_read2_b64 v[192:195], v201 offset1:1
	v_cmp_lt_u32_e32 vcc, 22, v200
	s_waitcnt lgkmcnt(0)
	scratch_store_dwordx4 off, v[192:195], off offset:920 ; 16-byte Folded Spill
	s_and_saveexec_b64 s[2:3], vcc
	s_cbranch_execz .LBB113_208
; %bb.207:
	scratch_load_dwordx4 v[192:195], off, off offset:920 ; 16-byte Folded Reload
	s_waitcnt vmcnt(0)
	v_mul_f64 v[204:205], v[194:195], v[134:135]
	v_fma_f64 v[208:209], v[192:193], v[132:133], -v[204:205]
	ds_read2_b64 v[204:207], v202 offset0:46 offset1:47
	v_mul_f64 v[134:135], v[192:193], v[134:135]
	v_fmac_f64_e32 v[134:135], v[194:195], v[132:133]
	s_waitcnt lgkmcnt(0)
	v_mul_f64 v[132:133], v[206:207], v[134:135]
	v_fma_f64 v[132:133], v[204:205], v[208:209], -v[132:133]
	v_mul_f64 v[204:205], v[204:205], v[134:135]
	v_fmac_f64_e32 v[204:205], v[206:207], v[208:209]
	v_add_f64 v[130:131], v[130:131], -v[204:205]
	ds_read2_b64 v[204:207], v202 offset0:48 offset1:49
	v_add_f64 v[128:129], v[128:129], -v[132:133]
	s_waitcnt lgkmcnt(0)
	v_mul_f64 v[132:133], v[206:207], v[134:135]
	v_fma_f64 v[132:133], v[204:205], v[208:209], -v[132:133]
	v_mul_f64 v[204:205], v[204:205], v[134:135]
	v_fmac_f64_e32 v[204:205], v[206:207], v[208:209]
	v_add_f64 v[126:127], v[126:127], -v[204:205]
	ds_read2_b64 v[204:207], v202 offset0:50 offset1:51
	v_add_f64 v[124:125], v[124:125], -v[132:133]
	s_waitcnt lgkmcnt(0)
	v_mul_f64 v[132:133], v[206:207], v[134:135]
	v_fma_f64 v[132:133], v[204:205], v[208:209], -v[132:133]
	v_mul_f64 v[204:205], v[204:205], v[134:135]
	v_fmac_f64_e32 v[204:205], v[206:207], v[208:209]
	v_add_f64 v[122:123], v[122:123], -v[204:205]
	ds_read2_b64 v[204:207], v202 offset0:52 offset1:53
	v_add_f64 v[120:121], v[120:121], -v[132:133]
	s_waitcnt lgkmcnt(0)
	v_mul_f64 v[132:133], v[206:207], v[134:135]
	v_fma_f64 v[132:133], v[204:205], v[208:209], -v[132:133]
	v_mul_f64 v[204:205], v[204:205], v[134:135]
	v_fmac_f64_e32 v[204:205], v[206:207], v[208:209]
	v_add_f64 v[118:119], v[118:119], -v[204:205]
	ds_read2_b64 v[204:207], v202 offset0:54 offset1:55
	v_add_f64 v[116:117], v[116:117], -v[132:133]
	s_waitcnt lgkmcnt(0)
	v_mul_f64 v[132:133], v[206:207], v[134:135]
	v_fma_f64 v[132:133], v[204:205], v[208:209], -v[132:133]
	v_mul_f64 v[204:205], v[204:205], v[134:135]
	v_fmac_f64_e32 v[204:205], v[206:207], v[208:209]
	v_add_f64 v[114:115], v[114:115], -v[204:205]
	ds_read2_b64 v[204:207], v202 offset0:56 offset1:57
	v_add_f64 v[112:113], v[112:113], -v[132:133]
	s_waitcnt lgkmcnt(0)
	v_mul_f64 v[132:133], v[206:207], v[134:135]
	v_fma_f64 v[132:133], v[204:205], v[208:209], -v[132:133]
	v_mul_f64 v[204:205], v[204:205], v[134:135]
	v_fmac_f64_e32 v[204:205], v[206:207], v[208:209]
	v_add_f64 v[110:111], v[110:111], -v[204:205]
	ds_read2_b64 v[204:207], v202 offset0:58 offset1:59
	v_add_f64 v[108:109], v[108:109], -v[132:133]
	s_waitcnt lgkmcnt(0)
	v_mul_f64 v[132:133], v[206:207], v[134:135]
	v_fma_f64 v[132:133], v[204:205], v[208:209], -v[132:133]
	v_mul_f64 v[204:205], v[204:205], v[134:135]
	v_fmac_f64_e32 v[204:205], v[206:207], v[208:209]
	v_add_f64 v[106:107], v[106:107], -v[204:205]
	ds_read2_b64 v[204:207], v202 offset0:60 offset1:61
	v_add_f64 v[104:105], v[104:105], -v[132:133]
	s_waitcnt lgkmcnt(0)
	v_mul_f64 v[132:133], v[206:207], v[134:135]
	v_fma_f64 v[132:133], v[204:205], v[208:209], -v[132:133]
	v_mul_f64 v[204:205], v[204:205], v[134:135]
	v_fmac_f64_e32 v[204:205], v[206:207], v[208:209]
	v_add_f64 v[102:103], v[102:103], -v[204:205]
	ds_read2_b64 v[204:207], v202 offset0:62 offset1:63
	v_add_f64 v[100:101], v[100:101], -v[132:133]
	s_waitcnt lgkmcnt(0)
	v_mul_f64 v[132:133], v[206:207], v[134:135]
	v_fma_f64 v[132:133], v[204:205], v[208:209], -v[132:133]
	v_mul_f64 v[204:205], v[204:205], v[134:135]
	v_fmac_f64_e32 v[204:205], v[206:207], v[208:209]
	v_add_f64 v[98:99], v[98:99], -v[204:205]
	ds_read2_b64 v[204:207], v202 offset0:64 offset1:65
	v_add_f64 v[96:97], v[96:97], -v[132:133]
	s_waitcnt lgkmcnt(0)
	v_mul_f64 v[132:133], v[206:207], v[134:135]
	v_fma_f64 v[132:133], v[204:205], v[208:209], -v[132:133]
	v_mul_f64 v[204:205], v[204:205], v[134:135]
	v_fmac_f64_e32 v[204:205], v[206:207], v[208:209]
	v_add_f64 v[94:95], v[94:95], -v[204:205]
	ds_read2_b64 v[204:207], v202 offset0:66 offset1:67
	v_add_f64 v[92:93], v[92:93], -v[132:133]
	s_waitcnt lgkmcnt(0)
	v_mul_f64 v[132:133], v[206:207], v[134:135]
	v_fma_f64 v[132:133], v[204:205], v[208:209], -v[132:133]
	v_mul_f64 v[204:205], v[204:205], v[134:135]
	v_fmac_f64_e32 v[204:205], v[206:207], v[208:209]
	v_add_f64 v[90:91], v[90:91], -v[204:205]
	ds_read2_b64 v[204:207], v202 offset0:68 offset1:69
	v_add_f64 v[88:89], v[88:89], -v[132:133]
	s_waitcnt lgkmcnt(0)
	v_mul_f64 v[132:133], v[206:207], v[134:135]
	v_fma_f64 v[132:133], v[204:205], v[208:209], -v[132:133]
	v_mul_f64 v[204:205], v[204:205], v[134:135]
	v_fmac_f64_e32 v[204:205], v[206:207], v[208:209]
	v_add_f64 v[86:87], v[86:87], -v[204:205]
	ds_read2_b64 v[204:207], v202 offset0:70 offset1:71
	v_add_f64 v[84:85], v[84:85], -v[132:133]
	s_waitcnt lgkmcnt(0)
	v_mul_f64 v[132:133], v[206:207], v[134:135]
	v_fma_f64 v[132:133], v[204:205], v[208:209], -v[132:133]
	v_mul_f64 v[204:205], v[204:205], v[134:135]
	v_fmac_f64_e32 v[204:205], v[206:207], v[208:209]
	v_add_f64 v[82:83], v[82:83], -v[204:205]
	ds_read2_b64 v[204:207], v202 offset0:72 offset1:73
	v_add_f64 v[80:81], v[80:81], -v[132:133]
	s_waitcnt lgkmcnt(0)
	v_mul_f64 v[132:133], v[206:207], v[134:135]
	v_fma_f64 v[132:133], v[204:205], v[208:209], -v[132:133]
	v_mul_f64 v[204:205], v[204:205], v[134:135]
	v_fmac_f64_e32 v[204:205], v[206:207], v[208:209]
	v_add_f64 v[78:79], v[78:79], -v[204:205]
	ds_read2_b64 v[204:207], v202 offset0:74 offset1:75
	v_add_f64 v[76:77], v[76:77], -v[132:133]
	s_waitcnt lgkmcnt(0)
	v_mul_f64 v[132:133], v[206:207], v[134:135]
	v_fma_f64 v[132:133], v[204:205], v[208:209], -v[132:133]
	v_mul_f64 v[204:205], v[204:205], v[134:135]
	v_fmac_f64_e32 v[204:205], v[206:207], v[208:209]
	v_add_f64 v[74:75], v[74:75], -v[204:205]
	ds_read2_b64 v[204:207], v202 offset0:76 offset1:77
	v_add_f64 v[72:73], v[72:73], -v[132:133]
	s_waitcnt lgkmcnt(0)
	v_mul_f64 v[132:133], v[206:207], v[134:135]
	v_fma_f64 v[132:133], v[204:205], v[208:209], -v[132:133]
	v_mul_f64 v[204:205], v[204:205], v[134:135]
	v_fmac_f64_e32 v[204:205], v[206:207], v[208:209]
	v_add_f64 v[70:71], v[70:71], -v[204:205]
	ds_read2_b64 v[204:207], v202 offset0:78 offset1:79
	v_add_f64 v[68:69], v[68:69], -v[132:133]
	s_waitcnt lgkmcnt(0)
	v_mul_f64 v[132:133], v[206:207], v[134:135]
	v_fma_f64 v[132:133], v[204:205], v[208:209], -v[132:133]
	v_mul_f64 v[204:205], v[204:205], v[134:135]
	v_fmac_f64_e32 v[204:205], v[206:207], v[208:209]
	v_add_f64 v[66:67], v[66:67], -v[204:205]
	ds_read2_b64 v[204:207], v202 offset0:80 offset1:81
	v_add_f64 v[64:65], v[64:65], -v[132:133]
	s_waitcnt lgkmcnt(0)
	v_mul_f64 v[132:133], v[206:207], v[134:135]
	v_fma_f64 v[132:133], v[204:205], v[208:209], -v[132:133]
	v_mul_f64 v[204:205], v[204:205], v[134:135]
	v_fmac_f64_e32 v[204:205], v[206:207], v[208:209]
	v_add_f64 v[62:63], v[62:63], -v[204:205]
	ds_read2_b64 v[204:207], v202 offset0:82 offset1:83
	v_add_f64 v[60:61], v[60:61], -v[132:133]
	s_waitcnt lgkmcnt(0)
	v_mul_f64 v[132:133], v[206:207], v[134:135]
	v_fma_f64 v[132:133], v[204:205], v[208:209], -v[132:133]
	v_mul_f64 v[204:205], v[204:205], v[134:135]
	v_fmac_f64_e32 v[204:205], v[206:207], v[208:209]
	v_add_f64 v[58:59], v[58:59], -v[204:205]
	ds_read2_b64 v[204:207], v202 offset0:84 offset1:85
	v_add_f64 v[56:57], v[56:57], -v[132:133]
	s_waitcnt lgkmcnt(0)
	v_mul_f64 v[132:133], v[206:207], v[134:135]
	v_fma_f64 v[132:133], v[204:205], v[208:209], -v[132:133]
	v_mul_f64 v[204:205], v[204:205], v[134:135]
	v_fmac_f64_e32 v[204:205], v[206:207], v[208:209]
	v_add_f64 v[54:55], v[54:55], -v[204:205]
	ds_read2_b64 v[204:207], v202 offset0:86 offset1:87
	v_add_f64 v[52:53], v[52:53], -v[132:133]
	s_waitcnt lgkmcnt(0)
	v_mul_f64 v[132:133], v[206:207], v[134:135]
	v_fma_f64 v[132:133], v[204:205], v[208:209], -v[132:133]
	v_mul_f64 v[204:205], v[204:205], v[134:135]
	v_fmac_f64_e32 v[204:205], v[206:207], v[208:209]
	v_add_f64 v[50:51], v[50:51], -v[204:205]
	ds_read2_b64 v[204:207], v202 offset0:88 offset1:89
	v_add_f64 v[48:49], v[48:49], -v[132:133]
	s_waitcnt lgkmcnt(0)
	v_mul_f64 v[132:133], v[206:207], v[134:135]
	v_fma_f64 v[132:133], v[204:205], v[208:209], -v[132:133]
	v_mul_f64 v[204:205], v[204:205], v[134:135]
	v_fmac_f64_e32 v[204:205], v[206:207], v[208:209]
	v_add_f64 v[46:47], v[46:47], -v[204:205]
	ds_read2_b64 v[204:207], v202 offset0:90 offset1:91
	v_add_f64 v[44:45], v[44:45], -v[132:133]
	s_waitcnt lgkmcnt(0)
	v_mul_f64 v[132:133], v[206:207], v[134:135]
	v_fma_f64 v[132:133], v[204:205], v[208:209], -v[132:133]
	v_mul_f64 v[204:205], v[204:205], v[134:135]
	v_fmac_f64_e32 v[204:205], v[206:207], v[208:209]
	v_add_f64 v[42:43], v[42:43], -v[204:205]
	ds_read2_b64 v[204:207], v202 offset0:92 offset1:93
	v_add_f64 v[40:41], v[40:41], -v[132:133]
	s_waitcnt lgkmcnt(0)
	v_mul_f64 v[132:133], v[206:207], v[134:135]
	v_fma_f64 v[132:133], v[204:205], v[208:209], -v[132:133]
	v_mul_f64 v[204:205], v[204:205], v[134:135]
	v_fmac_f64_e32 v[204:205], v[206:207], v[208:209]
	v_add_f64 v[38:39], v[38:39], -v[204:205]
	ds_read2_b64 v[204:207], v202 offset0:94 offset1:95
	v_add_f64 v[36:37], v[36:37], -v[132:133]
	s_waitcnt lgkmcnt(0)
	v_mul_f64 v[132:133], v[206:207], v[134:135]
	v_fma_f64 v[132:133], v[204:205], v[208:209], -v[132:133]
	v_mul_f64 v[204:205], v[204:205], v[134:135]
	v_fmac_f64_e32 v[204:205], v[206:207], v[208:209]
	v_add_f64 v[34:35], v[34:35], -v[204:205]
	ds_read2_b64 v[204:207], v202 offset0:96 offset1:97
	v_add_f64 v[32:33], v[32:33], -v[132:133]
	s_waitcnt lgkmcnt(0)
	v_mul_f64 v[132:133], v[206:207], v[134:135]
	v_fma_f64 v[132:133], v[204:205], v[208:209], -v[132:133]
	v_mul_f64 v[204:205], v[204:205], v[134:135]
	v_fmac_f64_e32 v[204:205], v[206:207], v[208:209]
	v_add_f64 v[30:31], v[30:31], -v[204:205]
	ds_read2_b64 v[204:207], v202 offset0:98 offset1:99
	v_add_f64 v[28:29], v[28:29], -v[132:133]
	s_waitcnt lgkmcnt(0)
	v_mul_f64 v[132:133], v[206:207], v[134:135]
	v_fma_f64 v[132:133], v[204:205], v[208:209], -v[132:133]
	v_mul_f64 v[204:205], v[204:205], v[134:135]
	v_fmac_f64_e32 v[204:205], v[206:207], v[208:209]
	v_add_f64 v[26:27], v[26:27], -v[204:205]
	ds_read2_b64 v[204:207], v202 offset0:100 offset1:101
	v_add_f64 v[24:25], v[24:25], -v[132:133]
	s_waitcnt lgkmcnt(0)
	v_mul_f64 v[132:133], v[206:207], v[134:135]
	v_fma_f64 v[132:133], v[204:205], v[208:209], -v[132:133]
	v_mul_f64 v[204:205], v[204:205], v[134:135]
	v_fmac_f64_e32 v[204:205], v[206:207], v[208:209]
	v_add_f64 v[22:23], v[22:23], -v[204:205]
	ds_read2_b64 v[204:207], v202 offset0:102 offset1:103
	v_add_f64 v[20:21], v[20:21], -v[132:133]
	s_waitcnt lgkmcnt(0)
	v_mul_f64 v[132:133], v[206:207], v[134:135]
	v_fma_f64 v[132:133], v[204:205], v[208:209], -v[132:133]
	v_mul_f64 v[204:205], v[204:205], v[134:135]
	v_fmac_f64_e32 v[204:205], v[206:207], v[208:209]
	v_add_f64 v[18:19], v[18:19], -v[204:205]
	ds_read2_b64 v[204:207], v202 offset0:104 offset1:105
	v_add_f64 v[16:17], v[16:17], -v[132:133]
	s_waitcnt lgkmcnt(0)
	v_mul_f64 v[132:133], v[206:207], v[134:135]
	v_fma_f64 v[132:133], v[204:205], v[208:209], -v[132:133]
	v_mul_f64 v[204:205], v[204:205], v[134:135]
	v_fmac_f64_e32 v[204:205], v[206:207], v[208:209]
	v_add_f64 v[14:15], v[14:15], -v[204:205]
	ds_read2_b64 v[204:207], v202 offset0:106 offset1:107
	v_add_f64 v[12:13], v[12:13], -v[132:133]
	s_waitcnt lgkmcnt(0)
	v_mul_f64 v[132:133], v[206:207], v[134:135]
	v_fma_f64 v[132:133], v[204:205], v[208:209], -v[132:133]
	v_mul_f64 v[204:205], v[204:205], v[134:135]
	v_fmac_f64_e32 v[204:205], v[206:207], v[208:209]
	v_add_f64 v[10:11], v[10:11], -v[204:205]
	ds_read2_b64 v[204:207], v202 offset0:108 offset1:109
	v_add_f64 v[8:9], v[8:9], -v[132:133]
	s_waitcnt lgkmcnt(0)
	v_mul_f64 v[132:133], v[206:207], v[134:135]
	v_fma_f64 v[132:133], v[204:205], v[208:209], -v[132:133]
	v_mul_f64 v[204:205], v[204:205], v[134:135]
	v_fmac_f64_e32 v[204:205], v[206:207], v[208:209]
	v_add_f64 v[6:7], v[6:7], -v[204:205]
	ds_read2_b64 v[204:207], v202 offset0:110 offset1:111
	v_add_f64 v[4:5], v[4:5], -v[132:133]
	s_waitcnt lgkmcnt(0)
	v_mul_f64 v[132:133], v[206:207], v[134:135]
	v_fma_f64 v[132:133], v[204:205], v[208:209], -v[132:133]
	v_mul_f64 v[204:205], v[204:205], v[134:135]
	v_fmac_f64_e32 v[204:205], v[206:207], v[208:209]
	v_add_f64 v[2:3], v[2:3], -v[204:205]
	ds_read2_b64 v[204:207], v202 offset0:112 offset1:113
	v_add_f64 v[0:1], v[0:1], -v[132:133]
	s_waitcnt lgkmcnt(0)
	v_mul_f64 v[132:133], v[206:207], v[134:135]
	v_fma_f64 v[132:133], v[204:205], v[208:209], -v[132:133]
	v_mul_f64 v[204:205], v[204:205], v[134:135]
	v_fmac_f64_e32 v[204:205], v[206:207], v[208:209]
	v_add_f64 v[224:225], v[224:225], -v[132:133]
	v_add_f64 v[226:227], v[226:227], -v[204:205]
	v_mov_b64_e32 v[132:133], v[208:209]
.LBB113_208:
	s_or_b64 exec, exec, s[2:3]
	v_cmp_eq_u32_e32 vcc, 23, v200
	s_waitcnt vmcnt(63) expcnt(7) lgkmcnt(15)
	s_barrier
	s_and_saveexec_b64 s[4:5], vcc
	s_cbranch_execz .LBB113_215
; %bb.209:
	ds_write2_b64 v201, v[128:129], v[130:131] offset1:1
	ds_write2_b64 v202, v[124:125], v[126:127] offset0:48 offset1:49
	ds_write2_b64 v202, v[120:121], v[122:123] offset0:50 offset1:51
	;; [unrolled: 1-line block ×16, first 2 shown]
	s_waitcnt vmcnt(53)
	ds_write2_b64 v202, v[60:61], v[62:63] offset0:80 offset1:81
	s_waitcnt vmcnt(52)
	ds_write2_b64 v202, v[56:57], v[58:59] offset0:82 offset1:83
	;; [unrolled: 2-line block ×11, first 2 shown]
	ds_write2_b64 v202, v[16:17], v[18:19] offset0:102 offset1:103
	ds_write2_b64 v202, v[12:13], v[14:15] offset0:104 offset1:105
	;; [unrolled: 1-line block ×4, first 2 shown]
	s_waitcnt vmcnt(42)
	ds_write2_b64 v202, v[0:1], v[2:3] offset0:110 offset1:111
	s_waitcnt vmcnt(39)
	ds_write2_b64 v202, v[224:225], v[226:227] offset0:112 offset1:113
	ds_read2_b64 v[208:211], v201 offset1:1
	s_waitcnt lgkmcnt(0)
	v_cmp_neq_f64_e32 vcc, 0, v[208:209]
	v_cmp_neq_f64_e64 s[2:3], 0, v[210:211]
	s_or_b64 s[2:3], vcc, s[2:3]
	s_and_b64 exec, exec, s[2:3]
	s_cbranch_execz .LBB113_215
; %bb.210:
	v_cmp_ngt_f64_e64 s[2:3], |v[208:209]|, |v[210:211]|
                                        ; implicit-def: $vgpr204_vgpr205
	s_and_saveexec_b64 s[10:11], s[2:3]
	s_xor_b64 s[2:3], exec, s[10:11]
                                        ; implicit-def: $vgpr206_vgpr207
	s_cbranch_execz .LBB113_212
; %bb.211:
	v_div_scale_f64 v[204:205], s[10:11], v[210:211], v[210:211], v[208:209]
	v_rcp_f64_e32 v[206:207], v[204:205]
	v_div_scale_f64 v[212:213], vcc, v[208:209], v[210:211], v[208:209]
	v_fma_f64 v[214:215], -v[204:205], v[206:207], 1.0
	v_fmac_f64_e32 v[206:207], v[206:207], v[214:215]
	v_fma_f64 v[214:215], -v[204:205], v[206:207], 1.0
	v_fmac_f64_e32 v[206:207], v[206:207], v[214:215]
	v_mul_f64 v[214:215], v[212:213], v[206:207]
	v_fma_f64 v[204:205], -v[204:205], v[214:215], v[212:213]
	v_div_fmas_f64 v[204:205], v[204:205], v[206:207], v[214:215]
	v_div_fixup_f64 v[204:205], v[204:205], v[210:211], v[208:209]
	v_fmac_f64_e32 v[210:211], v[208:209], v[204:205]
	v_div_scale_f64 v[206:207], s[10:11], v[210:211], v[210:211], 1.0
	v_rcp_f64_e32 v[208:209], v[206:207]
	s_nop 0
	v_fma_f64 v[212:213], -v[206:207], v[208:209], 1.0
	v_fmac_f64_e32 v[208:209], v[208:209], v[212:213]
	v_fma_f64 v[212:213], -v[206:207], v[208:209], 1.0
	v_fmac_f64_e32 v[208:209], v[208:209], v[212:213]
	v_div_scale_f64 v[212:213], vcc, 1.0, v[210:211], 1.0
	v_mul_f64 v[214:215], v[212:213], v[208:209]
	v_fma_f64 v[206:207], -v[206:207], v[214:215], v[212:213]
	s_nop 1
	v_div_fmas_f64 v[206:207], v[206:207], v[208:209], v[214:215]
	v_div_fixup_f64 v[206:207], v[206:207], v[210:211], 1.0
	v_mul_f64 v[204:205], v[204:205], v[206:207]
	v_xor_b32_e32 v207, 0x80000000, v207
                                        ; implicit-def: $vgpr208_vgpr209
.LBB113_212:
	s_andn2_saveexec_b64 s[2:3], s[2:3]
	s_cbranch_execz .LBB113_214
; %bb.213:
	v_div_scale_f64 v[204:205], s[10:11], v[208:209], v[208:209], v[210:211]
	v_rcp_f64_e32 v[206:207], v[204:205]
	v_div_scale_f64 v[212:213], vcc, v[210:211], v[208:209], v[210:211]
	v_fma_f64 v[214:215], -v[204:205], v[206:207], 1.0
	v_fmac_f64_e32 v[206:207], v[206:207], v[214:215]
	v_fma_f64 v[214:215], -v[204:205], v[206:207], 1.0
	v_fmac_f64_e32 v[206:207], v[206:207], v[214:215]
	v_mul_f64 v[214:215], v[212:213], v[206:207]
	v_fma_f64 v[204:205], -v[204:205], v[214:215], v[212:213]
	v_div_fmas_f64 v[204:205], v[204:205], v[206:207], v[214:215]
	v_div_fixup_f64 v[206:207], v[204:205], v[208:209], v[210:211]
	v_fmac_f64_e32 v[208:209], v[210:211], v[206:207]
	v_div_scale_f64 v[204:205], s[10:11], v[208:209], v[208:209], 1.0
	v_rcp_f64_e32 v[210:211], v[204:205]
	s_nop 0
	v_fma_f64 v[212:213], -v[204:205], v[210:211], 1.0
	v_fmac_f64_e32 v[210:211], v[210:211], v[212:213]
	v_fma_f64 v[212:213], -v[204:205], v[210:211], 1.0
	v_fmac_f64_e32 v[210:211], v[210:211], v[212:213]
	v_div_scale_f64 v[212:213], vcc, 1.0, v[208:209], 1.0
	v_mul_f64 v[214:215], v[212:213], v[210:211]
	v_fma_f64 v[204:205], -v[204:205], v[214:215], v[212:213]
	s_nop 1
	v_div_fmas_f64 v[204:205], v[204:205], v[210:211], v[214:215]
	v_div_fixup_f64 v[204:205], v[204:205], v[208:209], 1.0
	v_mul_f64 v[206:207], v[206:207], -v[204:205]
.LBB113_214:
	s_or_b64 exec, exec, s[2:3]
	ds_write2_b64 v201, v[204:205], v[206:207] offset1:1
.LBB113_215:
	s_or_b64 exec, exec, s[4:5]
	s_waitcnt lgkmcnt(0)
	s_barrier
	ds_read2_b64 v[192:195], v201 offset1:1
	v_cmp_lt_u32_e32 vcc, 23, v200
	s_waitcnt lgkmcnt(0)
	scratch_store_dwordx4 off, v[192:195], off offset:936 ; 16-byte Folded Spill
	s_and_saveexec_b64 s[2:3], vcc
	s_cbranch_execz .LBB113_217
; %bb.216:
	scratch_load_dwordx4 v[192:195], off, off offset:936 ; 16-byte Folded Reload
	s_waitcnt vmcnt(0)
	v_mul_f64 v[204:205], v[194:195], v[130:131]
	v_fma_f64 v[208:209], v[192:193], v[128:129], -v[204:205]
	ds_read2_b64 v[204:207], v202 offset0:48 offset1:49
	v_mul_f64 v[130:131], v[192:193], v[130:131]
	v_fmac_f64_e32 v[130:131], v[194:195], v[128:129]
	s_waitcnt lgkmcnt(0)
	v_mul_f64 v[128:129], v[206:207], v[130:131]
	v_fma_f64 v[128:129], v[204:205], v[208:209], -v[128:129]
	v_mul_f64 v[204:205], v[204:205], v[130:131]
	v_fmac_f64_e32 v[204:205], v[206:207], v[208:209]
	v_add_f64 v[126:127], v[126:127], -v[204:205]
	ds_read2_b64 v[204:207], v202 offset0:50 offset1:51
	v_add_f64 v[124:125], v[124:125], -v[128:129]
	s_waitcnt lgkmcnt(0)
	v_mul_f64 v[128:129], v[206:207], v[130:131]
	v_fma_f64 v[128:129], v[204:205], v[208:209], -v[128:129]
	v_mul_f64 v[204:205], v[204:205], v[130:131]
	v_fmac_f64_e32 v[204:205], v[206:207], v[208:209]
	v_add_f64 v[122:123], v[122:123], -v[204:205]
	ds_read2_b64 v[204:207], v202 offset0:52 offset1:53
	v_add_f64 v[120:121], v[120:121], -v[128:129]
	;; [unrolled: 8-line block ×32, first 2 shown]
	s_waitcnt lgkmcnt(0)
	v_mul_f64 v[128:129], v[206:207], v[130:131]
	v_fma_f64 v[128:129], v[204:205], v[208:209], -v[128:129]
	v_mul_f64 v[204:205], v[204:205], v[130:131]
	v_fmac_f64_e32 v[204:205], v[206:207], v[208:209]
	v_add_f64 v[224:225], v[224:225], -v[128:129]
	v_add_f64 v[226:227], v[226:227], -v[204:205]
	v_mov_b64_e32 v[128:129], v[208:209]
.LBB113_217:
	s_or_b64 exec, exec, s[2:3]
	v_cmp_eq_u32_e32 vcc, 24, v200
	s_waitcnt vmcnt(63) expcnt(7) lgkmcnt(15)
	s_barrier
	s_and_saveexec_b64 s[4:5], vcc
	s_cbranch_execz .LBB113_224
; %bb.218:
	ds_write2_b64 v201, v[124:125], v[126:127] offset1:1
	ds_write2_b64 v202, v[120:121], v[122:123] offset0:50 offset1:51
	ds_write2_b64 v202, v[116:117], v[118:119] offset0:52 offset1:53
	;; [unrolled: 1-line block ×15, first 2 shown]
	s_waitcnt vmcnt(54)
	ds_write2_b64 v202, v[60:61], v[62:63] offset0:80 offset1:81
	s_waitcnt vmcnt(53)
	ds_write2_b64 v202, v[56:57], v[58:59] offset0:82 offset1:83
	;; [unrolled: 2-line block ×11, first 2 shown]
	ds_write2_b64 v202, v[16:17], v[18:19] offset0:102 offset1:103
	ds_write2_b64 v202, v[12:13], v[14:15] offset0:104 offset1:105
	;; [unrolled: 1-line block ×4, first 2 shown]
	s_waitcnt vmcnt(43)
	ds_write2_b64 v202, v[0:1], v[2:3] offset0:110 offset1:111
	s_waitcnt vmcnt(40)
	ds_write2_b64 v202, v[224:225], v[226:227] offset0:112 offset1:113
	ds_read2_b64 v[208:211], v201 offset1:1
	s_waitcnt lgkmcnt(0)
	v_cmp_neq_f64_e32 vcc, 0, v[208:209]
	v_cmp_neq_f64_e64 s[2:3], 0, v[210:211]
	s_or_b64 s[2:3], vcc, s[2:3]
	s_and_b64 exec, exec, s[2:3]
	s_cbranch_execz .LBB113_224
; %bb.219:
	v_cmp_ngt_f64_e64 s[2:3], |v[208:209]|, |v[210:211]|
                                        ; implicit-def: $vgpr204_vgpr205
	s_and_saveexec_b64 s[10:11], s[2:3]
	s_xor_b64 s[2:3], exec, s[10:11]
                                        ; implicit-def: $vgpr206_vgpr207
	s_cbranch_execz .LBB113_221
; %bb.220:
	v_div_scale_f64 v[204:205], s[10:11], v[210:211], v[210:211], v[208:209]
	v_rcp_f64_e32 v[206:207], v[204:205]
	v_div_scale_f64 v[212:213], vcc, v[208:209], v[210:211], v[208:209]
	v_fma_f64 v[214:215], -v[204:205], v[206:207], 1.0
	v_fmac_f64_e32 v[206:207], v[206:207], v[214:215]
	v_fma_f64 v[214:215], -v[204:205], v[206:207], 1.0
	v_fmac_f64_e32 v[206:207], v[206:207], v[214:215]
	v_mul_f64 v[214:215], v[212:213], v[206:207]
	v_fma_f64 v[204:205], -v[204:205], v[214:215], v[212:213]
	v_div_fmas_f64 v[204:205], v[204:205], v[206:207], v[214:215]
	v_div_fixup_f64 v[204:205], v[204:205], v[210:211], v[208:209]
	v_fmac_f64_e32 v[210:211], v[208:209], v[204:205]
	v_div_scale_f64 v[206:207], s[10:11], v[210:211], v[210:211], 1.0
	v_rcp_f64_e32 v[208:209], v[206:207]
	s_nop 0
	v_fma_f64 v[212:213], -v[206:207], v[208:209], 1.0
	v_fmac_f64_e32 v[208:209], v[208:209], v[212:213]
	v_fma_f64 v[212:213], -v[206:207], v[208:209], 1.0
	v_fmac_f64_e32 v[208:209], v[208:209], v[212:213]
	v_div_scale_f64 v[212:213], vcc, 1.0, v[210:211], 1.0
	v_mul_f64 v[214:215], v[212:213], v[208:209]
	v_fma_f64 v[206:207], -v[206:207], v[214:215], v[212:213]
	s_nop 1
	v_div_fmas_f64 v[206:207], v[206:207], v[208:209], v[214:215]
	v_div_fixup_f64 v[206:207], v[206:207], v[210:211], 1.0
	v_mul_f64 v[204:205], v[204:205], v[206:207]
	v_xor_b32_e32 v207, 0x80000000, v207
                                        ; implicit-def: $vgpr208_vgpr209
.LBB113_221:
	s_andn2_saveexec_b64 s[2:3], s[2:3]
	s_cbranch_execz .LBB113_223
; %bb.222:
	v_div_scale_f64 v[204:205], s[10:11], v[208:209], v[208:209], v[210:211]
	v_rcp_f64_e32 v[206:207], v[204:205]
	v_div_scale_f64 v[212:213], vcc, v[210:211], v[208:209], v[210:211]
	v_fma_f64 v[214:215], -v[204:205], v[206:207], 1.0
	v_fmac_f64_e32 v[206:207], v[206:207], v[214:215]
	v_fma_f64 v[214:215], -v[204:205], v[206:207], 1.0
	v_fmac_f64_e32 v[206:207], v[206:207], v[214:215]
	v_mul_f64 v[214:215], v[212:213], v[206:207]
	v_fma_f64 v[204:205], -v[204:205], v[214:215], v[212:213]
	v_div_fmas_f64 v[204:205], v[204:205], v[206:207], v[214:215]
	v_div_fixup_f64 v[206:207], v[204:205], v[208:209], v[210:211]
	v_fmac_f64_e32 v[208:209], v[210:211], v[206:207]
	v_div_scale_f64 v[204:205], s[10:11], v[208:209], v[208:209], 1.0
	v_rcp_f64_e32 v[210:211], v[204:205]
	s_nop 0
	v_fma_f64 v[212:213], -v[204:205], v[210:211], 1.0
	v_fmac_f64_e32 v[210:211], v[210:211], v[212:213]
	v_fma_f64 v[212:213], -v[204:205], v[210:211], 1.0
	v_fmac_f64_e32 v[210:211], v[210:211], v[212:213]
	v_div_scale_f64 v[212:213], vcc, 1.0, v[208:209], 1.0
	v_mul_f64 v[214:215], v[212:213], v[210:211]
	v_fma_f64 v[204:205], -v[204:205], v[214:215], v[212:213]
	s_nop 1
	v_div_fmas_f64 v[204:205], v[204:205], v[210:211], v[214:215]
	v_div_fixup_f64 v[204:205], v[204:205], v[208:209], 1.0
	v_mul_f64 v[206:207], v[206:207], -v[204:205]
.LBB113_223:
	s_or_b64 exec, exec, s[2:3]
	ds_write2_b64 v201, v[204:205], v[206:207] offset1:1
.LBB113_224:
	s_or_b64 exec, exec, s[4:5]
	s_waitcnt lgkmcnt(0)
	s_barrier
	ds_read2_b64 v[192:195], v201 offset1:1
	v_cmp_lt_u32_e32 vcc, 24, v200
	s_waitcnt lgkmcnt(0)
	scratch_store_dwordx4 off, v[192:195], off offset:952 ; 16-byte Folded Spill
	s_and_saveexec_b64 s[2:3], vcc
	s_cbranch_execz .LBB113_226
; %bb.225:
	scratch_load_dwordx4 v[192:195], off, off offset:952 ; 16-byte Folded Reload
	s_waitcnt vmcnt(0)
	v_mul_f64 v[204:205], v[194:195], v[126:127]
	v_fma_f64 v[208:209], v[192:193], v[124:125], -v[204:205]
	ds_read2_b64 v[204:207], v202 offset0:50 offset1:51
	v_mul_f64 v[126:127], v[192:193], v[126:127]
	v_fmac_f64_e32 v[126:127], v[194:195], v[124:125]
	s_waitcnt lgkmcnt(0)
	v_mul_f64 v[124:125], v[206:207], v[126:127]
	v_fma_f64 v[124:125], v[204:205], v[208:209], -v[124:125]
	v_mul_f64 v[204:205], v[204:205], v[126:127]
	v_fmac_f64_e32 v[204:205], v[206:207], v[208:209]
	v_add_f64 v[122:123], v[122:123], -v[204:205]
	ds_read2_b64 v[204:207], v202 offset0:52 offset1:53
	v_add_f64 v[120:121], v[120:121], -v[124:125]
	s_waitcnt lgkmcnt(0)
	v_mul_f64 v[124:125], v[206:207], v[126:127]
	v_fma_f64 v[124:125], v[204:205], v[208:209], -v[124:125]
	v_mul_f64 v[204:205], v[204:205], v[126:127]
	v_fmac_f64_e32 v[204:205], v[206:207], v[208:209]
	v_add_f64 v[118:119], v[118:119], -v[204:205]
	ds_read2_b64 v[204:207], v202 offset0:54 offset1:55
	v_add_f64 v[116:117], v[116:117], -v[124:125]
	;; [unrolled: 8-line block ×31, first 2 shown]
	s_waitcnt lgkmcnt(0)
	v_mul_f64 v[124:125], v[206:207], v[126:127]
	v_fma_f64 v[124:125], v[204:205], v[208:209], -v[124:125]
	v_mul_f64 v[204:205], v[204:205], v[126:127]
	v_fmac_f64_e32 v[204:205], v[206:207], v[208:209]
	v_add_f64 v[224:225], v[224:225], -v[124:125]
	v_add_f64 v[226:227], v[226:227], -v[204:205]
	v_mov_b64_e32 v[124:125], v[208:209]
.LBB113_226:
	s_or_b64 exec, exec, s[2:3]
	v_cmp_eq_u32_e32 vcc, 25, v200
	s_waitcnt vmcnt(63) expcnt(7) lgkmcnt(15)
	s_barrier
	s_and_saveexec_b64 s[4:5], vcc
	s_cbranch_execz .LBB113_233
; %bb.227:
	ds_write2_b64 v201, v[120:121], v[122:123] offset1:1
	ds_write2_b64 v202, v[116:117], v[118:119] offset0:52 offset1:53
	ds_write2_b64 v202, v[112:113], v[114:115] offset0:54 offset1:55
	;; [unrolled: 1-line block ×14, first 2 shown]
	s_waitcnt vmcnt(55)
	ds_write2_b64 v202, v[60:61], v[62:63] offset0:80 offset1:81
	s_waitcnt vmcnt(54)
	ds_write2_b64 v202, v[56:57], v[58:59] offset0:82 offset1:83
	;; [unrolled: 2-line block ×11, first 2 shown]
	ds_write2_b64 v202, v[16:17], v[18:19] offset0:102 offset1:103
	ds_write2_b64 v202, v[12:13], v[14:15] offset0:104 offset1:105
	;; [unrolled: 1-line block ×4, first 2 shown]
	s_waitcnt vmcnt(44)
	ds_write2_b64 v202, v[0:1], v[2:3] offset0:110 offset1:111
	s_waitcnt vmcnt(41)
	ds_write2_b64 v202, v[224:225], v[226:227] offset0:112 offset1:113
	ds_read2_b64 v[208:211], v201 offset1:1
	s_waitcnt lgkmcnt(0)
	v_cmp_neq_f64_e32 vcc, 0, v[208:209]
	v_cmp_neq_f64_e64 s[2:3], 0, v[210:211]
	s_or_b64 s[2:3], vcc, s[2:3]
	s_and_b64 exec, exec, s[2:3]
	s_cbranch_execz .LBB113_233
; %bb.228:
	v_cmp_ngt_f64_e64 s[2:3], |v[208:209]|, |v[210:211]|
                                        ; implicit-def: $vgpr204_vgpr205
	s_and_saveexec_b64 s[10:11], s[2:3]
	s_xor_b64 s[2:3], exec, s[10:11]
                                        ; implicit-def: $vgpr206_vgpr207
	s_cbranch_execz .LBB113_230
; %bb.229:
	v_div_scale_f64 v[204:205], s[10:11], v[210:211], v[210:211], v[208:209]
	v_rcp_f64_e32 v[206:207], v[204:205]
	v_div_scale_f64 v[212:213], vcc, v[208:209], v[210:211], v[208:209]
	v_fma_f64 v[214:215], -v[204:205], v[206:207], 1.0
	v_fmac_f64_e32 v[206:207], v[206:207], v[214:215]
	v_fma_f64 v[214:215], -v[204:205], v[206:207], 1.0
	v_fmac_f64_e32 v[206:207], v[206:207], v[214:215]
	v_mul_f64 v[214:215], v[212:213], v[206:207]
	v_fma_f64 v[204:205], -v[204:205], v[214:215], v[212:213]
	v_div_fmas_f64 v[204:205], v[204:205], v[206:207], v[214:215]
	v_div_fixup_f64 v[204:205], v[204:205], v[210:211], v[208:209]
	v_fmac_f64_e32 v[210:211], v[208:209], v[204:205]
	v_div_scale_f64 v[206:207], s[10:11], v[210:211], v[210:211], 1.0
	v_rcp_f64_e32 v[208:209], v[206:207]
	s_nop 0
	v_fma_f64 v[212:213], -v[206:207], v[208:209], 1.0
	v_fmac_f64_e32 v[208:209], v[208:209], v[212:213]
	v_fma_f64 v[212:213], -v[206:207], v[208:209], 1.0
	v_fmac_f64_e32 v[208:209], v[208:209], v[212:213]
	v_div_scale_f64 v[212:213], vcc, 1.0, v[210:211], 1.0
	v_mul_f64 v[214:215], v[212:213], v[208:209]
	v_fma_f64 v[206:207], -v[206:207], v[214:215], v[212:213]
	s_nop 1
	v_div_fmas_f64 v[206:207], v[206:207], v[208:209], v[214:215]
	v_div_fixup_f64 v[206:207], v[206:207], v[210:211], 1.0
	v_mul_f64 v[204:205], v[204:205], v[206:207]
	v_xor_b32_e32 v207, 0x80000000, v207
                                        ; implicit-def: $vgpr208_vgpr209
.LBB113_230:
	s_andn2_saveexec_b64 s[2:3], s[2:3]
	s_cbranch_execz .LBB113_232
; %bb.231:
	v_div_scale_f64 v[204:205], s[10:11], v[208:209], v[208:209], v[210:211]
	v_rcp_f64_e32 v[206:207], v[204:205]
	v_div_scale_f64 v[212:213], vcc, v[210:211], v[208:209], v[210:211]
	v_fma_f64 v[214:215], -v[204:205], v[206:207], 1.0
	v_fmac_f64_e32 v[206:207], v[206:207], v[214:215]
	v_fma_f64 v[214:215], -v[204:205], v[206:207], 1.0
	v_fmac_f64_e32 v[206:207], v[206:207], v[214:215]
	v_mul_f64 v[214:215], v[212:213], v[206:207]
	v_fma_f64 v[204:205], -v[204:205], v[214:215], v[212:213]
	v_div_fmas_f64 v[204:205], v[204:205], v[206:207], v[214:215]
	v_div_fixup_f64 v[206:207], v[204:205], v[208:209], v[210:211]
	v_fmac_f64_e32 v[208:209], v[210:211], v[206:207]
	v_div_scale_f64 v[204:205], s[10:11], v[208:209], v[208:209], 1.0
	v_rcp_f64_e32 v[210:211], v[204:205]
	s_nop 0
	v_fma_f64 v[212:213], -v[204:205], v[210:211], 1.0
	v_fmac_f64_e32 v[210:211], v[210:211], v[212:213]
	v_fma_f64 v[212:213], -v[204:205], v[210:211], 1.0
	v_fmac_f64_e32 v[210:211], v[210:211], v[212:213]
	v_div_scale_f64 v[212:213], vcc, 1.0, v[208:209], 1.0
	v_mul_f64 v[214:215], v[212:213], v[210:211]
	v_fma_f64 v[204:205], -v[204:205], v[214:215], v[212:213]
	s_nop 1
	v_div_fmas_f64 v[204:205], v[204:205], v[210:211], v[214:215]
	v_div_fixup_f64 v[204:205], v[204:205], v[208:209], 1.0
	v_mul_f64 v[206:207], v[206:207], -v[204:205]
.LBB113_232:
	s_or_b64 exec, exec, s[2:3]
	ds_write2_b64 v201, v[204:205], v[206:207] offset1:1
.LBB113_233:
	s_or_b64 exec, exec, s[4:5]
	s_waitcnt lgkmcnt(0)
	s_barrier
	ds_read2_b64 v[192:195], v201 offset1:1
	v_cmp_lt_u32_e32 vcc, 25, v200
	s_waitcnt lgkmcnt(0)
	scratch_store_dwordx4 off, v[192:195], off offset:968 ; 16-byte Folded Spill
	s_and_saveexec_b64 s[2:3], vcc
	s_cbranch_execz .LBB113_235
; %bb.234:
	scratch_load_dwordx4 v[192:195], off, off offset:968 ; 16-byte Folded Reload
	s_waitcnt vmcnt(0)
	v_mul_f64 v[204:205], v[194:195], v[122:123]
	v_fma_f64 v[208:209], v[192:193], v[120:121], -v[204:205]
	ds_read2_b64 v[204:207], v202 offset0:52 offset1:53
	v_mul_f64 v[122:123], v[192:193], v[122:123]
	v_fmac_f64_e32 v[122:123], v[194:195], v[120:121]
	s_waitcnt lgkmcnt(0)
	v_mul_f64 v[120:121], v[206:207], v[122:123]
	v_fma_f64 v[120:121], v[204:205], v[208:209], -v[120:121]
	v_mul_f64 v[204:205], v[204:205], v[122:123]
	v_fmac_f64_e32 v[204:205], v[206:207], v[208:209]
	v_add_f64 v[118:119], v[118:119], -v[204:205]
	ds_read2_b64 v[204:207], v202 offset0:54 offset1:55
	v_add_f64 v[116:117], v[116:117], -v[120:121]
	s_waitcnt lgkmcnt(0)
	v_mul_f64 v[120:121], v[206:207], v[122:123]
	v_fma_f64 v[120:121], v[204:205], v[208:209], -v[120:121]
	v_mul_f64 v[204:205], v[204:205], v[122:123]
	v_fmac_f64_e32 v[204:205], v[206:207], v[208:209]
	v_add_f64 v[114:115], v[114:115], -v[204:205]
	ds_read2_b64 v[204:207], v202 offset0:56 offset1:57
	v_add_f64 v[112:113], v[112:113], -v[120:121]
	;; [unrolled: 8-line block ×30, first 2 shown]
	s_waitcnt lgkmcnt(0)
	v_mul_f64 v[120:121], v[206:207], v[122:123]
	v_fma_f64 v[120:121], v[204:205], v[208:209], -v[120:121]
	v_mul_f64 v[204:205], v[204:205], v[122:123]
	v_fmac_f64_e32 v[204:205], v[206:207], v[208:209]
	v_add_f64 v[224:225], v[224:225], -v[120:121]
	v_add_f64 v[226:227], v[226:227], -v[204:205]
	v_mov_b64_e32 v[120:121], v[208:209]
.LBB113_235:
	s_or_b64 exec, exec, s[2:3]
	v_cmp_eq_u32_e32 vcc, 26, v200
	s_waitcnt vmcnt(63) expcnt(7) lgkmcnt(15)
	s_barrier
	s_and_saveexec_b64 s[4:5], vcc
	s_cbranch_execz .LBB113_242
; %bb.236:
	ds_write2_b64 v201, v[116:117], v[118:119] offset1:1
	ds_write2_b64 v202, v[112:113], v[114:115] offset0:54 offset1:55
	ds_write2_b64 v202, v[108:109], v[110:111] offset0:56 offset1:57
	;; [unrolled: 1-line block ×13, first 2 shown]
	s_waitcnt vmcnt(56)
	ds_write2_b64 v202, v[60:61], v[62:63] offset0:80 offset1:81
	s_waitcnt vmcnt(55)
	ds_write2_b64 v202, v[56:57], v[58:59] offset0:82 offset1:83
	;; [unrolled: 2-line block ×11, first 2 shown]
	ds_write2_b64 v202, v[16:17], v[18:19] offset0:102 offset1:103
	ds_write2_b64 v202, v[12:13], v[14:15] offset0:104 offset1:105
	;; [unrolled: 1-line block ×4, first 2 shown]
	s_waitcnt vmcnt(45)
	ds_write2_b64 v202, v[0:1], v[2:3] offset0:110 offset1:111
	s_waitcnt vmcnt(42)
	ds_write2_b64 v202, v[224:225], v[226:227] offset0:112 offset1:113
	ds_read2_b64 v[208:211], v201 offset1:1
	s_waitcnt lgkmcnt(0)
	v_cmp_neq_f64_e32 vcc, 0, v[208:209]
	v_cmp_neq_f64_e64 s[2:3], 0, v[210:211]
	s_or_b64 s[2:3], vcc, s[2:3]
	s_and_b64 exec, exec, s[2:3]
	s_cbranch_execz .LBB113_242
; %bb.237:
	v_cmp_ngt_f64_e64 s[2:3], |v[208:209]|, |v[210:211]|
                                        ; implicit-def: $vgpr204_vgpr205
	s_and_saveexec_b64 s[10:11], s[2:3]
	s_xor_b64 s[2:3], exec, s[10:11]
                                        ; implicit-def: $vgpr206_vgpr207
	s_cbranch_execz .LBB113_239
; %bb.238:
	v_div_scale_f64 v[204:205], s[10:11], v[210:211], v[210:211], v[208:209]
	v_rcp_f64_e32 v[206:207], v[204:205]
	v_div_scale_f64 v[212:213], vcc, v[208:209], v[210:211], v[208:209]
	v_fma_f64 v[214:215], -v[204:205], v[206:207], 1.0
	v_fmac_f64_e32 v[206:207], v[206:207], v[214:215]
	v_fma_f64 v[214:215], -v[204:205], v[206:207], 1.0
	v_fmac_f64_e32 v[206:207], v[206:207], v[214:215]
	v_mul_f64 v[214:215], v[212:213], v[206:207]
	v_fma_f64 v[204:205], -v[204:205], v[214:215], v[212:213]
	v_div_fmas_f64 v[204:205], v[204:205], v[206:207], v[214:215]
	v_div_fixup_f64 v[204:205], v[204:205], v[210:211], v[208:209]
	v_fmac_f64_e32 v[210:211], v[208:209], v[204:205]
	v_div_scale_f64 v[206:207], s[10:11], v[210:211], v[210:211], 1.0
	v_rcp_f64_e32 v[208:209], v[206:207]
	s_nop 0
	v_fma_f64 v[212:213], -v[206:207], v[208:209], 1.0
	v_fmac_f64_e32 v[208:209], v[208:209], v[212:213]
	v_fma_f64 v[212:213], -v[206:207], v[208:209], 1.0
	v_fmac_f64_e32 v[208:209], v[208:209], v[212:213]
	v_div_scale_f64 v[212:213], vcc, 1.0, v[210:211], 1.0
	v_mul_f64 v[214:215], v[212:213], v[208:209]
	v_fma_f64 v[206:207], -v[206:207], v[214:215], v[212:213]
	s_nop 1
	v_div_fmas_f64 v[206:207], v[206:207], v[208:209], v[214:215]
	v_div_fixup_f64 v[206:207], v[206:207], v[210:211], 1.0
	v_mul_f64 v[204:205], v[204:205], v[206:207]
	v_xor_b32_e32 v207, 0x80000000, v207
                                        ; implicit-def: $vgpr208_vgpr209
.LBB113_239:
	s_andn2_saveexec_b64 s[2:3], s[2:3]
	s_cbranch_execz .LBB113_241
; %bb.240:
	v_div_scale_f64 v[204:205], s[10:11], v[208:209], v[208:209], v[210:211]
	v_rcp_f64_e32 v[206:207], v[204:205]
	v_div_scale_f64 v[212:213], vcc, v[210:211], v[208:209], v[210:211]
	v_fma_f64 v[214:215], -v[204:205], v[206:207], 1.0
	v_fmac_f64_e32 v[206:207], v[206:207], v[214:215]
	v_fma_f64 v[214:215], -v[204:205], v[206:207], 1.0
	v_fmac_f64_e32 v[206:207], v[206:207], v[214:215]
	v_mul_f64 v[214:215], v[212:213], v[206:207]
	v_fma_f64 v[204:205], -v[204:205], v[214:215], v[212:213]
	v_div_fmas_f64 v[204:205], v[204:205], v[206:207], v[214:215]
	v_div_fixup_f64 v[206:207], v[204:205], v[208:209], v[210:211]
	v_fmac_f64_e32 v[208:209], v[210:211], v[206:207]
	v_div_scale_f64 v[204:205], s[10:11], v[208:209], v[208:209], 1.0
	v_rcp_f64_e32 v[210:211], v[204:205]
	s_nop 0
	v_fma_f64 v[212:213], -v[204:205], v[210:211], 1.0
	v_fmac_f64_e32 v[210:211], v[210:211], v[212:213]
	v_fma_f64 v[212:213], -v[204:205], v[210:211], 1.0
	v_fmac_f64_e32 v[210:211], v[210:211], v[212:213]
	v_div_scale_f64 v[212:213], vcc, 1.0, v[208:209], 1.0
	v_mul_f64 v[214:215], v[212:213], v[210:211]
	v_fma_f64 v[204:205], -v[204:205], v[214:215], v[212:213]
	s_nop 1
	v_div_fmas_f64 v[204:205], v[204:205], v[210:211], v[214:215]
	v_div_fixup_f64 v[204:205], v[204:205], v[208:209], 1.0
	v_mul_f64 v[206:207], v[206:207], -v[204:205]
.LBB113_241:
	s_or_b64 exec, exec, s[2:3]
	ds_write2_b64 v201, v[204:205], v[206:207] offset1:1
.LBB113_242:
	s_or_b64 exec, exec, s[4:5]
	s_waitcnt lgkmcnt(0)
	s_barrier
	ds_read2_b64 v[192:195], v201 offset1:1
	v_cmp_lt_u32_e32 vcc, 26, v200
	s_waitcnt lgkmcnt(0)
	scratch_store_dwordx4 off, v[192:195], off offset:984 ; 16-byte Folded Spill
	s_and_saveexec_b64 s[2:3], vcc
	s_cbranch_execz .LBB113_244
; %bb.243:
	scratch_load_dwordx4 v[192:195], off, off offset:984 ; 16-byte Folded Reload
	s_waitcnt vmcnt(0)
	v_mul_f64 v[204:205], v[194:195], v[118:119]
	v_fma_f64 v[208:209], v[192:193], v[116:117], -v[204:205]
	ds_read2_b64 v[204:207], v202 offset0:54 offset1:55
	v_mul_f64 v[118:119], v[192:193], v[118:119]
	v_fmac_f64_e32 v[118:119], v[194:195], v[116:117]
	s_waitcnt lgkmcnt(0)
	v_mul_f64 v[116:117], v[206:207], v[118:119]
	v_fma_f64 v[116:117], v[204:205], v[208:209], -v[116:117]
	v_mul_f64 v[204:205], v[204:205], v[118:119]
	v_fmac_f64_e32 v[204:205], v[206:207], v[208:209]
	v_add_f64 v[114:115], v[114:115], -v[204:205]
	ds_read2_b64 v[204:207], v202 offset0:56 offset1:57
	v_add_f64 v[112:113], v[112:113], -v[116:117]
	s_waitcnt lgkmcnt(0)
	v_mul_f64 v[116:117], v[206:207], v[118:119]
	v_fma_f64 v[116:117], v[204:205], v[208:209], -v[116:117]
	v_mul_f64 v[204:205], v[204:205], v[118:119]
	v_fmac_f64_e32 v[204:205], v[206:207], v[208:209]
	v_add_f64 v[110:111], v[110:111], -v[204:205]
	ds_read2_b64 v[204:207], v202 offset0:58 offset1:59
	v_add_f64 v[108:109], v[108:109], -v[116:117]
	;; [unrolled: 8-line block ×29, first 2 shown]
	s_waitcnt lgkmcnt(0)
	v_mul_f64 v[116:117], v[206:207], v[118:119]
	v_fma_f64 v[116:117], v[204:205], v[208:209], -v[116:117]
	v_mul_f64 v[204:205], v[204:205], v[118:119]
	v_fmac_f64_e32 v[204:205], v[206:207], v[208:209]
	v_add_f64 v[224:225], v[224:225], -v[116:117]
	v_add_f64 v[226:227], v[226:227], -v[204:205]
	v_mov_b64_e32 v[116:117], v[208:209]
.LBB113_244:
	s_or_b64 exec, exec, s[2:3]
	v_cmp_eq_u32_e32 vcc, 27, v200
	s_waitcnt vmcnt(63) expcnt(7) lgkmcnt(15)
	s_barrier
	s_and_saveexec_b64 s[4:5], vcc
	s_cbranch_execz .LBB113_251
; %bb.245:
	ds_write2_b64 v201, v[112:113], v[114:115] offset1:1
	ds_write2_b64 v202, v[108:109], v[110:111] offset0:56 offset1:57
	ds_write2_b64 v202, v[104:105], v[106:107] offset0:58 offset1:59
	;; [unrolled: 1-line block ×12, first 2 shown]
	s_waitcnt vmcnt(57)
	ds_write2_b64 v202, v[60:61], v[62:63] offset0:80 offset1:81
	s_waitcnt vmcnt(56)
	ds_write2_b64 v202, v[56:57], v[58:59] offset0:82 offset1:83
	;; [unrolled: 2-line block ×11, first 2 shown]
	ds_write2_b64 v202, v[16:17], v[18:19] offset0:102 offset1:103
	ds_write2_b64 v202, v[12:13], v[14:15] offset0:104 offset1:105
	;; [unrolled: 1-line block ×4, first 2 shown]
	s_waitcnt vmcnt(46)
	ds_write2_b64 v202, v[0:1], v[2:3] offset0:110 offset1:111
	s_waitcnt vmcnt(43)
	ds_write2_b64 v202, v[224:225], v[226:227] offset0:112 offset1:113
	ds_read2_b64 v[208:211], v201 offset1:1
	s_waitcnt lgkmcnt(0)
	v_cmp_neq_f64_e32 vcc, 0, v[208:209]
	v_cmp_neq_f64_e64 s[2:3], 0, v[210:211]
	s_or_b64 s[2:3], vcc, s[2:3]
	s_and_b64 exec, exec, s[2:3]
	s_cbranch_execz .LBB113_251
; %bb.246:
	v_cmp_ngt_f64_e64 s[2:3], |v[208:209]|, |v[210:211]|
                                        ; implicit-def: $vgpr204_vgpr205
	s_and_saveexec_b64 s[10:11], s[2:3]
	s_xor_b64 s[2:3], exec, s[10:11]
                                        ; implicit-def: $vgpr206_vgpr207
	s_cbranch_execz .LBB113_248
; %bb.247:
	v_div_scale_f64 v[204:205], s[10:11], v[210:211], v[210:211], v[208:209]
	v_rcp_f64_e32 v[206:207], v[204:205]
	v_div_scale_f64 v[212:213], vcc, v[208:209], v[210:211], v[208:209]
	v_fma_f64 v[214:215], -v[204:205], v[206:207], 1.0
	v_fmac_f64_e32 v[206:207], v[206:207], v[214:215]
	v_fma_f64 v[214:215], -v[204:205], v[206:207], 1.0
	v_fmac_f64_e32 v[206:207], v[206:207], v[214:215]
	v_mul_f64 v[214:215], v[212:213], v[206:207]
	v_fma_f64 v[204:205], -v[204:205], v[214:215], v[212:213]
	v_div_fmas_f64 v[204:205], v[204:205], v[206:207], v[214:215]
	v_div_fixup_f64 v[204:205], v[204:205], v[210:211], v[208:209]
	v_fmac_f64_e32 v[210:211], v[208:209], v[204:205]
	v_div_scale_f64 v[206:207], s[10:11], v[210:211], v[210:211], 1.0
	v_rcp_f64_e32 v[208:209], v[206:207]
	s_nop 0
	v_fma_f64 v[212:213], -v[206:207], v[208:209], 1.0
	v_fmac_f64_e32 v[208:209], v[208:209], v[212:213]
	v_fma_f64 v[212:213], -v[206:207], v[208:209], 1.0
	v_fmac_f64_e32 v[208:209], v[208:209], v[212:213]
	v_div_scale_f64 v[212:213], vcc, 1.0, v[210:211], 1.0
	v_mul_f64 v[214:215], v[212:213], v[208:209]
	v_fma_f64 v[206:207], -v[206:207], v[214:215], v[212:213]
	s_nop 1
	v_div_fmas_f64 v[206:207], v[206:207], v[208:209], v[214:215]
	v_div_fixup_f64 v[206:207], v[206:207], v[210:211], 1.0
	v_mul_f64 v[204:205], v[204:205], v[206:207]
	v_xor_b32_e32 v207, 0x80000000, v207
                                        ; implicit-def: $vgpr208_vgpr209
.LBB113_248:
	s_andn2_saveexec_b64 s[2:3], s[2:3]
	s_cbranch_execz .LBB113_250
; %bb.249:
	v_div_scale_f64 v[204:205], s[10:11], v[208:209], v[208:209], v[210:211]
	v_rcp_f64_e32 v[206:207], v[204:205]
	v_div_scale_f64 v[212:213], vcc, v[210:211], v[208:209], v[210:211]
	v_fma_f64 v[214:215], -v[204:205], v[206:207], 1.0
	v_fmac_f64_e32 v[206:207], v[206:207], v[214:215]
	v_fma_f64 v[214:215], -v[204:205], v[206:207], 1.0
	v_fmac_f64_e32 v[206:207], v[206:207], v[214:215]
	v_mul_f64 v[214:215], v[212:213], v[206:207]
	v_fma_f64 v[204:205], -v[204:205], v[214:215], v[212:213]
	v_div_fmas_f64 v[204:205], v[204:205], v[206:207], v[214:215]
	v_div_fixup_f64 v[206:207], v[204:205], v[208:209], v[210:211]
	v_fmac_f64_e32 v[208:209], v[210:211], v[206:207]
	v_div_scale_f64 v[204:205], s[10:11], v[208:209], v[208:209], 1.0
	v_rcp_f64_e32 v[210:211], v[204:205]
	s_nop 0
	v_fma_f64 v[212:213], -v[204:205], v[210:211], 1.0
	v_fmac_f64_e32 v[210:211], v[210:211], v[212:213]
	v_fma_f64 v[212:213], -v[204:205], v[210:211], 1.0
	v_fmac_f64_e32 v[210:211], v[210:211], v[212:213]
	v_div_scale_f64 v[212:213], vcc, 1.0, v[208:209], 1.0
	v_mul_f64 v[214:215], v[212:213], v[210:211]
	v_fma_f64 v[204:205], -v[204:205], v[214:215], v[212:213]
	s_nop 1
	v_div_fmas_f64 v[204:205], v[204:205], v[210:211], v[214:215]
	v_div_fixup_f64 v[204:205], v[204:205], v[208:209], 1.0
	v_mul_f64 v[206:207], v[206:207], -v[204:205]
.LBB113_250:
	s_or_b64 exec, exec, s[2:3]
	ds_write2_b64 v201, v[204:205], v[206:207] offset1:1
.LBB113_251:
	s_or_b64 exec, exec, s[4:5]
	s_waitcnt lgkmcnt(0)
	s_barrier
	ds_read2_b64 v[192:195], v201 offset1:1
	v_cmp_lt_u32_e32 vcc, 27, v200
	s_waitcnt lgkmcnt(0)
	scratch_store_dwordx4 off, v[192:195], off offset:1000 ; 16-byte Folded Spill
	s_and_saveexec_b64 s[2:3], vcc
	s_cbranch_execz .LBB113_253
; %bb.252:
	scratch_load_dwordx4 v[192:195], off, off offset:1000 ; 16-byte Folded Reload
	s_waitcnt vmcnt(0)
	v_mul_f64 v[204:205], v[194:195], v[114:115]
	v_fma_f64 v[208:209], v[192:193], v[112:113], -v[204:205]
	ds_read2_b64 v[204:207], v202 offset0:56 offset1:57
	v_mul_f64 v[114:115], v[192:193], v[114:115]
	v_fmac_f64_e32 v[114:115], v[194:195], v[112:113]
	s_waitcnt lgkmcnt(0)
	v_mul_f64 v[112:113], v[206:207], v[114:115]
	v_fma_f64 v[112:113], v[204:205], v[208:209], -v[112:113]
	v_mul_f64 v[204:205], v[204:205], v[114:115]
	v_fmac_f64_e32 v[204:205], v[206:207], v[208:209]
	v_add_f64 v[110:111], v[110:111], -v[204:205]
	ds_read2_b64 v[204:207], v202 offset0:58 offset1:59
	v_add_f64 v[108:109], v[108:109], -v[112:113]
	s_waitcnt lgkmcnt(0)
	v_mul_f64 v[112:113], v[206:207], v[114:115]
	v_fma_f64 v[112:113], v[204:205], v[208:209], -v[112:113]
	v_mul_f64 v[204:205], v[204:205], v[114:115]
	v_fmac_f64_e32 v[204:205], v[206:207], v[208:209]
	v_add_f64 v[106:107], v[106:107], -v[204:205]
	ds_read2_b64 v[204:207], v202 offset0:60 offset1:61
	v_add_f64 v[104:105], v[104:105], -v[112:113]
	;; [unrolled: 8-line block ×28, first 2 shown]
	s_waitcnt lgkmcnt(0)
	v_mul_f64 v[112:113], v[206:207], v[114:115]
	v_fma_f64 v[112:113], v[204:205], v[208:209], -v[112:113]
	v_mul_f64 v[204:205], v[204:205], v[114:115]
	v_fmac_f64_e32 v[204:205], v[206:207], v[208:209]
	v_add_f64 v[224:225], v[224:225], -v[112:113]
	v_add_f64 v[226:227], v[226:227], -v[204:205]
	v_mov_b64_e32 v[112:113], v[208:209]
.LBB113_253:
	s_or_b64 exec, exec, s[2:3]
	v_cmp_eq_u32_e32 vcc, 28, v200
	s_waitcnt vmcnt(63) expcnt(7) lgkmcnt(15)
	s_barrier
	s_and_saveexec_b64 s[4:5], vcc
	s_cbranch_execz .LBB113_260
; %bb.254:
	ds_write2_b64 v201, v[108:109], v[110:111] offset1:1
	ds_write2_b64 v202, v[104:105], v[106:107] offset0:58 offset1:59
	ds_write2_b64 v202, v[100:101], v[102:103] offset0:60 offset1:61
	;; [unrolled: 1-line block ×11, first 2 shown]
	s_waitcnt vmcnt(58)
	ds_write2_b64 v202, v[60:61], v[62:63] offset0:80 offset1:81
	s_waitcnt vmcnt(57)
	ds_write2_b64 v202, v[56:57], v[58:59] offset0:82 offset1:83
	;; [unrolled: 2-line block ×11, first 2 shown]
	ds_write2_b64 v202, v[16:17], v[18:19] offset0:102 offset1:103
	ds_write2_b64 v202, v[12:13], v[14:15] offset0:104 offset1:105
	;; [unrolled: 1-line block ×4, first 2 shown]
	s_waitcnt vmcnt(47)
	ds_write2_b64 v202, v[0:1], v[2:3] offset0:110 offset1:111
	s_waitcnt vmcnt(44)
	ds_write2_b64 v202, v[224:225], v[226:227] offset0:112 offset1:113
	ds_read2_b64 v[208:211], v201 offset1:1
	s_waitcnt lgkmcnt(0)
	v_cmp_neq_f64_e32 vcc, 0, v[208:209]
	v_cmp_neq_f64_e64 s[2:3], 0, v[210:211]
	s_or_b64 s[2:3], vcc, s[2:3]
	s_and_b64 exec, exec, s[2:3]
	s_cbranch_execz .LBB113_260
; %bb.255:
	v_cmp_ngt_f64_e64 s[2:3], |v[208:209]|, |v[210:211]|
                                        ; implicit-def: $vgpr204_vgpr205
	s_and_saveexec_b64 s[10:11], s[2:3]
	s_xor_b64 s[2:3], exec, s[10:11]
                                        ; implicit-def: $vgpr206_vgpr207
	s_cbranch_execz .LBB113_257
; %bb.256:
	v_div_scale_f64 v[204:205], s[10:11], v[210:211], v[210:211], v[208:209]
	v_rcp_f64_e32 v[206:207], v[204:205]
	v_div_scale_f64 v[212:213], vcc, v[208:209], v[210:211], v[208:209]
	v_fma_f64 v[214:215], -v[204:205], v[206:207], 1.0
	v_fmac_f64_e32 v[206:207], v[206:207], v[214:215]
	v_fma_f64 v[214:215], -v[204:205], v[206:207], 1.0
	v_fmac_f64_e32 v[206:207], v[206:207], v[214:215]
	v_mul_f64 v[214:215], v[212:213], v[206:207]
	v_fma_f64 v[204:205], -v[204:205], v[214:215], v[212:213]
	v_div_fmas_f64 v[204:205], v[204:205], v[206:207], v[214:215]
	v_div_fixup_f64 v[204:205], v[204:205], v[210:211], v[208:209]
	v_fmac_f64_e32 v[210:211], v[208:209], v[204:205]
	v_div_scale_f64 v[206:207], s[10:11], v[210:211], v[210:211], 1.0
	v_rcp_f64_e32 v[208:209], v[206:207]
	s_nop 0
	v_fma_f64 v[212:213], -v[206:207], v[208:209], 1.0
	v_fmac_f64_e32 v[208:209], v[208:209], v[212:213]
	v_fma_f64 v[212:213], -v[206:207], v[208:209], 1.0
	v_fmac_f64_e32 v[208:209], v[208:209], v[212:213]
	v_div_scale_f64 v[212:213], vcc, 1.0, v[210:211], 1.0
	v_mul_f64 v[214:215], v[212:213], v[208:209]
	v_fma_f64 v[206:207], -v[206:207], v[214:215], v[212:213]
	s_nop 1
	v_div_fmas_f64 v[206:207], v[206:207], v[208:209], v[214:215]
	v_div_fixup_f64 v[206:207], v[206:207], v[210:211], 1.0
	v_mul_f64 v[204:205], v[204:205], v[206:207]
	v_xor_b32_e32 v207, 0x80000000, v207
                                        ; implicit-def: $vgpr208_vgpr209
.LBB113_257:
	s_andn2_saveexec_b64 s[2:3], s[2:3]
	s_cbranch_execz .LBB113_259
; %bb.258:
	v_div_scale_f64 v[204:205], s[10:11], v[208:209], v[208:209], v[210:211]
	v_rcp_f64_e32 v[206:207], v[204:205]
	v_div_scale_f64 v[212:213], vcc, v[210:211], v[208:209], v[210:211]
	v_fma_f64 v[214:215], -v[204:205], v[206:207], 1.0
	v_fmac_f64_e32 v[206:207], v[206:207], v[214:215]
	v_fma_f64 v[214:215], -v[204:205], v[206:207], 1.0
	v_fmac_f64_e32 v[206:207], v[206:207], v[214:215]
	v_mul_f64 v[214:215], v[212:213], v[206:207]
	v_fma_f64 v[204:205], -v[204:205], v[214:215], v[212:213]
	v_div_fmas_f64 v[204:205], v[204:205], v[206:207], v[214:215]
	v_div_fixup_f64 v[206:207], v[204:205], v[208:209], v[210:211]
	v_fmac_f64_e32 v[208:209], v[210:211], v[206:207]
	v_div_scale_f64 v[204:205], s[10:11], v[208:209], v[208:209], 1.0
	v_rcp_f64_e32 v[210:211], v[204:205]
	s_nop 0
	v_fma_f64 v[212:213], -v[204:205], v[210:211], 1.0
	v_fmac_f64_e32 v[210:211], v[210:211], v[212:213]
	v_fma_f64 v[212:213], -v[204:205], v[210:211], 1.0
	v_fmac_f64_e32 v[210:211], v[210:211], v[212:213]
	v_div_scale_f64 v[212:213], vcc, 1.0, v[208:209], 1.0
	v_mul_f64 v[214:215], v[212:213], v[210:211]
	v_fma_f64 v[204:205], -v[204:205], v[214:215], v[212:213]
	s_nop 1
	v_div_fmas_f64 v[204:205], v[204:205], v[210:211], v[214:215]
	v_div_fixup_f64 v[204:205], v[204:205], v[208:209], 1.0
	v_mul_f64 v[206:207], v[206:207], -v[204:205]
.LBB113_259:
	s_or_b64 exec, exec, s[2:3]
	ds_write2_b64 v201, v[204:205], v[206:207] offset1:1
.LBB113_260:
	s_or_b64 exec, exec, s[4:5]
	s_waitcnt lgkmcnt(0)
	s_barrier
	ds_read2_b64 v[192:195], v201 offset1:1
	v_cmp_lt_u32_e32 vcc, 28, v200
	s_waitcnt lgkmcnt(0)
	scratch_store_dwordx4 off, v[192:195], off offset:1016 ; 16-byte Folded Spill
	s_and_saveexec_b64 s[2:3], vcc
	s_cbranch_execz .LBB113_262
; %bb.261:
	scratch_load_dwordx4 v[192:195], off, off offset:1016 ; 16-byte Folded Reload
	s_waitcnt vmcnt(0)
	v_mul_f64 v[204:205], v[194:195], v[110:111]
	v_fma_f64 v[208:209], v[192:193], v[108:109], -v[204:205]
	ds_read2_b64 v[204:207], v202 offset0:58 offset1:59
	v_mul_f64 v[110:111], v[192:193], v[110:111]
	v_fmac_f64_e32 v[110:111], v[194:195], v[108:109]
	s_waitcnt lgkmcnt(0)
	v_mul_f64 v[108:109], v[206:207], v[110:111]
	v_fma_f64 v[108:109], v[204:205], v[208:209], -v[108:109]
	v_mul_f64 v[204:205], v[204:205], v[110:111]
	v_fmac_f64_e32 v[204:205], v[206:207], v[208:209]
	v_add_f64 v[106:107], v[106:107], -v[204:205]
	ds_read2_b64 v[204:207], v202 offset0:60 offset1:61
	v_add_f64 v[104:105], v[104:105], -v[108:109]
	s_waitcnt lgkmcnt(0)
	v_mul_f64 v[108:109], v[206:207], v[110:111]
	v_fma_f64 v[108:109], v[204:205], v[208:209], -v[108:109]
	v_mul_f64 v[204:205], v[204:205], v[110:111]
	v_fmac_f64_e32 v[204:205], v[206:207], v[208:209]
	v_add_f64 v[102:103], v[102:103], -v[204:205]
	ds_read2_b64 v[204:207], v202 offset0:62 offset1:63
	v_add_f64 v[100:101], v[100:101], -v[108:109]
	;; [unrolled: 8-line block ×27, first 2 shown]
	s_waitcnt lgkmcnt(0)
	v_mul_f64 v[108:109], v[206:207], v[110:111]
	v_fma_f64 v[108:109], v[204:205], v[208:209], -v[108:109]
	v_mul_f64 v[204:205], v[204:205], v[110:111]
	v_fmac_f64_e32 v[204:205], v[206:207], v[208:209]
	v_add_f64 v[224:225], v[224:225], -v[108:109]
	v_add_f64 v[226:227], v[226:227], -v[204:205]
	v_mov_b64_e32 v[108:109], v[208:209]
.LBB113_262:
	s_or_b64 exec, exec, s[2:3]
	v_cmp_eq_u32_e32 vcc, 29, v200
	s_waitcnt vmcnt(63) expcnt(7) lgkmcnt(15)
	s_barrier
	s_and_saveexec_b64 s[4:5], vcc
	s_cbranch_execz .LBB113_269
; %bb.263:
	ds_write2_b64 v201, v[104:105], v[106:107] offset1:1
	ds_write2_b64 v202, v[100:101], v[102:103] offset0:60 offset1:61
	ds_write2_b64 v202, v[96:97], v[98:99] offset0:62 offset1:63
	;; [unrolled: 1-line block ×10, first 2 shown]
	s_waitcnt vmcnt(59)
	ds_write2_b64 v202, v[60:61], v[62:63] offset0:80 offset1:81
	s_waitcnt vmcnt(58)
	ds_write2_b64 v202, v[56:57], v[58:59] offset0:82 offset1:83
	;; [unrolled: 2-line block ×11, first 2 shown]
	ds_write2_b64 v202, v[16:17], v[18:19] offset0:102 offset1:103
	ds_write2_b64 v202, v[12:13], v[14:15] offset0:104 offset1:105
	;; [unrolled: 1-line block ×4, first 2 shown]
	s_waitcnt vmcnt(48)
	ds_write2_b64 v202, v[0:1], v[2:3] offset0:110 offset1:111
	s_waitcnt vmcnt(45)
	ds_write2_b64 v202, v[224:225], v[226:227] offset0:112 offset1:113
	ds_read2_b64 v[208:211], v201 offset1:1
	s_waitcnt lgkmcnt(0)
	v_cmp_neq_f64_e32 vcc, 0, v[208:209]
	v_cmp_neq_f64_e64 s[2:3], 0, v[210:211]
	s_or_b64 s[2:3], vcc, s[2:3]
	s_and_b64 exec, exec, s[2:3]
	s_cbranch_execz .LBB113_269
; %bb.264:
	v_cmp_ngt_f64_e64 s[2:3], |v[208:209]|, |v[210:211]|
                                        ; implicit-def: $vgpr204_vgpr205
	s_and_saveexec_b64 s[10:11], s[2:3]
	s_xor_b64 s[2:3], exec, s[10:11]
                                        ; implicit-def: $vgpr206_vgpr207
	s_cbranch_execz .LBB113_266
; %bb.265:
	v_div_scale_f64 v[204:205], s[10:11], v[210:211], v[210:211], v[208:209]
	v_rcp_f64_e32 v[206:207], v[204:205]
	v_div_scale_f64 v[212:213], vcc, v[208:209], v[210:211], v[208:209]
	v_fma_f64 v[214:215], -v[204:205], v[206:207], 1.0
	v_fmac_f64_e32 v[206:207], v[206:207], v[214:215]
	v_fma_f64 v[214:215], -v[204:205], v[206:207], 1.0
	v_fmac_f64_e32 v[206:207], v[206:207], v[214:215]
	v_mul_f64 v[214:215], v[212:213], v[206:207]
	v_fma_f64 v[204:205], -v[204:205], v[214:215], v[212:213]
	v_div_fmas_f64 v[204:205], v[204:205], v[206:207], v[214:215]
	v_div_fixup_f64 v[204:205], v[204:205], v[210:211], v[208:209]
	v_fmac_f64_e32 v[210:211], v[208:209], v[204:205]
	v_div_scale_f64 v[206:207], s[10:11], v[210:211], v[210:211], 1.0
	v_rcp_f64_e32 v[208:209], v[206:207]
	s_nop 0
	v_fma_f64 v[212:213], -v[206:207], v[208:209], 1.0
	v_fmac_f64_e32 v[208:209], v[208:209], v[212:213]
	v_fma_f64 v[212:213], -v[206:207], v[208:209], 1.0
	v_fmac_f64_e32 v[208:209], v[208:209], v[212:213]
	v_div_scale_f64 v[212:213], vcc, 1.0, v[210:211], 1.0
	v_mul_f64 v[214:215], v[212:213], v[208:209]
	v_fma_f64 v[206:207], -v[206:207], v[214:215], v[212:213]
	s_nop 1
	v_div_fmas_f64 v[206:207], v[206:207], v[208:209], v[214:215]
	v_div_fixup_f64 v[206:207], v[206:207], v[210:211], 1.0
	v_mul_f64 v[204:205], v[204:205], v[206:207]
	v_xor_b32_e32 v207, 0x80000000, v207
                                        ; implicit-def: $vgpr208_vgpr209
.LBB113_266:
	s_andn2_saveexec_b64 s[2:3], s[2:3]
	s_cbranch_execz .LBB113_268
; %bb.267:
	v_div_scale_f64 v[204:205], s[10:11], v[208:209], v[208:209], v[210:211]
	v_rcp_f64_e32 v[206:207], v[204:205]
	v_div_scale_f64 v[212:213], vcc, v[210:211], v[208:209], v[210:211]
	v_fma_f64 v[214:215], -v[204:205], v[206:207], 1.0
	v_fmac_f64_e32 v[206:207], v[206:207], v[214:215]
	v_fma_f64 v[214:215], -v[204:205], v[206:207], 1.0
	v_fmac_f64_e32 v[206:207], v[206:207], v[214:215]
	v_mul_f64 v[214:215], v[212:213], v[206:207]
	v_fma_f64 v[204:205], -v[204:205], v[214:215], v[212:213]
	v_div_fmas_f64 v[204:205], v[204:205], v[206:207], v[214:215]
	v_div_fixup_f64 v[206:207], v[204:205], v[208:209], v[210:211]
	v_fmac_f64_e32 v[208:209], v[210:211], v[206:207]
	v_div_scale_f64 v[204:205], s[10:11], v[208:209], v[208:209], 1.0
	v_rcp_f64_e32 v[210:211], v[204:205]
	s_nop 0
	v_fma_f64 v[212:213], -v[204:205], v[210:211], 1.0
	v_fmac_f64_e32 v[210:211], v[210:211], v[212:213]
	v_fma_f64 v[212:213], -v[204:205], v[210:211], 1.0
	v_fmac_f64_e32 v[210:211], v[210:211], v[212:213]
	v_div_scale_f64 v[212:213], vcc, 1.0, v[208:209], 1.0
	v_mul_f64 v[214:215], v[212:213], v[210:211]
	v_fma_f64 v[204:205], -v[204:205], v[214:215], v[212:213]
	s_nop 1
	v_div_fmas_f64 v[204:205], v[204:205], v[210:211], v[214:215]
	v_div_fixup_f64 v[204:205], v[204:205], v[208:209], 1.0
	v_mul_f64 v[206:207], v[206:207], -v[204:205]
.LBB113_268:
	s_or_b64 exec, exec, s[2:3]
	ds_write2_b64 v201, v[204:205], v[206:207] offset1:1
.LBB113_269:
	s_or_b64 exec, exec, s[4:5]
	s_waitcnt lgkmcnt(0)
	s_barrier
	ds_read2_b64 v[192:195], v201 offset1:1
	v_cmp_lt_u32_e32 vcc, 29, v200
	s_waitcnt lgkmcnt(0)
	scratch_store_dwordx4 off, v[192:195], off offset:1032 ; 16-byte Folded Spill
	s_and_saveexec_b64 s[2:3], vcc
	s_cbranch_execz .LBB113_271
; %bb.270:
	scratch_load_dwordx4 v[192:195], off, off offset:1032 ; 16-byte Folded Reload
	s_waitcnt vmcnt(0)
	v_mul_f64 v[204:205], v[194:195], v[106:107]
	v_fma_f64 v[208:209], v[192:193], v[104:105], -v[204:205]
	ds_read2_b64 v[204:207], v202 offset0:60 offset1:61
	v_mul_f64 v[106:107], v[192:193], v[106:107]
	v_fmac_f64_e32 v[106:107], v[194:195], v[104:105]
	s_waitcnt lgkmcnt(0)
	v_mul_f64 v[104:105], v[206:207], v[106:107]
	v_fma_f64 v[104:105], v[204:205], v[208:209], -v[104:105]
	v_mul_f64 v[204:205], v[204:205], v[106:107]
	v_fmac_f64_e32 v[204:205], v[206:207], v[208:209]
	v_add_f64 v[102:103], v[102:103], -v[204:205]
	ds_read2_b64 v[204:207], v202 offset0:62 offset1:63
	v_add_f64 v[100:101], v[100:101], -v[104:105]
	s_waitcnt lgkmcnt(0)
	v_mul_f64 v[104:105], v[206:207], v[106:107]
	v_fma_f64 v[104:105], v[204:205], v[208:209], -v[104:105]
	v_mul_f64 v[204:205], v[204:205], v[106:107]
	v_fmac_f64_e32 v[204:205], v[206:207], v[208:209]
	v_add_f64 v[98:99], v[98:99], -v[204:205]
	ds_read2_b64 v[204:207], v202 offset0:64 offset1:65
	v_add_f64 v[96:97], v[96:97], -v[104:105]
	;; [unrolled: 8-line block ×26, first 2 shown]
	s_waitcnt lgkmcnt(0)
	v_mul_f64 v[104:105], v[206:207], v[106:107]
	v_fma_f64 v[104:105], v[204:205], v[208:209], -v[104:105]
	v_mul_f64 v[204:205], v[204:205], v[106:107]
	v_fmac_f64_e32 v[204:205], v[206:207], v[208:209]
	v_add_f64 v[224:225], v[224:225], -v[104:105]
	v_add_f64 v[226:227], v[226:227], -v[204:205]
	v_mov_b64_e32 v[104:105], v[208:209]
.LBB113_271:
	s_or_b64 exec, exec, s[2:3]
	v_cmp_eq_u32_e32 vcc, 30, v200
	s_waitcnt vmcnt(63) expcnt(7) lgkmcnt(15)
	s_barrier
	s_and_saveexec_b64 s[4:5], vcc
	s_cbranch_execz .LBB113_278
; %bb.272:
	ds_write2_b64 v201, v[100:101], v[102:103] offset1:1
	ds_write2_b64 v202, v[96:97], v[98:99] offset0:62 offset1:63
	ds_write2_b64 v202, v[92:93], v[94:95] offset0:64 offset1:65
	;; [unrolled: 1-line block ×9, first 2 shown]
	s_waitcnt vmcnt(60)
	ds_write2_b64 v202, v[60:61], v[62:63] offset0:80 offset1:81
	s_waitcnt vmcnt(59)
	ds_write2_b64 v202, v[56:57], v[58:59] offset0:82 offset1:83
	;; [unrolled: 2-line block ×11, first 2 shown]
	ds_write2_b64 v202, v[16:17], v[18:19] offset0:102 offset1:103
	ds_write2_b64 v202, v[12:13], v[14:15] offset0:104 offset1:105
	;; [unrolled: 1-line block ×4, first 2 shown]
	s_waitcnt vmcnt(49)
	ds_write2_b64 v202, v[0:1], v[2:3] offset0:110 offset1:111
	s_waitcnt vmcnt(46)
	ds_write2_b64 v202, v[224:225], v[226:227] offset0:112 offset1:113
	ds_read2_b64 v[208:211], v201 offset1:1
	s_waitcnt lgkmcnt(0)
	v_cmp_neq_f64_e32 vcc, 0, v[208:209]
	v_cmp_neq_f64_e64 s[2:3], 0, v[210:211]
	s_or_b64 s[2:3], vcc, s[2:3]
	s_and_b64 exec, exec, s[2:3]
	s_cbranch_execz .LBB113_278
; %bb.273:
	v_cmp_ngt_f64_e64 s[2:3], |v[208:209]|, |v[210:211]|
                                        ; implicit-def: $vgpr204_vgpr205
	s_and_saveexec_b64 s[10:11], s[2:3]
	s_xor_b64 s[2:3], exec, s[10:11]
                                        ; implicit-def: $vgpr206_vgpr207
	s_cbranch_execz .LBB113_275
; %bb.274:
	v_div_scale_f64 v[204:205], s[10:11], v[210:211], v[210:211], v[208:209]
	v_rcp_f64_e32 v[206:207], v[204:205]
	v_div_scale_f64 v[212:213], vcc, v[208:209], v[210:211], v[208:209]
	v_fma_f64 v[214:215], -v[204:205], v[206:207], 1.0
	v_fmac_f64_e32 v[206:207], v[206:207], v[214:215]
	v_fma_f64 v[214:215], -v[204:205], v[206:207], 1.0
	v_fmac_f64_e32 v[206:207], v[206:207], v[214:215]
	v_mul_f64 v[214:215], v[212:213], v[206:207]
	v_fma_f64 v[204:205], -v[204:205], v[214:215], v[212:213]
	v_div_fmas_f64 v[204:205], v[204:205], v[206:207], v[214:215]
	v_div_fixup_f64 v[204:205], v[204:205], v[210:211], v[208:209]
	v_fmac_f64_e32 v[210:211], v[208:209], v[204:205]
	v_div_scale_f64 v[206:207], s[10:11], v[210:211], v[210:211], 1.0
	v_rcp_f64_e32 v[208:209], v[206:207]
	s_nop 0
	v_fma_f64 v[212:213], -v[206:207], v[208:209], 1.0
	v_fmac_f64_e32 v[208:209], v[208:209], v[212:213]
	v_fma_f64 v[212:213], -v[206:207], v[208:209], 1.0
	v_fmac_f64_e32 v[208:209], v[208:209], v[212:213]
	v_div_scale_f64 v[212:213], vcc, 1.0, v[210:211], 1.0
	v_mul_f64 v[214:215], v[212:213], v[208:209]
	v_fma_f64 v[206:207], -v[206:207], v[214:215], v[212:213]
	s_nop 1
	v_div_fmas_f64 v[206:207], v[206:207], v[208:209], v[214:215]
	v_div_fixup_f64 v[206:207], v[206:207], v[210:211], 1.0
	v_mul_f64 v[204:205], v[204:205], v[206:207]
	v_xor_b32_e32 v207, 0x80000000, v207
                                        ; implicit-def: $vgpr208_vgpr209
.LBB113_275:
	s_andn2_saveexec_b64 s[2:3], s[2:3]
	s_cbranch_execz .LBB113_277
; %bb.276:
	v_div_scale_f64 v[204:205], s[10:11], v[208:209], v[208:209], v[210:211]
	v_rcp_f64_e32 v[206:207], v[204:205]
	v_div_scale_f64 v[212:213], vcc, v[210:211], v[208:209], v[210:211]
	v_fma_f64 v[214:215], -v[204:205], v[206:207], 1.0
	v_fmac_f64_e32 v[206:207], v[206:207], v[214:215]
	v_fma_f64 v[214:215], -v[204:205], v[206:207], 1.0
	v_fmac_f64_e32 v[206:207], v[206:207], v[214:215]
	v_mul_f64 v[214:215], v[212:213], v[206:207]
	v_fma_f64 v[204:205], -v[204:205], v[214:215], v[212:213]
	v_div_fmas_f64 v[204:205], v[204:205], v[206:207], v[214:215]
	v_div_fixup_f64 v[206:207], v[204:205], v[208:209], v[210:211]
	v_fmac_f64_e32 v[208:209], v[210:211], v[206:207]
	v_div_scale_f64 v[204:205], s[10:11], v[208:209], v[208:209], 1.0
	v_rcp_f64_e32 v[210:211], v[204:205]
	s_nop 0
	v_fma_f64 v[212:213], -v[204:205], v[210:211], 1.0
	v_fmac_f64_e32 v[210:211], v[210:211], v[212:213]
	v_fma_f64 v[212:213], -v[204:205], v[210:211], 1.0
	v_fmac_f64_e32 v[210:211], v[210:211], v[212:213]
	v_div_scale_f64 v[212:213], vcc, 1.0, v[208:209], 1.0
	v_mul_f64 v[214:215], v[212:213], v[210:211]
	v_fma_f64 v[204:205], -v[204:205], v[214:215], v[212:213]
	s_nop 1
	v_div_fmas_f64 v[204:205], v[204:205], v[210:211], v[214:215]
	v_div_fixup_f64 v[204:205], v[204:205], v[208:209], 1.0
	v_mul_f64 v[206:207], v[206:207], -v[204:205]
.LBB113_277:
	s_or_b64 exec, exec, s[2:3]
	ds_write2_b64 v201, v[204:205], v[206:207] offset1:1
.LBB113_278:
	s_or_b64 exec, exec, s[4:5]
	s_waitcnt lgkmcnt(0)
	s_barrier
	ds_read2_b64 v[192:195], v201 offset1:1
	v_cmp_lt_u32_e32 vcc, 30, v200
	s_waitcnt lgkmcnt(0)
	scratch_store_dwordx4 off, v[192:195], off offset:1048 ; 16-byte Folded Spill
	s_and_saveexec_b64 s[2:3], vcc
	s_cbranch_execz .LBB113_280
; %bb.279:
	scratch_load_dwordx4 v[192:195], off, off offset:1048 ; 16-byte Folded Reload
	s_waitcnt vmcnt(0)
	v_mul_f64 v[204:205], v[194:195], v[102:103]
	v_fma_f64 v[208:209], v[192:193], v[100:101], -v[204:205]
	ds_read2_b64 v[204:207], v202 offset0:62 offset1:63
	v_mul_f64 v[102:103], v[192:193], v[102:103]
	v_fmac_f64_e32 v[102:103], v[194:195], v[100:101]
	s_waitcnt lgkmcnt(0)
	v_mul_f64 v[100:101], v[206:207], v[102:103]
	v_fma_f64 v[100:101], v[204:205], v[208:209], -v[100:101]
	v_mul_f64 v[204:205], v[204:205], v[102:103]
	v_fmac_f64_e32 v[204:205], v[206:207], v[208:209]
	v_add_f64 v[98:99], v[98:99], -v[204:205]
	ds_read2_b64 v[204:207], v202 offset0:64 offset1:65
	v_add_f64 v[96:97], v[96:97], -v[100:101]
	s_waitcnt lgkmcnt(0)
	v_mul_f64 v[100:101], v[206:207], v[102:103]
	v_fma_f64 v[100:101], v[204:205], v[208:209], -v[100:101]
	v_mul_f64 v[204:205], v[204:205], v[102:103]
	v_fmac_f64_e32 v[204:205], v[206:207], v[208:209]
	v_add_f64 v[94:95], v[94:95], -v[204:205]
	ds_read2_b64 v[204:207], v202 offset0:66 offset1:67
	v_add_f64 v[92:93], v[92:93], -v[100:101]
	;; [unrolled: 8-line block ×25, first 2 shown]
	s_waitcnt lgkmcnt(0)
	v_mul_f64 v[100:101], v[206:207], v[102:103]
	v_fma_f64 v[100:101], v[204:205], v[208:209], -v[100:101]
	v_mul_f64 v[204:205], v[204:205], v[102:103]
	v_fmac_f64_e32 v[204:205], v[206:207], v[208:209]
	v_add_f64 v[224:225], v[224:225], -v[100:101]
	v_add_f64 v[226:227], v[226:227], -v[204:205]
	v_mov_b64_e32 v[100:101], v[208:209]
.LBB113_280:
	s_or_b64 exec, exec, s[2:3]
	v_cmp_eq_u32_e32 vcc, 31, v200
	s_waitcnt vmcnt(63) expcnt(7) lgkmcnt(15)
	s_barrier
	s_and_saveexec_b64 s[4:5], vcc
	s_cbranch_execz .LBB113_287
; %bb.281:
	ds_write2_b64 v201, v[96:97], v[98:99] offset1:1
	ds_write2_b64 v202, v[92:93], v[94:95] offset0:64 offset1:65
	ds_write2_b64 v202, v[88:89], v[90:91] offset0:66 offset1:67
	;; [unrolled: 1-line block ×8, first 2 shown]
	s_waitcnt vmcnt(61)
	ds_write2_b64 v202, v[60:61], v[62:63] offset0:80 offset1:81
	s_waitcnt vmcnt(60)
	ds_write2_b64 v202, v[56:57], v[58:59] offset0:82 offset1:83
	;; [unrolled: 2-line block ×11, first 2 shown]
	ds_write2_b64 v202, v[16:17], v[18:19] offset0:102 offset1:103
	ds_write2_b64 v202, v[12:13], v[14:15] offset0:104 offset1:105
	;; [unrolled: 1-line block ×4, first 2 shown]
	s_waitcnt vmcnt(50)
	ds_write2_b64 v202, v[0:1], v[2:3] offset0:110 offset1:111
	s_waitcnt vmcnt(47)
	ds_write2_b64 v202, v[224:225], v[226:227] offset0:112 offset1:113
	ds_read2_b64 v[208:211], v201 offset1:1
	s_waitcnt lgkmcnt(0)
	v_cmp_neq_f64_e32 vcc, 0, v[208:209]
	v_cmp_neq_f64_e64 s[2:3], 0, v[210:211]
	s_or_b64 s[2:3], vcc, s[2:3]
	s_and_b64 exec, exec, s[2:3]
	s_cbranch_execz .LBB113_287
; %bb.282:
	v_cmp_ngt_f64_e64 s[2:3], |v[208:209]|, |v[210:211]|
                                        ; implicit-def: $vgpr204_vgpr205
	s_and_saveexec_b64 s[10:11], s[2:3]
	s_xor_b64 s[2:3], exec, s[10:11]
                                        ; implicit-def: $vgpr206_vgpr207
	s_cbranch_execz .LBB113_284
; %bb.283:
	v_div_scale_f64 v[204:205], s[10:11], v[210:211], v[210:211], v[208:209]
	v_rcp_f64_e32 v[206:207], v[204:205]
	v_div_scale_f64 v[212:213], vcc, v[208:209], v[210:211], v[208:209]
	v_fma_f64 v[214:215], -v[204:205], v[206:207], 1.0
	v_fmac_f64_e32 v[206:207], v[206:207], v[214:215]
	v_fma_f64 v[214:215], -v[204:205], v[206:207], 1.0
	v_fmac_f64_e32 v[206:207], v[206:207], v[214:215]
	v_mul_f64 v[214:215], v[212:213], v[206:207]
	v_fma_f64 v[204:205], -v[204:205], v[214:215], v[212:213]
	v_div_fmas_f64 v[204:205], v[204:205], v[206:207], v[214:215]
	v_div_fixup_f64 v[204:205], v[204:205], v[210:211], v[208:209]
	v_fmac_f64_e32 v[210:211], v[208:209], v[204:205]
	v_div_scale_f64 v[206:207], s[10:11], v[210:211], v[210:211], 1.0
	v_rcp_f64_e32 v[208:209], v[206:207]
	s_nop 0
	v_fma_f64 v[212:213], -v[206:207], v[208:209], 1.0
	v_fmac_f64_e32 v[208:209], v[208:209], v[212:213]
	v_fma_f64 v[212:213], -v[206:207], v[208:209], 1.0
	v_fmac_f64_e32 v[208:209], v[208:209], v[212:213]
	v_div_scale_f64 v[212:213], vcc, 1.0, v[210:211], 1.0
	v_mul_f64 v[214:215], v[212:213], v[208:209]
	v_fma_f64 v[206:207], -v[206:207], v[214:215], v[212:213]
	s_nop 1
	v_div_fmas_f64 v[206:207], v[206:207], v[208:209], v[214:215]
	v_div_fixup_f64 v[206:207], v[206:207], v[210:211], 1.0
	v_mul_f64 v[204:205], v[204:205], v[206:207]
	v_xor_b32_e32 v207, 0x80000000, v207
                                        ; implicit-def: $vgpr208_vgpr209
.LBB113_284:
	s_andn2_saveexec_b64 s[2:3], s[2:3]
	s_cbranch_execz .LBB113_286
; %bb.285:
	v_div_scale_f64 v[204:205], s[10:11], v[208:209], v[208:209], v[210:211]
	v_rcp_f64_e32 v[206:207], v[204:205]
	v_div_scale_f64 v[212:213], vcc, v[210:211], v[208:209], v[210:211]
	v_fma_f64 v[214:215], -v[204:205], v[206:207], 1.0
	v_fmac_f64_e32 v[206:207], v[206:207], v[214:215]
	v_fma_f64 v[214:215], -v[204:205], v[206:207], 1.0
	v_fmac_f64_e32 v[206:207], v[206:207], v[214:215]
	v_mul_f64 v[214:215], v[212:213], v[206:207]
	v_fma_f64 v[204:205], -v[204:205], v[214:215], v[212:213]
	v_div_fmas_f64 v[204:205], v[204:205], v[206:207], v[214:215]
	v_div_fixup_f64 v[206:207], v[204:205], v[208:209], v[210:211]
	v_fmac_f64_e32 v[208:209], v[210:211], v[206:207]
	v_div_scale_f64 v[204:205], s[10:11], v[208:209], v[208:209], 1.0
	v_rcp_f64_e32 v[210:211], v[204:205]
	s_nop 0
	v_fma_f64 v[212:213], -v[204:205], v[210:211], 1.0
	v_fmac_f64_e32 v[210:211], v[210:211], v[212:213]
	v_fma_f64 v[212:213], -v[204:205], v[210:211], 1.0
	v_fmac_f64_e32 v[210:211], v[210:211], v[212:213]
	v_div_scale_f64 v[212:213], vcc, 1.0, v[208:209], 1.0
	v_mul_f64 v[214:215], v[212:213], v[210:211]
	v_fma_f64 v[204:205], -v[204:205], v[214:215], v[212:213]
	s_nop 1
	v_div_fmas_f64 v[204:205], v[204:205], v[210:211], v[214:215]
	v_div_fixup_f64 v[204:205], v[204:205], v[208:209], 1.0
	v_mul_f64 v[206:207], v[206:207], -v[204:205]
.LBB113_286:
	s_or_b64 exec, exec, s[2:3]
	ds_write2_b64 v201, v[204:205], v[206:207] offset1:1
.LBB113_287:
	s_or_b64 exec, exec, s[4:5]
	s_waitcnt lgkmcnt(0)
	s_barrier
	ds_read2_b64 v[192:195], v201 offset1:1
	v_cmp_lt_u32_e32 vcc, 31, v200
	s_waitcnt lgkmcnt(0)
	scratch_store_dwordx4 off, v[192:195], off offset:1064 ; 16-byte Folded Spill
	s_and_saveexec_b64 s[2:3], vcc
	s_cbranch_execz .LBB113_289
; %bb.288:
	scratch_load_dwordx4 v[192:195], off, off offset:1064 ; 16-byte Folded Reload
	s_waitcnt vmcnt(0)
	v_mul_f64 v[204:205], v[194:195], v[98:99]
	v_fma_f64 v[208:209], v[192:193], v[96:97], -v[204:205]
	ds_read2_b64 v[204:207], v202 offset0:64 offset1:65
	v_mul_f64 v[98:99], v[192:193], v[98:99]
	v_fmac_f64_e32 v[98:99], v[194:195], v[96:97]
	s_waitcnt lgkmcnt(0)
	v_mul_f64 v[96:97], v[206:207], v[98:99]
	v_fma_f64 v[96:97], v[204:205], v[208:209], -v[96:97]
	v_mul_f64 v[204:205], v[204:205], v[98:99]
	v_fmac_f64_e32 v[204:205], v[206:207], v[208:209]
	v_add_f64 v[94:95], v[94:95], -v[204:205]
	ds_read2_b64 v[204:207], v202 offset0:66 offset1:67
	v_add_f64 v[92:93], v[92:93], -v[96:97]
	s_waitcnt lgkmcnt(0)
	v_mul_f64 v[96:97], v[206:207], v[98:99]
	v_fma_f64 v[96:97], v[204:205], v[208:209], -v[96:97]
	v_mul_f64 v[204:205], v[204:205], v[98:99]
	v_fmac_f64_e32 v[204:205], v[206:207], v[208:209]
	v_add_f64 v[90:91], v[90:91], -v[204:205]
	ds_read2_b64 v[204:207], v202 offset0:68 offset1:69
	v_add_f64 v[88:89], v[88:89], -v[96:97]
	;; [unrolled: 8-line block ×24, first 2 shown]
	s_waitcnt lgkmcnt(0)
	v_mul_f64 v[96:97], v[206:207], v[98:99]
	v_fma_f64 v[96:97], v[204:205], v[208:209], -v[96:97]
	v_mul_f64 v[204:205], v[204:205], v[98:99]
	v_fmac_f64_e32 v[204:205], v[206:207], v[208:209]
	v_add_f64 v[224:225], v[224:225], -v[96:97]
	v_add_f64 v[226:227], v[226:227], -v[204:205]
	v_mov_b64_e32 v[96:97], v[208:209]
.LBB113_289:
	s_or_b64 exec, exec, s[2:3]
	v_cmp_eq_u32_e32 vcc, 32, v200
	s_waitcnt vmcnt(63) expcnt(7) lgkmcnt(15)
	s_barrier
	s_and_saveexec_b64 s[4:5], vcc
	s_cbranch_execz .LBB113_296
; %bb.290:
	ds_write2_b64 v201, v[92:93], v[94:95] offset1:1
	ds_write2_b64 v202, v[88:89], v[90:91] offset0:66 offset1:67
	ds_write2_b64 v202, v[84:85], v[86:87] offset0:68 offset1:69
	;; [unrolled: 1-line block ×7, first 2 shown]
	s_waitcnt vmcnt(62)
	ds_write2_b64 v202, v[60:61], v[62:63] offset0:80 offset1:81
	s_waitcnt vmcnt(61)
	ds_write2_b64 v202, v[56:57], v[58:59] offset0:82 offset1:83
	s_waitcnt vmcnt(60)
	ds_write2_b64 v202, v[52:53], v[54:55] offset0:84 offset1:85
	s_waitcnt vmcnt(59)
	ds_write2_b64 v202, v[48:49], v[50:51] offset0:86 offset1:87
	s_waitcnt vmcnt(58)
	ds_write2_b64 v202, v[44:45], v[46:47] offset0:88 offset1:89
	s_waitcnt vmcnt(57)
	ds_write2_b64 v202, v[40:41], v[42:43] offset0:90 offset1:91
	s_waitcnt vmcnt(56)
	ds_write2_b64 v202, v[36:37], v[38:39] offset0:92 offset1:93
	s_waitcnt vmcnt(55)
	ds_write2_b64 v202, v[32:33], v[34:35] offset0:94 offset1:95
	s_waitcnt vmcnt(54)
	ds_write2_b64 v202, v[28:29], v[30:31] offset0:96 offset1:97
	s_waitcnt vmcnt(53)
	ds_write2_b64 v202, v[24:25], v[26:27] offset0:98 offset1:99
	s_waitcnt vmcnt(52)
	ds_write2_b64 v202, v[20:21], v[22:23] offset0:100 offset1:101
	ds_write2_b64 v202, v[16:17], v[18:19] offset0:102 offset1:103
	ds_write2_b64 v202, v[12:13], v[14:15] offset0:104 offset1:105
	;; [unrolled: 1-line block ×4, first 2 shown]
	s_waitcnt vmcnt(51)
	ds_write2_b64 v202, v[0:1], v[2:3] offset0:110 offset1:111
	s_waitcnt vmcnt(48)
	ds_write2_b64 v202, v[224:225], v[226:227] offset0:112 offset1:113
	ds_read2_b64 v[208:211], v201 offset1:1
	s_waitcnt lgkmcnt(0)
	v_cmp_neq_f64_e32 vcc, 0, v[208:209]
	v_cmp_neq_f64_e64 s[2:3], 0, v[210:211]
	s_or_b64 s[2:3], vcc, s[2:3]
	s_and_b64 exec, exec, s[2:3]
	s_cbranch_execz .LBB113_296
; %bb.291:
	v_cmp_ngt_f64_e64 s[2:3], |v[208:209]|, |v[210:211]|
                                        ; implicit-def: $vgpr204_vgpr205
	s_and_saveexec_b64 s[10:11], s[2:3]
	s_xor_b64 s[2:3], exec, s[10:11]
                                        ; implicit-def: $vgpr206_vgpr207
	s_cbranch_execz .LBB113_293
; %bb.292:
	v_div_scale_f64 v[204:205], s[10:11], v[210:211], v[210:211], v[208:209]
	v_rcp_f64_e32 v[206:207], v[204:205]
	v_div_scale_f64 v[212:213], vcc, v[208:209], v[210:211], v[208:209]
	v_fma_f64 v[214:215], -v[204:205], v[206:207], 1.0
	v_fmac_f64_e32 v[206:207], v[206:207], v[214:215]
	v_fma_f64 v[214:215], -v[204:205], v[206:207], 1.0
	v_fmac_f64_e32 v[206:207], v[206:207], v[214:215]
	v_mul_f64 v[214:215], v[212:213], v[206:207]
	v_fma_f64 v[204:205], -v[204:205], v[214:215], v[212:213]
	v_div_fmas_f64 v[204:205], v[204:205], v[206:207], v[214:215]
	v_div_fixup_f64 v[204:205], v[204:205], v[210:211], v[208:209]
	v_fmac_f64_e32 v[210:211], v[208:209], v[204:205]
	v_div_scale_f64 v[206:207], s[10:11], v[210:211], v[210:211], 1.0
	v_rcp_f64_e32 v[208:209], v[206:207]
	s_nop 0
	v_fma_f64 v[212:213], -v[206:207], v[208:209], 1.0
	v_fmac_f64_e32 v[208:209], v[208:209], v[212:213]
	v_fma_f64 v[212:213], -v[206:207], v[208:209], 1.0
	v_fmac_f64_e32 v[208:209], v[208:209], v[212:213]
	v_div_scale_f64 v[212:213], vcc, 1.0, v[210:211], 1.0
	v_mul_f64 v[214:215], v[212:213], v[208:209]
	v_fma_f64 v[206:207], -v[206:207], v[214:215], v[212:213]
	s_nop 1
	v_div_fmas_f64 v[206:207], v[206:207], v[208:209], v[214:215]
	v_div_fixup_f64 v[206:207], v[206:207], v[210:211], 1.0
	v_mul_f64 v[204:205], v[204:205], v[206:207]
	v_xor_b32_e32 v207, 0x80000000, v207
                                        ; implicit-def: $vgpr208_vgpr209
.LBB113_293:
	s_andn2_saveexec_b64 s[2:3], s[2:3]
	s_cbranch_execz .LBB113_295
; %bb.294:
	v_div_scale_f64 v[204:205], s[10:11], v[208:209], v[208:209], v[210:211]
	v_rcp_f64_e32 v[206:207], v[204:205]
	v_div_scale_f64 v[212:213], vcc, v[210:211], v[208:209], v[210:211]
	v_fma_f64 v[214:215], -v[204:205], v[206:207], 1.0
	v_fmac_f64_e32 v[206:207], v[206:207], v[214:215]
	v_fma_f64 v[214:215], -v[204:205], v[206:207], 1.0
	v_fmac_f64_e32 v[206:207], v[206:207], v[214:215]
	v_mul_f64 v[214:215], v[212:213], v[206:207]
	v_fma_f64 v[204:205], -v[204:205], v[214:215], v[212:213]
	v_div_fmas_f64 v[204:205], v[204:205], v[206:207], v[214:215]
	v_div_fixup_f64 v[206:207], v[204:205], v[208:209], v[210:211]
	v_fmac_f64_e32 v[208:209], v[210:211], v[206:207]
	v_div_scale_f64 v[204:205], s[10:11], v[208:209], v[208:209], 1.0
	v_rcp_f64_e32 v[210:211], v[204:205]
	s_nop 0
	v_fma_f64 v[212:213], -v[204:205], v[210:211], 1.0
	v_fmac_f64_e32 v[210:211], v[210:211], v[212:213]
	v_fma_f64 v[212:213], -v[204:205], v[210:211], 1.0
	v_fmac_f64_e32 v[210:211], v[210:211], v[212:213]
	v_div_scale_f64 v[212:213], vcc, 1.0, v[208:209], 1.0
	v_mul_f64 v[214:215], v[212:213], v[210:211]
	v_fma_f64 v[204:205], -v[204:205], v[214:215], v[212:213]
	s_nop 1
	v_div_fmas_f64 v[204:205], v[204:205], v[210:211], v[214:215]
	v_div_fixup_f64 v[204:205], v[204:205], v[208:209], 1.0
	v_mul_f64 v[206:207], v[206:207], -v[204:205]
.LBB113_295:
	s_or_b64 exec, exec, s[2:3]
	ds_write2_b64 v201, v[204:205], v[206:207] offset1:1
.LBB113_296:
	s_or_b64 exec, exec, s[4:5]
	s_waitcnt lgkmcnt(0)
	s_barrier
	ds_read2_b64 v[192:195], v201 offset1:1
	v_cmp_lt_u32_e32 vcc, 32, v200
	s_waitcnt lgkmcnt(0)
	scratch_store_dwordx4 off, v[192:195], off offset:1080 ; 16-byte Folded Spill
	s_and_saveexec_b64 s[2:3], vcc
	s_cbranch_execz .LBB113_298
; %bb.297:
	scratch_load_dwordx4 v[192:195], off, off offset:1080 ; 16-byte Folded Reload
	s_waitcnt vmcnt(0)
	v_mul_f64 v[204:205], v[194:195], v[94:95]
	v_fma_f64 v[208:209], v[192:193], v[92:93], -v[204:205]
	ds_read2_b64 v[204:207], v202 offset0:66 offset1:67
	v_mul_f64 v[94:95], v[192:193], v[94:95]
	v_fmac_f64_e32 v[94:95], v[194:195], v[92:93]
	s_waitcnt lgkmcnt(0)
	v_mul_f64 v[92:93], v[206:207], v[94:95]
	v_fma_f64 v[92:93], v[204:205], v[208:209], -v[92:93]
	v_mul_f64 v[204:205], v[204:205], v[94:95]
	v_fmac_f64_e32 v[204:205], v[206:207], v[208:209]
	v_add_f64 v[90:91], v[90:91], -v[204:205]
	ds_read2_b64 v[204:207], v202 offset0:68 offset1:69
	v_add_f64 v[88:89], v[88:89], -v[92:93]
	s_waitcnt lgkmcnt(0)
	v_mul_f64 v[92:93], v[206:207], v[94:95]
	v_fma_f64 v[92:93], v[204:205], v[208:209], -v[92:93]
	v_mul_f64 v[204:205], v[204:205], v[94:95]
	v_fmac_f64_e32 v[204:205], v[206:207], v[208:209]
	v_add_f64 v[86:87], v[86:87], -v[204:205]
	ds_read2_b64 v[204:207], v202 offset0:70 offset1:71
	v_add_f64 v[84:85], v[84:85], -v[92:93]
	;; [unrolled: 8-line block ×23, first 2 shown]
	s_waitcnt lgkmcnt(0)
	v_mul_f64 v[92:93], v[206:207], v[94:95]
	v_fma_f64 v[92:93], v[204:205], v[208:209], -v[92:93]
	v_mul_f64 v[204:205], v[204:205], v[94:95]
	v_fmac_f64_e32 v[204:205], v[206:207], v[208:209]
	v_add_f64 v[224:225], v[224:225], -v[92:93]
	v_add_f64 v[226:227], v[226:227], -v[204:205]
	v_mov_b64_e32 v[92:93], v[208:209]
.LBB113_298:
	s_or_b64 exec, exec, s[2:3]
	v_cmp_eq_u32_e32 vcc, 33, v200
	s_waitcnt vmcnt(63) expcnt(7) lgkmcnt(15)
	s_barrier
	s_and_saveexec_b64 s[4:5], vcc
	s_cbranch_execz .LBB113_305
; %bb.299:
	ds_write2_b64 v201, v[88:89], v[90:91] offset1:1
	ds_write2_b64 v202, v[84:85], v[86:87] offset0:68 offset1:69
	ds_write2_b64 v202, v[80:81], v[82:83] offset0:70 offset1:71
	;; [unrolled: 1-line block ×7, first 2 shown]
	s_waitcnt vmcnt(62)
	ds_write2_b64 v202, v[56:57], v[58:59] offset0:82 offset1:83
	s_waitcnt vmcnt(61)
	ds_write2_b64 v202, v[52:53], v[54:55] offset0:84 offset1:85
	;; [unrolled: 2-line block ×10, first 2 shown]
	ds_write2_b64 v202, v[16:17], v[18:19] offset0:102 offset1:103
	ds_write2_b64 v202, v[12:13], v[14:15] offset0:104 offset1:105
	;; [unrolled: 1-line block ×4, first 2 shown]
	s_waitcnt vmcnt(52)
	ds_write2_b64 v202, v[0:1], v[2:3] offset0:110 offset1:111
	s_waitcnt vmcnt(49)
	ds_write2_b64 v202, v[224:225], v[226:227] offset0:112 offset1:113
	ds_read2_b64 v[208:211], v201 offset1:1
	s_waitcnt lgkmcnt(0)
	v_cmp_neq_f64_e32 vcc, 0, v[208:209]
	v_cmp_neq_f64_e64 s[2:3], 0, v[210:211]
	s_or_b64 s[2:3], vcc, s[2:3]
	s_and_b64 exec, exec, s[2:3]
	s_cbranch_execz .LBB113_305
; %bb.300:
	v_cmp_ngt_f64_e64 s[2:3], |v[208:209]|, |v[210:211]|
                                        ; implicit-def: $vgpr204_vgpr205
	s_and_saveexec_b64 s[10:11], s[2:3]
	s_xor_b64 s[2:3], exec, s[10:11]
                                        ; implicit-def: $vgpr206_vgpr207
	s_cbranch_execz .LBB113_302
; %bb.301:
	v_div_scale_f64 v[204:205], s[10:11], v[210:211], v[210:211], v[208:209]
	v_rcp_f64_e32 v[206:207], v[204:205]
	v_div_scale_f64 v[212:213], vcc, v[208:209], v[210:211], v[208:209]
	v_fma_f64 v[214:215], -v[204:205], v[206:207], 1.0
	v_fmac_f64_e32 v[206:207], v[206:207], v[214:215]
	v_fma_f64 v[214:215], -v[204:205], v[206:207], 1.0
	v_fmac_f64_e32 v[206:207], v[206:207], v[214:215]
	v_mul_f64 v[214:215], v[212:213], v[206:207]
	v_fma_f64 v[204:205], -v[204:205], v[214:215], v[212:213]
	v_div_fmas_f64 v[204:205], v[204:205], v[206:207], v[214:215]
	v_div_fixup_f64 v[204:205], v[204:205], v[210:211], v[208:209]
	v_fmac_f64_e32 v[210:211], v[208:209], v[204:205]
	v_div_scale_f64 v[206:207], s[10:11], v[210:211], v[210:211], 1.0
	v_rcp_f64_e32 v[208:209], v[206:207]
	s_nop 0
	v_fma_f64 v[212:213], -v[206:207], v[208:209], 1.0
	v_fmac_f64_e32 v[208:209], v[208:209], v[212:213]
	v_fma_f64 v[212:213], -v[206:207], v[208:209], 1.0
	v_fmac_f64_e32 v[208:209], v[208:209], v[212:213]
	v_div_scale_f64 v[212:213], vcc, 1.0, v[210:211], 1.0
	v_mul_f64 v[214:215], v[212:213], v[208:209]
	v_fma_f64 v[206:207], -v[206:207], v[214:215], v[212:213]
	s_nop 1
	v_div_fmas_f64 v[206:207], v[206:207], v[208:209], v[214:215]
	v_div_fixup_f64 v[206:207], v[206:207], v[210:211], 1.0
	v_mul_f64 v[204:205], v[204:205], v[206:207]
	v_xor_b32_e32 v207, 0x80000000, v207
                                        ; implicit-def: $vgpr208_vgpr209
.LBB113_302:
	s_andn2_saveexec_b64 s[2:3], s[2:3]
	s_cbranch_execz .LBB113_304
; %bb.303:
	v_div_scale_f64 v[204:205], s[10:11], v[208:209], v[208:209], v[210:211]
	v_rcp_f64_e32 v[206:207], v[204:205]
	v_div_scale_f64 v[212:213], vcc, v[210:211], v[208:209], v[210:211]
	v_fma_f64 v[214:215], -v[204:205], v[206:207], 1.0
	v_fmac_f64_e32 v[206:207], v[206:207], v[214:215]
	v_fma_f64 v[214:215], -v[204:205], v[206:207], 1.0
	v_fmac_f64_e32 v[206:207], v[206:207], v[214:215]
	v_mul_f64 v[214:215], v[212:213], v[206:207]
	v_fma_f64 v[204:205], -v[204:205], v[214:215], v[212:213]
	v_div_fmas_f64 v[204:205], v[204:205], v[206:207], v[214:215]
	v_div_fixup_f64 v[206:207], v[204:205], v[208:209], v[210:211]
	v_fmac_f64_e32 v[208:209], v[210:211], v[206:207]
	v_div_scale_f64 v[204:205], s[10:11], v[208:209], v[208:209], 1.0
	v_rcp_f64_e32 v[210:211], v[204:205]
	s_nop 0
	v_fma_f64 v[212:213], -v[204:205], v[210:211], 1.0
	v_fmac_f64_e32 v[210:211], v[210:211], v[212:213]
	v_fma_f64 v[212:213], -v[204:205], v[210:211], 1.0
	v_fmac_f64_e32 v[210:211], v[210:211], v[212:213]
	v_div_scale_f64 v[212:213], vcc, 1.0, v[208:209], 1.0
	v_mul_f64 v[214:215], v[212:213], v[210:211]
	v_fma_f64 v[204:205], -v[204:205], v[214:215], v[212:213]
	s_nop 1
	v_div_fmas_f64 v[204:205], v[204:205], v[210:211], v[214:215]
	v_div_fixup_f64 v[204:205], v[204:205], v[208:209], 1.0
	v_mul_f64 v[206:207], v[206:207], -v[204:205]
.LBB113_304:
	s_or_b64 exec, exec, s[2:3]
	ds_write2_b64 v201, v[204:205], v[206:207] offset1:1
.LBB113_305:
	s_or_b64 exec, exec, s[4:5]
	s_waitcnt lgkmcnt(0)
	s_barrier
	ds_read2_b64 v[192:195], v201 offset1:1
	v_cmp_lt_u32_e32 vcc, 33, v200
	s_waitcnt lgkmcnt(0)
	scratch_store_dwordx4 off, v[192:195], off offset:1096 ; 16-byte Folded Spill
	s_and_saveexec_b64 s[2:3], vcc
	s_cbranch_execz .LBB113_307
; %bb.306:
	scratch_load_dwordx4 v[192:195], off, off offset:1096 ; 16-byte Folded Reload
	s_waitcnt vmcnt(0)
	v_mul_f64 v[204:205], v[194:195], v[90:91]
	v_fma_f64 v[208:209], v[192:193], v[88:89], -v[204:205]
	ds_read2_b64 v[204:207], v202 offset0:68 offset1:69
	v_mul_f64 v[90:91], v[192:193], v[90:91]
	v_fmac_f64_e32 v[90:91], v[194:195], v[88:89]
	s_waitcnt lgkmcnt(0)
	v_mul_f64 v[88:89], v[206:207], v[90:91]
	v_fma_f64 v[88:89], v[204:205], v[208:209], -v[88:89]
	v_mul_f64 v[204:205], v[204:205], v[90:91]
	v_fmac_f64_e32 v[204:205], v[206:207], v[208:209]
	v_add_f64 v[86:87], v[86:87], -v[204:205]
	ds_read2_b64 v[204:207], v202 offset0:70 offset1:71
	v_add_f64 v[84:85], v[84:85], -v[88:89]
	s_waitcnt lgkmcnt(0)
	v_mul_f64 v[88:89], v[206:207], v[90:91]
	v_fma_f64 v[88:89], v[204:205], v[208:209], -v[88:89]
	v_mul_f64 v[204:205], v[204:205], v[90:91]
	v_fmac_f64_e32 v[204:205], v[206:207], v[208:209]
	v_add_f64 v[82:83], v[82:83], -v[204:205]
	ds_read2_b64 v[204:207], v202 offset0:72 offset1:73
	v_add_f64 v[80:81], v[80:81], -v[88:89]
	;; [unrolled: 8-line block ×22, first 2 shown]
	s_waitcnt lgkmcnt(0)
	v_mul_f64 v[88:89], v[206:207], v[90:91]
	v_fma_f64 v[88:89], v[204:205], v[208:209], -v[88:89]
	v_mul_f64 v[204:205], v[204:205], v[90:91]
	v_fmac_f64_e32 v[204:205], v[206:207], v[208:209]
	v_add_f64 v[224:225], v[224:225], -v[88:89]
	v_add_f64 v[226:227], v[226:227], -v[204:205]
	v_mov_b64_e32 v[88:89], v[208:209]
.LBB113_307:
	s_or_b64 exec, exec, s[2:3]
	v_cmp_eq_u32_e32 vcc, 34, v200
	s_waitcnt vmcnt(63) expcnt(7) lgkmcnt(15)
	s_barrier
	s_and_saveexec_b64 s[4:5], vcc
	s_cbranch_execz .LBB113_314
; %bb.308:
	ds_write2_b64 v201, v[84:85], v[86:87] offset1:1
	ds_write2_b64 v202, v[80:81], v[82:83] offset0:70 offset1:71
	ds_write2_b64 v202, v[76:77], v[78:79] offset0:72 offset1:73
	;; [unrolled: 1-line block ×7, first 2 shown]
	s_waitcnt vmcnt(62)
	ds_write2_b64 v202, v[52:53], v[54:55] offset0:84 offset1:85
	s_waitcnt vmcnt(61)
	ds_write2_b64 v202, v[48:49], v[50:51] offset0:86 offset1:87
	;; [unrolled: 2-line block ×9, first 2 shown]
	ds_write2_b64 v202, v[16:17], v[18:19] offset0:102 offset1:103
	ds_write2_b64 v202, v[12:13], v[14:15] offset0:104 offset1:105
	;; [unrolled: 1-line block ×4, first 2 shown]
	s_waitcnt vmcnt(53)
	ds_write2_b64 v202, v[0:1], v[2:3] offset0:110 offset1:111
	s_waitcnt vmcnt(50)
	ds_write2_b64 v202, v[224:225], v[226:227] offset0:112 offset1:113
	ds_read2_b64 v[208:211], v201 offset1:1
	s_waitcnt lgkmcnt(0)
	v_cmp_neq_f64_e32 vcc, 0, v[208:209]
	v_cmp_neq_f64_e64 s[2:3], 0, v[210:211]
	s_or_b64 s[2:3], vcc, s[2:3]
	s_and_b64 exec, exec, s[2:3]
	s_cbranch_execz .LBB113_314
; %bb.309:
	v_cmp_ngt_f64_e64 s[2:3], |v[208:209]|, |v[210:211]|
                                        ; implicit-def: $vgpr204_vgpr205
	s_and_saveexec_b64 s[10:11], s[2:3]
	s_xor_b64 s[2:3], exec, s[10:11]
                                        ; implicit-def: $vgpr206_vgpr207
	s_cbranch_execz .LBB113_311
; %bb.310:
	v_div_scale_f64 v[204:205], s[10:11], v[210:211], v[210:211], v[208:209]
	v_rcp_f64_e32 v[206:207], v[204:205]
	v_div_scale_f64 v[212:213], vcc, v[208:209], v[210:211], v[208:209]
	v_fma_f64 v[214:215], -v[204:205], v[206:207], 1.0
	v_fmac_f64_e32 v[206:207], v[206:207], v[214:215]
	v_fma_f64 v[214:215], -v[204:205], v[206:207], 1.0
	v_fmac_f64_e32 v[206:207], v[206:207], v[214:215]
	v_mul_f64 v[214:215], v[212:213], v[206:207]
	v_fma_f64 v[204:205], -v[204:205], v[214:215], v[212:213]
	v_div_fmas_f64 v[204:205], v[204:205], v[206:207], v[214:215]
	v_div_fixup_f64 v[204:205], v[204:205], v[210:211], v[208:209]
	v_fmac_f64_e32 v[210:211], v[208:209], v[204:205]
	v_div_scale_f64 v[206:207], s[10:11], v[210:211], v[210:211], 1.0
	v_rcp_f64_e32 v[208:209], v[206:207]
	s_nop 0
	v_fma_f64 v[212:213], -v[206:207], v[208:209], 1.0
	v_fmac_f64_e32 v[208:209], v[208:209], v[212:213]
	v_fma_f64 v[212:213], -v[206:207], v[208:209], 1.0
	v_fmac_f64_e32 v[208:209], v[208:209], v[212:213]
	v_div_scale_f64 v[212:213], vcc, 1.0, v[210:211], 1.0
	v_mul_f64 v[214:215], v[212:213], v[208:209]
	v_fma_f64 v[206:207], -v[206:207], v[214:215], v[212:213]
	s_nop 1
	v_div_fmas_f64 v[206:207], v[206:207], v[208:209], v[214:215]
	v_div_fixup_f64 v[206:207], v[206:207], v[210:211], 1.0
	v_mul_f64 v[204:205], v[204:205], v[206:207]
	v_xor_b32_e32 v207, 0x80000000, v207
                                        ; implicit-def: $vgpr208_vgpr209
.LBB113_311:
	s_andn2_saveexec_b64 s[2:3], s[2:3]
	s_cbranch_execz .LBB113_313
; %bb.312:
	v_div_scale_f64 v[204:205], s[10:11], v[208:209], v[208:209], v[210:211]
	v_rcp_f64_e32 v[206:207], v[204:205]
	v_div_scale_f64 v[212:213], vcc, v[210:211], v[208:209], v[210:211]
	v_fma_f64 v[214:215], -v[204:205], v[206:207], 1.0
	v_fmac_f64_e32 v[206:207], v[206:207], v[214:215]
	v_fma_f64 v[214:215], -v[204:205], v[206:207], 1.0
	v_fmac_f64_e32 v[206:207], v[206:207], v[214:215]
	v_mul_f64 v[214:215], v[212:213], v[206:207]
	v_fma_f64 v[204:205], -v[204:205], v[214:215], v[212:213]
	v_div_fmas_f64 v[204:205], v[204:205], v[206:207], v[214:215]
	v_div_fixup_f64 v[206:207], v[204:205], v[208:209], v[210:211]
	v_fmac_f64_e32 v[208:209], v[210:211], v[206:207]
	v_div_scale_f64 v[204:205], s[10:11], v[208:209], v[208:209], 1.0
	v_rcp_f64_e32 v[210:211], v[204:205]
	s_nop 0
	v_fma_f64 v[212:213], -v[204:205], v[210:211], 1.0
	v_fmac_f64_e32 v[210:211], v[210:211], v[212:213]
	v_fma_f64 v[212:213], -v[204:205], v[210:211], 1.0
	v_fmac_f64_e32 v[210:211], v[210:211], v[212:213]
	v_div_scale_f64 v[212:213], vcc, 1.0, v[208:209], 1.0
	v_mul_f64 v[214:215], v[212:213], v[210:211]
	v_fma_f64 v[204:205], -v[204:205], v[214:215], v[212:213]
	s_nop 1
	v_div_fmas_f64 v[204:205], v[204:205], v[210:211], v[214:215]
	v_div_fixup_f64 v[204:205], v[204:205], v[208:209], 1.0
	v_mul_f64 v[206:207], v[206:207], -v[204:205]
.LBB113_313:
	s_or_b64 exec, exec, s[2:3]
	ds_write2_b64 v201, v[204:205], v[206:207] offset1:1
.LBB113_314:
	s_or_b64 exec, exec, s[4:5]
	s_waitcnt lgkmcnt(0)
	s_barrier
	ds_read2_b64 v[192:195], v201 offset1:1
	v_cmp_lt_u32_e32 vcc, 34, v200
	s_waitcnt lgkmcnt(0)
	scratch_store_dwordx4 off, v[192:195], off offset:1112 ; 16-byte Folded Spill
	s_and_saveexec_b64 s[2:3], vcc
	s_cbranch_execz .LBB113_316
; %bb.315:
	scratch_load_dwordx4 v[192:195], off, off offset:1112 ; 16-byte Folded Reload
	s_waitcnt vmcnt(0)
	v_mul_f64 v[204:205], v[194:195], v[86:87]
	v_fma_f64 v[208:209], v[192:193], v[84:85], -v[204:205]
	ds_read2_b64 v[204:207], v202 offset0:70 offset1:71
	v_mul_f64 v[86:87], v[192:193], v[86:87]
	v_fmac_f64_e32 v[86:87], v[194:195], v[84:85]
	s_waitcnt lgkmcnt(0)
	v_mul_f64 v[84:85], v[206:207], v[86:87]
	v_fma_f64 v[84:85], v[204:205], v[208:209], -v[84:85]
	v_mul_f64 v[204:205], v[204:205], v[86:87]
	v_fmac_f64_e32 v[204:205], v[206:207], v[208:209]
	v_add_f64 v[82:83], v[82:83], -v[204:205]
	ds_read2_b64 v[204:207], v202 offset0:72 offset1:73
	v_add_f64 v[80:81], v[80:81], -v[84:85]
	s_waitcnt lgkmcnt(0)
	v_mul_f64 v[84:85], v[206:207], v[86:87]
	v_fma_f64 v[84:85], v[204:205], v[208:209], -v[84:85]
	v_mul_f64 v[204:205], v[204:205], v[86:87]
	v_fmac_f64_e32 v[204:205], v[206:207], v[208:209]
	v_add_f64 v[78:79], v[78:79], -v[204:205]
	ds_read2_b64 v[204:207], v202 offset0:74 offset1:75
	v_add_f64 v[76:77], v[76:77], -v[84:85]
	s_waitcnt lgkmcnt(0)
	v_mul_f64 v[84:85], v[206:207], v[86:87]
	v_fma_f64 v[84:85], v[204:205], v[208:209], -v[84:85]
	v_mul_f64 v[204:205], v[204:205], v[86:87]
	v_fmac_f64_e32 v[204:205], v[206:207], v[208:209]
	v_add_f64 v[74:75], v[74:75], -v[204:205]
	ds_read2_b64 v[204:207], v202 offset0:76 offset1:77
	v_add_f64 v[72:73], v[72:73], -v[84:85]
	s_waitcnt lgkmcnt(0)
	v_mul_f64 v[84:85], v[206:207], v[86:87]
	v_fma_f64 v[84:85], v[204:205], v[208:209], -v[84:85]
	v_mul_f64 v[204:205], v[204:205], v[86:87]
	v_fmac_f64_e32 v[204:205], v[206:207], v[208:209]
	v_add_f64 v[70:71], v[70:71], -v[204:205]
	ds_read2_b64 v[204:207], v202 offset0:78 offset1:79
	v_add_f64 v[68:69], v[68:69], -v[84:85]
	s_waitcnt lgkmcnt(0)
	v_mul_f64 v[84:85], v[206:207], v[86:87]
	v_fma_f64 v[84:85], v[204:205], v[208:209], -v[84:85]
	v_mul_f64 v[204:205], v[204:205], v[86:87]
	v_fmac_f64_e32 v[204:205], v[206:207], v[208:209]
	v_add_f64 v[66:67], v[66:67], -v[204:205]
	ds_read2_b64 v[204:207], v202 offset0:80 offset1:81
	v_add_f64 v[64:65], v[64:65], -v[84:85]
	s_waitcnt lgkmcnt(0)
	v_mul_f64 v[84:85], v[206:207], v[86:87]
	v_fma_f64 v[84:85], v[204:205], v[208:209], -v[84:85]
	v_mul_f64 v[204:205], v[204:205], v[86:87]
	v_fmac_f64_e32 v[204:205], v[206:207], v[208:209]
	v_add_f64 v[62:63], v[62:63], -v[204:205]
	ds_read2_b64 v[204:207], v202 offset0:82 offset1:83
	v_add_f64 v[60:61], v[60:61], -v[84:85]
	s_waitcnt lgkmcnt(0)
	v_mul_f64 v[84:85], v[206:207], v[86:87]
	v_fma_f64 v[84:85], v[204:205], v[208:209], -v[84:85]
	v_mul_f64 v[204:205], v[204:205], v[86:87]
	v_fmac_f64_e32 v[204:205], v[206:207], v[208:209]
	v_add_f64 v[58:59], v[58:59], -v[204:205]
	ds_read2_b64 v[204:207], v202 offset0:84 offset1:85
	v_add_f64 v[56:57], v[56:57], -v[84:85]
	s_waitcnt lgkmcnt(0)
	v_mul_f64 v[84:85], v[206:207], v[86:87]
	v_fma_f64 v[84:85], v[204:205], v[208:209], -v[84:85]
	v_mul_f64 v[204:205], v[204:205], v[86:87]
	v_fmac_f64_e32 v[204:205], v[206:207], v[208:209]
	v_add_f64 v[54:55], v[54:55], -v[204:205]
	ds_read2_b64 v[204:207], v202 offset0:86 offset1:87
	v_add_f64 v[52:53], v[52:53], -v[84:85]
	s_waitcnt lgkmcnt(0)
	v_mul_f64 v[84:85], v[206:207], v[86:87]
	v_fma_f64 v[84:85], v[204:205], v[208:209], -v[84:85]
	v_mul_f64 v[204:205], v[204:205], v[86:87]
	v_fmac_f64_e32 v[204:205], v[206:207], v[208:209]
	v_add_f64 v[50:51], v[50:51], -v[204:205]
	ds_read2_b64 v[204:207], v202 offset0:88 offset1:89
	v_add_f64 v[48:49], v[48:49], -v[84:85]
	s_waitcnt lgkmcnt(0)
	v_mul_f64 v[84:85], v[206:207], v[86:87]
	v_fma_f64 v[84:85], v[204:205], v[208:209], -v[84:85]
	v_mul_f64 v[204:205], v[204:205], v[86:87]
	v_fmac_f64_e32 v[204:205], v[206:207], v[208:209]
	v_add_f64 v[46:47], v[46:47], -v[204:205]
	ds_read2_b64 v[204:207], v202 offset0:90 offset1:91
	v_add_f64 v[44:45], v[44:45], -v[84:85]
	s_waitcnt lgkmcnt(0)
	v_mul_f64 v[84:85], v[206:207], v[86:87]
	v_fma_f64 v[84:85], v[204:205], v[208:209], -v[84:85]
	v_mul_f64 v[204:205], v[204:205], v[86:87]
	v_fmac_f64_e32 v[204:205], v[206:207], v[208:209]
	v_add_f64 v[42:43], v[42:43], -v[204:205]
	ds_read2_b64 v[204:207], v202 offset0:92 offset1:93
	v_add_f64 v[40:41], v[40:41], -v[84:85]
	s_waitcnt lgkmcnt(0)
	v_mul_f64 v[84:85], v[206:207], v[86:87]
	v_fma_f64 v[84:85], v[204:205], v[208:209], -v[84:85]
	v_mul_f64 v[204:205], v[204:205], v[86:87]
	v_fmac_f64_e32 v[204:205], v[206:207], v[208:209]
	v_add_f64 v[38:39], v[38:39], -v[204:205]
	ds_read2_b64 v[204:207], v202 offset0:94 offset1:95
	v_add_f64 v[36:37], v[36:37], -v[84:85]
	s_waitcnt lgkmcnt(0)
	v_mul_f64 v[84:85], v[206:207], v[86:87]
	v_fma_f64 v[84:85], v[204:205], v[208:209], -v[84:85]
	v_mul_f64 v[204:205], v[204:205], v[86:87]
	v_fmac_f64_e32 v[204:205], v[206:207], v[208:209]
	v_add_f64 v[34:35], v[34:35], -v[204:205]
	ds_read2_b64 v[204:207], v202 offset0:96 offset1:97
	v_add_f64 v[32:33], v[32:33], -v[84:85]
	s_waitcnt lgkmcnt(0)
	v_mul_f64 v[84:85], v[206:207], v[86:87]
	v_fma_f64 v[84:85], v[204:205], v[208:209], -v[84:85]
	v_mul_f64 v[204:205], v[204:205], v[86:87]
	v_fmac_f64_e32 v[204:205], v[206:207], v[208:209]
	v_add_f64 v[30:31], v[30:31], -v[204:205]
	ds_read2_b64 v[204:207], v202 offset0:98 offset1:99
	v_add_f64 v[28:29], v[28:29], -v[84:85]
	s_waitcnt lgkmcnt(0)
	v_mul_f64 v[84:85], v[206:207], v[86:87]
	v_fma_f64 v[84:85], v[204:205], v[208:209], -v[84:85]
	v_mul_f64 v[204:205], v[204:205], v[86:87]
	v_fmac_f64_e32 v[204:205], v[206:207], v[208:209]
	v_add_f64 v[26:27], v[26:27], -v[204:205]
	ds_read2_b64 v[204:207], v202 offset0:100 offset1:101
	v_add_f64 v[24:25], v[24:25], -v[84:85]
	s_waitcnt lgkmcnt(0)
	v_mul_f64 v[84:85], v[206:207], v[86:87]
	v_fma_f64 v[84:85], v[204:205], v[208:209], -v[84:85]
	v_mul_f64 v[204:205], v[204:205], v[86:87]
	v_fmac_f64_e32 v[204:205], v[206:207], v[208:209]
	v_add_f64 v[22:23], v[22:23], -v[204:205]
	ds_read2_b64 v[204:207], v202 offset0:102 offset1:103
	v_add_f64 v[20:21], v[20:21], -v[84:85]
	s_waitcnt lgkmcnt(0)
	v_mul_f64 v[84:85], v[206:207], v[86:87]
	v_fma_f64 v[84:85], v[204:205], v[208:209], -v[84:85]
	v_mul_f64 v[204:205], v[204:205], v[86:87]
	v_fmac_f64_e32 v[204:205], v[206:207], v[208:209]
	v_add_f64 v[18:19], v[18:19], -v[204:205]
	ds_read2_b64 v[204:207], v202 offset0:104 offset1:105
	v_add_f64 v[16:17], v[16:17], -v[84:85]
	s_waitcnt lgkmcnt(0)
	v_mul_f64 v[84:85], v[206:207], v[86:87]
	v_fma_f64 v[84:85], v[204:205], v[208:209], -v[84:85]
	v_mul_f64 v[204:205], v[204:205], v[86:87]
	v_fmac_f64_e32 v[204:205], v[206:207], v[208:209]
	v_add_f64 v[14:15], v[14:15], -v[204:205]
	ds_read2_b64 v[204:207], v202 offset0:106 offset1:107
	v_add_f64 v[12:13], v[12:13], -v[84:85]
	s_waitcnt lgkmcnt(0)
	v_mul_f64 v[84:85], v[206:207], v[86:87]
	v_fma_f64 v[84:85], v[204:205], v[208:209], -v[84:85]
	v_mul_f64 v[204:205], v[204:205], v[86:87]
	v_fmac_f64_e32 v[204:205], v[206:207], v[208:209]
	v_add_f64 v[10:11], v[10:11], -v[204:205]
	ds_read2_b64 v[204:207], v202 offset0:108 offset1:109
	v_add_f64 v[8:9], v[8:9], -v[84:85]
	s_waitcnt lgkmcnt(0)
	v_mul_f64 v[84:85], v[206:207], v[86:87]
	v_fma_f64 v[84:85], v[204:205], v[208:209], -v[84:85]
	v_mul_f64 v[204:205], v[204:205], v[86:87]
	v_fmac_f64_e32 v[204:205], v[206:207], v[208:209]
	v_add_f64 v[6:7], v[6:7], -v[204:205]
	ds_read2_b64 v[204:207], v202 offset0:110 offset1:111
	v_add_f64 v[4:5], v[4:5], -v[84:85]
	s_waitcnt lgkmcnt(0)
	v_mul_f64 v[84:85], v[206:207], v[86:87]
	v_fma_f64 v[84:85], v[204:205], v[208:209], -v[84:85]
	v_mul_f64 v[204:205], v[204:205], v[86:87]
	v_fmac_f64_e32 v[204:205], v[206:207], v[208:209]
	v_add_f64 v[2:3], v[2:3], -v[204:205]
	ds_read2_b64 v[204:207], v202 offset0:112 offset1:113
	v_add_f64 v[0:1], v[0:1], -v[84:85]
	s_waitcnt lgkmcnt(0)
	v_mul_f64 v[84:85], v[206:207], v[86:87]
	v_fma_f64 v[84:85], v[204:205], v[208:209], -v[84:85]
	v_mul_f64 v[204:205], v[204:205], v[86:87]
	v_fmac_f64_e32 v[204:205], v[206:207], v[208:209]
	v_add_f64 v[224:225], v[224:225], -v[84:85]
	v_add_f64 v[226:227], v[226:227], -v[204:205]
	v_mov_b64_e32 v[84:85], v[208:209]
.LBB113_316:
	s_or_b64 exec, exec, s[2:3]
	v_cmp_eq_u32_e32 vcc, 35, v200
	s_waitcnt vmcnt(63) expcnt(7) lgkmcnt(15)
	s_barrier
	s_and_saveexec_b64 s[4:5], vcc
	s_cbranch_execz .LBB113_323
; %bb.317:
	ds_write2_b64 v201, v[80:81], v[82:83] offset1:1
	ds_write2_b64 v202, v[76:77], v[78:79] offset0:72 offset1:73
	ds_write2_b64 v202, v[72:73], v[74:75] offset0:74 offset1:75
	;; [unrolled: 1-line block ×7, first 2 shown]
	s_waitcnt vmcnt(62)
	ds_write2_b64 v202, v[48:49], v[50:51] offset0:86 offset1:87
	s_waitcnt vmcnt(61)
	ds_write2_b64 v202, v[44:45], v[46:47] offset0:88 offset1:89
	;; [unrolled: 2-line block ×8, first 2 shown]
	ds_write2_b64 v202, v[16:17], v[18:19] offset0:102 offset1:103
	ds_write2_b64 v202, v[12:13], v[14:15] offset0:104 offset1:105
	;; [unrolled: 1-line block ×4, first 2 shown]
	s_waitcnt vmcnt(54)
	ds_write2_b64 v202, v[0:1], v[2:3] offset0:110 offset1:111
	s_waitcnt vmcnt(51)
	ds_write2_b64 v202, v[224:225], v[226:227] offset0:112 offset1:113
	ds_read2_b64 v[208:211], v201 offset1:1
	s_waitcnt lgkmcnt(0)
	v_cmp_neq_f64_e32 vcc, 0, v[208:209]
	v_cmp_neq_f64_e64 s[2:3], 0, v[210:211]
	s_or_b64 s[2:3], vcc, s[2:3]
	s_and_b64 exec, exec, s[2:3]
	s_cbranch_execz .LBB113_323
; %bb.318:
	v_cmp_ngt_f64_e64 s[2:3], |v[208:209]|, |v[210:211]|
                                        ; implicit-def: $vgpr204_vgpr205
	s_and_saveexec_b64 s[10:11], s[2:3]
	s_xor_b64 s[2:3], exec, s[10:11]
                                        ; implicit-def: $vgpr206_vgpr207
	s_cbranch_execz .LBB113_320
; %bb.319:
	v_div_scale_f64 v[204:205], s[10:11], v[210:211], v[210:211], v[208:209]
	v_rcp_f64_e32 v[206:207], v[204:205]
	v_div_scale_f64 v[212:213], vcc, v[208:209], v[210:211], v[208:209]
	v_fma_f64 v[214:215], -v[204:205], v[206:207], 1.0
	v_fmac_f64_e32 v[206:207], v[206:207], v[214:215]
	v_fma_f64 v[214:215], -v[204:205], v[206:207], 1.0
	v_fmac_f64_e32 v[206:207], v[206:207], v[214:215]
	v_mul_f64 v[214:215], v[212:213], v[206:207]
	v_fma_f64 v[204:205], -v[204:205], v[214:215], v[212:213]
	v_div_fmas_f64 v[204:205], v[204:205], v[206:207], v[214:215]
	v_div_fixup_f64 v[204:205], v[204:205], v[210:211], v[208:209]
	v_fmac_f64_e32 v[210:211], v[208:209], v[204:205]
	v_div_scale_f64 v[206:207], s[10:11], v[210:211], v[210:211], 1.0
	v_rcp_f64_e32 v[208:209], v[206:207]
	s_nop 0
	v_fma_f64 v[212:213], -v[206:207], v[208:209], 1.0
	v_fmac_f64_e32 v[208:209], v[208:209], v[212:213]
	v_fma_f64 v[212:213], -v[206:207], v[208:209], 1.0
	v_fmac_f64_e32 v[208:209], v[208:209], v[212:213]
	v_div_scale_f64 v[212:213], vcc, 1.0, v[210:211], 1.0
	v_mul_f64 v[214:215], v[212:213], v[208:209]
	v_fma_f64 v[206:207], -v[206:207], v[214:215], v[212:213]
	s_nop 1
	v_div_fmas_f64 v[206:207], v[206:207], v[208:209], v[214:215]
	v_div_fixup_f64 v[206:207], v[206:207], v[210:211], 1.0
	v_mul_f64 v[204:205], v[204:205], v[206:207]
	v_xor_b32_e32 v207, 0x80000000, v207
                                        ; implicit-def: $vgpr208_vgpr209
.LBB113_320:
	s_andn2_saveexec_b64 s[2:3], s[2:3]
	s_cbranch_execz .LBB113_322
; %bb.321:
	v_div_scale_f64 v[204:205], s[10:11], v[208:209], v[208:209], v[210:211]
	v_rcp_f64_e32 v[206:207], v[204:205]
	v_div_scale_f64 v[212:213], vcc, v[210:211], v[208:209], v[210:211]
	v_fma_f64 v[214:215], -v[204:205], v[206:207], 1.0
	v_fmac_f64_e32 v[206:207], v[206:207], v[214:215]
	v_fma_f64 v[214:215], -v[204:205], v[206:207], 1.0
	v_fmac_f64_e32 v[206:207], v[206:207], v[214:215]
	v_mul_f64 v[214:215], v[212:213], v[206:207]
	v_fma_f64 v[204:205], -v[204:205], v[214:215], v[212:213]
	v_div_fmas_f64 v[204:205], v[204:205], v[206:207], v[214:215]
	v_div_fixup_f64 v[206:207], v[204:205], v[208:209], v[210:211]
	v_fmac_f64_e32 v[208:209], v[210:211], v[206:207]
	v_div_scale_f64 v[204:205], s[10:11], v[208:209], v[208:209], 1.0
	v_rcp_f64_e32 v[210:211], v[204:205]
	s_nop 0
	v_fma_f64 v[212:213], -v[204:205], v[210:211], 1.0
	v_fmac_f64_e32 v[210:211], v[210:211], v[212:213]
	v_fma_f64 v[212:213], -v[204:205], v[210:211], 1.0
	v_fmac_f64_e32 v[210:211], v[210:211], v[212:213]
	v_div_scale_f64 v[212:213], vcc, 1.0, v[208:209], 1.0
	v_mul_f64 v[214:215], v[212:213], v[210:211]
	v_fma_f64 v[204:205], -v[204:205], v[214:215], v[212:213]
	s_nop 1
	v_div_fmas_f64 v[204:205], v[204:205], v[210:211], v[214:215]
	v_div_fixup_f64 v[204:205], v[204:205], v[208:209], 1.0
	v_mul_f64 v[206:207], v[206:207], -v[204:205]
.LBB113_322:
	s_or_b64 exec, exec, s[2:3]
	ds_write2_b64 v201, v[204:205], v[206:207] offset1:1
.LBB113_323:
	s_or_b64 exec, exec, s[4:5]
	s_waitcnt lgkmcnt(0)
	s_barrier
	ds_read2_b64 v[192:195], v201 offset1:1
	v_cmp_lt_u32_e32 vcc, 35, v200
	s_waitcnt lgkmcnt(0)
	scratch_store_dwordx4 off, v[192:195], off offset:1128 ; 16-byte Folded Spill
	s_and_saveexec_b64 s[2:3], vcc
	s_cbranch_execz .LBB113_325
; %bb.324:
	scratch_load_dwordx4 v[192:195], off, off offset:1128 ; 16-byte Folded Reload
	s_waitcnt vmcnt(0)
	v_mul_f64 v[204:205], v[194:195], v[82:83]
	v_fma_f64 v[208:209], v[192:193], v[80:81], -v[204:205]
	ds_read2_b64 v[204:207], v202 offset0:72 offset1:73
	v_mul_f64 v[82:83], v[192:193], v[82:83]
	v_fmac_f64_e32 v[82:83], v[194:195], v[80:81]
	s_waitcnt lgkmcnt(0)
	v_mul_f64 v[80:81], v[206:207], v[82:83]
	v_fma_f64 v[80:81], v[204:205], v[208:209], -v[80:81]
	v_mul_f64 v[204:205], v[204:205], v[82:83]
	v_fmac_f64_e32 v[204:205], v[206:207], v[208:209]
	v_add_f64 v[78:79], v[78:79], -v[204:205]
	ds_read2_b64 v[204:207], v202 offset0:74 offset1:75
	v_add_f64 v[76:77], v[76:77], -v[80:81]
	s_waitcnt lgkmcnt(0)
	v_mul_f64 v[80:81], v[206:207], v[82:83]
	v_fma_f64 v[80:81], v[204:205], v[208:209], -v[80:81]
	v_mul_f64 v[204:205], v[204:205], v[82:83]
	v_fmac_f64_e32 v[204:205], v[206:207], v[208:209]
	v_add_f64 v[74:75], v[74:75], -v[204:205]
	ds_read2_b64 v[204:207], v202 offset0:76 offset1:77
	v_add_f64 v[72:73], v[72:73], -v[80:81]
	;; [unrolled: 8-line block ×20, first 2 shown]
	s_waitcnt lgkmcnt(0)
	v_mul_f64 v[80:81], v[206:207], v[82:83]
	v_fma_f64 v[80:81], v[204:205], v[208:209], -v[80:81]
	v_mul_f64 v[204:205], v[204:205], v[82:83]
	v_fmac_f64_e32 v[204:205], v[206:207], v[208:209]
	v_add_f64 v[224:225], v[224:225], -v[80:81]
	v_add_f64 v[226:227], v[226:227], -v[204:205]
	v_mov_b64_e32 v[80:81], v[208:209]
.LBB113_325:
	s_or_b64 exec, exec, s[2:3]
	v_cmp_eq_u32_e32 vcc, 36, v200
	s_waitcnt vmcnt(63) expcnt(7) lgkmcnt(15)
	s_barrier
	s_and_saveexec_b64 s[4:5], vcc
	s_cbranch_execz .LBB113_332
; %bb.326:
	ds_write2_b64 v201, v[76:77], v[78:79] offset1:1
	ds_write2_b64 v202, v[72:73], v[74:75] offset0:74 offset1:75
	ds_write2_b64 v202, v[68:69], v[70:71] offset0:76 offset1:77
	;; [unrolled: 1-line block ×7, first 2 shown]
	s_waitcnt vmcnt(62)
	ds_write2_b64 v202, v[44:45], v[46:47] offset0:88 offset1:89
	s_waitcnt vmcnt(61)
	ds_write2_b64 v202, v[40:41], v[42:43] offset0:90 offset1:91
	s_waitcnt vmcnt(60)
	ds_write2_b64 v202, v[36:37], v[38:39] offset0:92 offset1:93
	s_waitcnt vmcnt(59)
	ds_write2_b64 v202, v[32:33], v[34:35] offset0:94 offset1:95
	s_waitcnt vmcnt(58)
	ds_write2_b64 v202, v[28:29], v[30:31] offset0:96 offset1:97
	s_waitcnt vmcnt(57)
	ds_write2_b64 v202, v[24:25], v[26:27] offset0:98 offset1:99
	s_waitcnt vmcnt(56)
	ds_write2_b64 v202, v[20:21], v[22:23] offset0:100 offset1:101
	ds_write2_b64 v202, v[16:17], v[18:19] offset0:102 offset1:103
	ds_write2_b64 v202, v[12:13], v[14:15] offset0:104 offset1:105
	;; [unrolled: 1-line block ×4, first 2 shown]
	s_waitcnt vmcnt(55)
	ds_write2_b64 v202, v[0:1], v[2:3] offset0:110 offset1:111
	s_waitcnt vmcnt(52)
	ds_write2_b64 v202, v[224:225], v[226:227] offset0:112 offset1:113
	ds_read2_b64 v[208:211], v201 offset1:1
	s_waitcnt lgkmcnt(0)
	v_cmp_neq_f64_e32 vcc, 0, v[208:209]
	v_cmp_neq_f64_e64 s[2:3], 0, v[210:211]
	s_or_b64 s[2:3], vcc, s[2:3]
	s_and_b64 exec, exec, s[2:3]
	s_cbranch_execz .LBB113_332
; %bb.327:
	v_cmp_ngt_f64_e64 s[2:3], |v[208:209]|, |v[210:211]|
                                        ; implicit-def: $vgpr204_vgpr205
	s_and_saveexec_b64 s[10:11], s[2:3]
	s_xor_b64 s[2:3], exec, s[10:11]
                                        ; implicit-def: $vgpr206_vgpr207
	s_cbranch_execz .LBB113_329
; %bb.328:
	v_div_scale_f64 v[204:205], s[10:11], v[210:211], v[210:211], v[208:209]
	v_rcp_f64_e32 v[206:207], v[204:205]
	v_div_scale_f64 v[212:213], vcc, v[208:209], v[210:211], v[208:209]
	v_fma_f64 v[214:215], -v[204:205], v[206:207], 1.0
	v_fmac_f64_e32 v[206:207], v[206:207], v[214:215]
	v_fma_f64 v[214:215], -v[204:205], v[206:207], 1.0
	v_fmac_f64_e32 v[206:207], v[206:207], v[214:215]
	v_mul_f64 v[214:215], v[212:213], v[206:207]
	v_fma_f64 v[204:205], -v[204:205], v[214:215], v[212:213]
	v_div_fmas_f64 v[204:205], v[204:205], v[206:207], v[214:215]
	v_div_fixup_f64 v[204:205], v[204:205], v[210:211], v[208:209]
	v_fmac_f64_e32 v[210:211], v[208:209], v[204:205]
	v_div_scale_f64 v[206:207], s[10:11], v[210:211], v[210:211], 1.0
	v_rcp_f64_e32 v[208:209], v[206:207]
	s_nop 0
	v_fma_f64 v[212:213], -v[206:207], v[208:209], 1.0
	v_fmac_f64_e32 v[208:209], v[208:209], v[212:213]
	v_fma_f64 v[212:213], -v[206:207], v[208:209], 1.0
	v_fmac_f64_e32 v[208:209], v[208:209], v[212:213]
	v_div_scale_f64 v[212:213], vcc, 1.0, v[210:211], 1.0
	v_mul_f64 v[214:215], v[212:213], v[208:209]
	v_fma_f64 v[206:207], -v[206:207], v[214:215], v[212:213]
	s_nop 1
	v_div_fmas_f64 v[206:207], v[206:207], v[208:209], v[214:215]
	v_div_fixup_f64 v[206:207], v[206:207], v[210:211], 1.0
	v_mul_f64 v[204:205], v[204:205], v[206:207]
	v_xor_b32_e32 v207, 0x80000000, v207
                                        ; implicit-def: $vgpr208_vgpr209
.LBB113_329:
	s_andn2_saveexec_b64 s[2:3], s[2:3]
	s_cbranch_execz .LBB113_331
; %bb.330:
	v_div_scale_f64 v[204:205], s[10:11], v[208:209], v[208:209], v[210:211]
	v_rcp_f64_e32 v[206:207], v[204:205]
	v_div_scale_f64 v[212:213], vcc, v[210:211], v[208:209], v[210:211]
	v_fma_f64 v[214:215], -v[204:205], v[206:207], 1.0
	v_fmac_f64_e32 v[206:207], v[206:207], v[214:215]
	v_fma_f64 v[214:215], -v[204:205], v[206:207], 1.0
	v_fmac_f64_e32 v[206:207], v[206:207], v[214:215]
	v_mul_f64 v[214:215], v[212:213], v[206:207]
	v_fma_f64 v[204:205], -v[204:205], v[214:215], v[212:213]
	v_div_fmas_f64 v[204:205], v[204:205], v[206:207], v[214:215]
	v_div_fixup_f64 v[206:207], v[204:205], v[208:209], v[210:211]
	v_fmac_f64_e32 v[208:209], v[210:211], v[206:207]
	v_div_scale_f64 v[204:205], s[10:11], v[208:209], v[208:209], 1.0
	v_rcp_f64_e32 v[210:211], v[204:205]
	s_nop 0
	v_fma_f64 v[212:213], -v[204:205], v[210:211], 1.0
	v_fmac_f64_e32 v[210:211], v[210:211], v[212:213]
	v_fma_f64 v[212:213], -v[204:205], v[210:211], 1.0
	v_fmac_f64_e32 v[210:211], v[210:211], v[212:213]
	v_div_scale_f64 v[212:213], vcc, 1.0, v[208:209], 1.0
	v_mul_f64 v[214:215], v[212:213], v[210:211]
	v_fma_f64 v[204:205], -v[204:205], v[214:215], v[212:213]
	s_nop 1
	v_div_fmas_f64 v[204:205], v[204:205], v[210:211], v[214:215]
	v_div_fixup_f64 v[204:205], v[204:205], v[208:209], 1.0
	v_mul_f64 v[206:207], v[206:207], -v[204:205]
.LBB113_331:
	s_or_b64 exec, exec, s[2:3]
	ds_write2_b64 v201, v[204:205], v[206:207] offset1:1
.LBB113_332:
	s_or_b64 exec, exec, s[4:5]
	s_waitcnt lgkmcnt(0)
	s_barrier
	ds_read2_b64 v[192:195], v201 offset1:1
	v_cmp_lt_u32_e32 vcc, 36, v200
	s_waitcnt lgkmcnt(0)
	scratch_store_dwordx4 off, v[192:195], off offset:1144 ; 16-byte Folded Spill
	s_and_saveexec_b64 s[2:3], vcc
	s_cbranch_execz .LBB113_334
; %bb.333:
	scratch_load_dwordx4 v[192:195], off, off offset:1144 ; 16-byte Folded Reload
	s_waitcnt vmcnt(0)
	v_mul_f64 v[204:205], v[194:195], v[78:79]
	v_fma_f64 v[208:209], v[192:193], v[76:77], -v[204:205]
	ds_read2_b64 v[204:207], v202 offset0:74 offset1:75
	v_mul_f64 v[78:79], v[192:193], v[78:79]
	v_fmac_f64_e32 v[78:79], v[194:195], v[76:77]
	s_waitcnt lgkmcnt(0)
	v_mul_f64 v[76:77], v[206:207], v[78:79]
	v_fma_f64 v[76:77], v[204:205], v[208:209], -v[76:77]
	v_mul_f64 v[204:205], v[204:205], v[78:79]
	v_fmac_f64_e32 v[204:205], v[206:207], v[208:209]
	v_add_f64 v[74:75], v[74:75], -v[204:205]
	ds_read2_b64 v[204:207], v202 offset0:76 offset1:77
	v_add_f64 v[72:73], v[72:73], -v[76:77]
	s_waitcnt lgkmcnt(0)
	v_mul_f64 v[76:77], v[206:207], v[78:79]
	v_fma_f64 v[76:77], v[204:205], v[208:209], -v[76:77]
	v_mul_f64 v[204:205], v[204:205], v[78:79]
	v_fmac_f64_e32 v[204:205], v[206:207], v[208:209]
	v_add_f64 v[70:71], v[70:71], -v[204:205]
	ds_read2_b64 v[204:207], v202 offset0:78 offset1:79
	v_add_f64 v[68:69], v[68:69], -v[76:77]
	s_waitcnt lgkmcnt(0)
	v_mul_f64 v[76:77], v[206:207], v[78:79]
	v_fma_f64 v[76:77], v[204:205], v[208:209], -v[76:77]
	v_mul_f64 v[204:205], v[204:205], v[78:79]
	v_fmac_f64_e32 v[204:205], v[206:207], v[208:209]
	v_add_f64 v[66:67], v[66:67], -v[204:205]
	ds_read2_b64 v[204:207], v202 offset0:80 offset1:81
	v_add_f64 v[64:65], v[64:65], -v[76:77]
	s_waitcnt lgkmcnt(0)
	v_mul_f64 v[76:77], v[206:207], v[78:79]
	v_fma_f64 v[76:77], v[204:205], v[208:209], -v[76:77]
	v_mul_f64 v[204:205], v[204:205], v[78:79]
	v_fmac_f64_e32 v[204:205], v[206:207], v[208:209]
	v_add_f64 v[62:63], v[62:63], -v[204:205]
	ds_read2_b64 v[204:207], v202 offset0:82 offset1:83
	v_add_f64 v[60:61], v[60:61], -v[76:77]
	s_waitcnt lgkmcnt(0)
	v_mul_f64 v[76:77], v[206:207], v[78:79]
	v_fma_f64 v[76:77], v[204:205], v[208:209], -v[76:77]
	v_mul_f64 v[204:205], v[204:205], v[78:79]
	v_fmac_f64_e32 v[204:205], v[206:207], v[208:209]
	v_add_f64 v[58:59], v[58:59], -v[204:205]
	ds_read2_b64 v[204:207], v202 offset0:84 offset1:85
	v_add_f64 v[56:57], v[56:57], -v[76:77]
	s_waitcnt lgkmcnt(0)
	v_mul_f64 v[76:77], v[206:207], v[78:79]
	v_fma_f64 v[76:77], v[204:205], v[208:209], -v[76:77]
	v_mul_f64 v[204:205], v[204:205], v[78:79]
	v_fmac_f64_e32 v[204:205], v[206:207], v[208:209]
	v_add_f64 v[54:55], v[54:55], -v[204:205]
	ds_read2_b64 v[204:207], v202 offset0:86 offset1:87
	v_add_f64 v[52:53], v[52:53], -v[76:77]
	s_waitcnt lgkmcnt(0)
	v_mul_f64 v[76:77], v[206:207], v[78:79]
	v_fma_f64 v[76:77], v[204:205], v[208:209], -v[76:77]
	v_mul_f64 v[204:205], v[204:205], v[78:79]
	v_fmac_f64_e32 v[204:205], v[206:207], v[208:209]
	v_add_f64 v[50:51], v[50:51], -v[204:205]
	ds_read2_b64 v[204:207], v202 offset0:88 offset1:89
	v_add_f64 v[48:49], v[48:49], -v[76:77]
	s_waitcnt lgkmcnt(0)
	v_mul_f64 v[76:77], v[206:207], v[78:79]
	v_fma_f64 v[76:77], v[204:205], v[208:209], -v[76:77]
	v_mul_f64 v[204:205], v[204:205], v[78:79]
	v_fmac_f64_e32 v[204:205], v[206:207], v[208:209]
	v_add_f64 v[46:47], v[46:47], -v[204:205]
	ds_read2_b64 v[204:207], v202 offset0:90 offset1:91
	v_add_f64 v[44:45], v[44:45], -v[76:77]
	s_waitcnt lgkmcnt(0)
	v_mul_f64 v[76:77], v[206:207], v[78:79]
	v_fma_f64 v[76:77], v[204:205], v[208:209], -v[76:77]
	v_mul_f64 v[204:205], v[204:205], v[78:79]
	v_fmac_f64_e32 v[204:205], v[206:207], v[208:209]
	v_add_f64 v[42:43], v[42:43], -v[204:205]
	ds_read2_b64 v[204:207], v202 offset0:92 offset1:93
	v_add_f64 v[40:41], v[40:41], -v[76:77]
	s_waitcnt lgkmcnt(0)
	v_mul_f64 v[76:77], v[206:207], v[78:79]
	v_fma_f64 v[76:77], v[204:205], v[208:209], -v[76:77]
	v_mul_f64 v[204:205], v[204:205], v[78:79]
	v_fmac_f64_e32 v[204:205], v[206:207], v[208:209]
	v_add_f64 v[38:39], v[38:39], -v[204:205]
	ds_read2_b64 v[204:207], v202 offset0:94 offset1:95
	v_add_f64 v[36:37], v[36:37], -v[76:77]
	s_waitcnt lgkmcnt(0)
	v_mul_f64 v[76:77], v[206:207], v[78:79]
	v_fma_f64 v[76:77], v[204:205], v[208:209], -v[76:77]
	v_mul_f64 v[204:205], v[204:205], v[78:79]
	v_fmac_f64_e32 v[204:205], v[206:207], v[208:209]
	v_add_f64 v[34:35], v[34:35], -v[204:205]
	ds_read2_b64 v[204:207], v202 offset0:96 offset1:97
	v_add_f64 v[32:33], v[32:33], -v[76:77]
	s_waitcnt lgkmcnt(0)
	v_mul_f64 v[76:77], v[206:207], v[78:79]
	v_fma_f64 v[76:77], v[204:205], v[208:209], -v[76:77]
	v_mul_f64 v[204:205], v[204:205], v[78:79]
	v_fmac_f64_e32 v[204:205], v[206:207], v[208:209]
	v_add_f64 v[30:31], v[30:31], -v[204:205]
	ds_read2_b64 v[204:207], v202 offset0:98 offset1:99
	v_add_f64 v[28:29], v[28:29], -v[76:77]
	s_waitcnt lgkmcnt(0)
	v_mul_f64 v[76:77], v[206:207], v[78:79]
	v_fma_f64 v[76:77], v[204:205], v[208:209], -v[76:77]
	v_mul_f64 v[204:205], v[204:205], v[78:79]
	v_fmac_f64_e32 v[204:205], v[206:207], v[208:209]
	v_add_f64 v[26:27], v[26:27], -v[204:205]
	ds_read2_b64 v[204:207], v202 offset0:100 offset1:101
	v_add_f64 v[24:25], v[24:25], -v[76:77]
	s_waitcnt lgkmcnt(0)
	v_mul_f64 v[76:77], v[206:207], v[78:79]
	v_fma_f64 v[76:77], v[204:205], v[208:209], -v[76:77]
	v_mul_f64 v[204:205], v[204:205], v[78:79]
	v_fmac_f64_e32 v[204:205], v[206:207], v[208:209]
	v_add_f64 v[22:23], v[22:23], -v[204:205]
	ds_read2_b64 v[204:207], v202 offset0:102 offset1:103
	v_add_f64 v[20:21], v[20:21], -v[76:77]
	s_waitcnt lgkmcnt(0)
	v_mul_f64 v[76:77], v[206:207], v[78:79]
	v_fma_f64 v[76:77], v[204:205], v[208:209], -v[76:77]
	v_mul_f64 v[204:205], v[204:205], v[78:79]
	v_fmac_f64_e32 v[204:205], v[206:207], v[208:209]
	v_add_f64 v[18:19], v[18:19], -v[204:205]
	ds_read2_b64 v[204:207], v202 offset0:104 offset1:105
	v_add_f64 v[16:17], v[16:17], -v[76:77]
	s_waitcnt lgkmcnt(0)
	v_mul_f64 v[76:77], v[206:207], v[78:79]
	v_fma_f64 v[76:77], v[204:205], v[208:209], -v[76:77]
	v_mul_f64 v[204:205], v[204:205], v[78:79]
	v_fmac_f64_e32 v[204:205], v[206:207], v[208:209]
	v_add_f64 v[14:15], v[14:15], -v[204:205]
	ds_read2_b64 v[204:207], v202 offset0:106 offset1:107
	v_add_f64 v[12:13], v[12:13], -v[76:77]
	s_waitcnt lgkmcnt(0)
	v_mul_f64 v[76:77], v[206:207], v[78:79]
	v_fma_f64 v[76:77], v[204:205], v[208:209], -v[76:77]
	v_mul_f64 v[204:205], v[204:205], v[78:79]
	v_fmac_f64_e32 v[204:205], v[206:207], v[208:209]
	v_add_f64 v[10:11], v[10:11], -v[204:205]
	ds_read2_b64 v[204:207], v202 offset0:108 offset1:109
	v_add_f64 v[8:9], v[8:9], -v[76:77]
	s_waitcnt lgkmcnt(0)
	v_mul_f64 v[76:77], v[206:207], v[78:79]
	v_fma_f64 v[76:77], v[204:205], v[208:209], -v[76:77]
	v_mul_f64 v[204:205], v[204:205], v[78:79]
	v_fmac_f64_e32 v[204:205], v[206:207], v[208:209]
	v_add_f64 v[6:7], v[6:7], -v[204:205]
	ds_read2_b64 v[204:207], v202 offset0:110 offset1:111
	v_add_f64 v[4:5], v[4:5], -v[76:77]
	s_waitcnt lgkmcnt(0)
	v_mul_f64 v[76:77], v[206:207], v[78:79]
	v_fma_f64 v[76:77], v[204:205], v[208:209], -v[76:77]
	v_mul_f64 v[204:205], v[204:205], v[78:79]
	v_fmac_f64_e32 v[204:205], v[206:207], v[208:209]
	v_add_f64 v[2:3], v[2:3], -v[204:205]
	ds_read2_b64 v[204:207], v202 offset0:112 offset1:113
	v_add_f64 v[0:1], v[0:1], -v[76:77]
	s_waitcnt lgkmcnt(0)
	v_mul_f64 v[76:77], v[206:207], v[78:79]
	v_fma_f64 v[76:77], v[204:205], v[208:209], -v[76:77]
	v_mul_f64 v[204:205], v[204:205], v[78:79]
	v_fmac_f64_e32 v[204:205], v[206:207], v[208:209]
	v_add_f64 v[224:225], v[224:225], -v[76:77]
	v_add_f64 v[226:227], v[226:227], -v[204:205]
	v_mov_b64_e32 v[76:77], v[208:209]
.LBB113_334:
	s_or_b64 exec, exec, s[2:3]
	v_cmp_eq_u32_e32 vcc, 37, v200
	s_waitcnt vmcnt(63) expcnt(7) lgkmcnt(15)
	s_barrier
	s_and_saveexec_b64 s[4:5], vcc
	s_cbranch_execz .LBB113_341
; %bb.335:
	ds_write2_b64 v201, v[72:73], v[74:75] offset1:1
	ds_write2_b64 v202, v[68:69], v[70:71] offset0:76 offset1:77
	ds_write2_b64 v202, v[64:65], v[66:67] offset0:78 offset1:79
	;; [unrolled: 1-line block ×7, first 2 shown]
	s_waitcnt vmcnt(62)
	ds_write2_b64 v202, v[40:41], v[42:43] offset0:90 offset1:91
	s_waitcnt vmcnt(61)
	ds_write2_b64 v202, v[36:37], v[38:39] offset0:92 offset1:93
	;; [unrolled: 2-line block ×6, first 2 shown]
	ds_write2_b64 v202, v[16:17], v[18:19] offset0:102 offset1:103
	ds_write2_b64 v202, v[12:13], v[14:15] offset0:104 offset1:105
	;; [unrolled: 1-line block ×4, first 2 shown]
	s_waitcnt vmcnt(56)
	ds_write2_b64 v202, v[0:1], v[2:3] offset0:110 offset1:111
	s_waitcnt vmcnt(53)
	ds_write2_b64 v202, v[224:225], v[226:227] offset0:112 offset1:113
	ds_read2_b64 v[208:211], v201 offset1:1
	s_waitcnt lgkmcnt(0)
	v_cmp_neq_f64_e32 vcc, 0, v[208:209]
	v_cmp_neq_f64_e64 s[2:3], 0, v[210:211]
	s_or_b64 s[2:3], vcc, s[2:3]
	s_and_b64 exec, exec, s[2:3]
	s_cbranch_execz .LBB113_341
; %bb.336:
	v_cmp_ngt_f64_e64 s[2:3], |v[208:209]|, |v[210:211]|
                                        ; implicit-def: $vgpr204_vgpr205
	s_and_saveexec_b64 s[10:11], s[2:3]
	s_xor_b64 s[2:3], exec, s[10:11]
                                        ; implicit-def: $vgpr206_vgpr207
	s_cbranch_execz .LBB113_338
; %bb.337:
	v_div_scale_f64 v[204:205], s[10:11], v[210:211], v[210:211], v[208:209]
	v_rcp_f64_e32 v[206:207], v[204:205]
	v_div_scale_f64 v[212:213], vcc, v[208:209], v[210:211], v[208:209]
	v_fma_f64 v[214:215], -v[204:205], v[206:207], 1.0
	v_fmac_f64_e32 v[206:207], v[206:207], v[214:215]
	v_fma_f64 v[214:215], -v[204:205], v[206:207], 1.0
	v_fmac_f64_e32 v[206:207], v[206:207], v[214:215]
	v_mul_f64 v[214:215], v[212:213], v[206:207]
	v_fma_f64 v[204:205], -v[204:205], v[214:215], v[212:213]
	v_div_fmas_f64 v[204:205], v[204:205], v[206:207], v[214:215]
	v_div_fixup_f64 v[204:205], v[204:205], v[210:211], v[208:209]
	v_fmac_f64_e32 v[210:211], v[208:209], v[204:205]
	v_div_scale_f64 v[206:207], s[10:11], v[210:211], v[210:211], 1.0
	v_rcp_f64_e32 v[208:209], v[206:207]
	s_nop 0
	v_fma_f64 v[212:213], -v[206:207], v[208:209], 1.0
	v_fmac_f64_e32 v[208:209], v[208:209], v[212:213]
	v_fma_f64 v[212:213], -v[206:207], v[208:209], 1.0
	v_fmac_f64_e32 v[208:209], v[208:209], v[212:213]
	v_div_scale_f64 v[212:213], vcc, 1.0, v[210:211], 1.0
	v_mul_f64 v[214:215], v[212:213], v[208:209]
	v_fma_f64 v[206:207], -v[206:207], v[214:215], v[212:213]
	s_nop 1
	v_div_fmas_f64 v[206:207], v[206:207], v[208:209], v[214:215]
	v_div_fixup_f64 v[206:207], v[206:207], v[210:211], 1.0
	v_mul_f64 v[204:205], v[204:205], v[206:207]
	v_xor_b32_e32 v207, 0x80000000, v207
                                        ; implicit-def: $vgpr208_vgpr209
.LBB113_338:
	s_andn2_saveexec_b64 s[2:3], s[2:3]
	s_cbranch_execz .LBB113_340
; %bb.339:
	v_div_scale_f64 v[204:205], s[10:11], v[208:209], v[208:209], v[210:211]
	v_rcp_f64_e32 v[206:207], v[204:205]
	v_div_scale_f64 v[212:213], vcc, v[210:211], v[208:209], v[210:211]
	v_fma_f64 v[214:215], -v[204:205], v[206:207], 1.0
	v_fmac_f64_e32 v[206:207], v[206:207], v[214:215]
	v_fma_f64 v[214:215], -v[204:205], v[206:207], 1.0
	v_fmac_f64_e32 v[206:207], v[206:207], v[214:215]
	v_mul_f64 v[214:215], v[212:213], v[206:207]
	v_fma_f64 v[204:205], -v[204:205], v[214:215], v[212:213]
	v_div_fmas_f64 v[204:205], v[204:205], v[206:207], v[214:215]
	v_div_fixup_f64 v[206:207], v[204:205], v[208:209], v[210:211]
	v_fmac_f64_e32 v[208:209], v[210:211], v[206:207]
	v_div_scale_f64 v[204:205], s[10:11], v[208:209], v[208:209], 1.0
	v_rcp_f64_e32 v[210:211], v[204:205]
	s_nop 0
	v_fma_f64 v[212:213], -v[204:205], v[210:211], 1.0
	v_fmac_f64_e32 v[210:211], v[210:211], v[212:213]
	v_fma_f64 v[212:213], -v[204:205], v[210:211], 1.0
	v_fmac_f64_e32 v[210:211], v[210:211], v[212:213]
	v_div_scale_f64 v[212:213], vcc, 1.0, v[208:209], 1.0
	v_mul_f64 v[214:215], v[212:213], v[210:211]
	v_fma_f64 v[204:205], -v[204:205], v[214:215], v[212:213]
	s_nop 1
	v_div_fmas_f64 v[204:205], v[204:205], v[210:211], v[214:215]
	v_div_fixup_f64 v[204:205], v[204:205], v[208:209], 1.0
	v_mul_f64 v[206:207], v[206:207], -v[204:205]
.LBB113_340:
	s_or_b64 exec, exec, s[2:3]
	ds_write2_b64 v201, v[204:205], v[206:207] offset1:1
.LBB113_341:
	s_or_b64 exec, exec, s[4:5]
	s_waitcnt lgkmcnt(0)
	s_barrier
	ds_read2_b64 v[192:195], v201 offset1:1
	v_cmp_lt_u32_e32 vcc, 37, v200
	s_waitcnt lgkmcnt(0)
	scratch_store_dwordx4 off, v[192:195], off offset:1160 ; 16-byte Folded Spill
	s_and_saveexec_b64 s[2:3], vcc
	s_cbranch_execz .LBB113_343
; %bb.342:
	scratch_load_dwordx4 v[192:195], off, off offset:1160 ; 16-byte Folded Reload
	s_waitcnt vmcnt(0)
	v_mul_f64 v[204:205], v[194:195], v[74:75]
	v_fma_f64 v[208:209], v[192:193], v[72:73], -v[204:205]
	ds_read2_b64 v[204:207], v202 offset0:76 offset1:77
	v_mul_f64 v[74:75], v[192:193], v[74:75]
	v_fmac_f64_e32 v[74:75], v[194:195], v[72:73]
	s_waitcnt lgkmcnt(0)
	v_mul_f64 v[72:73], v[206:207], v[74:75]
	v_fma_f64 v[72:73], v[204:205], v[208:209], -v[72:73]
	v_mul_f64 v[204:205], v[204:205], v[74:75]
	v_fmac_f64_e32 v[204:205], v[206:207], v[208:209]
	v_add_f64 v[70:71], v[70:71], -v[204:205]
	ds_read2_b64 v[204:207], v202 offset0:78 offset1:79
	v_add_f64 v[68:69], v[68:69], -v[72:73]
	s_waitcnt lgkmcnt(0)
	v_mul_f64 v[72:73], v[206:207], v[74:75]
	v_fma_f64 v[72:73], v[204:205], v[208:209], -v[72:73]
	v_mul_f64 v[204:205], v[204:205], v[74:75]
	v_fmac_f64_e32 v[204:205], v[206:207], v[208:209]
	v_add_f64 v[66:67], v[66:67], -v[204:205]
	ds_read2_b64 v[204:207], v202 offset0:80 offset1:81
	v_add_f64 v[64:65], v[64:65], -v[72:73]
	;; [unrolled: 8-line block ×18, first 2 shown]
	s_waitcnt lgkmcnt(0)
	v_mul_f64 v[72:73], v[206:207], v[74:75]
	v_fma_f64 v[72:73], v[204:205], v[208:209], -v[72:73]
	v_mul_f64 v[204:205], v[204:205], v[74:75]
	v_fmac_f64_e32 v[204:205], v[206:207], v[208:209]
	v_add_f64 v[224:225], v[224:225], -v[72:73]
	v_add_f64 v[226:227], v[226:227], -v[204:205]
	v_mov_b64_e32 v[72:73], v[208:209]
.LBB113_343:
	s_or_b64 exec, exec, s[2:3]
	v_cmp_eq_u32_e32 vcc, 38, v200
	s_waitcnt vmcnt(63) expcnt(7) lgkmcnt(15)
	s_barrier
	s_and_saveexec_b64 s[4:5], vcc
	s_cbranch_execz .LBB113_350
; %bb.344:
	ds_write2_b64 v201, v[68:69], v[70:71] offset1:1
	ds_write2_b64 v202, v[64:65], v[66:67] offset0:78 offset1:79
	ds_write2_b64 v202, v[60:61], v[62:63] offset0:80 offset1:81
	;; [unrolled: 1-line block ×7, first 2 shown]
	s_waitcnt vmcnt(62)
	ds_write2_b64 v202, v[36:37], v[38:39] offset0:92 offset1:93
	s_waitcnt vmcnt(61)
	ds_write2_b64 v202, v[32:33], v[34:35] offset0:94 offset1:95
	;; [unrolled: 2-line block ×5, first 2 shown]
	ds_write2_b64 v202, v[16:17], v[18:19] offset0:102 offset1:103
	ds_write2_b64 v202, v[12:13], v[14:15] offset0:104 offset1:105
	;; [unrolled: 1-line block ×4, first 2 shown]
	s_waitcnt vmcnt(57)
	ds_write2_b64 v202, v[0:1], v[2:3] offset0:110 offset1:111
	s_waitcnt vmcnt(54)
	ds_write2_b64 v202, v[224:225], v[226:227] offset0:112 offset1:113
	ds_read2_b64 v[208:211], v201 offset1:1
	s_waitcnt lgkmcnt(0)
	v_cmp_neq_f64_e32 vcc, 0, v[208:209]
	v_cmp_neq_f64_e64 s[2:3], 0, v[210:211]
	s_or_b64 s[2:3], vcc, s[2:3]
	s_and_b64 exec, exec, s[2:3]
	s_cbranch_execz .LBB113_350
; %bb.345:
	v_cmp_ngt_f64_e64 s[2:3], |v[208:209]|, |v[210:211]|
                                        ; implicit-def: $vgpr204_vgpr205
	s_and_saveexec_b64 s[10:11], s[2:3]
	s_xor_b64 s[2:3], exec, s[10:11]
                                        ; implicit-def: $vgpr206_vgpr207
	s_cbranch_execz .LBB113_347
; %bb.346:
	v_div_scale_f64 v[204:205], s[10:11], v[210:211], v[210:211], v[208:209]
	v_rcp_f64_e32 v[206:207], v[204:205]
	v_div_scale_f64 v[212:213], vcc, v[208:209], v[210:211], v[208:209]
	v_fma_f64 v[214:215], -v[204:205], v[206:207], 1.0
	v_fmac_f64_e32 v[206:207], v[206:207], v[214:215]
	v_fma_f64 v[214:215], -v[204:205], v[206:207], 1.0
	v_fmac_f64_e32 v[206:207], v[206:207], v[214:215]
	v_mul_f64 v[214:215], v[212:213], v[206:207]
	v_fma_f64 v[204:205], -v[204:205], v[214:215], v[212:213]
	v_div_fmas_f64 v[204:205], v[204:205], v[206:207], v[214:215]
	v_div_fixup_f64 v[204:205], v[204:205], v[210:211], v[208:209]
	v_fmac_f64_e32 v[210:211], v[208:209], v[204:205]
	v_div_scale_f64 v[206:207], s[10:11], v[210:211], v[210:211], 1.0
	v_rcp_f64_e32 v[208:209], v[206:207]
	s_nop 0
	v_fma_f64 v[212:213], -v[206:207], v[208:209], 1.0
	v_fmac_f64_e32 v[208:209], v[208:209], v[212:213]
	v_fma_f64 v[212:213], -v[206:207], v[208:209], 1.0
	v_fmac_f64_e32 v[208:209], v[208:209], v[212:213]
	v_div_scale_f64 v[212:213], vcc, 1.0, v[210:211], 1.0
	v_mul_f64 v[214:215], v[212:213], v[208:209]
	v_fma_f64 v[206:207], -v[206:207], v[214:215], v[212:213]
	s_nop 1
	v_div_fmas_f64 v[206:207], v[206:207], v[208:209], v[214:215]
	v_div_fixup_f64 v[206:207], v[206:207], v[210:211], 1.0
	v_mul_f64 v[204:205], v[204:205], v[206:207]
	v_xor_b32_e32 v207, 0x80000000, v207
                                        ; implicit-def: $vgpr208_vgpr209
.LBB113_347:
	s_andn2_saveexec_b64 s[2:3], s[2:3]
	s_cbranch_execz .LBB113_349
; %bb.348:
	v_div_scale_f64 v[204:205], s[10:11], v[208:209], v[208:209], v[210:211]
	v_rcp_f64_e32 v[206:207], v[204:205]
	v_div_scale_f64 v[212:213], vcc, v[210:211], v[208:209], v[210:211]
	v_fma_f64 v[214:215], -v[204:205], v[206:207], 1.0
	v_fmac_f64_e32 v[206:207], v[206:207], v[214:215]
	v_fma_f64 v[214:215], -v[204:205], v[206:207], 1.0
	v_fmac_f64_e32 v[206:207], v[206:207], v[214:215]
	v_mul_f64 v[214:215], v[212:213], v[206:207]
	v_fma_f64 v[204:205], -v[204:205], v[214:215], v[212:213]
	v_div_fmas_f64 v[204:205], v[204:205], v[206:207], v[214:215]
	v_div_fixup_f64 v[206:207], v[204:205], v[208:209], v[210:211]
	v_fmac_f64_e32 v[208:209], v[210:211], v[206:207]
	v_div_scale_f64 v[204:205], s[10:11], v[208:209], v[208:209], 1.0
	v_rcp_f64_e32 v[210:211], v[204:205]
	s_nop 0
	v_fma_f64 v[212:213], -v[204:205], v[210:211], 1.0
	v_fmac_f64_e32 v[210:211], v[210:211], v[212:213]
	v_fma_f64 v[212:213], -v[204:205], v[210:211], 1.0
	v_fmac_f64_e32 v[210:211], v[210:211], v[212:213]
	v_div_scale_f64 v[212:213], vcc, 1.0, v[208:209], 1.0
	v_mul_f64 v[214:215], v[212:213], v[210:211]
	v_fma_f64 v[204:205], -v[204:205], v[214:215], v[212:213]
	s_nop 1
	v_div_fmas_f64 v[204:205], v[204:205], v[210:211], v[214:215]
	v_div_fixup_f64 v[204:205], v[204:205], v[208:209], 1.0
	v_mul_f64 v[206:207], v[206:207], -v[204:205]
.LBB113_349:
	s_or_b64 exec, exec, s[2:3]
	ds_write2_b64 v201, v[204:205], v[206:207] offset1:1
.LBB113_350:
	s_or_b64 exec, exec, s[4:5]
	s_waitcnt lgkmcnt(0)
	s_barrier
	ds_read2_b64 v[192:195], v201 offset1:1
	v_cmp_lt_u32_e32 vcc, 38, v200
	s_waitcnt lgkmcnt(0)
	scratch_store_dwordx4 off, v[192:195], off offset:1176 ; 16-byte Folded Spill
	s_and_saveexec_b64 s[2:3], vcc
	s_cbranch_execz .LBB113_352
; %bb.351:
	scratch_load_dwordx4 v[192:195], off, off offset:1176 ; 16-byte Folded Reload
	s_waitcnt vmcnt(0)
	v_mul_f64 v[204:205], v[194:195], v[70:71]
	v_fma_f64 v[208:209], v[192:193], v[68:69], -v[204:205]
	ds_read2_b64 v[204:207], v202 offset0:78 offset1:79
	v_mul_f64 v[70:71], v[192:193], v[70:71]
	v_fmac_f64_e32 v[70:71], v[194:195], v[68:69]
	s_waitcnt lgkmcnt(0)
	v_mul_f64 v[68:69], v[206:207], v[70:71]
	v_fma_f64 v[68:69], v[204:205], v[208:209], -v[68:69]
	v_mul_f64 v[204:205], v[204:205], v[70:71]
	v_fmac_f64_e32 v[204:205], v[206:207], v[208:209]
	v_add_f64 v[66:67], v[66:67], -v[204:205]
	ds_read2_b64 v[204:207], v202 offset0:80 offset1:81
	v_add_f64 v[64:65], v[64:65], -v[68:69]
	s_waitcnt lgkmcnt(0)
	v_mul_f64 v[68:69], v[206:207], v[70:71]
	v_fma_f64 v[68:69], v[204:205], v[208:209], -v[68:69]
	v_mul_f64 v[204:205], v[204:205], v[70:71]
	v_fmac_f64_e32 v[204:205], v[206:207], v[208:209]
	v_add_f64 v[62:63], v[62:63], -v[204:205]
	ds_read2_b64 v[204:207], v202 offset0:82 offset1:83
	v_add_f64 v[60:61], v[60:61], -v[68:69]
	;; [unrolled: 8-line block ×17, first 2 shown]
	s_waitcnt lgkmcnt(0)
	v_mul_f64 v[68:69], v[206:207], v[70:71]
	v_fma_f64 v[68:69], v[204:205], v[208:209], -v[68:69]
	v_mul_f64 v[204:205], v[204:205], v[70:71]
	v_fmac_f64_e32 v[204:205], v[206:207], v[208:209]
	v_add_f64 v[224:225], v[224:225], -v[68:69]
	v_add_f64 v[226:227], v[226:227], -v[204:205]
	v_mov_b64_e32 v[68:69], v[208:209]
.LBB113_352:
	s_or_b64 exec, exec, s[2:3]
	v_cmp_eq_u32_e32 vcc, 39, v200
	s_waitcnt vmcnt(63) expcnt(7) lgkmcnt(15)
	s_barrier
	s_and_saveexec_b64 s[4:5], vcc
	s_cbranch_execz .LBB113_359
; %bb.353:
	ds_write2_b64 v201, v[64:65], v[66:67] offset1:1
	ds_write2_b64 v202, v[60:61], v[62:63] offset0:80 offset1:81
	ds_write2_b64 v202, v[56:57], v[58:59] offset0:82 offset1:83
	;; [unrolled: 1-line block ×7, first 2 shown]
	s_waitcnt vmcnt(62)
	ds_write2_b64 v202, v[32:33], v[34:35] offset0:94 offset1:95
	s_waitcnt vmcnt(61)
	ds_write2_b64 v202, v[28:29], v[30:31] offset0:96 offset1:97
	;; [unrolled: 2-line block ×4, first 2 shown]
	ds_write2_b64 v202, v[16:17], v[18:19] offset0:102 offset1:103
	ds_write2_b64 v202, v[12:13], v[14:15] offset0:104 offset1:105
	;; [unrolled: 1-line block ×4, first 2 shown]
	s_waitcnt vmcnt(58)
	ds_write2_b64 v202, v[0:1], v[2:3] offset0:110 offset1:111
	s_waitcnt vmcnt(55)
	ds_write2_b64 v202, v[224:225], v[226:227] offset0:112 offset1:113
	ds_read2_b64 v[208:211], v201 offset1:1
	s_waitcnt lgkmcnt(0)
	v_cmp_neq_f64_e32 vcc, 0, v[208:209]
	v_cmp_neq_f64_e64 s[2:3], 0, v[210:211]
	s_or_b64 s[2:3], vcc, s[2:3]
	s_and_b64 exec, exec, s[2:3]
	s_cbranch_execz .LBB113_359
; %bb.354:
	v_cmp_ngt_f64_e64 s[2:3], |v[208:209]|, |v[210:211]|
                                        ; implicit-def: $vgpr204_vgpr205
	s_and_saveexec_b64 s[10:11], s[2:3]
	s_xor_b64 s[2:3], exec, s[10:11]
                                        ; implicit-def: $vgpr206_vgpr207
	s_cbranch_execz .LBB113_356
; %bb.355:
	v_div_scale_f64 v[204:205], s[10:11], v[210:211], v[210:211], v[208:209]
	v_rcp_f64_e32 v[206:207], v[204:205]
	v_div_scale_f64 v[212:213], vcc, v[208:209], v[210:211], v[208:209]
	v_fma_f64 v[214:215], -v[204:205], v[206:207], 1.0
	v_fmac_f64_e32 v[206:207], v[206:207], v[214:215]
	v_fma_f64 v[214:215], -v[204:205], v[206:207], 1.0
	v_fmac_f64_e32 v[206:207], v[206:207], v[214:215]
	v_mul_f64 v[214:215], v[212:213], v[206:207]
	v_fma_f64 v[204:205], -v[204:205], v[214:215], v[212:213]
	v_div_fmas_f64 v[204:205], v[204:205], v[206:207], v[214:215]
	v_div_fixup_f64 v[204:205], v[204:205], v[210:211], v[208:209]
	v_fmac_f64_e32 v[210:211], v[208:209], v[204:205]
	v_div_scale_f64 v[206:207], s[10:11], v[210:211], v[210:211], 1.0
	v_rcp_f64_e32 v[208:209], v[206:207]
	s_nop 0
	v_fma_f64 v[212:213], -v[206:207], v[208:209], 1.0
	v_fmac_f64_e32 v[208:209], v[208:209], v[212:213]
	v_fma_f64 v[212:213], -v[206:207], v[208:209], 1.0
	v_fmac_f64_e32 v[208:209], v[208:209], v[212:213]
	v_div_scale_f64 v[212:213], vcc, 1.0, v[210:211], 1.0
	v_mul_f64 v[214:215], v[212:213], v[208:209]
	v_fma_f64 v[206:207], -v[206:207], v[214:215], v[212:213]
	s_nop 1
	v_div_fmas_f64 v[206:207], v[206:207], v[208:209], v[214:215]
	v_div_fixup_f64 v[206:207], v[206:207], v[210:211], 1.0
	v_mul_f64 v[204:205], v[204:205], v[206:207]
	v_xor_b32_e32 v207, 0x80000000, v207
                                        ; implicit-def: $vgpr208_vgpr209
.LBB113_356:
	s_andn2_saveexec_b64 s[2:3], s[2:3]
	s_cbranch_execz .LBB113_358
; %bb.357:
	v_div_scale_f64 v[204:205], s[10:11], v[208:209], v[208:209], v[210:211]
	v_rcp_f64_e32 v[206:207], v[204:205]
	v_div_scale_f64 v[212:213], vcc, v[210:211], v[208:209], v[210:211]
	v_fma_f64 v[214:215], -v[204:205], v[206:207], 1.0
	v_fmac_f64_e32 v[206:207], v[206:207], v[214:215]
	v_fma_f64 v[214:215], -v[204:205], v[206:207], 1.0
	v_fmac_f64_e32 v[206:207], v[206:207], v[214:215]
	v_mul_f64 v[214:215], v[212:213], v[206:207]
	v_fma_f64 v[204:205], -v[204:205], v[214:215], v[212:213]
	v_div_fmas_f64 v[204:205], v[204:205], v[206:207], v[214:215]
	v_div_fixup_f64 v[206:207], v[204:205], v[208:209], v[210:211]
	v_fmac_f64_e32 v[208:209], v[210:211], v[206:207]
	v_div_scale_f64 v[204:205], s[10:11], v[208:209], v[208:209], 1.0
	v_rcp_f64_e32 v[210:211], v[204:205]
	s_nop 0
	v_fma_f64 v[212:213], -v[204:205], v[210:211], 1.0
	v_fmac_f64_e32 v[210:211], v[210:211], v[212:213]
	v_fma_f64 v[212:213], -v[204:205], v[210:211], 1.0
	v_fmac_f64_e32 v[210:211], v[210:211], v[212:213]
	v_div_scale_f64 v[212:213], vcc, 1.0, v[208:209], 1.0
	v_mul_f64 v[214:215], v[212:213], v[210:211]
	v_fma_f64 v[204:205], -v[204:205], v[214:215], v[212:213]
	s_nop 1
	v_div_fmas_f64 v[204:205], v[204:205], v[210:211], v[214:215]
	v_div_fixup_f64 v[204:205], v[204:205], v[208:209], 1.0
	v_mul_f64 v[206:207], v[206:207], -v[204:205]
.LBB113_358:
	s_or_b64 exec, exec, s[2:3]
	ds_write2_b64 v201, v[204:205], v[206:207] offset1:1
.LBB113_359:
	s_or_b64 exec, exec, s[4:5]
	s_waitcnt lgkmcnt(0)
	s_barrier
	ds_read2_b64 v[192:195], v201 offset1:1
	v_cmp_lt_u32_e32 vcc, 39, v200
	s_waitcnt lgkmcnt(0)
	scratch_store_dwordx4 off, v[192:195], off offset:1192 ; 16-byte Folded Spill
	s_and_saveexec_b64 s[2:3], vcc
	s_cbranch_execz .LBB113_361
; %bb.360:
	scratch_load_dwordx4 v[192:195], off, off offset:1192 ; 16-byte Folded Reload
	s_waitcnt vmcnt(0)
	v_mul_f64 v[204:205], v[194:195], v[66:67]
	v_fma_f64 v[208:209], v[192:193], v[64:65], -v[204:205]
	ds_read2_b64 v[204:207], v202 offset0:80 offset1:81
	v_mul_f64 v[66:67], v[192:193], v[66:67]
	v_fmac_f64_e32 v[66:67], v[194:195], v[64:65]
	s_waitcnt lgkmcnt(0)
	v_mul_f64 v[64:65], v[206:207], v[66:67]
	v_fma_f64 v[64:65], v[204:205], v[208:209], -v[64:65]
	v_mul_f64 v[204:205], v[204:205], v[66:67]
	v_fmac_f64_e32 v[204:205], v[206:207], v[208:209]
	v_add_f64 v[62:63], v[62:63], -v[204:205]
	ds_read2_b64 v[204:207], v202 offset0:82 offset1:83
	v_add_f64 v[60:61], v[60:61], -v[64:65]
	s_waitcnt lgkmcnt(0)
	v_mul_f64 v[64:65], v[206:207], v[66:67]
	v_fma_f64 v[64:65], v[204:205], v[208:209], -v[64:65]
	v_mul_f64 v[204:205], v[204:205], v[66:67]
	v_fmac_f64_e32 v[204:205], v[206:207], v[208:209]
	v_add_f64 v[58:59], v[58:59], -v[204:205]
	ds_read2_b64 v[204:207], v202 offset0:84 offset1:85
	v_add_f64 v[56:57], v[56:57], -v[64:65]
	;; [unrolled: 8-line block ×16, first 2 shown]
	s_waitcnt lgkmcnt(0)
	v_mul_f64 v[64:65], v[206:207], v[66:67]
	v_fma_f64 v[64:65], v[204:205], v[208:209], -v[64:65]
	v_mul_f64 v[204:205], v[204:205], v[66:67]
	v_fmac_f64_e32 v[204:205], v[206:207], v[208:209]
	v_add_f64 v[224:225], v[224:225], -v[64:65]
	v_add_f64 v[226:227], v[226:227], -v[204:205]
	v_mov_b64_e32 v[64:65], v[208:209]
.LBB113_361:
	s_or_b64 exec, exec, s[2:3]
	v_cmp_eq_u32_e32 vcc, 40, v200
	s_waitcnt vmcnt(63) expcnt(7) lgkmcnt(15)
	s_barrier
	s_and_saveexec_b64 s[4:5], vcc
	s_cbranch_execz .LBB113_368
; %bb.362:
	ds_write2_b64 v201, v[60:61], v[62:63] offset1:1
	ds_write2_b64 v202, v[56:57], v[58:59] offset0:82 offset1:83
	ds_write2_b64 v202, v[52:53], v[54:55] offset0:84 offset1:85
	;; [unrolled: 1-line block ×7, first 2 shown]
	s_waitcnt vmcnt(62)
	ds_write2_b64 v202, v[28:29], v[30:31] offset0:96 offset1:97
	s_waitcnt vmcnt(61)
	ds_write2_b64 v202, v[24:25], v[26:27] offset0:98 offset1:99
	;; [unrolled: 2-line block ×3, first 2 shown]
	ds_write2_b64 v202, v[16:17], v[18:19] offset0:102 offset1:103
	ds_write2_b64 v202, v[12:13], v[14:15] offset0:104 offset1:105
	;; [unrolled: 1-line block ×4, first 2 shown]
	s_waitcnt vmcnt(59)
	ds_write2_b64 v202, v[0:1], v[2:3] offset0:110 offset1:111
	s_waitcnt vmcnt(56)
	ds_write2_b64 v202, v[224:225], v[226:227] offset0:112 offset1:113
	ds_read2_b64 v[208:211], v201 offset1:1
	s_waitcnt lgkmcnt(0)
	v_cmp_neq_f64_e32 vcc, 0, v[208:209]
	v_cmp_neq_f64_e64 s[2:3], 0, v[210:211]
	s_or_b64 s[2:3], vcc, s[2:3]
	s_and_b64 exec, exec, s[2:3]
	s_cbranch_execz .LBB113_368
; %bb.363:
	v_cmp_ngt_f64_e64 s[2:3], |v[208:209]|, |v[210:211]|
                                        ; implicit-def: $vgpr204_vgpr205
	s_and_saveexec_b64 s[10:11], s[2:3]
	s_xor_b64 s[2:3], exec, s[10:11]
                                        ; implicit-def: $vgpr206_vgpr207
	s_cbranch_execz .LBB113_365
; %bb.364:
	v_div_scale_f64 v[204:205], s[10:11], v[210:211], v[210:211], v[208:209]
	v_rcp_f64_e32 v[206:207], v[204:205]
	v_div_scale_f64 v[212:213], vcc, v[208:209], v[210:211], v[208:209]
	v_fma_f64 v[214:215], -v[204:205], v[206:207], 1.0
	v_fmac_f64_e32 v[206:207], v[206:207], v[214:215]
	v_fma_f64 v[214:215], -v[204:205], v[206:207], 1.0
	v_fmac_f64_e32 v[206:207], v[206:207], v[214:215]
	v_mul_f64 v[214:215], v[212:213], v[206:207]
	v_fma_f64 v[204:205], -v[204:205], v[214:215], v[212:213]
	v_div_fmas_f64 v[204:205], v[204:205], v[206:207], v[214:215]
	v_div_fixup_f64 v[204:205], v[204:205], v[210:211], v[208:209]
	v_fmac_f64_e32 v[210:211], v[208:209], v[204:205]
	v_div_scale_f64 v[206:207], s[10:11], v[210:211], v[210:211], 1.0
	v_rcp_f64_e32 v[208:209], v[206:207]
	s_nop 0
	v_fma_f64 v[212:213], -v[206:207], v[208:209], 1.0
	v_fmac_f64_e32 v[208:209], v[208:209], v[212:213]
	v_fma_f64 v[212:213], -v[206:207], v[208:209], 1.0
	v_fmac_f64_e32 v[208:209], v[208:209], v[212:213]
	v_div_scale_f64 v[212:213], vcc, 1.0, v[210:211], 1.0
	v_mul_f64 v[214:215], v[212:213], v[208:209]
	v_fma_f64 v[206:207], -v[206:207], v[214:215], v[212:213]
	s_nop 1
	v_div_fmas_f64 v[206:207], v[206:207], v[208:209], v[214:215]
	v_div_fixup_f64 v[206:207], v[206:207], v[210:211], 1.0
	v_mul_f64 v[204:205], v[204:205], v[206:207]
	v_xor_b32_e32 v207, 0x80000000, v207
                                        ; implicit-def: $vgpr208_vgpr209
.LBB113_365:
	s_andn2_saveexec_b64 s[2:3], s[2:3]
	s_cbranch_execz .LBB113_367
; %bb.366:
	v_div_scale_f64 v[204:205], s[10:11], v[208:209], v[208:209], v[210:211]
	v_rcp_f64_e32 v[206:207], v[204:205]
	v_div_scale_f64 v[212:213], vcc, v[210:211], v[208:209], v[210:211]
	v_fma_f64 v[214:215], -v[204:205], v[206:207], 1.0
	v_fmac_f64_e32 v[206:207], v[206:207], v[214:215]
	v_fma_f64 v[214:215], -v[204:205], v[206:207], 1.0
	v_fmac_f64_e32 v[206:207], v[206:207], v[214:215]
	v_mul_f64 v[214:215], v[212:213], v[206:207]
	v_fma_f64 v[204:205], -v[204:205], v[214:215], v[212:213]
	v_div_fmas_f64 v[204:205], v[204:205], v[206:207], v[214:215]
	v_div_fixup_f64 v[206:207], v[204:205], v[208:209], v[210:211]
	v_fmac_f64_e32 v[208:209], v[210:211], v[206:207]
	v_div_scale_f64 v[204:205], s[10:11], v[208:209], v[208:209], 1.0
	v_rcp_f64_e32 v[210:211], v[204:205]
	s_nop 0
	v_fma_f64 v[212:213], -v[204:205], v[210:211], 1.0
	v_fmac_f64_e32 v[210:211], v[210:211], v[212:213]
	v_fma_f64 v[212:213], -v[204:205], v[210:211], 1.0
	v_fmac_f64_e32 v[210:211], v[210:211], v[212:213]
	v_div_scale_f64 v[212:213], vcc, 1.0, v[208:209], 1.0
	v_mul_f64 v[214:215], v[212:213], v[210:211]
	v_fma_f64 v[204:205], -v[204:205], v[214:215], v[212:213]
	s_nop 1
	v_div_fmas_f64 v[204:205], v[204:205], v[210:211], v[214:215]
	v_div_fixup_f64 v[204:205], v[204:205], v[208:209], 1.0
	v_mul_f64 v[206:207], v[206:207], -v[204:205]
.LBB113_367:
	s_or_b64 exec, exec, s[2:3]
	ds_write2_b64 v201, v[204:205], v[206:207] offset1:1
.LBB113_368:
	s_or_b64 exec, exec, s[4:5]
	s_waitcnt lgkmcnt(0)
	s_barrier
	ds_read2_b64 v[192:195], v201 offset1:1
	v_cmp_lt_u32_e32 vcc, 40, v200
	s_waitcnt lgkmcnt(0)
	scratch_store_dwordx4 off, v[192:195], off offset:1208 ; 16-byte Folded Spill
	s_and_saveexec_b64 s[2:3], vcc
	s_cbranch_execz .LBB113_370
; %bb.369:
	scratch_load_dwordx4 v[192:195], off, off offset:1208 ; 16-byte Folded Reload
	ds_read2_b64 v[204:207], v202 offset0:82 offset1:83
	s_waitcnt vmcnt(0)
	v_mul_f64 v[208:209], v[192:193], v[62:63]
	v_fmac_f64_e32 v[208:209], v[194:195], v[60:61]
	v_mul_f64 v[62:63], v[194:195], v[62:63]
	v_fma_f64 v[60:61], v[192:193], v[60:61], -v[62:63]
	s_waitcnt lgkmcnt(0)
	v_mul_f64 v[62:63], v[206:207], v[208:209]
	v_fma_f64 v[62:63], v[204:205], v[60:61], -v[62:63]
	v_mul_f64 v[204:205], v[204:205], v[208:209]
	v_fmac_f64_e32 v[204:205], v[206:207], v[60:61]
	v_add_f64 v[58:59], v[58:59], -v[204:205]
	ds_read2_b64 v[204:207], v202 offset0:84 offset1:85
	v_add_f64 v[56:57], v[56:57], -v[62:63]
	s_waitcnt lgkmcnt(0)
	v_mul_f64 v[62:63], v[206:207], v[208:209]
	v_fma_f64 v[62:63], v[204:205], v[60:61], -v[62:63]
	v_mul_f64 v[204:205], v[204:205], v[208:209]
	v_fmac_f64_e32 v[204:205], v[206:207], v[60:61]
	v_add_f64 v[54:55], v[54:55], -v[204:205]
	ds_read2_b64 v[204:207], v202 offset0:86 offset1:87
	v_add_f64 v[52:53], v[52:53], -v[62:63]
	;; [unrolled: 8-line block ×15, first 2 shown]
	s_waitcnt lgkmcnt(0)
	v_mul_f64 v[62:63], v[206:207], v[208:209]
	v_fma_f64 v[62:63], v[204:205], v[60:61], -v[62:63]
	v_mul_f64 v[204:205], v[204:205], v[208:209]
	v_fmac_f64_e32 v[204:205], v[206:207], v[60:61]
	v_add_f64 v[224:225], v[224:225], -v[62:63]
	v_add_f64 v[226:227], v[226:227], -v[204:205]
	v_mov_b64_e32 v[62:63], v[208:209]
.LBB113_370:
	s_or_b64 exec, exec, s[2:3]
	v_cmp_eq_u32_e32 vcc, 41, v200
	s_waitcnt vmcnt(63) expcnt(7) lgkmcnt(15)
	s_barrier
	s_and_saveexec_b64 s[4:5], vcc
	s_cbranch_execz .LBB113_377
; %bb.371:
	ds_write2_b64 v201, v[56:57], v[58:59] offset1:1
	ds_write2_b64 v202, v[52:53], v[54:55] offset0:84 offset1:85
	ds_write2_b64 v202, v[48:49], v[50:51] offset0:86 offset1:87
	;; [unrolled: 1-line block ×7, first 2 shown]
	s_waitcnt vmcnt(62)
	ds_write2_b64 v202, v[24:25], v[26:27] offset0:98 offset1:99
	s_waitcnt vmcnt(61)
	ds_write2_b64 v202, v[20:21], v[22:23] offset0:100 offset1:101
	ds_write2_b64 v202, v[16:17], v[18:19] offset0:102 offset1:103
	;; [unrolled: 1-line block ×5, first 2 shown]
	s_waitcnt vmcnt(60)
	ds_write2_b64 v202, v[0:1], v[2:3] offset0:110 offset1:111
	s_waitcnt vmcnt(57)
	ds_write2_b64 v202, v[224:225], v[226:227] offset0:112 offset1:113
	ds_read2_b64 v[208:211], v201 offset1:1
	s_waitcnt lgkmcnt(0)
	v_cmp_neq_f64_e32 vcc, 0, v[208:209]
	v_cmp_neq_f64_e64 s[2:3], 0, v[210:211]
	s_or_b64 s[2:3], vcc, s[2:3]
	s_and_b64 exec, exec, s[2:3]
	s_cbranch_execz .LBB113_377
; %bb.372:
	v_cmp_ngt_f64_e64 s[2:3], |v[208:209]|, |v[210:211]|
                                        ; implicit-def: $vgpr204_vgpr205
	s_and_saveexec_b64 s[10:11], s[2:3]
	s_xor_b64 s[2:3], exec, s[10:11]
                                        ; implicit-def: $vgpr206_vgpr207
	s_cbranch_execz .LBB113_374
; %bb.373:
	v_div_scale_f64 v[204:205], s[10:11], v[210:211], v[210:211], v[208:209]
	v_rcp_f64_e32 v[206:207], v[204:205]
	v_div_scale_f64 v[212:213], vcc, v[208:209], v[210:211], v[208:209]
	v_fma_f64 v[214:215], -v[204:205], v[206:207], 1.0
	v_fmac_f64_e32 v[206:207], v[206:207], v[214:215]
	v_fma_f64 v[214:215], -v[204:205], v[206:207], 1.0
	v_fmac_f64_e32 v[206:207], v[206:207], v[214:215]
	v_mul_f64 v[214:215], v[212:213], v[206:207]
	v_fma_f64 v[204:205], -v[204:205], v[214:215], v[212:213]
	v_div_fmas_f64 v[204:205], v[204:205], v[206:207], v[214:215]
	v_div_fixup_f64 v[204:205], v[204:205], v[210:211], v[208:209]
	v_fmac_f64_e32 v[210:211], v[208:209], v[204:205]
	v_div_scale_f64 v[206:207], s[10:11], v[210:211], v[210:211], 1.0
	v_rcp_f64_e32 v[208:209], v[206:207]
	s_nop 0
	v_fma_f64 v[212:213], -v[206:207], v[208:209], 1.0
	v_fmac_f64_e32 v[208:209], v[208:209], v[212:213]
	v_fma_f64 v[212:213], -v[206:207], v[208:209], 1.0
	v_fmac_f64_e32 v[208:209], v[208:209], v[212:213]
	v_div_scale_f64 v[212:213], vcc, 1.0, v[210:211], 1.0
	v_mul_f64 v[214:215], v[212:213], v[208:209]
	v_fma_f64 v[206:207], -v[206:207], v[214:215], v[212:213]
	s_nop 1
	v_div_fmas_f64 v[206:207], v[206:207], v[208:209], v[214:215]
	v_div_fixup_f64 v[206:207], v[206:207], v[210:211], 1.0
	v_mul_f64 v[204:205], v[204:205], v[206:207]
	v_xor_b32_e32 v207, 0x80000000, v207
                                        ; implicit-def: $vgpr208_vgpr209
.LBB113_374:
	s_andn2_saveexec_b64 s[2:3], s[2:3]
	s_cbranch_execz .LBB113_376
; %bb.375:
	v_div_scale_f64 v[204:205], s[10:11], v[208:209], v[208:209], v[210:211]
	v_rcp_f64_e32 v[206:207], v[204:205]
	v_div_scale_f64 v[212:213], vcc, v[210:211], v[208:209], v[210:211]
	v_fma_f64 v[214:215], -v[204:205], v[206:207], 1.0
	v_fmac_f64_e32 v[206:207], v[206:207], v[214:215]
	v_fma_f64 v[214:215], -v[204:205], v[206:207], 1.0
	v_fmac_f64_e32 v[206:207], v[206:207], v[214:215]
	v_mul_f64 v[214:215], v[212:213], v[206:207]
	v_fma_f64 v[204:205], -v[204:205], v[214:215], v[212:213]
	v_div_fmas_f64 v[204:205], v[204:205], v[206:207], v[214:215]
	v_div_fixup_f64 v[206:207], v[204:205], v[208:209], v[210:211]
	v_fmac_f64_e32 v[208:209], v[210:211], v[206:207]
	v_div_scale_f64 v[204:205], s[10:11], v[208:209], v[208:209], 1.0
	v_rcp_f64_e32 v[210:211], v[204:205]
	s_nop 0
	v_fma_f64 v[212:213], -v[204:205], v[210:211], 1.0
	v_fmac_f64_e32 v[210:211], v[210:211], v[212:213]
	v_fma_f64 v[212:213], -v[204:205], v[210:211], 1.0
	v_fmac_f64_e32 v[210:211], v[210:211], v[212:213]
	v_div_scale_f64 v[212:213], vcc, 1.0, v[208:209], 1.0
	v_mul_f64 v[214:215], v[212:213], v[210:211]
	v_fma_f64 v[204:205], -v[204:205], v[214:215], v[212:213]
	s_nop 1
	v_div_fmas_f64 v[204:205], v[204:205], v[210:211], v[214:215]
	v_div_fixup_f64 v[204:205], v[204:205], v[208:209], 1.0
	v_mul_f64 v[206:207], v[206:207], -v[204:205]
.LBB113_376:
	s_or_b64 exec, exec, s[2:3]
	ds_write2_b64 v201, v[204:205], v[206:207] offset1:1
.LBB113_377:
	s_or_b64 exec, exec, s[4:5]
	s_waitcnt lgkmcnt(0)
	s_barrier
	ds_read2_b64 v[192:195], v201 offset1:1
	v_cmp_lt_u32_e32 vcc, 41, v200
	s_waitcnt lgkmcnt(0)
	scratch_store_dwordx4 off, v[192:195], off offset:1224 ; 16-byte Folded Spill
	s_and_saveexec_b64 s[2:3], vcc
	s_cbranch_execz .LBB113_379
; %bb.378:
	scratch_load_dwordx4 v[192:195], off, off offset:1224 ; 16-byte Folded Reload
	ds_read2_b64 v[204:207], v202 offset0:84 offset1:85
	s_waitcnt vmcnt(0)
	v_mul_f64 v[208:209], v[192:193], v[58:59]
	v_fmac_f64_e32 v[208:209], v[194:195], v[56:57]
	v_mul_f64 v[58:59], v[194:195], v[58:59]
	v_fma_f64 v[56:57], v[192:193], v[56:57], -v[58:59]
	s_waitcnt lgkmcnt(0)
	v_mul_f64 v[58:59], v[206:207], v[208:209]
	v_fma_f64 v[58:59], v[204:205], v[56:57], -v[58:59]
	v_mul_f64 v[204:205], v[204:205], v[208:209]
	v_fmac_f64_e32 v[204:205], v[206:207], v[56:57]
	v_add_f64 v[54:55], v[54:55], -v[204:205]
	ds_read2_b64 v[204:207], v202 offset0:86 offset1:87
	v_add_f64 v[52:53], v[52:53], -v[58:59]
	s_waitcnt lgkmcnt(0)
	v_mul_f64 v[58:59], v[206:207], v[208:209]
	v_fma_f64 v[58:59], v[204:205], v[56:57], -v[58:59]
	v_mul_f64 v[204:205], v[204:205], v[208:209]
	v_fmac_f64_e32 v[204:205], v[206:207], v[56:57]
	v_add_f64 v[50:51], v[50:51], -v[204:205]
	ds_read2_b64 v[204:207], v202 offset0:88 offset1:89
	v_add_f64 v[48:49], v[48:49], -v[58:59]
	;; [unrolled: 8-line block ×14, first 2 shown]
	s_waitcnt lgkmcnt(0)
	v_mul_f64 v[58:59], v[206:207], v[208:209]
	v_fma_f64 v[58:59], v[204:205], v[56:57], -v[58:59]
	v_mul_f64 v[204:205], v[204:205], v[208:209]
	v_fmac_f64_e32 v[204:205], v[206:207], v[56:57]
	v_add_f64 v[224:225], v[224:225], -v[58:59]
	v_add_f64 v[226:227], v[226:227], -v[204:205]
	v_mov_b64_e32 v[58:59], v[208:209]
.LBB113_379:
	s_or_b64 exec, exec, s[2:3]
	v_cmp_eq_u32_e32 vcc, 42, v200
	s_waitcnt vmcnt(63) expcnt(7) lgkmcnt(15)
	s_barrier
	s_and_saveexec_b64 s[4:5], vcc
	s_cbranch_execz .LBB113_386
; %bb.380:
	ds_write2_b64 v201, v[52:53], v[54:55] offset1:1
	ds_write2_b64 v202, v[48:49], v[50:51] offset0:86 offset1:87
	ds_write2_b64 v202, v[44:45], v[46:47] offset0:88 offset1:89
	;; [unrolled: 1-line block ×7, first 2 shown]
	s_waitcnt vmcnt(62)
	ds_write2_b64 v202, v[20:21], v[22:23] offset0:100 offset1:101
	ds_write2_b64 v202, v[16:17], v[18:19] offset0:102 offset1:103
	;; [unrolled: 1-line block ×5, first 2 shown]
	s_waitcnt vmcnt(61)
	ds_write2_b64 v202, v[0:1], v[2:3] offset0:110 offset1:111
	s_waitcnt vmcnt(58)
	ds_write2_b64 v202, v[224:225], v[226:227] offset0:112 offset1:113
	ds_read2_b64 v[208:211], v201 offset1:1
	s_waitcnt lgkmcnt(0)
	v_cmp_neq_f64_e32 vcc, 0, v[208:209]
	v_cmp_neq_f64_e64 s[2:3], 0, v[210:211]
	s_or_b64 s[2:3], vcc, s[2:3]
	s_and_b64 exec, exec, s[2:3]
	s_cbranch_execz .LBB113_386
; %bb.381:
	v_cmp_ngt_f64_e64 s[2:3], |v[208:209]|, |v[210:211]|
                                        ; implicit-def: $vgpr204_vgpr205
	s_and_saveexec_b64 s[10:11], s[2:3]
	s_xor_b64 s[2:3], exec, s[10:11]
                                        ; implicit-def: $vgpr206_vgpr207
	s_cbranch_execz .LBB113_383
; %bb.382:
	v_div_scale_f64 v[204:205], s[10:11], v[210:211], v[210:211], v[208:209]
	v_rcp_f64_e32 v[206:207], v[204:205]
	v_div_scale_f64 v[212:213], vcc, v[208:209], v[210:211], v[208:209]
	v_fma_f64 v[214:215], -v[204:205], v[206:207], 1.0
	v_fmac_f64_e32 v[206:207], v[206:207], v[214:215]
	v_fma_f64 v[214:215], -v[204:205], v[206:207], 1.0
	v_fmac_f64_e32 v[206:207], v[206:207], v[214:215]
	v_mul_f64 v[214:215], v[212:213], v[206:207]
	v_fma_f64 v[204:205], -v[204:205], v[214:215], v[212:213]
	v_div_fmas_f64 v[204:205], v[204:205], v[206:207], v[214:215]
	v_div_fixup_f64 v[204:205], v[204:205], v[210:211], v[208:209]
	v_fmac_f64_e32 v[210:211], v[208:209], v[204:205]
	v_div_scale_f64 v[206:207], s[10:11], v[210:211], v[210:211], 1.0
	v_rcp_f64_e32 v[208:209], v[206:207]
	s_nop 0
	v_fma_f64 v[212:213], -v[206:207], v[208:209], 1.0
	v_fmac_f64_e32 v[208:209], v[208:209], v[212:213]
	v_fma_f64 v[212:213], -v[206:207], v[208:209], 1.0
	v_fmac_f64_e32 v[208:209], v[208:209], v[212:213]
	v_div_scale_f64 v[212:213], vcc, 1.0, v[210:211], 1.0
	v_mul_f64 v[214:215], v[212:213], v[208:209]
	v_fma_f64 v[206:207], -v[206:207], v[214:215], v[212:213]
	s_nop 1
	v_div_fmas_f64 v[206:207], v[206:207], v[208:209], v[214:215]
	v_div_fixup_f64 v[206:207], v[206:207], v[210:211], 1.0
	v_mul_f64 v[204:205], v[204:205], v[206:207]
	v_xor_b32_e32 v207, 0x80000000, v207
                                        ; implicit-def: $vgpr208_vgpr209
.LBB113_383:
	s_andn2_saveexec_b64 s[2:3], s[2:3]
	s_cbranch_execz .LBB113_385
; %bb.384:
	v_div_scale_f64 v[204:205], s[10:11], v[208:209], v[208:209], v[210:211]
	v_rcp_f64_e32 v[206:207], v[204:205]
	v_div_scale_f64 v[212:213], vcc, v[210:211], v[208:209], v[210:211]
	v_fma_f64 v[214:215], -v[204:205], v[206:207], 1.0
	v_fmac_f64_e32 v[206:207], v[206:207], v[214:215]
	v_fma_f64 v[214:215], -v[204:205], v[206:207], 1.0
	v_fmac_f64_e32 v[206:207], v[206:207], v[214:215]
	v_mul_f64 v[214:215], v[212:213], v[206:207]
	v_fma_f64 v[204:205], -v[204:205], v[214:215], v[212:213]
	v_div_fmas_f64 v[204:205], v[204:205], v[206:207], v[214:215]
	v_div_fixup_f64 v[206:207], v[204:205], v[208:209], v[210:211]
	v_fmac_f64_e32 v[208:209], v[210:211], v[206:207]
	v_div_scale_f64 v[204:205], s[10:11], v[208:209], v[208:209], 1.0
	v_rcp_f64_e32 v[210:211], v[204:205]
	s_nop 0
	v_fma_f64 v[212:213], -v[204:205], v[210:211], 1.0
	v_fmac_f64_e32 v[210:211], v[210:211], v[212:213]
	v_fma_f64 v[212:213], -v[204:205], v[210:211], 1.0
	v_fmac_f64_e32 v[210:211], v[210:211], v[212:213]
	v_div_scale_f64 v[212:213], vcc, 1.0, v[208:209], 1.0
	v_mul_f64 v[214:215], v[212:213], v[210:211]
	v_fma_f64 v[204:205], -v[204:205], v[214:215], v[212:213]
	s_nop 1
	v_div_fmas_f64 v[204:205], v[204:205], v[210:211], v[214:215]
	v_div_fixup_f64 v[204:205], v[204:205], v[208:209], 1.0
	v_mul_f64 v[206:207], v[206:207], -v[204:205]
.LBB113_385:
	s_or_b64 exec, exec, s[2:3]
	ds_write2_b64 v201, v[204:205], v[206:207] offset1:1
.LBB113_386:
	s_or_b64 exec, exec, s[4:5]
	s_waitcnt lgkmcnt(0)
	s_barrier
	ds_read2_b64 v[192:195], v201 offset1:1
	v_cmp_lt_u32_e32 vcc, 42, v200
	s_waitcnt lgkmcnt(0)
	scratch_store_dwordx4 off, v[192:195], off offset:1240 ; 16-byte Folded Spill
	s_and_saveexec_b64 s[2:3], vcc
	s_cbranch_execz .LBB113_388
; %bb.387:
	scratch_load_dwordx4 v[192:195], off, off offset:1240 ; 16-byte Folded Reload
	ds_read2_b64 v[204:207], v202 offset0:86 offset1:87
	s_waitcnt vmcnt(0)
	v_mul_f64 v[208:209], v[192:193], v[54:55]
	v_fmac_f64_e32 v[208:209], v[194:195], v[52:53]
	v_mul_f64 v[54:55], v[194:195], v[54:55]
	v_fma_f64 v[52:53], v[192:193], v[52:53], -v[54:55]
	s_waitcnt lgkmcnt(0)
	v_mul_f64 v[54:55], v[206:207], v[208:209]
	v_fma_f64 v[54:55], v[204:205], v[52:53], -v[54:55]
	v_mul_f64 v[204:205], v[204:205], v[208:209]
	v_fmac_f64_e32 v[204:205], v[206:207], v[52:53]
	v_add_f64 v[50:51], v[50:51], -v[204:205]
	ds_read2_b64 v[204:207], v202 offset0:88 offset1:89
	v_add_f64 v[48:49], v[48:49], -v[54:55]
	s_waitcnt lgkmcnt(0)
	v_mul_f64 v[54:55], v[206:207], v[208:209]
	v_fma_f64 v[54:55], v[204:205], v[52:53], -v[54:55]
	v_mul_f64 v[204:205], v[204:205], v[208:209]
	v_fmac_f64_e32 v[204:205], v[206:207], v[52:53]
	v_add_f64 v[46:47], v[46:47], -v[204:205]
	ds_read2_b64 v[204:207], v202 offset0:90 offset1:91
	v_add_f64 v[44:45], v[44:45], -v[54:55]
	;; [unrolled: 8-line block ×13, first 2 shown]
	s_waitcnt lgkmcnt(0)
	v_mul_f64 v[54:55], v[206:207], v[208:209]
	v_fma_f64 v[54:55], v[204:205], v[52:53], -v[54:55]
	v_mul_f64 v[204:205], v[204:205], v[208:209]
	v_fmac_f64_e32 v[204:205], v[206:207], v[52:53]
	v_add_f64 v[224:225], v[224:225], -v[54:55]
	v_add_f64 v[226:227], v[226:227], -v[204:205]
	v_mov_b64_e32 v[54:55], v[208:209]
.LBB113_388:
	s_or_b64 exec, exec, s[2:3]
	v_cmp_eq_u32_e32 vcc, 43, v200
	s_waitcnt vmcnt(63) expcnt(7) lgkmcnt(15)
	s_barrier
	s_and_saveexec_b64 s[4:5], vcc
	s_cbranch_execz .LBB113_395
; %bb.389:
	ds_write2_b64 v201, v[48:49], v[50:51] offset1:1
	ds_write2_b64 v202, v[44:45], v[46:47] offset0:88 offset1:89
	ds_write2_b64 v202, v[40:41], v[42:43] offset0:90 offset1:91
	;; [unrolled: 1-line block ×11, first 2 shown]
	s_waitcnt vmcnt(62)
	ds_write2_b64 v202, v[0:1], v[2:3] offset0:110 offset1:111
	s_waitcnt vmcnt(59)
	ds_write2_b64 v202, v[224:225], v[226:227] offset0:112 offset1:113
	ds_read2_b64 v[208:211], v201 offset1:1
	s_waitcnt lgkmcnt(0)
	v_cmp_neq_f64_e32 vcc, 0, v[208:209]
	v_cmp_neq_f64_e64 s[2:3], 0, v[210:211]
	s_or_b64 s[2:3], vcc, s[2:3]
	s_and_b64 exec, exec, s[2:3]
	s_cbranch_execz .LBB113_395
; %bb.390:
	v_cmp_ngt_f64_e64 s[2:3], |v[208:209]|, |v[210:211]|
                                        ; implicit-def: $vgpr204_vgpr205
	s_and_saveexec_b64 s[10:11], s[2:3]
	s_xor_b64 s[2:3], exec, s[10:11]
                                        ; implicit-def: $vgpr206_vgpr207
	s_cbranch_execz .LBB113_392
; %bb.391:
	v_div_scale_f64 v[204:205], s[10:11], v[210:211], v[210:211], v[208:209]
	v_rcp_f64_e32 v[206:207], v[204:205]
	v_div_scale_f64 v[212:213], vcc, v[208:209], v[210:211], v[208:209]
	v_fma_f64 v[214:215], -v[204:205], v[206:207], 1.0
	v_fmac_f64_e32 v[206:207], v[206:207], v[214:215]
	v_fma_f64 v[214:215], -v[204:205], v[206:207], 1.0
	v_fmac_f64_e32 v[206:207], v[206:207], v[214:215]
	v_mul_f64 v[214:215], v[212:213], v[206:207]
	v_fma_f64 v[204:205], -v[204:205], v[214:215], v[212:213]
	v_div_fmas_f64 v[204:205], v[204:205], v[206:207], v[214:215]
	v_div_fixup_f64 v[204:205], v[204:205], v[210:211], v[208:209]
	v_fmac_f64_e32 v[210:211], v[208:209], v[204:205]
	v_div_scale_f64 v[206:207], s[10:11], v[210:211], v[210:211], 1.0
	v_rcp_f64_e32 v[208:209], v[206:207]
	s_nop 0
	v_fma_f64 v[212:213], -v[206:207], v[208:209], 1.0
	v_fmac_f64_e32 v[208:209], v[208:209], v[212:213]
	v_fma_f64 v[212:213], -v[206:207], v[208:209], 1.0
	v_fmac_f64_e32 v[208:209], v[208:209], v[212:213]
	v_div_scale_f64 v[212:213], vcc, 1.0, v[210:211], 1.0
	v_mul_f64 v[214:215], v[212:213], v[208:209]
	v_fma_f64 v[206:207], -v[206:207], v[214:215], v[212:213]
	s_nop 1
	v_div_fmas_f64 v[206:207], v[206:207], v[208:209], v[214:215]
	v_div_fixup_f64 v[206:207], v[206:207], v[210:211], 1.0
	v_mul_f64 v[204:205], v[204:205], v[206:207]
	v_xor_b32_e32 v207, 0x80000000, v207
                                        ; implicit-def: $vgpr208_vgpr209
.LBB113_392:
	s_andn2_saveexec_b64 s[2:3], s[2:3]
	s_cbranch_execz .LBB113_394
; %bb.393:
	v_div_scale_f64 v[204:205], s[10:11], v[208:209], v[208:209], v[210:211]
	v_rcp_f64_e32 v[206:207], v[204:205]
	v_div_scale_f64 v[212:213], vcc, v[210:211], v[208:209], v[210:211]
	v_fma_f64 v[214:215], -v[204:205], v[206:207], 1.0
	v_fmac_f64_e32 v[206:207], v[206:207], v[214:215]
	v_fma_f64 v[214:215], -v[204:205], v[206:207], 1.0
	v_fmac_f64_e32 v[206:207], v[206:207], v[214:215]
	v_mul_f64 v[214:215], v[212:213], v[206:207]
	v_fma_f64 v[204:205], -v[204:205], v[214:215], v[212:213]
	v_div_fmas_f64 v[204:205], v[204:205], v[206:207], v[214:215]
	v_div_fixup_f64 v[206:207], v[204:205], v[208:209], v[210:211]
	v_fmac_f64_e32 v[208:209], v[210:211], v[206:207]
	v_div_scale_f64 v[204:205], s[10:11], v[208:209], v[208:209], 1.0
	v_rcp_f64_e32 v[210:211], v[204:205]
	s_nop 0
	v_fma_f64 v[212:213], -v[204:205], v[210:211], 1.0
	v_fmac_f64_e32 v[210:211], v[210:211], v[212:213]
	v_fma_f64 v[212:213], -v[204:205], v[210:211], 1.0
	v_fmac_f64_e32 v[210:211], v[210:211], v[212:213]
	v_div_scale_f64 v[212:213], vcc, 1.0, v[208:209], 1.0
	v_mul_f64 v[214:215], v[212:213], v[210:211]
	v_fma_f64 v[204:205], -v[204:205], v[214:215], v[212:213]
	s_nop 1
	v_div_fmas_f64 v[204:205], v[204:205], v[210:211], v[214:215]
	v_div_fixup_f64 v[204:205], v[204:205], v[208:209], 1.0
	v_mul_f64 v[206:207], v[206:207], -v[204:205]
.LBB113_394:
	s_or_b64 exec, exec, s[2:3]
	ds_write2_b64 v201, v[204:205], v[206:207] offset1:1
.LBB113_395:
	s_or_b64 exec, exec, s[4:5]
	s_waitcnt lgkmcnt(0)
	s_barrier
	ds_read2_b64 v[192:195], v201 offset1:1
	v_cmp_lt_u32_e32 vcc, 43, v200
	s_waitcnt lgkmcnt(0)
	scratch_store_dwordx4 off, v[192:195], off offset:1256 ; 16-byte Folded Spill
	s_and_saveexec_b64 s[2:3], vcc
	s_cbranch_execz .LBB113_397
; %bb.396:
	scratch_load_dwordx4 v[192:195], off, off offset:1256 ; 16-byte Folded Reload
	ds_read2_b64 v[204:207], v202 offset0:88 offset1:89
	s_waitcnt vmcnt(0)
	v_mul_f64 v[208:209], v[192:193], v[50:51]
	v_fmac_f64_e32 v[208:209], v[194:195], v[48:49]
	v_mul_f64 v[50:51], v[194:195], v[50:51]
	v_fma_f64 v[48:49], v[192:193], v[48:49], -v[50:51]
	s_waitcnt lgkmcnt(0)
	v_mul_f64 v[50:51], v[206:207], v[208:209]
	v_fma_f64 v[50:51], v[204:205], v[48:49], -v[50:51]
	v_mul_f64 v[204:205], v[204:205], v[208:209]
	v_fmac_f64_e32 v[204:205], v[206:207], v[48:49]
	v_add_f64 v[46:47], v[46:47], -v[204:205]
	ds_read2_b64 v[204:207], v202 offset0:90 offset1:91
	v_add_f64 v[44:45], v[44:45], -v[50:51]
	s_waitcnt lgkmcnt(0)
	v_mul_f64 v[50:51], v[206:207], v[208:209]
	v_fma_f64 v[50:51], v[204:205], v[48:49], -v[50:51]
	v_mul_f64 v[204:205], v[204:205], v[208:209]
	v_fmac_f64_e32 v[204:205], v[206:207], v[48:49]
	v_add_f64 v[42:43], v[42:43], -v[204:205]
	ds_read2_b64 v[204:207], v202 offset0:92 offset1:93
	v_add_f64 v[40:41], v[40:41], -v[50:51]
	;; [unrolled: 8-line block ×12, first 2 shown]
	s_waitcnt lgkmcnt(0)
	v_mul_f64 v[50:51], v[206:207], v[208:209]
	v_fma_f64 v[50:51], v[204:205], v[48:49], -v[50:51]
	v_mul_f64 v[204:205], v[204:205], v[208:209]
	v_fmac_f64_e32 v[204:205], v[206:207], v[48:49]
	v_add_f64 v[224:225], v[224:225], -v[50:51]
	v_add_f64 v[226:227], v[226:227], -v[204:205]
	v_mov_b64_e32 v[50:51], v[208:209]
.LBB113_397:
	s_or_b64 exec, exec, s[2:3]
	v_cmp_eq_u32_e32 vcc, 44, v200
	s_waitcnt vmcnt(63) expcnt(7) lgkmcnt(15)
	s_barrier
	s_and_saveexec_b64 s[4:5], vcc
	s_cbranch_execz .LBB113_404
; %bb.398:
	ds_write2_b64 v201, v[44:45], v[46:47] offset1:1
	ds_write2_b64 v202, v[40:41], v[42:43] offset0:90 offset1:91
	ds_write2_b64 v202, v[36:37], v[38:39] offset0:92 offset1:93
	;; [unrolled: 1-line block ×11, first 2 shown]
	s_waitcnt vmcnt(60)
	ds_write2_b64 v202, v[224:225], v[226:227] offset0:112 offset1:113
	ds_read2_b64 v[208:211], v201 offset1:1
	s_waitcnt lgkmcnt(0)
	v_cmp_neq_f64_e32 vcc, 0, v[208:209]
	v_cmp_neq_f64_e64 s[2:3], 0, v[210:211]
	s_or_b64 s[2:3], vcc, s[2:3]
	s_and_b64 exec, exec, s[2:3]
	s_cbranch_execz .LBB113_404
; %bb.399:
	v_cmp_ngt_f64_e64 s[2:3], |v[208:209]|, |v[210:211]|
                                        ; implicit-def: $vgpr204_vgpr205
	s_and_saveexec_b64 s[10:11], s[2:3]
	s_xor_b64 s[2:3], exec, s[10:11]
                                        ; implicit-def: $vgpr206_vgpr207
	s_cbranch_execz .LBB113_401
; %bb.400:
	v_div_scale_f64 v[204:205], s[10:11], v[210:211], v[210:211], v[208:209]
	v_rcp_f64_e32 v[206:207], v[204:205]
	v_div_scale_f64 v[212:213], vcc, v[208:209], v[210:211], v[208:209]
	v_fma_f64 v[214:215], -v[204:205], v[206:207], 1.0
	v_fmac_f64_e32 v[206:207], v[206:207], v[214:215]
	v_fma_f64 v[214:215], -v[204:205], v[206:207], 1.0
	v_fmac_f64_e32 v[206:207], v[206:207], v[214:215]
	v_mul_f64 v[214:215], v[212:213], v[206:207]
	v_fma_f64 v[204:205], -v[204:205], v[214:215], v[212:213]
	v_div_fmas_f64 v[204:205], v[204:205], v[206:207], v[214:215]
	v_div_fixup_f64 v[204:205], v[204:205], v[210:211], v[208:209]
	v_fmac_f64_e32 v[210:211], v[208:209], v[204:205]
	v_div_scale_f64 v[206:207], s[10:11], v[210:211], v[210:211], 1.0
	v_rcp_f64_e32 v[208:209], v[206:207]
	s_nop 0
	v_fma_f64 v[212:213], -v[206:207], v[208:209], 1.0
	v_fmac_f64_e32 v[208:209], v[208:209], v[212:213]
	v_fma_f64 v[212:213], -v[206:207], v[208:209], 1.0
	v_fmac_f64_e32 v[208:209], v[208:209], v[212:213]
	v_div_scale_f64 v[212:213], vcc, 1.0, v[210:211], 1.0
	v_mul_f64 v[214:215], v[212:213], v[208:209]
	v_fma_f64 v[206:207], -v[206:207], v[214:215], v[212:213]
	s_nop 1
	v_div_fmas_f64 v[206:207], v[206:207], v[208:209], v[214:215]
	v_div_fixup_f64 v[206:207], v[206:207], v[210:211], 1.0
	v_mul_f64 v[204:205], v[204:205], v[206:207]
	v_xor_b32_e32 v207, 0x80000000, v207
                                        ; implicit-def: $vgpr208_vgpr209
.LBB113_401:
	s_andn2_saveexec_b64 s[2:3], s[2:3]
	s_cbranch_execz .LBB113_403
; %bb.402:
	v_div_scale_f64 v[204:205], s[10:11], v[208:209], v[208:209], v[210:211]
	v_rcp_f64_e32 v[206:207], v[204:205]
	v_div_scale_f64 v[212:213], vcc, v[210:211], v[208:209], v[210:211]
	v_fma_f64 v[214:215], -v[204:205], v[206:207], 1.0
	v_fmac_f64_e32 v[206:207], v[206:207], v[214:215]
	v_fma_f64 v[214:215], -v[204:205], v[206:207], 1.0
	v_fmac_f64_e32 v[206:207], v[206:207], v[214:215]
	v_mul_f64 v[214:215], v[212:213], v[206:207]
	v_fma_f64 v[204:205], -v[204:205], v[214:215], v[212:213]
	v_div_fmas_f64 v[204:205], v[204:205], v[206:207], v[214:215]
	v_div_fixup_f64 v[206:207], v[204:205], v[208:209], v[210:211]
	v_fmac_f64_e32 v[208:209], v[210:211], v[206:207]
	v_div_scale_f64 v[204:205], s[10:11], v[208:209], v[208:209], 1.0
	v_rcp_f64_e32 v[210:211], v[204:205]
	s_nop 0
	v_fma_f64 v[212:213], -v[204:205], v[210:211], 1.0
	v_fmac_f64_e32 v[210:211], v[210:211], v[212:213]
	v_fma_f64 v[212:213], -v[204:205], v[210:211], 1.0
	v_fmac_f64_e32 v[210:211], v[210:211], v[212:213]
	v_div_scale_f64 v[212:213], vcc, 1.0, v[208:209], 1.0
	v_mul_f64 v[214:215], v[212:213], v[210:211]
	v_fma_f64 v[204:205], -v[204:205], v[214:215], v[212:213]
	s_nop 1
	v_div_fmas_f64 v[204:205], v[204:205], v[210:211], v[214:215]
	v_div_fixup_f64 v[204:205], v[204:205], v[208:209], 1.0
	v_mul_f64 v[206:207], v[206:207], -v[204:205]
.LBB113_403:
	s_or_b64 exec, exec, s[2:3]
	ds_write2_b64 v201, v[204:205], v[206:207] offset1:1
.LBB113_404:
	s_or_b64 exec, exec, s[4:5]
	s_waitcnt lgkmcnt(0)
	s_barrier
	ds_read2_b64 v[192:195], v201 offset1:1
	v_cmp_lt_u32_e32 vcc, 44, v200
	s_waitcnt lgkmcnt(0)
	scratch_store_dwordx4 off, v[192:195], off offset:1272 ; 16-byte Folded Spill
	s_and_saveexec_b64 s[2:3], vcc
	s_cbranch_execz .LBB113_406
; %bb.405:
	scratch_load_dwordx4 v[192:195], off, off offset:1272 ; 16-byte Folded Reload
	ds_read2_b64 v[204:207], v202 offset0:90 offset1:91
	s_waitcnt vmcnt(0)
	v_mul_f64 v[208:209], v[192:193], v[46:47]
	v_fmac_f64_e32 v[208:209], v[194:195], v[44:45]
	v_mul_f64 v[46:47], v[194:195], v[46:47]
	v_fma_f64 v[44:45], v[192:193], v[44:45], -v[46:47]
	s_waitcnt lgkmcnt(0)
	v_mul_f64 v[46:47], v[206:207], v[208:209]
	v_fma_f64 v[46:47], v[204:205], v[44:45], -v[46:47]
	v_mul_f64 v[204:205], v[204:205], v[208:209]
	v_fmac_f64_e32 v[204:205], v[206:207], v[44:45]
	v_add_f64 v[42:43], v[42:43], -v[204:205]
	ds_read2_b64 v[204:207], v202 offset0:92 offset1:93
	v_add_f64 v[40:41], v[40:41], -v[46:47]
	s_waitcnt lgkmcnt(0)
	v_mul_f64 v[46:47], v[206:207], v[208:209]
	v_fma_f64 v[46:47], v[204:205], v[44:45], -v[46:47]
	v_mul_f64 v[204:205], v[204:205], v[208:209]
	v_fmac_f64_e32 v[204:205], v[206:207], v[44:45]
	v_add_f64 v[38:39], v[38:39], -v[204:205]
	ds_read2_b64 v[204:207], v202 offset0:94 offset1:95
	v_add_f64 v[36:37], v[36:37], -v[46:47]
	;; [unrolled: 8-line block ×11, first 2 shown]
	s_waitcnt lgkmcnt(0)
	v_mul_f64 v[46:47], v[206:207], v[208:209]
	v_fma_f64 v[46:47], v[204:205], v[44:45], -v[46:47]
	v_mul_f64 v[204:205], v[204:205], v[208:209]
	v_fmac_f64_e32 v[204:205], v[206:207], v[44:45]
	v_add_f64 v[224:225], v[224:225], -v[46:47]
	v_add_f64 v[226:227], v[226:227], -v[204:205]
	v_mov_b64_e32 v[46:47], v[208:209]
.LBB113_406:
	s_or_b64 exec, exec, s[2:3]
	v_cmp_eq_u32_e32 vcc, 45, v200
	s_waitcnt vmcnt(63) expcnt(7) lgkmcnt(15)
	s_barrier
	s_and_saveexec_b64 s[4:5], vcc
	s_cbranch_execz .LBB113_413
; %bb.407:
	ds_write2_b64 v201, v[40:41], v[42:43] offset1:1
	ds_write2_b64 v202, v[36:37], v[38:39] offset0:92 offset1:93
	ds_write2_b64 v202, v[32:33], v[34:35] offset0:94 offset1:95
	;; [unrolled: 1-line block ×10, first 2 shown]
	s_waitcnt vmcnt(61)
	ds_write2_b64 v202, v[224:225], v[226:227] offset0:112 offset1:113
	ds_read2_b64 v[208:211], v201 offset1:1
	s_waitcnt lgkmcnt(0)
	v_cmp_neq_f64_e32 vcc, 0, v[208:209]
	v_cmp_neq_f64_e64 s[2:3], 0, v[210:211]
	s_or_b64 s[2:3], vcc, s[2:3]
	s_and_b64 exec, exec, s[2:3]
	s_cbranch_execz .LBB113_413
; %bb.408:
	v_cmp_ngt_f64_e64 s[2:3], |v[208:209]|, |v[210:211]|
                                        ; implicit-def: $vgpr204_vgpr205
	s_and_saveexec_b64 s[10:11], s[2:3]
	s_xor_b64 s[2:3], exec, s[10:11]
                                        ; implicit-def: $vgpr206_vgpr207
	s_cbranch_execz .LBB113_410
; %bb.409:
	v_div_scale_f64 v[204:205], s[10:11], v[210:211], v[210:211], v[208:209]
	v_rcp_f64_e32 v[206:207], v[204:205]
	v_div_scale_f64 v[212:213], vcc, v[208:209], v[210:211], v[208:209]
	v_fma_f64 v[214:215], -v[204:205], v[206:207], 1.0
	v_fmac_f64_e32 v[206:207], v[206:207], v[214:215]
	v_fma_f64 v[214:215], -v[204:205], v[206:207], 1.0
	v_fmac_f64_e32 v[206:207], v[206:207], v[214:215]
	v_mul_f64 v[214:215], v[212:213], v[206:207]
	v_fma_f64 v[204:205], -v[204:205], v[214:215], v[212:213]
	v_div_fmas_f64 v[204:205], v[204:205], v[206:207], v[214:215]
	v_div_fixup_f64 v[204:205], v[204:205], v[210:211], v[208:209]
	v_fmac_f64_e32 v[210:211], v[208:209], v[204:205]
	v_div_scale_f64 v[206:207], s[10:11], v[210:211], v[210:211], 1.0
	v_rcp_f64_e32 v[208:209], v[206:207]
	s_nop 0
	v_fma_f64 v[212:213], -v[206:207], v[208:209], 1.0
	v_fmac_f64_e32 v[208:209], v[208:209], v[212:213]
	v_fma_f64 v[212:213], -v[206:207], v[208:209], 1.0
	v_fmac_f64_e32 v[208:209], v[208:209], v[212:213]
	v_div_scale_f64 v[212:213], vcc, 1.0, v[210:211], 1.0
	v_mul_f64 v[214:215], v[212:213], v[208:209]
	v_fma_f64 v[206:207], -v[206:207], v[214:215], v[212:213]
	s_nop 1
	v_div_fmas_f64 v[206:207], v[206:207], v[208:209], v[214:215]
	v_div_fixup_f64 v[206:207], v[206:207], v[210:211], 1.0
	v_mul_f64 v[204:205], v[204:205], v[206:207]
	v_xor_b32_e32 v207, 0x80000000, v207
                                        ; implicit-def: $vgpr208_vgpr209
.LBB113_410:
	s_andn2_saveexec_b64 s[2:3], s[2:3]
	s_cbranch_execz .LBB113_412
; %bb.411:
	v_div_scale_f64 v[204:205], s[10:11], v[208:209], v[208:209], v[210:211]
	v_rcp_f64_e32 v[206:207], v[204:205]
	v_div_scale_f64 v[212:213], vcc, v[210:211], v[208:209], v[210:211]
	v_fma_f64 v[214:215], -v[204:205], v[206:207], 1.0
	v_fmac_f64_e32 v[206:207], v[206:207], v[214:215]
	v_fma_f64 v[214:215], -v[204:205], v[206:207], 1.0
	v_fmac_f64_e32 v[206:207], v[206:207], v[214:215]
	v_mul_f64 v[214:215], v[212:213], v[206:207]
	v_fma_f64 v[204:205], -v[204:205], v[214:215], v[212:213]
	v_div_fmas_f64 v[204:205], v[204:205], v[206:207], v[214:215]
	v_div_fixup_f64 v[206:207], v[204:205], v[208:209], v[210:211]
	v_fmac_f64_e32 v[208:209], v[210:211], v[206:207]
	v_div_scale_f64 v[204:205], s[10:11], v[208:209], v[208:209], 1.0
	v_rcp_f64_e32 v[210:211], v[204:205]
	s_nop 0
	v_fma_f64 v[212:213], -v[204:205], v[210:211], 1.0
	v_fmac_f64_e32 v[210:211], v[210:211], v[212:213]
	v_fma_f64 v[212:213], -v[204:205], v[210:211], 1.0
	v_fmac_f64_e32 v[210:211], v[210:211], v[212:213]
	v_div_scale_f64 v[212:213], vcc, 1.0, v[208:209], 1.0
	v_mul_f64 v[214:215], v[212:213], v[210:211]
	v_fma_f64 v[204:205], -v[204:205], v[214:215], v[212:213]
	s_nop 1
	v_div_fmas_f64 v[204:205], v[204:205], v[210:211], v[214:215]
	v_div_fixup_f64 v[204:205], v[204:205], v[208:209], 1.0
	v_mul_f64 v[206:207], v[206:207], -v[204:205]
.LBB113_412:
	s_or_b64 exec, exec, s[2:3]
	ds_write2_b64 v201, v[204:205], v[206:207] offset1:1
.LBB113_413:
	s_or_b64 exec, exec, s[4:5]
	s_waitcnt lgkmcnt(0)
	s_barrier
	ds_read2_b64 v[244:247], v201 offset1:1
	v_cmp_lt_u32_e32 vcc, 45, v200
	s_and_saveexec_b64 s[2:3], vcc
	s_cbranch_execz .LBB113_415
; %bb.414:
	ds_read2_b64 v[204:207], v202 offset0:92 offset1:93
	s_waitcnt lgkmcnt(1)
	v_mul_f64 v[208:209], v[244:245], v[42:43]
	v_fmac_f64_e32 v[208:209], v[246:247], v[40:41]
	v_mul_f64 v[42:43], v[246:247], v[42:43]
	v_fma_f64 v[40:41], v[244:245], v[40:41], -v[42:43]
	s_waitcnt lgkmcnt(0)
	v_mul_f64 v[42:43], v[206:207], v[208:209]
	v_fma_f64 v[42:43], v[204:205], v[40:41], -v[42:43]
	v_mul_f64 v[204:205], v[204:205], v[208:209]
	v_fmac_f64_e32 v[204:205], v[206:207], v[40:41]
	v_add_f64 v[38:39], v[38:39], -v[204:205]
	ds_read2_b64 v[204:207], v202 offset0:94 offset1:95
	v_add_f64 v[36:37], v[36:37], -v[42:43]
	s_waitcnt lgkmcnt(0)
	v_mul_f64 v[42:43], v[206:207], v[208:209]
	v_fma_f64 v[42:43], v[204:205], v[40:41], -v[42:43]
	v_mul_f64 v[204:205], v[204:205], v[208:209]
	v_fmac_f64_e32 v[204:205], v[206:207], v[40:41]
	v_add_f64 v[34:35], v[34:35], -v[204:205]
	ds_read2_b64 v[204:207], v202 offset0:96 offset1:97
	v_add_f64 v[32:33], v[32:33], -v[42:43]
	;; [unrolled: 8-line block ×10, first 2 shown]
	s_waitcnt lgkmcnt(0)
	v_mul_f64 v[42:43], v[206:207], v[208:209]
	v_fma_f64 v[42:43], v[204:205], v[40:41], -v[42:43]
	v_mul_f64 v[204:205], v[204:205], v[208:209]
	v_fmac_f64_e32 v[204:205], v[206:207], v[40:41]
	s_waitcnt vmcnt(61)
	v_add_f64 v[224:225], v[224:225], -v[42:43]
	v_add_f64 v[226:227], v[226:227], -v[204:205]
	v_mov_b64_e32 v[42:43], v[208:209]
.LBB113_415:
	s_or_b64 exec, exec, s[2:3]
	v_cmp_eq_u32_e32 vcc, 46, v200
	s_waitcnt lgkmcnt(0)
	s_barrier
	s_and_saveexec_b64 s[4:5], vcc
	s_cbranch_execz .LBB113_422
; %bb.416:
	ds_write2_b64 v201, v[36:37], v[38:39] offset1:1
	ds_write2_b64 v202, v[32:33], v[34:35] offset0:94 offset1:95
	ds_write2_b64 v202, v[28:29], v[30:31] offset0:96 offset1:97
	;; [unrolled: 1-line block ×9, first 2 shown]
	s_waitcnt vmcnt(61)
	ds_write2_b64 v202, v[224:225], v[226:227] offset0:112 offset1:113
	ds_read2_b64 v[208:211], v201 offset1:1
	s_waitcnt lgkmcnt(0)
	v_cmp_neq_f64_e32 vcc, 0, v[208:209]
	v_cmp_neq_f64_e64 s[2:3], 0, v[210:211]
	s_or_b64 s[2:3], vcc, s[2:3]
	s_and_b64 exec, exec, s[2:3]
	s_cbranch_execz .LBB113_422
; %bb.417:
	v_cmp_ngt_f64_e64 s[2:3], |v[208:209]|, |v[210:211]|
                                        ; implicit-def: $vgpr204_vgpr205
	s_and_saveexec_b64 s[10:11], s[2:3]
	s_xor_b64 s[2:3], exec, s[10:11]
                                        ; implicit-def: $vgpr206_vgpr207
	s_cbranch_execz .LBB113_419
; %bb.418:
	v_div_scale_f64 v[204:205], s[10:11], v[210:211], v[210:211], v[208:209]
	v_rcp_f64_e32 v[206:207], v[204:205]
	v_div_scale_f64 v[212:213], vcc, v[208:209], v[210:211], v[208:209]
	v_fma_f64 v[214:215], -v[204:205], v[206:207], 1.0
	v_fmac_f64_e32 v[206:207], v[206:207], v[214:215]
	v_fma_f64 v[214:215], -v[204:205], v[206:207], 1.0
	v_fmac_f64_e32 v[206:207], v[206:207], v[214:215]
	v_mul_f64 v[214:215], v[212:213], v[206:207]
	v_fma_f64 v[204:205], -v[204:205], v[214:215], v[212:213]
	v_div_fmas_f64 v[204:205], v[204:205], v[206:207], v[214:215]
	v_div_fixup_f64 v[204:205], v[204:205], v[210:211], v[208:209]
	v_fmac_f64_e32 v[210:211], v[208:209], v[204:205]
	v_div_scale_f64 v[206:207], s[10:11], v[210:211], v[210:211], 1.0
	v_rcp_f64_e32 v[208:209], v[206:207]
	s_nop 0
	v_fma_f64 v[212:213], -v[206:207], v[208:209], 1.0
	v_fmac_f64_e32 v[208:209], v[208:209], v[212:213]
	v_fma_f64 v[212:213], -v[206:207], v[208:209], 1.0
	v_fmac_f64_e32 v[208:209], v[208:209], v[212:213]
	v_div_scale_f64 v[212:213], vcc, 1.0, v[210:211], 1.0
	v_mul_f64 v[214:215], v[212:213], v[208:209]
	v_fma_f64 v[206:207], -v[206:207], v[214:215], v[212:213]
	s_nop 1
	v_div_fmas_f64 v[206:207], v[206:207], v[208:209], v[214:215]
	v_div_fixup_f64 v[206:207], v[206:207], v[210:211], 1.0
	v_mul_f64 v[204:205], v[204:205], v[206:207]
	v_xor_b32_e32 v207, 0x80000000, v207
                                        ; implicit-def: $vgpr208_vgpr209
.LBB113_419:
	s_andn2_saveexec_b64 s[2:3], s[2:3]
	s_cbranch_execz .LBB113_421
; %bb.420:
	v_div_scale_f64 v[204:205], s[10:11], v[208:209], v[208:209], v[210:211]
	v_rcp_f64_e32 v[206:207], v[204:205]
	v_div_scale_f64 v[212:213], vcc, v[210:211], v[208:209], v[210:211]
	v_fma_f64 v[214:215], -v[204:205], v[206:207], 1.0
	v_fmac_f64_e32 v[206:207], v[206:207], v[214:215]
	v_fma_f64 v[214:215], -v[204:205], v[206:207], 1.0
	v_fmac_f64_e32 v[206:207], v[206:207], v[214:215]
	v_mul_f64 v[214:215], v[212:213], v[206:207]
	v_fma_f64 v[204:205], -v[204:205], v[214:215], v[212:213]
	v_div_fmas_f64 v[204:205], v[204:205], v[206:207], v[214:215]
	v_div_fixup_f64 v[206:207], v[204:205], v[208:209], v[210:211]
	v_fmac_f64_e32 v[208:209], v[210:211], v[206:207]
	v_div_scale_f64 v[204:205], s[10:11], v[208:209], v[208:209], 1.0
	v_rcp_f64_e32 v[210:211], v[204:205]
	s_nop 0
	v_fma_f64 v[212:213], -v[204:205], v[210:211], 1.0
	v_fmac_f64_e32 v[210:211], v[210:211], v[212:213]
	v_fma_f64 v[212:213], -v[204:205], v[210:211], 1.0
	v_fmac_f64_e32 v[210:211], v[210:211], v[212:213]
	v_div_scale_f64 v[212:213], vcc, 1.0, v[208:209], 1.0
	v_mul_f64 v[214:215], v[212:213], v[210:211]
	v_fma_f64 v[204:205], -v[204:205], v[214:215], v[212:213]
	s_nop 1
	v_div_fmas_f64 v[204:205], v[204:205], v[210:211], v[214:215]
	v_div_fixup_f64 v[204:205], v[204:205], v[208:209], 1.0
	v_mul_f64 v[206:207], v[206:207], -v[204:205]
.LBB113_421:
	s_or_b64 exec, exec, s[2:3]
	ds_write2_b64 v201, v[204:205], v[206:207] offset1:1
.LBB113_422:
	s_or_b64 exec, exec, s[4:5]
	s_waitcnt lgkmcnt(0)
	s_barrier
	ds_read2_b64 v[248:251], v201 offset1:1
	v_cmp_lt_u32_e32 vcc, 46, v200
	s_and_saveexec_b64 s[2:3], vcc
	s_cbranch_execz .LBB113_424
; %bb.423:
	ds_read2_b64 v[204:207], v202 offset0:94 offset1:95
	s_waitcnt lgkmcnt(1)
	v_mul_f64 v[208:209], v[248:249], v[38:39]
	v_fmac_f64_e32 v[208:209], v[250:251], v[36:37]
	v_mul_f64 v[38:39], v[250:251], v[38:39]
	v_fma_f64 v[36:37], v[248:249], v[36:37], -v[38:39]
	s_waitcnt lgkmcnt(0)
	v_mul_f64 v[38:39], v[206:207], v[208:209]
	v_fma_f64 v[38:39], v[204:205], v[36:37], -v[38:39]
	v_mul_f64 v[204:205], v[204:205], v[208:209]
	v_fmac_f64_e32 v[204:205], v[206:207], v[36:37]
	v_add_f64 v[34:35], v[34:35], -v[204:205]
	ds_read2_b64 v[204:207], v202 offset0:96 offset1:97
	v_add_f64 v[32:33], v[32:33], -v[38:39]
	s_waitcnt lgkmcnt(0)
	v_mul_f64 v[38:39], v[206:207], v[208:209]
	v_fma_f64 v[38:39], v[204:205], v[36:37], -v[38:39]
	v_mul_f64 v[204:205], v[204:205], v[208:209]
	v_fmac_f64_e32 v[204:205], v[206:207], v[36:37]
	v_add_f64 v[30:31], v[30:31], -v[204:205]
	ds_read2_b64 v[204:207], v202 offset0:98 offset1:99
	v_add_f64 v[28:29], v[28:29], -v[38:39]
	;; [unrolled: 8-line block ×9, first 2 shown]
	s_waitcnt lgkmcnt(0)
	v_mul_f64 v[38:39], v[206:207], v[208:209]
	v_fma_f64 v[38:39], v[204:205], v[36:37], -v[38:39]
	v_mul_f64 v[204:205], v[204:205], v[208:209]
	v_fmac_f64_e32 v[204:205], v[206:207], v[36:37]
	s_waitcnt vmcnt(61)
	v_add_f64 v[224:225], v[224:225], -v[38:39]
	v_add_f64 v[226:227], v[226:227], -v[204:205]
	v_mov_b64_e32 v[38:39], v[208:209]
.LBB113_424:
	s_or_b64 exec, exec, s[2:3]
	v_cmp_eq_u32_e32 vcc, 47, v200
	s_waitcnt lgkmcnt(0)
	s_barrier
	s_and_saveexec_b64 s[4:5], vcc
	s_cbranch_execz .LBB113_431
; %bb.425:
	ds_write2_b64 v201, v[32:33], v[34:35] offset1:1
	ds_write2_b64 v202, v[28:29], v[30:31] offset0:96 offset1:97
	ds_write2_b64 v202, v[24:25], v[26:27] offset0:98 offset1:99
	ds_write2_b64 v202, v[20:21], v[22:23] offset0:100 offset1:101
	ds_write2_b64 v202, v[16:17], v[18:19] offset0:102 offset1:103
	ds_write2_b64 v202, v[12:13], v[14:15] offset0:104 offset1:105
	ds_write2_b64 v202, v[8:9], v[10:11] offset0:106 offset1:107
	ds_write2_b64 v202, v[4:5], v[6:7] offset0:108 offset1:109
	ds_write2_b64 v202, v[0:1], v[2:3] offset0:110 offset1:111
	s_waitcnt vmcnt(61)
	ds_write2_b64 v202, v[224:225], v[226:227] offset0:112 offset1:113
	ds_read2_b64 v[208:211], v201 offset1:1
	s_waitcnt lgkmcnt(0)
	v_cmp_neq_f64_e32 vcc, 0, v[208:209]
	v_cmp_neq_f64_e64 s[2:3], 0, v[210:211]
	s_or_b64 s[2:3], vcc, s[2:3]
	s_and_b64 exec, exec, s[2:3]
	s_cbranch_execz .LBB113_431
; %bb.426:
	v_cmp_ngt_f64_e64 s[2:3], |v[208:209]|, |v[210:211]|
                                        ; implicit-def: $vgpr204_vgpr205
	s_and_saveexec_b64 s[10:11], s[2:3]
	s_xor_b64 s[2:3], exec, s[10:11]
                                        ; implicit-def: $vgpr206_vgpr207
	s_cbranch_execz .LBB113_428
; %bb.427:
	v_div_scale_f64 v[204:205], s[10:11], v[210:211], v[210:211], v[208:209]
	v_rcp_f64_e32 v[206:207], v[204:205]
	v_div_scale_f64 v[212:213], vcc, v[208:209], v[210:211], v[208:209]
	v_fma_f64 v[214:215], -v[204:205], v[206:207], 1.0
	v_fmac_f64_e32 v[206:207], v[206:207], v[214:215]
	v_fma_f64 v[214:215], -v[204:205], v[206:207], 1.0
	v_fmac_f64_e32 v[206:207], v[206:207], v[214:215]
	v_mul_f64 v[214:215], v[212:213], v[206:207]
	v_fma_f64 v[204:205], -v[204:205], v[214:215], v[212:213]
	v_div_fmas_f64 v[204:205], v[204:205], v[206:207], v[214:215]
	v_div_fixup_f64 v[204:205], v[204:205], v[210:211], v[208:209]
	v_fmac_f64_e32 v[210:211], v[208:209], v[204:205]
	v_div_scale_f64 v[206:207], s[10:11], v[210:211], v[210:211], 1.0
	v_rcp_f64_e32 v[208:209], v[206:207]
	s_nop 0
	v_fma_f64 v[212:213], -v[206:207], v[208:209], 1.0
	v_fmac_f64_e32 v[208:209], v[208:209], v[212:213]
	v_fma_f64 v[212:213], -v[206:207], v[208:209], 1.0
	v_fmac_f64_e32 v[208:209], v[208:209], v[212:213]
	v_div_scale_f64 v[212:213], vcc, 1.0, v[210:211], 1.0
	v_mul_f64 v[214:215], v[212:213], v[208:209]
	v_fma_f64 v[206:207], -v[206:207], v[214:215], v[212:213]
	s_nop 1
	v_div_fmas_f64 v[206:207], v[206:207], v[208:209], v[214:215]
	v_div_fixup_f64 v[206:207], v[206:207], v[210:211], 1.0
	v_mul_f64 v[204:205], v[204:205], v[206:207]
	v_xor_b32_e32 v207, 0x80000000, v207
                                        ; implicit-def: $vgpr208_vgpr209
.LBB113_428:
	s_andn2_saveexec_b64 s[2:3], s[2:3]
	s_cbranch_execz .LBB113_430
; %bb.429:
	v_div_scale_f64 v[204:205], s[10:11], v[208:209], v[208:209], v[210:211]
	v_rcp_f64_e32 v[206:207], v[204:205]
	v_div_scale_f64 v[212:213], vcc, v[210:211], v[208:209], v[210:211]
	v_fma_f64 v[214:215], -v[204:205], v[206:207], 1.0
	v_fmac_f64_e32 v[206:207], v[206:207], v[214:215]
	v_fma_f64 v[214:215], -v[204:205], v[206:207], 1.0
	v_fmac_f64_e32 v[206:207], v[206:207], v[214:215]
	v_mul_f64 v[214:215], v[212:213], v[206:207]
	v_fma_f64 v[204:205], -v[204:205], v[214:215], v[212:213]
	v_div_fmas_f64 v[204:205], v[204:205], v[206:207], v[214:215]
	v_div_fixup_f64 v[206:207], v[204:205], v[208:209], v[210:211]
	v_fmac_f64_e32 v[208:209], v[210:211], v[206:207]
	v_div_scale_f64 v[204:205], s[10:11], v[208:209], v[208:209], 1.0
	v_rcp_f64_e32 v[210:211], v[204:205]
	s_nop 0
	v_fma_f64 v[212:213], -v[204:205], v[210:211], 1.0
	v_fmac_f64_e32 v[210:211], v[210:211], v[212:213]
	v_fma_f64 v[212:213], -v[204:205], v[210:211], 1.0
	v_fmac_f64_e32 v[210:211], v[210:211], v[212:213]
	v_div_scale_f64 v[212:213], vcc, 1.0, v[208:209], 1.0
	v_mul_f64 v[214:215], v[212:213], v[210:211]
	v_fma_f64 v[204:205], -v[204:205], v[214:215], v[212:213]
	s_nop 1
	v_div_fmas_f64 v[204:205], v[204:205], v[210:211], v[214:215]
	v_div_fixup_f64 v[204:205], v[204:205], v[208:209], 1.0
	v_mul_f64 v[206:207], v[206:207], -v[204:205]
.LBB113_430:
	s_or_b64 exec, exec, s[2:3]
	ds_write2_b64 v201, v[204:205], v[206:207] offset1:1
.LBB113_431:
	s_or_b64 exec, exec, s[4:5]
	s_waitcnt lgkmcnt(0)
	s_barrier
	ds_read2_b64 v[252:255], v201 offset1:1
	v_cmp_lt_u32_e32 vcc, 47, v200
	s_and_saveexec_b64 s[2:3], vcc
	s_cbranch_execz .LBB113_433
; %bb.432:
	ds_read2_b64 v[204:207], v202 offset0:96 offset1:97
	s_waitcnt lgkmcnt(1)
	v_mul_f64 v[208:209], v[252:253], v[34:35]
	v_fmac_f64_e32 v[208:209], v[254:255], v[32:33]
	v_mul_f64 v[34:35], v[254:255], v[34:35]
	v_fma_f64 v[32:33], v[252:253], v[32:33], -v[34:35]
	s_waitcnt lgkmcnt(0)
	v_mul_f64 v[34:35], v[206:207], v[208:209]
	v_fma_f64 v[34:35], v[204:205], v[32:33], -v[34:35]
	v_mul_f64 v[204:205], v[204:205], v[208:209]
	v_fmac_f64_e32 v[204:205], v[206:207], v[32:33]
	v_add_f64 v[30:31], v[30:31], -v[204:205]
	ds_read2_b64 v[204:207], v202 offset0:98 offset1:99
	v_add_f64 v[28:29], v[28:29], -v[34:35]
	s_waitcnt lgkmcnt(0)
	v_mul_f64 v[34:35], v[206:207], v[208:209]
	v_fma_f64 v[34:35], v[204:205], v[32:33], -v[34:35]
	v_mul_f64 v[204:205], v[204:205], v[208:209]
	v_fmac_f64_e32 v[204:205], v[206:207], v[32:33]
	v_add_f64 v[26:27], v[26:27], -v[204:205]
	ds_read2_b64 v[204:207], v202 offset0:100 offset1:101
	v_add_f64 v[24:25], v[24:25], -v[34:35]
	;; [unrolled: 8-line block ×8, first 2 shown]
	s_waitcnt lgkmcnt(0)
	v_mul_f64 v[34:35], v[206:207], v[208:209]
	v_fma_f64 v[34:35], v[204:205], v[32:33], -v[34:35]
	v_mul_f64 v[204:205], v[204:205], v[208:209]
	v_fmac_f64_e32 v[204:205], v[206:207], v[32:33]
	s_waitcnt vmcnt(61)
	v_add_f64 v[224:225], v[224:225], -v[34:35]
	v_add_f64 v[226:227], v[226:227], -v[204:205]
	v_mov_b64_e32 v[34:35], v[208:209]
.LBB113_433:
	s_or_b64 exec, exec, s[2:3]
	v_cmp_eq_u32_e32 vcc, 48, v200
	s_waitcnt lgkmcnt(0)
	s_barrier
	s_and_saveexec_b64 s[4:5], vcc
	s_cbranch_execz .LBB113_440
; %bb.434:
	ds_write2_b64 v201, v[28:29], v[30:31] offset1:1
	ds_write2_b64 v202, v[24:25], v[26:27] offset0:98 offset1:99
	ds_write2_b64 v202, v[20:21], v[22:23] offset0:100 offset1:101
	;; [unrolled: 1-line block ×7, first 2 shown]
	s_waitcnt vmcnt(61)
	ds_write2_b64 v202, v[224:225], v[226:227] offset0:112 offset1:113
	ds_read2_b64 v[208:211], v201 offset1:1
	s_waitcnt lgkmcnt(0)
	v_cmp_neq_f64_e32 vcc, 0, v[208:209]
	v_cmp_neq_f64_e64 s[2:3], 0, v[210:211]
	s_or_b64 s[2:3], vcc, s[2:3]
	s_and_b64 exec, exec, s[2:3]
	s_cbranch_execz .LBB113_440
; %bb.435:
	v_cmp_ngt_f64_e64 s[2:3], |v[208:209]|, |v[210:211]|
                                        ; implicit-def: $vgpr204_vgpr205
	s_and_saveexec_b64 s[10:11], s[2:3]
	s_xor_b64 s[2:3], exec, s[10:11]
                                        ; implicit-def: $vgpr206_vgpr207
	s_cbranch_execz .LBB113_437
; %bb.436:
	v_div_scale_f64 v[204:205], s[10:11], v[210:211], v[210:211], v[208:209]
	v_rcp_f64_e32 v[206:207], v[204:205]
	v_div_scale_f64 v[212:213], vcc, v[208:209], v[210:211], v[208:209]
	v_fma_f64 v[214:215], -v[204:205], v[206:207], 1.0
	v_fmac_f64_e32 v[206:207], v[206:207], v[214:215]
	v_fma_f64 v[214:215], -v[204:205], v[206:207], 1.0
	v_fmac_f64_e32 v[206:207], v[206:207], v[214:215]
	v_mul_f64 v[214:215], v[212:213], v[206:207]
	v_fma_f64 v[204:205], -v[204:205], v[214:215], v[212:213]
	v_div_fmas_f64 v[204:205], v[204:205], v[206:207], v[214:215]
	v_div_fixup_f64 v[204:205], v[204:205], v[210:211], v[208:209]
	v_fmac_f64_e32 v[210:211], v[208:209], v[204:205]
	v_div_scale_f64 v[206:207], s[10:11], v[210:211], v[210:211], 1.0
	v_rcp_f64_e32 v[208:209], v[206:207]
	s_nop 0
	v_fma_f64 v[212:213], -v[206:207], v[208:209], 1.0
	v_fmac_f64_e32 v[208:209], v[208:209], v[212:213]
	v_fma_f64 v[212:213], -v[206:207], v[208:209], 1.0
	v_fmac_f64_e32 v[208:209], v[208:209], v[212:213]
	v_div_scale_f64 v[212:213], vcc, 1.0, v[210:211], 1.0
	v_mul_f64 v[214:215], v[212:213], v[208:209]
	v_fma_f64 v[206:207], -v[206:207], v[214:215], v[212:213]
	s_nop 1
	v_div_fmas_f64 v[206:207], v[206:207], v[208:209], v[214:215]
	v_div_fixup_f64 v[206:207], v[206:207], v[210:211], 1.0
	v_mul_f64 v[204:205], v[204:205], v[206:207]
	v_xor_b32_e32 v207, 0x80000000, v207
                                        ; implicit-def: $vgpr208_vgpr209
.LBB113_437:
	s_andn2_saveexec_b64 s[2:3], s[2:3]
	s_cbranch_execz .LBB113_439
; %bb.438:
	v_div_scale_f64 v[204:205], s[10:11], v[208:209], v[208:209], v[210:211]
	v_rcp_f64_e32 v[206:207], v[204:205]
	v_div_scale_f64 v[212:213], vcc, v[210:211], v[208:209], v[210:211]
	v_fma_f64 v[214:215], -v[204:205], v[206:207], 1.0
	v_fmac_f64_e32 v[206:207], v[206:207], v[214:215]
	v_fma_f64 v[214:215], -v[204:205], v[206:207], 1.0
	v_fmac_f64_e32 v[206:207], v[206:207], v[214:215]
	v_mul_f64 v[214:215], v[212:213], v[206:207]
	v_fma_f64 v[204:205], -v[204:205], v[214:215], v[212:213]
	v_div_fmas_f64 v[204:205], v[204:205], v[206:207], v[214:215]
	v_div_fixup_f64 v[206:207], v[204:205], v[208:209], v[210:211]
	v_fmac_f64_e32 v[208:209], v[210:211], v[206:207]
	v_div_scale_f64 v[204:205], s[10:11], v[208:209], v[208:209], 1.0
	v_rcp_f64_e32 v[210:211], v[204:205]
	s_nop 0
	v_fma_f64 v[212:213], -v[204:205], v[210:211], 1.0
	v_fmac_f64_e32 v[210:211], v[210:211], v[212:213]
	v_fma_f64 v[212:213], -v[204:205], v[210:211], 1.0
	v_fmac_f64_e32 v[210:211], v[210:211], v[212:213]
	v_div_scale_f64 v[212:213], vcc, 1.0, v[208:209], 1.0
	v_mul_f64 v[214:215], v[212:213], v[210:211]
	v_fma_f64 v[204:205], -v[204:205], v[214:215], v[212:213]
	s_nop 1
	v_div_fmas_f64 v[204:205], v[204:205], v[210:211], v[214:215]
	v_div_fixup_f64 v[204:205], v[204:205], v[208:209], 1.0
	v_mul_f64 v[206:207], v[206:207], -v[204:205]
.LBB113_439:
	s_or_b64 exec, exec, s[2:3]
	ds_write2_b64 v201, v[204:205], v[206:207] offset1:1
.LBB113_440:
	s_or_b64 exec, exec, s[4:5]
	s_waitcnt lgkmcnt(0)
	s_barrier
	ds_read2_b64 v[192:195], v201 offset1:1
	v_cmp_lt_u32_e32 vcc, 48, v200
	s_waitcnt lgkmcnt(0)
	scratch_store_dwordx4 off, v[192:195], off offset:1288 ; 16-byte Folded Spill
	s_and_saveexec_b64 s[2:3], vcc
	s_cbranch_execz .LBB113_442
; %bb.441:
	scratch_load_dwordx4 v[192:195], off, off offset:1288 ; 16-byte Folded Reload
	ds_read2_b64 v[204:207], v202 offset0:98 offset1:99
	s_waitcnt vmcnt(0)
	v_mul_f64 v[208:209], v[192:193], v[30:31]
	v_fmac_f64_e32 v[208:209], v[194:195], v[28:29]
	v_mul_f64 v[30:31], v[194:195], v[30:31]
	v_fma_f64 v[28:29], v[192:193], v[28:29], -v[30:31]
	s_waitcnt lgkmcnt(0)
	v_mul_f64 v[30:31], v[206:207], v[208:209]
	v_fma_f64 v[30:31], v[204:205], v[28:29], -v[30:31]
	v_mul_f64 v[204:205], v[204:205], v[208:209]
	v_fmac_f64_e32 v[204:205], v[206:207], v[28:29]
	v_add_f64 v[26:27], v[26:27], -v[204:205]
	ds_read2_b64 v[204:207], v202 offset0:100 offset1:101
	v_add_f64 v[24:25], v[24:25], -v[30:31]
	s_waitcnt lgkmcnt(0)
	v_mul_f64 v[30:31], v[206:207], v[208:209]
	v_fma_f64 v[30:31], v[204:205], v[28:29], -v[30:31]
	v_mul_f64 v[204:205], v[204:205], v[208:209]
	v_fmac_f64_e32 v[204:205], v[206:207], v[28:29]
	v_add_f64 v[22:23], v[22:23], -v[204:205]
	ds_read2_b64 v[204:207], v202 offset0:102 offset1:103
	v_add_f64 v[20:21], v[20:21], -v[30:31]
	;; [unrolled: 8-line block ×7, first 2 shown]
	s_waitcnt lgkmcnt(0)
	v_mul_f64 v[30:31], v[206:207], v[208:209]
	v_fma_f64 v[30:31], v[204:205], v[28:29], -v[30:31]
	v_mul_f64 v[204:205], v[204:205], v[208:209]
	v_fmac_f64_e32 v[204:205], v[206:207], v[28:29]
	v_add_f64 v[224:225], v[224:225], -v[30:31]
	v_add_f64 v[226:227], v[226:227], -v[204:205]
	v_mov_b64_e32 v[30:31], v[208:209]
.LBB113_442:
	s_or_b64 exec, exec, s[2:3]
	v_cmp_eq_u32_e32 vcc, 49, v200
	s_waitcnt vmcnt(63) expcnt(7) lgkmcnt(15)
	s_barrier
	s_and_saveexec_b64 s[4:5], vcc
	s_cbranch_execz .LBB113_449
; %bb.443:
	ds_write2_b64 v201, v[24:25], v[26:27] offset1:1
	ds_write2_b64 v202, v[20:21], v[22:23] offset0:100 offset1:101
	ds_write2_b64 v202, v[16:17], v[18:19] offset0:102 offset1:103
	;; [unrolled: 1-line block ×6, first 2 shown]
	s_waitcnt vmcnt(62)
	ds_write2_b64 v202, v[224:225], v[226:227] offset0:112 offset1:113
	ds_read2_b64 v[208:211], v201 offset1:1
	s_waitcnt lgkmcnt(0)
	v_cmp_neq_f64_e32 vcc, 0, v[208:209]
	v_cmp_neq_f64_e64 s[2:3], 0, v[210:211]
	s_or_b64 s[2:3], vcc, s[2:3]
	s_and_b64 exec, exec, s[2:3]
	s_cbranch_execz .LBB113_449
; %bb.444:
	v_cmp_ngt_f64_e64 s[2:3], |v[208:209]|, |v[210:211]|
                                        ; implicit-def: $vgpr204_vgpr205
	s_and_saveexec_b64 s[10:11], s[2:3]
	s_xor_b64 s[2:3], exec, s[10:11]
                                        ; implicit-def: $vgpr206_vgpr207
	s_cbranch_execz .LBB113_446
; %bb.445:
	v_div_scale_f64 v[204:205], s[10:11], v[210:211], v[210:211], v[208:209]
	v_rcp_f64_e32 v[206:207], v[204:205]
	v_div_scale_f64 v[212:213], vcc, v[208:209], v[210:211], v[208:209]
	v_fma_f64 v[214:215], -v[204:205], v[206:207], 1.0
	v_fmac_f64_e32 v[206:207], v[206:207], v[214:215]
	v_fma_f64 v[214:215], -v[204:205], v[206:207], 1.0
	v_fmac_f64_e32 v[206:207], v[206:207], v[214:215]
	v_mul_f64 v[214:215], v[212:213], v[206:207]
	v_fma_f64 v[204:205], -v[204:205], v[214:215], v[212:213]
	v_div_fmas_f64 v[204:205], v[204:205], v[206:207], v[214:215]
	v_div_fixup_f64 v[204:205], v[204:205], v[210:211], v[208:209]
	v_fmac_f64_e32 v[210:211], v[208:209], v[204:205]
	v_div_scale_f64 v[206:207], s[10:11], v[210:211], v[210:211], 1.0
	v_rcp_f64_e32 v[208:209], v[206:207]
	s_nop 0
	v_fma_f64 v[212:213], -v[206:207], v[208:209], 1.0
	v_fmac_f64_e32 v[208:209], v[208:209], v[212:213]
	v_fma_f64 v[212:213], -v[206:207], v[208:209], 1.0
	v_fmac_f64_e32 v[208:209], v[208:209], v[212:213]
	v_div_scale_f64 v[212:213], vcc, 1.0, v[210:211], 1.0
	v_mul_f64 v[214:215], v[212:213], v[208:209]
	v_fma_f64 v[206:207], -v[206:207], v[214:215], v[212:213]
	s_nop 1
	v_div_fmas_f64 v[206:207], v[206:207], v[208:209], v[214:215]
	v_div_fixup_f64 v[206:207], v[206:207], v[210:211], 1.0
	v_mul_f64 v[204:205], v[204:205], v[206:207]
	v_xor_b32_e32 v207, 0x80000000, v207
                                        ; implicit-def: $vgpr208_vgpr209
.LBB113_446:
	s_andn2_saveexec_b64 s[2:3], s[2:3]
	s_cbranch_execz .LBB113_448
; %bb.447:
	v_div_scale_f64 v[204:205], s[10:11], v[208:209], v[208:209], v[210:211]
	v_rcp_f64_e32 v[206:207], v[204:205]
	v_div_scale_f64 v[212:213], vcc, v[210:211], v[208:209], v[210:211]
	v_fma_f64 v[214:215], -v[204:205], v[206:207], 1.0
	v_fmac_f64_e32 v[206:207], v[206:207], v[214:215]
	v_fma_f64 v[214:215], -v[204:205], v[206:207], 1.0
	v_fmac_f64_e32 v[206:207], v[206:207], v[214:215]
	v_mul_f64 v[214:215], v[212:213], v[206:207]
	v_fma_f64 v[204:205], -v[204:205], v[214:215], v[212:213]
	v_div_fmas_f64 v[204:205], v[204:205], v[206:207], v[214:215]
	v_div_fixup_f64 v[206:207], v[204:205], v[208:209], v[210:211]
	v_fmac_f64_e32 v[208:209], v[210:211], v[206:207]
	v_div_scale_f64 v[204:205], s[10:11], v[208:209], v[208:209], 1.0
	v_rcp_f64_e32 v[210:211], v[204:205]
	s_nop 0
	v_fma_f64 v[212:213], -v[204:205], v[210:211], 1.0
	v_fmac_f64_e32 v[210:211], v[210:211], v[212:213]
	v_fma_f64 v[212:213], -v[204:205], v[210:211], 1.0
	v_fmac_f64_e32 v[210:211], v[210:211], v[212:213]
	v_div_scale_f64 v[212:213], vcc, 1.0, v[208:209], 1.0
	v_mul_f64 v[214:215], v[212:213], v[210:211]
	v_fma_f64 v[204:205], -v[204:205], v[214:215], v[212:213]
	s_nop 1
	v_div_fmas_f64 v[204:205], v[204:205], v[210:211], v[214:215]
	v_div_fixup_f64 v[204:205], v[204:205], v[208:209], 1.0
	v_mul_f64 v[206:207], v[206:207], -v[204:205]
.LBB113_448:
	s_or_b64 exec, exec, s[2:3]
	ds_write2_b64 v201, v[204:205], v[206:207] offset1:1
.LBB113_449:
	s_or_b64 exec, exec, s[4:5]
	s_waitcnt lgkmcnt(0)
	s_barrier
	ds_read2_b64 v[228:231], v201 offset1:1
	v_cmp_lt_u32_e32 vcc, 49, v200
	s_and_saveexec_b64 s[2:3], vcc
	s_cbranch_execz .LBB113_451
; %bb.450:
	ds_read2_b64 v[204:207], v202 offset0:100 offset1:101
	s_waitcnt lgkmcnt(1)
	v_mul_f64 v[208:209], v[228:229], v[26:27]
	v_fmac_f64_e32 v[208:209], v[230:231], v[24:25]
	v_mul_f64 v[26:27], v[230:231], v[26:27]
	v_fma_f64 v[24:25], v[228:229], v[24:25], -v[26:27]
	s_waitcnt lgkmcnt(0)
	v_mul_f64 v[26:27], v[206:207], v[208:209]
	v_fma_f64 v[26:27], v[204:205], v[24:25], -v[26:27]
	v_mul_f64 v[204:205], v[204:205], v[208:209]
	v_fmac_f64_e32 v[204:205], v[206:207], v[24:25]
	v_add_f64 v[22:23], v[22:23], -v[204:205]
	ds_read2_b64 v[204:207], v202 offset0:102 offset1:103
	v_add_f64 v[20:21], v[20:21], -v[26:27]
	s_waitcnt lgkmcnt(0)
	v_mul_f64 v[26:27], v[206:207], v[208:209]
	v_fma_f64 v[26:27], v[204:205], v[24:25], -v[26:27]
	v_mul_f64 v[204:205], v[204:205], v[208:209]
	v_fmac_f64_e32 v[204:205], v[206:207], v[24:25]
	v_add_f64 v[18:19], v[18:19], -v[204:205]
	ds_read2_b64 v[204:207], v202 offset0:104 offset1:105
	v_add_f64 v[16:17], v[16:17], -v[26:27]
	;; [unrolled: 8-line block ×6, first 2 shown]
	s_waitcnt lgkmcnt(0)
	v_mul_f64 v[26:27], v[206:207], v[208:209]
	v_fma_f64 v[26:27], v[204:205], v[24:25], -v[26:27]
	v_mul_f64 v[204:205], v[204:205], v[208:209]
	v_fmac_f64_e32 v[204:205], v[206:207], v[24:25]
	s_waitcnt vmcnt(62)
	v_add_f64 v[224:225], v[224:225], -v[26:27]
	v_add_f64 v[226:227], v[226:227], -v[204:205]
	v_mov_b64_e32 v[26:27], v[208:209]
.LBB113_451:
	s_or_b64 exec, exec, s[2:3]
	v_cmp_eq_u32_e32 vcc, 50, v200
	s_waitcnt lgkmcnt(0)
	s_barrier
	s_and_saveexec_b64 s[4:5], vcc
	s_cbranch_execz .LBB113_458
; %bb.452:
	ds_write2_b64 v201, v[20:21], v[22:23] offset1:1
	ds_write2_b64 v202, v[16:17], v[18:19] offset0:102 offset1:103
	ds_write2_b64 v202, v[12:13], v[14:15] offset0:104 offset1:105
	;; [unrolled: 1-line block ×5, first 2 shown]
	s_waitcnt vmcnt(62)
	ds_write2_b64 v202, v[224:225], v[226:227] offset0:112 offset1:113
	ds_read2_b64 v[208:211], v201 offset1:1
	s_waitcnt lgkmcnt(0)
	v_cmp_neq_f64_e32 vcc, 0, v[208:209]
	v_cmp_neq_f64_e64 s[2:3], 0, v[210:211]
	s_or_b64 s[2:3], vcc, s[2:3]
	s_and_b64 exec, exec, s[2:3]
	s_cbranch_execz .LBB113_458
; %bb.453:
	v_cmp_ngt_f64_e64 s[2:3], |v[208:209]|, |v[210:211]|
                                        ; implicit-def: $vgpr204_vgpr205
	s_and_saveexec_b64 s[10:11], s[2:3]
	s_xor_b64 s[2:3], exec, s[10:11]
                                        ; implicit-def: $vgpr206_vgpr207
	s_cbranch_execz .LBB113_455
; %bb.454:
	v_div_scale_f64 v[204:205], s[10:11], v[210:211], v[210:211], v[208:209]
	v_rcp_f64_e32 v[206:207], v[204:205]
	v_div_scale_f64 v[212:213], vcc, v[208:209], v[210:211], v[208:209]
	v_fma_f64 v[214:215], -v[204:205], v[206:207], 1.0
	v_fmac_f64_e32 v[206:207], v[206:207], v[214:215]
	v_fma_f64 v[214:215], -v[204:205], v[206:207], 1.0
	v_fmac_f64_e32 v[206:207], v[206:207], v[214:215]
	v_mul_f64 v[214:215], v[212:213], v[206:207]
	v_fma_f64 v[204:205], -v[204:205], v[214:215], v[212:213]
	v_div_fmas_f64 v[204:205], v[204:205], v[206:207], v[214:215]
	v_div_fixup_f64 v[204:205], v[204:205], v[210:211], v[208:209]
	v_fmac_f64_e32 v[210:211], v[208:209], v[204:205]
	v_div_scale_f64 v[206:207], s[10:11], v[210:211], v[210:211], 1.0
	v_rcp_f64_e32 v[208:209], v[206:207]
	s_nop 0
	v_fma_f64 v[212:213], -v[206:207], v[208:209], 1.0
	v_fmac_f64_e32 v[208:209], v[208:209], v[212:213]
	v_fma_f64 v[212:213], -v[206:207], v[208:209], 1.0
	v_fmac_f64_e32 v[208:209], v[208:209], v[212:213]
	v_div_scale_f64 v[212:213], vcc, 1.0, v[210:211], 1.0
	v_mul_f64 v[214:215], v[212:213], v[208:209]
	v_fma_f64 v[206:207], -v[206:207], v[214:215], v[212:213]
	s_nop 1
	v_div_fmas_f64 v[206:207], v[206:207], v[208:209], v[214:215]
	v_div_fixup_f64 v[206:207], v[206:207], v[210:211], 1.0
	v_mul_f64 v[204:205], v[204:205], v[206:207]
	v_xor_b32_e32 v207, 0x80000000, v207
                                        ; implicit-def: $vgpr208_vgpr209
.LBB113_455:
	s_andn2_saveexec_b64 s[2:3], s[2:3]
	s_cbranch_execz .LBB113_457
; %bb.456:
	v_div_scale_f64 v[204:205], s[10:11], v[208:209], v[208:209], v[210:211]
	v_rcp_f64_e32 v[206:207], v[204:205]
	v_div_scale_f64 v[212:213], vcc, v[210:211], v[208:209], v[210:211]
	v_fma_f64 v[214:215], -v[204:205], v[206:207], 1.0
	v_fmac_f64_e32 v[206:207], v[206:207], v[214:215]
	v_fma_f64 v[214:215], -v[204:205], v[206:207], 1.0
	v_fmac_f64_e32 v[206:207], v[206:207], v[214:215]
	v_mul_f64 v[214:215], v[212:213], v[206:207]
	v_fma_f64 v[204:205], -v[204:205], v[214:215], v[212:213]
	v_div_fmas_f64 v[204:205], v[204:205], v[206:207], v[214:215]
	v_div_fixup_f64 v[206:207], v[204:205], v[208:209], v[210:211]
	v_fmac_f64_e32 v[208:209], v[210:211], v[206:207]
	v_div_scale_f64 v[204:205], s[10:11], v[208:209], v[208:209], 1.0
	v_rcp_f64_e32 v[210:211], v[204:205]
	s_nop 0
	v_fma_f64 v[212:213], -v[204:205], v[210:211], 1.0
	v_fmac_f64_e32 v[210:211], v[210:211], v[212:213]
	v_fma_f64 v[212:213], -v[204:205], v[210:211], 1.0
	v_fmac_f64_e32 v[210:211], v[210:211], v[212:213]
	v_div_scale_f64 v[212:213], vcc, 1.0, v[208:209], 1.0
	v_mul_f64 v[214:215], v[212:213], v[210:211]
	v_fma_f64 v[204:205], -v[204:205], v[214:215], v[212:213]
	s_nop 1
	v_div_fmas_f64 v[204:205], v[204:205], v[210:211], v[214:215]
	v_div_fixup_f64 v[204:205], v[204:205], v[208:209], 1.0
	v_mul_f64 v[206:207], v[206:207], -v[204:205]
.LBB113_457:
	s_or_b64 exec, exec, s[2:3]
	ds_write2_b64 v201, v[204:205], v[206:207] offset1:1
.LBB113_458:
	s_or_b64 exec, exec, s[4:5]
	s_waitcnt lgkmcnt(0)
	s_barrier
	ds_read2_b64 v[232:235], v201 offset1:1
	v_cmp_lt_u32_e32 vcc, 50, v200
	s_and_saveexec_b64 s[2:3], vcc
	s_cbranch_execz .LBB113_460
; %bb.459:
	ds_read2_b64 v[204:207], v202 offset0:102 offset1:103
	s_waitcnt lgkmcnt(1)
	v_mul_f64 v[208:209], v[232:233], v[22:23]
	v_fmac_f64_e32 v[208:209], v[234:235], v[20:21]
	v_mul_f64 v[22:23], v[234:235], v[22:23]
	v_fma_f64 v[20:21], v[232:233], v[20:21], -v[22:23]
	s_waitcnt lgkmcnt(0)
	v_mul_f64 v[22:23], v[206:207], v[208:209]
	v_fma_f64 v[22:23], v[204:205], v[20:21], -v[22:23]
	v_mul_f64 v[204:205], v[204:205], v[208:209]
	v_fmac_f64_e32 v[204:205], v[206:207], v[20:21]
	v_add_f64 v[18:19], v[18:19], -v[204:205]
	ds_read2_b64 v[204:207], v202 offset0:104 offset1:105
	v_add_f64 v[16:17], v[16:17], -v[22:23]
	s_waitcnt lgkmcnt(0)
	v_mul_f64 v[22:23], v[206:207], v[208:209]
	v_fma_f64 v[22:23], v[204:205], v[20:21], -v[22:23]
	v_mul_f64 v[204:205], v[204:205], v[208:209]
	v_fmac_f64_e32 v[204:205], v[206:207], v[20:21]
	v_add_f64 v[14:15], v[14:15], -v[204:205]
	ds_read2_b64 v[204:207], v202 offset0:106 offset1:107
	v_add_f64 v[12:13], v[12:13], -v[22:23]
	;; [unrolled: 8-line block ×5, first 2 shown]
	s_waitcnt lgkmcnt(0)
	v_mul_f64 v[22:23], v[206:207], v[208:209]
	v_fma_f64 v[22:23], v[204:205], v[20:21], -v[22:23]
	v_mul_f64 v[204:205], v[204:205], v[208:209]
	v_fmac_f64_e32 v[204:205], v[206:207], v[20:21]
	s_waitcnt vmcnt(62)
	v_add_f64 v[224:225], v[224:225], -v[22:23]
	v_add_f64 v[226:227], v[226:227], -v[204:205]
	v_mov_b64_e32 v[22:23], v[208:209]
.LBB113_460:
	s_or_b64 exec, exec, s[2:3]
	v_cmp_eq_u32_e32 vcc, 51, v200
	s_waitcnt lgkmcnt(0)
	s_barrier
	s_and_saveexec_b64 s[4:5], vcc
	s_cbranch_execz .LBB113_467
; %bb.461:
	ds_write2_b64 v201, v[16:17], v[18:19] offset1:1
	ds_write2_b64 v202, v[12:13], v[14:15] offset0:104 offset1:105
	ds_write2_b64 v202, v[8:9], v[10:11] offset0:106 offset1:107
	;; [unrolled: 1-line block ×4, first 2 shown]
	s_waitcnt vmcnt(62)
	ds_write2_b64 v202, v[224:225], v[226:227] offset0:112 offset1:113
	ds_read2_b64 v[208:211], v201 offset1:1
	s_waitcnt lgkmcnt(0)
	v_cmp_neq_f64_e32 vcc, 0, v[208:209]
	v_cmp_neq_f64_e64 s[2:3], 0, v[210:211]
	s_or_b64 s[2:3], vcc, s[2:3]
	s_and_b64 exec, exec, s[2:3]
	s_cbranch_execz .LBB113_467
; %bb.462:
	v_cmp_ngt_f64_e64 s[2:3], |v[208:209]|, |v[210:211]|
                                        ; implicit-def: $vgpr204_vgpr205
	s_and_saveexec_b64 s[10:11], s[2:3]
	s_xor_b64 s[2:3], exec, s[10:11]
                                        ; implicit-def: $vgpr206_vgpr207
	s_cbranch_execz .LBB113_464
; %bb.463:
	v_div_scale_f64 v[204:205], s[10:11], v[210:211], v[210:211], v[208:209]
	v_rcp_f64_e32 v[206:207], v[204:205]
	v_div_scale_f64 v[212:213], vcc, v[208:209], v[210:211], v[208:209]
	v_fma_f64 v[214:215], -v[204:205], v[206:207], 1.0
	v_fmac_f64_e32 v[206:207], v[206:207], v[214:215]
	v_fma_f64 v[214:215], -v[204:205], v[206:207], 1.0
	v_fmac_f64_e32 v[206:207], v[206:207], v[214:215]
	v_mul_f64 v[214:215], v[212:213], v[206:207]
	v_fma_f64 v[204:205], -v[204:205], v[214:215], v[212:213]
	v_div_fmas_f64 v[204:205], v[204:205], v[206:207], v[214:215]
	v_div_fixup_f64 v[204:205], v[204:205], v[210:211], v[208:209]
	v_fmac_f64_e32 v[210:211], v[208:209], v[204:205]
	v_div_scale_f64 v[206:207], s[10:11], v[210:211], v[210:211], 1.0
	v_rcp_f64_e32 v[208:209], v[206:207]
	s_nop 0
	v_fma_f64 v[212:213], -v[206:207], v[208:209], 1.0
	v_fmac_f64_e32 v[208:209], v[208:209], v[212:213]
	v_fma_f64 v[212:213], -v[206:207], v[208:209], 1.0
	v_fmac_f64_e32 v[208:209], v[208:209], v[212:213]
	v_div_scale_f64 v[212:213], vcc, 1.0, v[210:211], 1.0
	v_mul_f64 v[214:215], v[212:213], v[208:209]
	v_fma_f64 v[206:207], -v[206:207], v[214:215], v[212:213]
	s_nop 1
	v_div_fmas_f64 v[206:207], v[206:207], v[208:209], v[214:215]
	v_div_fixup_f64 v[206:207], v[206:207], v[210:211], 1.0
	v_mul_f64 v[204:205], v[204:205], v[206:207]
	v_xor_b32_e32 v207, 0x80000000, v207
                                        ; implicit-def: $vgpr208_vgpr209
.LBB113_464:
	s_andn2_saveexec_b64 s[2:3], s[2:3]
	s_cbranch_execz .LBB113_466
; %bb.465:
	v_div_scale_f64 v[204:205], s[10:11], v[208:209], v[208:209], v[210:211]
	v_rcp_f64_e32 v[206:207], v[204:205]
	v_div_scale_f64 v[212:213], vcc, v[210:211], v[208:209], v[210:211]
	v_fma_f64 v[214:215], -v[204:205], v[206:207], 1.0
	v_fmac_f64_e32 v[206:207], v[206:207], v[214:215]
	v_fma_f64 v[214:215], -v[204:205], v[206:207], 1.0
	v_fmac_f64_e32 v[206:207], v[206:207], v[214:215]
	v_mul_f64 v[214:215], v[212:213], v[206:207]
	v_fma_f64 v[204:205], -v[204:205], v[214:215], v[212:213]
	v_div_fmas_f64 v[204:205], v[204:205], v[206:207], v[214:215]
	v_div_fixup_f64 v[206:207], v[204:205], v[208:209], v[210:211]
	v_fmac_f64_e32 v[208:209], v[210:211], v[206:207]
	v_div_scale_f64 v[204:205], s[10:11], v[208:209], v[208:209], 1.0
	v_rcp_f64_e32 v[210:211], v[204:205]
	s_nop 0
	v_fma_f64 v[212:213], -v[204:205], v[210:211], 1.0
	v_fmac_f64_e32 v[210:211], v[210:211], v[212:213]
	v_fma_f64 v[212:213], -v[204:205], v[210:211], 1.0
	v_fmac_f64_e32 v[210:211], v[210:211], v[212:213]
	v_div_scale_f64 v[212:213], vcc, 1.0, v[208:209], 1.0
	v_mul_f64 v[214:215], v[212:213], v[210:211]
	v_fma_f64 v[204:205], -v[204:205], v[214:215], v[212:213]
	s_nop 1
	v_div_fmas_f64 v[204:205], v[204:205], v[210:211], v[214:215]
	v_div_fixup_f64 v[204:205], v[204:205], v[208:209], 1.0
	v_mul_f64 v[206:207], v[206:207], -v[204:205]
.LBB113_466:
	s_or_b64 exec, exec, s[2:3]
	ds_write2_b64 v201, v[204:205], v[206:207] offset1:1
.LBB113_467:
	s_or_b64 exec, exec, s[4:5]
	s_waitcnt lgkmcnt(0)
	s_barrier
	ds_read2_b64 v[236:239], v201 offset1:1
	v_cmp_lt_u32_e32 vcc, 51, v200
	s_and_saveexec_b64 s[2:3], vcc
	s_cbranch_execz .LBB113_469
; %bb.468:
	ds_read2_b64 v[204:207], v202 offset0:104 offset1:105
	s_waitcnt lgkmcnt(1)
	v_mul_f64 v[208:209], v[236:237], v[18:19]
	v_fmac_f64_e32 v[208:209], v[238:239], v[16:17]
	v_mul_f64 v[18:19], v[238:239], v[18:19]
	v_fma_f64 v[16:17], v[236:237], v[16:17], -v[18:19]
	s_waitcnt lgkmcnt(0)
	v_mul_f64 v[18:19], v[206:207], v[208:209]
	v_fma_f64 v[18:19], v[204:205], v[16:17], -v[18:19]
	v_mul_f64 v[204:205], v[204:205], v[208:209]
	v_fmac_f64_e32 v[204:205], v[206:207], v[16:17]
	v_add_f64 v[14:15], v[14:15], -v[204:205]
	ds_read2_b64 v[204:207], v202 offset0:106 offset1:107
	v_add_f64 v[12:13], v[12:13], -v[18:19]
	s_waitcnt lgkmcnt(0)
	v_mul_f64 v[18:19], v[206:207], v[208:209]
	v_fma_f64 v[18:19], v[204:205], v[16:17], -v[18:19]
	v_mul_f64 v[204:205], v[204:205], v[208:209]
	v_fmac_f64_e32 v[204:205], v[206:207], v[16:17]
	v_add_f64 v[10:11], v[10:11], -v[204:205]
	ds_read2_b64 v[204:207], v202 offset0:108 offset1:109
	v_add_f64 v[8:9], v[8:9], -v[18:19]
	;; [unrolled: 8-line block ×4, first 2 shown]
	s_waitcnt lgkmcnt(0)
	v_mul_f64 v[18:19], v[206:207], v[208:209]
	v_fma_f64 v[18:19], v[204:205], v[16:17], -v[18:19]
	v_mul_f64 v[204:205], v[204:205], v[208:209]
	v_fmac_f64_e32 v[204:205], v[206:207], v[16:17]
	s_waitcnt vmcnt(62)
	v_add_f64 v[224:225], v[224:225], -v[18:19]
	v_add_f64 v[226:227], v[226:227], -v[204:205]
	v_mov_b64_e32 v[18:19], v[208:209]
.LBB113_469:
	s_or_b64 exec, exec, s[2:3]
	v_cmp_eq_u32_e32 vcc, 52, v200
	s_waitcnt lgkmcnt(0)
	s_barrier
	s_and_saveexec_b64 s[4:5], vcc
	s_cbranch_execz .LBB113_476
; %bb.470:
	ds_write2_b64 v201, v[12:13], v[14:15] offset1:1
	ds_write2_b64 v202, v[8:9], v[10:11] offset0:106 offset1:107
	ds_write2_b64 v202, v[4:5], v[6:7] offset0:108 offset1:109
	;; [unrolled: 1-line block ×3, first 2 shown]
	s_waitcnt vmcnt(62)
	ds_write2_b64 v202, v[224:225], v[226:227] offset0:112 offset1:113
	ds_read2_b64 v[208:211], v201 offset1:1
	s_waitcnt lgkmcnt(0)
	v_cmp_neq_f64_e32 vcc, 0, v[208:209]
	v_cmp_neq_f64_e64 s[2:3], 0, v[210:211]
	s_or_b64 s[2:3], vcc, s[2:3]
	s_and_b64 exec, exec, s[2:3]
	s_cbranch_execz .LBB113_476
; %bb.471:
	v_cmp_ngt_f64_e64 s[2:3], |v[208:209]|, |v[210:211]|
                                        ; implicit-def: $vgpr204_vgpr205
	s_and_saveexec_b64 s[10:11], s[2:3]
	s_xor_b64 s[2:3], exec, s[10:11]
                                        ; implicit-def: $vgpr206_vgpr207
	s_cbranch_execz .LBB113_473
; %bb.472:
	v_div_scale_f64 v[204:205], s[10:11], v[210:211], v[210:211], v[208:209]
	v_rcp_f64_e32 v[206:207], v[204:205]
	v_div_scale_f64 v[212:213], vcc, v[208:209], v[210:211], v[208:209]
	v_fma_f64 v[214:215], -v[204:205], v[206:207], 1.0
	v_fmac_f64_e32 v[206:207], v[206:207], v[214:215]
	v_fma_f64 v[214:215], -v[204:205], v[206:207], 1.0
	v_fmac_f64_e32 v[206:207], v[206:207], v[214:215]
	v_mul_f64 v[214:215], v[212:213], v[206:207]
	v_fma_f64 v[204:205], -v[204:205], v[214:215], v[212:213]
	v_div_fmas_f64 v[204:205], v[204:205], v[206:207], v[214:215]
	v_div_fixup_f64 v[204:205], v[204:205], v[210:211], v[208:209]
	v_fmac_f64_e32 v[210:211], v[208:209], v[204:205]
	v_div_scale_f64 v[206:207], s[10:11], v[210:211], v[210:211], 1.0
	v_rcp_f64_e32 v[208:209], v[206:207]
	s_nop 0
	v_fma_f64 v[212:213], -v[206:207], v[208:209], 1.0
	v_fmac_f64_e32 v[208:209], v[208:209], v[212:213]
	v_fma_f64 v[212:213], -v[206:207], v[208:209], 1.0
	v_fmac_f64_e32 v[208:209], v[208:209], v[212:213]
	v_div_scale_f64 v[212:213], vcc, 1.0, v[210:211], 1.0
	v_mul_f64 v[214:215], v[212:213], v[208:209]
	v_fma_f64 v[206:207], -v[206:207], v[214:215], v[212:213]
	s_nop 1
	v_div_fmas_f64 v[206:207], v[206:207], v[208:209], v[214:215]
	v_div_fixup_f64 v[206:207], v[206:207], v[210:211], 1.0
	v_mul_f64 v[204:205], v[204:205], v[206:207]
	v_xor_b32_e32 v207, 0x80000000, v207
                                        ; implicit-def: $vgpr208_vgpr209
.LBB113_473:
	s_andn2_saveexec_b64 s[2:3], s[2:3]
	s_cbranch_execz .LBB113_475
; %bb.474:
	v_div_scale_f64 v[204:205], s[10:11], v[208:209], v[208:209], v[210:211]
	v_rcp_f64_e32 v[206:207], v[204:205]
	v_div_scale_f64 v[212:213], vcc, v[210:211], v[208:209], v[210:211]
	v_fma_f64 v[214:215], -v[204:205], v[206:207], 1.0
	v_fmac_f64_e32 v[206:207], v[206:207], v[214:215]
	v_fma_f64 v[214:215], -v[204:205], v[206:207], 1.0
	v_fmac_f64_e32 v[206:207], v[206:207], v[214:215]
	v_mul_f64 v[214:215], v[212:213], v[206:207]
	v_fma_f64 v[204:205], -v[204:205], v[214:215], v[212:213]
	v_div_fmas_f64 v[204:205], v[204:205], v[206:207], v[214:215]
	v_div_fixup_f64 v[206:207], v[204:205], v[208:209], v[210:211]
	v_fmac_f64_e32 v[208:209], v[210:211], v[206:207]
	v_div_scale_f64 v[204:205], s[10:11], v[208:209], v[208:209], 1.0
	v_rcp_f64_e32 v[210:211], v[204:205]
	s_nop 0
	v_fma_f64 v[212:213], -v[204:205], v[210:211], 1.0
	v_fmac_f64_e32 v[210:211], v[210:211], v[212:213]
	v_fma_f64 v[212:213], -v[204:205], v[210:211], 1.0
	v_fmac_f64_e32 v[210:211], v[210:211], v[212:213]
	v_div_scale_f64 v[212:213], vcc, 1.0, v[208:209], 1.0
	v_mul_f64 v[214:215], v[212:213], v[210:211]
	v_fma_f64 v[204:205], -v[204:205], v[214:215], v[212:213]
	s_nop 1
	v_div_fmas_f64 v[204:205], v[204:205], v[210:211], v[214:215]
	v_div_fixup_f64 v[204:205], v[204:205], v[208:209], 1.0
	v_mul_f64 v[206:207], v[206:207], -v[204:205]
.LBB113_475:
	s_or_b64 exec, exec, s[2:3]
	ds_write2_b64 v201, v[204:205], v[206:207] offset1:1
.LBB113_476:
	s_or_b64 exec, exec, s[4:5]
	s_waitcnt lgkmcnt(0)
	s_barrier
	ds_read2_b64 v[220:223], v201 offset1:1
	v_cmp_lt_u32_e32 vcc, 52, v200
	s_and_saveexec_b64 s[2:3], vcc
	s_cbranch_execz .LBB113_478
; %bb.477:
	ds_read2_b64 v[204:207], v202 offset0:106 offset1:107
	s_waitcnt lgkmcnt(1)
	v_mul_f64 v[208:209], v[220:221], v[14:15]
	v_fmac_f64_e32 v[208:209], v[222:223], v[12:13]
	v_mul_f64 v[14:15], v[222:223], v[14:15]
	v_fma_f64 v[12:13], v[220:221], v[12:13], -v[14:15]
	s_waitcnt lgkmcnt(0)
	v_mul_f64 v[14:15], v[206:207], v[208:209]
	v_fma_f64 v[14:15], v[204:205], v[12:13], -v[14:15]
	v_mul_f64 v[204:205], v[204:205], v[208:209]
	v_fmac_f64_e32 v[204:205], v[206:207], v[12:13]
	v_add_f64 v[10:11], v[10:11], -v[204:205]
	ds_read2_b64 v[204:207], v202 offset0:108 offset1:109
	v_add_f64 v[8:9], v[8:9], -v[14:15]
	s_waitcnt lgkmcnt(0)
	v_mul_f64 v[14:15], v[206:207], v[208:209]
	v_fma_f64 v[14:15], v[204:205], v[12:13], -v[14:15]
	v_mul_f64 v[204:205], v[204:205], v[208:209]
	v_fmac_f64_e32 v[204:205], v[206:207], v[12:13]
	v_add_f64 v[6:7], v[6:7], -v[204:205]
	ds_read2_b64 v[204:207], v202 offset0:110 offset1:111
	v_add_f64 v[4:5], v[4:5], -v[14:15]
	;; [unrolled: 8-line block ×3, first 2 shown]
	s_waitcnt lgkmcnt(0)
	v_mul_f64 v[14:15], v[206:207], v[208:209]
	v_fma_f64 v[14:15], v[204:205], v[12:13], -v[14:15]
	v_mul_f64 v[204:205], v[204:205], v[208:209]
	v_fmac_f64_e32 v[204:205], v[206:207], v[12:13]
	s_waitcnt vmcnt(62)
	v_add_f64 v[224:225], v[224:225], -v[14:15]
	v_add_f64 v[226:227], v[226:227], -v[204:205]
	v_mov_b64_e32 v[14:15], v[208:209]
.LBB113_478:
	s_or_b64 exec, exec, s[2:3]
	v_cmp_eq_u32_e32 vcc, 53, v200
	s_waitcnt lgkmcnt(0)
	s_barrier
	s_and_saveexec_b64 s[4:5], vcc
	s_cbranch_execz .LBB113_485
; %bb.479:
	ds_write2_b64 v201, v[8:9], v[10:11] offset1:1
	ds_write2_b64 v202, v[4:5], v[6:7] offset0:108 offset1:109
	ds_write2_b64 v202, v[0:1], v[2:3] offset0:110 offset1:111
	s_waitcnt vmcnt(62)
	ds_write2_b64 v202, v[224:225], v[226:227] offset0:112 offset1:113
	ds_read2_b64 v[208:211], v201 offset1:1
	s_waitcnt lgkmcnt(0)
	v_cmp_neq_f64_e32 vcc, 0, v[208:209]
	v_cmp_neq_f64_e64 s[2:3], 0, v[210:211]
	s_or_b64 s[2:3], vcc, s[2:3]
	s_and_b64 exec, exec, s[2:3]
	s_cbranch_execz .LBB113_485
; %bb.480:
	v_cmp_ngt_f64_e64 s[2:3], |v[208:209]|, |v[210:211]|
                                        ; implicit-def: $vgpr204_vgpr205
	s_and_saveexec_b64 s[10:11], s[2:3]
	s_xor_b64 s[2:3], exec, s[10:11]
                                        ; implicit-def: $vgpr206_vgpr207
	s_cbranch_execz .LBB113_482
; %bb.481:
	v_div_scale_f64 v[204:205], s[10:11], v[210:211], v[210:211], v[208:209]
	v_rcp_f64_e32 v[206:207], v[204:205]
	v_div_scale_f64 v[212:213], vcc, v[208:209], v[210:211], v[208:209]
	v_fma_f64 v[214:215], -v[204:205], v[206:207], 1.0
	v_fmac_f64_e32 v[206:207], v[206:207], v[214:215]
	v_fma_f64 v[214:215], -v[204:205], v[206:207], 1.0
	v_fmac_f64_e32 v[206:207], v[206:207], v[214:215]
	v_mul_f64 v[214:215], v[212:213], v[206:207]
	v_fma_f64 v[204:205], -v[204:205], v[214:215], v[212:213]
	v_div_fmas_f64 v[204:205], v[204:205], v[206:207], v[214:215]
	v_div_fixup_f64 v[204:205], v[204:205], v[210:211], v[208:209]
	v_fmac_f64_e32 v[210:211], v[208:209], v[204:205]
	v_div_scale_f64 v[206:207], s[10:11], v[210:211], v[210:211], 1.0
	v_rcp_f64_e32 v[208:209], v[206:207]
	s_nop 0
	v_fma_f64 v[212:213], -v[206:207], v[208:209], 1.0
	v_fmac_f64_e32 v[208:209], v[208:209], v[212:213]
	v_fma_f64 v[212:213], -v[206:207], v[208:209], 1.0
	v_fmac_f64_e32 v[208:209], v[208:209], v[212:213]
	v_div_scale_f64 v[212:213], vcc, 1.0, v[210:211], 1.0
	v_mul_f64 v[214:215], v[212:213], v[208:209]
	v_fma_f64 v[206:207], -v[206:207], v[214:215], v[212:213]
	s_nop 1
	v_div_fmas_f64 v[206:207], v[206:207], v[208:209], v[214:215]
	v_div_fixup_f64 v[206:207], v[206:207], v[210:211], 1.0
	v_mul_f64 v[204:205], v[204:205], v[206:207]
	v_xor_b32_e32 v207, 0x80000000, v207
                                        ; implicit-def: $vgpr208_vgpr209
.LBB113_482:
	s_andn2_saveexec_b64 s[2:3], s[2:3]
	s_cbranch_execz .LBB113_484
; %bb.483:
	v_div_scale_f64 v[204:205], s[10:11], v[208:209], v[208:209], v[210:211]
	v_rcp_f64_e32 v[206:207], v[204:205]
	v_div_scale_f64 v[212:213], vcc, v[210:211], v[208:209], v[210:211]
	v_fma_f64 v[214:215], -v[204:205], v[206:207], 1.0
	v_fmac_f64_e32 v[206:207], v[206:207], v[214:215]
	v_fma_f64 v[214:215], -v[204:205], v[206:207], 1.0
	v_fmac_f64_e32 v[206:207], v[206:207], v[214:215]
	v_mul_f64 v[214:215], v[212:213], v[206:207]
	v_fma_f64 v[204:205], -v[204:205], v[214:215], v[212:213]
	v_div_fmas_f64 v[204:205], v[204:205], v[206:207], v[214:215]
	v_div_fixup_f64 v[206:207], v[204:205], v[208:209], v[210:211]
	v_fmac_f64_e32 v[208:209], v[210:211], v[206:207]
	v_div_scale_f64 v[204:205], s[10:11], v[208:209], v[208:209], 1.0
	v_rcp_f64_e32 v[210:211], v[204:205]
	s_nop 0
	v_fma_f64 v[212:213], -v[204:205], v[210:211], 1.0
	v_fmac_f64_e32 v[210:211], v[210:211], v[212:213]
	v_fma_f64 v[212:213], -v[204:205], v[210:211], 1.0
	v_fmac_f64_e32 v[210:211], v[210:211], v[212:213]
	v_div_scale_f64 v[212:213], vcc, 1.0, v[208:209], 1.0
	v_mul_f64 v[214:215], v[212:213], v[210:211]
	v_fma_f64 v[204:205], -v[204:205], v[214:215], v[212:213]
	s_nop 1
	v_div_fmas_f64 v[204:205], v[204:205], v[210:211], v[214:215]
	v_div_fixup_f64 v[204:205], v[204:205], v[208:209], 1.0
	v_mul_f64 v[206:207], v[206:207], -v[204:205]
.LBB113_484:
	s_or_b64 exec, exec, s[2:3]
	ds_write2_b64 v201, v[204:205], v[206:207] offset1:1
.LBB113_485:
	s_or_b64 exec, exec, s[4:5]
	s_waitcnt lgkmcnt(0)
	s_barrier
	ds_read2_b64 v[216:219], v201 offset1:1
	v_cmp_lt_u32_e32 vcc, 53, v200
	s_and_saveexec_b64 s[2:3], vcc
	s_cbranch_execz .LBB113_487
; %bb.486:
	ds_read2_b64 v[204:207], v202 offset0:108 offset1:109
	s_waitcnt lgkmcnt(1)
	v_mul_f64 v[208:209], v[216:217], v[10:11]
	v_fmac_f64_e32 v[208:209], v[218:219], v[8:9]
	v_mul_f64 v[10:11], v[218:219], v[10:11]
	v_fma_f64 v[8:9], v[216:217], v[8:9], -v[10:11]
	s_waitcnt lgkmcnt(0)
	v_mul_f64 v[10:11], v[206:207], v[208:209]
	v_fma_f64 v[10:11], v[204:205], v[8:9], -v[10:11]
	v_mul_f64 v[204:205], v[204:205], v[208:209]
	v_fmac_f64_e32 v[204:205], v[206:207], v[8:9]
	v_add_f64 v[6:7], v[6:7], -v[204:205]
	ds_read2_b64 v[204:207], v202 offset0:110 offset1:111
	v_add_f64 v[4:5], v[4:5], -v[10:11]
	s_waitcnt lgkmcnt(0)
	v_mul_f64 v[10:11], v[206:207], v[208:209]
	v_fma_f64 v[10:11], v[204:205], v[8:9], -v[10:11]
	v_mul_f64 v[204:205], v[204:205], v[208:209]
	v_fmac_f64_e32 v[204:205], v[206:207], v[8:9]
	v_add_f64 v[2:3], v[2:3], -v[204:205]
	ds_read2_b64 v[204:207], v202 offset0:112 offset1:113
	v_add_f64 v[0:1], v[0:1], -v[10:11]
	s_waitcnt lgkmcnt(0)
	v_mul_f64 v[10:11], v[206:207], v[208:209]
	v_fma_f64 v[10:11], v[204:205], v[8:9], -v[10:11]
	v_mul_f64 v[204:205], v[204:205], v[208:209]
	v_fmac_f64_e32 v[204:205], v[206:207], v[8:9]
	s_waitcnt vmcnt(62)
	v_add_f64 v[224:225], v[224:225], -v[10:11]
	v_add_f64 v[226:227], v[226:227], -v[204:205]
	v_mov_b64_e32 v[10:11], v[208:209]
.LBB113_487:
	s_or_b64 exec, exec, s[2:3]
	v_cmp_eq_u32_e32 vcc, 54, v200
	s_waitcnt lgkmcnt(0)
	s_barrier
	s_and_saveexec_b64 s[4:5], vcc
	s_cbranch_execz .LBB113_494
; %bb.488:
	ds_write2_b64 v201, v[4:5], v[6:7] offset1:1
	ds_write2_b64 v202, v[0:1], v[2:3] offset0:110 offset1:111
	s_waitcnt vmcnt(62)
	ds_write2_b64 v202, v[224:225], v[226:227] offset0:112 offset1:113
	ds_read2_b64 v[208:211], v201 offset1:1
	s_waitcnt lgkmcnt(0)
	v_cmp_neq_f64_e32 vcc, 0, v[208:209]
	v_cmp_neq_f64_e64 s[2:3], 0, v[210:211]
	s_or_b64 s[2:3], vcc, s[2:3]
	s_and_b64 exec, exec, s[2:3]
	s_cbranch_execz .LBB113_494
; %bb.489:
	v_cmp_ngt_f64_e64 s[2:3], |v[208:209]|, |v[210:211]|
                                        ; implicit-def: $vgpr204_vgpr205
	s_and_saveexec_b64 s[10:11], s[2:3]
	s_xor_b64 s[2:3], exec, s[10:11]
                                        ; implicit-def: $vgpr206_vgpr207
	s_cbranch_execz .LBB113_491
; %bb.490:
	v_div_scale_f64 v[204:205], s[10:11], v[210:211], v[210:211], v[208:209]
	v_rcp_f64_e32 v[206:207], v[204:205]
	v_div_scale_f64 v[212:213], vcc, v[208:209], v[210:211], v[208:209]
	v_fma_f64 v[214:215], -v[204:205], v[206:207], 1.0
	v_fmac_f64_e32 v[206:207], v[206:207], v[214:215]
	v_fma_f64 v[214:215], -v[204:205], v[206:207], 1.0
	v_fmac_f64_e32 v[206:207], v[206:207], v[214:215]
	v_mul_f64 v[214:215], v[212:213], v[206:207]
	v_fma_f64 v[204:205], -v[204:205], v[214:215], v[212:213]
	v_div_fmas_f64 v[204:205], v[204:205], v[206:207], v[214:215]
	v_div_fixup_f64 v[204:205], v[204:205], v[210:211], v[208:209]
	v_fmac_f64_e32 v[210:211], v[208:209], v[204:205]
	v_div_scale_f64 v[206:207], s[10:11], v[210:211], v[210:211], 1.0
	v_rcp_f64_e32 v[208:209], v[206:207]
	s_nop 0
	v_fma_f64 v[212:213], -v[206:207], v[208:209], 1.0
	v_fmac_f64_e32 v[208:209], v[208:209], v[212:213]
	v_fma_f64 v[212:213], -v[206:207], v[208:209], 1.0
	v_fmac_f64_e32 v[208:209], v[208:209], v[212:213]
	v_div_scale_f64 v[212:213], vcc, 1.0, v[210:211], 1.0
	v_mul_f64 v[214:215], v[212:213], v[208:209]
	v_fma_f64 v[206:207], -v[206:207], v[214:215], v[212:213]
	s_nop 1
	v_div_fmas_f64 v[206:207], v[206:207], v[208:209], v[214:215]
	v_div_fixup_f64 v[206:207], v[206:207], v[210:211], 1.0
	v_mul_f64 v[204:205], v[204:205], v[206:207]
	v_xor_b32_e32 v207, 0x80000000, v207
                                        ; implicit-def: $vgpr208_vgpr209
.LBB113_491:
	s_andn2_saveexec_b64 s[2:3], s[2:3]
	s_cbranch_execz .LBB113_493
; %bb.492:
	v_div_scale_f64 v[204:205], s[10:11], v[208:209], v[208:209], v[210:211]
	v_rcp_f64_e32 v[206:207], v[204:205]
	v_div_scale_f64 v[212:213], vcc, v[210:211], v[208:209], v[210:211]
	v_fma_f64 v[214:215], -v[204:205], v[206:207], 1.0
	v_fmac_f64_e32 v[206:207], v[206:207], v[214:215]
	v_fma_f64 v[214:215], -v[204:205], v[206:207], 1.0
	v_fmac_f64_e32 v[206:207], v[206:207], v[214:215]
	v_mul_f64 v[214:215], v[212:213], v[206:207]
	v_fma_f64 v[204:205], -v[204:205], v[214:215], v[212:213]
	v_div_fmas_f64 v[204:205], v[204:205], v[206:207], v[214:215]
	v_div_fixup_f64 v[206:207], v[204:205], v[208:209], v[210:211]
	v_fmac_f64_e32 v[208:209], v[210:211], v[206:207]
	v_div_scale_f64 v[204:205], s[10:11], v[208:209], v[208:209], 1.0
	v_rcp_f64_e32 v[210:211], v[204:205]
	s_nop 0
	v_fma_f64 v[212:213], -v[204:205], v[210:211], 1.0
	v_fmac_f64_e32 v[210:211], v[210:211], v[212:213]
	v_fma_f64 v[212:213], -v[204:205], v[210:211], 1.0
	v_fmac_f64_e32 v[210:211], v[210:211], v[212:213]
	v_div_scale_f64 v[212:213], vcc, 1.0, v[208:209], 1.0
	v_mul_f64 v[214:215], v[212:213], v[210:211]
	v_fma_f64 v[204:205], -v[204:205], v[214:215], v[212:213]
	s_nop 1
	v_div_fmas_f64 v[204:205], v[204:205], v[210:211], v[214:215]
	v_div_fixup_f64 v[204:205], v[204:205], v[208:209], 1.0
	v_mul_f64 v[206:207], v[206:207], -v[204:205]
.LBB113_493:
	s_or_b64 exec, exec, s[2:3]
	ds_write2_b64 v201, v[204:205], v[206:207] offset1:1
.LBB113_494:
	s_or_b64 exec, exec, s[4:5]
	s_waitcnt lgkmcnt(0)
	s_barrier
	ds_read2_b64 v[240:243], v201 offset1:1
	v_cmp_lt_u32_e32 vcc, 54, v200
	s_and_saveexec_b64 s[2:3], vcc
	s_cbranch_execz .LBB113_496
; %bb.495:
	ds_read2_b64 v[204:207], v202 offset0:110 offset1:111
	s_waitcnt lgkmcnt(1)
	v_mul_f64 v[208:209], v[240:241], v[6:7]
	v_fmac_f64_e32 v[208:209], v[242:243], v[4:5]
	v_mul_f64 v[6:7], v[242:243], v[6:7]
	v_fma_f64 v[4:5], v[240:241], v[4:5], -v[6:7]
	s_waitcnt lgkmcnt(0)
	v_mul_f64 v[6:7], v[206:207], v[208:209]
	v_fma_f64 v[6:7], v[204:205], v[4:5], -v[6:7]
	v_mul_f64 v[204:205], v[204:205], v[208:209]
	v_fmac_f64_e32 v[204:205], v[206:207], v[4:5]
	v_add_f64 v[2:3], v[2:3], -v[204:205]
	ds_read2_b64 v[204:207], v202 offset0:112 offset1:113
	v_add_f64 v[0:1], v[0:1], -v[6:7]
	s_waitcnt lgkmcnt(0)
	v_mul_f64 v[6:7], v[206:207], v[208:209]
	v_fma_f64 v[6:7], v[204:205], v[4:5], -v[6:7]
	v_mul_f64 v[204:205], v[204:205], v[208:209]
	v_fmac_f64_e32 v[204:205], v[206:207], v[4:5]
	s_waitcnt vmcnt(62)
	v_add_f64 v[224:225], v[224:225], -v[6:7]
	v_add_f64 v[226:227], v[226:227], -v[204:205]
	v_mov_b64_e32 v[6:7], v[208:209]
.LBB113_496:
	s_or_b64 exec, exec, s[2:3]
	v_cmp_eq_u32_e32 vcc, 55, v200
	s_waitcnt lgkmcnt(0)
	s_barrier
	s_and_saveexec_b64 s[4:5], vcc
	s_cbranch_execz .LBB113_503
; %bb.497:
	ds_write2_b64 v201, v[0:1], v[2:3] offset1:1
	s_waitcnt vmcnt(62)
	ds_write2_b64 v202, v[224:225], v[226:227] offset0:112 offset1:113
	ds_read2_b64 v[208:211], v201 offset1:1
	s_waitcnt lgkmcnt(0)
	v_cmp_neq_f64_e32 vcc, 0, v[208:209]
	v_cmp_neq_f64_e64 s[2:3], 0, v[210:211]
	s_or_b64 s[2:3], vcc, s[2:3]
	s_and_b64 exec, exec, s[2:3]
	s_cbranch_execz .LBB113_503
; %bb.498:
	v_cmp_ngt_f64_e64 s[2:3], |v[208:209]|, |v[210:211]|
                                        ; implicit-def: $vgpr204_vgpr205
	s_and_saveexec_b64 s[10:11], s[2:3]
	s_xor_b64 s[2:3], exec, s[10:11]
                                        ; implicit-def: $vgpr206_vgpr207
	s_cbranch_execz .LBB113_500
; %bb.499:
	v_div_scale_f64 v[204:205], s[10:11], v[210:211], v[210:211], v[208:209]
	v_rcp_f64_e32 v[206:207], v[204:205]
	v_div_scale_f64 v[212:213], vcc, v[208:209], v[210:211], v[208:209]
	v_fma_f64 v[214:215], -v[204:205], v[206:207], 1.0
	v_fmac_f64_e32 v[206:207], v[206:207], v[214:215]
	v_fma_f64 v[214:215], -v[204:205], v[206:207], 1.0
	v_fmac_f64_e32 v[206:207], v[206:207], v[214:215]
	v_mul_f64 v[214:215], v[212:213], v[206:207]
	v_fma_f64 v[204:205], -v[204:205], v[214:215], v[212:213]
	v_div_fmas_f64 v[204:205], v[204:205], v[206:207], v[214:215]
	v_div_fixup_f64 v[204:205], v[204:205], v[210:211], v[208:209]
	v_fmac_f64_e32 v[210:211], v[208:209], v[204:205]
	v_div_scale_f64 v[206:207], s[10:11], v[210:211], v[210:211], 1.0
	v_rcp_f64_e32 v[208:209], v[206:207]
	s_nop 0
	v_fma_f64 v[212:213], -v[206:207], v[208:209], 1.0
	v_fmac_f64_e32 v[208:209], v[208:209], v[212:213]
	v_fma_f64 v[212:213], -v[206:207], v[208:209], 1.0
	v_fmac_f64_e32 v[208:209], v[208:209], v[212:213]
	v_div_scale_f64 v[212:213], vcc, 1.0, v[210:211], 1.0
	v_mul_f64 v[214:215], v[212:213], v[208:209]
	v_fma_f64 v[206:207], -v[206:207], v[214:215], v[212:213]
	s_nop 1
	v_div_fmas_f64 v[206:207], v[206:207], v[208:209], v[214:215]
	v_div_fixup_f64 v[206:207], v[206:207], v[210:211], 1.0
	v_mul_f64 v[204:205], v[204:205], v[206:207]
	v_xor_b32_e32 v207, 0x80000000, v207
                                        ; implicit-def: $vgpr208_vgpr209
.LBB113_500:
	s_andn2_saveexec_b64 s[2:3], s[2:3]
	s_cbranch_execz .LBB113_502
; %bb.501:
	v_div_scale_f64 v[204:205], s[10:11], v[208:209], v[208:209], v[210:211]
	v_rcp_f64_e32 v[206:207], v[204:205]
	v_div_scale_f64 v[212:213], vcc, v[210:211], v[208:209], v[210:211]
	v_fma_f64 v[214:215], -v[204:205], v[206:207], 1.0
	v_fmac_f64_e32 v[206:207], v[206:207], v[214:215]
	v_fma_f64 v[214:215], -v[204:205], v[206:207], 1.0
	v_fmac_f64_e32 v[206:207], v[206:207], v[214:215]
	v_mul_f64 v[214:215], v[212:213], v[206:207]
	v_fma_f64 v[204:205], -v[204:205], v[214:215], v[212:213]
	v_div_fmas_f64 v[204:205], v[204:205], v[206:207], v[214:215]
	v_div_fixup_f64 v[206:207], v[204:205], v[208:209], v[210:211]
	v_fmac_f64_e32 v[208:209], v[210:211], v[206:207]
	v_div_scale_f64 v[204:205], s[10:11], v[208:209], v[208:209], 1.0
	v_rcp_f64_e32 v[210:211], v[204:205]
	s_nop 0
	v_fma_f64 v[212:213], -v[204:205], v[210:211], 1.0
	v_fmac_f64_e32 v[210:211], v[210:211], v[212:213]
	v_fma_f64 v[212:213], -v[204:205], v[210:211], 1.0
	v_fmac_f64_e32 v[210:211], v[210:211], v[212:213]
	v_div_scale_f64 v[212:213], vcc, 1.0, v[208:209], 1.0
	v_mul_f64 v[214:215], v[212:213], v[210:211]
	v_fma_f64 v[204:205], -v[204:205], v[214:215], v[212:213]
	s_nop 1
	v_div_fmas_f64 v[204:205], v[204:205], v[210:211], v[214:215]
	v_div_fixup_f64 v[204:205], v[204:205], v[208:209], 1.0
	v_mul_f64 v[206:207], v[206:207], -v[204:205]
.LBB113_502:
	s_or_b64 exec, exec, s[2:3]
	ds_write2_b64 v201, v[204:205], v[206:207] offset1:1
.LBB113_503:
	s_or_b64 exec, exec, s[4:5]
	s_waitcnt lgkmcnt(0)
	s_barrier
	ds_read2_b64 v[212:215], v201 offset1:1
	v_cmp_lt_u32_e32 vcc, 55, v200
	s_and_saveexec_b64 s[2:3], vcc
	s_cbranch_execz .LBB113_505
; %bb.504:
	ds_read2_b64 v[202:205], v202 offset0:112 offset1:113
	s_waitcnt lgkmcnt(1)
	v_mul_f64 v[206:207], v[212:213], v[2:3]
	v_mul_f64 v[2:3], v[214:215], v[2:3]
	v_fmac_f64_e32 v[206:207], v[214:215], v[0:1]
	v_fma_f64 v[0:1], v[212:213], v[0:1], -v[2:3]
	s_waitcnt lgkmcnt(0)
	v_mul_f64 v[2:3], v[204:205], v[206:207]
	v_fma_f64 v[2:3], v[202:203], v[0:1], -v[2:3]
	v_mul_f64 v[202:203], v[202:203], v[206:207]
	v_fmac_f64_e32 v[202:203], v[204:205], v[0:1]
	s_waitcnt vmcnt(62)
	v_add_f64 v[224:225], v[224:225], -v[2:3]
	v_add_f64 v[226:227], v[226:227], -v[202:203]
	v_mov_b64_e32 v[2:3], v[206:207]
.LBB113_505:
	s_or_b64 exec, exec, s[2:3]
	v_cmp_eq_u32_e32 vcc, 56, v200
	s_waitcnt lgkmcnt(0)
	s_barrier
	s_and_saveexec_b64 s[4:5], vcc
	s_cbranch_execz .LBB113_512
; %bb.506:
	s_waitcnt vmcnt(62)
	v_cmp_neq_f64_e32 vcc, 0, v[224:225]
	v_cmp_neq_f64_e64 s[2:3], 0, v[226:227]
	s_or_b64 s[2:3], vcc, s[2:3]
	ds_write2_b64 v201, v[224:225], v[226:227] offset1:1
	s_and_b64 exec, exec, s[2:3]
	s_cbranch_execz .LBB113_512
; %bb.507:
	v_cmp_ngt_f64_e64 s[2:3], |v[224:225]|, |v[226:227]|
                                        ; implicit-def: $vgpr204_vgpr205
	s_and_saveexec_b64 s[10:11], s[2:3]
	s_xor_b64 s[2:3], exec, s[10:11]
                                        ; implicit-def: $vgpr206_vgpr207
	s_cbranch_execz .LBB113_509
; %bb.508:
	v_div_scale_f64 v[202:203], s[10:11], v[226:227], v[226:227], v[224:225]
	v_rcp_f64_e32 v[204:205], v[202:203]
	v_div_scale_f64 v[206:207], vcc, v[224:225], v[226:227], v[224:225]
	v_mov_b64_e32 v[192:193], v[196:197]
	v_fma_f64 v[208:209], -v[202:203], v[204:205], 1.0
	v_fmac_f64_e32 v[204:205], v[204:205], v[208:209]
	v_fma_f64 v[208:209], -v[202:203], v[204:205], 1.0
	v_fmac_f64_e32 v[204:205], v[204:205], v[208:209]
	v_mul_f64 v[208:209], v[206:207], v[204:205]
	v_fma_f64 v[202:203], -v[202:203], v[208:209], v[206:207]
	v_div_fmas_f64 v[202:203], v[202:203], v[204:205], v[208:209]
	v_div_fixup_f64 v[202:203], v[202:203], v[226:227], v[224:225]
	v_fma_f64 v[204:205], v[224:225], v[202:203], v[226:227]
	v_div_scale_f64 v[206:207], s[10:11], v[204:205], v[204:205], 1.0
	v_rcp_f64_e32 v[208:209], v[206:207]
	v_mov_b64_e32 v[194:195], v[198:199]
	v_fma_f64 v[210:211], -v[206:207], v[208:209], 1.0
	v_fmac_f64_e32 v[208:209], v[208:209], v[210:211]
	v_fma_f64 v[210:211], -v[206:207], v[208:209], 1.0
	v_fmac_f64_e32 v[208:209], v[208:209], v[210:211]
	v_div_scale_f64 v[210:211], vcc, 1.0, v[204:205], 1.0
	v_mul_f64 v[196:197], v[210:211], v[208:209]
	v_fma_f64 v[198:199], -v[206:207], v[196:197], v[210:211]
	s_nop 1
	v_div_fmas_f64 v[196:197], v[198:199], v[208:209], v[196:197]
	v_div_fixup_f64 v[206:207], v[196:197], v[204:205], 1.0
	v_mov_b64_e32 v[198:199], v[194:195]
	v_mov_b64_e32 v[196:197], v[192:193]
	v_mul_f64 v[204:205], v[202:203], v[206:207]
	v_xor_b32_e32 v207, 0x80000000, v207
.LBB113_509:
	s_andn2_saveexec_b64 s[2:3], s[2:3]
	s_cbranch_execz .LBB113_511
; %bb.510:
	v_mov_b64_e32 v[192:193], v[196:197]
	v_mov_b64_e32 v[194:195], v[198:199]
	v_div_scale_f64 v[196:197], s[10:11], v[224:225], v[224:225], v[226:227]
	v_rcp_f64_e32 v[198:199], v[196:197]
	v_div_scale_f64 v[202:203], vcc, v[226:227], v[224:225], v[226:227]
	v_fma_f64 v[204:205], -v[196:197], v[198:199], 1.0
	v_fmac_f64_e32 v[198:199], v[198:199], v[204:205]
	v_fma_f64 v[204:205], -v[196:197], v[198:199], 1.0
	v_fmac_f64_e32 v[198:199], v[198:199], v[204:205]
	v_mul_f64 v[204:205], v[202:203], v[198:199]
	v_fma_f64 v[196:197], -v[196:197], v[204:205], v[202:203]
	v_div_fmas_f64 v[196:197], v[196:197], v[198:199], v[204:205]
	v_div_fixup_f64 v[196:197], v[196:197], v[224:225], v[226:227]
	v_fma_f64 v[198:199], v[226:227], v[196:197], v[224:225]
	v_div_scale_f64 v[202:203], s[10:11], v[198:199], v[198:199], 1.0
	v_rcp_f64_e32 v[204:205], v[202:203]
	s_nop 0
	v_fma_f64 v[206:207], -v[202:203], v[204:205], 1.0
	v_fmac_f64_e32 v[204:205], v[204:205], v[206:207]
	v_fma_f64 v[206:207], -v[202:203], v[204:205], 1.0
	v_fmac_f64_e32 v[204:205], v[204:205], v[206:207]
	v_div_scale_f64 v[206:207], vcc, 1.0, v[198:199], 1.0
	v_mul_f64 v[208:209], v[206:207], v[204:205]
	v_fma_f64 v[202:203], -v[202:203], v[208:209], v[206:207]
	s_nop 1
	v_div_fmas_f64 v[202:203], v[202:203], v[204:205], v[208:209]
	v_div_fixup_f64 v[204:205], v[202:203], v[198:199], 1.0
	v_mul_f64 v[206:207], v[196:197], -v[204:205]
	v_mov_b64_e32 v[198:199], v[194:195]
	v_mov_b64_e32 v[196:197], v[192:193]
.LBB113_511:
	s_or_b64 exec, exec, s[2:3]
	ds_write2_b64 v201, v[204:205], v[206:207] offset1:1
.LBB113_512:
	s_or_b64 exec, exec, s[4:5]
	s_waitcnt lgkmcnt(0)
	s_barrier
	ds_read2_b64 v[208:211], v201 offset1:1
	v_mov_b64_e32 v[192:193], v[196:197]
	v_mov_b64_e32 v[194:195], v[198:199]
	s_waitcnt lgkmcnt(0)
	s_barrier
	s_and_saveexec_b64 s[2:3], s[0:1]
	s_cbranch_execz .LBB113_515
; %bb.513:
	scratch_load_dwordx4 v[196:199], off, off offset:568 ; 16-byte Folded Reload
	scratch_load_dwordx4 v[202:205], off, off offset:584 ; 16-byte Folded Reload
	s_waitcnt vmcnt(1)
	v_cmp_eq_f64_e32 vcc, 0, v[196:197]
	v_cmp_eq_f64_e64 s[0:1], 0, v[198:199]
	s_and_b64 s[4:5], vcc, s[0:1]
	s_waitcnt vmcnt(0)
	v_cmp_neq_f64_e32 vcc, 0, v[202:203]
	v_cmp_neq_f64_e64 s[0:1], 0, v[204:205]
	scratch_load_dwordx4 v[202:205], off, off offset:600 ; 16-byte Folded Reload
	s_or_b64 s[0:1], vcc, s[0:1]
	v_cndmask_b32_e64 v196, 0, 1, s[4:5]
	s_or_b64 vcc, s[0:1], s[4:5]
	v_cndmask_b32_e32 v196, 2, v196, vcc
	v_mov_b32_e32 v197, s7
	s_waitcnt vmcnt(0)
	v_cmp_eq_f64_e32 vcc, 0, v[202:203]
	v_cmp_eq_f64_e64 s[0:1], 0, v[204:205]
	scratch_load_dwordx4 v[202:205], off, off offset:616 ; 16-byte Folded Reload
	s_and_b64 s[0:1], vcc, s[0:1]
	v_cmp_eq_u32_e32 vcc, 0, v196
	s_and_b64 s[0:1], s[0:1], vcc
	v_cndmask_b32_e64 v196, v196, 3, s[0:1]
	s_waitcnt vmcnt(0)
	v_cmp_eq_f64_e32 vcc, 0, v[202:203]
	v_cmp_eq_f64_e64 s[0:1], 0, v[204:205]
	scratch_load_dwordx4 v[202:205], off, off offset:632 ; 16-byte Folded Reload
	s_and_b64 s[0:1], vcc, s[0:1]
	v_cmp_eq_u32_e32 vcc, 0, v196
	s_and_b64 s[0:1], s[0:1], vcc
	v_cndmask_b32_e64 v196, v196, 4, s[0:1]
	;; [unrolled: 8-line block ×41, first 2 shown]
	v_mov_b32_e32 v196, s6
	s_waitcnt vmcnt(0)
	v_cmp_eq_f64_e32 vcc, 0, v[202:203]
	scratch_load_dwordx2 v[202:203], off, off offset:1304 ; 8-byte Folded Reload
	v_cmp_eq_f64_e64 s[0:1], 0, v[204:205]
	s_and_b64 s[0:1], vcc, s[0:1]
	v_cmp_eq_u32_e32 vcc, 0, v198
	s_and_b64 s[0:1], s[0:1], vcc
	s_waitcnt vmcnt(0)
	v_lshl_add_u64 v[204:205], v[202:203], 2, v[196:197]
	v_cndmask_b32_e64 v197, v198, 44, s[0:1]
	v_mov_b32_e32 v202, v200
	v_mov_b64_e32 v[200:201], v[82:83]
	v_mov_b64_e32 v[198:199], v[80:81]
	;; [unrolled: 1-line block ×58, first 2 shown]
	scratch_load_dwordx4 v[244:247], off, off offset:1272 ; 16-byte Folded Reload
	global_load_dword v196, v[204:205], off
	s_waitcnt vmcnt(1)
	v_cmp_eq_f64_e32 vcc, 0, v[244:245]
	v_cmp_eq_f64_e64 s[0:1], 0, v[246:247]
	scratch_load_dwordx4 v[244:247], off, off offset:1288 ; 16-byte Folded Reload
	s_and_b64 s[0:1], vcc, s[0:1]
	v_cmp_eq_u32_e32 vcc, 0, v197
	s_and_b64 s[0:1], s[0:1], vcc
	v_cndmask_b32_e64 v197, v197, 45, s[0:1]
	v_cmp_eq_f64_e32 vcc, 0, v[188:189]
	v_cmp_eq_f64_e64 s[0:1], 0, v[190:191]
	s_and_b64 s[0:1], vcc, s[0:1]
	v_cmp_eq_u32_e32 vcc, 0, v197
	s_and_b64 s[0:1], s[0:1], vcc
	v_cndmask_b32_e64 v197, v197, 46, s[0:1]
	v_cmp_eq_f64_e32 vcc, 0, v[248:249]
	v_cmp_eq_f64_e64 s[0:1], 0, v[250:251]
	;; [unrolled: 6-line block ×3, first 2 shown]
	s_and_b64 s[0:1], vcc, s[0:1]
	v_cmp_eq_u32_e32 vcc, 0, v197
	v_mov_b64_e32 v[190:191], v[186:187]
	s_and_b64 s[0:1], s[0:1], vcc
	v_mov_b64_e32 v[188:189], v[184:185]
	v_mov_b64_e32 v[186:187], v[182:183]
	v_cndmask_b32_e64 v197, v197, 48, s[0:1]
	v_mov_b64_e32 v[184:185], v[180:181]
	v_mov_b64_e32 v[182:183], v[178:179]
	;; [unrolled: 1-line block ×53, first 2 shown]
	v_mov_b32_e32 v200, v202
	s_waitcnt vmcnt(0)
	v_cmp_eq_f64_e32 vcc, 0, v[244:245]
	v_cmp_eq_f64_e64 s[0:1], 0, v[246:247]
	s_and_b64 s[0:1], vcc, s[0:1]
	v_cmp_eq_u32_e32 vcc, 0, v197
	s_and_b64 s[0:1], s[0:1], vcc
	v_cndmask_b32_e64 v197, v197, 49, s[0:1]
	v_cmp_eq_f64_e32 vcc, 0, v[228:229]
	v_cmp_eq_f64_e64 s[0:1], 0, v[230:231]
	s_and_b64 s[0:1], vcc, s[0:1]
	v_cmp_eq_u32_e32 vcc, 0, v197
	s_and_b64 s[0:1], s[0:1], vcc
	v_cndmask_b32_e64 v197, v197, 50, s[0:1]
	;; [unrolled: 6-line block ×9, first 2 shown]
	v_cmp_eq_u32_e32 vcc, 0, v196
	v_cmp_ne_u32_e64 s[0:1], 0, v201
	s_and_b64 s[0:1], vcc, s[0:1]
	s_and_b64 exec, exec, s[0:1]
	s_cbranch_execz .LBB113_515
; %bb.514:
	v_add_u32_e32 v196, s9, v201
	global_store_dword v[204:205], v196, off
.LBB113_515:
	s_or_b64 exec, exec, s[2:3]
	s_waitcnt vmcnt(62)
	v_mul_f64 v[196:197], v[210:211], v[226:227]
	v_mul_f64 v[198:199], v[208:209], v[226:227]
	v_cmp_lt_u32_e32 vcc, 56, v200
	v_fma_f64 v[196:197], v[208:209], v[224:225], -v[196:197]
	v_fmac_f64_e32 v[198:199], v[210:211], v[224:225]
	v_cndmask_b32_e32 v211, v227, v199, vcc
	v_cndmask_b32_e32 v210, v226, v198, vcc
	;; [unrolled: 1-line block ×4, first 2 shown]
	scratch_load_dwordx2 v[196:197], off, off offset:112 ; 8-byte Folded Reload
	scratch_load_dwordx4 v[198:201], off, off offset:96 ; 16-byte Folded Reload
	s_waitcnt vmcnt(0)
	global_store_dwordx4 v[196:197], v[198:201], off
	scratch_load_dwordx2 v[196:197], off, off offset:560 ; 8-byte Folded Reload
	s_nop 0
	scratch_load_dwordx4 v[198:201], off, off offset:80 ; 16-byte Folded Reload
	s_waitcnt vmcnt(0)
	global_store_dwordx4 v[196:197], v[198:201], off
	scratch_load_dwordx2 v[196:197], off, off offset:120 ; 8-byte Folded Reload
	s_nop 0
	;; [unrolled: 5-line block ×5, first 2 shown]
	scratch_load_dwordx4 v[198:201], off, off offset:16 ; 16-byte Folded Reload
	s_waitcnt vmcnt(0)
	global_store_dwordx4 v[196:197], v[198:201], off
	scratch_load_dwordx2 v[196:197], off, off offset:152 ; 8-byte Folded Reload
	s_waitcnt vmcnt(0)
	global_store_dwordx4 v[196:197], v[192:195], off
	scratch_load_dwordx2 v[196:197], off, off offset:160 ; 8-byte Folded Reload
	s_nop 0
	scratch_load_dwordx4 v[192:195], off, off ; 16-byte Folded Reload
	s_waitcnt vmcnt(0)
	global_store_dwordx4 v[196:197], v[192:195], off
	scratch_load_dwordx2 v[192:193], off, off offset:168 ; 8-byte Folded Reload
	s_waitcnt vmcnt(0)
	global_store_dwordx4 v[192:193], v[188:191], off
	scratch_load_dwordx2 v[188:189], off, off offset:176 ; 8-byte Folded Reload
	;; [unrolled: 3-line block ×49, first 2 shown]
	s_waitcnt vmcnt(0)
	global_store_dwordx4 v[0:1], v[208:211], off
.LBB113_516:
	s_endpgm
	.section	.rodata,"a",@progbits
	.p2align	6, 0x0
	.amdhsa_kernel _ZN9rocsolver6v33100L23getf2_npvt_small_kernelILi57E19rocblas_complex_numIdEiiPS3_EEvT1_T3_lS5_lPT2_S5_S5_
		.amdhsa_group_segment_fixed_size 0
		.amdhsa_private_segment_fixed_size 1316
		.amdhsa_kernarg_size 312
		.amdhsa_user_sgpr_count 2
		.amdhsa_user_sgpr_dispatch_ptr 0
		.amdhsa_user_sgpr_queue_ptr 0
		.amdhsa_user_sgpr_kernarg_segment_ptr 1
		.amdhsa_user_sgpr_dispatch_id 0
		.amdhsa_user_sgpr_kernarg_preload_length 0
		.amdhsa_user_sgpr_kernarg_preload_offset 0
		.amdhsa_user_sgpr_private_segment_size 0
		.amdhsa_uses_dynamic_stack 0
		.amdhsa_enable_private_segment 1
		.amdhsa_system_sgpr_workgroup_id_x 1
		.amdhsa_system_sgpr_workgroup_id_y 1
		.amdhsa_system_sgpr_workgroup_id_z 0
		.amdhsa_system_sgpr_workgroup_info 0
		.amdhsa_system_vgpr_workitem_id 1
		.amdhsa_next_free_vgpr 256
		.amdhsa_next_free_sgpr 18
		.amdhsa_accum_offset 256
		.amdhsa_reserve_vcc 1
		.amdhsa_float_round_mode_32 0
		.amdhsa_float_round_mode_16_64 0
		.amdhsa_float_denorm_mode_32 3
		.amdhsa_float_denorm_mode_16_64 3
		.amdhsa_dx10_clamp 1
		.amdhsa_ieee_mode 1
		.amdhsa_fp16_overflow 0
		.amdhsa_tg_split 0
		.amdhsa_exception_fp_ieee_invalid_op 0
		.amdhsa_exception_fp_denorm_src 0
		.amdhsa_exception_fp_ieee_div_zero 0
		.amdhsa_exception_fp_ieee_overflow 0
		.amdhsa_exception_fp_ieee_underflow 0
		.amdhsa_exception_fp_ieee_inexact 0
		.amdhsa_exception_int_div_zero 0
	.end_amdhsa_kernel
	.section	.text._ZN9rocsolver6v33100L23getf2_npvt_small_kernelILi57E19rocblas_complex_numIdEiiPS3_EEvT1_T3_lS5_lPT2_S5_S5_,"axG",@progbits,_ZN9rocsolver6v33100L23getf2_npvt_small_kernelILi57E19rocblas_complex_numIdEiiPS3_EEvT1_T3_lS5_lPT2_S5_S5_,comdat
.Lfunc_end113:
	.size	_ZN9rocsolver6v33100L23getf2_npvt_small_kernelILi57E19rocblas_complex_numIdEiiPS3_EEvT1_T3_lS5_lPT2_S5_S5_, .Lfunc_end113-_ZN9rocsolver6v33100L23getf2_npvt_small_kernelILi57E19rocblas_complex_numIdEiiPS3_EEvT1_T3_lS5_lPT2_S5_S5_
                                        ; -- End function
	.set _ZN9rocsolver6v33100L23getf2_npvt_small_kernelILi57E19rocblas_complex_numIdEiiPS3_EEvT1_T3_lS5_lPT2_S5_S5_.num_vgpr, 256
	.set _ZN9rocsolver6v33100L23getf2_npvt_small_kernelILi57E19rocblas_complex_numIdEiiPS3_EEvT1_T3_lS5_lPT2_S5_S5_.num_agpr, 0
	.set _ZN9rocsolver6v33100L23getf2_npvt_small_kernelILi57E19rocblas_complex_numIdEiiPS3_EEvT1_T3_lS5_lPT2_S5_S5_.numbered_sgpr, 18
	.set _ZN9rocsolver6v33100L23getf2_npvt_small_kernelILi57E19rocblas_complex_numIdEiiPS3_EEvT1_T3_lS5_lPT2_S5_S5_.num_named_barrier, 0
	.set _ZN9rocsolver6v33100L23getf2_npvt_small_kernelILi57E19rocblas_complex_numIdEiiPS3_EEvT1_T3_lS5_lPT2_S5_S5_.private_seg_size, 1316
	.set _ZN9rocsolver6v33100L23getf2_npvt_small_kernelILi57E19rocblas_complex_numIdEiiPS3_EEvT1_T3_lS5_lPT2_S5_S5_.uses_vcc, 1
	.set _ZN9rocsolver6v33100L23getf2_npvt_small_kernelILi57E19rocblas_complex_numIdEiiPS3_EEvT1_T3_lS5_lPT2_S5_S5_.uses_flat_scratch, 0
	.set _ZN9rocsolver6v33100L23getf2_npvt_small_kernelILi57E19rocblas_complex_numIdEiiPS3_EEvT1_T3_lS5_lPT2_S5_S5_.has_dyn_sized_stack, 0
	.set _ZN9rocsolver6v33100L23getf2_npvt_small_kernelILi57E19rocblas_complex_numIdEiiPS3_EEvT1_T3_lS5_lPT2_S5_S5_.has_recursion, 0
	.set _ZN9rocsolver6v33100L23getf2_npvt_small_kernelILi57E19rocblas_complex_numIdEiiPS3_EEvT1_T3_lS5_lPT2_S5_S5_.has_indirect_call, 0
	.section	.AMDGPU.csdata,"",@progbits
; Kernel info:
; codeLenInByte = 142088
; TotalNumSgprs: 24
; NumVgprs: 256
; NumAgprs: 0
; TotalNumVgprs: 256
; ScratchSize: 1316
; MemoryBound: 1
; FloatMode: 240
; IeeeMode: 1
; LDSByteSize: 0 bytes/workgroup (compile time only)
; SGPRBlocks: 2
; VGPRBlocks: 31
; NumSGPRsForWavesPerEU: 24
; NumVGPRsForWavesPerEU: 256
; AccumOffset: 256
; Occupancy: 2
; WaveLimiterHint : 0
; COMPUTE_PGM_RSRC2:SCRATCH_EN: 1
; COMPUTE_PGM_RSRC2:USER_SGPR: 2
; COMPUTE_PGM_RSRC2:TRAP_HANDLER: 0
; COMPUTE_PGM_RSRC2:TGID_X_EN: 1
; COMPUTE_PGM_RSRC2:TGID_Y_EN: 1
; COMPUTE_PGM_RSRC2:TGID_Z_EN: 0
; COMPUTE_PGM_RSRC2:TIDIG_COMP_CNT: 1
; COMPUTE_PGM_RSRC3_GFX90A:ACCUM_OFFSET: 63
; COMPUTE_PGM_RSRC3_GFX90A:TG_SPLIT: 0
	.section	.text._ZN9rocsolver6v33100L18getf2_small_kernelILi58E19rocblas_complex_numIdEiiPS3_EEvT1_T3_lS5_lPS5_llPT2_S5_S5_S7_l,"axG",@progbits,_ZN9rocsolver6v33100L18getf2_small_kernelILi58E19rocblas_complex_numIdEiiPS3_EEvT1_T3_lS5_lPS5_llPT2_S5_S5_S7_l,comdat
	.globl	_ZN9rocsolver6v33100L18getf2_small_kernelILi58E19rocblas_complex_numIdEiiPS3_EEvT1_T3_lS5_lPS5_llPT2_S5_S5_S7_l ; -- Begin function _ZN9rocsolver6v33100L18getf2_small_kernelILi58E19rocblas_complex_numIdEiiPS3_EEvT1_T3_lS5_lPS5_llPT2_S5_S5_S7_l
	.p2align	8
	.type	_ZN9rocsolver6v33100L18getf2_small_kernelILi58E19rocblas_complex_numIdEiiPS3_EEvT1_T3_lS5_lPS5_llPT2_S5_S5_S7_l,@function
_ZN9rocsolver6v33100L18getf2_small_kernelILi58E19rocblas_complex_numIdEiiPS3_EEvT1_T3_lS5_lPS5_llPT2_S5_S5_S7_l: ; @_ZN9rocsolver6v33100L18getf2_small_kernelILi58E19rocblas_complex_numIdEiiPS3_EEvT1_T3_lS5_lPS5_llPT2_S5_S5_S7_l
; %bb.0:
	s_load_dword s2, s[0:1], 0x6c
	s_load_dwordx2 s[12:13], s[0:1], 0x48
	v_bfe_u32 v232, v0, 10, 10
	s_waitcnt lgkmcnt(0)
	s_lshr_b32 s2, s2, 16
	s_mul_i32 s3, s3, s2
	v_add_u32_e32 v8, s3, v232
	v_cmp_gt_i32_e32 vcc, s12, v8
	s_and_saveexec_b64 s[2:3], vcc
	s_cbranch_execnz .LBB114_1
; %bb.1220:
	s_getpc_b64 s[24:25]
.Lpost_getpc11:
	s_add_u32 s24, s24, (.LBB114_1219-.Lpost_getpc11)&4294967295
	s_addc_u32 s25, s25, (.LBB114_1219-.Lpost_getpc11)>>32
	s_setpc_b64 s[24:25]
.LBB114_1:
	s_load_dwordx4 s[4:7], s[0:1], 0x50
	v_ashrrev_i32_e32 v9, 31, v8
	v_mov_b64_e32 v[2:3], 0
	s_waitcnt lgkmcnt(0)
	s_cmp_eq_u64 s[4:5], 0
	s_cselect_b64 s[14:15], -1, 0
	s_and_b64 vcc, exec, s[14:15]
	s_cbranch_vccnz .LBB114_3
; %bb.2:
	v_mul_lo_u32 v1, s7, v8
	v_mul_lo_u32 v4, s6, v9
	v_mad_u64_u32 v[2:3], s[2:3], s6, v8, 0
	v_add3_u32 v3, v3, v4, v1
	v_lshl_add_u64 v[2:3], v[2:3], 2, s[4:5]
.LBB114_3:
	scratch_store_dwordx2 off, v[2:3], off offset:72 ; 8-byte Folded Spill
	s_load_dwordx4 s[16:19], s[0:1], 0x8
	s_load_dwordx8 s[4:11], s[0:1], 0x20
	s_load_dword s2, s[0:1], 0x18
	s_load_dword s20, s[0:1], 0x0
	v_mov_b32_e32 v243, 0
	s_waitcnt lgkmcnt(0)
	v_mov_b32_e32 v2, s16
	v_mul_lo_u32 v1, s5, v8
	v_mul_lo_u32 v6, s4, v9
	v_mad_u64_u32 v[4:5], s[4:5], s4, v8, 0
	v_mov_b32_e32 v3, s17
	v_add3_u32 v5, v5, v6, v1
	v_lshl_add_u64 v[2:3], v[4:5], 4, v[2:3]
	v_lshl_add_u64 v[76:77], s[18:19], 4, v[2:3]
	v_and_b32_e32 v2, 0x3ff, v0
	v_lshlrev_b32_e32 v242, 4, v2
	scratch_store_dwordx2 off, v[8:9], off offset:48 ; 8-byte Folded Spill
	v_lshl_add_u64 v[0:1], v[76:77], 0, v[242:243]
	s_ashr_i32 s3, s2, 31
	v_lshl_add_u64 v[10:11], s[2:3], 4, v[0:1]
	global_load_dwordx4 v[208:211], v[0:1], off
	global_load_dwordx4 v[14:17], v[10:11], off
	s_add_i32 s12, s2, s2
	v_mov_b32_e32 v236, v2
	v_add_u32_e32 v2, s12, v2
	v_add_u32_e32 v4, s2, v2
	v_add_u32_e32 v6, s2, v4
	v_add_u32_e32 v8, s2, v6
	v_ashrrev_i32_e32 v9, 31, v8
	v_add_u32_e32 v12, s2, v8
                                        ; kill: killed $vgpr0_vgpr1
	v_lshl_add_u64 v[0:1], v[8:9], 4, v[76:77]
	v_ashrrev_i32_e32 v13, 31, v12
	v_add_u32_e32 v8, s2, v12
                                        ; kill: killed $vgpr10_vgpr11
	v_lshl_add_u64 v[10:11], v[12:13], 4, v[76:77]
	v_add_u32_e32 v12, s2, v8
	v_ashrrev_i32_e32 v3, 31, v2
	v_ashrrev_i32_e32 v5, 31, v4
	v_lshl_add_u64 v[2:3], v[2:3], 4, v[76:77]
	v_lshl_add_u64 v[4:5], v[4:5], 4, v[76:77]
	v_ashrrev_i32_e32 v7, 31, v6
	v_ashrrev_i32_e32 v9, 31, v8
	;; [unrolled: 1-line block ×3, first 2 shown]
	v_lshl_add_u64 v[6:7], v[6:7], 4, v[76:77]
	v_lshl_add_u64 v[8:9], v[8:9], 4, v[76:77]
	scratch_store_dwordx2 off, v[76:77], off offset:64 ; 8-byte Folded Spill
	s_load_dwordx2 s[4:5], s[0:1], 0x40
	s_max_i32 s0, s20, 58
	s_cmp_lt_i32 s20, 2
	s_waitcnt vmcnt(1)
	scratch_store_dwordx4 off, v[14:17], off offset:32 ; 16-byte Folded Spill
	s_nop 1
	v_add_u32_e32 v14, s2, v12
	v_add_u32_e32 v16, s2, v14
	;; [unrolled: 1-line block ×14, first 2 shown]
	v_ashrrev_i32_e32 v41, 31, v40
	v_lshl_add_u64 v[42:43], v[40:41], 4, v[76:77]
	v_add_u32_e32 v40, s2, v40
	v_ashrrev_i32_e32 v41, 31, v40
	v_lshl_add_u64 v[44:45], v[40:41], 4, v[76:77]
	v_add_u32_e32 v40, s2, v40
	;; [unrolled: 3-line block ×35, first 2 shown]
	v_ashrrev_i32_e32 v15, 31, v14
	v_ashrrev_i32_e32 v17, 31, v16
	;; [unrolled: 1-line block ×14, first 2 shown]
	v_lshl_add_u64 v[12:13], v[12:13], 4, v[76:77]
	v_lshl_add_u64 v[14:15], v[14:15], 4, v[76:77]
	;; [unrolled: 1-line block ×15, first 2 shown]
	global_load_dwordx4 v[76:79], v[2:3], off
	s_nop 0
	global_load_dwordx4 v[2:5], v[4:5], off
	s_waitcnt vmcnt(1)
	scratch_store_dwordx4 off, v[76:79], off offset:16 ; 16-byte Folded Spill
	s_waitcnt vmcnt(1)
	scratch_store_dwordx4 off, v[2:5], off  ; 16-byte Folded Spill
	global_load_dwordx4 v[212:215], v[6:7], off
	global_load_dwordx4 v[216:219], v[0:1], off
	;; [unrolled: 1-line block ×4, first 2 shown]
	s_nop 0
	global_load_dwordx4 v[4:7], v[12:13], off
	global_load_dwordx4 v[196:199], v[14:15], off
	;; [unrolled: 1-line block ×30, first 2 shown]
	s_nop 0
	global_load_dwordx4 v[72:75], v[74:75], off
	s_nop 0
	global_load_dwordx4 v[68:71], v[228:229], off
	global_load_dwordx4 v[64:67], v[230:231], off
	;; [unrolled: 1-line block ×16, first 2 shown]
	s_nop 0
	global_load_dwordx4 v[224:227], v[226:227], off
	s_nop 0
	global_load_dwordx4 v[0:3], v[220:221], off
	global_load_dwordx4 v[228:231], v[222:223], off
	v_mul_lo_u32 v152, s0, v232
	v_lshl_add_u32 v244, v152, 4, 0
	v_add_u32_e32 v153, v244, v242
	ds_write2_b64 v153, v[208:209], v[210:211] offset1:1
	s_waitcnt lgkmcnt(0)
	s_barrier
	ds_read2_b64 v[232:235], v244 offset1:1
	v_mov_b64_e32 v[240:241], v[210:211]
	v_mov_b64_e32 v[238:239], v[208:209]
	v_lshlrev_b32_e32 v248, 4, v152
	s_cbranch_scc1 .LBB114_6
; %bb.4:
	v_add3_u32 v242, v248, 0, 16
	s_mov_b32 s0, 1
	v_mov_b32_e32 v243, 0
.LBB114_5:                              ; =>This Inner Loop Header: Depth=1
	ds_read2_b64 v[250:253], v242 offset1:1
	s_waitcnt lgkmcnt(1)
	v_cmp_gt_f64_e32 vcc, 0, v[232:233]
	v_xor_b32_e32 v152, 0x80000000, v233
	v_xor_b32_e32 v154, 0x80000000, v235
	v_cndmask_b32_e32 v153, v233, v152, vcc
	v_cmp_gt_f64_e32 vcc, 0, v[234:235]
	v_mov_b32_e32 v152, v232
	s_waitcnt lgkmcnt(0)
	v_xor_b32_e32 v156, 0x80000000, v253
	v_cndmask_b32_e32 v155, v235, v154, vcc
	v_mov_b32_e32 v154, v234
	v_add_f64 v[152:153], v[152:153], v[154:155]
	v_cmp_gt_f64_e32 vcc, 0, v[250:251]
	v_xor_b32_e32 v154, 0x80000000, v251
	v_add_u32_e32 v242, 16, v242
	v_cndmask_b32_e32 v155, v251, v154, vcc
	v_cmp_gt_f64_e32 vcc, 0, v[252:253]
	v_mov_b32_e32 v154, v250
	s_nop 0
	v_cndmask_b32_e32 v157, v253, v156, vcc
	v_mov_b32_e32 v156, v252
	v_add_f64 v[154:155], v[154:155], v[156:157]
	v_cmp_lt_f64_e32 vcc, v[152:153], v[154:155]
	v_mov_b32_e32 v152, s0
	s_add_i32 s0, s0, 1
	v_cndmask_b32_e32 v233, v233, v251, vcc
	v_cndmask_b32_e32 v232, v232, v250, vcc
	;; [unrolled: 1-line block ×5, first 2 shown]
	s_cmp_eq_u32 s20, s0
	s_cbranch_scc0 .LBB114_5
.LBB114_6:
	scratch_load_dwordx2 v[222:223], off, off offset:48 ; 8-byte Folded Reload
	s_waitcnt vmcnt(52)
	v_mov_b64_e32 v[210:211], v[206:207]
	v_mov_b64_e32 v[208:209], v[204:205]
	s_waitcnt vmcnt(51)
	v_mov_b64_e32 v[206:207], v[202:203]
	v_mov_b64_e32 v[204:205], v[200:201]
	s_waitcnt lgkmcnt(0)
	v_cmp_neq_f64_e32 vcc, 0, v[232:233]
	v_cmp_neq_f64_e64 s[0:1], 0, v[234:235]
	v_mov_b32_e32 v246, 1
	v_mov_b32_e32 v249, 1
	scratch_store_dwordx4 off, v[238:241], off offset:48 ; 16-byte Folded Spill
	s_or_b64 s[16:17], vcc, s[0:1]
	s_mov_b64 s[0:1], exec
	s_waitcnt vmcnt(51)
	v_mov_b64_e32 v[202:203], v[6:7]
	v_mov_b64_e32 v[200:201], v[4:5]
	scratch_load_dwordx2 v[4:5], off, off offset:72 ; 8-byte Folded Reload
	v_mov_b64_e32 v[240:241], v[214:215]
	s_and_b64 s[16:17], s[0:1], s[16:17]
	v_mov_b64_e32 v[238:239], v[212:213]
	s_mov_b64 exec, s[16:17]
	s_cbranch_execz .LBB114_12
; %bb.7:
	v_cmp_ngt_f64_e64 s[16:17], |v[232:233]|, |v[234:235]|
	s_and_saveexec_b64 s[18:19], s[16:17]
	s_xor_b64 s[16:17], exec, s[18:19]
	s_cbranch_execz .LBB114_9
; %bb.8:
	v_div_scale_f64 v[152:153], s[18:19], v[234:235], v[234:235], v[232:233]
	v_rcp_f64_e32 v[154:155], v[152:153]
	v_div_scale_f64 v[156:157], vcc, v[232:233], v[234:235], v[232:233]
	v_fma_f64 v[158:159], -v[152:153], v[154:155], 1.0
	v_fmac_f64_e32 v[154:155], v[154:155], v[158:159]
	v_fma_f64 v[158:159], -v[152:153], v[154:155], 1.0
	v_fmac_f64_e32 v[154:155], v[154:155], v[158:159]
	v_mul_f64 v[158:159], v[156:157], v[154:155]
	v_fma_f64 v[152:153], -v[152:153], v[158:159], v[156:157]
	v_div_fmas_f64 v[152:153], v[152:153], v[154:155], v[158:159]
	v_div_fixup_f64 v[152:153], v[152:153], v[234:235], v[232:233]
	v_fmac_f64_e32 v[234:235], v[232:233], v[152:153]
	v_div_scale_f64 v[154:155], s[18:19], v[234:235], v[234:235], 1.0
	v_rcp_f64_e32 v[156:157], v[154:155]
	s_nop 0
	v_fma_f64 v[158:159], -v[154:155], v[156:157], 1.0
	v_fmac_f64_e32 v[156:157], v[156:157], v[158:159]
	v_fma_f64 v[158:159], -v[154:155], v[156:157], 1.0
	v_fmac_f64_e32 v[156:157], v[156:157], v[158:159]
	v_div_scale_f64 v[158:159], vcc, 1.0, v[234:235], 1.0
	v_mul_f64 v[220:221], v[158:159], v[156:157]
	v_fma_f64 v[154:155], -v[154:155], v[220:221], v[158:159]
	s_nop 1
	v_div_fmas_f64 v[154:155], v[154:155], v[156:157], v[220:221]
	v_div_fixup_f64 v[234:235], v[154:155], v[234:235], 1.0
	v_mul_f64 v[232:233], v[152:153], v[234:235]
	v_xor_b32_e32 v235, 0x80000000, v235
.LBB114_9:
	s_andn2_saveexec_b64 s[16:17], s[16:17]
	s_cbranch_execz .LBB114_11
; %bb.10:
	v_div_scale_f64 v[152:153], s[18:19], v[232:233], v[232:233], v[234:235]
	v_rcp_f64_e32 v[154:155], v[152:153]
	v_div_scale_f64 v[156:157], vcc, v[234:235], v[232:233], v[234:235]
	v_fma_f64 v[158:159], -v[152:153], v[154:155], 1.0
	v_fmac_f64_e32 v[154:155], v[154:155], v[158:159]
	v_fma_f64 v[158:159], -v[152:153], v[154:155], 1.0
	v_fmac_f64_e32 v[154:155], v[154:155], v[158:159]
	v_mul_f64 v[158:159], v[156:157], v[154:155]
	v_fma_f64 v[152:153], -v[152:153], v[158:159], v[156:157]
	v_div_fmas_f64 v[152:153], v[152:153], v[154:155], v[158:159]
	v_div_fixup_f64 v[152:153], v[152:153], v[232:233], v[234:235]
	v_fmac_f64_e32 v[232:233], v[234:235], v[152:153]
	v_div_scale_f64 v[154:155], s[18:19], v[232:233], v[232:233], 1.0
	v_rcp_f64_e32 v[156:157], v[154:155]
	s_nop 0
	v_fma_f64 v[158:159], -v[154:155], v[156:157], 1.0
	v_fmac_f64_e32 v[156:157], v[156:157], v[158:159]
	v_fma_f64 v[158:159], -v[154:155], v[156:157], 1.0
	v_fmac_f64_e32 v[156:157], v[156:157], v[158:159]
	v_div_scale_f64 v[158:159], vcc, 1.0, v[232:233], 1.0
	v_mul_f64 v[220:221], v[158:159], v[156:157]
	v_fma_f64 v[154:155], -v[154:155], v[220:221], v[158:159]
	s_nop 1
	v_div_fmas_f64 v[154:155], v[154:155], v[156:157], v[220:221]
	v_div_fixup_f64 v[232:233], v[154:155], v[232:233], 1.0
	v_mul_f64 v[234:235], v[152:153], -v[232:233]
.LBB114_11:
	s_or_b64 exec, exec, s[16:17]
	v_mov_b32_e32 v249, 0
	v_mov_b32_e32 v246, 2
.LBB114_12:
	s_or_b64 exec, exec, s[0:1]
	v_cmp_ne_u32_e32 vcc, v236, v243
	s_and_saveexec_b64 s[0:1], vcc
	s_xor_b64 s[0:1], exec, s[0:1]
	s_cbranch_execz .LBB114_18
; %bb.13:
	v_cmp_eq_u32_e32 vcc, 0, v236
	s_and_saveexec_b64 s[16:17], vcc
	s_cbranch_execz .LBB114_17
; %bb.14:
	v_cmp_ne_u32_e32 vcc, 0, v243
	s_xor_b64 s[18:19], s[14:15], -1
	s_and_b64 s[22:23], s[18:19], vcc
	s_and_saveexec_b64 s[18:19], s[22:23]
	s_cbranch_execz .LBB114_16
; %bb.15:
	v_ashrrev_i32_e32 v153, 31, v243
	v_mov_b32_e32 v152, v243
	s_waitcnt vmcnt(0)
	v_lshl_add_u64 v[152:153], v[152:153], 2, v[4:5]
	global_load_dword v154, v[152:153], off
	global_load_dword v155, v[4:5], off
	s_waitcnt vmcnt(1)
	global_store_dword v[4:5], v154, off
	s_waitcnt vmcnt(1)
	global_store_dword v[152:153], v155, off
.LBB114_16:
	s_or_b64 exec, exec, s[18:19]
	v_mov_b32_e32 v236, v243
.LBB114_17:
	s_or_b64 exec, exec, s[16:17]
.LBB114_18:
	s_or_saveexec_b64 s[0:1], s[0:1]
	v_mov_b32_e32 v245, v236
	s_xor_b64 exec, exec, s[0:1]
	s_cbranch_execz .LBB114_20
; %bb.19:
	scratch_load_dwordx4 v[152:155], off, off offset:32 ; 16-byte Folded Reload
	v_mov_b32_e32 v245, 0
	s_waitcnt vmcnt(0)
	ds_write2_b64 v244, v[152:153], v[154:155] offset0:2 offset1:3
	scratch_load_dwordx4 v[152:155], off, off offset:16 ; 16-byte Folded Reload
	s_waitcnt vmcnt(0)
	ds_write2_b64 v244, v[152:153], v[154:155] offset0:4 offset1:5
	scratch_load_dwordx4 v[152:155], off, off ; 16-byte Folded Reload
	s_waitcnt vmcnt(0)
	ds_write2_b64 v244, v[152:153], v[154:155] offset0:6 offset1:7
	ds_write2_b64 v244, v[238:239], v[240:241] offset0:8 offset1:9
	;; [unrolled: 1-line block ×55, first 2 shown]
.LBB114_20:
	s_or_b64 exec, exec, s[0:1]
	v_cmp_lt_i32_e32 vcc, 0, v245
	s_waitcnt lgkmcnt(0)
	s_barrier
	s_and_saveexec_b64 s[0:1], vcc
	s_cbranch_execz .LBB114_22
; %bb.21:
	scratch_load_dwordx4 v[212:215], off, off offset:48 ; 16-byte Folded Reload
	scratch_load_dwordx4 v[156:159], off, off offset:32 ; 16-byte Folded Reload
	ds_read2_b64 v[250:253], v244 offset0:2 offset1:3
	s_waitcnt vmcnt(1)
	v_mul_f64 v[152:153], v[234:235], v[214:215]
	v_mul_f64 v[214:215], v[232:233], v[214:215]
	v_fmac_f64_e32 v[214:215], v[234:235], v[212:213]
	v_fma_f64 v[242:243], v[232:233], v[212:213], -v[152:153]
	ds_read2_b64 v[232:235], v244 offset0:4 offset1:5
	s_waitcnt lgkmcnt(1)
	v_mul_f64 v[152:153], v[252:253], v[214:215]
	v_mul_f64 v[154:155], v[250:251], v[214:215]
	v_fma_f64 v[152:153], v[250:251], v[242:243], -v[152:153]
	v_fmac_f64_e32 v[154:155], v[252:253], v[242:243]
	s_waitcnt vmcnt(0)
	v_add_f64 v[156:157], v[156:157], -v[152:153]
	v_add_f64 v[158:159], v[158:159], -v[154:155]
	scratch_store_dwordx4 off, v[156:159], off offset:32 ; 16-byte Folded Spill
	scratch_load_dwordx4 v[156:159], off, off offset:16 ; 16-byte Folded Reload
	s_waitcnt lgkmcnt(0)
	v_mul_f64 v[152:153], v[234:235], v[214:215]
	v_mul_f64 v[154:155], v[232:233], v[214:215]
	v_fma_f64 v[152:153], v[232:233], v[242:243], -v[152:153]
	v_fmac_f64_e32 v[154:155], v[234:235], v[242:243]
	ds_read2_b64 v[250:253], v244 offset0:6 offset1:7
	ds_read2_b64 v[232:235], v244 offset0:8 offset1:9
	v_mov_b64_e32 v[212:213], v[242:243]
	scratch_store_dwordx4 off, v[212:215], off offset:48 ; 16-byte Folded Spill
	s_waitcnt vmcnt(1)
	v_add_f64 v[156:157], v[156:157], -v[152:153]
	v_add_f64 v[158:159], v[158:159], -v[154:155]
	scratch_store_dwordx4 off, v[156:159], off offset:16 ; 16-byte Folded Spill
	scratch_load_dwordx4 v[156:159], off, off ; 16-byte Folded Reload
	s_waitcnt lgkmcnt(1)
	v_mul_f64 v[152:153], v[252:253], v[214:215]
	v_mul_f64 v[154:155], v[250:251], v[214:215]
	v_fma_f64 v[152:153], v[250:251], v[242:243], -v[152:153]
	v_fmac_f64_e32 v[154:155], v[252:253], v[242:243]
	ds_read2_b64 v[250:253], v244 offset0:10 offset1:11
	s_waitcnt vmcnt(0)
	v_add_f64 v[156:157], v[156:157], -v[152:153]
	v_add_f64 v[158:159], v[158:159], -v[154:155]
	s_waitcnt lgkmcnt(1)
	v_mul_f64 v[152:153], v[234:235], v[214:215]
	v_mul_f64 v[154:155], v[232:233], v[214:215]
	v_fma_f64 v[152:153], v[232:233], v[242:243], -v[152:153]
	v_fmac_f64_e32 v[154:155], v[234:235], v[242:243]
	ds_read2_b64 v[232:235], v244 offset0:12 offset1:13
	v_add_f64 v[238:239], v[238:239], -v[152:153]
	v_add_f64 v[240:241], v[240:241], -v[154:155]
	s_waitcnt lgkmcnt(1)
	v_mul_f64 v[152:153], v[252:253], v[214:215]
	v_mul_f64 v[154:155], v[250:251], v[214:215]
	v_fma_f64 v[152:153], v[250:251], v[242:243], -v[152:153]
	v_fmac_f64_e32 v[154:155], v[252:253], v[242:243]
	ds_read2_b64 v[250:253], v244 offset0:14 offset1:15
	;; [unrolled: 8-line block ×52, first 2 shown]
	v_add_f64 v[224:225], v[224:225], -v[152:153]
	v_add_f64 v[226:227], v[226:227], -v[154:155]
	s_waitcnt lgkmcnt(1)
	v_mul_f64 v[152:153], v[234:235], v[214:215]
	v_mul_f64 v[154:155], v[232:233], v[214:215]
	v_fma_f64 v[152:153], v[232:233], v[242:243], -v[152:153]
	v_fmac_f64_e32 v[154:155], v[234:235], v[242:243]
	v_add_f64 v[0:1], v[0:1], -v[152:153]
	v_add_f64 v[2:3], v[2:3], -v[154:155]
	s_waitcnt lgkmcnt(0)
	v_mul_f64 v[152:153], v[252:253], v[214:215]
	v_mul_f64 v[154:155], v[250:251], v[214:215]
	v_fma_f64 v[152:153], v[250:251], v[242:243], -v[152:153]
	v_fmac_f64_e32 v[154:155], v[252:253], v[242:243]
	v_add_f64 v[228:229], v[228:229], -v[152:153]
	v_add_f64 v[230:231], v[230:231], -v[154:155]
	scratch_store_dwordx4 off, v[156:159], off ; 16-byte Folded Spill
.LBB114_22:
	s_or_b64 exec, exec, s[0:1]
	s_barrier
	scratch_load_dwordx4 v[154:157], off, off offset:32 ; 16-byte Folded Reload
	v_lshl_add_u32 v152, v245, 4, v244
	s_cmp_lt_i32 s20, 3
	v_mov_b32_e32 v242, 1
	s_waitcnt vmcnt(0)
	ds_write2_b64 v152, v[154:155], v[156:157] offset1:1
	s_waitcnt lgkmcnt(0)
	s_barrier
	ds_read2_b64 v[232:235], v244 offset0:2 offset1:3
	s_cbranch_scc1 .LBB114_25
; %bb.23:
	v_add3_u32 v243, v248, 0, 32
	s_mov_b32 s0, 2
	v_mov_b32_e32 v242, 1
.LBB114_24:                             ; =>This Inner Loop Header: Depth=1
	ds_read2_b64 v[250:253], v243 offset1:1
	s_waitcnt lgkmcnt(1)
	v_cmp_gt_f64_e32 vcc, 0, v[232:233]
	v_xor_b32_e32 v152, 0x80000000, v233
	v_xor_b32_e32 v154, 0x80000000, v235
	v_cndmask_b32_e32 v153, v233, v152, vcc
	v_cmp_gt_f64_e32 vcc, 0, v[234:235]
	v_mov_b32_e32 v152, v232
	s_waitcnt lgkmcnt(0)
	v_xor_b32_e32 v156, 0x80000000, v253
	v_cndmask_b32_e32 v155, v235, v154, vcc
	v_mov_b32_e32 v154, v234
	v_add_f64 v[152:153], v[152:153], v[154:155]
	v_cmp_gt_f64_e32 vcc, 0, v[250:251]
	v_xor_b32_e32 v154, 0x80000000, v251
	v_add_u32_e32 v243, 16, v243
	v_cndmask_b32_e32 v155, v251, v154, vcc
	v_cmp_gt_f64_e32 vcc, 0, v[252:253]
	v_mov_b32_e32 v154, v250
	s_nop 0
	v_cndmask_b32_e32 v157, v253, v156, vcc
	v_mov_b32_e32 v156, v252
	v_add_f64 v[154:155], v[154:155], v[156:157]
	v_cmp_lt_f64_e32 vcc, v[152:153], v[154:155]
	v_mov_b32_e32 v152, s0
	s_add_i32 s0, s0, 1
	v_cndmask_b32_e32 v233, v233, v251, vcc
	v_cndmask_b32_e32 v232, v232, v250, vcc
	;; [unrolled: 1-line block ×5, first 2 shown]
	s_cmp_lg_u32 s20, s0
	s_cbranch_scc1 .LBB114_24
.LBB114_25:
	s_waitcnt lgkmcnt(0)
	v_cmp_neq_f64_e32 vcc, 0, v[232:233]
	v_cmp_neq_f64_e64 s[0:1], 0, v[234:235]
	s_or_b64 s[16:17], vcc, s[0:1]
	s_and_saveexec_b64 s[0:1], s[16:17]
	s_cbranch_execz .LBB114_31
; %bb.26:
	v_cmp_ngt_f64_e64 s[16:17], |v[232:233]|, |v[234:235]|
	s_and_saveexec_b64 s[18:19], s[16:17]
	s_xor_b64 s[16:17], exec, s[18:19]
	s_cbranch_execz .LBB114_28
; %bb.27:
	v_div_scale_f64 v[152:153], s[18:19], v[234:235], v[234:235], v[232:233]
	v_rcp_f64_e32 v[154:155], v[152:153]
	v_div_scale_f64 v[156:157], vcc, v[232:233], v[234:235], v[232:233]
	v_fma_f64 v[158:159], -v[152:153], v[154:155], 1.0
	v_fmac_f64_e32 v[154:155], v[154:155], v[158:159]
	v_fma_f64 v[158:159], -v[152:153], v[154:155], 1.0
	v_fmac_f64_e32 v[154:155], v[154:155], v[158:159]
	v_mul_f64 v[158:159], v[156:157], v[154:155]
	v_fma_f64 v[152:153], -v[152:153], v[158:159], v[156:157]
	v_div_fmas_f64 v[152:153], v[152:153], v[154:155], v[158:159]
	v_div_fixup_f64 v[152:153], v[152:153], v[234:235], v[232:233]
	v_fmac_f64_e32 v[234:235], v[232:233], v[152:153]
	v_div_scale_f64 v[154:155], s[18:19], v[234:235], v[234:235], 1.0
	v_rcp_f64_e32 v[156:157], v[154:155]
	s_nop 0
	v_fma_f64 v[158:159], -v[154:155], v[156:157], 1.0
	v_fmac_f64_e32 v[156:157], v[156:157], v[158:159]
	v_fma_f64 v[158:159], -v[154:155], v[156:157], 1.0
	v_fmac_f64_e32 v[156:157], v[156:157], v[158:159]
	v_div_scale_f64 v[158:159], vcc, 1.0, v[234:235], 1.0
	v_mul_f64 v[220:221], v[158:159], v[156:157]
	v_fma_f64 v[154:155], -v[154:155], v[220:221], v[158:159]
	s_nop 1
	v_div_fmas_f64 v[154:155], v[154:155], v[156:157], v[220:221]
	v_div_fixup_f64 v[234:235], v[154:155], v[234:235], 1.0
	v_mul_f64 v[232:233], v[152:153], v[234:235]
	v_xor_b32_e32 v235, 0x80000000, v235
.LBB114_28:
	s_andn2_saveexec_b64 s[16:17], s[16:17]
	s_cbranch_execz .LBB114_30
; %bb.29:
	v_div_scale_f64 v[152:153], s[18:19], v[232:233], v[232:233], v[234:235]
	v_rcp_f64_e32 v[154:155], v[152:153]
	v_div_scale_f64 v[156:157], vcc, v[234:235], v[232:233], v[234:235]
	v_fma_f64 v[158:159], -v[152:153], v[154:155], 1.0
	v_fmac_f64_e32 v[154:155], v[154:155], v[158:159]
	v_fma_f64 v[158:159], -v[152:153], v[154:155], 1.0
	v_fmac_f64_e32 v[154:155], v[154:155], v[158:159]
	v_mul_f64 v[158:159], v[156:157], v[154:155]
	v_fma_f64 v[152:153], -v[152:153], v[158:159], v[156:157]
	v_div_fmas_f64 v[152:153], v[152:153], v[154:155], v[158:159]
	v_div_fixup_f64 v[152:153], v[152:153], v[232:233], v[234:235]
	v_fmac_f64_e32 v[232:233], v[234:235], v[152:153]
	v_div_scale_f64 v[154:155], s[18:19], v[232:233], v[232:233], 1.0
	v_rcp_f64_e32 v[156:157], v[154:155]
	s_nop 0
	v_fma_f64 v[158:159], -v[154:155], v[156:157], 1.0
	v_fmac_f64_e32 v[156:157], v[156:157], v[158:159]
	v_fma_f64 v[158:159], -v[154:155], v[156:157], 1.0
	v_fmac_f64_e32 v[156:157], v[156:157], v[158:159]
	v_div_scale_f64 v[158:159], vcc, 1.0, v[232:233], 1.0
	v_mul_f64 v[220:221], v[158:159], v[156:157]
	v_fma_f64 v[154:155], -v[154:155], v[220:221], v[158:159]
	s_nop 1
	v_div_fmas_f64 v[154:155], v[154:155], v[156:157], v[220:221]
	v_div_fixup_f64 v[232:233], v[154:155], v[232:233], 1.0
	v_mul_f64 v[234:235], v[152:153], -v[232:233]
.LBB114_30:
	s_or_b64 exec, exec, s[16:17]
	v_mov_b32_e32 v246, v249
.LBB114_31:
	s_or_b64 exec, exec, s[0:1]
	v_cmp_ne_u32_e32 vcc, v245, v242
	s_and_saveexec_b64 s[0:1], vcc
	s_xor_b64 s[0:1], exec, s[0:1]
	s_cbranch_execz .LBB114_37
; %bb.32:
	v_cmp_eq_u32_e32 vcc, 1, v245
	s_and_saveexec_b64 s[16:17], vcc
	s_cbranch_execz .LBB114_36
; %bb.33:
	v_cmp_ne_u32_e32 vcc, 1, v242
	s_xor_b64 s[18:19], s[14:15], -1
	s_and_b64 s[22:23], s[18:19], vcc
	s_and_saveexec_b64 s[18:19], s[22:23]
	s_cbranch_execz .LBB114_35
; %bb.34:
	v_ashrrev_i32_e32 v243, 31, v242
	v_lshl_add_u64 v[152:153], v[242:243], 2, v[4:5]
	global_load_dword v154, v[152:153], off
	global_load_dword v155, v[4:5], off offset:4
	s_waitcnt vmcnt(1)
	global_store_dword v[4:5], v154, off offset:4
	s_waitcnt vmcnt(1)
	global_store_dword v[152:153], v155, off
.LBB114_35:
	s_or_b64 exec, exec, s[18:19]
	v_mov_b32_e32 v245, v242
	v_mov_b32_e32 v236, v242
.LBB114_36:
	s_or_b64 exec, exec, s[16:17]
.LBB114_37:
	s_andn2_saveexec_b64 s[0:1], s[0:1]
	s_cbranch_execz .LBB114_39
; %bb.38:
	scratch_load_dwordx4 v[152:155], off, off offset:16 ; 16-byte Folded Reload
	v_mov_b32_e32 v245, 1
	s_waitcnt vmcnt(0)
	ds_write2_b64 v244, v[152:153], v[154:155] offset0:4 offset1:5
	scratch_load_dwordx4 v[152:155], off, off ; 16-byte Folded Reload
	s_waitcnt vmcnt(0)
	ds_write2_b64 v244, v[152:153], v[154:155] offset0:6 offset1:7
	ds_write2_b64 v244, v[238:239], v[240:241] offset0:8 offset1:9
	;; [unrolled: 1-line block ×55, first 2 shown]
.LBB114_39:
	s_or_b64 exec, exec, s[0:1]
	v_cmp_lt_i32_e32 vcc, 1, v245
	s_waitcnt lgkmcnt(0)
	s_barrier
	s_and_saveexec_b64 s[0:1], vcc
	s_cbranch_execz .LBB114_41
; %bb.40:
	scratch_load_dwordx4 v[212:215], off, off offset:32 ; 16-byte Folded Reload
	scratch_load_dwordx4 v[156:159], off, off offset:16 ; 16-byte Folded Reload
	ds_read2_b64 v[250:253], v244 offset0:4 offset1:5
	s_waitcnt vmcnt(1)
	v_mul_f64 v[152:153], v[234:235], v[214:215]
	v_mul_f64 v[214:215], v[232:233], v[214:215]
	v_fmac_f64_e32 v[214:215], v[234:235], v[212:213]
	v_fma_f64 v[242:243], v[232:233], v[212:213], -v[152:153]
	ds_read2_b64 v[232:235], v244 offset0:6 offset1:7
	s_waitcnt lgkmcnt(1)
	v_mul_f64 v[152:153], v[252:253], v[214:215]
	v_mul_f64 v[154:155], v[250:251], v[214:215]
	v_fma_f64 v[152:153], v[250:251], v[242:243], -v[152:153]
	v_fmac_f64_e32 v[154:155], v[252:253], v[242:243]
	s_waitcnt vmcnt(0)
	v_add_f64 v[156:157], v[156:157], -v[152:153]
	v_add_f64 v[158:159], v[158:159], -v[154:155]
	scratch_store_dwordx4 off, v[156:159], off offset:16 ; 16-byte Folded Spill
	scratch_load_dwordx4 v[156:159], off, off ; 16-byte Folded Reload
	ds_read2_b64 v[250:253], v244 offset0:8 offset1:9
	s_waitcnt lgkmcnt(1)
	v_mul_f64 v[152:153], v[234:235], v[214:215]
	v_mul_f64 v[154:155], v[232:233], v[214:215]
	v_fma_f64 v[152:153], v[232:233], v[242:243], -v[152:153]
	v_fmac_f64_e32 v[154:155], v[234:235], v[242:243]
	ds_read2_b64 v[232:235], v244 offset0:10 offset1:11
	v_mov_b64_e32 v[212:213], v[242:243]
	scratch_store_dwordx4 off, v[212:215], off offset:32 ; 16-byte Folded Spill
	s_waitcnt vmcnt(1)
	v_add_f64 v[156:157], v[156:157], -v[152:153]
	v_add_f64 v[158:159], v[158:159], -v[154:155]
	s_waitcnt lgkmcnt(1)
	v_mul_f64 v[152:153], v[252:253], v[214:215]
	v_mul_f64 v[154:155], v[250:251], v[214:215]
	v_fma_f64 v[152:153], v[250:251], v[242:243], -v[152:153]
	v_fmac_f64_e32 v[154:155], v[252:253], v[242:243]
	ds_read2_b64 v[250:253], v244 offset0:12 offset1:13
	v_add_f64 v[238:239], v[238:239], -v[152:153]
	v_add_f64 v[240:241], v[240:241], -v[154:155]
	s_waitcnt lgkmcnt(1)
	v_mul_f64 v[152:153], v[234:235], v[214:215]
	v_mul_f64 v[154:155], v[232:233], v[214:215]
	v_fma_f64 v[152:153], v[232:233], v[242:243], -v[152:153]
	v_fmac_f64_e32 v[154:155], v[234:235], v[242:243]
	ds_read2_b64 v[232:235], v244 offset0:14 offset1:15
	;; [unrolled: 8-line block ×52, first 2 shown]
	v_add_f64 v[224:225], v[224:225], -v[152:153]
	v_add_f64 v[226:227], v[226:227], -v[154:155]
	s_waitcnt lgkmcnt(1)
	v_mul_f64 v[152:153], v[252:253], v[214:215]
	v_mul_f64 v[154:155], v[250:251], v[214:215]
	v_fma_f64 v[152:153], v[250:251], v[242:243], -v[152:153]
	v_fmac_f64_e32 v[154:155], v[252:253], v[242:243]
	v_add_f64 v[0:1], v[0:1], -v[152:153]
	v_add_f64 v[2:3], v[2:3], -v[154:155]
	s_waitcnt lgkmcnt(0)
	v_mul_f64 v[152:153], v[234:235], v[214:215]
	v_mul_f64 v[154:155], v[232:233], v[214:215]
	v_fma_f64 v[152:153], v[232:233], v[242:243], -v[152:153]
	v_fmac_f64_e32 v[154:155], v[234:235], v[242:243]
	v_add_f64 v[228:229], v[228:229], -v[152:153]
	v_add_f64 v[230:231], v[230:231], -v[154:155]
	scratch_store_dwordx4 off, v[156:159], off ; 16-byte Folded Spill
.LBB114_41:
	s_or_b64 exec, exec, s[0:1]
	s_barrier
	scratch_load_dwordx4 v[154:157], off, off offset:16 ; 16-byte Folded Reload
	v_lshl_add_u32 v152, v245, 4, v244
	s_cmp_lt_i32 s20, 4
	v_mov_b32_e32 v242, 2
	s_waitcnt vmcnt(0)
	ds_write2_b64 v152, v[154:155], v[156:157] offset1:1
	s_waitcnt lgkmcnt(0)
	s_barrier
	ds_read2_b64 v[232:235], v244 offset0:4 offset1:5
	s_cbranch_scc1 .LBB114_44
; %bb.42:
	v_add3_u32 v243, v248, 0, 48
	s_mov_b32 s0, 3
	v_mov_b32_e32 v242, 2
.LBB114_43:                             ; =>This Inner Loop Header: Depth=1
	ds_read2_b64 v[250:253], v243 offset1:1
	s_waitcnt lgkmcnt(1)
	v_cmp_gt_f64_e32 vcc, 0, v[232:233]
	v_xor_b32_e32 v152, 0x80000000, v233
	v_xor_b32_e32 v154, 0x80000000, v235
	v_cndmask_b32_e32 v153, v233, v152, vcc
	v_cmp_gt_f64_e32 vcc, 0, v[234:235]
	v_mov_b32_e32 v152, v232
	s_waitcnt lgkmcnt(0)
	v_xor_b32_e32 v156, 0x80000000, v253
	v_cndmask_b32_e32 v155, v235, v154, vcc
	v_mov_b32_e32 v154, v234
	v_add_f64 v[152:153], v[152:153], v[154:155]
	v_cmp_gt_f64_e32 vcc, 0, v[250:251]
	v_xor_b32_e32 v154, 0x80000000, v251
	v_add_u32_e32 v243, 16, v243
	v_cndmask_b32_e32 v155, v251, v154, vcc
	v_cmp_gt_f64_e32 vcc, 0, v[252:253]
	v_mov_b32_e32 v154, v250
	s_nop 0
	v_cndmask_b32_e32 v157, v253, v156, vcc
	v_mov_b32_e32 v156, v252
	v_add_f64 v[154:155], v[154:155], v[156:157]
	v_cmp_lt_f64_e32 vcc, v[152:153], v[154:155]
	v_mov_b32_e32 v152, s0
	s_add_i32 s0, s0, 1
	v_cndmask_b32_e32 v233, v233, v251, vcc
	v_cndmask_b32_e32 v232, v232, v250, vcc
	;; [unrolled: 1-line block ×5, first 2 shown]
	s_cmp_lg_u32 s20, s0
	s_cbranch_scc1 .LBB114_43
.LBB114_44:
	s_waitcnt lgkmcnt(0)
	v_cmp_eq_f64_e32 vcc, 0, v[232:233]
	v_cmp_eq_f64_e64 s[0:1], 0, v[234:235]
	s_and_b64 s[0:1], vcc, s[0:1]
	s_and_saveexec_b64 s[16:17], s[0:1]
	s_xor_b64 s[0:1], exec, s[16:17]
; %bb.45:
	v_cmp_ne_u32_e32 vcc, 0, v246
	s_nop 1
	v_cndmask_b32_e32 v246, 3, v246, vcc
; %bb.46:
	s_andn2_saveexec_b64 s[0:1], s[0:1]
	s_cbranch_execz .LBB114_52
; %bb.47:
	v_cmp_ngt_f64_e64 s[16:17], |v[232:233]|, |v[234:235]|
	s_and_saveexec_b64 s[18:19], s[16:17]
	s_xor_b64 s[16:17], exec, s[18:19]
	s_cbranch_execz .LBB114_49
; %bb.48:
	v_div_scale_f64 v[152:153], s[18:19], v[234:235], v[234:235], v[232:233]
	v_rcp_f64_e32 v[154:155], v[152:153]
	v_div_scale_f64 v[156:157], vcc, v[232:233], v[234:235], v[232:233]
	v_fma_f64 v[158:159], -v[152:153], v[154:155], 1.0
	v_fmac_f64_e32 v[154:155], v[154:155], v[158:159]
	v_fma_f64 v[158:159], -v[152:153], v[154:155], 1.0
	v_fmac_f64_e32 v[154:155], v[154:155], v[158:159]
	v_mul_f64 v[158:159], v[156:157], v[154:155]
	v_fma_f64 v[152:153], -v[152:153], v[158:159], v[156:157]
	v_div_fmas_f64 v[152:153], v[152:153], v[154:155], v[158:159]
	v_div_fixup_f64 v[152:153], v[152:153], v[234:235], v[232:233]
	v_fmac_f64_e32 v[234:235], v[232:233], v[152:153]
	v_div_scale_f64 v[154:155], s[18:19], v[234:235], v[234:235], 1.0
	v_rcp_f64_e32 v[156:157], v[154:155]
	s_nop 0
	v_fma_f64 v[158:159], -v[154:155], v[156:157], 1.0
	v_fmac_f64_e32 v[156:157], v[156:157], v[158:159]
	v_fma_f64 v[158:159], -v[154:155], v[156:157], 1.0
	v_fmac_f64_e32 v[156:157], v[156:157], v[158:159]
	v_div_scale_f64 v[158:159], vcc, 1.0, v[234:235], 1.0
	v_mul_f64 v[220:221], v[158:159], v[156:157]
	v_fma_f64 v[154:155], -v[154:155], v[220:221], v[158:159]
	s_nop 1
	v_div_fmas_f64 v[154:155], v[154:155], v[156:157], v[220:221]
	v_div_fixup_f64 v[234:235], v[154:155], v[234:235], 1.0
	v_mul_f64 v[232:233], v[152:153], v[234:235]
	v_xor_b32_e32 v235, 0x80000000, v235
.LBB114_49:
	s_andn2_saveexec_b64 s[16:17], s[16:17]
	s_cbranch_execz .LBB114_51
; %bb.50:
	v_div_scale_f64 v[152:153], s[18:19], v[232:233], v[232:233], v[234:235]
	v_rcp_f64_e32 v[154:155], v[152:153]
	v_div_scale_f64 v[156:157], vcc, v[234:235], v[232:233], v[234:235]
	v_fma_f64 v[158:159], -v[152:153], v[154:155], 1.0
	v_fmac_f64_e32 v[154:155], v[154:155], v[158:159]
	v_fma_f64 v[158:159], -v[152:153], v[154:155], 1.0
	v_fmac_f64_e32 v[154:155], v[154:155], v[158:159]
	v_mul_f64 v[158:159], v[156:157], v[154:155]
	v_fma_f64 v[152:153], -v[152:153], v[158:159], v[156:157]
	v_div_fmas_f64 v[152:153], v[152:153], v[154:155], v[158:159]
	v_div_fixup_f64 v[152:153], v[152:153], v[232:233], v[234:235]
	v_fmac_f64_e32 v[232:233], v[234:235], v[152:153]
	v_div_scale_f64 v[154:155], s[18:19], v[232:233], v[232:233], 1.0
	v_rcp_f64_e32 v[156:157], v[154:155]
	s_nop 0
	v_fma_f64 v[158:159], -v[154:155], v[156:157], 1.0
	v_fmac_f64_e32 v[156:157], v[156:157], v[158:159]
	v_fma_f64 v[158:159], -v[154:155], v[156:157], 1.0
	v_fmac_f64_e32 v[156:157], v[156:157], v[158:159]
	v_div_scale_f64 v[158:159], vcc, 1.0, v[232:233], 1.0
	v_mul_f64 v[220:221], v[158:159], v[156:157]
	v_fma_f64 v[154:155], -v[154:155], v[220:221], v[158:159]
	s_nop 1
	v_div_fmas_f64 v[154:155], v[154:155], v[156:157], v[220:221]
	v_div_fixup_f64 v[232:233], v[154:155], v[232:233], 1.0
	v_mul_f64 v[234:235], v[152:153], -v[232:233]
.LBB114_51:
	s_or_b64 exec, exec, s[16:17]
.LBB114_52:
	s_or_b64 exec, exec, s[0:1]
	v_cmp_ne_u32_e32 vcc, v245, v242
	s_and_saveexec_b64 s[0:1], vcc
	s_xor_b64 s[0:1], exec, s[0:1]
	s_cbranch_execz .LBB114_58
; %bb.53:
	v_cmp_eq_u32_e32 vcc, 2, v245
	s_and_saveexec_b64 s[16:17], vcc
	s_cbranch_execz .LBB114_57
; %bb.54:
	v_cmp_ne_u32_e32 vcc, 2, v242
	s_xor_b64 s[18:19], s[14:15], -1
	s_and_b64 s[22:23], s[18:19], vcc
	s_and_saveexec_b64 s[18:19], s[22:23]
	s_cbranch_execz .LBB114_56
; %bb.55:
	v_ashrrev_i32_e32 v243, 31, v242
	v_lshl_add_u64 v[152:153], v[242:243], 2, v[4:5]
	global_load_dword v154, v[152:153], off
	global_load_dword v155, v[4:5], off offset:8
	s_waitcnt vmcnt(1)
	global_store_dword v[4:5], v154, off offset:8
	s_waitcnt vmcnt(1)
	global_store_dword v[152:153], v155, off
.LBB114_56:
	s_or_b64 exec, exec, s[18:19]
	v_mov_b32_e32 v245, v242
	v_mov_b32_e32 v236, v242
.LBB114_57:
	s_or_b64 exec, exec, s[16:17]
.LBB114_58:
	s_andn2_saveexec_b64 s[0:1], s[0:1]
	s_cbranch_execz .LBB114_60
; %bb.59:
	scratch_load_dwordx4 v[152:155], off, off ; 16-byte Folded Reload
	v_mov_b32_e32 v245, 2
	s_waitcnt vmcnt(0)
	ds_write2_b64 v244, v[152:153], v[154:155] offset0:6 offset1:7
	ds_write2_b64 v244, v[238:239], v[240:241] offset0:8 offset1:9
	;; [unrolled: 1-line block ×55, first 2 shown]
.LBB114_60:
	s_or_b64 exec, exec, s[0:1]
	v_cmp_lt_i32_e32 vcc, 2, v245
	s_waitcnt lgkmcnt(0)
	s_barrier
	s_and_saveexec_b64 s[0:1], vcc
	s_cbranch_execz .LBB114_62
; %bb.61:
	scratch_load_dwordx4 v[212:215], off, off offset:16 ; 16-byte Folded Reload
	scratch_load_dwordx4 v[156:159], off, off ; 16-byte Folded Reload
	ds_read2_b64 v[250:253], v244 offset0:6 offset1:7
	s_waitcnt vmcnt(1)
	v_mul_f64 v[152:153], v[234:235], v[214:215]
	v_mul_f64 v[214:215], v[232:233], v[214:215]
	v_fma_f64 v[242:243], v[232:233], v[212:213], -v[152:153]
	v_fmac_f64_e32 v[214:215], v[234:235], v[212:213]
	ds_read2_b64 v[232:235], v244 offset0:8 offset1:9
	s_waitcnt lgkmcnt(1)
	v_mul_f64 v[152:153], v[252:253], v[214:215]
	v_mul_f64 v[154:155], v[250:251], v[214:215]
	v_fma_f64 v[152:153], v[250:251], v[242:243], -v[152:153]
	v_fmac_f64_e32 v[154:155], v[252:253], v[242:243]
	ds_read2_b64 v[250:253], v244 offset0:10 offset1:11
	s_waitcnt vmcnt(0)
	v_add_f64 v[156:157], v[156:157], -v[152:153]
	v_add_f64 v[158:159], v[158:159], -v[154:155]
	s_waitcnt lgkmcnt(1)
	v_mul_f64 v[152:153], v[234:235], v[214:215]
	v_mul_f64 v[154:155], v[232:233], v[214:215]
	v_fma_f64 v[152:153], v[232:233], v[242:243], -v[152:153]
	v_fmac_f64_e32 v[154:155], v[234:235], v[242:243]
	ds_read2_b64 v[232:235], v244 offset0:12 offset1:13
	v_add_f64 v[238:239], v[238:239], -v[152:153]
	v_add_f64 v[240:241], v[240:241], -v[154:155]
	s_waitcnt lgkmcnt(1)
	v_mul_f64 v[152:153], v[252:253], v[214:215]
	v_mul_f64 v[154:155], v[250:251], v[214:215]
	v_fma_f64 v[152:153], v[250:251], v[242:243], -v[152:153]
	v_fmac_f64_e32 v[154:155], v[252:253], v[242:243]
	ds_read2_b64 v[250:253], v244 offset0:14 offset1:15
	;; [unrolled: 8-line block ×52, first 2 shown]
	v_add_f64 v[224:225], v[224:225], -v[152:153]
	v_add_f64 v[226:227], v[226:227], -v[154:155]
	s_waitcnt lgkmcnt(1)
	v_mul_f64 v[152:153], v[234:235], v[214:215]
	v_mul_f64 v[154:155], v[232:233], v[214:215]
	v_fma_f64 v[152:153], v[232:233], v[242:243], -v[152:153]
	v_fmac_f64_e32 v[154:155], v[234:235], v[242:243]
	v_add_f64 v[0:1], v[0:1], -v[152:153]
	v_add_f64 v[2:3], v[2:3], -v[154:155]
	s_waitcnt lgkmcnt(0)
	v_mul_f64 v[152:153], v[252:253], v[214:215]
	v_mul_f64 v[154:155], v[250:251], v[214:215]
	v_fma_f64 v[152:153], v[250:251], v[242:243], -v[152:153]
	v_fmac_f64_e32 v[154:155], v[252:253], v[242:243]
	v_add_f64 v[228:229], v[228:229], -v[152:153]
	v_add_f64 v[230:231], v[230:231], -v[154:155]
	v_mov_b64_e32 v[212:213], v[242:243]
	scratch_store_dwordx4 off, v[156:159], off ; 16-byte Folded Spill
	scratch_store_dwordx4 off, v[212:215], off offset:16 ; 16-byte Folded Spill
.LBB114_62:
	s_or_b64 exec, exec, s[0:1]
	s_barrier
	scratch_load_dwordx4 v[154:157], off, off ; 16-byte Folded Reload
	v_lshl_add_u32 v152, v245, 4, v244
	s_mov_b32 s0, 4
	s_cmp_lt_i32 s20, 5
	v_mov_b32_e32 v242, 3
	s_waitcnt vmcnt(0)
	ds_write2_b64 v152, v[154:155], v[156:157] offset1:1
	s_waitcnt lgkmcnt(0)
	s_barrier
	ds_read2_b64 v[232:235], v244 offset0:6 offset1:7
	s_cbranch_scc1 .LBB114_65
; %bb.63:
	v_add3_u32 v243, v248, 0, 64
	v_mov_b32_e32 v242, 3
.LBB114_64:                             ; =>This Inner Loop Header: Depth=1
	ds_read2_b64 v[248:251], v243 offset1:1
	s_waitcnt lgkmcnt(1)
	v_cmp_gt_f64_e32 vcc, 0, v[232:233]
	v_xor_b32_e32 v152, 0x80000000, v233
	v_xor_b32_e32 v154, 0x80000000, v235
	v_cndmask_b32_e32 v153, v233, v152, vcc
	v_cmp_gt_f64_e32 vcc, 0, v[234:235]
	v_mov_b32_e32 v152, v232
	s_waitcnt lgkmcnt(0)
	v_xor_b32_e32 v156, 0x80000000, v251
	v_cndmask_b32_e32 v155, v235, v154, vcc
	v_mov_b32_e32 v154, v234
	v_add_f64 v[152:153], v[152:153], v[154:155]
	v_cmp_gt_f64_e32 vcc, 0, v[248:249]
	v_xor_b32_e32 v154, 0x80000000, v249
	v_add_u32_e32 v243, 16, v243
	v_cndmask_b32_e32 v155, v249, v154, vcc
	v_cmp_gt_f64_e32 vcc, 0, v[250:251]
	v_mov_b32_e32 v154, v248
	s_nop 0
	v_cndmask_b32_e32 v157, v251, v156, vcc
	v_mov_b32_e32 v156, v250
	v_add_f64 v[154:155], v[154:155], v[156:157]
	v_cmp_lt_f64_e32 vcc, v[152:153], v[154:155]
	v_mov_b32_e32 v152, s0
	s_add_i32 s0, s0, 1
	v_cndmask_b32_e32 v233, v233, v249, vcc
	v_cndmask_b32_e32 v232, v232, v248, vcc
	;; [unrolled: 1-line block ×5, first 2 shown]
	s_cmp_lg_u32 s20, s0
	s_cbranch_scc1 .LBB114_64
.LBB114_65:
	s_waitcnt lgkmcnt(0)
	v_cmp_eq_f64_e32 vcc, 0, v[232:233]
	v_cmp_eq_f64_e64 s[0:1], 0, v[234:235]
	s_and_b64 s[0:1], vcc, s[0:1]
	s_and_saveexec_b64 s[16:17], s[0:1]
	s_xor_b64 s[0:1], exec, s[16:17]
; %bb.66:
	v_cmp_ne_u32_e32 vcc, 0, v246
	s_nop 1
	v_cndmask_b32_e32 v246, 4, v246, vcc
; %bb.67:
	s_andn2_saveexec_b64 s[0:1], s[0:1]
	s_cbranch_execz .LBB114_73
; %bb.68:
	v_cmp_ngt_f64_e64 s[16:17], |v[232:233]|, |v[234:235]|
	s_and_saveexec_b64 s[18:19], s[16:17]
	s_xor_b64 s[16:17], exec, s[18:19]
	s_cbranch_execz .LBB114_70
; %bb.69:
	v_div_scale_f64 v[152:153], s[18:19], v[234:235], v[234:235], v[232:233]
	v_rcp_f64_e32 v[154:155], v[152:153]
	v_div_scale_f64 v[156:157], vcc, v[232:233], v[234:235], v[232:233]
	v_fma_f64 v[158:159], -v[152:153], v[154:155], 1.0
	v_fmac_f64_e32 v[154:155], v[154:155], v[158:159]
	v_fma_f64 v[158:159], -v[152:153], v[154:155], 1.0
	v_fmac_f64_e32 v[154:155], v[154:155], v[158:159]
	v_mul_f64 v[158:159], v[156:157], v[154:155]
	v_fma_f64 v[152:153], -v[152:153], v[158:159], v[156:157]
	v_div_fmas_f64 v[152:153], v[152:153], v[154:155], v[158:159]
	v_div_fixup_f64 v[152:153], v[152:153], v[234:235], v[232:233]
	v_fmac_f64_e32 v[234:235], v[232:233], v[152:153]
	v_div_scale_f64 v[154:155], s[18:19], v[234:235], v[234:235], 1.0
	v_rcp_f64_e32 v[156:157], v[154:155]
	s_nop 0
	v_fma_f64 v[158:159], -v[154:155], v[156:157], 1.0
	v_fmac_f64_e32 v[156:157], v[156:157], v[158:159]
	v_fma_f64 v[158:159], -v[154:155], v[156:157], 1.0
	v_fmac_f64_e32 v[156:157], v[156:157], v[158:159]
	v_div_scale_f64 v[158:159], vcc, 1.0, v[234:235], 1.0
	v_mul_f64 v[220:221], v[158:159], v[156:157]
	v_fma_f64 v[154:155], -v[154:155], v[220:221], v[158:159]
	s_nop 1
	v_div_fmas_f64 v[154:155], v[154:155], v[156:157], v[220:221]
	v_div_fixup_f64 v[234:235], v[154:155], v[234:235], 1.0
	v_mul_f64 v[232:233], v[152:153], v[234:235]
	v_xor_b32_e32 v235, 0x80000000, v235
.LBB114_70:
	s_andn2_saveexec_b64 s[16:17], s[16:17]
	s_cbranch_execz .LBB114_72
; %bb.71:
	v_div_scale_f64 v[152:153], s[18:19], v[232:233], v[232:233], v[234:235]
	v_rcp_f64_e32 v[154:155], v[152:153]
	v_div_scale_f64 v[156:157], vcc, v[234:235], v[232:233], v[234:235]
	v_fma_f64 v[158:159], -v[152:153], v[154:155], 1.0
	v_fmac_f64_e32 v[154:155], v[154:155], v[158:159]
	v_fma_f64 v[158:159], -v[152:153], v[154:155], 1.0
	v_fmac_f64_e32 v[154:155], v[154:155], v[158:159]
	v_mul_f64 v[158:159], v[156:157], v[154:155]
	v_fma_f64 v[152:153], -v[152:153], v[158:159], v[156:157]
	v_div_fmas_f64 v[152:153], v[152:153], v[154:155], v[158:159]
	v_div_fixup_f64 v[152:153], v[152:153], v[232:233], v[234:235]
	v_fmac_f64_e32 v[232:233], v[234:235], v[152:153]
	v_div_scale_f64 v[154:155], s[18:19], v[232:233], v[232:233], 1.0
	v_rcp_f64_e32 v[156:157], v[154:155]
	s_nop 0
	v_fma_f64 v[158:159], -v[154:155], v[156:157], 1.0
	v_fmac_f64_e32 v[156:157], v[156:157], v[158:159]
	v_fma_f64 v[158:159], -v[154:155], v[156:157], 1.0
	v_fmac_f64_e32 v[156:157], v[156:157], v[158:159]
	v_div_scale_f64 v[158:159], vcc, 1.0, v[232:233], 1.0
	v_mul_f64 v[220:221], v[158:159], v[156:157]
	v_fma_f64 v[154:155], -v[154:155], v[220:221], v[158:159]
	s_nop 1
	v_div_fmas_f64 v[154:155], v[154:155], v[156:157], v[220:221]
	v_div_fixup_f64 v[232:233], v[154:155], v[232:233], 1.0
	v_mul_f64 v[234:235], v[152:153], -v[232:233]
.LBB114_72:
	s_or_b64 exec, exec, s[16:17]
.LBB114_73:
	s_or_b64 exec, exec, s[0:1]
	v_cmp_ne_u32_e32 vcc, v245, v242
	s_and_saveexec_b64 s[0:1], vcc
	s_xor_b64 s[0:1], exec, s[0:1]
	s_cbranch_execz .LBB114_79
; %bb.74:
	v_cmp_eq_u32_e32 vcc, 3, v245
	s_and_saveexec_b64 s[16:17], vcc
	s_cbranch_execz .LBB114_78
; %bb.75:
	v_cmp_ne_u32_e32 vcc, 3, v242
	s_xor_b64 s[18:19], s[14:15], -1
	s_and_b64 s[22:23], s[18:19], vcc
	s_and_saveexec_b64 s[18:19], s[22:23]
	s_cbranch_execz .LBB114_77
; %bb.76:
	v_ashrrev_i32_e32 v243, 31, v242
	v_lshl_add_u64 v[152:153], v[242:243], 2, v[4:5]
	global_load_dword v154, v[152:153], off
	global_load_dword v155, v[4:5], off offset:12
	s_waitcnt vmcnt(1)
	global_store_dword v[4:5], v154, off offset:12
	s_waitcnt vmcnt(1)
	global_store_dword v[152:153], v155, off
.LBB114_77:
	s_or_b64 exec, exec, s[18:19]
	v_mov_b32_e32 v245, v242
	v_mov_b32_e32 v236, v242
.LBB114_78:
	s_or_b64 exec, exec, s[16:17]
.LBB114_79:
	s_andn2_saveexec_b64 s[0:1], s[0:1]
	s_cbranch_execz .LBB114_81
; %bb.80:
	v_mov_b32_e32 v245, 3
	ds_write2_b64 v244, v[238:239], v[240:241] offset0:8 offset1:9
	ds_write2_b64 v244, v[216:217], v[218:219] offset0:10 offset1:11
	;; [unrolled: 1-line block ×54, first 2 shown]
.LBB114_81:
	s_or_b64 exec, exec, s[0:1]
	v_cmp_lt_i32_e32 vcc, 3, v245
	s_waitcnt lgkmcnt(0)
	s_barrier
	s_and_saveexec_b64 s[0:1], vcc
	s_cbranch_execz .LBB114_83
; %bb.82:
	scratch_load_dwordx4 v[154:157], off, off ; 16-byte Folded Reload
	ds_read2_b64 v[248:251], v244 offset0:8 offset1:9
	s_waitcnt vmcnt(0)
	v_mul_f64 v[152:153], v[234:235], v[156:157]
	v_mul_f64 v[156:157], v[232:233], v[156:157]
	v_fma_f64 v[242:243], v[232:233], v[154:155], -v[152:153]
	v_fmac_f64_e32 v[156:157], v[234:235], v[154:155]
	ds_read2_b64 v[232:235], v244 offset0:10 offset1:11
	s_waitcnt lgkmcnt(1)
	v_mul_f64 v[152:153], v[250:251], v[156:157]
	v_mul_f64 v[154:155], v[248:249], v[156:157]
	v_fma_f64 v[152:153], v[248:249], v[242:243], -v[152:153]
	v_fmac_f64_e32 v[154:155], v[250:251], v[242:243]
	ds_read2_b64 v[248:251], v244 offset0:12 offset1:13
	v_add_f64 v[238:239], v[238:239], -v[152:153]
	v_add_f64 v[240:241], v[240:241], -v[154:155]
	s_waitcnt lgkmcnt(1)
	v_mul_f64 v[152:153], v[234:235], v[156:157]
	v_mul_f64 v[154:155], v[232:233], v[156:157]
	v_fma_f64 v[152:153], v[232:233], v[242:243], -v[152:153]
	v_fmac_f64_e32 v[154:155], v[234:235], v[242:243]
	ds_read2_b64 v[232:235], v244 offset0:14 offset1:15
	v_add_f64 v[216:217], v[216:217], -v[152:153]
	v_add_f64 v[218:219], v[218:219], -v[154:155]
	;; [unrolled: 8-line block ×52, first 2 shown]
	s_waitcnt lgkmcnt(1)
	v_mul_f64 v[152:153], v[250:251], v[156:157]
	v_mul_f64 v[154:155], v[248:249], v[156:157]
	v_fma_f64 v[152:153], v[248:249], v[242:243], -v[152:153]
	v_fmac_f64_e32 v[154:155], v[250:251], v[242:243]
	v_add_f64 v[0:1], v[0:1], -v[152:153]
	v_add_f64 v[2:3], v[2:3], -v[154:155]
	s_waitcnt lgkmcnt(0)
	v_mul_f64 v[152:153], v[234:235], v[156:157]
	v_mul_f64 v[154:155], v[232:233], v[156:157]
	v_fma_f64 v[152:153], v[232:233], v[242:243], -v[152:153]
	v_fmac_f64_e32 v[154:155], v[234:235], v[242:243]
	v_add_f64 v[228:229], v[228:229], -v[152:153]
	v_add_f64 v[230:231], v[230:231], -v[154:155]
	v_mov_b64_e32 v[154:155], v[242:243]
	scratch_store_dwordx4 off, v[154:157], off ; 16-byte Folded Spill
.LBB114_83:
	s_or_b64 exec, exec, s[0:1]
	v_lshl_add_u32 v152, v245, 4, v244
	s_barrier
	ds_write2_b64 v152, v[238:239], v[240:241] offset1:1
	s_waitcnt lgkmcnt(0)
	s_barrier
	ds_read2_b64 v[232:235], v244 offset0:8 offset1:9
	s_cmp_lt_i32 s20, 6
	v_mov_b32_e32 v242, 4
	s_cbranch_scc1 .LBB114_86
; %bb.84:
	v_mov_b32_e32 v242, 4
	v_add_u32_e32 v243, 0x50, v244
	s_mov_b32 s0, 5
.LBB114_85:                             ; =>This Inner Loop Header: Depth=1
	ds_read2_b64 v[248:251], v243 offset1:1
	s_waitcnt lgkmcnt(1)
	v_cmp_gt_f64_e32 vcc, 0, v[232:233]
	v_xor_b32_e32 v152, 0x80000000, v233
	v_xor_b32_e32 v154, 0x80000000, v235
	v_cndmask_b32_e32 v153, v233, v152, vcc
	v_cmp_gt_f64_e32 vcc, 0, v[234:235]
	v_mov_b32_e32 v152, v232
	s_waitcnt lgkmcnt(0)
	v_xor_b32_e32 v156, 0x80000000, v251
	v_cndmask_b32_e32 v155, v235, v154, vcc
	v_mov_b32_e32 v154, v234
	v_add_f64 v[152:153], v[152:153], v[154:155]
	v_cmp_gt_f64_e32 vcc, 0, v[248:249]
	v_xor_b32_e32 v154, 0x80000000, v249
	v_add_u32_e32 v243, 16, v243
	v_cndmask_b32_e32 v155, v249, v154, vcc
	v_cmp_gt_f64_e32 vcc, 0, v[250:251]
	v_mov_b32_e32 v154, v248
	s_nop 0
	v_cndmask_b32_e32 v157, v251, v156, vcc
	v_mov_b32_e32 v156, v250
	v_add_f64 v[154:155], v[154:155], v[156:157]
	v_cmp_lt_f64_e32 vcc, v[152:153], v[154:155]
	v_mov_b32_e32 v152, s0
	s_add_i32 s0, s0, 1
	v_cndmask_b32_e32 v233, v233, v249, vcc
	v_cndmask_b32_e32 v232, v232, v248, vcc
	;; [unrolled: 1-line block ×5, first 2 shown]
	s_cmp_lg_u32 s20, s0
	s_cbranch_scc1 .LBB114_85
.LBB114_86:
	s_waitcnt lgkmcnt(0)
	v_cmp_eq_f64_e32 vcc, 0, v[232:233]
	v_cmp_eq_f64_e64 s[0:1], 0, v[234:235]
	s_and_b64 s[0:1], vcc, s[0:1]
	s_and_saveexec_b64 s[16:17], s[0:1]
	s_xor_b64 s[0:1], exec, s[16:17]
; %bb.87:
	v_cmp_ne_u32_e32 vcc, 0, v246
	s_nop 1
	v_cndmask_b32_e32 v246, 5, v246, vcc
; %bb.88:
	s_andn2_saveexec_b64 s[0:1], s[0:1]
	s_cbranch_execz .LBB114_94
; %bb.89:
	v_cmp_ngt_f64_e64 s[16:17], |v[232:233]|, |v[234:235]|
	s_and_saveexec_b64 s[18:19], s[16:17]
	s_xor_b64 s[16:17], exec, s[18:19]
	s_cbranch_execz .LBB114_91
; %bb.90:
	v_div_scale_f64 v[152:153], s[18:19], v[234:235], v[234:235], v[232:233]
	v_rcp_f64_e32 v[154:155], v[152:153]
	v_div_scale_f64 v[156:157], vcc, v[232:233], v[234:235], v[232:233]
	v_fma_f64 v[158:159], -v[152:153], v[154:155], 1.0
	v_fmac_f64_e32 v[154:155], v[154:155], v[158:159]
	v_fma_f64 v[158:159], -v[152:153], v[154:155], 1.0
	v_fmac_f64_e32 v[154:155], v[154:155], v[158:159]
	v_mul_f64 v[158:159], v[156:157], v[154:155]
	v_fma_f64 v[152:153], -v[152:153], v[158:159], v[156:157]
	v_div_fmas_f64 v[152:153], v[152:153], v[154:155], v[158:159]
	v_div_fixup_f64 v[152:153], v[152:153], v[234:235], v[232:233]
	v_fmac_f64_e32 v[234:235], v[232:233], v[152:153]
	v_div_scale_f64 v[154:155], s[18:19], v[234:235], v[234:235], 1.0
	v_rcp_f64_e32 v[156:157], v[154:155]
	s_nop 0
	v_fma_f64 v[158:159], -v[154:155], v[156:157], 1.0
	v_fmac_f64_e32 v[156:157], v[156:157], v[158:159]
	v_fma_f64 v[158:159], -v[154:155], v[156:157], 1.0
	v_fmac_f64_e32 v[156:157], v[156:157], v[158:159]
	v_div_scale_f64 v[158:159], vcc, 1.0, v[234:235], 1.0
	v_mul_f64 v[220:221], v[158:159], v[156:157]
	v_fma_f64 v[154:155], -v[154:155], v[220:221], v[158:159]
	s_nop 1
	v_div_fmas_f64 v[154:155], v[154:155], v[156:157], v[220:221]
	v_div_fixup_f64 v[234:235], v[154:155], v[234:235], 1.0
	v_mul_f64 v[232:233], v[152:153], v[234:235]
	v_xor_b32_e32 v235, 0x80000000, v235
.LBB114_91:
	s_andn2_saveexec_b64 s[16:17], s[16:17]
	s_cbranch_execz .LBB114_93
; %bb.92:
	v_div_scale_f64 v[152:153], s[18:19], v[232:233], v[232:233], v[234:235]
	v_rcp_f64_e32 v[154:155], v[152:153]
	v_div_scale_f64 v[156:157], vcc, v[234:235], v[232:233], v[234:235]
	v_fma_f64 v[158:159], -v[152:153], v[154:155], 1.0
	v_fmac_f64_e32 v[154:155], v[154:155], v[158:159]
	v_fma_f64 v[158:159], -v[152:153], v[154:155], 1.0
	v_fmac_f64_e32 v[154:155], v[154:155], v[158:159]
	v_mul_f64 v[158:159], v[156:157], v[154:155]
	v_fma_f64 v[152:153], -v[152:153], v[158:159], v[156:157]
	v_div_fmas_f64 v[152:153], v[152:153], v[154:155], v[158:159]
	v_div_fixup_f64 v[152:153], v[152:153], v[232:233], v[234:235]
	v_fmac_f64_e32 v[232:233], v[234:235], v[152:153]
	v_div_scale_f64 v[154:155], s[18:19], v[232:233], v[232:233], 1.0
	v_rcp_f64_e32 v[156:157], v[154:155]
	s_nop 0
	v_fma_f64 v[158:159], -v[154:155], v[156:157], 1.0
	v_fmac_f64_e32 v[156:157], v[156:157], v[158:159]
	v_fma_f64 v[158:159], -v[154:155], v[156:157], 1.0
	v_fmac_f64_e32 v[156:157], v[156:157], v[158:159]
	v_div_scale_f64 v[158:159], vcc, 1.0, v[232:233], 1.0
	v_mul_f64 v[220:221], v[158:159], v[156:157]
	v_fma_f64 v[154:155], -v[154:155], v[220:221], v[158:159]
	s_nop 1
	v_div_fmas_f64 v[154:155], v[154:155], v[156:157], v[220:221]
	v_div_fixup_f64 v[232:233], v[154:155], v[232:233], 1.0
	v_mul_f64 v[234:235], v[152:153], -v[232:233]
.LBB114_93:
	s_or_b64 exec, exec, s[16:17]
.LBB114_94:
	s_or_b64 exec, exec, s[0:1]
	v_cmp_ne_u32_e32 vcc, v245, v242
	s_and_saveexec_b64 s[0:1], vcc
	s_xor_b64 s[0:1], exec, s[0:1]
	s_cbranch_execz .LBB114_100
; %bb.95:
	v_cmp_eq_u32_e32 vcc, 4, v245
	s_and_saveexec_b64 s[16:17], vcc
	s_cbranch_execz .LBB114_99
; %bb.96:
	v_cmp_ne_u32_e32 vcc, 4, v242
	s_xor_b64 s[18:19], s[14:15], -1
	s_and_b64 s[22:23], s[18:19], vcc
	s_and_saveexec_b64 s[18:19], s[22:23]
	s_cbranch_execz .LBB114_98
; %bb.97:
	v_ashrrev_i32_e32 v243, 31, v242
	v_lshl_add_u64 v[152:153], v[242:243], 2, v[4:5]
	global_load_dword v154, v[152:153], off
	global_load_dword v155, v[4:5], off offset:16
	s_waitcnt vmcnt(1)
	global_store_dword v[4:5], v154, off offset:16
	s_waitcnt vmcnt(1)
	global_store_dword v[152:153], v155, off
.LBB114_98:
	s_or_b64 exec, exec, s[18:19]
	v_mov_b32_e32 v245, v242
	v_mov_b32_e32 v236, v242
.LBB114_99:
	s_or_b64 exec, exec, s[16:17]
.LBB114_100:
	s_andn2_saveexec_b64 s[0:1], s[0:1]
	s_cbranch_execz .LBB114_102
; %bb.101:
	v_mov_b32_e32 v245, 4
	ds_write2_b64 v244, v[216:217], v[218:219] offset0:10 offset1:11
	ds_write2_b64 v244, v[208:209], v[210:211] offset0:12 offset1:13
	;; [unrolled: 1-line block ×53, first 2 shown]
.LBB114_102:
	s_or_b64 exec, exec, s[0:1]
	v_cmp_lt_i32_e32 vcc, 4, v245
	s_waitcnt lgkmcnt(0)
	s_barrier
	s_and_saveexec_b64 s[0:1], vcc
	s_cbranch_execz .LBB114_104
; %bb.103:
	ds_read2_b64 v[248:251], v244 offset0:10 offset1:11
	v_mul_f64 v[152:153], v[234:235], v[240:241]
	v_mul_f64 v[240:241], v[232:233], v[240:241]
	v_fma_f64 v[242:243], v[232:233], v[238:239], -v[152:153]
	v_fmac_f64_e32 v[240:241], v[234:235], v[238:239]
	ds_read2_b64 v[232:235], v244 offset0:12 offset1:13
	s_waitcnt lgkmcnt(1)
	v_mul_f64 v[152:153], v[250:251], v[240:241]
	v_mul_f64 v[154:155], v[248:249], v[240:241]
	v_fma_f64 v[152:153], v[248:249], v[242:243], -v[152:153]
	v_fmac_f64_e32 v[154:155], v[250:251], v[242:243]
	ds_read2_b64 v[248:251], v244 offset0:14 offset1:15
	v_add_f64 v[216:217], v[216:217], -v[152:153]
	v_add_f64 v[218:219], v[218:219], -v[154:155]
	s_waitcnt lgkmcnt(1)
	v_mul_f64 v[152:153], v[234:235], v[240:241]
	v_mul_f64 v[154:155], v[232:233], v[240:241]
	v_fma_f64 v[152:153], v[232:233], v[242:243], -v[152:153]
	v_fmac_f64_e32 v[154:155], v[234:235], v[242:243]
	ds_read2_b64 v[232:235], v244 offset0:16 offset1:17
	v_add_f64 v[208:209], v[208:209], -v[152:153]
	v_add_f64 v[210:211], v[210:211], -v[154:155]
	;; [unrolled: 8-line block ×51, first 2 shown]
	s_waitcnt lgkmcnt(1)
	v_mul_f64 v[152:153], v[234:235], v[240:241]
	v_mul_f64 v[154:155], v[232:233], v[240:241]
	v_fma_f64 v[152:153], v[232:233], v[242:243], -v[152:153]
	v_fmac_f64_e32 v[154:155], v[234:235], v[242:243]
	v_add_f64 v[0:1], v[0:1], -v[152:153]
	v_add_f64 v[2:3], v[2:3], -v[154:155]
	s_waitcnt lgkmcnt(0)
	v_mul_f64 v[152:153], v[250:251], v[240:241]
	v_mul_f64 v[154:155], v[248:249], v[240:241]
	v_fma_f64 v[152:153], v[248:249], v[242:243], -v[152:153]
	v_fmac_f64_e32 v[154:155], v[250:251], v[242:243]
	v_add_f64 v[228:229], v[228:229], -v[152:153]
	v_add_f64 v[230:231], v[230:231], -v[154:155]
	v_mov_b64_e32 v[238:239], v[242:243]
.LBB114_104:
	s_or_b64 exec, exec, s[0:1]
	v_lshl_add_u32 v152, v245, 4, v244
	s_barrier
	ds_write2_b64 v152, v[216:217], v[218:219] offset1:1
	s_waitcnt lgkmcnt(0)
	s_barrier
	ds_read2_b64 v[232:235], v244 offset0:10 offset1:11
	s_cmp_lt_i32 s20, 7
	v_mov_b32_e32 v242, 5
	s_cbranch_scc1 .LBB114_107
; %bb.105:
	v_add_u32_e32 v243, 0x60, v244
	s_mov_b32 s0, 6
	v_mov_b32_e32 v242, 5
.LBB114_106:                            ; =>This Inner Loop Header: Depth=1
	ds_read2_b64 v[248:251], v243 offset1:1
	s_waitcnt lgkmcnt(1)
	v_cmp_gt_f64_e32 vcc, 0, v[232:233]
	v_xor_b32_e32 v152, 0x80000000, v233
	v_xor_b32_e32 v154, 0x80000000, v235
	v_cndmask_b32_e32 v153, v233, v152, vcc
	v_cmp_gt_f64_e32 vcc, 0, v[234:235]
	v_mov_b32_e32 v152, v232
	s_waitcnt lgkmcnt(0)
	v_xor_b32_e32 v156, 0x80000000, v251
	v_cndmask_b32_e32 v155, v235, v154, vcc
	v_mov_b32_e32 v154, v234
	v_add_f64 v[152:153], v[152:153], v[154:155]
	v_cmp_gt_f64_e32 vcc, 0, v[248:249]
	v_xor_b32_e32 v154, 0x80000000, v249
	v_add_u32_e32 v243, 16, v243
	v_cndmask_b32_e32 v155, v249, v154, vcc
	v_cmp_gt_f64_e32 vcc, 0, v[250:251]
	v_mov_b32_e32 v154, v248
	s_nop 0
	v_cndmask_b32_e32 v157, v251, v156, vcc
	v_mov_b32_e32 v156, v250
	v_add_f64 v[154:155], v[154:155], v[156:157]
	v_cmp_lt_f64_e32 vcc, v[152:153], v[154:155]
	v_mov_b32_e32 v152, s0
	s_add_i32 s0, s0, 1
	v_cndmask_b32_e32 v233, v233, v249, vcc
	v_cndmask_b32_e32 v232, v232, v248, vcc
	v_cndmask_b32_e32 v235, v235, v251, vcc
	v_cndmask_b32_e32 v234, v234, v250, vcc
	v_cndmask_b32_e32 v242, v242, v152, vcc
	s_cmp_lg_u32 s20, s0
	s_cbranch_scc1 .LBB114_106
.LBB114_107:
	s_waitcnt lgkmcnt(0)
	v_cmp_eq_f64_e32 vcc, 0, v[232:233]
	v_cmp_eq_f64_e64 s[0:1], 0, v[234:235]
	s_and_b64 s[0:1], vcc, s[0:1]
	s_and_saveexec_b64 s[16:17], s[0:1]
	s_xor_b64 s[0:1], exec, s[16:17]
; %bb.108:
	v_cmp_ne_u32_e32 vcc, 0, v246
	s_nop 1
	v_cndmask_b32_e32 v246, 6, v246, vcc
; %bb.109:
	s_andn2_saveexec_b64 s[0:1], s[0:1]
	s_cbranch_execz .LBB114_115
; %bb.110:
	v_cmp_ngt_f64_e64 s[16:17], |v[232:233]|, |v[234:235]|
	s_and_saveexec_b64 s[18:19], s[16:17]
	s_xor_b64 s[16:17], exec, s[18:19]
	s_cbranch_execz .LBB114_112
; %bb.111:
	v_div_scale_f64 v[152:153], s[18:19], v[234:235], v[234:235], v[232:233]
	v_rcp_f64_e32 v[154:155], v[152:153]
	v_div_scale_f64 v[156:157], vcc, v[232:233], v[234:235], v[232:233]
	v_fma_f64 v[158:159], -v[152:153], v[154:155], 1.0
	v_fmac_f64_e32 v[154:155], v[154:155], v[158:159]
	v_fma_f64 v[158:159], -v[152:153], v[154:155], 1.0
	v_fmac_f64_e32 v[154:155], v[154:155], v[158:159]
	v_mul_f64 v[158:159], v[156:157], v[154:155]
	v_fma_f64 v[152:153], -v[152:153], v[158:159], v[156:157]
	v_div_fmas_f64 v[152:153], v[152:153], v[154:155], v[158:159]
	v_div_fixup_f64 v[152:153], v[152:153], v[234:235], v[232:233]
	v_fmac_f64_e32 v[234:235], v[232:233], v[152:153]
	v_div_scale_f64 v[154:155], s[18:19], v[234:235], v[234:235], 1.0
	v_rcp_f64_e32 v[156:157], v[154:155]
	s_nop 0
	v_fma_f64 v[158:159], -v[154:155], v[156:157], 1.0
	v_fmac_f64_e32 v[156:157], v[156:157], v[158:159]
	v_fma_f64 v[158:159], -v[154:155], v[156:157], 1.0
	v_fmac_f64_e32 v[156:157], v[156:157], v[158:159]
	v_div_scale_f64 v[158:159], vcc, 1.0, v[234:235], 1.0
	v_mul_f64 v[220:221], v[158:159], v[156:157]
	v_fma_f64 v[154:155], -v[154:155], v[220:221], v[158:159]
	s_nop 1
	v_div_fmas_f64 v[154:155], v[154:155], v[156:157], v[220:221]
	v_div_fixup_f64 v[234:235], v[154:155], v[234:235], 1.0
	v_mul_f64 v[232:233], v[152:153], v[234:235]
	v_xor_b32_e32 v235, 0x80000000, v235
.LBB114_112:
	s_andn2_saveexec_b64 s[16:17], s[16:17]
	s_cbranch_execz .LBB114_114
; %bb.113:
	v_div_scale_f64 v[152:153], s[18:19], v[232:233], v[232:233], v[234:235]
	v_rcp_f64_e32 v[154:155], v[152:153]
	v_div_scale_f64 v[156:157], vcc, v[234:235], v[232:233], v[234:235]
	v_fma_f64 v[158:159], -v[152:153], v[154:155], 1.0
	v_fmac_f64_e32 v[154:155], v[154:155], v[158:159]
	v_fma_f64 v[158:159], -v[152:153], v[154:155], 1.0
	v_fmac_f64_e32 v[154:155], v[154:155], v[158:159]
	v_mul_f64 v[158:159], v[156:157], v[154:155]
	v_fma_f64 v[152:153], -v[152:153], v[158:159], v[156:157]
	v_div_fmas_f64 v[152:153], v[152:153], v[154:155], v[158:159]
	v_div_fixup_f64 v[152:153], v[152:153], v[232:233], v[234:235]
	v_fmac_f64_e32 v[232:233], v[234:235], v[152:153]
	v_div_scale_f64 v[154:155], s[18:19], v[232:233], v[232:233], 1.0
	v_rcp_f64_e32 v[156:157], v[154:155]
	s_nop 0
	v_fma_f64 v[158:159], -v[154:155], v[156:157], 1.0
	v_fmac_f64_e32 v[156:157], v[156:157], v[158:159]
	v_fma_f64 v[158:159], -v[154:155], v[156:157], 1.0
	v_fmac_f64_e32 v[156:157], v[156:157], v[158:159]
	v_div_scale_f64 v[158:159], vcc, 1.0, v[232:233], 1.0
	v_mul_f64 v[220:221], v[158:159], v[156:157]
	v_fma_f64 v[154:155], -v[154:155], v[220:221], v[158:159]
	s_nop 1
	v_div_fmas_f64 v[154:155], v[154:155], v[156:157], v[220:221]
	v_div_fixup_f64 v[232:233], v[154:155], v[232:233], 1.0
	v_mul_f64 v[234:235], v[152:153], -v[232:233]
.LBB114_114:
	s_or_b64 exec, exec, s[16:17]
.LBB114_115:
	s_or_b64 exec, exec, s[0:1]
	v_cmp_ne_u32_e32 vcc, v245, v242
	s_and_saveexec_b64 s[0:1], vcc
	s_xor_b64 s[0:1], exec, s[0:1]
	s_cbranch_execz .LBB114_121
; %bb.116:
	v_cmp_eq_u32_e32 vcc, 5, v245
	s_and_saveexec_b64 s[16:17], vcc
	s_cbranch_execz .LBB114_120
; %bb.117:
	v_cmp_ne_u32_e32 vcc, 5, v242
	s_xor_b64 s[18:19], s[14:15], -1
	s_and_b64 s[22:23], s[18:19], vcc
	s_and_saveexec_b64 s[18:19], s[22:23]
	s_cbranch_execz .LBB114_119
; %bb.118:
	v_ashrrev_i32_e32 v243, 31, v242
	v_lshl_add_u64 v[152:153], v[242:243], 2, v[4:5]
	global_load_dword v154, v[152:153], off
	global_load_dword v155, v[4:5], off offset:20
	s_waitcnt vmcnt(1)
	global_store_dword v[4:5], v154, off offset:20
	s_waitcnt vmcnt(1)
	global_store_dword v[152:153], v155, off
.LBB114_119:
	s_or_b64 exec, exec, s[18:19]
	v_mov_b32_e32 v245, v242
	v_mov_b32_e32 v236, v242
.LBB114_120:
	s_or_b64 exec, exec, s[16:17]
.LBB114_121:
	s_andn2_saveexec_b64 s[0:1], s[0:1]
	s_cbranch_execz .LBB114_123
; %bb.122:
	v_mov_b32_e32 v245, 5
	ds_write2_b64 v244, v[208:209], v[210:211] offset0:12 offset1:13
	ds_write2_b64 v244, v[204:205], v[206:207] offset0:14 offset1:15
	ds_write2_b64 v244, v[200:201], v[202:203] offset0:16 offset1:17
	ds_write2_b64 v244, v[196:197], v[198:199] offset0:18 offset1:19
	ds_write2_b64 v244, v[192:193], v[194:195] offset0:20 offset1:21
	ds_write2_b64 v244, v[188:189], v[190:191] offset0:22 offset1:23
	ds_write2_b64 v244, v[184:185], v[186:187] offset0:24 offset1:25
	ds_write2_b64 v244, v[180:181], v[182:183] offset0:26 offset1:27
	ds_write2_b64 v244, v[176:177], v[178:179] offset0:28 offset1:29
	ds_write2_b64 v244, v[172:173], v[174:175] offset0:30 offset1:31
	ds_write2_b64 v244, v[168:169], v[170:171] offset0:32 offset1:33
	ds_write2_b64 v244, v[164:165], v[166:167] offset0:34 offset1:35
	ds_write2_b64 v244, v[160:161], v[162:163] offset0:36 offset1:37
	ds_write2_b64 v244, v[148:149], v[150:151] offset0:38 offset1:39
	ds_write2_b64 v244, v[144:145], v[146:147] offset0:40 offset1:41
	ds_write2_b64 v244, v[140:141], v[142:143] offset0:42 offset1:43
	ds_write2_b64 v244, v[136:137], v[138:139] offset0:44 offset1:45
	ds_write2_b64 v244, v[132:133], v[134:135] offset0:46 offset1:47
	ds_write2_b64 v244, v[128:129], v[130:131] offset0:48 offset1:49
	ds_write2_b64 v244, v[124:125], v[126:127] offset0:50 offset1:51
	ds_write2_b64 v244, v[120:121], v[122:123] offset0:52 offset1:53
	ds_write2_b64 v244, v[116:117], v[118:119] offset0:54 offset1:55
	ds_write2_b64 v244, v[112:113], v[114:115] offset0:56 offset1:57
	ds_write2_b64 v244, v[108:109], v[110:111] offset0:58 offset1:59
	ds_write2_b64 v244, v[104:105], v[106:107] offset0:60 offset1:61
	ds_write2_b64 v244, v[100:101], v[102:103] offset0:62 offset1:63
	ds_write2_b64 v244, v[96:97], v[98:99] offset0:64 offset1:65
	ds_write2_b64 v244, v[92:93], v[94:95] offset0:66 offset1:67
	ds_write2_b64 v244, v[88:89], v[90:91] offset0:68 offset1:69
	ds_write2_b64 v244, v[84:85], v[86:87] offset0:70 offset1:71
	ds_write2_b64 v244, v[80:81], v[82:83] offset0:72 offset1:73
	ds_write2_b64 v244, v[76:77], v[78:79] offset0:74 offset1:75
	ds_write2_b64 v244, v[72:73], v[74:75] offset0:76 offset1:77
	ds_write2_b64 v244, v[68:69], v[70:71] offset0:78 offset1:79
	ds_write2_b64 v244, v[64:65], v[66:67] offset0:80 offset1:81
	ds_write2_b64 v244, v[60:61], v[62:63] offset0:82 offset1:83
	ds_write2_b64 v244, v[56:57], v[58:59] offset0:84 offset1:85
	ds_write2_b64 v244, v[52:53], v[54:55] offset0:86 offset1:87
	ds_write2_b64 v244, v[48:49], v[50:51] offset0:88 offset1:89
	ds_write2_b64 v244, v[44:45], v[46:47] offset0:90 offset1:91
	ds_write2_b64 v244, v[40:41], v[42:43] offset0:92 offset1:93
	ds_write2_b64 v244, v[36:37], v[38:39] offset0:94 offset1:95
	ds_write2_b64 v244, v[32:33], v[34:35] offset0:96 offset1:97
	ds_write2_b64 v244, v[28:29], v[30:31] offset0:98 offset1:99
	ds_write2_b64 v244, v[24:25], v[26:27] offset0:100 offset1:101
	ds_write2_b64 v244, v[20:21], v[22:23] offset0:102 offset1:103
	ds_write2_b64 v244, v[16:17], v[18:19] offset0:104 offset1:105
	ds_write2_b64 v244, v[12:13], v[14:15] offset0:106 offset1:107
	ds_write2_b64 v244, v[8:9], v[10:11] offset0:108 offset1:109
	ds_write2_b64 v244, v[224:225], v[226:227] offset0:110 offset1:111
	ds_write2_b64 v244, v[0:1], v[2:3] offset0:112 offset1:113
	ds_write2_b64 v244, v[228:229], v[230:231] offset0:114 offset1:115
.LBB114_123:
	s_or_b64 exec, exec, s[0:1]
	v_cmp_lt_i32_e32 vcc, 5, v245
	s_waitcnt lgkmcnt(0)
	s_barrier
	s_and_saveexec_b64 s[0:1], vcc
	s_cbranch_execz .LBB114_125
; %bb.124:
	ds_read2_b64 v[248:251], v244 offset0:12 offset1:13
	v_mul_f64 v[152:153], v[234:235], v[218:219]
	v_mul_f64 v[218:219], v[232:233], v[218:219]
	v_fma_f64 v[242:243], v[232:233], v[216:217], -v[152:153]
	v_fmac_f64_e32 v[218:219], v[234:235], v[216:217]
	ds_read2_b64 v[232:235], v244 offset0:14 offset1:15
	s_waitcnt lgkmcnt(1)
	v_mul_f64 v[152:153], v[250:251], v[218:219]
	v_mul_f64 v[154:155], v[248:249], v[218:219]
	v_fma_f64 v[152:153], v[248:249], v[242:243], -v[152:153]
	v_fmac_f64_e32 v[154:155], v[250:251], v[242:243]
	ds_read2_b64 v[248:251], v244 offset0:16 offset1:17
	v_add_f64 v[208:209], v[208:209], -v[152:153]
	v_add_f64 v[210:211], v[210:211], -v[154:155]
	s_waitcnt lgkmcnt(1)
	v_mul_f64 v[152:153], v[234:235], v[218:219]
	v_mul_f64 v[154:155], v[232:233], v[218:219]
	v_fma_f64 v[152:153], v[232:233], v[242:243], -v[152:153]
	v_fmac_f64_e32 v[154:155], v[234:235], v[242:243]
	ds_read2_b64 v[232:235], v244 offset0:18 offset1:19
	v_add_f64 v[204:205], v[204:205], -v[152:153]
	v_add_f64 v[206:207], v[206:207], -v[154:155]
	;; [unrolled: 8-line block ×50, first 2 shown]
	s_waitcnt lgkmcnt(1)
	v_mul_f64 v[152:153], v[250:251], v[218:219]
	v_mul_f64 v[154:155], v[248:249], v[218:219]
	v_fma_f64 v[152:153], v[248:249], v[242:243], -v[152:153]
	v_fmac_f64_e32 v[154:155], v[250:251], v[242:243]
	v_add_f64 v[0:1], v[0:1], -v[152:153]
	v_add_f64 v[2:3], v[2:3], -v[154:155]
	s_waitcnt lgkmcnt(0)
	v_mul_f64 v[152:153], v[234:235], v[218:219]
	v_mul_f64 v[154:155], v[232:233], v[218:219]
	v_fma_f64 v[152:153], v[232:233], v[242:243], -v[152:153]
	v_fmac_f64_e32 v[154:155], v[234:235], v[242:243]
	v_add_f64 v[228:229], v[228:229], -v[152:153]
	v_add_f64 v[230:231], v[230:231], -v[154:155]
	v_mov_b64_e32 v[216:217], v[242:243]
.LBB114_125:
	s_or_b64 exec, exec, s[0:1]
	v_lshl_add_u32 v152, v245, 4, v244
	s_barrier
	ds_write2_b64 v152, v[208:209], v[210:211] offset1:1
	s_waitcnt lgkmcnt(0)
	s_barrier
	ds_read2_b64 v[232:235], v244 offset0:12 offset1:13
	s_cmp_lt_i32 s20, 8
	v_mov_b32_e32 v242, 6
	s_cbranch_scc1 .LBB114_128
; %bb.126:
	v_add_u32_e32 v243, 0x70, v244
	s_mov_b32 s0, 7
	v_mov_b32_e32 v242, 6
.LBB114_127:                            ; =>This Inner Loop Header: Depth=1
	ds_read2_b64 v[248:251], v243 offset1:1
	s_waitcnt lgkmcnt(1)
	v_cmp_gt_f64_e32 vcc, 0, v[232:233]
	v_xor_b32_e32 v152, 0x80000000, v233
	v_xor_b32_e32 v154, 0x80000000, v235
	v_cndmask_b32_e32 v153, v233, v152, vcc
	v_cmp_gt_f64_e32 vcc, 0, v[234:235]
	v_mov_b32_e32 v152, v232
	s_waitcnt lgkmcnt(0)
	v_xor_b32_e32 v156, 0x80000000, v251
	v_cndmask_b32_e32 v155, v235, v154, vcc
	v_mov_b32_e32 v154, v234
	v_add_f64 v[152:153], v[152:153], v[154:155]
	v_cmp_gt_f64_e32 vcc, 0, v[248:249]
	v_xor_b32_e32 v154, 0x80000000, v249
	v_add_u32_e32 v243, 16, v243
	v_cndmask_b32_e32 v155, v249, v154, vcc
	v_cmp_gt_f64_e32 vcc, 0, v[250:251]
	v_mov_b32_e32 v154, v248
	s_nop 0
	v_cndmask_b32_e32 v157, v251, v156, vcc
	v_mov_b32_e32 v156, v250
	v_add_f64 v[154:155], v[154:155], v[156:157]
	v_cmp_lt_f64_e32 vcc, v[152:153], v[154:155]
	v_mov_b32_e32 v152, s0
	s_add_i32 s0, s0, 1
	v_cndmask_b32_e32 v233, v233, v249, vcc
	v_cndmask_b32_e32 v232, v232, v248, vcc
	;; [unrolled: 1-line block ×5, first 2 shown]
	s_cmp_lg_u32 s20, s0
	s_cbranch_scc1 .LBB114_127
.LBB114_128:
	s_waitcnt lgkmcnt(0)
	v_cmp_eq_f64_e32 vcc, 0, v[232:233]
	v_cmp_eq_f64_e64 s[0:1], 0, v[234:235]
	s_and_b64 s[0:1], vcc, s[0:1]
	s_and_saveexec_b64 s[16:17], s[0:1]
	s_xor_b64 s[0:1], exec, s[16:17]
; %bb.129:
	v_cmp_ne_u32_e32 vcc, 0, v246
	s_nop 1
	v_cndmask_b32_e32 v246, 7, v246, vcc
; %bb.130:
	s_andn2_saveexec_b64 s[0:1], s[0:1]
	s_cbranch_execz .LBB114_136
; %bb.131:
	v_cmp_ngt_f64_e64 s[16:17], |v[232:233]|, |v[234:235]|
	s_and_saveexec_b64 s[18:19], s[16:17]
	s_xor_b64 s[16:17], exec, s[18:19]
	s_cbranch_execz .LBB114_133
; %bb.132:
	v_div_scale_f64 v[152:153], s[18:19], v[234:235], v[234:235], v[232:233]
	v_rcp_f64_e32 v[154:155], v[152:153]
	v_div_scale_f64 v[156:157], vcc, v[232:233], v[234:235], v[232:233]
	v_fma_f64 v[158:159], -v[152:153], v[154:155], 1.0
	v_fmac_f64_e32 v[154:155], v[154:155], v[158:159]
	v_fma_f64 v[158:159], -v[152:153], v[154:155], 1.0
	v_fmac_f64_e32 v[154:155], v[154:155], v[158:159]
	v_mul_f64 v[158:159], v[156:157], v[154:155]
	v_fma_f64 v[152:153], -v[152:153], v[158:159], v[156:157]
	v_div_fmas_f64 v[152:153], v[152:153], v[154:155], v[158:159]
	v_div_fixup_f64 v[152:153], v[152:153], v[234:235], v[232:233]
	v_fmac_f64_e32 v[234:235], v[232:233], v[152:153]
	v_div_scale_f64 v[154:155], s[18:19], v[234:235], v[234:235], 1.0
	v_rcp_f64_e32 v[156:157], v[154:155]
	s_nop 0
	v_fma_f64 v[158:159], -v[154:155], v[156:157], 1.0
	v_fmac_f64_e32 v[156:157], v[156:157], v[158:159]
	v_fma_f64 v[158:159], -v[154:155], v[156:157], 1.0
	v_fmac_f64_e32 v[156:157], v[156:157], v[158:159]
	v_div_scale_f64 v[158:159], vcc, 1.0, v[234:235], 1.0
	v_mul_f64 v[220:221], v[158:159], v[156:157]
	v_fma_f64 v[154:155], -v[154:155], v[220:221], v[158:159]
	s_nop 1
	v_div_fmas_f64 v[154:155], v[154:155], v[156:157], v[220:221]
	v_div_fixup_f64 v[234:235], v[154:155], v[234:235], 1.0
	v_mul_f64 v[232:233], v[152:153], v[234:235]
	v_xor_b32_e32 v235, 0x80000000, v235
.LBB114_133:
	s_andn2_saveexec_b64 s[16:17], s[16:17]
	s_cbranch_execz .LBB114_135
; %bb.134:
	v_div_scale_f64 v[152:153], s[18:19], v[232:233], v[232:233], v[234:235]
	v_rcp_f64_e32 v[154:155], v[152:153]
	v_div_scale_f64 v[156:157], vcc, v[234:235], v[232:233], v[234:235]
	v_fma_f64 v[158:159], -v[152:153], v[154:155], 1.0
	v_fmac_f64_e32 v[154:155], v[154:155], v[158:159]
	v_fma_f64 v[158:159], -v[152:153], v[154:155], 1.0
	v_fmac_f64_e32 v[154:155], v[154:155], v[158:159]
	v_mul_f64 v[158:159], v[156:157], v[154:155]
	v_fma_f64 v[152:153], -v[152:153], v[158:159], v[156:157]
	v_div_fmas_f64 v[152:153], v[152:153], v[154:155], v[158:159]
	v_div_fixup_f64 v[152:153], v[152:153], v[232:233], v[234:235]
	v_fmac_f64_e32 v[232:233], v[234:235], v[152:153]
	v_div_scale_f64 v[154:155], s[18:19], v[232:233], v[232:233], 1.0
	v_rcp_f64_e32 v[156:157], v[154:155]
	s_nop 0
	v_fma_f64 v[158:159], -v[154:155], v[156:157], 1.0
	v_fmac_f64_e32 v[156:157], v[156:157], v[158:159]
	v_fma_f64 v[158:159], -v[154:155], v[156:157], 1.0
	v_fmac_f64_e32 v[156:157], v[156:157], v[158:159]
	v_div_scale_f64 v[158:159], vcc, 1.0, v[232:233], 1.0
	v_mul_f64 v[220:221], v[158:159], v[156:157]
	v_fma_f64 v[154:155], -v[154:155], v[220:221], v[158:159]
	s_nop 1
	v_div_fmas_f64 v[154:155], v[154:155], v[156:157], v[220:221]
	v_div_fixup_f64 v[232:233], v[154:155], v[232:233], 1.0
	v_mul_f64 v[234:235], v[152:153], -v[232:233]
.LBB114_135:
	s_or_b64 exec, exec, s[16:17]
.LBB114_136:
	s_or_b64 exec, exec, s[0:1]
	v_cmp_ne_u32_e32 vcc, v245, v242
	s_and_saveexec_b64 s[0:1], vcc
	s_xor_b64 s[0:1], exec, s[0:1]
	s_cbranch_execz .LBB114_142
; %bb.137:
	v_cmp_eq_u32_e32 vcc, 6, v245
	s_and_saveexec_b64 s[16:17], vcc
	s_cbranch_execz .LBB114_141
; %bb.138:
	v_cmp_ne_u32_e32 vcc, 6, v242
	s_xor_b64 s[18:19], s[14:15], -1
	s_and_b64 s[22:23], s[18:19], vcc
	s_and_saveexec_b64 s[18:19], s[22:23]
	s_cbranch_execz .LBB114_140
; %bb.139:
	v_ashrrev_i32_e32 v243, 31, v242
	v_lshl_add_u64 v[152:153], v[242:243], 2, v[4:5]
	global_load_dword v154, v[152:153], off
	global_load_dword v155, v[4:5], off offset:24
	s_waitcnt vmcnt(1)
	global_store_dword v[4:5], v154, off offset:24
	s_waitcnt vmcnt(1)
	global_store_dword v[152:153], v155, off
.LBB114_140:
	s_or_b64 exec, exec, s[18:19]
	v_mov_b32_e32 v245, v242
	v_mov_b32_e32 v236, v242
.LBB114_141:
	s_or_b64 exec, exec, s[16:17]
.LBB114_142:
	s_andn2_saveexec_b64 s[0:1], s[0:1]
	s_cbranch_execz .LBB114_144
; %bb.143:
	v_mov_b32_e32 v245, 6
	ds_write2_b64 v244, v[204:205], v[206:207] offset0:14 offset1:15
	ds_write2_b64 v244, v[200:201], v[202:203] offset0:16 offset1:17
	;; [unrolled: 1-line block ×51, first 2 shown]
.LBB114_144:
	s_or_b64 exec, exec, s[0:1]
	v_cmp_lt_i32_e32 vcc, 6, v245
	s_waitcnt lgkmcnt(0)
	s_barrier
	s_and_saveexec_b64 s[0:1], vcc
	s_cbranch_execz .LBB114_146
; %bb.145:
	ds_read2_b64 v[248:251], v244 offset0:14 offset1:15
	v_mul_f64 v[152:153], v[234:235], v[210:211]
	v_mul_f64 v[210:211], v[232:233], v[210:211]
	v_fma_f64 v[242:243], v[232:233], v[208:209], -v[152:153]
	v_fmac_f64_e32 v[210:211], v[234:235], v[208:209]
	ds_read2_b64 v[232:235], v244 offset0:16 offset1:17
	s_waitcnt lgkmcnt(1)
	v_mul_f64 v[152:153], v[250:251], v[210:211]
	v_mul_f64 v[154:155], v[248:249], v[210:211]
	v_fma_f64 v[152:153], v[248:249], v[242:243], -v[152:153]
	v_fmac_f64_e32 v[154:155], v[250:251], v[242:243]
	ds_read2_b64 v[248:251], v244 offset0:18 offset1:19
	v_add_f64 v[204:205], v[204:205], -v[152:153]
	v_add_f64 v[206:207], v[206:207], -v[154:155]
	s_waitcnt lgkmcnt(1)
	v_mul_f64 v[152:153], v[234:235], v[210:211]
	v_mul_f64 v[154:155], v[232:233], v[210:211]
	v_fma_f64 v[152:153], v[232:233], v[242:243], -v[152:153]
	v_fmac_f64_e32 v[154:155], v[234:235], v[242:243]
	ds_read2_b64 v[232:235], v244 offset0:20 offset1:21
	v_add_f64 v[200:201], v[200:201], -v[152:153]
	v_add_f64 v[202:203], v[202:203], -v[154:155]
	s_waitcnt lgkmcnt(1)
	v_mul_f64 v[152:153], v[250:251], v[210:211]
	v_mul_f64 v[154:155], v[248:249], v[210:211]
	v_fma_f64 v[152:153], v[248:249], v[242:243], -v[152:153]
	v_fmac_f64_e32 v[154:155], v[250:251], v[242:243]
	ds_read2_b64 v[248:251], v244 offset0:22 offset1:23
	v_add_f64 v[196:197], v[196:197], -v[152:153]
	v_add_f64 v[198:199], v[198:199], -v[154:155]
	s_waitcnt lgkmcnt(1)
	v_mul_f64 v[152:153], v[234:235], v[210:211]
	v_mul_f64 v[154:155], v[232:233], v[210:211]
	v_fma_f64 v[152:153], v[232:233], v[242:243], -v[152:153]
	v_fmac_f64_e32 v[154:155], v[234:235], v[242:243]
	ds_read2_b64 v[232:235], v244 offset0:24 offset1:25
	v_add_f64 v[192:193], v[192:193], -v[152:153]
	v_add_f64 v[194:195], v[194:195], -v[154:155]
	s_waitcnt lgkmcnt(1)
	v_mul_f64 v[152:153], v[250:251], v[210:211]
	v_mul_f64 v[154:155], v[248:249], v[210:211]
	v_fma_f64 v[152:153], v[248:249], v[242:243], -v[152:153]
	v_fmac_f64_e32 v[154:155], v[250:251], v[242:243]
	ds_read2_b64 v[248:251], v244 offset0:26 offset1:27
	v_add_f64 v[188:189], v[188:189], -v[152:153]
	v_add_f64 v[190:191], v[190:191], -v[154:155]
	s_waitcnt lgkmcnt(1)
	v_mul_f64 v[152:153], v[234:235], v[210:211]
	v_mul_f64 v[154:155], v[232:233], v[210:211]
	v_fma_f64 v[152:153], v[232:233], v[242:243], -v[152:153]
	v_fmac_f64_e32 v[154:155], v[234:235], v[242:243]
	ds_read2_b64 v[232:235], v244 offset0:28 offset1:29
	v_add_f64 v[184:185], v[184:185], -v[152:153]
	v_add_f64 v[186:187], v[186:187], -v[154:155]
	s_waitcnt lgkmcnt(1)
	v_mul_f64 v[152:153], v[250:251], v[210:211]
	v_mul_f64 v[154:155], v[248:249], v[210:211]
	v_fma_f64 v[152:153], v[248:249], v[242:243], -v[152:153]
	v_fmac_f64_e32 v[154:155], v[250:251], v[242:243]
	ds_read2_b64 v[248:251], v244 offset0:30 offset1:31
	v_add_f64 v[180:181], v[180:181], -v[152:153]
	v_add_f64 v[182:183], v[182:183], -v[154:155]
	s_waitcnt lgkmcnt(1)
	v_mul_f64 v[152:153], v[234:235], v[210:211]
	v_mul_f64 v[154:155], v[232:233], v[210:211]
	v_fma_f64 v[152:153], v[232:233], v[242:243], -v[152:153]
	v_fmac_f64_e32 v[154:155], v[234:235], v[242:243]
	ds_read2_b64 v[232:235], v244 offset0:32 offset1:33
	v_add_f64 v[176:177], v[176:177], -v[152:153]
	v_add_f64 v[178:179], v[178:179], -v[154:155]
	s_waitcnt lgkmcnt(1)
	v_mul_f64 v[152:153], v[250:251], v[210:211]
	v_mul_f64 v[154:155], v[248:249], v[210:211]
	v_fma_f64 v[152:153], v[248:249], v[242:243], -v[152:153]
	v_fmac_f64_e32 v[154:155], v[250:251], v[242:243]
	ds_read2_b64 v[248:251], v244 offset0:34 offset1:35
	v_add_f64 v[172:173], v[172:173], -v[152:153]
	v_add_f64 v[174:175], v[174:175], -v[154:155]
	s_waitcnt lgkmcnt(1)
	v_mul_f64 v[152:153], v[234:235], v[210:211]
	v_mul_f64 v[154:155], v[232:233], v[210:211]
	v_fma_f64 v[152:153], v[232:233], v[242:243], -v[152:153]
	v_fmac_f64_e32 v[154:155], v[234:235], v[242:243]
	ds_read2_b64 v[232:235], v244 offset0:36 offset1:37
	v_add_f64 v[168:169], v[168:169], -v[152:153]
	v_add_f64 v[170:171], v[170:171], -v[154:155]
	s_waitcnt lgkmcnt(1)
	v_mul_f64 v[152:153], v[250:251], v[210:211]
	v_mul_f64 v[154:155], v[248:249], v[210:211]
	v_fma_f64 v[152:153], v[248:249], v[242:243], -v[152:153]
	v_fmac_f64_e32 v[154:155], v[250:251], v[242:243]
	ds_read2_b64 v[248:251], v244 offset0:38 offset1:39
	v_add_f64 v[164:165], v[164:165], -v[152:153]
	v_add_f64 v[166:167], v[166:167], -v[154:155]
	s_waitcnt lgkmcnt(1)
	v_mul_f64 v[152:153], v[234:235], v[210:211]
	v_mul_f64 v[154:155], v[232:233], v[210:211]
	v_fma_f64 v[152:153], v[232:233], v[242:243], -v[152:153]
	v_fmac_f64_e32 v[154:155], v[234:235], v[242:243]
	ds_read2_b64 v[232:235], v244 offset0:40 offset1:41
	v_add_f64 v[160:161], v[160:161], -v[152:153]
	v_add_f64 v[162:163], v[162:163], -v[154:155]
	s_waitcnt lgkmcnt(1)
	v_mul_f64 v[152:153], v[250:251], v[210:211]
	v_mul_f64 v[154:155], v[248:249], v[210:211]
	v_fma_f64 v[152:153], v[248:249], v[242:243], -v[152:153]
	v_fmac_f64_e32 v[154:155], v[250:251], v[242:243]
	ds_read2_b64 v[248:251], v244 offset0:42 offset1:43
	v_add_f64 v[148:149], v[148:149], -v[152:153]
	v_add_f64 v[150:151], v[150:151], -v[154:155]
	s_waitcnt lgkmcnt(1)
	v_mul_f64 v[152:153], v[234:235], v[210:211]
	v_mul_f64 v[154:155], v[232:233], v[210:211]
	v_fma_f64 v[152:153], v[232:233], v[242:243], -v[152:153]
	v_fmac_f64_e32 v[154:155], v[234:235], v[242:243]
	ds_read2_b64 v[232:235], v244 offset0:44 offset1:45
	v_add_f64 v[144:145], v[144:145], -v[152:153]
	v_add_f64 v[146:147], v[146:147], -v[154:155]
	s_waitcnt lgkmcnt(1)
	v_mul_f64 v[152:153], v[250:251], v[210:211]
	v_mul_f64 v[154:155], v[248:249], v[210:211]
	v_fma_f64 v[152:153], v[248:249], v[242:243], -v[152:153]
	v_fmac_f64_e32 v[154:155], v[250:251], v[242:243]
	ds_read2_b64 v[248:251], v244 offset0:46 offset1:47
	v_add_f64 v[140:141], v[140:141], -v[152:153]
	v_add_f64 v[142:143], v[142:143], -v[154:155]
	s_waitcnt lgkmcnt(1)
	v_mul_f64 v[152:153], v[234:235], v[210:211]
	v_mul_f64 v[154:155], v[232:233], v[210:211]
	v_fma_f64 v[152:153], v[232:233], v[242:243], -v[152:153]
	v_fmac_f64_e32 v[154:155], v[234:235], v[242:243]
	ds_read2_b64 v[232:235], v244 offset0:48 offset1:49
	v_add_f64 v[136:137], v[136:137], -v[152:153]
	v_add_f64 v[138:139], v[138:139], -v[154:155]
	s_waitcnt lgkmcnt(1)
	v_mul_f64 v[152:153], v[250:251], v[210:211]
	v_mul_f64 v[154:155], v[248:249], v[210:211]
	v_fma_f64 v[152:153], v[248:249], v[242:243], -v[152:153]
	v_fmac_f64_e32 v[154:155], v[250:251], v[242:243]
	ds_read2_b64 v[248:251], v244 offset0:50 offset1:51
	v_add_f64 v[132:133], v[132:133], -v[152:153]
	v_add_f64 v[134:135], v[134:135], -v[154:155]
	s_waitcnt lgkmcnt(1)
	v_mul_f64 v[152:153], v[234:235], v[210:211]
	v_mul_f64 v[154:155], v[232:233], v[210:211]
	v_fma_f64 v[152:153], v[232:233], v[242:243], -v[152:153]
	v_fmac_f64_e32 v[154:155], v[234:235], v[242:243]
	ds_read2_b64 v[232:235], v244 offset0:52 offset1:53
	v_add_f64 v[128:129], v[128:129], -v[152:153]
	v_add_f64 v[130:131], v[130:131], -v[154:155]
	s_waitcnt lgkmcnt(1)
	v_mul_f64 v[152:153], v[250:251], v[210:211]
	v_mul_f64 v[154:155], v[248:249], v[210:211]
	v_fma_f64 v[152:153], v[248:249], v[242:243], -v[152:153]
	v_fmac_f64_e32 v[154:155], v[250:251], v[242:243]
	ds_read2_b64 v[248:251], v244 offset0:54 offset1:55
	v_add_f64 v[124:125], v[124:125], -v[152:153]
	v_add_f64 v[126:127], v[126:127], -v[154:155]
	s_waitcnt lgkmcnt(1)
	v_mul_f64 v[152:153], v[234:235], v[210:211]
	v_mul_f64 v[154:155], v[232:233], v[210:211]
	v_fma_f64 v[152:153], v[232:233], v[242:243], -v[152:153]
	v_fmac_f64_e32 v[154:155], v[234:235], v[242:243]
	ds_read2_b64 v[232:235], v244 offset0:56 offset1:57
	v_add_f64 v[120:121], v[120:121], -v[152:153]
	v_add_f64 v[122:123], v[122:123], -v[154:155]
	s_waitcnt lgkmcnt(1)
	v_mul_f64 v[152:153], v[250:251], v[210:211]
	v_mul_f64 v[154:155], v[248:249], v[210:211]
	v_fma_f64 v[152:153], v[248:249], v[242:243], -v[152:153]
	v_fmac_f64_e32 v[154:155], v[250:251], v[242:243]
	ds_read2_b64 v[248:251], v244 offset0:58 offset1:59
	v_add_f64 v[116:117], v[116:117], -v[152:153]
	v_add_f64 v[118:119], v[118:119], -v[154:155]
	s_waitcnt lgkmcnt(1)
	v_mul_f64 v[152:153], v[234:235], v[210:211]
	v_mul_f64 v[154:155], v[232:233], v[210:211]
	v_fma_f64 v[152:153], v[232:233], v[242:243], -v[152:153]
	v_fmac_f64_e32 v[154:155], v[234:235], v[242:243]
	ds_read2_b64 v[232:235], v244 offset0:60 offset1:61
	v_add_f64 v[112:113], v[112:113], -v[152:153]
	v_add_f64 v[114:115], v[114:115], -v[154:155]
	s_waitcnt lgkmcnt(1)
	v_mul_f64 v[152:153], v[250:251], v[210:211]
	v_mul_f64 v[154:155], v[248:249], v[210:211]
	v_fma_f64 v[152:153], v[248:249], v[242:243], -v[152:153]
	v_fmac_f64_e32 v[154:155], v[250:251], v[242:243]
	ds_read2_b64 v[248:251], v244 offset0:62 offset1:63
	v_add_f64 v[108:109], v[108:109], -v[152:153]
	v_add_f64 v[110:111], v[110:111], -v[154:155]
	s_waitcnt lgkmcnt(1)
	v_mul_f64 v[152:153], v[234:235], v[210:211]
	v_mul_f64 v[154:155], v[232:233], v[210:211]
	v_fma_f64 v[152:153], v[232:233], v[242:243], -v[152:153]
	v_fmac_f64_e32 v[154:155], v[234:235], v[242:243]
	ds_read2_b64 v[232:235], v244 offset0:64 offset1:65
	v_add_f64 v[104:105], v[104:105], -v[152:153]
	v_add_f64 v[106:107], v[106:107], -v[154:155]
	s_waitcnt lgkmcnt(1)
	v_mul_f64 v[152:153], v[250:251], v[210:211]
	v_mul_f64 v[154:155], v[248:249], v[210:211]
	v_fma_f64 v[152:153], v[248:249], v[242:243], -v[152:153]
	v_fmac_f64_e32 v[154:155], v[250:251], v[242:243]
	ds_read2_b64 v[248:251], v244 offset0:66 offset1:67
	v_add_f64 v[100:101], v[100:101], -v[152:153]
	v_add_f64 v[102:103], v[102:103], -v[154:155]
	s_waitcnt lgkmcnt(1)
	v_mul_f64 v[152:153], v[234:235], v[210:211]
	v_mul_f64 v[154:155], v[232:233], v[210:211]
	v_fma_f64 v[152:153], v[232:233], v[242:243], -v[152:153]
	v_fmac_f64_e32 v[154:155], v[234:235], v[242:243]
	ds_read2_b64 v[232:235], v244 offset0:68 offset1:69
	v_add_f64 v[96:97], v[96:97], -v[152:153]
	v_add_f64 v[98:99], v[98:99], -v[154:155]
	s_waitcnt lgkmcnt(1)
	v_mul_f64 v[152:153], v[250:251], v[210:211]
	v_mul_f64 v[154:155], v[248:249], v[210:211]
	v_fma_f64 v[152:153], v[248:249], v[242:243], -v[152:153]
	v_fmac_f64_e32 v[154:155], v[250:251], v[242:243]
	ds_read2_b64 v[248:251], v244 offset0:70 offset1:71
	v_add_f64 v[92:93], v[92:93], -v[152:153]
	v_add_f64 v[94:95], v[94:95], -v[154:155]
	s_waitcnt lgkmcnt(1)
	v_mul_f64 v[152:153], v[234:235], v[210:211]
	v_mul_f64 v[154:155], v[232:233], v[210:211]
	v_fma_f64 v[152:153], v[232:233], v[242:243], -v[152:153]
	v_fmac_f64_e32 v[154:155], v[234:235], v[242:243]
	ds_read2_b64 v[232:235], v244 offset0:72 offset1:73
	v_add_f64 v[88:89], v[88:89], -v[152:153]
	v_add_f64 v[90:91], v[90:91], -v[154:155]
	s_waitcnt lgkmcnt(1)
	v_mul_f64 v[152:153], v[250:251], v[210:211]
	v_mul_f64 v[154:155], v[248:249], v[210:211]
	v_fma_f64 v[152:153], v[248:249], v[242:243], -v[152:153]
	v_fmac_f64_e32 v[154:155], v[250:251], v[242:243]
	ds_read2_b64 v[248:251], v244 offset0:74 offset1:75
	v_add_f64 v[84:85], v[84:85], -v[152:153]
	v_add_f64 v[86:87], v[86:87], -v[154:155]
	s_waitcnt lgkmcnt(1)
	v_mul_f64 v[152:153], v[234:235], v[210:211]
	v_mul_f64 v[154:155], v[232:233], v[210:211]
	v_fma_f64 v[152:153], v[232:233], v[242:243], -v[152:153]
	v_fmac_f64_e32 v[154:155], v[234:235], v[242:243]
	ds_read2_b64 v[232:235], v244 offset0:76 offset1:77
	v_add_f64 v[80:81], v[80:81], -v[152:153]
	v_add_f64 v[82:83], v[82:83], -v[154:155]
	s_waitcnt lgkmcnt(1)
	v_mul_f64 v[152:153], v[250:251], v[210:211]
	v_mul_f64 v[154:155], v[248:249], v[210:211]
	v_fma_f64 v[152:153], v[248:249], v[242:243], -v[152:153]
	v_fmac_f64_e32 v[154:155], v[250:251], v[242:243]
	ds_read2_b64 v[248:251], v244 offset0:78 offset1:79
	v_add_f64 v[76:77], v[76:77], -v[152:153]
	v_add_f64 v[78:79], v[78:79], -v[154:155]
	s_waitcnt lgkmcnt(1)
	v_mul_f64 v[152:153], v[234:235], v[210:211]
	v_mul_f64 v[154:155], v[232:233], v[210:211]
	v_fma_f64 v[152:153], v[232:233], v[242:243], -v[152:153]
	v_fmac_f64_e32 v[154:155], v[234:235], v[242:243]
	ds_read2_b64 v[232:235], v244 offset0:80 offset1:81
	v_add_f64 v[72:73], v[72:73], -v[152:153]
	v_add_f64 v[74:75], v[74:75], -v[154:155]
	s_waitcnt lgkmcnt(1)
	v_mul_f64 v[152:153], v[250:251], v[210:211]
	v_mul_f64 v[154:155], v[248:249], v[210:211]
	v_fma_f64 v[152:153], v[248:249], v[242:243], -v[152:153]
	v_fmac_f64_e32 v[154:155], v[250:251], v[242:243]
	ds_read2_b64 v[248:251], v244 offset0:82 offset1:83
	v_add_f64 v[68:69], v[68:69], -v[152:153]
	v_add_f64 v[70:71], v[70:71], -v[154:155]
	s_waitcnt lgkmcnt(1)
	v_mul_f64 v[152:153], v[234:235], v[210:211]
	v_mul_f64 v[154:155], v[232:233], v[210:211]
	v_fma_f64 v[152:153], v[232:233], v[242:243], -v[152:153]
	v_fmac_f64_e32 v[154:155], v[234:235], v[242:243]
	ds_read2_b64 v[232:235], v244 offset0:84 offset1:85
	v_add_f64 v[64:65], v[64:65], -v[152:153]
	v_add_f64 v[66:67], v[66:67], -v[154:155]
	s_waitcnt lgkmcnt(1)
	v_mul_f64 v[152:153], v[250:251], v[210:211]
	v_mul_f64 v[154:155], v[248:249], v[210:211]
	v_fma_f64 v[152:153], v[248:249], v[242:243], -v[152:153]
	v_fmac_f64_e32 v[154:155], v[250:251], v[242:243]
	ds_read2_b64 v[248:251], v244 offset0:86 offset1:87
	v_add_f64 v[60:61], v[60:61], -v[152:153]
	v_add_f64 v[62:63], v[62:63], -v[154:155]
	s_waitcnt lgkmcnt(1)
	v_mul_f64 v[152:153], v[234:235], v[210:211]
	v_mul_f64 v[154:155], v[232:233], v[210:211]
	v_fma_f64 v[152:153], v[232:233], v[242:243], -v[152:153]
	v_fmac_f64_e32 v[154:155], v[234:235], v[242:243]
	ds_read2_b64 v[232:235], v244 offset0:88 offset1:89
	v_add_f64 v[56:57], v[56:57], -v[152:153]
	v_add_f64 v[58:59], v[58:59], -v[154:155]
	s_waitcnt lgkmcnt(1)
	v_mul_f64 v[152:153], v[250:251], v[210:211]
	v_mul_f64 v[154:155], v[248:249], v[210:211]
	v_fma_f64 v[152:153], v[248:249], v[242:243], -v[152:153]
	v_fmac_f64_e32 v[154:155], v[250:251], v[242:243]
	ds_read2_b64 v[248:251], v244 offset0:90 offset1:91
	v_add_f64 v[52:53], v[52:53], -v[152:153]
	v_add_f64 v[54:55], v[54:55], -v[154:155]
	s_waitcnt lgkmcnt(1)
	v_mul_f64 v[152:153], v[234:235], v[210:211]
	v_mul_f64 v[154:155], v[232:233], v[210:211]
	v_fma_f64 v[152:153], v[232:233], v[242:243], -v[152:153]
	v_fmac_f64_e32 v[154:155], v[234:235], v[242:243]
	ds_read2_b64 v[232:235], v244 offset0:92 offset1:93
	v_add_f64 v[48:49], v[48:49], -v[152:153]
	v_add_f64 v[50:51], v[50:51], -v[154:155]
	s_waitcnt lgkmcnt(1)
	v_mul_f64 v[152:153], v[250:251], v[210:211]
	v_mul_f64 v[154:155], v[248:249], v[210:211]
	v_fma_f64 v[152:153], v[248:249], v[242:243], -v[152:153]
	v_fmac_f64_e32 v[154:155], v[250:251], v[242:243]
	ds_read2_b64 v[248:251], v244 offset0:94 offset1:95
	v_add_f64 v[44:45], v[44:45], -v[152:153]
	v_add_f64 v[46:47], v[46:47], -v[154:155]
	s_waitcnt lgkmcnt(1)
	v_mul_f64 v[152:153], v[234:235], v[210:211]
	v_mul_f64 v[154:155], v[232:233], v[210:211]
	v_fma_f64 v[152:153], v[232:233], v[242:243], -v[152:153]
	v_fmac_f64_e32 v[154:155], v[234:235], v[242:243]
	ds_read2_b64 v[232:235], v244 offset0:96 offset1:97
	v_add_f64 v[40:41], v[40:41], -v[152:153]
	v_add_f64 v[42:43], v[42:43], -v[154:155]
	s_waitcnt lgkmcnt(1)
	v_mul_f64 v[152:153], v[250:251], v[210:211]
	v_mul_f64 v[154:155], v[248:249], v[210:211]
	v_fma_f64 v[152:153], v[248:249], v[242:243], -v[152:153]
	v_fmac_f64_e32 v[154:155], v[250:251], v[242:243]
	ds_read2_b64 v[248:251], v244 offset0:98 offset1:99
	v_add_f64 v[36:37], v[36:37], -v[152:153]
	v_add_f64 v[38:39], v[38:39], -v[154:155]
	s_waitcnt lgkmcnt(1)
	v_mul_f64 v[152:153], v[234:235], v[210:211]
	v_mul_f64 v[154:155], v[232:233], v[210:211]
	v_fma_f64 v[152:153], v[232:233], v[242:243], -v[152:153]
	v_fmac_f64_e32 v[154:155], v[234:235], v[242:243]
	ds_read2_b64 v[232:235], v244 offset0:100 offset1:101
	v_add_f64 v[32:33], v[32:33], -v[152:153]
	v_add_f64 v[34:35], v[34:35], -v[154:155]
	s_waitcnt lgkmcnt(1)
	v_mul_f64 v[152:153], v[250:251], v[210:211]
	v_mul_f64 v[154:155], v[248:249], v[210:211]
	v_fma_f64 v[152:153], v[248:249], v[242:243], -v[152:153]
	v_fmac_f64_e32 v[154:155], v[250:251], v[242:243]
	ds_read2_b64 v[248:251], v244 offset0:102 offset1:103
	v_add_f64 v[28:29], v[28:29], -v[152:153]
	v_add_f64 v[30:31], v[30:31], -v[154:155]
	s_waitcnt lgkmcnt(1)
	v_mul_f64 v[152:153], v[234:235], v[210:211]
	v_mul_f64 v[154:155], v[232:233], v[210:211]
	v_fma_f64 v[152:153], v[232:233], v[242:243], -v[152:153]
	v_fmac_f64_e32 v[154:155], v[234:235], v[242:243]
	ds_read2_b64 v[232:235], v244 offset0:104 offset1:105
	v_add_f64 v[24:25], v[24:25], -v[152:153]
	v_add_f64 v[26:27], v[26:27], -v[154:155]
	s_waitcnt lgkmcnt(1)
	v_mul_f64 v[152:153], v[250:251], v[210:211]
	v_mul_f64 v[154:155], v[248:249], v[210:211]
	v_fma_f64 v[152:153], v[248:249], v[242:243], -v[152:153]
	v_fmac_f64_e32 v[154:155], v[250:251], v[242:243]
	ds_read2_b64 v[248:251], v244 offset0:106 offset1:107
	v_add_f64 v[20:21], v[20:21], -v[152:153]
	v_add_f64 v[22:23], v[22:23], -v[154:155]
	s_waitcnt lgkmcnt(1)
	v_mul_f64 v[152:153], v[234:235], v[210:211]
	v_mul_f64 v[154:155], v[232:233], v[210:211]
	v_fma_f64 v[152:153], v[232:233], v[242:243], -v[152:153]
	v_fmac_f64_e32 v[154:155], v[234:235], v[242:243]
	ds_read2_b64 v[232:235], v244 offset0:108 offset1:109
	v_add_f64 v[16:17], v[16:17], -v[152:153]
	v_add_f64 v[18:19], v[18:19], -v[154:155]
	s_waitcnt lgkmcnt(1)
	v_mul_f64 v[152:153], v[250:251], v[210:211]
	v_mul_f64 v[154:155], v[248:249], v[210:211]
	v_fma_f64 v[152:153], v[248:249], v[242:243], -v[152:153]
	v_fmac_f64_e32 v[154:155], v[250:251], v[242:243]
	ds_read2_b64 v[248:251], v244 offset0:110 offset1:111
	v_add_f64 v[12:13], v[12:13], -v[152:153]
	v_add_f64 v[14:15], v[14:15], -v[154:155]
	s_waitcnt lgkmcnt(1)
	v_mul_f64 v[152:153], v[234:235], v[210:211]
	v_mul_f64 v[154:155], v[232:233], v[210:211]
	v_fma_f64 v[152:153], v[232:233], v[242:243], -v[152:153]
	v_fmac_f64_e32 v[154:155], v[234:235], v[242:243]
	ds_read2_b64 v[232:235], v244 offset0:112 offset1:113
	v_add_f64 v[8:9], v[8:9], -v[152:153]
	v_add_f64 v[10:11], v[10:11], -v[154:155]
	s_waitcnt lgkmcnt(1)
	v_mul_f64 v[152:153], v[250:251], v[210:211]
	v_mul_f64 v[154:155], v[248:249], v[210:211]
	v_fma_f64 v[152:153], v[248:249], v[242:243], -v[152:153]
	v_fmac_f64_e32 v[154:155], v[250:251], v[242:243]
	ds_read2_b64 v[248:251], v244 offset0:114 offset1:115
	v_add_f64 v[224:225], v[224:225], -v[152:153]
	v_add_f64 v[226:227], v[226:227], -v[154:155]
	s_waitcnt lgkmcnt(1)
	v_mul_f64 v[152:153], v[234:235], v[210:211]
	v_mul_f64 v[154:155], v[232:233], v[210:211]
	v_fma_f64 v[152:153], v[232:233], v[242:243], -v[152:153]
	v_fmac_f64_e32 v[154:155], v[234:235], v[242:243]
	v_add_f64 v[0:1], v[0:1], -v[152:153]
	v_add_f64 v[2:3], v[2:3], -v[154:155]
	s_waitcnt lgkmcnt(0)
	v_mul_f64 v[152:153], v[250:251], v[210:211]
	v_mul_f64 v[154:155], v[248:249], v[210:211]
	v_fma_f64 v[152:153], v[248:249], v[242:243], -v[152:153]
	v_fmac_f64_e32 v[154:155], v[250:251], v[242:243]
	v_add_f64 v[228:229], v[228:229], -v[152:153]
	v_add_f64 v[230:231], v[230:231], -v[154:155]
	v_mov_b64_e32 v[208:209], v[242:243]
.LBB114_146:
	s_or_b64 exec, exec, s[0:1]
	v_lshl_add_u32 v152, v245, 4, v244
	s_barrier
	ds_write2_b64 v152, v[204:205], v[206:207] offset1:1
	s_waitcnt lgkmcnt(0)
	s_barrier
	ds_read2_b64 v[232:235], v244 offset0:14 offset1:15
	s_cmp_lt_i32 s20, 9
	v_mov_b32_e32 v242, 7
	s_cbranch_scc1 .LBB114_149
; %bb.147:
	v_add_u32_e32 v243, 0x80, v244
	s_mov_b32 s0, 8
	v_mov_b32_e32 v242, 7
.LBB114_148:                            ; =>This Inner Loop Header: Depth=1
	ds_read2_b64 v[248:251], v243 offset1:1
	s_waitcnt lgkmcnt(1)
	v_cmp_gt_f64_e32 vcc, 0, v[232:233]
	v_xor_b32_e32 v152, 0x80000000, v233
	v_xor_b32_e32 v154, 0x80000000, v235
	v_cndmask_b32_e32 v153, v233, v152, vcc
	v_cmp_gt_f64_e32 vcc, 0, v[234:235]
	v_mov_b32_e32 v152, v232
	s_waitcnt lgkmcnt(0)
	v_xor_b32_e32 v156, 0x80000000, v251
	v_cndmask_b32_e32 v155, v235, v154, vcc
	v_mov_b32_e32 v154, v234
	v_add_f64 v[152:153], v[152:153], v[154:155]
	v_cmp_gt_f64_e32 vcc, 0, v[248:249]
	v_xor_b32_e32 v154, 0x80000000, v249
	v_add_u32_e32 v243, 16, v243
	v_cndmask_b32_e32 v155, v249, v154, vcc
	v_cmp_gt_f64_e32 vcc, 0, v[250:251]
	v_mov_b32_e32 v154, v248
	s_nop 0
	v_cndmask_b32_e32 v157, v251, v156, vcc
	v_mov_b32_e32 v156, v250
	v_add_f64 v[154:155], v[154:155], v[156:157]
	v_cmp_lt_f64_e32 vcc, v[152:153], v[154:155]
	v_mov_b32_e32 v152, s0
	s_add_i32 s0, s0, 1
	v_cndmask_b32_e32 v233, v233, v249, vcc
	v_cndmask_b32_e32 v232, v232, v248, vcc
	;; [unrolled: 1-line block ×5, first 2 shown]
	s_cmp_lg_u32 s20, s0
	s_cbranch_scc1 .LBB114_148
.LBB114_149:
	s_waitcnt lgkmcnt(0)
	v_cmp_eq_f64_e32 vcc, 0, v[232:233]
	v_cmp_eq_f64_e64 s[0:1], 0, v[234:235]
	s_and_b64 s[0:1], vcc, s[0:1]
	s_and_saveexec_b64 s[16:17], s[0:1]
	s_xor_b64 s[0:1], exec, s[16:17]
; %bb.150:
	v_cmp_ne_u32_e32 vcc, 0, v246
	s_nop 1
	v_cndmask_b32_e32 v246, 8, v246, vcc
; %bb.151:
	s_andn2_saveexec_b64 s[0:1], s[0:1]
	s_cbranch_execz .LBB114_157
; %bb.152:
	v_cmp_ngt_f64_e64 s[16:17], |v[232:233]|, |v[234:235]|
	s_and_saveexec_b64 s[18:19], s[16:17]
	s_xor_b64 s[16:17], exec, s[18:19]
	s_cbranch_execz .LBB114_154
; %bb.153:
	v_div_scale_f64 v[152:153], s[18:19], v[234:235], v[234:235], v[232:233]
	v_rcp_f64_e32 v[154:155], v[152:153]
	v_div_scale_f64 v[156:157], vcc, v[232:233], v[234:235], v[232:233]
	v_fma_f64 v[158:159], -v[152:153], v[154:155], 1.0
	v_fmac_f64_e32 v[154:155], v[154:155], v[158:159]
	v_fma_f64 v[158:159], -v[152:153], v[154:155], 1.0
	v_fmac_f64_e32 v[154:155], v[154:155], v[158:159]
	v_mul_f64 v[158:159], v[156:157], v[154:155]
	v_fma_f64 v[152:153], -v[152:153], v[158:159], v[156:157]
	v_div_fmas_f64 v[152:153], v[152:153], v[154:155], v[158:159]
	v_div_fixup_f64 v[152:153], v[152:153], v[234:235], v[232:233]
	v_fmac_f64_e32 v[234:235], v[232:233], v[152:153]
	v_div_scale_f64 v[154:155], s[18:19], v[234:235], v[234:235], 1.0
	v_rcp_f64_e32 v[156:157], v[154:155]
	s_nop 0
	v_fma_f64 v[158:159], -v[154:155], v[156:157], 1.0
	v_fmac_f64_e32 v[156:157], v[156:157], v[158:159]
	v_fma_f64 v[158:159], -v[154:155], v[156:157], 1.0
	v_fmac_f64_e32 v[156:157], v[156:157], v[158:159]
	v_div_scale_f64 v[158:159], vcc, 1.0, v[234:235], 1.0
	v_mul_f64 v[220:221], v[158:159], v[156:157]
	v_fma_f64 v[154:155], -v[154:155], v[220:221], v[158:159]
	s_nop 1
	v_div_fmas_f64 v[154:155], v[154:155], v[156:157], v[220:221]
	v_div_fixup_f64 v[234:235], v[154:155], v[234:235], 1.0
	v_mul_f64 v[232:233], v[152:153], v[234:235]
	v_xor_b32_e32 v235, 0x80000000, v235
.LBB114_154:
	s_andn2_saveexec_b64 s[16:17], s[16:17]
	s_cbranch_execz .LBB114_156
; %bb.155:
	v_div_scale_f64 v[152:153], s[18:19], v[232:233], v[232:233], v[234:235]
	v_rcp_f64_e32 v[154:155], v[152:153]
	v_div_scale_f64 v[156:157], vcc, v[234:235], v[232:233], v[234:235]
	v_fma_f64 v[158:159], -v[152:153], v[154:155], 1.0
	v_fmac_f64_e32 v[154:155], v[154:155], v[158:159]
	v_fma_f64 v[158:159], -v[152:153], v[154:155], 1.0
	v_fmac_f64_e32 v[154:155], v[154:155], v[158:159]
	v_mul_f64 v[158:159], v[156:157], v[154:155]
	v_fma_f64 v[152:153], -v[152:153], v[158:159], v[156:157]
	v_div_fmas_f64 v[152:153], v[152:153], v[154:155], v[158:159]
	v_div_fixup_f64 v[152:153], v[152:153], v[232:233], v[234:235]
	v_fmac_f64_e32 v[232:233], v[234:235], v[152:153]
	v_div_scale_f64 v[154:155], s[18:19], v[232:233], v[232:233], 1.0
	v_rcp_f64_e32 v[156:157], v[154:155]
	s_nop 0
	v_fma_f64 v[158:159], -v[154:155], v[156:157], 1.0
	v_fmac_f64_e32 v[156:157], v[156:157], v[158:159]
	v_fma_f64 v[158:159], -v[154:155], v[156:157], 1.0
	v_fmac_f64_e32 v[156:157], v[156:157], v[158:159]
	v_div_scale_f64 v[158:159], vcc, 1.0, v[232:233], 1.0
	v_mul_f64 v[220:221], v[158:159], v[156:157]
	v_fma_f64 v[154:155], -v[154:155], v[220:221], v[158:159]
	s_nop 1
	v_div_fmas_f64 v[154:155], v[154:155], v[156:157], v[220:221]
	v_div_fixup_f64 v[232:233], v[154:155], v[232:233], 1.0
	v_mul_f64 v[234:235], v[152:153], -v[232:233]
.LBB114_156:
	s_or_b64 exec, exec, s[16:17]
.LBB114_157:
	s_or_b64 exec, exec, s[0:1]
	v_cmp_ne_u32_e32 vcc, v245, v242
	s_and_saveexec_b64 s[0:1], vcc
	s_xor_b64 s[0:1], exec, s[0:1]
	s_cbranch_execz .LBB114_163
; %bb.158:
	v_cmp_eq_u32_e32 vcc, 7, v245
	s_and_saveexec_b64 s[16:17], vcc
	s_cbranch_execz .LBB114_162
; %bb.159:
	v_cmp_ne_u32_e32 vcc, 7, v242
	s_xor_b64 s[18:19], s[14:15], -1
	s_and_b64 s[22:23], s[18:19], vcc
	s_and_saveexec_b64 s[18:19], s[22:23]
	s_cbranch_execz .LBB114_161
; %bb.160:
	v_ashrrev_i32_e32 v243, 31, v242
	v_lshl_add_u64 v[152:153], v[242:243], 2, v[4:5]
	global_load_dword v154, v[152:153], off
	global_load_dword v155, v[4:5], off offset:28
	s_waitcnt vmcnt(1)
	global_store_dword v[4:5], v154, off offset:28
	s_waitcnt vmcnt(1)
	global_store_dword v[152:153], v155, off
.LBB114_161:
	s_or_b64 exec, exec, s[18:19]
	v_mov_b32_e32 v245, v242
	v_mov_b32_e32 v236, v242
.LBB114_162:
	s_or_b64 exec, exec, s[16:17]
.LBB114_163:
	s_andn2_saveexec_b64 s[0:1], s[0:1]
	s_cbranch_execz .LBB114_165
; %bb.164:
	v_mov_b32_e32 v245, 7
	ds_write2_b64 v244, v[200:201], v[202:203] offset0:16 offset1:17
	ds_write2_b64 v244, v[196:197], v[198:199] offset0:18 offset1:19
	;; [unrolled: 1-line block ×50, first 2 shown]
.LBB114_165:
	s_or_b64 exec, exec, s[0:1]
	v_cmp_lt_i32_e32 vcc, 7, v245
	s_waitcnt lgkmcnt(0)
	s_barrier
	s_and_saveexec_b64 s[0:1], vcc
	s_cbranch_execz .LBB114_167
; %bb.166:
	ds_read2_b64 v[248:251], v244 offset0:16 offset1:17
	v_mul_f64 v[152:153], v[234:235], v[206:207]
	v_mul_f64 v[206:207], v[232:233], v[206:207]
	v_fma_f64 v[242:243], v[232:233], v[204:205], -v[152:153]
	v_fmac_f64_e32 v[206:207], v[234:235], v[204:205]
	ds_read2_b64 v[232:235], v244 offset0:18 offset1:19
	s_waitcnt lgkmcnt(1)
	v_mul_f64 v[152:153], v[250:251], v[206:207]
	v_mul_f64 v[154:155], v[248:249], v[206:207]
	v_fma_f64 v[152:153], v[248:249], v[242:243], -v[152:153]
	v_fmac_f64_e32 v[154:155], v[250:251], v[242:243]
	ds_read2_b64 v[248:251], v244 offset0:20 offset1:21
	v_add_f64 v[200:201], v[200:201], -v[152:153]
	v_add_f64 v[202:203], v[202:203], -v[154:155]
	s_waitcnt lgkmcnt(1)
	v_mul_f64 v[152:153], v[234:235], v[206:207]
	v_mul_f64 v[154:155], v[232:233], v[206:207]
	v_fma_f64 v[152:153], v[232:233], v[242:243], -v[152:153]
	v_fmac_f64_e32 v[154:155], v[234:235], v[242:243]
	ds_read2_b64 v[232:235], v244 offset0:22 offset1:23
	v_add_f64 v[196:197], v[196:197], -v[152:153]
	v_add_f64 v[198:199], v[198:199], -v[154:155]
	;; [unrolled: 8-line block ×48, first 2 shown]
	s_waitcnt lgkmcnt(1)
	v_mul_f64 v[152:153], v[250:251], v[206:207]
	v_mul_f64 v[154:155], v[248:249], v[206:207]
	v_fma_f64 v[152:153], v[248:249], v[242:243], -v[152:153]
	v_fmac_f64_e32 v[154:155], v[250:251], v[242:243]
	v_add_f64 v[0:1], v[0:1], -v[152:153]
	v_add_f64 v[2:3], v[2:3], -v[154:155]
	s_waitcnt lgkmcnt(0)
	v_mul_f64 v[152:153], v[234:235], v[206:207]
	v_mul_f64 v[154:155], v[232:233], v[206:207]
	v_fma_f64 v[152:153], v[232:233], v[242:243], -v[152:153]
	v_fmac_f64_e32 v[154:155], v[234:235], v[242:243]
	v_add_f64 v[228:229], v[228:229], -v[152:153]
	v_add_f64 v[230:231], v[230:231], -v[154:155]
	v_mov_b64_e32 v[204:205], v[242:243]
.LBB114_167:
	s_or_b64 exec, exec, s[0:1]
	v_lshl_add_u32 v152, v245, 4, v244
	s_barrier
	ds_write2_b64 v152, v[200:201], v[202:203] offset1:1
	s_waitcnt lgkmcnt(0)
	s_barrier
	ds_read2_b64 v[232:235], v244 offset0:16 offset1:17
	s_cmp_lt_i32 s20, 10
	v_mov_b32_e32 v242, 8
	s_cbranch_scc1 .LBB114_170
; %bb.168:
	v_add_u32_e32 v243, 0x90, v244
	s_mov_b32 s0, 9
	v_mov_b32_e32 v242, 8
.LBB114_169:                            ; =>This Inner Loop Header: Depth=1
	ds_read2_b64 v[248:251], v243 offset1:1
	s_waitcnt lgkmcnt(1)
	v_cmp_gt_f64_e32 vcc, 0, v[232:233]
	v_xor_b32_e32 v152, 0x80000000, v233
	v_xor_b32_e32 v154, 0x80000000, v235
	v_cndmask_b32_e32 v153, v233, v152, vcc
	v_cmp_gt_f64_e32 vcc, 0, v[234:235]
	v_mov_b32_e32 v152, v232
	s_waitcnt lgkmcnt(0)
	v_xor_b32_e32 v156, 0x80000000, v251
	v_cndmask_b32_e32 v155, v235, v154, vcc
	v_mov_b32_e32 v154, v234
	v_add_f64 v[152:153], v[152:153], v[154:155]
	v_cmp_gt_f64_e32 vcc, 0, v[248:249]
	v_xor_b32_e32 v154, 0x80000000, v249
	v_add_u32_e32 v243, 16, v243
	v_cndmask_b32_e32 v155, v249, v154, vcc
	v_cmp_gt_f64_e32 vcc, 0, v[250:251]
	v_mov_b32_e32 v154, v248
	s_nop 0
	v_cndmask_b32_e32 v157, v251, v156, vcc
	v_mov_b32_e32 v156, v250
	v_add_f64 v[154:155], v[154:155], v[156:157]
	v_cmp_lt_f64_e32 vcc, v[152:153], v[154:155]
	v_mov_b32_e32 v152, s0
	s_add_i32 s0, s0, 1
	v_cndmask_b32_e32 v233, v233, v249, vcc
	v_cndmask_b32_e32 v232, v232, v248, vcc
	;; [unrolled: 1-line block ×5, first 2 shown]
	s_cmp_lg_u32 s20, s0
	s_cbranch_scc1 .LBB114_169
.LBB114_170:
	s_waitcnt lgkmcnt(0)
	v_cmp_eq_f64_e32 vcc, 0, v[232:233]
	v_cmp_eq_f64_e64 s[0:1], 0, v[234:235]
	s_and_b64 s[0:1], vcc, s[0:1]
	s_and_saveexec_b64 s[16:17], s[0:1]
	s_xor_b64 s[0:1], exec, s[16:17]
; %bb.171:
	v_cmp_ne_u32_e32 vcc, 0, v246
	s_nop 1
	v_cndmask_b32_e32 v246, 9, v246, vcc
; %bb.172:
	s_andn2_saveexec_b64 s[0:1], s[0:1]
	s_cbranch_execz .LBB114_178
; %bb.173:
	v_cmp_ngt_f64_e64 s[16:17], |v[232:233]|, |v[234:235]|
	s_and_saveexec_b64 s[18:19], s[16:17]
	s_xor_b64 s[16:17], exec, s[18:19]
	s_cbranch_execz .LBB114_175
; %bb.174:
	v_div_scale_f64 v[152:153], s[18:19], v[234:235], v[234:235], v[232:233]
	v_rcp_f64_e32 v[154:155], v[152:153]
	v_div_scale_f64 v[156:157], vcc, v[232:233], v[234:235], v[232:233]
	v_fma_f64 v[158:159], -v[152:153], v[154:155], 1.0
	v_fmac_f64_e32 v[154:155], v[154:155], v[158:159]
	v_fma_f64 v[158:159], -v[152:153], v[154:155], 1.0
	v_fmac_f64_e32 v[154:155], v[154:155], v[158:159]
	v_mul_f64 v[158:159], v[156:157], v[154:155]
	v_fma_f64 v[152:153], -v[152:153], v[158:159], v[156:157]
	v_div_fmas_f64 v[152:153], v[152:153], v[154:155], v[158:159]
	v_div_fixup_f64 v[152:153], v[152:153], v[234:235], v[232:233]
	v_fmac_f64_e32 v[234:235], v[232:233], v[152:153]
	v_div_scale_f64 v[154:155], s[18:19], v[234:235], v[234:235], 1.0
	v_rcp_f64_e32 v[156:157], v[154:155]
	s_nop 0
	v_fma_f64 v[158:159], -v[154:155], v[156:157], 1.0
	v_fmac_f64_e32 v[156:157], v[156:157], v[158:159]
	v_fma_f64 v[158:159], -v[154:155], v[156:157], 1.0
	v_fmac_f64_e32 v[156:157], v[156:157], v[158:159]
	v_div_scale_f64 v[158:159], vcc, 1.0, v[234:235], 1.0
	v_mul_f64 v[220:221], v[158:159], v[156:157]
	v_fma_f64 v[154:155], -v[154:155], v[220:221], v[158:159]
	s_nop 1
	v_div_fmas_f64 v[154:155], v[154:155], v[156:157], v[220:221]
	v_div_fixup_f64 v[234:235], v[154:155], v[234:235], 1.0
	v_mul_f64 v[232:233], v[152:153], v[234:235]
	v_xor_b32_e32 v235, 0x80000000, v235
.LBB114_175:
	s_andn2_saveexec_b64 s[16:17], s[16:17]
	s_cbranch_execz .LBB114_177
; %bb.176:
	v_div_scale_f64 v[152:153], s[18:19], v[232:233], v[232:233], v[234:235]
	v_rcp_f64_e32 v[154:155], v[152:153]
	v_div_scale_f64 v[156:157], vcc, v[234:235], v[232:233], v[234:235]
	v_fma_f64 v[158:159], -v[152:153], v[154:155], 1.0
	v_fmac_f64_e32 v[154:155], v[154:155], v[158:159]
	v_fma_f64 v[158:159], -v[152:153], v[154:155], 1.0
	v_fmac_f64_e32 v[154:155], v[154:155], v[158:159]
	v_mul_f64 v[158:159], v[156:157], v[154:155]
	v_fma_f64 v[152:153], -v[152:153], v[158:159], v[156:157]
	v_div_fmas_f64 v[152:153], v[152:153], v[154:155], v[158:159]
	v_div_fixup_f64 v[152:153], v[152:153], v[232:233], v[234:235]
	v_fmac_f64_e32 v[232:233], v[234:235], v[152:153]
	v_div_scale_f64 v[154:155], s[18:19], v[232:233], v[232:233], 1.0
	v_rcp_f64_e32 v[156:157], v[154:155]
	s_nop 0
	v_fma_f64 v[158:159], -v[154:155], v[156:157], 1.0
	v_fmac_f64_e32 v[156:157], v[156:157], v[158:159]
	v_fma_f64 v[158:159], -v[154:155], v[156:157], 1.0
	v_fmac_f64_e32 v[156:157], v[156:157], v[158:159]
	v_div_scale_f64 v[158:159], vcc, 1.0, v[232:233], 1.0
	v_mul_f64 v[220:221], v[158:159], v[156:157]
	v_fma_f64 v[154:155], -v[154:155], v[220:221], v[158:159]
	s_nop 1
	v_div_fmas_f64 v[154:155], v[154:155], v[156:157], v[220:221]
	v_div_fixup_f64 v[232:233], v[154:155], v[232:233], 1.0
	v_mul_f64 v[234:235], v[152:153], -v[232:233]
.LBB114_177:
	s_or_b64 exec, exec, s[16:17]
.LBB114_178:
	s_or_b64 exec, exec, s[0:1]
	v_cmp_ne_u32_e32 vcc, v245, v242
	s_and_saveexec_b64 s[0:1], vcc
	s_xor_b64 s[0:1], exec, s[0:1]
	s_cbranch_execz .LBB114_184
; %bb.179:
	v_cmp_eq_u32_e32 vcc, 8, v245
	s_and_saveexec_b64 s[16:17], vcc
	s_cbranch_execz .LBB114_183
; %bb.180:
	v_cmp_ne_u32_e32 vcc, 8, v242
	s_xor_b64 s[18:19], s[14:15], -1
	s_and_b64 s[22:23], s[18:19], vcc
	s_and_saveexec_b64 s[18:19], s[22:23]
	s_cbranch_execz .LBB114_182
; %bb.181:
	v_ashrrev_i32_e32 v243, 31, v242
	v_lshl_add_u64 v[152:153], v[242:243], 2, v[4:5]
	global_load_dword v154, v[152:153], off
	global_load_dword v155, v[4:5], off offset:32
	s_waitcnt vmcnt(1)
	global_store_dword v[4:5], v154, off offset:32
	s_waitcnt vmcnt(1)
	global_store_dword v[152:153], v155, off
.LBB114_182:
	s_or_b64 exec, exec, s[18:19]
	v_mov_b32_e32 v245, v242
	v_mov_b32_e32 v236, v242
.LBB114_183:
	s_or_b64 exec, exec, s[16:17]
.LBB114_184:
	s_andn2_saveexec_b64 s[0:1], s[0:1]
	s_cbranch_execz .LBB114_186
; %bb.185:
	v_mov_b32_e32 v245, 8
	ds_write2_b64 v244, v[196:197], v[198:199] offset0:18 offset1:19
	ds_write2_b64 v244, v[192:193], v[194:195] offset0:20 offset1:21
	;; [unrolled: 1-line block ×49, first 2 shown]
.LBB114_186:
	s_or_b64 exec, exec, s[0:1]
	v_cmp_lt_i32_e32 vcc, 8, v245
	s_waitcnt lgkmcnt(0)
	s_barrier
	s_and_saveexec_b64 s[0:1], vcc
	s_cbranch_execz .LBB114_188
; %bb.187:
	ds_read2_b64 v[248:251], v244 offset0:18 offset1:19
	v_mul_f64 v[152:153], v[234:235], v[202:203]
	v_mul_f64 v[202:203], v[232:233], v[202:203]
	v_fma_f64 v[242:243], v[232:233], v[200:201], -v[152:153]
	v_fmac_f64_e32 v[202:203], v[234:235], v[200:201]
	ds_read2_b64 v[232:235], v244 offset0:20 offset1:21
	s_waitcnt lgkmcnt(1)
	v_mul_f64 v[152:153], v[250:251], v[202:203]
	v_mul_f64 v[154:155], v[248:249], v[202:203]
	v_fma_f64 v[152:153], v[248:249], v[242:243], -v[152:153]
	v_fmac_f64_e32 v[154:155], v[250:251], v[242:243]
	ds_read2_b64 v[248:251], v244 offset0:22 offset1:23
	v_add_f64 v[196:197], v[196:197], -v[152:153]
	v_add_f64 v[198:199], v[198:199], -v[154:155]
	s_waitcnt lgkmcnt(1)
	v_mul_f64 v[152:153], v[234:235], v[202:203]
	v_mul_f64 v[154:155], v[232:233], v[202:203]
	v_fma_f64 v[152:153], v[232:233], v[242:243], -v[152:153]
	v_fmac_f64_e32 v[154:155], v[234:235], v[242:243]
	ds_read2_b64 v[232:235], v244 offset0:24 offset1:25
	v_add_f64 v[192:193], v[192:193], -v[152:153]
	v_add_f64 v[194:195], v[194:195], -v[154:155]
	;; [unrolled: 8-line block ×47, first 2 shown]
	s_waitcnt lgkmcnt(1)
	v_mul_f64 v[152:153], v[234:235], v[202:203]
	v_mul_f64 v[154:155], v[232:233], v[202:203]
	v_fma_f64 v[152:153], v[232:233], v[242:243], -v[152:153]
	v_fmac_f64_e32 v[154:155], v[234:235], v[242:243]
	v_add_f64 v[0:1], v[0:1], -v[152:153]
	v_add_f64 v[2:3], v[2:3], -v[154:155]
	s_waitcnt lgkmcnt(0)
	v_mul_f64 v[152:153], v[250:251], v[202:203]
	v_mul_f64 v[154:155], v[248:249], v[202:203]
	v_fma_f64 v[152:153], v[248:249], v[242:243], -v[152:153]
	v_fmac_f64_e32 v[154:155], v[250:251], v[242:243]
	v_add_f64 v[228:229], v[228:229], -v[152:153]
	v_add_f64 v[230:231], v[230:231], -v[154:155]
	v_mov_b64_e32 v[200:201], v[242:243]
.LBB114_188:
	s_or_b64 exec, exec, s[0:1]
	v_lshl_add_u32 v152, v245, 4, v244
	s_barrier
	ds_write2_b64 v152, v[196:197], v[198:199] offset1:1
	s_waitcnt lgkmcnt(0)
	s_barrier
	ds_read2_b64 v[232:235], v244 offset0:18 offset1:19
	s_cmp_lt_i32 s20, 11
	v_mov_b32_e32 v242, 9
	s_cbranch_scc1 .LBB114_191
; %bb.189:
	v_add_u32_e32 v243, 0xa0, v244
	s_mov_b32 s0, 10
	v_mov_b32_e32 v242, 9
.LBB114_190:                            ; =>This Inner Loop Header: Depth=1
	ds_read2_b64 v[248:251], v243 offset1:1
	s_waitcnt lgkmcnt(1)
	v_cmp_gt_f64_e32 vcc, 0, v[232:233]
	v_xor_b32_e32 v152, 0x80000000, v233
	v_xor_b32_e32 v154, 0x80000000, v235
	v_cndmask_b32_e32 v153, v233, v152, vcc
	v_cmp_gt_f64_e32 vcc, 0, v[234:235]
	v_mov_b32_e32 v152, v232
	s_waitcnt lgkmcnt(0)
	v_xor_b32_e32 v156, 0x80000000, v251
	v_cndmask_b32_e32 v155, v235, v154, vcc
	v_mov_b32_e32 v154, v234
	v_add_f64 v[152:153], v[152:153], v[154:155]
	v_cmp_gt_f64_e32 vcc, 0, v[248:249]
	v_xor_b32_e32 v154, 0x80000000, v249
	v_add_u32_e32 v243, 16, v243
	v_cndmask_b32_e32 v155, v249, v154, vcc
	v_cmp_gt_f64_e32 vcc, 0, v[250:251]
	v_mov_b32_e32 v154, v248
	s_nop 0
	v_cndmask_b32_e32 v157, v251, v156, vcc
	v_mov_b32_e32 v156, v250
	v_add_f64 v[154:155], v[154:155], v[156:157]
	v_cmp_lt_f64_e32 vcc, v[152:153], v[154:155]
	v_mov_b32_e32 v152, s0
	s_add_i32 s0, s0, 1
	v_cndmask_b32_e32 v233, v233, v249, vcc
	v_cndmask_b32_e32 v232, v232, v248, vcc
	;; [unrolled: 1-line block ×5, first 2 shown]
	s_cmp_lg_u32 s20, s0
	s_cbranch_scc1 .LBB114_190
.LBB114_191:
	s_waitcnt lgkmcnt(0)
	v_cmp_eq_f64_e32 vcc, 0, v[232:233]
	v_cmp_eq_f64_e64 s[0:1], 0, v[234:235]
	s_and_b64 s[0:1], vcc, s[0:1]
	s_and_saveexec_b64 s[16:17], s[0:1]
	s_xor_b64 s[0:1], exec, s[16:17]
; %bb.192:
	v_cmp_ne_u32_e32 vcc, 0, v246
	s_nop 1
	v_cndmask_b32_e32 v246, 10, v246, vcc
; %bb.193:
	s_andn2_saveexec_b64 s[0:1], s[0:1]
	s_cbranch_execz .LBB114_199
; %bb.194:
	v_cmp_ngt_f64_e64 s[16:17], |v[232:233]|, |v[234:235]|
	s_and_saveexec_b64 s[18:19], s[16:17]
	s_xor_b64 s[16:17], exec, s[18:19]
	s_cbranch_execz .LBB114_196
; %bb.195:
	v_div_scale_f64 v[152:153], s[18:19], v[234:235], v[234:235], v[232:233]
	v_rcp_f64_e32 v[154:155], v[152:153]
	v_div_scale_f64 v[156:157], vcc, v[232:233], v[234:235], v[232:233]
	v_fma_f64 v[158:159], -v[152:153], v[154:155], 1.0
	v_fmac_f64_e32 v[154:155], v[154:155], v[158:159]
	v_fma_f64 v[158:159], -v[152:153], v[154:155], 1.0
	v_fmac_f64_e32 v[154:155], v[154:155], v[158:159]
	v_mul_f64 v[158:159], v[156:157], v[154:155]
	v_fma_f64 v[152:153], -v[152:153], v[158:159], v[156:157]
	v_div_fmas_f64 v[152:153], v[152:153], v[154:155], v[158:159]
	v_div_fixup_f64 v[152:153], v[152:153], v[234:235], v[232:233]
	v_fmac_f64_e32 v[234:235], v[232:233], v[152:153]
	v_div_scale_f64 v[154:155], s[18:19], v[234:235], v[234:235], 1.0
	v_rcp_f64_e32 v[156:157], v[154:155]
	s_nop 0
	v_fma_f64 v[158:159], -v[154:155], v[156:157], 1.0
	v_fmac_f64_e32 v[156:157], v[156:157], v[158:159]
	v_fma_f64 v[158:159], -v[154:155], v[156:157], 1.0
	v_fmac_f64_e32 v[156:157], v[156:157], v[158:159]
	v_div_scale_f64 v[158:159], vcc, 1.0, v[234:235], 1.0
	v_mul_f64 v[220:221], v[158:159], v[156:157]
	v_fma_f64 v[154:155], -v[154:155], v[220:221], v[158:159]
	s_nop 1
	v_div_fmas_f64 v[154:155], v[154:155], v[156:157], v[220:221]
	v_div_fixup_f64 v[234:235], v[154:155], v[234:235], 1.0
	v_mul_f64 v[232:233], v[152:153], v[234:235]
	v_xor_b32_e32 v235, 0x80000000, v235
.LBB114_196:
	s_andn2_saveexec_b64 s[16:17], s[16:17]
	s_cbranch_execz .LBB114_198
; %bb.197:
	v_div_scale_f64 v[152:153], s[18:19], v[232:233], v[232:233], v[234:235]
	v_rcp_f64_e32 v[154:155], v[152:153]
	v_div_scale_f64 v[156:157], vcc, v[234:235], v[232:233], v[234:235]
	v_fma_f64 v[158:159], -v[152:153], v[154:155], 1.0
	v_fmac_f64_e32 v[154:155], v[154:155], v[158:159]
	v_fma_f64 v[158:159], -v[152:153], v[154:155], 1.0
	v_fmac_f64_e32 v[154:155], v[154:155], v[158:159]
	v_mul_f64 v[158:159], v[156:157], v[154:155]
	v_fma_f64 v[152:153], -v[152:153], v[158:159], v[156:157]
	v_div_fmas_f64 v[152:153], v[152:153], v[154:155], v[158:159]
	v_div_fixup_f64 v[152:153], v[152:153], v[232:233], v[234:235]
	v_fmac_f64_e32 v[232:233], v[234:235], v[152:153]
	v_div_scale_f64 v[154:155], s[18:19], v[232:233], v[232:233], 1.0
	v_rcp_f64_e32 v[156:157], v[154:155]
	s_nop 0
	v_fma_f64 v[158:159], -v[154:155], v[156:157], 1.0
	v_fmac_f64_e32 v[156:157], v[156:157], v[158:159]
	v_fma_f64 v[158:159], -v[154:155], v[156:157], 1.0
	v_fmac_f64_e32 v[156:157], v[156:157], v[158:159]
	v_div_scale_f64 v[158:159], vcc, 1.0, v[232:233], 1.0
	v_mul_f64 v[220:221], v[158:159], v[156:157]
	v_fma_f64 v[154:155], -v[154:155], v[220:221], v[158:159]
	s_nop 1
	v_div_fmas_f64 v[154:155], v[154:155], v[156:157], v[220:221]
	v_div_fixup_f64 v[232:233], v[154:155], v[232:233], 1.0
	v_mul_f64 v[234:235], v[152:153], -v[232:233]
.LBB114_198:
	s_or_b64 exec, exec, s[16:17]
.LBB114_199:
	s_or_b64 exec, exec, s[0:1]
	v_cmp_ne_u32_e32 vcc, v245, v242
	s_and_saveexec_b64 s[0:1], vcc
	s_xor_b64 s[0:1], exec, s[0:1]
	s_cbranch_execz .LBB114_205
; %bb.200:
	v_cmp_eq_u32_e32 vcc, 9, v245
	s_and_saveexec_b64 s[16:17], vcc
	s_cbranch_execz .LBB114_204
; %bb.201:
	v_cmp_ne_u32_e32 vcc, 9, v242
	s_xor_b64 s[18:19], s[14:15], -1
	s_and_b64 s[22:23], s[18:19], vcc
	s_and_saveexec_b64 s[18:19], s[22:23]
	s_cbranch_execz .LBB114_203
; %bb.202:
	v_ashrrev_i32_e32 v243, 31, v242
	v_lshl_add_u64 v[152:153], v[242:243], 2, v[4:5]
	global_load_dword v154, v[152:153], off
	global_load_dword v155, v[4:5], off offset:36
	s_waitcnt vmcnt(1)
	global_store_dword v[4:5], v154, off offset:36
	s_waitcnt vmcnt(1)
	global_store_dword v[152:153], v155, off
.LBB114_203:
	s_or_b64 exec, exec, s[18:19]
	v_mov_b32_e32 v245, v242
	v_mov_b32_e32 v236, v242
.LBB114_204:
	s_or_b64 exec, exec, s[16:17]
.LBB114_205:
	s_andn2_saveexec_b64 s[0:1], s[0:1]
	s_cbranch_execz .LBB114_207
; %bb.206:
	v_mov_b32_e32 v245, 9
	ds_write2_b64 v244, v[192:193], v[194:195] offset0:20 offset1:21
	ds_write2_b64 v244, v[188:189], v[190:191] offset0:22 offset1:23
	;; [unrolled: 1-line block ×48, first 2 shown]
.LBB114_207:
	s_or_b64 exec, exec, s[0:1]
	v_cmp_lt_i32_e32 vcc, 9, v245
	s_waitcnt lgkmcnt(0)
	s_barrier
	s_and_saveexec_b64 s[0:1], vcc
	s_cbranch_execz .LBB114_209
; %bb.208:
	ds_read2_b64 v[248:251], v244 offset0:20 offset1:21
	v_mul_f64 v[152:153], v[234:235], v[198:199]
	v_mul_f64 v[198:199], v[232:233], v[198:199]
	v_fma_f64 v[242:243], v[232:233], v[196:197], -v[152:153]
	v_fmac_f64_e32 v[198:199], v[234:235], v[196:197]
	ds_read2_b64 v[232:235], v244 offset0:22 offset1:23
	s_waitcnt lgkmcnt(1)
	v_mul_f64 v[152:153], v[250:251], v[198:199]
	v_mul_f64 v[154:155], v[248:249], v[198:199]
	v_fma_f64 v[152:153], v[248:249], v[242:243], -v[152:153]
	v_fmac_f64_e32 v[154:155], v[250:251], v[242:243]
	ds_read2_b64 v[248:251], v244 offset0:24 offset1:25
	v_add_f64 v[192:193], v[192:193], -v[152:153]
	v_add_f64 v[194:195], v[194:195], -v[154:155]
	s_waitcnt lgkmcnt(1)
	v_mul_f64 v[152:153], v[234:235], v[198:199]
	v_mul_f64 v[154:155], v[232:233], v[198:199]
	v_fma_f64 v[152:153], v[232:233], v[242:243], -v[152:153]
	v_fmac_f64_e32 v[154:155], v[234:235], v[242:243]
	ds_read2_b64 v[232:235], v244 offset0:26 offset1:27
	v_add_f64 v[188:189], v[188:189], -v[152:153]
	v_add_f64 v[190:191], v[190:191], -v[154:155]
	s_waitcnt lgkmcnt(1)
	v_mul_f64 v[152:153], v[250:251], v[198:199]
	v_mul_f64 v[154:155], v[248:249], v[198:199]
	v_fma_f64 v[152:153], v[248:249], v[242:243], -v[152:153]
	v_fmac_f64_e32 v[154:155], v[250:251], v[242:243]
	ds_read2_b64 v[248:251], v244 offset0:28 offset1:29
	v_add_f64 v[184:185], v[184:185], -v[152:153]
	v_add_f64 v[186:187], v[186:187], -v[154:155]
	s_waitcnt lgkmcnt(1)
	v_mul_f64 v[152:153], v[234:235], v[198:199]
	v_mul_f64 v[154:155], v[232:233], v[198:199]
	v_fma_f64 v[152:153], v[232:233], v[242:243], -v[152:153]
	v_fmac_f64_e32 v[154:155], v[234:235], v[242:243]
	ds_read2_b64 v[232:235], v244 offset0:30 offset1:31
	v_add_f64 v[180:181], v[180:181], -v[152:153]
	v_add_f64 v[182:183], v[182:183], -v[154:155]
	s_waitcnt lgkmcnt(1)
	v_mul_f64 v[152:153], v[250:251], v[198:199]
	v_mul_f64 v[154:155], v[248:249], v[198:199]
	v_fma_f64 v[152:153], v[248:249], v[242:243], -v[152:153]
	v_fmac_f64_e32 v[154:155], v[250:251], v[242:243]
	ds_read2_b64 v[248:251], v244 offset0:32 offset1:33
	v_add_f64 v[176:177], v[176:177], -v[152:153]
	v_add_f64 v[178:179], v[178:179], -v[154:155]
	s_waitcnt lgkmcnt(1)
	v_mul_f64 v[152:153], v[234:235], v[198:199]
	v_mul_f64 v[154:155], v[232:233], v[198:199]
	v_fma_f64 v[152:153], v[232:233], v[242:243], -v[152:153]
	v_fmac_f64_e32 v[154:155], v[234:235], v[242:243]
	ds_read2_b64 v[232:235], v244 offset0:34 offset1:35
	v_add_f64 v[172:173], v[172:173], -v[152:153]
	v_add_f64 v[174:175], v[174:175], -v[154:155]
	s_waitcnt lgkmcnt(1)
	v_mul_f64 v[152:153], v[250:251], v[198:199]
	v_mul_f64 v[154:155], v[248:249], v[198:199]
	v_fma_f64 v[152:153], v[248:249], v[242:243], -v[152:153]
	v_fmac_f64_e32 v[154:155], v[250:251], v[242:243]
	ds_read2_b64 v[248:251], v244 offset0:36 offset1:37
	v_add_f64 v[168:169], v[168:169], -v[152:153]
	v_add_f64 v[170:171], v[170:171], -v[154:155]
	s_waitcnt lgkmcnt(1)
	v_mul_f64 v[152:153], v[234:235], v[198:199]
	v_mul_f64 v[154:155], v[232:233], v[198:199]
	v_fma_f64 v[152:153], v[232:233], v[242:243], -v[152:153]
	v_fmac_f64_e32 v[154:155], v[234:235], v[242:243]
	ds_read2_b64 v[232:235], v244 offset0:38 offset1:39
	v_add_f64 v[164:165], v[164:165], -v[152:153]
	v_add_f64 v[166:167], v[166:167], -v[154:155]
	s_waitcnt lgkmcnt(1)
	v_mul_f64 v[152:153], v[250:251], v[198:199]
	v_mul_f64 v[154:155], v[248:249], v[198:199]
	v_fma_f64 v[152:153], v[248:249], v[242:243], -v[152:153]
	v_fmac_f64_e32 v[154:155], v[250:251], v[242:243]
	ds_read2_b64 v[248:251], v244 offset0:40 offset1:41
	v_add_f64 v[160:161], v[160:161], -v[152:153]
	v_add_f64 v[162:163], v[162:163], -v[154:155]
	s_waitcnt lgkmcnt(1)
	v_mul_f64 v[152:153], v[234:235], v[198:199]
	v_mul_f64 v[154:155], v[232:233], v[198:199]
	v_fma_f64 v[152:153], v[232:233], v[242:243], -v[152:153]
	v_fmac_f64_e32 v[154:155], v[234:235], v[242:243]
	ds_read2_b64 v[232:235], v244 offset0:42 offset1:43
	v_add_f64 v[148:149], v[148:149], -v[152:153]
	v_add_f64 v[150:151], v[150:151], -v[154:155]
	s_waitcnt lgkmcnt(1)
	v_mul_f64 v[152:153], v[250:251], v[198:199]
	v_mul_f64 v[154:155], v[248:249], v[198:199]
	v_fma_f64 v[152:153], v[248:249], v[242:243], -v[152:153]
	v_fmac_f64_e32 v[154:155], v[250:251], v[242:243]
	ds_read2_b64 v[248:251], v244 offset0:44 offset1:45
	v_add_f64 v[144:145], v[144:145], -v[152:153]
	v_add_f64 v[146:147], v[146:147], -v[154:155]
	s_waitcnt lgkmcnt(1)
	v_mul_f64 v[152:153], v[234:235], v[198:199]
	v_mul_f64 v[154:155], v[232:233], v[198:199]
	v_fma_f64 v[152:153], v[232:233], v[242:243], -v[152:153]
	v_fmac_f64_e32 v[154:155], v[234:235], v[242:243]
	ds_read2_b64 v[232:235], v244 offset0:46 offset1:47
	v_add_f64 v[140:141], v[140:141], -v[152:153]
	v_add_f64 v[142:143], v[142:143], -v[154:155]
	s_waitcnt lgkmcnt(1)
	v_mul_f64 v[152:153], v[250:251], v[198:199]
	v_mul_f64 v[154:155], v[248:249], v[198:199]
	v_fma_f64 v[152:153], v[248:249], v[242:243], -v[152:153]
	v_fmac_f64_e32 v[154:155], v[250:251], v[242:243]
	ds_read2_b64 v[248:251], v244 offset0:48 offset1:49
	v_add_f64 v[136:137], v[136:137], -v[152:153]
	v_add_f64 v[138:139], v[138:139], -v[154:155]
	s_waitcnt lgkmcnt(1)
	v_mul_f64 v[152:153], v[234:235], v[198:199]
	v_mul_f64 v[154:155], v[232:233], v[198:199]
	v_fma_f64 v[152:153], v[232:233], v[242:243], -v[152:153]
	v_fmac_f64_e32 v[154:155], v[234:235], v[242:243]
	ds_read2_b64 v[232:235], v244 offset0:50 offset1:51
	v_add_f64 v[132:133], v[132:133], -v[152:153]
	v_add_f64 v[134:135], v[134:135], -v[154:155]
	s_waitcnt lgkmcnt(1)
	v_mul_f64 v[152:153], v[250:251], v[198:199]
	v_mul_f64 v[154:155], v[248:249], v[198:199]
	v_fma_f64 v[152:153], v[248:249], v[242:243], -v[152:153]
	v_fmac_f64_e32 v[154:155], v[250:251], v[242:243]
	ds_read2_b64 v[248:251], v244 offset0:52 offset1:53
	v_add_f64 v[128:129], v[128:129], -v[152:153]
	v_add_f64 v[130:131], v[130:131], -v[154:155]
	s_waitcnt lgkmcnt(1)
	v_mul_f64 v[152:153], v[234:235], v[198:199]
	v_mul_f64 v[154:155], v[232:233], v[198:199]
	v_fma_f64 v[152:153], v[232:233], v[242:243], -v[152:153]
	v_fmac_f64_e32 v[154:155], v[234:235], v[242:243]
	ds_read2_b64 v[232:235], v244 offset0:54 offset1:55
	v_add_f64 v[124:125], v[124:125], -v[152:153]
	v_add_f64 v[126:127], v[126:127], -v[154:155]
	s_waitcnt lgkmcnt(1)
	v_mul_f64 v[152:153], v[250:251], v[198:199]
	v_mul_f64 v[154:155], v[248:249], v[198:199]
	v_fma_f64 v[152:153], v[248:249], v[242:243], -v[152:153]
	v_fmac_f64_e32 v[154:155], v[250:251], v[242:243]
	ds_read2_b64 v[248:251], v244 offset0:56 offset1:57
	v_add_f64 v[120:121], v[120:121], -v[152:153]
	v_add_f64 v[122:123], v[122:123], -v[154:155]
	s_waitcnt lgkmcnt(1)
	v_mul_f64 v[152:153], v[234:235], v[198:199]
	v_mul_f64 v[154:155], v[232:233], v[198:199]
	v_fma_f64 v[152:153], v[232:233], v[242:243], -v[152:153]
	v_fmac_f64_e32 v[154:155], v[234:235], v[242:243]
	ds_read2_b64 v[232:235], v244 offset0:58 offset1:59
	v_add_f64 v[116:117], v[116:117], -v[152:153]
	v_add_f64 v[118:119], v[118:119], -v[154:155]
	s_waitcnt lgkmcnt(1)
	v_mul_f64 v[152:153], v[250:251], v[198:199]
	v_mul_f64 v[154:155], v[248:249], v[198:199]
	v_fma_f64 v[152:153], v[248:249], v[242:243], -v[152:153]
	v_fmac_f64_e32 v[154:155], v[250:251], v[242:243]
	ds_read2_b64 v[248:251], v244 offset0:60 offset1:61
	v_add_f64 v[112:113], v[112:113], -v[152:153]
	v_add_f64 v[114:115], v[114:115], -v[154:155]
	s_waitcnt lgkmcnt(1)
	v_mul_f64 v[152:153], v[234:235], v[198:199]
	v_mul_f64 v[154:155], v[232:233], v[198:199]
	v_fma_f64 v[152:153], v[232:233], v[242:243], -v[152:153]
	v_fmac_f64_e32 v[154:155], v[234:235], v[242:243]
	ds_read2_b64 v[232:235], v244 offset0:62 offset1:63
	v_add_f64 v[108:109], v[108:109], -v[152:153]
	v_add_f64 v[110:111], v[110:111], -v[154:155]
	s_waitcnt lgkmcnt(1)
	v_mul_f64 v[152:153], v[250:251], v[198:199]
	v_mul_f64 v[154:155], v[248:249], v[198:199]
	v_fma_f64 v[152:153], v[248:249], v[242:243], -v[152:153]
	v_fmac_f64_e32 v[154:155], v[250:251], v[242:243]
	ds_read2_b64 v[248:251], v244 offset0:64 offset1:65
	v_add_f64 v[104:105], v[104:105], -v[152:153]
	v_add_f64 v[106:107], v[106:107], -v[154:155]
	s_waitcnt lgkmcnt(1)
	v_mul_f64 v[152:153], v[234:235], v[198:199]
	v_mul_f64 v[154:155], v[232:233], v[198:199]
	v_fma_f64 v[152:153], v[232:233], v[242:243], -v[152:153]
	v_fmac_f64_e32 v[154:155], v[234:235], v[242:243]
	ds_read2_b64 v[232:235], v244 offset0:66 offset1:67
	v_add_f64 v[100:101], v[100:101], -v[152:153]
	v_add_f64 v[102:103], v[102:103], -v[154:155]
	s_waitcnt lgkmcnt(1)
	v_mul_f64 v[152:153], v[250:251], v[198:199]
	v_mul_f64 v[154:155], v[248:249], v[198:199]
	v_fma_f64 v[152:153], v[248:249], v[242:243], -v[152:153]
	v_fmac_f64_e32 v[154:155], v[250:251], v[242:243]
	ds_read2_b64 v[248:251], v244 offset0:68 offset1:69
	v_add_f64 v[96:97], v[96:97], -v[152:153]
	v_add_f64 v[98:99], v[98:99], -v[154:155]
	s_waitcnt lgkmcnt(1)
	v_mul_f64 v[152:153], v[234:235], v[198:199]
	v_mul_f64 v[154:155], v[232:233], v[198:199]
	v_fma_f64 v[152:153], v[232:233], v[242:243], -v[152:153]
	v_fmac_f64_e32 v[154:155], v[234:235], v[242:243]
	ds_read2_b64 v[232:235], v244 offset0:70 offset1:71
	v_add_f64 v[92:93], v[92:93], -v[152:153]
	v_add_f64 v[94:95], v[94:95], -v[154:155]
	s_waitcnt lgkmcnt(1)
	v_mul_f64 v[152:153], v[250:251], v[198:199]
	v_mul_f64 v[154:155], v[248:249], v[198:199]
	v_fma_f64 v[152:153], v[248:249], v[242:243], -v[152:153]
	v_fmac_f64_e32 v[154:155], v[250:251], v[242:243]
	ds_read2_b64 v[248:251], v244 offset0:72 offset1:73
	v_add_f64 v[88:89], v[88:89], -v[152:153]
	v_add_f64 v[90:91], v[90:91], -v[154:155]
	s_waitcnt lgkmcnt(1)
	v_mul_f64 v[152:153], v[234:235], v[198:199]
	v_mul_f64 v[154:155], v[232:233], v[198:199]
	v_fma_f64 v[152:153], v[232:233], v[242:243], -v[152:153]
	v_fmac_f64_e32 v[154:155], v[234:235], v[242:243]
	ds_read2_b64 v[232:235], v244 offset0:74 offset1:75
	v_add_f64 v[84:85], v[84:85], -v[152:153]
	v_add_f64 v[86:87], v[86:87], -v[154:155]
	s_waitcnt lgkmcnt(1)
	v_mul_f64 v[152:153], v[250:251], v[198:199]
	v_mul_f64 v[154:155], v[248:249], v[198:199]
	v_fma_f64 v[152:153], v[248:249], v[242:243], -v[152:153]
	v_fmac_f64_e32 v[154:155], v[250:251], v[242:243]
	ds_read2_b64 v[248:251], v244 offset0:76 offset1:77
	v_add_f64 v[80:81], v[80:81], -v[152:153]
	v_add_f64 v[82:83], v[82:83], -v[154:155]
	s_waitcnt lgkmcnt(1)
	v_mul_f64 v[152:153], v[234:235], v[198:199]
	v_mul_f64 v[154:155], v[232:233], v[198:199]
	v_fma_f64 v[152:153], v[232:233], v[242:243], -v[152:153]
	v_fmac_f64_e32 v[154:155], v[234:235], v[242:243]
	ds_read2_b64 v[232:235], v244 offset0:78 offset1:79
	v_add_f64 v[76:77], v[76:77], -v[152:153]
	v_add_f64 v[78:79], v[78:79], -v[154:155]
	s_waitcnt lgkmcnt(1)
	v_mul_f64 v[152:153], v[250:251], v[198:199]
	v_mul_f64 v[154:155], v[248:249], v[198:199]
	v_fma_f64 v[152:153], v[248:249], v[242:243], -v[152:153]
	v_fmac_f64_e32 v[154:155], v[250:251], v[242:243]
	ds_read2_b64 v[248:251], v244 offset0:80 offset1:81
	v_add_f64 v[72:73], v[72:73], -v[152:153]
	v_add_f64 v[74:75], v[74:75], -v[154:155]
	s_waitcnt lgkmcnt(1)
	v_mul_f64 v[152:153], v[234:235], v[198:199]
	v_mul_f64 v[154:155], v[232:233], v[198:199]
	v_fma_f64 v[152:153], v[232:233], v[242:243], -v[152:153]
	v_fmac_f64_e32 v[154:155], v[234:235], v[242:243]
	ds_read2_b64 v[232:235], v244 offset0:82 offset1:83
	v_add_f64 v[68:69], v[68:69], -v[152:153]
	v_add_f64 v[70:71], v[70:71], -v[154:155]
	s_waitcnt lgkmcnt(1)
	v_mul_f64 v[152:153], v[250:251], v[198:199]
	v_mul_f64 v[154:155], v[248:249], v[198:199]
	v_fma_f64 v[152:153], v[248:249], v[242:243], -v[152:153]
	v_fmac_f64_e32 v[154:155], v[250:251], v[242:243]
	ds_read2_b64 v[248:251], v244 offset0:84 offset1:85
	v_add_f64 v[64:65], v[64:65], -v[152:153]
	v_add_f64 v[66:67], v[66:67], -v[154:155]
	s_waitcnt lgkmcnt(1)
	v_mul_f64 v[152:153], v[234:235], v[198:199]
	v_mul_f64 v[154:155], v[232:233], v[198:199]
	v_fma_f64 v[152:153], v[232:233], v[242:243], -v[152:153]
	v_fmac_f64_e32 v[154:155], v[234:235], v[242:243]
	ds_read2_b64 v[232:235], v244 offset0:86 offset1:87
	v_add_f64 v[60:61], v[60:61], -v[152:153]
	v_add_f64 v[62:63], v[62:63], -v[154:155]
	s_waitcnt lgkmcnt(1)
	v_mul_f64 v[152:153], v[250:251], v[198:199]
	v_mul_f64 v[154:155], v[248:249], v[198:199]
	v_fma_f64 v[152:153], v[248:249], v[242:243], -v[152:153]
	v_fmac_f64_e32 v[154:155], v[250:251], v[242:243]
	ds_read2_b64 v[248:251], v244 offset0:88 offset1:89
	v_add_f64 v[56:57], v[56:57], -v[152:153]
	v_add_f64 v[58:59], v[58:59], -v[154:155]
	s_waitcnt lgkmcnt(1)
	v_mul_f64 v[152:153], v[234:235], v[198:199]
	v_mul_f64 v[154:155], v[232:233], v[198:199]
	v_fma_f64 v[152:153], v[232:233], v[242:243], -v[152:153]
	v_fmac_f64_e32 v[154:155], v[234:235], v[242:243]
	ds_read2_b64 v[232:235], v244 offset0:90 offset1:91
	v_add_f64 v[52:53], v[52:53], -v[152:153]
	v_add_f64 v[54:55], v[54:55], -v[154:155]
	s_waitcnt lgkmcnt(1)
	v_mul_f64 v[152:153], v[250:251], v[198:199]
	v_mul_f64 v[154:155], v[248:249], v[198:199]
	v_fma_f64 v[152:153], v[248:249], v[242:243], -v[152:153]
	v_fmac_f64_e32 v[154:155], v[250:251], v[242:243]
	ds_read2_b64 v[248:251], v244 offset0:92 offset1:93
	v_add_f64 v[48:49], v[48:49], -v[152:153]
	v_add_f64 v[50:51], v[50:51], -v[154:155]
	s_waitcnt lgkmcnt(1)
	v_mul_f64 v[152:153], v[234:235], v[198:199]
	v_mul_f64 v[154:155], v[232:233], v[198:199]
	v_fma_f64 v[152:153], v[232:233], v[242:243], -v[152:153]
	v_fmac_f64_e32 v[154:155], v[234:235], v[242:243]
	ds_read2_b64 v[232:235], v244 offset0:94 offset1:95
	v_add_f64 v[44:45], v[44:45], -v[152:153]
	v_add_f64 v[46:47], v[46:47], -v[154:155]
	s_waitcnt lgkmcnt(1)
	v_mul_f64 v[152:153], v[250:251], v[198:199]
	v_mul_f64 v[154:155], v[248:249], v[198:199]
	v_fma_f64 v[152:153], v[248:249], v[242:243], -v[152:153]
	v_fmac_f64_e32 v[154:155], v[250:251], v[242:243]
	ds_read2_b64 v[248:251], v244 offset0:96 offset1:97
	v_add_f64 v[40:41], v[40:41], -v[152:153]
	v_add_f64 v[42:43], v[42:43], -v[154:155]
	s_waitcnt lgkmcnt(1)
	v_mul_f64 v[152:153], v[234:235], v[198:199]
	v_mul_f64 v[154:155], v[232:233], v[198:199]
	v_fma_f64 v[152:153], v[232:233], v[242:243], -v[152:153]
	v_fmac_f64_e32 v[154:155], v[234:235], v[242:243]
	ds_read2_b64 v[232:235], v244 offset0:98 offset1:99
	v_add_f64 v[36:37], v[36:37], -v[152:153]
	v_add_f64 v[38:39], v[38:39], -v[154:155]
	s_waitcnt lgkmcnt(1)
	v_mul_f64 v[152:153], v[250:251], v[198:199]
	v_mul_f64 v[154:155], v[248:249], v[198:199]
	v_fma_f64 v[152:153], v[248:249], v[242:243], -v[152:153]
	v_fmac_f64_e32 v[154:155], v[250:251], v[242:243]
	ds_read2_b64 v[248:251], v244 offset0:100 offset1:101
	v_add_f64 v[32:33], v[32:33], -v[152:153]
	v_add_f64 v[34:35], v[34:35], -v[154:155]
	s_waitcnt lgkmcnt(1)
	v_mul_f64 v[152:153], v[234:235], v[198:199]
	v_mul_f64 v[154:155], v[232:233], v[198:199]
	v_fma_f64 v[152:153], v[232:233], v[242:243], -v[152:153]
	v_fmac_f64_e32 v[154:155], v[234:235], v[242:243]
	ds_read2_b64 v[232:235], v244 offset0:102 offset1:103
	v_add_f64 v[28:29], v[28:29], -v[152:153]
	v_add_f64 v[30:31], v[30:31], -v[154:155]
	s_waitcnt lgkmcnt(1)
	v_mul_f64 v[152:153], v[250:251], v[198:199]
	v_mul_f64 v[154:155], v[248:249], v[198:199]
	v_fma_f64 v[152:153], v[248:249], v[242:243], -v[152:153]
	v_fmac_f64_e32 v[154:155], v[250:251], v[242:243]
	ds_read2_b64 v[248:251], v244 offset0:104 offset1:105
	v_add_f64 v[24:25], v[24:25], -v[152:153]
	v_add_f64 v[26:27], v[26:27], -v[154:155]
	s_waitcnt lgkmcnt(1)
	v_mul_f64 v[152:153], v[234:235], v[198:199]
	v_mul_f64 v[154:155], v[232:233], v[198:199]
	v_fma_f64 v[152:153], v[232:233], v[242:243], -v[152:153]
	v_fmac_f64_e32 v[154:155], v[234:235], v[242:243]
	ds_read2_b64 v[232:235], v244 offset0:106 offset1:107
	v_add_f64 v[20:21], v[20:21], -v[152:153]
	v_add_f64 v[22:23], v[22:23], -v[154:155]
	s_waitcnt lgkmcnt(1)
	v_mul_f64 v[152:153], v[250:251], v[198:199]
	v_mul_f64 v[154:155], v[248:249], v[198:199]
	v_fma_f64 v[152:153], v[248:249], v[242:243], -v[152:153]
	v_fmac_f64_e32 v[154:155], v[250:251], v[242:243]
	ds_read2_b64 v[248:251], v244 offset0:108 offset1:109
	v_add_f64 v[16:17], v[16:17], -v[152:153]
	v_add_f64 v[18:19], v[18:19], -v[154:155]
	s_waitcnt lgkmcnt(1)
	v_mul_f64 v[152:153], v[234:235], v[198:199]
	v_mul_f64 v[154:155], v[232:233], v[198:199]
	v_fma_f64 v[152:153], v[232:233], v[242:243], -v[152:153]
	v_fmac_f64_e32 v[154:155], v[234:235], v[242:243]
	ds_read2_b64 v[232:235], v244 offset0:110 offset1:111
	v_add_f64 v[12:13], v[12:13], -v[152:153]
	v_add_f64 v[14:15], v[14:15], -v[154:155]
	s_waitcnt lgkmcnt(1)
	v_mul_f64 v[152:153], v[250:251], v[198:199]
	v_mul_f64 v[154:155], v[248:249], v[198:199]
	v_fma_f64 v[152:153], v[248:249], v[242:243], -v[152:153]
	v_fmac_f64_e32 v[154:155], v[250:251], v[242:243]
	ds_read2_b64 v[248:251], v244 offset0:112 offset1:113
	v_add_f64 v[8:9], v[8:9], -v[152:153]
	v_add_f64 v[10:11], v[10:11], -v[154:155]
	s_waitcnt lgkmcnt(1)
	v_mul_f64 v[152:153], v[234:235], v[198:199]
	v_mul_f64 v[154:155], v[232:233], v[198:199]
	v_fma_f64 v[152:153], v[232:233], v[242:243], -v[152:153]
	v_fmac_f64_e32 v[154:155], v[234:235], v[242:243]
	ds_read2_b64 v[232:235], v244 offset0:114 offset1:115
	v_add_f64 v[224:225], v[224:225], -v[152:153]
	v_add_f64 v[226:227], v[226:227], -v[154:155]
	s_waitcnt lgkmcnt(1)
	v_mul_f64 v[152:153], v[250:251], v[198:199]
	v_mul_f64 v[154:155], v[248:249], v[198:199]
	v_fma_f64 v[152:153], v[248:249], v[242:243], -v[152:153]
	v_fmac_f64_e32 v[154:155], v[250:251], v[242:243]
	v_add_f64 v[0:1], v[0:1], -v[152:153]
	v_add_f64 v[2:3], v[2:3], -v[154:155]
	s_waitcnt lgkmcnt(0)
	v_mul_f64 v[152:153], v[234:235], v[198:199]
	v_mul_f64 v[154:155], v[232:233], v[198:199]
	v_fma_f64 v[152:153], v[232:233], v[242:243], -v[152:153]
	v_fmac_f64_e32 v[154:155], v[234:235], v[242:243]
	v_add_f64 v[228:229], v[228:229], -v[152:153]
	v_add_f64 v[230:231], v[230:231], -v[154:155]
	v_mov_b64_e32 v[196:197], v[242:243]
.LBB114_209:
	s_or_b64 exec, exec, s[0:1]
	v_lshl_add_u32 v152, v245, 4, v244
	s_barrier
	ds_write2_b64 v152, v[192:193], v[194:195] offset1:1
	s_waitcnt lgkmcnt(0)
	s_barrier
	ds_read2_b64 v[232:235], v244 offset0:20 offset1:21
	s_cmp_lt_i32 s20, 12
	v_mov_b32_e32 v242, 10
	s_cbranch_scc1 .LBB114_212
; %bb.210:
	v_add_u32_e32 v243, 0xb0, v244
	s_mov_b32 s0, 11
	v_mov_b32_e32 v242, 10
.LBB114_211:                            ; =>This Inner Loop Header: Depth=1
	ds_read2_b64 v[248:251], v243 offset1:1
	s_waitcnt lgkmcnt(1)
	v_cmp_gt_f64_e32 vcc, 0, v[232:233]
	v_xor_b32_e32 v152, 0x80000000, v233
	v_xor_b32_e32 v154, 0x80000000, v235
	v_cndmask_b32_e32 v153, v233, v152, vcc
	v_cmp_gt_f64_e32 vcc, 0, v[234:235]
	v_mov_b32_e32 v152, v232
	s_waitcnt lgkmcnt(0)
	v_xor_b32_e32 v156, 0x80000000, v251
	v_cndmask_b32_e32 v155, v235, v154, vcc
	v_mov_b32_e32 v154, v234
	v_add_f64 v[152:153], v[152:153], v[154:155]
	v_cmp_gt_f64_e32 vcc, 0, v[248:249]
	v_xor_b32_e32 v154, 0x80000000, v249
	v_add_u32_e32 v243, 16, v243
	v_cndmask_b32_e32 v155, v249, v154, vcc
	v_cmp_gt_f64_e32 vcc, 0, v[250:251]
	v_mov_b32_e32 v154, v248
	s_nop 0
	v_cndmask_b32_e32 v157, v251, v156, vcc
	v_mov_b32_e32 v156, v250
	v_add_f64 v[154:155], v[154:155], v[156:157]
	v_cmp_lt_f64_e32 vcc, v[152:153], v[154:155]
	v_mov_b32_e32 v152, s0
	s_add_i32 s0, s0, 1
	v_cndmask_b32_e32 v233, v233, v249, vcc
	v_cndmask_b32_e32 v232, v232, v248, vcc
	;; [unrolled: 1-line block ×5, first 2 shown]
	s_cmp_lg_u32 s20, s0
	s_cbranch_scc1 .LBB114_211
.LBB114_212:
	s_waitcnt lgkmcnt(0)
	v_cmp_eq_f64_e32 vcc, 0, v[232:233]
	v_cmp_eq_f64_e64 s[0:1], 0, v[234:235]
	s_and_b64 s[0:1], vcc, s[0:1]
	s_and_saveexec_b64 s[16:17], s[0:1]
	s_xor_b64 s[0:1], exec, s[16:17]
; %bb.213:
	v_cmp_ne_u32_e32 vcc, 0, v246
	s_nop 1
	v_cndmask_b32_e32 v246, 11, v246, vcc
; %bb.214:
	s_andn2_saveexec_b64 s[0:1], s[0:1]
	s_cbranch_execz .LBB114_220
; %bb.215:
	v_cmp_ngt_f64_e64 s[16:17], |v[232:233]|, |v[234:235]|
	s_and_saveexec_b64 s[18:19], s[16:17]
	s_xor_b64 s[16:17], exec, s[18:19]
	s_cbranch_execz .LBB114_217
; %bb.216:
	v_div_scale_f64 v[152:153], s[18:19], v[234:235], v[234:235], v[232:233]
	v_rcp_f64_e32 v[154:155], v[152:153]
	v_div_scale_f64 v[156:157], vcc, v[232:233], v[234:235], v[232:233]
	v_fma_f64 v[158:159], -v[152:153], v[154:155], 1.0
	v_fmac_f64_e32 v[154:155], v[154:155], v[158:159]
	v_fma_f64 v[158:159], -v[152:153], v[154:155], 1.0
	v_fmac_f64_e32 v[154:155], v[154:155], v[158:159]
	v_mul_f64 v[158:159], v[156:157], v[154:155]
	v_fma_f64 v[152:153], -v[152:153], v[158:159], v[156:157]
	v_div_fmas_f64 v[152:153], v[152:153], v[154:155], v[158:159]
	v_div_fixup_f64 v[152:153], v[152:153], v[234:235], v[232:233]
	v_fmac_f64_e32 v[234:235], v[232:233], v[152:153]
	v_div_scale_f64 v[154:155], s[18:19], v[234:235], v[234:235], 1.0
	v_rcp_f64_e32 v[156:157], v[154:155]
	s_nop 0
	v_fma_f64 v[158:159], -v[154:155], v[156:157], 1.0
	v_fmac_f64_e32 v[156:157], v[156:157], v[158:159]
	v_fma_f64 v[158:159], -v[154:155], v[156:157], 1.0
	v_fmac_f64_e32 v[156:157], v[156:157], v[158:159]
	v_div_scale_f64 v[158:159], vcc, 1.0, v[234:235], 1.0
	v_mul_f64 v[220:221], v[158:159], v[156:157]
	v_fma_f64 v[154:155], -v[154:155], v[220:221], v[158:159]
	s_nop 1
	v_div_fmas_f64 v[154:155], v[154:155], v[156:157], v[220:221]
	v_div_fixup_f64 v[234:235], v[154:155], v[234:235], 1.0
	v_mul_f64 v[232:233], v[152:153], v[234:235]
	v_xor_b32_e32 v235, 0x80000000, v235
.LBB114_217:
	s_andn2_saveexec_b64 s[16:17], s[16:17]
	s_cbranch_execz .LBB114_219
; %bb.218:
	v_div_scale_f64 v[152:153], s[18:19], v[232:233], v[232:233], v[234:235]
	v_rcp_f64_e32 v[154:155], v[152:153]
	v_div_scale_f64 v[156:157], vcc, v[234:235], v[232:233], v[234:235]
	v_fma_f64 v[158:159], -v[152:153], v[154:155], 1.0
	v_fmac_f64_e32 v[154:155], v[154:155], v[158:159]
	v_fma_f64 v[158:159], -v[152:153], v[154:155], 1.0
	v_fmac_f64_e32 v[154:155], v[154:155], v[158:159]
	v_mul_f64 v[158:159], v[156:157], v[154:155]
	v_fma_f64 v[152:153], -v[152:153], v[158:159], v[156:157]
	v_div_fmas_f64 v[152:153], v[152:153], v[154:155], v[158:159]
	v_div_fixup_f64 v[152:153], v[152:153], v[232:233], v[234:235]
	v_fmac_f64_e32 v[232:233], v[234:235], v[152:153]
	v_div_scale_f64 v[154:155], s[18:19], v[232:233], v[232:233], 1.0
	v_rcp_f64_e32 v[156:157], v[154:155]
	s_nop 0
	v_fma_f64 v[158:159], -v[154:155], v[156:157], 1.0
	v_fmac_f64_e32 v[156:157], v[156:157], v[158:159]
	v_fma_f64 v[158:159], -v[154:155], v[156:157], 1.0
	v_fmac_f64_e32 v[156:157], v[156:157], v[158:159]
	v_div_scale_f64 v[158:159], vcc, 1.0, v[232:233], 1.0
	v_mul_f64 v[220:221], v[158:159], v[156:157]
	v_fma_f64 v[154:155], -v[154:155], v[220:221], v[158:159]
	s_nop 1
	v_div_fmas_f64 v[154:155], v[154:155], v[156:157], v[220:221]
	v_div_fixup_f64 v[232:233], v[154:155], v[232:233], 1.0
	v_mul_f64 v[234:235], v[152:153], -v[232:233]
.LBB114_219:
	s_or_b64 exec, exec, s[16:17]
.LBB114_220:
	s_or_b64 exec, exec, s[0:1]
	v_cmp_ne_u32_e32 vcc, v245, v242
	s_and_saveexec_b64 s[0:1], vcc
	s_xor_b64 s[0:1], exec, s[0:1]
	s_cbranch_execz .LBB114_226
; %bb.221:
	v_cmp_eq_u32_e32 vcc, 10, v245
	s_and_saveexec_b64 s[16:17], vcc
	s_cbranch_execz .LBB114_225
; %bb.222:
	v_cmp_ne_u32_e32 vcc, 10, v242
	s_xor_b64 s[18:19], s[14:15], -1
	s_and_b64 s[22:23], s[18:19], vcc
	s_and_saveexec_b64 s[18:19], s[22:23]
	s_cbranch_execz .LBB114_224
; %bb.223:
	v_ashrrev_i32_e32 v243, 31, v242
	v_lshl_add_u64 v[152:153], v[242:243], 2, v[4:5]
	global_load_dword v154, v[152:153], off
	global_load_dword v155, v[4:5], off offset:40
	s_waitcnt vmcnt(1)
	global_store_dword v[4:5], v154, off offset:40
	s_waitcnt vmcnt(1)
	global_store_dword v[152:153], v155, off
.LBB114_224:
	s_or_b64 exec, exec, s[18:19]
	v_mov_b32_e32 v245, v242
	v_mov_b32_e32 v236, v242
.LBB114_225:
	s_or_b64 exec, exec, s[16:17]
.LBB114_226:
	s_andn2_saveexec_b64 s[0:1], s[0:1]
	s_cbranch_execz .LBB114_228
; %bb.227:
	v_mov_b32_e32 v245, 10
	ds_write2_b64 v244, v[188:189], v[190:191] offset0:22 offset1:23
	ds_write2_b64 v244, v[184:185], v[186:187] offset0:24 offset1:25
	;; [unrolled: 1-line block ×47, first 2 shown]
.LBB114_228:
	s_or_b64 exec, exec, s[0:1]
	v_cmp_lt_i32_e32 vcc, 10, v245
	s_waitcnt lgkmcnt(0)
	s_barrier
	s_and_saveexec_b64 s[0:1], vcc
	s_cbranch_execz .LBB114_230
; %bb.229:
	ds_read2_b64 v[248:251], v244 offset0:22 offset1:23
	v_mul_f64 v[152:153], v[234:235], v[194:195]
	v_mul_f64 v[194:195], v[232:233], v[194:195]
	v_fma_f64 v[242:243], v[232:233], v[192:193], -v[152:153]
	v_fmac_f64_e32 v[194:195], v[234:235], v[192:193]
	ds_read2_b64 v[232:235], v244 offset0:24 offset1:25
	s_waitcnt lgkmcnt(1)
	v_mul_f64 v[152:153], v[250:251], v[194:195]
	v_mul_f64 v[154:155], v[248:249], v[194:195]
	v_fma_f64 v[152:153], v[248:249], v[242:243], -v[152:153]
	v_fmac_f64_e32 v[154:155], v[250:251], v[242:243]
	ds_read2_b64 v[248:251], v244 offset0:26 offset1:27
	v_add_f64 v[188:189], v[188:189], -v[152:153]
	v_add_f64 v[190:191], v[190:191], -v[154:155]
	s_waitcnt lgkmcnt(1)
	v_mul_f64 v[152:153], v[234:235], v[194:195]
	v_mul_f64 v[154:155], v[232:233], v[194:195]
	v_fma_f64 v[152:153], v[232:233], v[242:243], -v[152:153]
	v_fmac_f64_e32 v[154:155], v[234:235], v[242:243]
	ds_read2_b64 v[232:235], v244 offset0:28 offset1:29
	v_add_f64 v[184:185], v[184:185], -v[152:153]
	v_add_f64 v[186:187], v[186:187], -v[154:155]
	;; [unrolled: 8-line block ×45, first 2 shown]
	s_waitcnt lgkmcnt(1)
	v_mul_f64 v[152:153], v[234:235], v[194:195]
	v_mul_f64 v[154:155], v[232:233], v[194:195]
	v_fma_f64 v[152:153], v[232:233], v[242:243], -v[152:153]
	v_fmac_f64_e32 v[154:155], v[234:235], v[242:243]
	v_add_f64 v[0:1], v[0:1], -v[152:153]
	v_add_f64 v[2:3], v[2:3], -v[154:155]
	s_waitcnt lgkmcnt(0)
	v_mul_f64 v[152:153], v[250:251], v[194:195]
	v_mul_f64 v[154:155], v[248:249], v[194:195]
	v_fma_f64 v[152:153], v[248:249], v[242:243], -v[152:153]
	v_fmac_f64_e32 v[154:155], v[250:251], v[242:243]
	v_add_f64 v[228:229], v[228:229], -v[152:153]
	v_add_f64 v[230:231], v[230:231], -v[154:155]
	v_mov_b64_e32 v[192:193], v[242:243]
.LBB114_230:
	s_or_b64 exec, exec, s[0:1]
	v_lshl_add_u32 v152, v245, 4, v244
	s_barrier
	ds_write2_b64 v152, v[188:189], v[190:191] offset1:1
	s_waitcnt lgkmcnt(0)
	s_barrier
	ds_read2_b64 v[232:235], v244 offset0:22 offset1:23
	s_cmp_lt_i32 s20, 13
	v_mov_b32_e32 v242, 11
	s_cbranch_scc1 .LBB114_233
; %bb.231:
	v_add_u32_e32 v243, 0xc0, v244
	s_mov_b32 s0, 12
	v_mov_b32_e32 v242, 11
.LBB114_232:                            ; =>This Inner Loop Header: Depth=1
	ds_read2_b64 v[248:251], v243 offset1:1
	s_waitcnt lgkmcnt(1)
	v_cmp_gt_f64_e32 vcc, 0, v[232:233]
	v_xor_b32_e32 v152, 0x80000000, v233
	v_xor_b32_e32 v154, 0x80000000, v235
	v_cndmask_b32_e32 v153, v233, v152, vcc
	v_cmp_gt_f64_e32 vcc, 0, v[234:235]
	v_mov_b32_e32 v152, v232
	s_waitcnt lgkmcnt(0)
	v_xor_b32_e32 v156, 0x80000000, v251
	v_cndmask_b32_e32 v155, v235, v154, vcc
	v_mov_b32_e32 v154, v234
	v_add_f64 v[152:153], v[152:153], v[154:155]
	v_cmp_gt_f64_e32 vcc, 0, v[248:249]
	v_xor_b32_e32 v154, 0x80000000, v249
	v_add_u32_e32 v243, 16, v243
	v_cndmask_b32_e32 v155, v249, v154, vcc
	v_cmp_gt_f64_e32 vcc, 0, v[250:251]
	v_mov_b32_e32 v154, v248
	s_nop 0
	v_cndmask_b32_e32 v157, v251, v156, vcc
	v_mov_b32_e32 v156, v250
	v_add_f64 v[154:155], v[154:155], v[156:157]
	v_cmp_lt_f64_e32 vcc, v[152:153], v[154:155]
	v_mov_b32_e32 v152, s0
	s_add_i32 s0, s0, 1
	v_cndmask_b32_e32 v233, v233, v249, vcc
	v_cndmask_b32_e32 v232, v232, v248, vcc
	v_cndmask_b32_e32 v235, v235, v251, vcc
	v_cndmask_b32_e32 v234, v234, v250, vcc
	v_cndmask_b32_e32 v242, v242, v152, vcc
	s_cmp_lg_u32 s20, s0
	s_cbranch_scc1 .LBB114_232
.LBB114_233:
	s_waitcnt lgkmcnt(0)
	v_cmp_eq_f64_e32 vcc, 0, v[232:233]
	v_cmp_eq_f64_e64 s[0:1], 0, v[234:235]
	s_and_b64 s[0:1], vcc, s[0:1]
	s_and_saveexec_b64 s[16:17], s[0:1]
	s_xor_b64 s[0:1], exec, s[16:17]
; %bb.234:
	v_cmp_ne_u32_e32 vcc, 0, v246
	s_nop 1
	v_cndmask_b32_e32 v246, 12, v246, vcc
; %bb.235:
	s_andn2_saveexec_b64 s[0:1], s[0:1]
	s_cbranch_execz .LBB114_241
; %bb.236:
	v_cmp_ngt_f64_e64 s[16:17], |v[232:233]|, |v[234:235]|
	s_and_saveexec_b64 s[18:19], s[16:17]
	s_xor_b64 s[16:17], exec, s[18:19]
	s_cbranch_execz .LBB114_238
; %bb.237:
	v_div_scale_f64 v[152:153], s[18:19], v[234:235], v[234:235], v[232:233]
	v_rcp_f64_e32 v[154:155], v[152:153]
	v_div_scale_f64 v[156:157], vcc, v[232:233], v[234:235], v[232:233]
	v_fma_f64 v[158:159], -v[152:153], v[154:155], 1.0
	v_fmac_f64_e32 v[154:155], v[154:155], v[158:159]
	v_fma_f64 v[158:159], -v[152:153], v[154:155], 1.0
	v_fmac_f64_e32 v[154:155], v[154:155], v[158:159]
	v_mul_f64 v[158:159], v[156:157], v[154:155]
	v_fma_f64 v[152:153], -v[152:153], v[158:159], v[156:157]
	v_div_fmas_f64 v[152:153], v[152:153], v[154:155], v[158:159]
	v_div_fixup_f64 v[152:153], v[152:153], v[234:235], v[232:233]
	v_fmac_f64_e32 v[234:235], v[232:233], v[152:153]
	v_div_scale_f64 v[154:155], s[18:19], v[234:235], v[234:235], 1.0
	v_rcp_f64_e32 v[156:157], v[154:155]
	s_nop 0
	v_fma_f64 v[158:159], -v[154:155], v[156:157], 1.0
	v_fmac_f64_e32 v[156:157], v[156:157], v[158:159]
	v_fma_f64 v[158:159], -v[154:155], v[156:157], 1.0
	v_fmac_f64_e32 v[156:157], v[156:157], v[158:159]
	v_div_scale_f64 v[158:159], vcc, 1.0, v[234:235], 1.0
	v_mul_f64 v[220:221], v[158:159], v[156:157]
	v_fma_f64 v[154:155], -v[154:155], v[220:221], v[158:159]
	s_nop 1
	v_div_fmas_f64 v[154:155], v[154:155], v[156:157], v[220:221]
	v_div_fixup_f64 v[234:235], v[154:155], v[234:235], 1.0
	v_mul_f64 v[232:233], v[152:153], v[234:235]
	v_xor_b32_e32 v235, 0x80000000, v235
.LBB114_238:
	s_andn2_saveexec_b64 s[16:17], s[16:17]
	s_cbranch_execz .LBB114_240
; %bb.239:
	v_div_scale_f64 v[152:153], s[18:19], v[232:233], v[232:233], v[234:235]
	v_rcp_f64_e32 v[154:155], v[152:153]
	v_div_scale_f64 v[156:157], vcc, v[234:235], v[232:233], v[234:235]
	v_fma_f64 v[158:159], -v[152:153], v[154:155], 1.0
	v_fmac_f64_e32 v[154:155], v[154:155], v[158:159]
	v_fma_f64 v[158:159], -v[152:153], v[154:155], 1.0
	v_fmac_f64_e32 v[154:155], v[154:155], v[158:159]
	v_mul_f64 v[158:159], v[156:157], v[154:155]
	v_fma_f64 v[152:153], -v[152:153], v[158:159], v[156:157]
	v_div_fmas_f64 v[152:153], v[152:153], v[154:155], v[158:159]
	v_div_fixup_f64 v[152:153], v[152:153], v[232:233], v[234:235]
	v_fmac_f64_e32 v[232:233], v[234:235], v[152:153]
	v_div_scale_f64 v[154:155], s[18:19], v[232:233], v[232:233], 1.0
	v_rcp_f64_e32 v[156:157], v[154:155]
	s_nop 0
	v_fma_f64 v[158:159], -v[154:155], v[156:157], 1.0
	v_fmac_f64_e32 v[156:157], v[156:157], v[158:159]
	v_fma_f64 v[158:159], -v[154:155], v[156:157], 1.0
	v_fmac_f64_e32 v[156:157], v[156:157], v[158:159]
	v_div_scale_f64 v[158:159], vcc, 1.0, v[232:233], 1.0
	v_mul_f64 v[220:221], v[158:159], v[156:157]
	v_fma_f64 v[154:155], -v[154:155], v[220:221], v[158:159]
	s_nop 1
	v_div_fmas_f64 v[154:155], v[154:155], v[156:157], v[220:221]
	v_div_fixup_f64 v[232:233], v[154:155], v[232:233], 1.0
	v_mul_f64 v[234:235], v[152:153], -v[232:233]
.LBB114_240:
	s_or_b64 exec, exec, s[16:17]
.LBB114_241:
	s_or_b64 exec, exec, s[0:1]
	v_cmp_ne_u32_e32 vcc, v245, v242
	s_and_saveexec_b64 s[0:1], vcc
	s_xor_b64 s[0:1], exec, s[0:1]
	s_cbranch_execz .LBB114_247
; %bb.242:
	v_cmp_eq_u32_e32 vcc, 11, v245
	s_and_saveexec_b64 s[16:17], vcc
	s_cbranch_execz .LBB114_246
; %bb.243:
	v_cmp_ne_u32_e32 vcc, 11, v242
	s_xor_b64 s[18:19], s[14:15], -1
	s_and_b64 s[22:23], s[18:19], vcc
	s_and_saveexec_b64 s[18:19], s[22:23]
	s_cbranch_execz .LBB114_245
; %bb.244:
	v_ashrrev_i32_e32 v243, 31, v242
	v_lshl_add_u64 v[152:153], v[242:243], 2, v[4:5]
	global_load_dword v154, v[152:153], off
	global_load_dword v155, v[4:5], off offset:44
	s_waitcnt vmcnt(1)
	global_store_dword v[4:5], v154, off offset:44
	s_waitcnt vmcnt(1)
	global_store_dword v[152:153], v155, off
.LBB114_245:
	s_or_b64 exec, exec, s[18:19]
	v_mov_b32_e32 v245, v242
	v_mov_b32_e32 v236, v242
.LBB114_246:
	s_or_b64 exec, exec, s[16:17]
.LBB114_247:
	s_andn2_saveexec_b64 s[0:1], s[0:1]
	s_cbranch_execz .LBB114_249
; %bb.248:
	v_mov_b32_e32 v245, 11
	ds_write2_b64 v244, v[184:185], v[186:187] offset0:24 offset1:25
	ds_write2_b64 v244, v[180:181], v[182:183] offset0:26 offset1:27
	;; [unrolled: 1-line block ×46, first 2 shown]
.LBB114_249:
	s_or_b64 exec, exec, s[0:1]
	v_cmp_lt_i32_e32 vcc, 11, v245
	s_waitcnt lgkmcnt(0)
	s_barrier
	s_and_saveexec_b64 s[0:1], vcc
	s_cbranch_execz .LBB114_251
; %bb.250:
	ds_read2_b64 v[248:251], v244 offset0:24 offset1:25
	v_mul_f64 v[152:153], v[234:235], v[190:191]
	v_mul_f64 v[190:191], v[232:233], v[190:191]
	v_fma_f64 v[242:243], v[232:233], v[188:189], -v[152:153]
	v_fmac_f64_e32 v[190:191], v[234:235], v[188:189]
	ds_read2_b64 v[232:235], v244 offset0:26 offset1:27
	s_waitcnt lgkmcnt(1)
	v_mul_f64 v[152:153], v[250:251], v[190:191]
	v_mul_f64 v[154:155], v[248:249], v[190:191]
	v_fma_f64 v[152:153], v[248:249], v[242:243], -v[152:153]
	v_fmac_f64_e32 v[154:155], v[250:251], v[242:243]
	ds_read2_b64 v[248:251], v244 offset0:28 offset1:29
	v_add_f64 v[184:185], v[184:185], -v[152:153]
	v_add_f64 v[186:187], v[186:187], -v[154:155]
	s_waitcnt lgkmcnt(1)
	v_mul_f64 v[152:153], v[234:235], v[190:191]
	v_mul_f64 v[154:155], v[232:233], v[190:191]
	v_fma_f64 v[152:153], v[232:233], v[242:243], -v[152:153]
	v_fmac_f64_e32 v[154:155], v[234:235], v[242:243]
	ds_read2_b64 v[232:235], v244 offset0:30 offset1:31
	v_add_f64 v[180:181], v[180:181], -v[152:153]
	v_add_f64 v[182:183], v[182:183], -v[154:155]
	;; [unrolled: 8-line block ×44, first 2 shown]
	s_waitcnt lgkmcnt(1)
	v_mul_f64 v[152:153], v[250:251], v[190:191]
	v_mul_f64 v[154:155], v[248:249], v[190:191]
	v_fma_f64 v[152:153], v[248:249], v[242:243], -v[152:153]
	v_fmac_f64_e32 v[154:155], v[250:251], v[242:243]
	v_add_f64 v[0:1], v[0:1], -v[152:153]
	v_add_f64 v[2:3], v[2:3], -v[154:155]
	s_waitcnt lgkmcnt(0)
	v_mul_f64 v[152:153], v[234:235], v[190:191]
	v_mul_f64 v[154:155], v[232:233], v[190:191]
	v_fma_f64 v[152:153], v[232:233], v[242:243], -v[152:153]
	v_fmac_f64_e32 v[154:155], v[234:235], v[242:243]
	v_add_f64 v[228:229], v[228:229], -v[152:153]
	v_add_f64 v[230:231], v[230:231], -v[154:155]
	v_mov_b64_e32 v[188:189], v[242:243]
.LBB114_251:
	s_or_b64 exec, exec, s[0:1]
	v_lshl_add_u32 v152, v245, 4, v244
	s_barrier
	ds_write2_b64 v152, v[184:185], v[186:187] offset1:1
	s_waitcnt lgkmcnt(0)
	s_barrier
	ds_read2_b64 v[232:235], v244 offset0:24 offset1:25
	s_cmp_lt_i32 s20, 14
	v_mov_b32_e32 v242, 12
	s_cbranch_scc1 .LBB114_254
; %bb.252:
	v_add_u32_e32 v243, 0xd0, v244
	s_mov_b32 s0, 13
	v_mov_b32_e32 v242, 12
.LBB114_253:                            ; =>This Inner Loop Header: Depth=1
	ds_read2_b64 v[248:251], v243 offset1:1
	s_waitcnt lgkmcnt(1)
	v_cmp_gt_f64_e32 vcc, 0, v[232:233]
	v_xor_b32_e32 v152, 0x80000000, v233
	v_xor_b32_e32 v154, 0x80000000, v235
	v_cndmask_b32_e32 v153, v233, v152, vcc
	v_cmp_gt_f64_e32 vcc, 0, v[234:235]
	v_mov_b32_e32 v152, v232
	s_waitcnt lgkmcnt(0)
	v_xor_b32_e32 v156, 0x80000000, v251
	v_cndmask_b32_e32 v155, v235, v154, vcc
	v_mov_b32_e32 v154, v234
	v_add_f64 v[152:153], v[152:153], v[154:155]
	v_cmp_gt_f64_e32 vcc, 0, v[248:249]
	v_xor_b32_e32 v154, 0x80000000, v249
	v_add_u32_e32 v243, 16, v243
	v_cndmask_b32_e32 v155, v249, v154, vcc
	v_cmp_gt_f64_e32 vcc, 0, v[250:251]
	v_mov_b32_e32 v154, v248
	s_nop 0
	v_cndmask_b32_e32 v157, v251, v156, vcc
	v_mov_b32_e32 v156, v250
	v_add_f64 v[154:155], v[154:155], v[156:157]
	v_cmp_lt_f64_e32 vcc, v[152:153], v[154:155]
	v_mov_b32_e32 v152, s0
	s_add_i32 s0, s0, 1
	v_cndmask_b32_e32 v233, v233, v249, vcc
	v_cndmask_b32_e32 v232, v232, v248, vcc
	;; [unrolled: 1-line block ×5, first 2 shown]
	s_cmp_lg_u32 s20, s0
	s_cbranch_scc1 .LBB114_253
.LBB114_254:
	s_waitcnt lgkmcnt(0)
	v_cmp_eq_f64_e32 vcc, 0, v[232:233]
	v_cmp_eq_f64_e64 s[0:1], 0, v[234:235]
	s_and_b64 s[0:1], vcc, s[0:1]
	s_and_saveexec_b64 s[16:17], s[0:1]
	s_xor_b64 s[0:1], exec, s[16:17]
; %bb.255:
	v_cmp_ne_u32_e32 vcc, 0, v246
	s_nop 1
	v_cndmask_b32_e32 v246, 13, v246, vcc
; %bb.256:
	s_andn2_saveexec_b64 s[0:1], s[0:1]
	s_cbranch_execz .LBB114_262
; %bb.257:
	v_cmp_ngt_f64_e64 s[16:17], |v[232:233]|, |v[234:235]|
	s_and_saveexec_b64 s[18:19], s[16:17]
	s_xor_b64 s[16:17], exec, s[18:19]
	s_cbranch_execz .LBB114_259
; %bb.258:
	v_div_scale_f64 v[152:153], s[18:19], v[234:235], v[234:235], v[232:233]
	v_rcp_f64_e32 v[154:155], v[152:153]
	v_div_scale_f64 v[156:157], vcc, v[232:233], v[234:235], v[232:233]
	v_fma_f64 v[158:159], -v[152:153], v[154:155], 1.0
	v_fmac_f64_e32 v[154:155], v[154:155], v[158:159]
	v_fma_f64 v[158:159], -v[152:153], v[154:155], 1.0
	v_fmac_f64_e32 v[154:155], v[154:155], v[158:159]
	v_mul_f64 v[158:159], v[156:157], v[154:155]
	v_fma_f64 v[152:153], -v[152:153], v[158:159], v[156:157]
	v_div_fmas_f64 v[152:153], v[152:153], v[154:155], v[158:159]
	v_div_fixup_f64 v[152:153], v[152:153], v[234:235], v[232:233]
	v_fmac_f64_e32 v[234:235], v[232:233], v[152:153]
	v_div_scale_f64 v[154:155], s[18:19], v[234:235], v[234:235], 1.0
	v_rcp_f64_e32 v[156:157], v[154:155]
	s_nop 0
	v_fma_f64 v[158:159], -v[154:155], v[156:157], 1.0
	v_fmac_f64_e32 v[156:157], v[156:157], v[158:159]
	v_fma_f64 v[158:159], -v[154:155], v[156:157], 1.0
	v_fmac_f64_e32 v[156:157], v[156:157], v[158:159]
	v_div_scale_f64 v[158:159], vcc, 1.0, v[234:235], 1.0
	v_mul_f64 v[220:221], v[158:159], v[156:157]
	v_fma_f64 v[154:155], -v[154:155], v[220:221], v[158:159]
	s_nop 1
	v_div_fmas_f64 v[154:155], v[154:155], v[156:157], v[220:221]
	v_div_fixup_f64 v[234:235], v[154:155], v[234:235], 1.0
	v_mul_f64 v[232:233], v[152:153], v[234:235]
	v_xor_b32_e32 v235, 0x80000000, v235
.LBB114_259:
	s_andn2_saveexec_b64 s[16:17], s[16:17]
	s_cbranch_execz .LBB114_261
; %bb.260:
	v_div_scale_f64 v[152:153], s[18:19], v[232:233], v[232:233], v[234:235]
	v_rcp_f64_e32 v[154:155], v[152:153]
	v_div_scale_f64 v[156:157], vcc, v[234:235], v[232:233], v[234:235]
	v_fma_f64 v[158:159], -v[152:153], v[154:155], 1.0
	v_fmac_f64_e32 v[154:155], v[154:155], v[158:159]
	v_fma_f64 v[158:159], -v[152:153], v[154:155], 1.0
	v_fmac_f64_e32 v[154:155], v[154:155], v[158:159]
	v_mul_f64 v[158:159], v[156:157], v[154:155]
	v_fma_f64 v[152:153], -v[152:153], v[158:159], v[156:157]
	v_div_fmas_f64 v[152:153], v[152:153], v[154:155], v[158:159]
	v_div_fixup_f64 v[152:153], v[152:153], v[232:233], v[234:235]
	v_fmac_f64_e32 v[232:233], v[234:235], v[152:153]
	v_div_scale_f64 v[154:155], s[18:19], v[232:233], v[232:233], 1.0
	v_rcp_f64_e32 v[156:157], v[154:155]
	s_nop 0
	v_fma_f64 v[158:159], -v[154:155], v[156:157], 1.0
	v_fmac_f64_e32 v[156:157], v[156:157], v[158:159]
	v_fma_f64 v[158:159], -v[154:155], v[156:157], 1.0
	v_fmac_f64_e32 v[156:157], v[156:157], v[158:159]
	v_div_scale_f64 v[158:159], vcc, 1.0, v[232:233], 1.0
	v_mul_f64 v[220:221], v[158:159], v[156:157]
	v_fma_f64 v[154:155], -v[154:155], v[220:221], v[158:159]
	s_nop 1
	v_div_fmas_f64 v[154:155], v[154:155], v[156:157], v[220:221]
	v_div_fixup_f64 v[232:233], v[154:155], v[232:233], 1.0
	v_mul_f64 v[234:235], v[152:153], -v[232:233]
.LBB114_261:
	s_or_b64 exec, exec, s[16:17]
.LBB114_262:
	s_or_b64 exec, exec, s[0:1]
	v_cmp_ne_u32_e32 vcc, v245, v242
	s_and_saveexec_b64 s[0:1], vcc
	s_xor_b64 s[0:1], exec, s[0:1]
	s_cbranch_execz .LBB114_268
; %bb.263:
	v_cmp_eq_u32_e32 vcc, 12, v245
	s_and_saveexec_b64 s[16:17], vcc
	s_cbranch_execz .LBB114_267
; %bb.264:
	v_cmp_ne_u32_e32 vcc, 12, v242
	s_xor_b64 s[18:19], s[14:15], -1
	s_and_b64 s[22:23], s[18:19], vcc
	s_and_saveexec_b64 s[18:19], s[22:23]
	s_cbranch_execz .LBB114_266
; %bb.265:
	v_ashrrev_i32_e32 v243, 31, v242
	v_lshl_add_u64 v[152:153], v[242:243], 2, v[4:5]
	global_load_dword v154, v[152:153], off
	global_load_dword v155, v[4:5], off offset:48
	s_waitcnt vmcnt(1)
	global_store_dword v[4:5], v154, off offset:48
	s_waitcnt vmcnt(1)
	global_store_dword v[152:153], v155, off
.LBB114_266:
	s_or_b64 exec, exec, s[18:19]
	v_mov_b32_e32 v245, v242
	v_mov_b32_e32 v236, v242
.LBB114_267:
	s_or_b64 exec, exec, s[16:17]
.LBB114_268:
	s_andn2_saveexec_b64 s[0:1], s[0:1]
	s_cbranch_execz .LBB114_270
; %bb.269:
	v_mov_b32_e32 v245, 12
	ds_write2_b64 v244, v[180:181], v[182:183] offset0:26 offset1:27
	ds_write2_b64 v244, v[176:177], v[178:179] offset0:28 offset1:29
	;; [unrolled: 1-line block ×45, first 2 shown]
.LBB114_270:
	s_or_b64 exec, exec, s[0:1]
	v_cmp_lt_i32_e32 vcc, 12, v245
	s_waitcnt lgkmcnt(0)
	s_barrier
	s_and_saveexec_b64 s[0:1], vcc
	s_cbranch_execz .LBB114_272
; %bb.271:
	ds_read2_b64 v[248:251], v244 offset0:26 offset1:27
	v_mul_f64 v[152:153], v[234:235], v[186:187]
	v_mul_f64 v[186:187], v[232:233], v[186:187]
	v_fma_f64 v[242:243], v[232:233], v[184:185], -v[152:153]
	v_fmac_f64_e32 v[186:187], v[234:235], v[184:185]
	ds_read2_b64 v[232:235], v244 offset0:28 offset1:29
	s_waitcnt lgkmcnt(1)
	v_mul_f64 v[152:153], v[250:251], v[186:187]
	v_mul_f64 v[154:155], v[248:249], v[186:187]
	v_fma_f64 v[152:153], v[248:249], v[242:243], -v[152:153]
	v_fmac_f64_e32 v[154:155], v[250:251], v[242:243]
	ds_read2_b64 v[248:251], v244 offset0:30 offset1:31
	v_add_f64 v[180:181], v[180:181], -v[152:153]
	v_add_f64 v[182:183], v[182:183], -v[154:155]
	s_waitcnt lgkmcnt(1)
	v_mul_f64 v[152:153], v[234:235], v[186:187]
	v_mul_f64 v[154:155], v[232:233], v[186:187]
	v_fma_f64 v[152:153], v[232:233], v[242:243], -v[152:153]
	v_fmac_f64_e32 v[154:155], v[234:235], v[242:243]
	ds_read2_b64 v[232:235], v244 offset0:32 offset1:33
	v_add_f64 v[176:177], v[176:177], -v[152:153]
	v_add_f64 v[178:179], v[178:179], -v[154:155]
	;; [unrolled: 8-line block ×43, first 2 shown]
	s_waitcnt lgkmcnt(1)
	v_mul_f64 v[152:153], v[234:235], v[186:187]
	v_mul_f64 v[154:155], v[232:233], v[186:187]
	v_fma_f64 v[152:153], v[232:233], v[242:243], -v[152:153]
	v_fmac_f64_e32 v[154:155], v[234:235], v[242:243]
	v_add_f64 v[0:1], v[0:1], -v[152:153]
	v_add_f64 v[2:3], v[2:3], -v[154:155]
	s_waitcnt lgkmcnt(0)
	v_mul_f64 v[152:153], v[250:251], v[186:187]
	v_mul_f64 v[154:155], v[248:249], v[186:187]
	v_fma_f64 v[152:153], v[248:249], v[242:243], -v[152:153]
	v_fmac_f64_e32 v[154:155], v[250:251], v[242:243]
	v_add_f64 v[228:229], v[228:229], -v[152:153]
	v_add_f64 v[230:231], v[230:231], -v[154:155]
	v_mov_b64_e32 v[184:185], v[242:243]
.LBB114_272:
	s_or_b64 exec, exec, s[0:1]
	v_lshl_add_u32 v152, v245, 4, v244
	s_barrier
	ds_write2_b64 v152, v[180:181], v[182:183] offset1:1
	s_waitcnt lgkmcnt(0)
	s_barrier
	ds_read2_b64 v[232:235], v244 offset0:26 offset1:27
	s_cmp_lt_i32 s20, 15
	v_mov_b32_e32 v242, 13
	s_cbranch_scc1 .LBB114_275
; %bb.273:
	v_add_u32_e32 v243, 0xe0, v244
	s_mov_b32 s0, 14
	v_mov_b32_e32 v242, 13
.LBB114_274:                            ; =>This Inner Loop Header: Depth=1
	ds_read2_b64 v[248:251], v243 offset1:1
	s_waitcnt lgkmcnt(1)
	v_cmp_gt_f64_e32 vcc, 0, v[232:233]
	v_xor_b32_e32 v152, 0x80000000, v233
	v_xor_b32_e32 v154, 0x80000000, v235
	v_cndmask_b32_e32 v153, v233, v152, vcc
	v_cmp_gt_f64_e32 vcc, 0, v[234:235]
	v_mov_b32_e32 v152, v232
	s_waitcnt lgkmcnt(0)
	v_xor_b32_e32 v156, 0x80000000, v251
	v_cndmask_b32_e32 v155, v235, v154, vcc
	v_mov_b32_e32 v154, v234
	v_add_f64 v[152:153], v[152:153], v[154:155]
	v_cmp_gt_f64_e32 vcc, 0, v[248:249]
	v_xor_b32_e32 v154, 0x80000000, v249
	v_add_u32_e32 v243, 16, v243
	v_cndmask_b32_e32 v155, v249, v154, vcc
	v_cmp_gt_f64_e32 vcc, 0, v[250:251]
	v_mov_b32_e32 v154, v248
	s_nop 0
	v_cndmask_b32_e32 v157, v251, v156, vcc
	v_mov_b32_e32 v156, v250
	v_add_f64 v[154:155], v[154:155], v[156:157]
	v_cmp_lt_f64_e32 vcc, v[152:153], v[154:155]
	v_mov_b32_e32 v152, s0
	s_add_i32 s0, s0, 1
	v_cndmask_b32_e32 v233, v233, v249, vcc
	v_cndmask_b32_e32 v232, v232, v248, vcc
	;; [unrolled: 1-line block ×5, first 2 shown]
	s_cmp_lg_u32 s20, s0
	s_cbranch_scc1 .LBB114_274
.LBB114_275:
	s_waitcnt lgkmcnt(0)
	v_cmp_eq_f64_e32 vcc, 0, v[232:233]
	v_cmp_eq_f64_e64 s[0:1], 0, v[234:235]
	s_and_b64 s[0:1], vcc, s[0:1]
	s_and_saveexec_b64 s[16:17], s[0:1]
	s_xor_b64 s[0:1], exec, s[16:17]
; %bb.276:
	v_cmp_ne_u32_e32 vcc, 0, v246
	s_nop 1
	v_cndmask_b32_e32 v246, 14, v246, vcc
; %bb.277:
	s_andn2_saveexec_b64 s[0:1], s[0:1]
	s_cbranch_execz .LBB114_283
; %bb.278:
	v_cmp_ngt_f64_e64 s[16:17], |v[232:233]|, |v[234:235]|
	s_and_saveexec_b64 s[18:19], s[16:17]
	s_xor_b64 s[16:17], exec, s[18:19]
	s_cbranch_execz .LBB114_280
; %bb.279:
	v_div_scale_f64 v[152:153], s[18:19], v[234:235], v[234:235], v[232:233]
	v_rcp_f64_e32 v[154:155], v[152:153]
	v_div_scale_f64 v[156:157], vcc, v[232:233], v[234:235], v[232:233]
	v_fma_f64 v[158:159], -v[152:153], v[154:155], 1.0
	v_fmac_f64_e32 v[154:155], v[154:155], v[158:159]
	v_fma_f64 v[158:159], -v[152:153], v[154:155], 1.0
	v_fmac_f64_e32 v[154:155], v[154:155], v[158:159]
	v_mul_f64 v[158:159], v[156:157], v[154:155]
	v_fma_f64 v[152:153], -v[152:153], v[158:159], v[156:157]
	v_div_fmas_f64 v[152:153], v[152:153], v[154:155], v[158:159]
	v_div_fixup_f64 v[152:153], v[152:153], v[234:235], v[232:233]
	v_fmac_f64_e32 v[234:235], v[232:233], v[152:153]
	v_div_scale_f64 v[154:155], s[18:19], v[234:235], v[234:235], 1.0
	v_rcp_f64_e32 v[156:157], v[154:155]
	s_nop 0
	v_fma_f64 v[158:159], -v[154:155], v[156:157], 1.0
	v_fmac_f64_e32 v[156:157], v[156:157], v[158:159]
	v_fma_f64 v[158:159], -v[154:155], v[156:157], 1.0
	v_fmac_f64_e32 v[156:157], v[156:157], v[158:159]
	v_div_scale_f64 v[158:159], vcc, 1.0, v[234:235], 1.0
	v_mul_f64 v[220:221], v[158:159], v[156:157]
	v_fma_f64 v[154:155], -v[154:155], v[220:221], v[158:159]
	s_nop 1
	v_div_fmas_f64 v[154:155], v[154:155], v[156:157], v[220:221]
	v_div_fixup_f64 v[234:235], v[154:155], v[234:235], 1.0
	v_mul_f64 v[232:233], v[152:153], v[234:235]
	v_xor_b32_e32 v235, 0x80000000, v235
.LBB114_280:
	s_andn2_saveexec_b64 s[16:17], s[16:17]
	s_cbranch_execz .LBB114_282
; %bb.281:
	v_div_scale_f64 v[152:153], s[18:19], v[232:233], v[232:233], v[234:235]
	v_rcp_f64_e32 v[154:155], v[152:153]
	v_div_scale_f64 v[156:157], vcc, v[234:235], v[232:233], v[234:235]
	v_fma_f64 v[158:159], -v[152:153], v[154:155], 1.0
	v_fmac_f64_e32 v[154:155], v[154:155], v[158:159]
	v_fma_f64 v[158:159], -v[152:153], v[154:155], 1.0
	v_fmac_f64_e32 v[154:155], v[154:155], v[158:159]
	v_mul_f64 v[158:159], v[156:157], v[154:155]
	v_fma_f64 v[152:153], -v[152:153], v[158:159], v[156:157]
	v_div_fmas_f64 v[152:153], v[152:153], v[154:155], v[158:159]
	v_div_fixup_f64 v[152:153], v[152:153], v[232:233], v[234:235]
	v_fmac_f64_e32 v[232:233], v[234:235], v[152:153]
	v_div_scale_f64 v[154:155], s[18:19], v[232:233], v[232:233], 1.0
	v_rcp_f64_e32 v[156:157], v[154:155]
	s_nop 0
	v_fma_f64 v[158:159], -v[154:155], v[156:157], 1.0
	v_fmac_f64_e32 v[156:157], v[156:157], v[158:159]
	v_fma_f64 v[158:159], -v[154:155], v[156:157], 1.0
	v_fmac_f64_e32 v[156:157], v[156:157], v[158:159]
	v_div_scale_f64 v[158:159], vcc, 1.0, v[232:233], 1.0
	v_mul_f64 v[220:221], v[158:159], v[156:157]
	v_fma_f64 v[154:155], -v[154:155], v[220:221], v[158:159]
	s_nop 1
	v_div_fmas_f64 v[154:155], v[154:155], v[156:157], v[220:221]
	v_div_fixup_f64 v[232:233], v[154:155], v[232:233], 1.0
	v_mul_f64 v[234:235], v[152:153], -v[232:233]
.LBB114_282:
	s_or_b64 exec, exec, s[16:17]
.LBB114_283:
	s_or_b64 exec, exec, s[0:1]
	v_cmp_ne_u32_e32 vcc, v245, v242
	s_and_saveexec_b64 s[0:1], vcc
	s_xor_b64 s[0:1], exec, s[0:1]
	s_cbranch_execz .LBB114_289
; %bb.284:
	v_cmp_eq_u32_e32 vcc, 13, v245
	s_and_saveexec_b64 s[16:17], vcc
	s_cbranch_execz .LBB114_288
; %bb.285:
	v_cmp_ne_u32_e32 vcc, 13, v242
	s_xor_b64 s[18:19], s[14:15], -1
	s_and_b64 s[22:23], s[18:19], vcc
	s_and_saveexec_b64 s[18:19], s[22:23]
	s_cbranch_execz .LBB114_287
; %bb.286:
	v_ashrrev_i32_e32 v243, 31, v242
	v_lshl_add_u64 v[152:153], v[242:243], 2, v[4:5]
	global_load_dword v154, v[152:153], off
	global_load_dword v155, v[4:5], off offset:52
	s_waitcnt vmcnt(1)
	global_store_dword v[4:5], v154, off offset:52
	s_waitcnt vmcnt(1)
	global_store_dword v[152:153], v155, off
.LBB114_287:
	s_or_b64 exec, exec, s[18:19]
	v_mov_b32_e32 v245, v242
	v_mov_b32_e32 v236, v242
.LBB114_288:
	s_or_b64 exec, exec, s[16:17]
.LBB114_289:
	s_andn2_saveexec_b64 s[0:1], s[0:1]
	s_cbranch_execz .LBB114_291
; %bb.290:
	v_mov_b32_e32 v245, 13
	ds_write2_b64 v244, v[176:177], v[178:179] offset0:28 offset1:29
	ds_write2_b64 v244, v[172:173], v[174:175] offset0:30 offset1:31
	;; [unrolled: 1-line block ×44, first 2 shown]
.LBB114_291:
	s_or_b64 exec, exec, s[0:1]
	v_cmp_lt_i32_e32 vcc, 13, v245
	s_waitcnt lgkmcnt(0)
	s_barrier
	s_and_saveexec_b64 s[0:1], vcc
	s_cbranch_execz .LBB114_293
; %bb.292:
	ds_read2_b64 v[248:251], v244 offset0:28 offset1:29
	v_mul_f64 v[152:153], v[234:235], v[182:183]
	v_mul_f64 v[182:183], v[232:233], v[182:183]
	v_fma_f64 v[242:243], v[232:233], v[180:181], -v[152:153]
	v_fmac_f64_e32 v[182:183], v[234:235], v[180:181]
	ds_read2_b64 v[232:235], v244 offset0:30 offset1:31
	s_waitcnt lgkmcnt(1)
	v_mul_f64 v[152:153], v[250:251], v[182:183]
	v_mul_f64 v[154:155], v[248:249], v[182:183]
	v_fma_f64 v[152:153], v[248:249], v[242:243], -v[152:153]
	v_fmac_f64_e32 v[154:155], v[250:251], v[242:243]
	ds_read2_b64 v[248:251], v244 offset0:32 offset1:33
	v_add_f64 v[176:177], v[176:177], -v[152:153]
	v_add_f64 v[178:179], v[178:179], -v[154:155]
	s_waitcnt lgkmcnt(1)
	v_mul_f64 v[152:153], v[234:235], v[182:183]
	v_mul_f64 v[154:155], v[232:233], v[182:183]
	v_fma_f64 v[152:153], v[232:233], v[242:243], -v[152:153]
	v_fmac_f64_e32 v[154:155], v[234:235], v[242:243]
	ds_read2_b64 v[232:235], v244 offset0:34 offset1:35
	v_add_f64 v[172:173], v[172:173], -v[152:153]
	v_add_f64 v[174:175], v[174:175], -v[154:155]
	;; [unrolled: 8-line block ×42, first 2 shown]
	s_waitcnt lgkmcnt(1)
	v_mul_f64 v[152:153], v[250:251], v[182:183]
	v_mul_f64 v[154:155], v[248:249], v[182:183]
	v_fma_f64 v[152:153], v[248:249], v[242:243], -v[152:153]
	v_fmac_f64_e32 v[154:155], v[250:251], v[242:243]
	v_add_f64 v[0:1], v[0:1], -v[152:153]
	v_add_f64 v[2:3], v[2:3], -v[154:155]
	s_waitcnt lgkmcnt(0)
	v_mul_f64 v[152:153], v[234:235], v[182:183]
	v_mul_f64 v[154:155], v[232:233], v[182:183]
	v_fma_f64 v[152:153], v[232:233], v[242:243], -v[152:153]
	v_fmac_f64_e32 v[154:155], v[234:235], v[242:243]
	v_add_f64 v[228:229], v[228:229], -v[152:153]
	v_add_f64 v[230:231], v[230:231], -v[154:155]
	v_mov_b64_e32 v[180:181], v[242:243]
.LBB114_293:
	s_or_b64 exec, exec, s[0:1]
	v_lshl_add_u32 v152, v245, 4, v244
	s_barrier
	ds_write2_b64 v152, v[176:177], v[178:179] offset1:1
	s_waitcnt lgkmcnt(0)
	s_barrier
	ds_read2_b64 v[232:235], v244 offset0:28 offset1:29
	s_cmp_lt_i32 s20, 16
	v_mov_b32_e32 v242, 14
	s_cbranch_scc1 .LBB114_296
; %bb.294:
	v_add_u32_e32 v243, 0xf0, v244
	s_mov_b32 s0, 15
	v_mov_b32_e32 v242, 14
.LBB114_295:                            ; =>This Inner Loop Header: Depth=1
	ds_read2_b64 v[248:251], v243 offset1:1
	s_waitcnt lgkmcnt(1)
	v_cmp_gt_f64_e32 vcc, 0, v[232:233]
	v_xor_b32_e32 v152, 0x80000000, v233
	v_xor_b32_e32 v154, 0x80000000, v235
	v_cndmask_b32_e32 v153, v233, v152, vcc
	v_cmp_gt_f64_e32 vcc, 0, v[234:235]
	v_mov_b32_e32 v152, v232
	s_waitcnt lgkmcnt(0)
	v_xor_b32_e32 v156, 0x80000000, v251
	v_cndmask_b32_e32 v155, v235, v154, vcc
	v_mov_b32_e32 v154, v234
	v_add_f64 v[152:153], v[152:153], v[154:155]
	v_cmp_gt_f64_e32 vcc, 0, v[248:249]
	v_xor_b32_e32 v154, 0x80000000, v249
	v_add_u32_e32 v243, 16, v243
	v_cndmask_b32_e32 v155, v249, v154, vcc
	v_cmp_gt_f64_e32 vcc, 0, v[250:251]
	v_mov_b32_e32 v154, v248
	s_nop 0
	v_cndmask_b32_e32 v157, v251, v156, vcc
	v_mov_b32_e32 v156, v250
	v_add_f64 v[154:155], v[154:155], v[156:157]
	v_cmp_lt_f64_e32 vcc, v[152:153], v[154:155]
	v_mov_b32_e32 v152, s0
	s_add_i32 s0, s0, 1
	v_cndmask_b32_e32 v233, v233, v249, vcc
	v_cndmask_b32_e32 v232, v232, v248, vcc
	;; [unrolled: 1-line block ×5, first 2 shown]
	s_cmp_lg_u32 s20, s0
	s_cbranch_scc1 .LBB114_295
.LBB114_296:
	s_waitcnt lgkmcnt(0)
	v_cmp_eq_f64_e32 vcc, 0, v[232:233]
	v_cmp_eq_f64_e64 s[0:1], 0, v[234:235]
	s_and_b64 s[0:1], vcc, s[0:1]
	s_and_saveexec_b64 s[16:17], s[0:1]
	s_xor_b64 s[0:1], exec, s[16:17]
; %bb.297:
	v_cmp_ne_u32_e32 vcc, 0, v246
	s_nop 1
	v_cndmask_b32_e32 v246, 15, v246, vcc
; %bb.298:
	s_andn2_saveexec_b64 s[0:1], s[0:1]
	s_cbranch_execz .LBB114_304
; %bb.299:
	v_cmp_ngt_f64_e64 s[16:17], |v[232:233]|, |v[234:235]|
	s_and_saveexec_b64 s[18:19], s[16:17]
	s_xor_b64 s[16:17], exec, s[18:19]
	s_cbranch_execz .LBB114_301
; %bb.300:
	v_div_scale_f64 v[152:153], s[18:19], v[234:235], v[234:235], v[232:233]
	v_rcp_f64_e32 v[154:155], v[152:153]
	v_div_scale_f64 v[156:157], vcc, v[232:233], v[234:235], v[232:233]
	v_fma_f64 v[158:159], -v[152:153], v[154:155], 1.0
	v_fmac_f64_e32 v[154:155], v[154:155], v[158:159]
	v_fma_f64 v[158:159], -v[152:153], v[154:155], 1.0
	v_fmac_f64_e32 v[154:155], v[154:155], v[158:159]
	v_mul_f64 v[158:159], v[156:157], v[154:155]
	v_fma_f64 v[152:153], -v[152:153], v[158:159], v[156:157]
	v_div_fmas_f64 v[152:153], v[152:153], v[154:155], v[158:159]
	v_div_fixup_f64 v[152:153], v[152:153], v[234:235], v[232:233]
	v_fmac_f64_e32 v[234:235], v[232:233], v[152:153]
	v_div_scale_f64 v[154:155], s[18:19], v[234:235], v[234:235], 1.0
	v_rcp_f64_e32 v[156:157], v[154:155]
	s_nop 0
	v_fma_f64 v[158:159], -v[154:155], v[156:157], 1.0
	v_fmac_f64_e32 v[156:157], v[156:157], v[158:159]
	v_fma_f64 v[158:159], -v[154:155], v[156:157], 1.0
	v_fmac_f64_e32 v[156:157], v[156:157], v[158:159]
	v_div_scale_f64 v[158:159], vcc, 1.0, v[234:235], 1.0
	v_mul_f64 v[220:221], v[158:159], v[156:157]
	v_fma_f64 v[154:155], -v[154:155], v[220:221], v[158:159]
	s_nop 1
	v_div_fmas_f64 v[154:155], v[154:155], v[156:157], v[220:221]
	v_div_fixup_f64 v[234:235], v[154:155], v[234:235], 1.0
	v_mul_f64 v[232:233], v[152:153], v[234:235]
	v_xor_b32_e32 v235, 0x80000000, v235
.LBB114_301:
	s_andn2_saveexec_b64 s[16:17], s[16:17]
	s_cbranch_execz .LBB114_303
; %bb.302:
	v_div_scale_f64 v[152:153], s[18:19], v[232:233], v[232:233], v[234:235]
	v_rcp_f64_e32 v[154:155], v[152:153]
	v_div_scale_f64 v[156:157], vcc, v[234:235], v[232:233], v[234:235]
	v_fma_f64 v[158:159], -v[152:153], v[154:155], 1.0
	v_fmac_f64_e32 v[154:155], v[154:155], v[158:159]
	v_fma_f64 v[158:159], -v[152:153], v[154:155], 1.0
	v_fmac_f64_e32 v[154:155], v[154:155], v[158:159]
	v_mul_f64 v[158:159], v[156:157], v[154:155]
	v_fma_f64 v[152:153], -v[152:153], v[158:159], v[156:157]
	v_div_fmas_f64 v[152:153], v[152:153], v[154:155], v[158:159]
	v_div_fixup_f64 v[152:153], v[152:153], v[232:233], v[234:235]
	v_fmac_f64_e32 v[232:233], v[234:235], v[152:153]
	v_div_scale_f64 v[154:155], s[18:19], v[232:233], v[232:233], 1.0
	v_rcp_f64_e32 v[156:157], v[154:155]
	s_nop 0
	v_fma_f64 v[158:159], -v[154:155], v[156:157], 1.0
	v_fmac_f64_e32 v[156:157], v[156:157], v[158:159]
	v_fma_f64 v[158:159], -v[154:155], v[156:157], 1.0
	v_fmac_f64_e32 v[156:157], v[156:157], v[158:159]
	v_div_scale_f64 v[158:159], vcc, 1.0, v[232:233], 1.0
	v_mul_f64 v[220:221], v[158:159], v[156:157]
	v_fma_f64 v[154:155], -v[154:155], v[220:221], v[158:159]
	s_nop 1
	v_div_fmas_f64 v[154:155], v[154:155], v[156:157], v[220:221]
	v_div_fixup_f64 v[232:233], v[154:155], v[232:233], 1.0
	v_mul_f64 v[234:235], v[152:153], -v[232:233]
.LBB114_303:
	s_or_b64 exec, exec, s[16:17]
.LBB114_304:
	s_or_b64 exec, exec, s[0:1]
	v_cmp_ne_u32_e32 vcc, v245, v242
	s_and_saveexec_b64 s[0:1], vcc
	s_xor_b64 s[0:1], exec, s[0:1]
	s_cbranch_execz .LBB114_310
; %bb.305:
	v_cmp_eq_u32_e32 vcc, 14, v245
	s_and_saveexec_b64 s[16:17], vcc
	s_cbranch_execz .LBB114_309
; %bb.306:
	v_cmp_ne_u32_e32 vcc, 14, v242
	s_xor_b64 s[18:19], s[14:15], -1
	s_and_b64 s[22:23], s[18:19], vcc
	s_and_saveexec_b64 s[18:19], s[22:23]
	s_cbranch_execz .LBB114_308
; %bb.307:
	v_ashrrev_i32_e32 v243, 31, v242
	v_lshl_add_u64 v[152:153], v[242:243], 2, v[4:5]
	global_load_dword v154, v[152:153], off
	global_load_dword v155, v[4:5], off offset:56
	s_waitcnt vmcnt(1)
	global_store_dword v[4:5], v154, off offset:56
	s_waitcnt vmcnt(1)
	global_store_dword v[152:153], v155, off
.LBB114_308:
	s_or_b64 exec, exec, s[18:19]
	v_mov_b32_e32 v245, v242
	v_mov_b32_e32 v236, v242
.LBB114_309:
	s_or_b64 exec, exec, s[16:17]
.LBB114_310:
	s_andn2_saveexec_b64 s[0:1], s[0:1]
	s_cbranch_execz .LBB114_312
; %bb.311:
	v_mov_b32_e32 v245, 14
	ds_write2_b64 v244, v[172:173], v[174:175] offset0:30 offset1:31
	ds_write2_b64 v244, v[168:169], v[170:171] offset0:32 offset1:33
	;; [unrolled: 1-line block ×43, first 2 shown]
.LBB114_312:
	s_or_b64 exec, exec, s[0:1]
	v_cmp_lt_i32_e32 vcc, 14, v245
	s_waitcnt lgkmcnt(0)
	s_barrier
	s_and_saveexec_b64 s[0:1], vcc
	s_cbranch_execz .LBB114_314
; %bb.313:
	ds_read2_b64 v[248:251], v244 offset0:30 offset1:31
	v_mul_f64 v[152:153], v[234:235], v[178:179]
	v_mul_f64 v[178:179], v[232:233], v[178:179]
	v_fma_f64 v[242:243], v[232:233], v[176:177], -v[152:153]
	v_fmac_f64_e32 v[178:179], v[234:235], v[176:177]
	ds_read2_b64 v[232:235], v244 offset0:32 offset1:33
	s_waitcnt lgkmcnt(1)
	v_mul_f64 v[152:153], v[250:251], v[178:179]
	v_mul_f64 v[154:155], v[248:249], v[178:179]
	v_fma_f64 v[152:153], v[248:249], v[242:243], -v[152:153]
	v_fmac_f64_e32 v[154:155], v[250:251], v[242:243]
	ds_read2_b64 v[248:251], v244 offset0:34 offset1:35
	v_add_f64 v[172:173], v[172:173], -v[152:153]
	v_add_f64 v[174:175], v[174:175], -v[154:155]
	s_waitcnt lgkmcnt(1)
	v_mul_f64 v[152:153], v[234:235], v[178:179]
	v_mul_f64 v[154:155], v[232:233], v[178:179]
	v_fma_f64 v[152:153], v[232:233], v[242:243], -v[152:153]
	v_fmac_f64_e32 v[154:155], v[234:235], v[242:243]
	ds_read2_b64 v[232:235], v244 offset0:36 offset1:37
	v_add_f64 v[168:169], v[168:169], -v[152:153]
	v_add_f64 v[170:171], v[170:171], -v[154:155]
	;; [unrolled: 8-line block ×41, first 2 shown]
	s_waitcnt lgkmcnt(1)
	v_mul_f64 v[152:153], v[234:235], v[178:179]
	v_mul_f64 v[154:155], v[232:233], v[178:179]
	v_fma_f64 v[152:153], v[232:233], v[242:243], -v[152:153]
	v_fmac_f64_e32 v[154:155], v[234:235], v[242:243]
	v_add_f64 v[0:1], v[0:1], -v[152:153]
	v_add_f64 v[2:3], v[2:3], -v[154:155]
	s_waitcnt lgkmcnt(0)
	v_mul_f64 v[152:153], v[250:251], v[178:179]
	v_mul_f64 v[154:155], v[248:249], v[178:179]
	v_fma_f64 v[152:153], v[248:249], v[242:243], -v[152:153]
	v_fmac_f64_e32 v[154:155], v[250:251], v[242:243]
	v_add_f64 v[228:229], v[228:229], -v[152:153]
	v_add_f64 v[230:231], v[230:231], -v[154:155]
	v_mov_b64_e32 v[176:177], v[242:243]
.LBB114_314:
	s_or_b64 exec, exec, s[0:1]
	v_lshl_add_u32 v152, v245, 4, v244
	s_barrier
	ds_write2_b64 v152, v[172:173], v[174:175] offset1:1
	s_waitcnt lgkmcnt(0)
	s_barrier
	ds_read2_b64 v[232:235], v244 offset0:30 offset1:31
	s_cmp_lt_i32 s20, 17
	v_mov_b32_e32 v242, 15
	s_cbranch_scc1 .LBB114_317
; %bb.315:
	v_add_u32_e32 v243, 0x100, v244
	s_mov_b32 s0, 16
	v_mov_b32_e32 v242, 15
.LBB114_316:                            ; =>This Inner Loop Header: Depth=1
	ds_read2_b64 v[248:251], v243 offset1:1
	s_waitcnt lgkmcnt(1)
	v_cmp_gt_f64_e32 vcc, 0, v[232:233]
	v_xor_b32_e32 v152, 0x80000000, v233
	v_xor_b32_e32 v154, 0x80000000, v235
	v_cndmask_b32_e32 v153, v233, v152, vcc
	v_cmp_gt_f64_e32 vcc, 0, v[234:235]
	v_mov_b32_e32 v152, v232
	s_waitcnt lgkmcnt(0)
	v_xor_b32_e32 v156, 0x80000000, v251
	v_cndmask_b32_e32 v155, v235, v154, vcc
	v_mov_b32_e32 v154, v234
	v_add_f64 v[152:153], v[152:153], v[154:155]
	v_cmp_gt_f64_e32 vcc, 0, v[248:249]
	v_xor_b32_e32 v154, 0x80000000, v249
	v_add_u32_e32 v243, 16, v243
	v_cndmask_b32_e32 v155, v249, v154, vcc
	v_cmp_gt_f64_e32 vcc, 0, v[250:251]
	v_mov_b32_e32 v154, v248
	s_nop 0
	v_cndmask_b32_e32 v157, v251, v156, vcc
	v_mov_b32_e32 v156, v250
	v_add_f64 v[154:155], v[154:155], v[156:157]
	v_cmp_lt_f64_e32 vcc, v[152:153], v[154:155]
	v_mov_b32_e32 v152, s0
	s_add_i32 s0, s0, 1
	v_cndmask_b32_e32 v233, v233, v249, vcc
	v_cndmask_b32_e32 v232, v232, v248, vcc
	;; [unrolled: 1-line block ×5, first 2 shown]
	s_cmp_lg_u32 s20, s0
	s_cbranch_scc1 .LBB114_316
.LBB114_317:
	s_waitcnt lgkmcnt(0)
	v_cmp_eq_f64_e32 vcc, 0, v[232:233]
	v_cmp_eq_f64_e64 s[0:1], 0, v[234:235]
	s_and_b64 s[0:1], vcc, s[0:1]
	s_and_saveexec_b64 s[16:17], s[0:1]
	s_xor_b64 s[0:1], exec, s[16:17]
; %bb.318:
	v_cmp_ne_u32_e32 vcc, 0, v246
	s_nop 1
	v_cndmask_b32_e32 v246, 16, v246, vcc
; %bb.319:
	s_andn2_saveexec_b64 s[0:1], s[0:1]
	s_cbranch_execz .LBB114_325
; %bb.320:
	v_cmp_ngt_f64_e64 s[16:17], |v[232:233]|, |v[234:235]|
	s_and_saveexec_b64 s[18:19], s[16:17]
	s_xor_b64 s[16:17], exec, s[18:19]
	s_cbranch_execz .LBB114_322
; %bb.321:
	v_div_scale_f64 v[152:153], s[18:19], v[234:235], v[234:235], v[232:233]
	v_rcp_f64_e32 v[154:155], v[152:153]
	v_div_scale_f64 v[156:157], vcc, v[232:233], v[234:235], v[232:233]
	v_fma_f64 v[158:159], -v[152:153], v[154:155], 1.0
	v_fmac_f64_e32 v[154:155], v[154:155], v[158:159]
	v_fma_f64 v[158:159], -v[152:153], v[154:155], 1.0
	v_fmac_f64_e32 v[154:155], v[154:155], v[158:159]
	v_mul_f64 v[158:159], v[156:157], v[154:155]
	v_fma_f64 v[152:153], -v[152:153], v[158:159], v[156:157]
	v_div_fmas_f64 v[152:153], v[152:153], v[154:155], v[158:159]
	v_div_fixup_f64 v[152:153], v[152:153], v[234:235], v[232:233]
	v_fmac_f64_e32 v[234:235], v[232:233], v[152:153]
	v_div_scale_f64 v[154:155], s[18:19], v[234:235], v[234:235], 1.0
	v_rcp_f64_e32 v[156:157], v[154:155]
	s_nop 0
	v_fma_f64 v[158:159], -v[154:155], v[156:157], 1.0
	v_fmac_f64_e32 v[156:157], v[156:157], v[158:159]
	v_fma_f64 v[158:159], -v[154:155], v[156:157], 1.0
	v_fmac_f64_e32 v[156:157], v[156:157], v[158:159]
	v_div_scale_f64 v[158:159], vcc, 1.0, v[234:235], 1.0
	v_mul_f64 v[220:221], v[158:159], v[156:157]
	v_fma_f64 v[154:155], -v[154:155], v[220:221], v[158:159]
	s_nop 1
	v_div_fmas_f64 v[154:155], v[154:155], v[156:157], v[220:221]
	v_div_fixup_f64 v[234:235], v[154:155], v[234:235], 1.0
	v_mul_f64 v[232:233], v[152:153], v[234:235]
	v_xor_b32_e32 v235, 0x80000000, v235
.LBB114_322:
	s_andn2_saveexec_b64 s[16:17], s[16:17]
	s_cbranch_execz .LBB114_324
; %bb.323:
	v_div_scale_f64 v[152:153], s[18:19], v[232:233], v[232:233], v[234:235]
	v_rcp_f64_e32 v[154:155], v[152:153]
	v_div_scale_f64 v[156:157], vcc, v[234:235], v[232:233], v[234:235]
	v_fma_f64 v[158:159], -v[152:153], v[154:155], 1.0
	v_fmac_f64_e32 v[154:155], v[154:155], v[158:159]
	v_fma_f64 v[158:159], -v[152:153], v[154:155], 1.0
	v_fmac_f64_e32 v[154:155], v[154:155], v[158:159]
	v_mul_f64 v[158:159], v[156:157], v[154:155]
	v_fma_f64 v[152:153], -v[152:153], v[158:159], v[156:157]
	v_div_fmas_f64 v[152:153], v[152:153], v[154:155], v[158:159]
	v_div_fixup_f64 v[152:153], v[152:153], v[232:233], v[234:235]
	v_fmac_f64_e32 v[232:233], v[234:235], v[152:153]
	v_div_scale_f64 v[154:155], s[18:19], v[232:233], v[232:233], 1.0
	v_rcp_f64_e32 v[156:157], v[154:155]
	s_nop 0
	v_fma_f64 v[158:159], -v[154:155], v[156:157], 1.0
	v_fmac_f64_e32 v[156:157], v[156:157], v[158:159]
	v_fma_f64 v[158:159], -v[154:155], v[156:157], 1.0
	v_fmac_f64_e32 v[156:157], v[156:157], v[158:159]
	v_div_scale_f64 v[158:159], vcc, 1.0, v[232:233], 1.0
	v_mul_f64 v[220:221], v[158:159], v[156:157]
	v_fma_f64 v[154:155], -v[154:155], v[220:221], v[158:159]
	s_nop 1
	v_div_fmas_f64 v[154:155], v[154:155], v[156:157], v[220:221]
	v_div_fixup_f64 v[232:233], v[154:155], v[232:233], 1.0
	v_mul_f64 v[234:235], v[152:153], -v[232:233]
.LBB114_324:
	s_or_b64 exec, exec, s[16:17]
.LBB114_325:
	s_or_b64 exec, exec, s[0:1]
	v_cmp_ne_u32_e32 vcc, v245, v242
	s_and_saveexec_b64 s[0:1], vcc
	s_xor_b64 s[0:1], exec, s[0:1]
	s_cbranch_execz .LBB114_331
; %bb.326:
	v_cmp_eq_u32_e32 vcc, 15, v245
	s_and_saveexec_b64 s[16:17], vcc
	s_cbranch_execz .LBB114_330
; %bb.327:
	v_cmp_ne_u32_e32 vcc, 15, v242
	s_xor_b64 s[18:19], s[14:15], -1
	s_and_b64 s[22:23], s[18:19], vcc
	s_and_saveexec_b64 s[18:19], s[22:23]
	s_cbranch_execz .LBB114_329
; %bb.328:
	v_ashrrev_i32_e32 v243, 31, v242
	v_lshl_add_u64 v[152:153], v[242:243], 2, v[4:5]
	global_load_dword v154, v[152:153], off
	global_load_dword v155, v[4:5], off offset:60
	s_waitcnt vmcnt(1)
	global_store_dword v[4:5], v154, off offset:60
	s_waitcnt vmcnt(1)
	global_store_dword v[152:153], v155, off
.LBB114_329:
	s_or_b64 exec, exec, s[18:19]
	v_mov_b32_e32 v245, v242
	v_mov_b32_e32 v236, v242
.LBB114_330:
	s_or_b64 exec, exec, s[16:17]
.LBB114_331:
	s_andn2_saveexec_b64 s[0:1], s[0:1]
	s_cbranch_execz .LBB114_333
; %bb.332:
	v_mov_b32_e32 v245, 15
	ds_write2_b64 v244, v[168:169], v[170:171] offset0:32 offset1:33
	ds_write2_b64 v244, v[164:165], v[166:167] offset0:34 offset1:35
	;; [unrolled: 1-line block ×42, first 2 shown]
.LBB114_333:
	s_or_b64 exec, exec, s[0:1]
	v_cmp_lt_i32_e32 vcc, 15, v245
	s_waitcnt lgkmcnt(0)
	s_barrier
	s_and_saveexec_b64 s[0:1], vcc
	s_cbranch_execz .LBB114_335
; %bb.334:
	ds_read2_b64 v[248:251], v244 offset0:32 offset1:33
	v_mul_f64 v[152:153], v[234:235], v[174:175]
	v_mul_f64 v[174:175], v[232:233], v[174:175]
	v_fma_f64 v[242:243], v[232:233], v[172:173], -v[152:153]
	v_fmac_f64_e32 v[174:175], v[234:235], v[172:173]
	ds_read2_b64 v[232:235], v244 offset0:34 offset1:35
	s_waitcnt lgkmcnt(1)
	v_mul_f64 v[152:153], v[250:251], v[174:175]
	v_mul_f64 v[154:155], v[248:249], v[174:175]
	v_fma_f64 v[152:153], v[248:249], v[242:243], -v[152:153]
	v_fmac_f64_e32 v[154:155], v[250:251], v[242:243]
	ds_read2_b64 v[248:251], v244 offset0:36 offset1:37
	v_add_f64 v[168:169], v[168:169], -v[152:153]
	v_add_f64 v[170:171], v[170:171], -v[154:155]
	s_waitcnt lgkmcnt(1)
	v_mul_f64 v[152:153], v[234:235], v[174:175]
	v_mul_f64 v[154:155], v[232:233], v[174:175]
	v_fma_f64 v[152:153], v[232:233], v[242:243], -v[152:153]
	v_fmac_f64_e32 v[154:155], v[234:235], v[242:243]
	ds_read2_b64 v[232:235], v244 offset0:38 offset1:39
	v_add_f64 v[164:165], v[164:165], -v[152:153]
	v_add_f64 v[166:167], v[166:167], -v[154:155]
	;; [unrolled: 8-line block ×40, first 2 shown]
	s_waitcnt lgkmcnt(1)
	v_mul_f64 v[152:153], v[250:251], v[174:175]
	v_mul_f64 v[154:155], v[248:249], v[174:175]
	v_fma_f64 v[152:153], v[248:249], v[242:243], -v[152:153]
	v_fmac_f64_e32 v[154:155], v[250:251], v[242:243]
	v_add_f64 v[0:1], v[0:1], -v[152:153]
	v_add_f64 v[2:3], v[2:3], -v[154:155]
	s_waitcnt lgkmcnt(0)
	v_mul_f64 v[152:153], v[234:235], v[174:175]
	v_mul_f64 v[154:155], v[232:233], v[174:175]
	v_fma_f64 v[152:153], v[232:233], v[242:243], -v[152:153]
	v_fmac_f64_e32 v[154:155], v[234:235], v[242:243]
	v_add_f64 v[228:229], v[228:229], -v[152:153]
	v_add_f64 v[230:231], v[230:231], -v[154:155]
	v_mov_b64_e32 v[172:173], v[242:243]
.LBB114_335:
	s_or_b64 exec, exec, s[0:1]
	v_lshl_add_u32 v152, v245, 4, v244
	s_barrier
	ds_write2_b64 v152, v[168:169], v[170:171] offset1:1
	s_waitcnt lgkmcnt(0)
	s_barrier
	ds_read2_b64 v[232:235], v244 offset0:32 offset1:33
	s_cmp_lt_i32 s20, 18
	v_mov_b32_e32 v242, 16
	s_cbranch_scc1 .LBB114_338
; %bb.336:
	v_add_u32_e32 v243, 0x110, v244
	s_mov_b32 s0, 17
	v_mov_b32_e32 v242, 16
.LBB114_337:                            ; =>This Inner Loop Header: Depth=1
	ds_read2_b64 v[248:251], v243 offset1:1
	s_waitcnt lgkmcnt(1)
	v_cmp_gt_f64_e32 vcc, 0, v[232:233]
	v_xor_b32_e32 v152, 0x80000000, v233
	v_xor_b32_e32 v154, 0x80000000, v235
	v_cndmask_b32_e32 v153, v233, v152, vcc
	v_cmp_gt_f64_e32 vcc, 0, v[234:235]
	v_mov_b32_e32 v152, v232
	s_waitcnt lgkmcnt(0)
	v_xor_b32_e32 v156, 0x80000000, v251
	v_cndmask_b32_e32 v155, v235, v154, vcc
	v_mov_b32_e32 v154, v234
	v_add_f64 v[152:153], v[152:153], v[154:155]
	v_cmp_gt_f64_e32 vcc, 0, v[248:249]
	v_xor_b32_e32 v154, 0x80000000, v249
	v_add_u32_e32 v243, 16, v243
	v_cndmask_b32_e32 v155, v249, v154, vcc
	v_cmp_gt_f64_e32 vcc, 0, v[250:251]
	v_mov_b32_e32 v154, v248
	s_nop 0
	v_cndmask_b32_e32 v157, v251, v156, vcc
	v_mov_b32_e32 v156, v250
	v_add_f64 v[154:155], v[154:155], v[156:157]
	v_cmp_lt_f64_e32 vcc, v[152:153], v[154:155]
	v_mov_b32_e32 v152, s0
	s_add_i32 s0, s0, 1
	v_cndmask_b32_e32 v233, v233, v249, vcc
	v_cndmask_b32_e32 v232, v232, v248, vcc
	;; [unrolled: 1-line block ×5, first 2 shown]
	s_cmp_lg_u32 s20, s0
	s_cbranch_scc1 .LBB114_337
.LBB114_338:
	s_waitcnt lgkmcnt(0)
	v_cmp_eq_f64_e32 vcc, 0, v[232:233]
	v_cmp_eq_f64_e64 s[0:1], 0, v[234:235]
	s_and_b64 s[0:1], vcc, s[0:1]
	s_and_saveexec_b64 s[16:17], s[0:1]
	s_xor_b64 s[0:1], exec, s[16:17]
; %bb.339:
	v_cmp_ne_u32_e32 vcc, 0, v246
	s_nop 1
	v_cndmask_b32_e32 v246, 17, v246, vcc
; %bb.340:
	s_andn2_saveexec_b64 s[0:1], s[0:1]
	s_cbranch_execz .LBB114_346
; %bb.341:
	v_cmp_ngt_f64_e64 s[16:17], |v[232:233]|, |v[234:235]|
	s_and_saveexec_b64 s[18:19], s[16:17]
	s_xor_b64 s[16:17], exec, s[18:19]
	s_cbranch_execz .LBB114_343
; %bb.342:
	v_div_scale_f64 v[152:153], s[18:19], v[234:235], v[234:235], v[232:233]
	v_rcp_f64_e32 v[154:155], v[152:153]
	v_div_scale_f64 v[156:157], vcc, v[232:233], v[234:235], v[232:233]
	v_fma_f64 v[158:159], -v[152:153], v[154:155], 1.0
	v_fmac_f64_e32 v[154:155], v[154:155], v[158:159]
	v_fma_f64 v[158:159], -v[152:153], v[154:155], 1.0
	v_fmac_f64_e32 v[154:155], v[154:155], v[158:159]
	v_mul_f64 v[158:159], v[156:157], v[154:155]
	v_fma_f64 v[152:153], -v[152:153], v[158:159], v[156:157]
	v_div_fmas_f64 v[152:153], v[152:153], v[154:155], v[158:159]
	v_div_fixup_f64 v[152:153], v[152:153], v[234:235], v[232:233]
	v_fmac_f64_e32 v[234:235], v[232:233], v[152:153]
	v_div_scale_f64 v[154:155], s[18:19], v[234:235], v[234:235], 1.0
	v_rcp_f64_e32 v[156:157], v[154:155]
	s_nop 0
	v_fma_f64 v[158:159], -v[154:155], v[156:157], 1.0
	v_fmac_f64_e32 v[156:157], v[156:157], v[158:159]
	v_fma_f64 v[158:159], -v[154:155], v[156:157], 1.0
	v_fmac_f64_e32 v[156:157], v[156:157], v[158:159]
	v_div_scale_f64 v[158:159], vcc, 1.0, v[234:235], 1.0
	v_mul_f64 v[220:221], v[158:159], v[156:157]
	v_fma_f64 v[154:155], -v[154:155], v[220:221], v[158:159]
	s_nop 1
	v_div_fmas_f64 v[154:155], v[154:155], v[156:157], v[220:221]
	v_div_fixup_f64 v[234:235], v[154:155], v[234:235], 1.0
	v_mul_f64 v[232:233], v[152:153], v[234:235]
	v_xor_b32_e32 v235, 0x80000000, v235
.LBB114_343:
	s_andn2_saveexec_b64 s[16:17], s[16:17]
	s_cbranch_execz .LBB114_345
; %bb.344:
	v_div_scale_f64 v[152:153], s[18:19], v[232:233], v[232:233], v[234:235]
	v_rcp_f64_e32 v[154:155], v[152:153]
	v_div_scale_f64 v[156:157], vcc, v[234:235], v[232:233], v[234:235]
	v_fma_f64 v[158:159], -v[152:153], v[154:155], 1.0
	v_fmac_f64_e32 v[154:155], v[154:155], v[158:159]
	v_fma_f64 v[158:159], -v[152:153], v[154:155], 1.0
	v_fmac_f64_e32 v[154:155], v[154:155], v[158:159]
	v_mul_f64 v[158:159], v[156:157], v[154:155]
	v_fma_f64 v[152:153], -v[152:153], v[158:159], v[156:157]
	v_div_fmas_f64 v[152:153], v[152:153], v[154:155], v[158:159]
	v_div_fixup_f64 v[152:153], v[152:153], v[232:233], v[234:235]
	v_fmac_f64_e32 v[232:233], v[234:235], v[152:153]
	v_div_scale_f64 v[154:155], s[18:19], v[232:233], v[232:233], 1.0
	v_rcp_f64_e32 v[156:157], v[154:155]
	s_nop 0
	v_fma_f64 v[158:159], -v[154:155], v[156:157], 1.0
	v_fmac_f64_e32 v[156:157], v[156:157], v[158:159]
	v_fma_f64 v[158:159], -v[154:155], v[156:157], 1.0
	v_fmac_f64_e32 v[156:157], v[156:157], v[158:159]
	v_div_scale_f64 v[158:159], vcc, 1.0, v[232:233], 1.0
	v_mul_f64 v[220:221], v[158:159], v[156:157]
	v_fma_f64 v[154:155], -v[154:155], v[220:221], v[158:159]
	s_nop 1
	v_div_fmas_f64 v[154:155], v[154:155], v[156:157], v[220:221]
	v_div_fixup_f64 v[232:233], v[154:155], v[232:233], 1.0
	v_mul_f64 v[234:235], v[152:153], -v[232:233]
.LBB114_345:
	s_or_b64 exec, exec, s[16:17]
.LBB114_346:
	s_or_b64 exec, exec, s[0:1]
	v_cmp_ne_u32_e32 vcc, v245, v242
	s_and_saveexec_b64 s[0:1], vcc
	s_xor_b64 s[0:1], exec, s[0:1]
	s_cbranch_execz .LBB114_352
; %bb.347:
	v_cmp_eq_u32_e32 vcc, 16, v245
	s_and_saveexec_b64 s[16:17], vcc
	s_cbranch_execz .LBB114_351
; %bb.348:
	v_cmp_ne_u32_e32 vcc, 16, v242
	s_xor_b64 s[18:19], s[14:15], -1
	s_and_b64 s[22:23], s[18:19], vcc
	s_and_saveexec_b64 s[18:19], s[22:23]
	s_cbranch_execz .LBB114_350
; %bb.349:
	v_ashrrev_i32_e32 v243, 31, v242
	v_lshl_add_u64 v[152:153], v[242:243], 2, v[4:5]
	global_load_dword v154, v[152:153], off
	global_load_dword v155, v[4:5], off offset:64
	s_waitcnt vmcnt(1)
	global_store_dword v[4:5], v154, off offset:64
	s_waitcnt vmcnt(1)
	global_store_dword v[152:153], v155, off
.LBB114_350:
	s_or_b64 exec, exec, s[18:19]
	v_mov_b32_e32 v245, v242
	v_mov_b32_e32 v236, v242
.LBB114_351:
	s_or_b64 exec, exec, s[16:17]
.LBB114_352:
	s_andn2_saveexec_b64 s[0:1], s[0:1]
	s_cbranch_execz .LBB114_354
; %bb.353:
	v_mov_b32_e32 v245, 16
	ds_write2_b64 v244, v[164:165], v[166:167] offset0:34 offset1:35
	ds_write2_b64 v244, v[160:161], v[162:163] offset0:36 offset1:37
	;; [unrolled: 1-line block ×41, first 2 shown]
.LBB114_354:
	s_or_b64 exec, exec, s[0:1]
	v_cmp_lt_i32_e32 vcc, 16, v245
	s_waitcnt lgkmcnt(0)
	s_barrier
	s_and_saveexec_b64 s[0:1], vcc
	s_cbranch_execz .LBB114_356
; %bb.355:
	ds_read2_b64 v[248:251], v244 offset0:34 offset1:35
	v_mul_f64 v[152:153], v[234:235], v[170:171]
	v_mul_f64 v[170:171], v[232:233], v[170:171]
	v_fma_f64 v[242:243], v[232:233], v[168:169], -v[152:153]
	v_fmac_f64_e32 v[170:171], v[234:235], v[168:169]
	ds_read2_b64 v[232:235], v244 offset0:36 offset1:37
	s_waitcnt lgkmcnt(1)
	v_mul_f64 v[152:153], v[250:251], v[170:171]
	v_mul_f64 v[154:155], v[248:249], v[170:171]
	v_fma_f64 v[152:153], v[248:249], v[242:243], -v[152:153]
	v_fmac_f64_e32 v[154:155], v[250:251], v[242:243]
	ds_read2_b64 v[248:251], v244 offset0:38 offset1:39
	v_add_f64 v[164:165], v[164:165], -v[152:153]
	v_add_f64 v[166:167], v[166:167], -v[154:155]
	s_waitcnt lgkmcnt(1)
	v_mul_f64 v[152:153], v[234:235], v[170:171]
	v_mul_f64 v[154:155], v[232:233], v[170:171]
	v_fma_f64 v[152:153], v[232:233], v[242:243], -v[152:153]
	v_fmac_f64_e32 v[154:155], v[234:235], v[242:243]
	ds_read2_b64 v[232:235], v244 offset0:40 offset1:41
	v_add_f64 v[160:161], v[160:161], -v[152:153]
	v_add_f64 v[162:163], v[162:163], -v[154:155]
	;; [unrolled: 8-line block ×39, first 2 shown]
	s_waitcnt lgkmcnt(1)
	v_mul_f64 v[152:153], v[234:235], v[170:171]
	v_mul_f64 v[154:155], v[232:233], v[170:171]
	v_fma_f64 v[152:153], v[232:233], v[242:243], -v[152:153]
	v_fmac_f64_e32 v[154:155], v[234:235], v[242:243]
	v_add_f64 v[0:1], v[0:1], -v[152:153]
	v_add_f64 v[2:3], v[2:3], -v[154:155]
	s_waitcnt lgkmcnt(0)
	v_mul_f64 v[152:153], v[250:251], v[170:171]
	v_mul_f64 v[154:155], v[248:249], v[170:171]
	v_fma_f64 v[152:153], v[248:249], v[242:243], -v[152:153]
	v_fmac_f64_e32 v[154:155], v[250:251], v[242:243]
	v_add_f64 v[228:229], v[228:229], -v[152:153]
	v_add_f64 v[230:231], v[230:231], -v[154:155]
	v_mov_b64_e32 v[168:169], v[242:243]
.LBB114_356:
	s_or_b64 exec, exec, s[0:1]
	v_lshl_add_u32 v152, v245, 4, v244
	s_barrier
	ds_write2_b64 v152, v[164:165], v[166:167] offset1:1
	s_waitcnt lgkmcnt(0)
	s_barrier
	ds_read2_b64 v[232:235], v244 offset0:34 offset1:35
	s_cmp_lt_i32 s20, 19
	v_mov_b32_e32 v242, 17
	s_cbranch_scc1 .LBB114_359
; %bb.357:
	v_add_u32_e32 v243, 0x120, v244
	s_mov_b32 s0, 18
	v_mov_b32_e32 v242, 17
.LBB114_358:                            ; =>This Inner Loop Header: Depth=1
	ds_read2_b64 v[248:251], v243 offset1:1
	s_waitcnt lgkmcnt(1)
	v_cmp_gt_f64_e32 vcc, 0, v[232:233]
	v_xor_b32_e32 v152, 0x80000000, v233
	v_xor_b32_e32 v154, 0x80000000, v235
	v_cndmask_b32_e32 v153, v233, v152, vcc
	v_cmp_gt_f64_e32 vcc, 0, v[234:235]
	v_mov_b32_e32 v152, v232
	s_waitcnt lgkmcnt(0)
	v_xor_b32_e32 v156, 0x80000000, v251
	v_cndmask_b32_e32 v155, v235, v154, vcc
	v_mov_b32_e32 v154, v234
	v_add_f64 v[152:153], v[152:153], v[154:155]
	v_cmp_gt_f64_e32 vcc, 0, v[248:249]
	v_xor_b32_e32 v154, 0x80000000, v249
	v_add_u32_e32 v243, 16, v243
	v_cndmask_b32_e32 v155, v249, v154, vcc
	v_cmp_gt_f64_e32 vcc, 0, v[250:251]
	v_mov_b32_e32 v154, v248
	s_nop 0
	v_cndmask_b32_e32 v157, v251, v156, vcc
	v_mov_b32_e32 v156, v250
	v_add_f64 v[154:155], v[154:155], v[156:157]
	v_cmp_lt_f64_e32 vcc, v[152:153], v[154:155]
	v_mov_b32_e32 v152, s0
	s_add_i32 s0, s0, 1
	v_cndmask_b32_e32 v233, v233, v249, vcc
	v_cndmask_b32_e32 v232, v232, v248, vcc
	;; [unrolled: 1-line block ×5, first 2 shown]
	s_cmp_lg_u32 s20, s0
	s_cbranch_scc1 .LBB114_358
.LBB114_359:
	s_waitcnt lgkmcnt(0)
	v_cmp_eq_f64_e32 vcc, 0, v[232:233]
	v_cmp_eq_f64_e64 s[0:1], 0, v[234:235]
	s_and_b64 s[0:1], vcc, s[0:1]
	s_and_saveexec_b64 s[16:17], s[0:1]
	s_xor_b64 s[0:1], exec, s[16:17]
; %bb.360:
	v_cmp_ne_u32_e32 vcc, 0, v246
	s_nop 1
	v_cndmask_b32_e32 v246, 18, v246, vcc
; %bb.361:
	s_andn2_saveexec_b64 s[0:1], s[0:1]
	s_cbranch_execz .LBB114_367
; %bb.362:
	v_cmp_ngt_f64_e64 s[16:17], |v[232:233]|, |v[234:235]|
	s_and_saveexec_b64 s[18:19], s[16:17]
	s_xor_b64 s[16:17], exec, s[18:19]
	s_cbranch_execz .LBB114_364
; %bb.363:
	v_div_scale_f64 v[152:153], s[18:19], v[234:235], v[234:235], v[232:233]
	v_rcp_f64_e32 v[154:155], v[152:153]
	v_div_scale_f64 v[156:157], vcc, v[232:233], v[234:235], v[232:233]
	v_fma_f64 v[158:159], -v[152:153], v[154:155], 1.0
	v_fmac_f64_e32 v[154:155], v[154:155], v[158:159]
	v_fma_f64 v[158:159], -v[152:153], v[154:155], 1.0
	v_fmac_f64_e32 v[154:155], v[154:155], v[158:159]
	v_mul_f64 v[158:159], v[156:157], v[154:155]
	v_fma_f64 v[152:153], -v[152:153], v[158:159], v[156:157]
	v_div_fmas_f64 v[152:153], v[152:153], v[154:155], v[158:159]
	v_div_fixup_f64 v[152:153], v[152:153], v[234:235], v[232:233]
	v_fmac_f64_e32 v[234:235], v[232:233], v[152:153]
	v_div_scale_f64 v[154:155], s[18:19], v[234:235], v[234:235], 1.0
	v_rcp_f64_e32 v[156:157], v[154:155]
	s_nop 0
	v_fma_f64 v[158:159], -v[154:155], v[156:157], 1.0
	v_fmac_f64_e32 v[156:157], v[156:157], v[158:159]
	v_fma_f64 v[158:159], -v[154:155], v[156:157], 1.0
	v_fmac_f64_e32 v[156:157], v[156:157], v[158:159]
	v_div_scale_f64 v[158:159], vcc, 1.0, v[234:235], 1.0
	v_mul_f64 v[220:221], v[158:159], v[156:157]
	v_fma_f64 v[154:155], -v[154:155], v[220:221], v[158:159]
	s_nop 1
	v_div_fmas_f64 v[154:155], v[154:155], v[156:157], v[220:221]
	v_div_fixup_f64 v[234:235], v[154:155], v[234:235], 1.0
	v_mul_f64 v[232:233], v[152:153], v[234:235]
	v_xor_b32_e32 v235, 0x80000000, v235
.LBB114_364:
	s_andn2_saveexec_b64 s[16:17], s[16:17]
	s_cbranch_execz .LBB114_366
; %bb.365:
	v_div_scale_f64 v[152:153], s[18:19], v[232:233], v[232:233], v[234:235]
	v_rcp_f64_e32 v[154:155], v[152:153]
	v_div_scale_f64 v[156:157], vcc, v[234:235], v[232:233], v[234:235]
	v_fma_f64 v[158:159], -v[152:153], v[154:155], 1.0
	v_fmac_f64_e32 v[154:155], v[154:155], v[158:159]
	v_fma_f64 v[158:159], -v[152:153], v[154:155], 1.0
	v_fmac_f64_e32 v[154:155], v[154:155], v[158:159]
	v_mul_f64 v[158:159], v[156:157], v[154:155]
	v_fma_f64 v[152:153], -v[152:153], v[158:159], v[156:157]
	v_div_fmas_f64 v[152:153], v[152:153], v[154:155], v[158:159]
	v_div_fixup_f64 v[152:153], v[152:153], v[232:233], v[234:235]
	v_fmac_f64_e32 v[232:233], v[234:235], v[152:153]
	v_div_scale_f64 v[154:155], s[18:19], v[232:233], v[232:233], 1.0
	v_rcp_f64_e32 v[156:157], v[154:155]
	s_nop 0
	v_fma_f64 v[158:159], -v[154:155], v[156:157], 1.0
	v_fmac_f64_e32 v[156:157], v[156:157], v[158:159]
	v_fma_f64 v[158:159], -v[154:155], v[156:157], 1.0
	v_fmac_f64_e32 v[156:157], v[156:157], v[158:159]
	v_div_scale_f64 v[158:159], vcc, 1.0, v[232:233], 1.0
	v_mul_f64 v[220:221], v[158:159], v[156:157]
	v_fma_f64 v[154:155], -v[154:155], v[220:221], v[158:159]
	s_nop 1
	v_div_fmas_f64 v[154:155], v[154:155], v[156:157], v[220:221]
	v_div_fixup_f64 v[232:233], v[154:155], v[232:233], 1.0
	v_mul_f64 v[234:235], v[152:153], -v[232:233]
.LBB114_366:
	s_or_b64 exec, exec, s[16:17]
.LBB114_367:
	s_or_b64 exec, exec, s[0:1]
	v_cmp_ne_u32_e32 vcc, v245, v242
	s_and_saveexec_b64 s[0:1], vcc
	s_xor_b64 s[0:1], exec, s[0:1]
	s_cbranch_execz .LBB114_373
; %bb.368:
	v_cmp_eq_u32_e32 vcc, 17, v245
	s_and_saveexec_b64 s[16:17], vcc
	s_cbranch_execz .LBB114_372
; %bb.369:
	v_cmp_ne_u32_e32 vcc, 17, v242
	s_xor_b64 s[18:19], s[14:15], -1
	s_and_b64 s[22:23], s[18:19], vcc
	s_and_saveexec_b64 s[18:19], s[22:23]
	s_cbranch_execz .LBB114_371
; %bb.370:
	v_ashrrev_i32_e32 v243, 31, v242
	v_lshl_add_u64 v[152:153], v[242:243], 2, v[4:5]
	global_load_dword v154, v[152:153], off
	global_load_dword v155, v[4:5], off offset:68
	s_waitcnt vmcnt(1)
	global_store_dword v[4:5], v154, off offset:68
	s_waitcnt vmcnt(1)
	global_store_dword v[152:153], v155, off
.LBB114_371:
	s_or_b64 exec, exec, s[18:19]
	v_mov_b32_e32 v245, v242
	v_mov_b32_e32 v236, v242
.LBB114_372:
	s_or_b64 exec, exec, s[16:17]
.LBB114_373:
	s_andn2_saveexec_b64 s[0:1], s[0:1]
	s_cbranch_execz .LBB114_375
; %bb.374:
	v_mov_b32_e32 v245, 17
	ds_write2_b64 v244, v[160:161], v[162:163] offset0:36 offset1:37
	ds_write2_b64 v244, v[148:149], v[150:151] offset0:38 offset1:39
	;; [unrolled: 1-line block ×40, first 2 shown]
.LBB114_375:
	s_or_b64 exec, exec, s[0:1]
	v_cmp_lt_i32_e32 vcc, 17, v245
	s_waitcnt lgkmcnt(0)
	s_barrier
	s_and_saveexec_b64 s[0:1], vcc
	s_cbranch_execz .LBB114_377
; %bb.376:
	ds_read2_b64 v[248:251], v244 offset0:36 offset1:37
	v_mul_f64 v[152:153], v[234:235], v[166:167]
	v_mul_f64 v[166:167], v[232:233], v[166:167]
	v_fma_f64 v[242:243], v[232:233], v[164:165], -v[152:153]
	v_fmac_f64_e32 v[166:167], v[234:235], v[164:165]
	ds_read2_b64 v[232:235], v244 offset0:38 offset1:39
	s_waitcnt lgkmcnt(1)
	v_mul_f64 v[152:153], v[250:251], v[166:167]
	v_mul_f64 v[154:155], v[248:249], v[166:167]
	v_fma_f64 v[152:153], v[248:249], v[242:243], -v[152:153]
	v_fmac_f64_e32 v[154:155], v[250:251], v[242:243]
	ds_read2_b64 v[248:251], v244 offset0:40 offset1:41
	v_add_f64 v[160:161], v[160:161], -v[152:153]
	v_add_f64 v[162:163], v[162:163], -v[154:155]
	s_waitcnt lgkmcnt(1)
	v_mul_f64 v[152:153], v[234:235], v[166:167]
	v_mul_f64 v[154:155], v[232:233], v[166:167]
	v_fma_f64 v[152:153], v[232:233], v[242:243], -v[152:153]
	v_fmac_f64_e32 v[154:155], v[234:235], v[242:243]
	ds_read2_b64 v[232:235], v244 offset0:42 offset1:43
	v_add_f64 v[148:149], v[148:149], -v[152:153]
	v_add_f64 v[150:151], v[150:151], -v[154:155]
	;; [unrolled: 8-line block ×38, first 2 shown]
	s_waitcnt lgkmcnt(1)
	v_mul_f64 v[152:153], v[250:251], v[166:167]
	v_mul_f64 v[154:155], v[248:249], v[166:167]
	v_fma_f64 v[152:153], v[248:249], v[242:243], -v[152:153]
	v_fmac_f64_e32 v[154:155], v[250:251], v[242:243]
	v_add_f64 v[0:1], v[0:1], -v[152:153]
	v_add_f64 v[2:3], v[2:3], -v[154:155]
	s_waitcnt lgkmcnt(0)
	v_mul_f64 v[152:153], v[234:235], v[166:167]
	v_mul_f64 v[154:155], v[232:233], v[166:167]
	v_fma_f64 v[152:153], v[232:233], v[242:243], -v[152:153]
	v_fmac_f64_e32 v[154:155], v[234:235], v[242:243]
	v_add_f64 v[228:229], v[228:229], -v[152:153]
	v_add_f64 v[230:231], v[230:231], -v[154:155]
	v_mov_b64_e32 v[164:165], v[242:243]
.LBB114_377:
	s_or_b64 exec, exec, s[0:1]
	v_lshl_add_u32 v152, v245, 4, v244
	s_barrier
	ds_write2_b64 v152, v[160:161], v[162:163] offset1:1
	s_waitcnt lgkmcnt(0)
	s_barrier
	ds_read2_b64 v[232:235], v244 offset0:36 offset1:37
	s_cmp_lt_i32 s20, 20
	v_mov_b32_e32 v242, 18
	s_cbranch_scc1 .LBB114_380
; %bb.378:
	v_add_u32_e32 v243, 0x130, v244
	s_mov_b32 s0, 19
	v_mov_b32_e32 v242, 18
.LBB114_379:                            ; =>This Inner Loop Header: Depth=1
	ds_read2_b64 v[248:251], v243 offset1:1
	s_waitcnt lgkmcnt(1)
	v_cmp_gt_f64_e32 vcc, 0, v[232:233]
	v_xor_b32_e32 v152, 0x80000000, v233
	v_xor_b32_e32 v154, 0x80000000, v235
	v_cndmask_b32_e32 v153, v233, v152, vcc
	v_cmp_gt_f64_e32 vcc, 0, v[234:235]
	v_mov_b32_e32 v152, v232
	s_waitcnt lgkmcnt(0)
	v_xor_b32_e32 v156, 0x80000000, v251
	v_cndmask_b32_e32 v155, v235, v154, vcc
	v_mov_b32_e32 v154, v234
	v_add_f64 v[152:153], v[152:153], v[154:155]
	v_cmp_gt_f64_e32 vcc, 0, v[248:249]
	v_xor_b32_e32 v154, 0x80000000, v249
	v_add_u32_e32 v243, 16, v243
	v_cndmask_b32_e32 v155, v249, v154, vcc
	v_cmp_gt_f64_e32 vcc, 0, v[250:251]
	v_mov_b32_e32 v154, v248
	s_nop 0
	v_cndmask_b32_e32 v157, v251, v156, vcc
	v_mov_b32_e32 v156, v250
	v_add_f64 v[154:155], v[154:155], v[156:157]
	v_cmp_lt_f64_e32 vcc, v[152:153], v[154:155]
	v_mov_b32_e32 v152, s0
	s_add_i32 s0, s0, 1
	v_cndmask_b32_e32 v233, v233, v249, vcc
	v_cndmask_b32_e32 v232, v232, v248, vcc
	;; [unrolled: 1-line block ×5, first 2 shown]
	s_cmp_lg_u32 s20, s0
	s_cbranch_scc1 .LBB114_379
.LBB114_380:
	s_waitcnt lgkmcnt(0)
	v_cmp_eq_f64_e32 vcc, 0, v[232:233]
	v_cmp_eq_f64_e64 s[0:1], 0, v[234:235]
	s_and_b64 s[0:1], vcc, s[0:1]
	s_and_saveexec_b64 s[16:17], s[0:1]
	s_xor_b64 s[0:1], exec, s[16:17]
; %bb.381:
	v_cmp_ne_u32_e32 vcc, 0, v246
	s_nop 1
	v_cndmask_b32_e32 v246, 19, v246, vcc
; %bb.382:
	s_andn2_saveexec_b64 s[0:1], s[0:1]
	s_cbranch_execz .LBB114_388
; %bb.383:
	v_cmp_ngt_f64_e64 s[16:17], |v[232:233]|, |v[234:235]|
	s_and_saveexec_b64 s[18:19], s[16:17]
	s_xor_b64 s[16:17], exec, s[18:19]
	s_cbranch_execz .LBB114_385
; %bb.384:
	v_div_scale_f64 v[152:153], s[18:19], v[234:235], v[234:235], v[232:233]
	v_rcp_f64_e32 v[154:155], v[152:153]
	v_div_scale_f64 v[156:157], vcc, v[232:233], v[234:235], v[232:233]
	v_fma_f64 v[158:159], -v[152:153], v[154:155], 1.0
	v_fmac_f64_e32 v[154:155], v[154:155], v[158:159]
	v_fma_f64 v[158:159], -v[152:153], v[154:155], 1.0
	v_fmac_f64_e32 v[154:155], v[154:155], v[158:159]
	v_mul_f64 v[158:159], v[156:157], v[154:155]
	v_fma_f64 v[152:153], -v[152:153], v[158:159], v[156:157]
	v_div_fmas_f64 v[152:153], v[152:153], v[154:155], v[158:159]
	v_div_fixup_f64 v[152:153], v[152:153], v[234:235], v[232:233]
	v_fmac_f64_e32 v[234:235], v[232:233], v[152:153]
	v_div_scale_f64 v[154:155], s[18:19], v[234:235], v[234:235], 1.0
	v_rcp_f64_e32 v[156:157], v[154:155]
	s_nop 0
	v_fma_f64 v[158:159], -v[154:155], v[156:157], 1.0
	v_fmac_f64_e32 v[156:157], v[156:157], v[158:159]
	v_fma_f64 v[158:159], -v[154:155], v[156:157], 1.0
	v_fmac_f64_e32 v[156:157], v[156:157], v[158:159]
	v_div_scale_f64 v[158:159], vcc, 1.0, v[234:235], 1.0
	v_mul_f64 v[220:221], v[158:159], v[156:157]
	v_fma_f64 v[154:155], -v[154:155], v[220:221], v[158:159]
	s_nop 1
	v_div_fmas_f64 v[154:155], v[154:155], v[156:157], v[220:221]
	v_div_fixup_f64 v[234:235], v[154:155], v[234:235], 1.0
	v_mul_f64 v[232:233], v[152:153], v[234:235]
	v_xor_b32_e32 v235, 0x80000000, v235
.LBB114_385:
	s_andn2_saveexec_b64 s[16:17], s[16:17]
	s_cbranch_execz .LBB114_387
; %bb.386:
	v_div_scale_f64 v[152:153], s[18:19], v[232:233], v[232:233], v[234:235]
	v_rcp_f64_e32 v[154:155], v[152:153]
	v_div_scale_f64 v[156:157], vcc, v[234:235], v[232:233], v[234:235]
	v_fma_f64 v[158:159], -v[152:153], v[154:155], 1.0
	v_fmac_f64_e32 v[154:155], v[154:155], v[158:159]
	v_fma_f64 v[158:159], -v[152:153], v[154:155], 1.0
	v_fmac_f64_e32 v[154:155], v[154:155], v[158:159]
	v_mul_f64 v[158:159], v[156:157], v[154:155]
	v_fma_f64 v[152:153], -v[152:153], v[158:159], v[156:157]
	v_div_fmas_f64 v[152:153], v[152:153], v[154:155], v[158:159]
	v_div_fixup_f64 v[152:153], v[152:153], v[232:233], v[234:235]
	v_fmac_f64_e32 v[232:233], v[234:235], v[152:153]
	v_div_scale_f64 v[154:155], s[18:19], v[232:233], v[232:233], 1.0
	v_rcp_f64_e32 v[156:157], v[154:155]
	s_nop 0
	v_fma_f64 v[158:159], -v[154:155], v[156:157], 1.0
	v_fmac_f64_e32 v[156:157], v[156:157], v[158:159]
	v_fma_f64 v[158:159], -v[154:155], v[156:157], 1.0
	v_fmac_f64_e32 v[156:157], v[156:157], v[158:159]
	v_div_scale_f64 v[158:159], vcc, 1.0, v[232:233], 1.0
	v_mul_f64 v[220:221], v[158:159], v[156:157]
	v_fma_f64 v[154:155], -v[154:155], v[220:221], v[158:159]
	s_nop 1
	v_div_fmas_f64 v[154:155], v[154:155], v[156:157], v[220:221]
	v_div_fixup_f64 v[232:233], v[154:155], v[232:233], 1.0
	v_mul_f64 v[234:235], v[152:153], -v[232:233]
.LBB114_387:
	s_or_b64 exec, exec, s[16:17]
.LBB114_388:
	s_or_b64 exec, exec, s[0:1]
	v_cmp_ne_u32_e32 vcc, v245, v242
	s_and_saveexec_b64 s[0:1], vcc
	s_xor_b64 s[0:1], exec, s[0:1]
	s_cbranch_execz .LBB114_394
; %bb.389:
	v_cmp_eq_u32_e32 vcc, 18, v245
	s_and_saveexec_b64 s[16:17], vcc
	s_cbranch_execz .LBB114_393
; %bb.390:
	v_cmp_ne_u32_e32 vcc, 18, v242
	s_xor_b64 s[18:19], s[14:15], -1
	s_and_b64 s[22:23], s[18:19], vcc
	s_and_saveexec_b64 s[18:19], s[22:23]
	s_cbranch_execz .LBB114_392
; %bb.391:
	v_ashrrev_i32_e32 v243, 31, v242
	v_lshl_add_u64 v[152:153], v[242:243], 2, v[4:5]
	global_load_dword v154, v[152:153], off
	global_load_dword v155, v[4:5], off offset:72
	s_waitcnt vmcnt(1)
	global_store_dword v[4:5], v154, off offset:72
	s_waitcnt vmcnt(1)
	global_store_dword v[152:153], v155, off
.LBB114_392:
	s_or_b64 exec, exec, s[18:19]
	v_mov_b32_e32 v245, v242
	v_mov_b32_e32 v236, v242
.LBB114_393:
	s_or_b64 exec, exec, s[16:17]
.LBB114_394:
	s_andn2_saveexec_b64 s[0:1], s[0:1]
	s_cbranch_execz .LBB114_396
; %bb.395:
	v_mov_b32_e32 v245, 18
	ds_write2_b64 v244, v[148:149], v[150:151] offset0:38 offset1:39
	ds_write2_b64 v244, v[144:145], v[146:147] offset0:40 offset1:41
	;; [unrolled: 1-line block ×39, first 2 shown]
.LBB114_396:
	s_or_b64 exec, exec, s[0:1]
	v_cmp_lt_i32_e32 vcc, 18, v245
	s_waitcnt lgkmcnt(0)
	s_barrier
	s_and_saveexec_b64 s[0:1], vcc
	s_cbranch_execz .LBB114_398
; %bb.397:
	ds_read2_b64 v[248:251], v244 offset0:38 offset1:39
	v_mul_f64 v[152:153], v[234:235], v[162:163]
	v_mul_f64 v[162:163], v[232:233], v[162:163]
	v_fma_f64 v[242:243], v[232:233], v[160:161], -v[152:153]
	v_fmac_f64_e32 v[162:163], v[234:235], v[160:161]
	ds_read2_b64 v[232:235], v244 offset0:40 offset1:41
	s_waitcnt lgkmcnt(1)
	v_mul_f64 v[152:153], v[250:251], v[162:163]
	v_mul_f64 v[154:155], v[248:249], v[162:163]
	v_fma_f64 v[152:153], v[248:249], v[242:243], -v[152:153]
	v_fmac_f64_e32 v[154:155], v[250:251], v[242:243]
	ds_read2_b64 v[248:251], v244 offset0:42 offset1:43
	v_add_f64 v[148:149], v[148:149], -v[152:153]
	v_add_f64 v[150:151], v[150:151], -v[154:155]
	s_waitcnt lgkmcnt(1)
	v_mul_f64 v[152:153], v[234:235], v[162:163]
	v_mul_f64 v[154:155], v[232:233], v[162:163]
	v_fma_f64 v[152:153], v[232:233], v[242:243], -v[152:153]
	v_fmac_f64_e32 v[154:155], v[234:235], v[242:243]
	ds_read2_b64 v[232:235], v244 offset0:44 offset1:45
	v_add_f64 v[144:145], v[144:145], -v[152:153]
	v_add_f64 v[146:147], v[146:147], -v[154:155]
	;; [unrolled: 8-line block ×37, first 2 shown]
	s_waitcnt lgkmcnt(1)
	v_mul_f64 v[152:153], v[234:235], v[162:163]
	v_mul_f64 v[154:155], v[232:233], v[162:163]
	v_fma_f64 v[152:153], v[232:233], v[242:243], -v[152:153]
	v_fmac_f64_e32 v[154:155], v[234:235], v[242:243]
	v_add_f64 v[0:1], v[0:1], -v[152:153]
	v_add_f64 v[2:3], v[2:3], -v[154:155]
	s_waitcnt lgkmcnt(0)
	v_mul_f64 v[152:153], v[250:251], v[162:163]
	v_mul_f64 v[154:155], v[248:249], v[162:163]
	v_fma_f64 v[152:153], v[248:249], v[242:243], -v[152:153]
	v_fmac_f64_e32 v[154:155], v[250:251], v[242:243]
	v_add_f64 v[228:229], v[228:229], -v[152:153]
	v_add_f64 v[230:231], v[230:231], -v[154:155]
	v_mov_b64_e32 v[160:161], v[242:243]
.LBB114_398:
	s_or_b64 exec, exec, s[0:1]
	v_lshl_add_u32 v152, v245, 4, v244
	s_barrier
	ds_write2_b64 v152, v[148:149], v[150:151] offset1:1
	s_waitcnt lgkmcnt(0)
	s_barrier
	ds_read2_b64 v[232:235], v244 offset0:38 offset1:39
	s_cmp_lt_i32 s20, 21
	v_mov_b32_e32 v242, 19
	s_cbranch_scc1 .LBB114_401
; %bb.399:
	v_add_u32_e32 v243, 0x140, v244
	s_mov_b32 s0, 20
	v_mov_b32_e32 v242, 19
.LBB114_400:                            ; =>This Inner Loop Header: Depth=1
	ds_read2_b64 v[248:251], v243 offset1:1
	s_waitcnt lgkmcnt(1)
	v_cmp_gt_f64_e32 vcc, 0, v[232:233]
	v_xor_b32_e32 v152, 0x80000000, v233
	v_xor_b32_e32 v154, 0x80000000, v235
	v_cndmask_b32_e32 v153, v233, v152, vcc
	v_cmp_gt_f64_e32 vcc, 0, v[234:235]
	v_mov_b32_e32 v152, v232
	s_waitcnt lgkmcnt(0)
	v_xor_b32_e32 v156, 0x80000000, v251
	v_cndmask_b32_e32 v155, v235, v154, vcc
	v_mov_b32_e32 v154, v234
	v_add_f64 v[152:153], v[152:153], v[154:155]
	v_cmp_gt_f64_e32 vcc, 0, v[248:249]
	v_xor_b32_e32 v154, 0x80000000, v249
	v_add_u32_e32 v243, 16, v243
	v_cndmask_b32_e32 v155, v249, v154, vcc
	v_cmp_gt_f64_e32 vcc, 0, v[250:251]
	v_mov_b32_e32 v154, v248
	s_nop 0
	v_cndmask_b32_e32 v157, v251, v156, vcc
	v_mov_b32_e32 v156, v250
	v_add_f64 v[154:155], v[154:155], v[156:157]
	v_cmp_lt_f64_e32 vcc, v[152:153], v[154:155]
	v_mov_b32_e32 v152, s0
	s_add_i32 s0, s0, 1
	v_cndmask_b32_e32 v233, v233, v249, vcc
	v_cndmask_b32_e32 v232, v232, v248, vcc
	v_cndmask_b32_e32 v235, v235, v251, vcc
	v_cndmask_b32_e32 v234, v234, v250, vcc
	v_cndmask_b32_e32 v242, v242, v152, vcc
	s_cmp_lg_u32 s20, s0
	s_cbranch_scc1 .LBB114_400
.LBB114_401:
	s_waitcnt lgkmcnt(0)
	v_cmp_eq_f64_e32 vcc, 0, v[232:233]
	v_cmp_eq_f64_e64 s[0:1], 0, v[234:235]
	s_and_b64 s[0:1], vcc, s[0:1]
	s_and_saveexec_b64 s[16:17], s[0:1]
	s_xor_b64 s[0:1], exec, s[16:17]
; %bb.402:
	v_cmp_ne_u32_e32 vcc, 0, v246
	s_nop 1
	v_cndmask_b32_e32 v246, 20, v246, vcc
; %bb.403:
	s_andn2_saveexec_b64 s[0:1], s[0:1]
	s_cbranch_execz .LBB114_409
; %bb.404:
	v_cmp_ngt_f64_e64 s[16:17], |v[232:233]|, |v[234:235]|
	s_and_saveexec_b64 s[18:19], s[16:17]
	s_xor_b64 s[16:17], exec, s[18:19]
	s_cbranch_execz .LBB114_406
; %bb.405:
	v_div_scale_f64 v[152:153], s[18:19], v[234:235], v[234:235], v[232:233]
	v_rcp_f64_e32 v[154:155], v[152:153]
	v_div_scale_f64 v[156:157], vcc, v[232:233], v[234:235], v[232:233]
	v_fma_f64 v[158:159], -v[152:153], v[154:155], 1.0
	v_fmac_f64_e32 v[154:155], v[154:155], v[158:159]
	v_fma_f64 v[158:159], -v[152:153], v[154:155], 1.0
	v_fmac_f64_e32 v[154:155], v[154:155], v[158:159]
	v_mul_f64 v[158:159], v[156:157], v[154:155]
	v_fma_f64 v[152:153], -v[152:153], v[158:159], v[156:157]
	v_div_fmas_f64 v[152:153], v[152:153], v[154:155], v[158:159]
	v_div_fixup_f64 v[152:153], v[152:153], v[234:235], v[232:233]
	v_fmac_f64_e32 v[234:235], v[232:233], v[152:153]
	v_div_scale_f64 v[154:155], s[18:19], v[234:235], v[234:235], 1.0
	v_rcp_f64_e32 v[156:157], v[154:155]
	s_nop 0
	v_fma_f64 v[158:159], -v[154:155], v[156:157], 1.0
	v_fmac_f64_e32 v[156:157], v[156:157], v[158:159]
	v_fma_f64 v[158:159], -v[154:155], v[156:157], 1.0
	v_fmac_f64_e32 v[156:157], v[156:157], v[158:159]
	v_div_scale_f64 v[158:159], vcc, 1.0, v[234:235], 1.0
	v_mul_f64 v[220:221], v[158:159], v[156:157]
	v_fma_f64 v[154:155], -v[154:155], v[220:221], v[158:159]
	s_nop 1
	v_div_fmas_f64 v[154:155], v[154:155], v[156:157], v[220:221]
	v_div_fixup_f64 v[234:235], v[154:155], v[234:235], 1.0
	v_mul_f64 v[232:233], v[152:153], v[234:235]
	v_xor_b32_e32 v235, 0x80000000, v235
.LBB114_406:
	s_andn2_saveexec_b64 s[16:17], s[16:17]
	s_cbranch_execz .LBB114_408
; %bb.407:
	v_div_scale_f64 v[152:153], s[18:19], v[232:233], v[232:233], v[234:235]
	v_rcp_f64_e32 v[154:155], v[152:153]
	v_div_scale_f64 v[156:157], vcc, v[234:235], v[232:233], v[234:235]
	v_fma_f64 v[158:159], -v[152:153], v[154:155], 1.0
	v_fmac_f64_e32 v[154:155], v[154:155], v[158:159]
	v_fma_f64 v[158:159], -v[152:153], v[154:155], 1.0
	v_fmac_f64_e32 v[154:155], v[154:155], v[158:159]
	v_mul_f64 v[158:159], v[156:157], v[154:155]
	v_fma_f64 v[152:153], -v[152:153], v[158:159], v[156:157]
	v_div_fmas_f64 v[152:153], v[152:153], v[154:155], v[158:159]
	v_div_fixup_f64 v[152:153], v[152:153], v[232:233], v[234:235]
	v_fmac_f64_e32 v[232:233], v[234:235], v[152:153]
	v_div_scale_f64 v[154:155], s[18:19], v[232:233], v[232:233], 1.0
	v_rcp_f64_e32 v[156:157], v[154:155]
	s_nop 0
	v_fma_f64 v[158:159], -v[154:155], v[156:157], 1.0
	v_fmac_f64_e32 v[156:157], v[156:157], v[158:159]
	v_fma_f64 v[158:159], -v[154:155], v[156:157], 1.0
	v_fmac_f64_e32 v[156:157], v[156:157], v[158:159]
	v_div_scale_f64 v[158:159], vcc, 1.0, v[232:233], 1.0
	v_mul_f64 v[220:221], v[158:159], v[156:157]
	v_fma_f64 v[154:155], -v[154:155], v[220:221], v[158:159]
	s_nop 1
	v_div_fmas_f64 v[154:155], v[154:155], v[156:157], v[220:221]
	v_div_fixup_f64 v[232:233], v[154:155], v[232:233], 1.0
	v_mul_f64 v[234:235], v[152:153], -v[232:233]
.LBB114_408:
	s_or_b64 exec, exec, s[16:17]
.LBB114_409:
	s_or_b64 exec, exec, s[0:1]
	v_cmp_ne_u32_e32 vcc, v245, v242
	s_and_saveexec_b64 s[0:1], vcc
	s_xor_b64 s[0:1], exec, s[0:1]
	s_cbranch_execz .LBB114_415
; %bb.410:
	v_cmp_eq_u32_e32 vcc, 19, v245
	s_and_saveexec_b64 s[16:17], vcc
	s_cbranch_execz .LBB114_414
; %bb.411:
	v_cmp_ne_u32_e32 vcc, 19, v242
	s_xor_b64 s[18:19], s[14:15], -1
	s_and_b64 s[22:23], s[18:19], vcc
	s_and_saveexec_b64 s[18:19], s[22:23]
	s_cbranch_execz .LBB114_413
; %bb.412:
	v_ashrrev_i32_e32 v243, 31, v242
	v_lshl_add_u64 v[152:153], v[242:243], 2, v[4:5]
	global_load_dword v154, v[152:153], off
	global_load_dword v155, v[4:5], off offset:76
	s_waitcnt vmcnt(1)
	global_store_dword v[4:5], v154, off offset:76
	s_waitcnt vmcnt(1)
	global_store_dword v[152:153], v155, off
.LBB114_413:
	s_or_b64 exec, exec, s[18:19]
	v_mov_b32_e32 v245, v242
	v_mov_b32_e32 v236, v242
.LBB114_414:
	s_or_b64 exec, exec, s[16:17]
.LBB114_415:
	s_andn2_saveexec_b64 s[0:1], s[0:1]
	s_cbranch_execz .LBB114_417
; %bb.416:
	v_mov_b32_e32 v245, 19
	ds_write2_b64 v244, v[144:145], v[146:147] offset0:40 offset1:41
	ds_write2_b64 v244, v[140:141], v[142:143] offset0:42 offset1:43
	;; [unrolled: 1-line block ×38, first 2 shown]
.LBB114_417:
	s_or_b64 exec, exec, s[0:1]
	v_cmp_lt_i32_e32 vcc, 19, v245
	s_waitcnt lgkmcnt(0)
	s_barrier
	s_and_saveexec_b64 s[0:1], vcc
	s_cbranch_execz .LBB114_419
; %bb.418:
	ds_read2_b64 v[248:251], v244 offset0:40 offset1:41
	v_mul_f64 v[152:153], v[234:235], v[150:151]
	v_mul_f64 v[150:151], v[232:233], v[150:151]
	v_fma_f64 v[242:243], v[232:233], v[148:149], -v[152:153]
	v_fmac_f64_e32 v[150:151], v[234:235], v[148:149]
	ds_read2_b64 v[232:235], v244 offset0:42 offset1:43
	s_waitcnt lgkmcnt(1)
	v_mul_f64 v[148:149], v[250:251], v[150:151]
	v_mul_f64 v[152:153], v[248:249], v[150:151]
	v_fma_f64 v[148:149], v[248:249], v[242:243], -v[148:149]
	v_fmac_f64_e32 v[152:153], v[250:251], v[242:243]
	ds_read2_b64 v[248:251], v244 offset0:44 offset1:45
	v_add_f64 v[144:145], v[144:145], -v[148:149]
	v_add_f64 v[146:147], v[146:147], -v[152:153]
	s_waitcnt lgkmcnt(1)
	v_mul_f64 v[148:149], v[234:235], v[150:151]
	v_mul_f64 v[152:153], v[232:233], v[150:151]
	v_fma_f64 v[148:149], v[232:233], v[242:243], -v[148:149]
	v_fmac_f64_e32 v[152:153], v[234:235], v[242:243]
	ds_read2_b64 v[232:235], v244 offset0:46 offset1:47
	v_add_f64 v[140:141], v[140:141], -v[148:149]
	v_add_f64 v[142:143], v[142:143], -v[152:153]
	;; [unrolled: 8-line block ×36, first 2 shown]
	s_waitcnt lgkmcnt(1)
	v_mul_f64 v[148:149], v[250:251], v[150:151]
	v_mul_f64 v[152:153], v[248:249], v[150:151]
	v_fma_f64 v[148:149], v[248:249], v[242:243], -v[148:149]
	v_fmac_f64_e32 v[152:153], v[250:251], v[242:243]
	v_add_f64 v[0:1], v[0:1], -v[148:149]
	v_add_f64 v[2:3], v[2:3], -v[152:153]
	s_waitcnt lgkmcnt(0)
	v_mul_f64 v[148:149], v[234:235], v[150:151]
	v_mul_f64 v[152:153], v[232:233], v[150:151]
	v_fma_f64 v[148:149], v[232:233], v[242:243], -v[148:149]
	v_fmac_f64_e32 v[152:153], v[234:235], v[242:243]
	v_add_f64 v[228:229], v[228:229], -v[148:149]
	v_add_f64 v[230:231], v[230:231], -v[152:153]
	v_mov_b64_e32 v[148:149], v[242:243]
.LBB114_419:
	s_or_b64 exec, exec, s[0:1]
	v_lshl_add_u32 v152, v245, 4, v244
	s_barrier
	ds_write2_b64 v152, v[144:145], v[146:147] offset1:1
	s_waitcnt lgkmcnt(0)
	s_barrier
	ds_read2_b64 v[232:235], v244 offset0:40 offset1:41
	s_cmp_lt_i32 s20, 22
	v_mov_b32_e32 v242, 20
	s_cbranch_scc1 .LBB114_422
; %bb.420:
	v_add_u32_e32 v243, 0x150, v244
	s_mov_b32 s0, 21
	v_mov_b32_e32 v242, 20
.LBB114_421:                            ; =>This Inner Loop Header: Depth=1
	ds_read2_b64 v[248:251], v243 offset1:1
	s_waitcnt lgkmcnt(1)
	v_cmp_gt_f64_e32 vcc, 0, v[232:233]
	v_xor_b32_e32 v152, 0x80000000, v233
	v_xor_b32_e32 v154, 0x80000000, v235
	v_cndmask_b32_e32 v153, v233, v152, vcc
	v_cmp_gt_f64_e32 vcc, 0, v[234:235]
	v_mov_b32_e32 v152, v232
	s_waitcnt lgkmcnt(0)
	v_xor_b32_e32 v156, 0x80000000, v251
	v_cndmask_b32_e32 v155, v235, v154, vcc
	v_mov_b32_e32 v154, v234
	v_add_f64 v[152:153], v[152:153], v[154:155]
	v_cmp_gt_f64_e32 vcc, 0, v[248:249]
	v_xor_b32_e32 v154, 0x80000000, v249
	v_add_u32_e32 v243, 16, v243
	v_cndmask_b32_e32 v155, v249, v154, vcc
	v_cmp_gt_f64_e32 vcc, 0, v[250:251]
	v_mov_b32_e32 v154, v248
	s_nop 0
	v_cndmask_b32_e32 v157, v251, v156, vcc
	v_mov_b32_e32 v156, v250
	v_add_f64 v[154:155], v[154:155], v[156:157]
	v_cmp_lt_f64_e32 vcc, v[152:153], v[154:155]
	v_mov_b32_e32 v152, s0
	s_add_i32 s0, s0, 1
	v_cndmask_b32_e32 v233, v233, v249, vcc
	v_cndmask_b32_e32 v232, v232, v248, vcc
	v_cndmask_b32_e32 v235, v235, v251, vcc
	v_cndmask_b32_e32 v234, v234, v250, vcc
	v_cndmask_b32_e32 v242, v242, v152, vcc
	s_cmp_lg_u32 s20, s0
	s_cbranch_scc1 .LBB114_421
.LBB114_422:
	s_waitcnt lgkmcnt(0)
	v_cmp_eq_f64_e32 vcc, 0, v[232:233]
	v_cmp_eq_f64_e64 s[0:1], 0, v[234:235]
	s_and_b64 s[0:1], vcc, s[0:1]
	s_and_saveexec_b64 s[16:17], s[0:1]
	s_xor_b64 s[0:1], exec, s[16:17]
; %bb.423:
	v_cmp_ne_u32_e32 vcc, 0, v246
	s_nop 1
	v_cndmask_b32_e32 v246, 21, v246, vcc
; %bb.424:
	s_andn2_saveexec_b64 s[0:1], s[0:1]
	s_cbranch_execz .LBB114_430
; %bb.425:
	v_cmp_ngt_f64_e64 s[16:17], |v[232:233]|, |v[234:235]|
	s_and_saveexec_b64 s[18:19], s[16:17]
	s_xor_b64 s[16:17], exec, s[18:19]
	s_cbranch_execz .LBB114_427
; %bb.426:
	v_div_scale_f64 v[152:153], s[18:19], v[234:235], v[234:235], v[232:233]
	v_rcp_f64_e32 v[154:155], v[152:153]
	v_div_scale_f64 v[156:157], vcc, v[232:233], v[234:235], v[232:233]
	v_fma_f64 v[158:159], -v[152:153], v[154:155], 1.0
	v_fmac_f64_e32 v[154:155], v[154:155], v[158:159]
	v_fma_f64 v[158:159], -v[152:153], v[154:155], 1.0
	v_fmac_f64_e32 v[154:155], v[154:155], v[158:159]
	v_mul_f64 v[158:159], v[156:157], v[154:155]
	v_fma_f64 v[152:153], -v[152:153], v[158:159], v[156:157]
	v_div_fmas_f64 v[152:153], v[152:153], v[154:155], v[158:159]
	v_div_fixup_f64 v[152:153], v[152:153], v[234:235], v[232:233]
	v_fmac_f64_e32 v[234:235], v[232:233], v[152:153]
	v_div_scale_f64 v[154:155], s[18:19], v[234:235], v[234:235], 1.0
	v_rcp_f64_e32 v[156:157], v[154:155]
	s_nop 0
	v_fma_f64 v[158:159], -v[154:155], v[156:157], 1.0
	v_fmac_f64_e32 v[156:157], v[156:157], v[158:159]
	v_fma_f64 v[158:159], -v[154:155], v[156:157], 1.0
	v_fmac_f64_e32 v[156:157], v[156:157], v[158:159]
	v_div_scale_f64 v[158:159], vcc, 1.0, v[234:235], 1.0
	v_mul_f64 v[220:221], v[158:159], v[156:157]
	v_fma_f64 v[154:155], -v[154:155], v[220:221], v[158:159]
	s_nop 1
	v_div_fmas_f64 v[154:155], v[154:155], v[156:157], v[220:221]
	v_div_fixup_f64 v[234:235], v[154:155], v[234:235], 1.0
	v_mul_f64 v[232:233], v[152:153], v[234:235]
	v_xor_b32_e32 v235, 0x80000000, v235
.LBB114_427:
	s_andn2_saveexec_b64 s[16:17], s[16:17]
	s_cbranch_execz .LBB114_429
; %bb.428:
	v_div_scale_f64 v[152:153], s[18:19], v[232:233], v[232:233], v[234:235]
	v_rcp_f64_e32 v[154:155], v[152:153]
	v_div_scale_f64 v[156:157], vcc, v[234:235], v[232:233], v[234:235]
	v_fma_f64 v[158:159], -v[152:153], v[154:155], 1.0
	v_fmac_f64_e32 v[154:155], v[154:155], v[158:159]
	v_fma_f64 v[158:159], -v[152:153], v[154:155], 1.0
	v_fmac_f64_e32 v[154:155], v[154:155], v[158:159]
	v_mul_f64 v[158:159], v[156:157], v[154:155]
	v_fma_f64 v[152:153], -v[152:153], v[158:159], v[156:157]
	v_div_fmas_f64 v[152:153], v[152:153], v[154:155], v[158:159]
	v_div_fixup_f64 v[152:153], v[152:153], v[232:233], v[234:235]
	v_fmac_f64_e32 v[232:233], v[234:235], v[152:153]
	v_div_scale_f64 v[154:155], s[18:19], v[232:233], v[232:233], 1.0
	v_rcp_f64_e32 v[156:157], v[154:155]
	s_nop 0
	v_fma_f64 v[158:159], -v[154:155], v[156:157], 1.0
	v_fmac_f64_e32 v[156:157], v[156:157], v[158:159]
	v_fma_f64 v[158:159], -v[154:155], v[156:157], 1.0
	v_fmac_f64_e32 v[156:157], v[156:157], v[158:159]
	v_div_scale_f64 v[158:159], vcc, 1.0, v[232:233], 1.0
	v_mul_f64 v[220:221], v[158:159], v[156:157]
	v_fma_f64 v[154:155], -v[154:155], v[220:221], v[158:159]
	s_nop 1
	v_div_fmas_f64 v[154:155], v[154:155], v[156:157], v[220:221]
	v_div_fixup_f64 v[232:233], v[154:155], v[232:233], 1.0
	v_mul_f64 v[234:235], v[152:153], -v[232:233]
.LBB114_429:
	s_or_b64 exec, exec, s[16:17]
.LBB114_430:
	s_or_b64 exec, exec, s[0:1]
	v_cmp_ne_u32_e32 vcc, v245, v242
	s_and_saveexec_b64 s[0:1], vcc
	s_xor_b64 s[0:1], exec, s[0:1]
	s_cbranch_execz .LBB114_436
; %bb.431:
	v_cmp_eq_u32_e32 vcc, 20, v245
	s_and_saveexec_b64 s[16:17], vcc
	s_cbranch_execz .LBB114_435
; %bb.432:
	v_cmp_ne_u32_e32 vcc, 20, v242
	s_xor_b64 s[18:19], s[14:15], -1
	s_and_b64 s[22:23], s[18:19], vcc
	s_and_saveexec_b64 s[18:19], s[22:23]
	s_cbranch_execz .LBB114_434
; %bb.433:
	v_ashrrev_i32_e32 v243, 31, v242
	v_lshl_add_u64 v[152:153], v[242:243], 2, v[4:5]
	global_load_dword v154, v[152:153], off
	global_load_dword v155, v[4:5], off offset:80
	s_waitcnt vmcnt(1)
	global_store_dword v[4:5], v154, off offset:80
	s_waitcnt vmcnt(1)
	global_store_dword v[152:153], v155, off
.LBB114_434:
	s_or_b64 exec, exec, s[18:19]
	v_mov_b32_e32 v245, v242
	v_mov_b32_e32 v236, v242
.LBB114_435:
	s_or_b64 exec, exec, s[16:17]
.LBB114_436:
	s_andn2_saveexec_b64 s[0:1], s[0:1]
	s_cbranch_execz .LBB114_438
; %bb.437:
	v_mov_b32_e32 v245, 20
	ds_write2_b64 v244, v[140:141], v[142:143] offset0:42 offset1:43
	ds_write2_b64 v244, v[136:137], v[138:139] offset0:44 offset1:45
	;; [unrolled: 1-line block ×37, first 2 shown]
.LBB114_438:
	s_or_b64 exec, exec, s[0:1]
	v_cmp_lt_i32_e32 vcc, 20, v245
	s_waitcnt lgkmcnt(0)
	s_barrier
	s_and_saveexec_b64 s[0:1], vcc
	s_cbranch_execz .LBB114_440
; %bb.439:
	ds_read2_b64 v[248:251], v244 offset0:42 offset1:43
	v_mul_f64 v[152:153], v[234:235], v[146:147]
	v_mul_f64 v[146:147], v[232:233], v[146:147]
	v_fma_f64 v[242:243], v[232:233], v[144:145], -v[152:153]
	v_fmac_f64_e32 v[146:147], v[234:235], v[144:145]
	ds_read2_b64 v[232:235], v244 offset0:44 offset1:45
	s_waitcnt lgkmcnt(1)
	v_mul_f64 v[144:145], v[250:251], v[146:147]
	v_mul_f64 v[152:153], v[248:249], v[146:147]
	v_fma_f64 v[144:145], v[248:249], v[242:243], -v[144:145]
	v_fmac_f64_e32 v[152:153], v[250:251], v[242:243]
	ds_read2_b64 v[248:251], v244 offset0:46 offset1:47
	v_add_f64 v[140:141], v[140:141], -v[144:145]
	v_add_f64 v[142:143], v[142:143], -v[152:153]
	s_waitcnt lgkmcnt(1)
	v_mul_f64 v[144:145], v[234:235], v[146:147]
	v_mul_f64 v[152:153], v[232:233], v[146:147]
	v_fma_f64 v[144:145], v[232:233], v[242:243], -v[144:145]
	v_fmac_f64_e32 v[152:153], v[234:235], v[242:243]
	ds_read2_b64 v[232:235], v244 offset0:48 offset1:49
	v_add_f64 v[136:137], v[136:137], -v[144:145]
	v_add_f64 v[138:139], v[138:139], -v[152:153]
	;; [unrolled: 8-line block ×35, first 2 shown]
	s_waitcnt lgkmcnt(1)
	v_mul_f64 v[144:145], v[234:235], v[146:147]
	v_mul_f64 v[152:153], v[232:233], v[146:147]
	v_fma_f64 v[144:145], v[232:233], v[242:243], -v[144:145]
	v_fmac_f64_e32 v[152:153], v[234:235], v[242:243]
	v_add_f64 v[0:1], v[0:1], -v[144:145]
	v_add_f64 v[2:3], v[2:3], -v[152:153]
	s_waitcnt lgkmcnt(0)
	v_mul_f64 v[144:145], v[250:251], v[146:147]
	v_mul_f64 v[152:153], v[248:249], v[146:147]
	v_fma_f64 v[144:145], v[248:249], v[242:243], -v[144:145]
	v_fmac_f64_e32 v[152:153], v[250:251], v[242:243]
	v_add_f64 v[228:229], v[228:229], -v[144:145]
	v_add_f64 v[230:231], v[230:231], -v[152:153]
	v_mov_b64_e32 v[144:145], v[242:243]
.LBB114_440:
	s_or_b64 exec, exec, s[0:1]
	v_lshl_add_u32 v152, v245, 4, v244
	s_barrier
	ds_write2_b64 v152, v[140:141], v[142:143] offset1:1
	s_waitcnt lgkmcnt(0)
	s_barrier
	ds_read2_b64 v[232:235], v244 offset0:42 offset1:43
	s_cmp_lt_i32 s20, 23
	v_mov_b32_e32 v242, 21
	s_cbranch_scc1 .LBB114_443
; %bb.441:
	v_add_u32_e32 v243, 0x160, v244
	s_mov_b32 s0, 22
	v_mov_b32_e32 v242, 21
.LBB114_442:                            ; =>This Inner Loop Header: Depth=1
	ds_read2_b64 v[248:251], v243 offset1:1
	s_waitcnt lgkmcnt(1)
	v_cmp_gt_f64_e32 vcc, 0, v[232:233]
	v_xor_b32_e32 v152, 0x80000000, v233
	v_xor_b32_e32 v154, 0x80000000, v235
	v_cndmask_b32_e32 v153, v233, v152, vcc
	v_cmp_gt_f64_e32 vcc, 0, v[234:235]
	v_mov_b32_e32 v152, v232
	s_waitcnt lgkmcnt(0)
	v_xor_b32_e32 v156, 0x80000000, v251
	v_cndmask_b32_e32 v155, v235, v154, vcc
	v_mov_b32_e32 v154, v234
	v_add_f64 v[152:153], v[152:153], v[154:155]
	v_cmp_gt_f64_e32 vcc, 0, v[248:249]
	v_xor_b32_e32 v154, 0x80000000, v249
	v_add_u32_e32 v243, 16, v243
	v_cndmask_b32_e32 v155, v249, v154, vcc
	v_cmp_gt_f64_e32 vcc, 0, v[250:251]
	v_mov_b32_e32 v154, v248
	s_nop 0
	v_cndmask_b32_e32 v157, v251, v156, vcc
	v_mov_b32_e32 v156, v250
	v_add_f64 v[154:155], v[154:155], v[156:157]
	v_cmp_lt_f64_e32 vcc, v[152:153], v[154:155]
	v_mov_b32_e32 v152, s0
	s_add_i32 s0, s0, 1
	v_cndmask_b32_e32 v233, v233, v249, vcc
	v_cndmask_b32_e32 v232, v232, v248, vcc
	;; [unrolled: 1-line block ×5, first 2 shown]
	s_cmp_lg_u32 s20, s0
	s_cbranch_scc1 .LBB114_442
.LBB114_443:
	s_waitcnt lgkmcnt(0)
	v_cmp_eq_f64_e32 vcc, 0, v[232:233]
	v_cmp_eq_f64_e64 s[0:1], 0, v[234:235]
	s_and_b64 s[0:1], vcc, s[0:1]
	s_and_saveexec_b64 s[16:17], s[0:1]
	s_xor_b64 s[0:1], exec, s[16:17]
; %bb.444:
	v_cmp_ne_u32_e32 vcc, 0, v246
	s_nop 1
	v_cndmask_b32_e32 v246, 22, v246, vcc
; %bb.445:
	s_andn2_saveexec_b64 s[0:1], s[0:1]
	s_cbranch_execz .LBB114_451
; %bb.446:
	v_cmp_ngt_f64_e64 s[16:17], |v[232:233]|, |v[234:235]|
	s_and_saveexec_b64 s[18:19], s[16:17]
	s_xor_b64 s[16:17], exec, s[18:19]
	s_cbranch_execz .LBB114_448
; %bb.447:
	v_div_scale_f64 v[152:153], s[18:19], v[234:235], v[234:235], v[232:233]
	v_rcp_f64_e32 v[154:155], v[152:153]
	v_div_scale_f64 v[156:157], vcc, v[232:233], v[234:235], v[232:233]
	v_fma_f64 v[158:159], -v[152:153], v[154:155], 1.0
	v_fmac_f64_e32 v[154:155], v[154:155], v[158:159]
	v_fma_f64 v[158:159], -v[152:153], v[154:155], 1.0
	v_fmac_f64_e32 v[154:155], v[154:155], v[158:159]
	v_mul_f64 v[158:159], v[156:157], v[154:155]
	v_fma_f64 v[152:153], -v[152:153], v[158:159], v[156:157]
	v_div_fmas_f64 v[152:153], v[152:153], v[154:155], v[158:159]
	v_div_fixup_f64 v[152:153], v[152:153], v[234:235], v[232:233]
	v_fmac_f64_e32 v[234:235], v[232:233], v[152:153]
	v_div_scale_f64 v[154:155], s[18:19], v[234:235], v[234:235], 1.0
	v_rcp_f64_e32 v[156:157], v[154:155]
	s_nop 0
	v_fma_f64 v[158:159], -v[154:155], v[156:157], 1.0
	v_fmac_f64_e32 v[156:157], v[156:157], v[158:159]
	v_fma_f64 v[158:159], -v[154:155], v[156:157], 1.0
	v_fmac_f64_e32 v[156:157], v[156:157], v[158:159]
	v_div_scale_f64 v[158:159], vcc, 1.0, v[234:235], 1.0
	v_mul_f64 v[220:221], v[158:159], v[156:157]
	v_fma_f64 v[154:155], -v[154:155], v[220:221], v[158:159]
	s_nop 1
	v_div_fmas_f64 v[154:155], v[154:155], v[156:157], v[220:221]
	v_div_fixup_f64 v[234:235], v[154:155], v[234:235], 1.0
	v_mul_f64 v[232:233], v[152:153], v[234:235]
	v_xor_b32_e32 v235, 0x80000000, v235
.LBB114_448:
	s_andn2_saveexec_b64 s[16:17], s[16:17]
	s_cbranch_execz .LBB114_450
; %bb.449:
	v_div_scale_f64 v[152:153], s[18:19], v[232:233], v[232:233], v[234:235]
	v_rcp_f64_e32 v[154:155], v[152:153]
	v_div_scale_f64 v[156:157], vcc, v[234:235], v[232:233], v[234:235]
	v_fma_f64 v[158:159], -v[152:153], v[154:155], 1.0
	v_fmac_f64_e32 v[154:155], v[154:155], v[158:159]
	v_fma_f64 v[158:159], -v[152:153], v[154:155], 1.0
	v_fmac_f64_e32 v[154:155], v[154:155], v[158:159]
	v_mul_f64 v[158:159], v[156:157], v[154:155]
	v_fma_f64 v[152:153], -v[152:153], v[158:159], v[156:157]
	v_div_fmas_f64 v[152:153], v[152:153], v[154:155], v[158:159]
	v_div_fixup_f64 v[152:153], v[152:153], v[232:233], v[234:235]
	v_fmac_f64_e32 v[232:233], v[234:235], v[152:153]
	v_div_scale_f64 v[154:155], s[18:19], v[232:233], v[232:233], 1.0
	v_rcp_f64_e32 v[156:157], v[154:155]
	s_nop 0
	v_fma_f64 v[158:159], -v[154:155], v[156:157], 1.0
	v_fmac_f64_e32 v[156:157], v[156:157], v[158:159]
	v_fma_f64 v[158:159], -v[154:155], v[156:157], 1.0
	v_fmac_f64_e32 v[156:157], v[156:157], v[158:159]
	v_div_scale_f64 v[158:159], vcc, 1.0, v[232:233], 1.0
	v_mul_f64 v[220:221], v[158:159], v[156:157]
	v_fma_f64 v[154:155], -v[154:155], v[220:221], v[158:159]
	s_nop 1
	v_div_fmas_f64 v[154:155], v[154:155], v[156:157], v[220:221]
	v_div_fixup_f64 v[232:233], v[154:155], v[232:233], 1.0
	v_mul_f64 v[234:235], v[152:153], -v[232:233]
.LBB114_450:
	s_or_b64 exec, exec, s[16:17]
.LBB114_451:
	s_or_b64 exec, exec, s[0:1]
	v_cmp_ne_u32_e32 vcc, v245, v242
	s_and_saveexec_b64 s[0:1], vcc
	s_xor_b64 s[0:1], exec, s[0:1]
	s_cbranch_execz .LBB114_457
; %bb.452:
	v_cmp_eq_u32_e32 vcc, 21, v245
	s_and_saveexec_b64 s[16:17], vcc
	s_cbranch_execz .LBB114_456
; %bb.453:
	v_cmp_ne_u32_e32 vcc, 21, v242
	s_xor_b64 s[18:19], s[14:15], -1
	s_and_b64 s[22:23], s[18:19], vcc
	s_and_saveexec_b64 s[18:19], s[22:23]
	s_cbranch_execz .LBB114_455
; %bb.454:
	v_ashrrev_i32_e32 v243, 31, v242
	v_lshl_add_u64 v[152:153], v[242:243], 2, v[4:5]
	global_load_dword v154, v[152:153], off
	global_load_dword v155, v[4:5], off offset:84
	s_waitcnt vmcnt(1)
	global_store_dword v[4:5], v154, off offset:84
	s_waitcnt vmcnt(1)
	global_store_dword v[152:153], v155, off
.LBB114_455:
	s_or_b64 exec, exec, s[18:19]
	v_mov_b32_e32 v245, v242
	v_mov_b32_e32 v236, v242
.LBB114_456:
	s_or_b64 exec, exec, s[16:17]
.LBB114_457:
	s_andn2_saveexec_b64 s[0:1], s[0:1]
	s_cbranch_execz .LBB114_459
; %bb.458:
	v_mov_b32_e32 v245, 21
	ds_write2_b64 v244, v[136:137], v[138:139] offset0:44 offset1:45
	ds_write2_b64 v244, v[132:133], v[134:135] offset0:46 offset1:47
	;; [unrolled: 1-line block ×36, first 2 shown]
.LBB114_459:
	s_or_b64 exec, exec, s[0:1]
	v_cmp_lt_i32_e32 vcc, 21, v245
	s_waitcnt lgkmcnt(0)
	s_barrier
	s_and_saveexec_b64 s[0:1], vcc
	s_cbranch_execz .LBB114_461
; %bb.460:
	ds_read2_b64 v[248:251], v244 offset0:44 offset1:45
	v_mul_f64 v[152:153], v[234:235], v[142:143]
	v_mul_f64 v[142:143], v[232:233], v[142:143]
	v_fma_f64 v[242:243], v[232:233], v[140:141], -v[152:153]
	v_fmac_f64_e32 v[142:143], v[234:235], v[140:141]
	ds_read2_b64 v[232:235], v244 offset0:46 offset1:47
	s_waitcnt lgkmcnt(1)
	v_mul_f64 v[140:141], v[250:251], v[142:143]
	v_mul_f64 v[152:153], v[248:249], v[142:143]
	v_fma_f64 v[140:141], v[248:249], v[242:243], -v[140:141]
	v_fmac_f64_e32 v[152:153], v[250:251], v[242:243]
	ds_read2_b64 v[248:251], v244 offset0:48 offset1:49
	v_add_f64 v[136:137], v[136:137], -v[140:141]
	v_add_f64 v[138:139], v[138:139], -v[152:153]
	s_waitcnt lgkmcnt(1)
	v_mul_f64 v[140:141], v[234:235], v[142:143]
	v_mul_f64 v[152:153], v[232:233], v[142:143]
	v_fma_f64 v[140:141], v[232:233], v[242:243], -v[140:141]
	v_fmac_f64_e32 v[152:153], v[234:235], v[242:243]
	ds_read2_b64 v[232:235], v244 offset0:50 offset1:51
	v_add_f64 v[132:133], v[132:133], -v[140:141]
	v_add_f64 v[134:135], v[134:135], -v[152:153]
	;; [unrolled: 8-line block ×34, first 2 shown]
	s_waitcnt lgkmcnt(1)
	v_mul_f64 v[140:141], v[250:251], v[142:143]
	v_mul_f64 v[152:153], v[248:249], v[142:143]
	v_fma_f64 v[140:141], v[248:249], v[242:243], -v[140:141]
	v_fmac_f64_e32 v[152:153], v[250:251], v[242:243]
	v_add_f64 v[0:1], v[0:1], -v[140:141]
	v_add_f64 v[2:3], v[2:3], -v[152:153]
	s_waitcnt lgkmcnt(0)
	v_mul_f64 v[140:141], v[234:235], v[142:143]
	v_mul_f64 v[152:153], v[232:233], v[142:143]
	v_fma_f64 v[140:141], v[232:233], v[242:243], -v[140:141]
	v_fmac_f64_e32 v[152:153], v[234:235], v[242:243]
	v_add_f64 v[228:229], v[228:229], -v[140:141]
	v_add_f64 v[230:231], v[230:231], -v[152:153]
	v_mov_b64_e32 v[140:141], v[242:243]
.LBB114_461:
	s_or_b64 exec, exec, s[0:1]
	v_lshl_add_u32 v152, v245, 4, v244
	s_barrier
	ds_write2_b64 v152, v[136:137], v[138:139] offset1:1
	s_waitcnt lgkmcnt(0)
	s_barrier
	ds_read2_b64 v[232:235], v244 offset0:44 offset1:45
	s_cmp_lt_i32 s20, 24
	v_mov_b32_e32 v242, 22
	s_cbranch_scc1 .LBB114_464
; %bb.462:
	v_add_u32_e32 v243, 0x170, v244
	s_mov_b32 s0, 23
	v_mov_b32_e32 v242, 22
.LBB114_463:                            ; =>This Inner Loop Header: Depth=1
	ds_read2_b64 v[248:251], v243 offset1:1
	s_waitcnt lgkmcnt(1)
	v_cmp_gt_f64_e32 vcc, 0, v[232:233]
	v_xor_b32_e32 v152, 0x80000000, v233
	v_xor_b32_e32 v154, 0x80000000, v235
	v_cndmask_b32_e32 v153, v233, v152, vcc
	v_cmp_gt_f64_e32 vcc, 0, v[234:235]
	v_mov_b32_e32 v152, v232
	s_waitcnt lgkmcnt(0)
	v_xor_b32_e32 v156, 0x80000000, v251
	v_cndmask_b32_e32 v155, v235, v154, vcc
	v_mov_b32_e32 v154, v234
	v_add_f64 v[152:153], v[152:153], v[154:155]
	v_cmp_gt_f64_e32 vcc, 0, v[248:249]
	v_xor_b32_e32 v154, 0x80000000, v249
	v_add_u32_e32 v243, 16, v243
	v_cndmask_b32_e32 v155, v249, v154, vcc
	v_cmp_gt_f64_e32 vcc, 0, v[250:251]
	v_mov_b32_e32 v154, v248
	s_nop 0
	v_cndmask_b32_e32 v157, v251, v156, vcc
	v_mov_b32_e32 v156, v250
	v_add_f64 v[154:155], v[154:155], v[156:157]
	v_cmp_lt_f64_e32 vcc, v[152:153], v[154:155]
	v_mov_b32_e32 v152, s0
	s_add_i32 s0, s0, 1
	v_cndmask_b32_e32 v233, v233, v249, vcc
	v_cndmask_b32_e32 v232, v232, v248, vcc
	;; [unrolled: 1-line block ×5, first 2 shown]
	s_cmp_lg_u32 s20, s0
	s_cbranch_scc1 .LBB114_463
.LBB114_464:
	s_waitcnt lgkmcnt(0)
	v_cmp_eq_f64_e32 vcc, 0, v[232:233]
	v_cmp_eq_f64_e64 s[0:1], 0, v[234:235]
	s_and_b64 s[0:1], vcc, s[0:1]
	s_and_saveexec_b64 s[16:17], s[0:1]
	s_xor_b64 s[0:1], exec, s[16:17]
; %bb.465:
	v_cmp_ne_u32_e32 vcc, 0, v246
	s_nop 1
	v_cndmask_b32_e32 v246, 23, v246, vcc
; %bb.466:
	s_andn2_saveexec_b64 s[0:1], s[0:1]
	s_cbranch_execz .LBB114_472
; %bb.467:
	v_cmp_ngt_f64_e64 s[16:17], |v[232:233]|, |v[234:235]|
	s_and_saveexec_b64 s[18:19], s[16:17]
	s_xor_b64 s[16:17], exec, s[18:19]
	s_cbranch_execz .LBB114_469
; %bb.468:
	v_div_scale_f64 v[152:153], s[18:19], v[234:235], v[234:235], v[232:233]
	v_rcp_f64_e32 v[154:155], v[152:153]
	v_div_scale_f64 v[156:157], vcc, v[232:233], v[234:235], v[232:233]
	v_fma_f64 v[158:159], -v[152:153], v[154:155], 1.0
	v_fmac_f64_e32 v[154:155], v[154:155], v[158:159]
	v_fma_f64 v[158:159], -v[152:153], v[154:155], 1.0
	v_fmac_f64_e32 v[154:155], v[154:155], v[158:159]
	v_mul_f64 v[158:159], v[156:157], v[154:155]
	v_fma_f64 v[152:153], -v[152:153], v[158:159], v[156:157]
	v_div_fmas_f64 v[152:153], v[152:153], v[154:155], v[158:159]
	v_div_fixup_f64 v[152:153], v[152:153], v[234:235], v[232:233]
	v_fmac_f64_e32 v[234:235], v[232:233], v[152:153]
	v_div_scale_f64 v[154:155], s[18:19], v[234:235], v[234:235], 1.0
	v_rcp_f64_e32 v[156:157], v[154:155]
	s_nop 0
	v_fma_f64 v[158:159], -v[154:155], v[156:157], 1.0
	v_fmac_f64_e32 v[156:157], v[156:157], v[158:159]
	v_fma_f64 v[158:159], -v[154:155], v[156:157], 1.0
	v_fmac_f64_e32 v[156:157], v[156:157], v[158:159]
	v_div_scale_f64 v[158:159], vcc, 1.0, v[234:235], 1.0
	v_mul_f64 v[220:221], v[158:159], v[156:157]
	v_fma_f64 v[154:155], -v[154:155], v[220:221], v[158:159]
	s_nop 1
	v_div_fmas_f64 v[154:155], v[154:155], v[156:157], v[220:221]
	v_div_fixup_f64 v[234:235], v[154:155], v[234:235], 1.0
	v_mul_f64 v[232:233], v[152:153], v[234:235]
	v_xor_b32_e32 v235, 0x80000000, v235
.LBB114_469:
	s_andn2_saveexec_b64 s[16:17], s[16:17]
	s_cbranch_execz .LBB114_471
; %bb.470:
	v_div_scale_f64 v[152:153], s[18:19], v[232:233], v[232:233], v[234:235]
	v_rcp_f64_e32 v[154:155], v[152:153]
	v_div_scale_f64 v[156:157], vcc, v[234:235], v[232:233], v[234:235]
	v_fma_f64 v[158:159], -v[152:153], v[154:155], 1.0
	v_fmac_f64_e32 v[154:155], v[154:155], v[158:159]
	v_fma_f64 v[158:159], -v[152:153], v[154:155], 1.0
	v_fmac_f64_e32 v[154:155], v[154:155], v[158:159]
	v_mul_f64 v[158:159], v[156:157], v[154:155]
	v_fma_f64 v[152:153], -v[152:153], v[158:159], v[156:157]
	v_div_fmas_f64 v[152:153], v[152:153], v[154:155], v[158:159]
	v_div_fixup_f64 v[152:153], v[152:153], v[232:233], v[234:235]
	v_fmac_f64_e32 v[232:233], v[234:235], v[152:153]
	v_div_scale_f64 v[154:155], s[18:19], v[232:233], v[232:233], 1.0
	v_rcp_f64_e32 v[156:157], v[154:155]
	s_nop 0
	v_fma_f64 v[158:159], -v[154:155], v[156:157], 1.0
	v_fmac_f64_e32 v[156:157], v[156:157], v[158:159]
	v_fma_f64 v[158:159], -v[154:155], v[156:157], 1.0
	v_fmac_f64_e32 v[156:157], v[156:157], v[158:159]
	v_div_scale_f64 v[158:159], vcc, 1.0, v[232:233], 1.0
	v_mul_f64 v[220:221], v[158:159], v[156:157]
	v_fma_f64 v[154:155], -v[154:155], v[220:221], v[158:159]
	s_nop 1
	v_div_fmas_f64 v[154:155], v[154:155], v[156:157], v[220:221]
	v_div_fixup_f64 v[232:233], v[154:155], v[232:233], 1.0
	v_mul_f64 v[234:235], v[152:153], -v[232:233]
.LBB114_471:
	s_or_b64 exec, exec, s[16:17]
.LBB114_472:
	s_or_b64 exec, exec, s[0:1]
	v_cmp_ne_u32_e32 vcc, v245, v242
	s_and_saveexec_b64 s[0:1], vcc
	s_xor_b64 s[0:1], exec, s[0:1]
	s_cbranch_execz .LBB114_478
; %bb.473:
	v_cmp_eq_u32_e32 vcc, 22, v245
	s_and_saveexec_b64 s[16:17], vcc
	s_cbranch_execz .LBB114_477
; %bb.474:
	v_cmp_ne_u32_e32 vcc, 22, v242
	s_xor_b64 s[18:19], s[14:15], -1
	s_and_b64 s[22:23], s[18:19], vcc
	s_and_saveexec_b64 s[18:19], s[22:23]
	s_cbranch_execz .LBB114_476
; %bb.475:
	v_ashrrev_i32_e32 v243, 31, v242
	v_lshl_add_u64 v[152:153], v[242:243], 2, v[4:5]
	global_load_dword v154, v[152:153], off
	global_load_dword v155, v[4:5], off offset:88
	s_waitcnt vmcnt(1)
	global_store_dword v[4:5], v154, off offset:88
	s_waitcnt vmcnt(1)
	global_store_dword v[152:153], v155, off
.LBB114_476:
	s_or_b64 exec, exec, s[18:19]
	v_mov_b32_e32 v245, v242
	v_mov_b32_e32 v236, v242
.LBB114_477:
	s_or_b64 exec, exec, s[16:17]
.LBB114_478:
	s_andn2_saveexec_b64 s[0:1], s[0:1]
	s_cbranch_execz .LBB114_480
; %bb.479:
	v_mov_b32_e32 v245, 22
	ds_write2_b64 v244, v[132:133], v[134:135] offset0:46 offset1:47
	ds_write2_b64 v244, v[128:129], v[130:131] offset0:48 offset1:49
	;; [unrolled: 1-line block ×35, first 2 shown]
.LBB114_480:
	s_or_b64 exec, exec, s[0:1]
	v_cmp_lt_i32_e32 vcc, 22, v245
	s_waitcnt lgkmcnt(0)
	s_barrier
	s_and_saveexec_b64 s[0:1], vcc
	s_cbranch_execz .LBB114_482
; %bb.481:
	ds_read2_b64 v[248:251], v244 offset0:46 offset1:47
	v_mul_f64 v[152:153], v[234:235], v[138:139]
	v_mul_f64 v[138:139], v[232:233], v[138:139]
	v_fma_f64 v[242:243], v[232:233], v[136:137], -v[152:153]
	v_fmac_f64_e32 v[138:139], v[234:235], v[136:137]
	ds_read2_b64 v[232:235], v244 offset0:48 offset1:49
	s_waitcnt lgkmcnt(1)
	v_mul_f64 v[136:137], v[250:251], v[138:139]
	v_mul_f64 v[152:153], v[248:249], v[138:139]
	v_fma_f64 v[136:137], v[248:249], v[242:243], -v[136:137]
	v_fmac_f64_e32 v[152:153], v[250:251], v[242:243]
	ds_read2_b64 v[248:251], v244 offset0:50 offset1:51
	v_add_f64 v[132:133], v[132:133], -v[136:137]
	v_add_f64 v[134:135], v[134:135], -v[152:153]
	s_waitcnt lgkmcnt(1)
	v_mul_f64 v[136:137], v[234:235], v[138:139]
	v_mul_f64 v[152:153], v[232:233], v[138:139]
	v_fma_f64 v[136:137], v[232:233], v[242:243], -v[136:137]
	v_fmac_f64_e32 v[152:153], v[234:235], v[242:243]
	ds_read2_b64 v[232:235], v244 offset0:52 offset1:53
	v_add_f64 v[128:129], v[128:129], -v[136:137]
	v_add_f64 v[130:131], v[130:131], -v[152:153]
	;; [unrolled: 8-line block ×33, first 2 shown]
	s_waitcnt lgkmcnt(1)
	v_mul_f64 v[136:137], v[234:235], v[138:139]
	v_mul_f64 v[152:153], v[232:233], v[138:139]
	v_fma_f64 v[136:137], v[232:233], v[242:243], -v[136:137]
	v_fmac_f64_e32 v[152:153], v[234:235], v[242:243]
	v_add_f64 v[0:1], v[0:1], -v[136:137]
	v_add_f64 v[2:3], v[2:3], -v[152:153]
	s_waitcnt lgkmcnt(0)
	v_mul_f64 v[136:137], v[250:251], v[138:139]
	v_mul_f64 v[152:153], v[248:249], v[138:139]
	v_fma_f64 v[136:137], v[248:249], v[242:243], -v[136:137]
	v_fmac_f64_e32 v[152:153], v[250:251], v[242:243]
	v_add_f64 v[228:229], v[228:229], -v[136:137]
	v_add_f64 v[230:231], v[230:231], -v[152:153]
	v_mov_b64_e32 v[136:137], v[242:243]
.LBB114_482:
	s_or_b64 exec, exec, s[0:1]
	v_lshl_add_u32 v152, v245, 4, v244
	s_barrier
	ds_write2_b64 v152, v[132:133], v[134:135] offset1:1
	s_waitcnt lgkmcnt(0)
	s_barrier
	ds_read2_b64 v[232:235], v244 offset0:46 offset1:47
	s_cmp_lt_i32 s20, 25
	v_mov_b32_e32 v242, 23
	s_cbranch_scc1 .LBB114_485
; %bb.483:
	v_add_u32_e32 v243, 0x180, v244
	s_mov_b32 s0, 24
	v_mov_b32_e32 v242, 23
.LBB114_484:                            ; =>This Inner Loop Header: Depth=1
	ds_read2_b64 v[248:251], v243 offset1:1
	s_waitcnt lgkmcnt(1)
	v_cmp_gt_f64_e32 vcc, 0, v[232:233]
	v_xor_b32_e32 v152, 0x80000000, v233
	v_xor_b32_e32 v154, 0x80000000, v235
	v_cndmask_b32_e32 v153, v233, v152, vcc
	v_cmp_gt_f64_e32 vcc, 0, v[234:235]
	v_mov_b32_e32 v152, v232
	s_waitcnt lgkmcnt(0)
	v_xor_b32_e32 v156, 0x80000000, v251
	v_cndmask_b32_e32 v155, v235, v154, vcc
	v_mov_b32_e32 v154, v234
	v_add_f64 v[152:153], v[152:153], v[154:155]
	v_cmp_gt_f64_e32 vcc, 0, v[248:249]
	v_xor_b32_e32 v154, 0x80000000, v249
	v_add_u32_e32 v243, 16, v243
	v_cndmask_b32_e32 v155, v249, v154, vcc
	v_cmp_gt_f64_e32 vcc, 0, v[250:251]
	v_mov_b32_e32 v154, v248
	s_nop 0
	v_cndmask_b32_e32 v157, v251, v156, vcc
	v_mov_b32_e32 v156, v250
	v_add_f64 v[154:155], v[154:155], v[156:157]
	v_cmp_lt_f64_e32 vcc, v[152:153], v[154:155]
	v_mov_b32_e32 v152, s0
	s_add_i32 s0, s0, 1
	v_cndmask_b32_e32 v233, v233, v249, vcc
	v_cndmask_b32_e32 v232, v232, v248, vcc
	;; [unrolled: 1-line block ×5, first 2 shown]
	s_cmp_lg_u32 s20, s0
	s_cbranch_scc1 .LBB114_484
.LBB114_485:
	s_waitcnt lgkmcnt(0)
	v_cmp_eq_f64_e32 vcc, 0, v[232:233]
	v_cmp_eq_f64_e64 s[0:1], 0, v[234:235]
	s_and_b64 s[0:1], vcc, s[0:1]
	s_and_saveexec_b64 s[16:17], s[0:1]
	s_xor_b64 s[0:1], exec, s[16:17]
; %bb.486:
	v_cmp_ne_u32_e32 vcc, 0, v246
	s_nop 1
	v_cndmask_b32_e32 v246, 24, v246, vcc
; %bb.487:
	s_andn2_saveexec_b64 s[0:1], s[0:1]
	s_cbranch_execz .LBB114_493
; %bb.488:
	v_cmp_ngt_f64_e64 s[16:17], |v[232:233]|, |v[234:235]|
	s_and_saveexec_b64 s[18:19], s[16:17]
	s_xor_b64 s[16:17], exec, s[18:19]
	s_cbranch_execz .LBB114_490
; %bb.489:
	v_div_scale_f64 v[152:153], s[18:19], v[234:235], v[234:235], v[232:233]
	v_rcp_f64_e32 v[154:155], v[152:153]
	v_div_scale_f64 v[156:157], vcc, v[232:233], v[234:235], v[232:233]
	v_fma_f64 v[158:159], -v[152:153], v[154:155], 1.0
	v_fmac_f64_e32 v[154:155], v[154:155], v[158:159]
	v_fma_f64 v[158:159], -v[152:153], v[154:155], 1.0
	v_fmac_f64_e32 v[154:155], v[154:155], v[158:159]
	v_mul_f64 v[158:159], v[156:157], v[154:155]
	v_fma_f64 v[152:153], -v[152:153], v[158:159], v[156:157]
	v_div_fmas_f64 v[152:153], v[152:153], v[154:155], v[158:159]
	v_div_fixup_f64 v[152:153], v[152:153], v[234:235], v[232:233]
	v_fmac_f64_e32 v[234:235], v[232:233], v[152:153]
	v_div_scale_f64 v[154:155], s[18:19], v[234:235], v[234:235], 1.0
	v_rcp_f64_e32 v[156:157], v[154:155]
	s_nop 0
	v_fma_f64 v[158:159], -v[154:155], v[156:157], 1.0
	v_fmac_f64_e32 v[156:157], v[156:157], v[158:159]
	v_fma_f64 v[158:159], -v[154:155], v[156:157], 1.0
	v_fmac_f64_e32 v[156:157], v[156:157], v[158:159]
	v_div_scale_f64 v[158:159], vcc, 1.0, v[234:235], 1.0
	v_mul_f64 v[220:221], v[158:159], v[156:157]
	v_fma_f64 v[154:155], -v[154:155], v[220:221], v[158:159]
	s_nop 1
	v_div_fmas_f64 v[154:155], v[154:155], v[156:157], v[220:221]
	v_div_fixup_f64 v[234:235], v[154:155], v[234:235], 1.0
	v_mul_f64 v[232:233], v[152:153], v[234:235]
	v_xor_b32_e32 v235, 0x80000000, v235
.LBB114_490:
	s_andn2_saveexec_b64 s[16:17], s[16:17]
	s_cbranch_execz .LBB114_492
; %bb.491:
	v_div_scale_f64 v[152:153], s[18:19], v[232:233], v[232:233], v[234:235]
	v_rcp_f64_e32 v[154:155], v[152:153]
	v_div_scale_f64 v[156:157], vcc, v[234:235], v[232:233], v[234:235]
	v_fma_f64 v[158:159], -v[152:153], v[154:155], 1.0
	v_fmac_f64_e32 v[154:155], v[154:155], v[158:159]
	v_fma_f64 v[158:159], -v[152:153], v[154:155], 1.0
	v_fmac_f64_e32 v[154:155], v[154:155], v[158:159]
	v_mul_f64 v[158:159], v[156:157], v[154:155]
	v_fma_f64 v[152:153], -v[152:153], v[158:159], v[156:157]
	v_div_fmas_f64 v[152:153], v[152:153], v[154:155], v[158:159]
	v_div_fixup_f64 v[152:153], v[152:153], v[232:233], v[234:235]
	v_fmac_f64_e32 v[232:233], v[234:235], v[152:153]
	v_div_scale_f64 v[154:155], s[18:19], v[232:233], v[232:233], 1.0
	v_rcp_f64_e32 v[156:157], v[154:155]
	s_nop 0
	v_fma_f64 v[158:159], -v[154:155], v[156:157], 1.0
	v_fmac_f64_e32 v[156:157], v[156:157], v[158:159]
	v_fma_f64 v[158:159], -v[154:155], v[156:157], 1.0
	v_fmac_f64_e32 v[156:157], v[156:157], v[158:159]
	v_div_scale_f64 v[158:159], vcc, 1.0, v[232:233], 1.0
	v_mul_f64 v[220:221], v[158:159], v[156:157]
	v_fma_f64 v[154:155], -v[154:155], v[220:221], v[158:159]
	s_nop 1
	v_div_fmas_f64 v[154:155], v[154:155], v[156:157], v[220:221]
	v_div_fixup_f64 v[232:233], v[154:155], v[232:233], 1.0
	v_mul_f64 v[234:235], v[152:153], -v[232:233]
.LBB114_492:
	s_or_b64 exec, exec, s[16:17]
.LBB114_493:
	s_or_b64 exec, exec, s[0:1]
	v_cmp_ne_u32_e32 vcc, v245, v242
	s_and_saveexec_b64 s[0:1], vcc
	s_xor_b64 s[0:1], exec, s[0:1]
	s_cbranch_execz .LBB114_499
; %bb.494:
	v_cmp_eq_u32_e32 vcc, 23, v245
	s_and_saveexec_b64 s[16:17], vcc
	s_cbranch_execz .LBB114_498
; %bb.495:
	v_cmp_ne_u32_e32 vcc, 23, v242
	s_xor_b64 s[18:19], s[14:15], -1
	s_and_b64 s[22:23], s[18:19], vcc
	s_and_saveexec_b64 s[18:19], s[22:23]
	s_cbranch_execz .LBB114_497
; %bb.496:
	v_ashrrev_i32_e32 v243, 31, v242
	v_lshl_add_u64 v[152:153], v[242:243], 2, v[4:5]
	global_load_dword v154, v[152:153], off
	global_load_dword v155, v[4:5], off offset:92
	s_waitcnt vmcnt(1)
	global_store_dword v[4:5], v154, off offset:92
	s_waitcnt vmcnt(1)
	global_store_dword v[152:153], v155, off
.LBB114_497:
	s_or_b64 exec, exec, s[18:19]
	v_mov_b32_e32 v245, v242
	v_mov_b32_e32 v236, v242
.LBB114_498:
	s_or_b64 exec, exec, s[16:17]
.LBB114_499:
	s_andn2_saveexec_b64 s[0:1], s[0:1]
	s_cbranch_execz .LBB114_501
; %bb.500:
	v_mov_b32_e32 v245, 23
	ds_write2_b64 v244, v[128:129], v[130:131] offset0:48 offset1:49
	ds_write2_b64 v244, v[124:125], v[126:127] offset0:50 offset1:51
	;; [unrolled: 1-line block ×34, first 2 shown]
.LBB114_501:
	s_or_b64 exec, exec, s[0:1]
	v_cmp_lt_i32_e32 vcc, 23, v245
	s_waitcnt lgkmcnt(0)
	s_barrier
	s_and_saveexec_b64 s[0:1], vcc
	s_cbranch_execz .LBB114_503
; %bb.502:
	ds_read2_b64 v[248:251], v244 offset0:48 offset1:49
	v_mul_f64 v[152:153], v[234:235], v[134:135]
	v_mul_f64 v[134:135], v[232:233], v[134:135]
	v_fma_f64 v[242:243], v[232:233], v[132:133], -v[152:153]
	v_fmac_f64_e32 v[134:135], v[234:235], v[132:133]
	ds_read2_b64 v[232:235], v244 offset0:50 offset1:51
	s_waitcnt lgkmcnt(1)
	v_mul_f64 v[132:133], v[250:251], v[134:135]
	v_mul_f64 v[152:153], v[248:249], v[134:135]
	v_fma_f64 v[132:133], v[248:249], v[242:243], -v[132:133]
	v_fmac_f64_e32 v[152:153], v[250:251], v[242:243]
	ds_read2_b64 v[248:251], v244 offset0:52 offset1:53
	v_add_f64 v[128:129], v[128:129], -v[132:133]
	v_add_f64 v[130:131], v[130:131], -v[152:153]
	s_waitcnt lgkmcnt(1)
	v_mul_f64 v[132:133], v[234:235], v[134:135]
	v_mul_f64 v[152:153], v[232:233], v[134:135]
	v_fma_f64 v[132:133], v[232:233], v[242:243], -v[132:133]
	v_fmac_f64_e32 v[152:153], v[234:235], v[242:243]
	ds_read2_b64 v[232:235], v244 offset0:54 offset1:55
	v_add_f64 v[124:125], v[124:125], -v[132:133]
	v_add_f64 v[126:127], v[126:127], -v[152:153]
	s_waitcnt lgkmcnt(1)
	v_mul_f64 v[132:133], v[250:251], v[134:135]
	v_mul_f64 v[152:153], v[248:249], v[134:135]
	v_fma_f64 v[132:133], v[248:249], v[242:243], -v[132:133]
	v_fmac_f64_e32 v[152:153], v[250:251], v[242:243]
	ds_read2_b64 v[248:251], v244 offset0:56 offset1:57
	v_add_f64 v[120:121], v[120:121], -v[132:133]
	v_add_f64 v[122:123], v[122:123], -v[152:153]
	s_waitcnt lgkmcnt(1)
	v_mul_f64 v[132:133], v[234:235], v[134:135]
	v_mul_f64 v[152:153], v[232:233], v[134:135]
	v_fma_f64 v[132:133], v[232:233], v[242:243], -v[132:133]
	v_fmac_f64_e32 v[152:153], v[234:235], v[242:243]
	ds_read2_b64 v[232:235], v244 offset0:58 offset1:59
	v_add_f64 v[116:117], v[116:117], -v[132:133]
	v_add_f64 v[118:119], v[118:119], -v[152:153]
	s_waitcnt lgkmcnt(1)
	v_mul_f64 v[132:133], v[250:251], v[134:135]
	v_mul_f64 v[152:153], v[248:249], v[134:135]
	v_fma_f64 v[132:133], v[248:249], v[242:243], -v[132:133]
	v_fmac_f64_e32 v[152:153], v[250:251], v[242:243]
	ds_read2_b64 v[248:251], v244 offset0:60 offset1:61
	v_add_f64 v[112:113], v[112:113], -v[132:133]
	v_add_f64 v[114:115], v[114:115], -v[152:153]
	s_waitcnt lgkmcnt(1)
	v_mul_f64 v[132:133], v[234:235], v[134:135]
	v_mul_f64 v[152:153], v[232:233], v[134:135]
	v_fma_f64 v[132:133], v[232:233], v[242:243], -v[132:133]
	v_fmac_f64_e32 v[152:153], v[234:235], v[242:243]
	ds_read2_b64 v[232:235], v244 offset0:62 offset1:63
	v_add_f64 v[108:109], v[108:109], -v[132:133]
	v_add_f64 v[110:111], v[110:111], -v[152:153]
	s_waitcnt lgkmcnt(1)
	v_mul_f64 v[132:133], v[250:251], v[134:135]
	v_mul_f64 v[152:153], v[248:249], v[134:135]
	v_fma_f64 v[132:133], v[248:249], v[242:243], -v[132:133]
	v_fmac_f64_e32 v[152:153], v[250:251], v[242:243]
	ds_read2_b64 v[248:251], v244 offset0:64 offset1:65
	v_add_f64 v[104:105], v[104:105], -v[132:133]
	v_add_f64 v[106:107], v[106:107], -v[152:153]
	s_waitcnt lgkmcnt(1)
	v_mul_f64 v[132:133], v[234:235], v[134:135]
	v_mul_f64 v[152:153], v[232:233], v[134:135]
	v_fma_f64 v[132:133], v[232:233], v[242:243], -v[132:133]
	v_fmac_f64_e32 v[152:153], v[234:235], v[242:243]
	ds_read2_b64 v[232:235], v244 offset0:66 offset1:67
	v_add_f64 v[100:101], v[100:101], -v[132:133]
	v_add_f64 v[102:103], v[102:103], -v[152:153]
	s_waitcnt lgkmcnt(1)
	v_mul_f64 v[132:133], v[250:251], v[134:135]
	v_mul_f64 v[152:153], v[248:249], v[134:135]
	v_fma_f64 v[132:133], v[248:249], v[242:243], -v[132:133]
	v_fmac_f64_e32 v[152:153], v[250:251], v[242:243]
	ds_read2_b64 v[248:251], v244 offset0:68 offset1:69
	v_add_f64 v[96:97], v[96:97], -v[132:133]
	v_add_f64 v[98:99], v[98:99], -v[152:153]
	s_waitcnt lgkmcnt(1)
	v_mul_f64 v[132:133], v[234:235], v[134:135]
	v_mul_f64 v[152:153], v[232:233], v[134:135]
	v_fma_f64 v[132:133], v[232:233], v[242:243], -v[132:133]
	v_fmac_f64_e32 v[152:153], v[234:235], v[242:243]
	ds_read2_b64 v[232:235], v244 offset0:70 offset1:71
	v_add_f64 v[92:93], v[92:93], -v[132:133]
	v_add_f64 v[94:95], v[94:95], -v[152:153]
	s_waitcnt lgkmcnt(1)
	v_mul_f64 v[132:133], v[250:251], v[134:135]
	v_mul_f64 v[152:153], v[248:249], v[134:135]
	v_fma_f64 v[132:133], v[248:249], v[242:243], -v[132:133]
	v_fmac_f64_e32 v[152:153], v[250:251], v[242:243]
	ds_read2_b64 v[248:251], v244 offset0:72 offset1:73
	v_add_f64 v[88:89], v[88:89], -v[132:133]
	v_add_f64 v[90:91], v[90:91], -v[152:153]
	s_waitcnt lgkmcnt(1)
	v_mul_f64 v[132:133], v[234:235], v[134:135]
	v_mul_f64 v[152:153], v[232:233], v[134:135]
	v_fma_f64 v[132:133], v[232:233], v[242:243], -v[132:133]
	v_fmac_f64_e32 v[152:153], v[234:235], v[242:243]
	ds_read2_b64 v[232:235], v244 offset0:74 offset1:75
	v_add_f64 v[84:85], v[84:85], -v[132:133]
	v_add_f64 v[86:87], v[86:87], -v[152:153]
	s_waitcnt lgkmcnt(1)
	v_mul_f64 v[132:133], v[250:251], v[134:135]
	v_mul_f64 v[152:153], v[248:249], v[134:135]
	v_fma_f64 v[132:133], v[248:249], v[242:243], -v[132:133]
	v_fmac_f64_e32 v[152:153], v[250:251], v[242:243]
	ds_read2_b64 v[248:251], v244 offset0:76 offset1:77
	v_add_f64 v[80:81], v[80:81], -v[132:133]
	v_add_f64 v[82:83], v[82:83], -v[152:153]
	s_waitcnt lgkmcnt(1)
	v_mul_f64 v[132:133], v[234:235], v[134:135]
	v_mul_f64 v[152:153], v[232:233], v[134:135]
	v_fma_f64 v[132:133], v[232:233], v[242:243], -v[132:133]
	v_fmac_f64_e32 v[152:153], v[234:235], v[242:243]
	ds_read2_b64 v[232:235], v244 offset0:78 offset1:79
	v_add_f64 v[76:77], v[76:77], -v[132:133]
	v_add_f64 v[78:79], v[78:79], -v[152:153]
	s_waitcnt lgkmcnt(1)
	v_mul_f64 v[132:133], v[250:251], v[134:135]
	v_mul_f64 v[152:153], v[248:249], v[134:135]
	v_fma_f64 v[132:133], v[248:249], v[242:243], -v[132:133]
	v_fmac_f64_e32 v[152:153], v[250:251], v[242:243]
	ds_read2_b64 v[248:251], v244 offset0:80 offset1:81
	v_add_f64 v[72:73], v[72:73], -v[132:133]
	v_add_f64 v[74:75], v[74:75], -v[152:153]
	s_waitcnt lgkmcnt(1)
	v_mul_f64 v[132:133], v[234:235], v[134:135]
	v_mul_f64 v[152:153], v[232:233], v[134:135]
	v_fma_f64 v[132:133], v[232:233], v[242:243], -v[132:133]
	v_fmac_f64_e32 v[152:153], v[234:235], v[242:243]
	ds_read2_b64 v[232:235], v244 offset0:82 offset1:83
	v_add_f64 v[68:69], v[68:69], -v[132:133]
	v_add_f64 v[70:71], v[70:71], -v[152:153]
	s_waitcnt lgkmcnt(1)
	v_mul_f64 v[132:133], v[250:251], v[134:135]
	v_mul_f64 v[152:153], v[248:249], v[134:135]
	v_fma_f64 v[132:133], v[248:249], v[242:243], -v[132:133]
	v_fmac_f64_e32 v[152:153], v[250:251], v[242:243]
	ds_read2_b64 v[248:251], v244 offset0:84 offset1:85
	v_add_f64 v[64:65], v[64:65], -v[132:133]
	v_add_f64 v[66:67], v[66:67], -v[152:153]
	s_waitcnt lgkmcnt(1)
	v_mul_f64 v[132:133], v[234:235], v[134:135]
	v_mul_f64 v[152:153], v[232:233], v[134:135]
	v_fma_f64 v[132:133], v[232:233], v[242:243], -v[132:133]
	v_fmac_f64_e32 v[152:153], v[234:235], v[242:243]
	ds_read2_b64 v[232:235], v244 offset0:86 offset1:87
	v_add_f64 v[60:61], v[60:61], -v[132:133]
	v_add_f64 v[62:63], v[62:63], -v[152:153]
	s_waitcnt lgkmcnt(1)
	v_mul_f64 v[132:133], v[250:251], v[134:135]
	v_mul_f64 v[152:153], v[248:249], v[134:135]
	v_fma_f64 v[132:133], v[248:249], v[242:243], -v[132:133]
	v_fmac_f64_e32 v[152:153], v[250:251], v[242:243]
	ds_read2_b64 v[248:251], v244 offset0:88 offset1:89
	v_add_f64 v[56:57], v[56:57], -v[132:133]
	v_add_f64 v[58:59], v[58:59], -v[152:153]
	s_waitcnt lgkmcnt(1)
	v_mul_f64 v[132:133], v[234:235], v[134:135]
	v_mul_f64 v[152:153], v[232:233], v[134:135]
	v_fma_f64 v[132:133], v[232:233], v[242:243], -v[132:133]
	v_fmac_f64_e32 v[152:153], v[234:235], v[242:243]
	ds_read2_b64 v[232:235], v244 offset0:90 offset1:91
	v_add_f64 v[52:53], v[52:53], -v[132:133]
	v_add_f64 v[54:55], v[54:55], -v[152:153]
	s_waitcnt lgkmcnt(1)
	v_mul_f64 v[132:133], v[250:251], v[134:135]
	v_mul_f64 v[152:153], v[248:249], v[134:135]
	v_fma_f64 v[132:133], v[248:249], v[242:243], -v[132:133]
	v_fmac_f64_e32 v[152:153], v[250:251], v[242:243]
	ds_read2_b64 v[248:251], v244 offset0:92 offset1:93
	v_add_f64 v[48:49], v[48:49], -v[132:133]
	v_add_f64 v[50:51], v[50:51], -v[152:153]
	s_waitcnt lgkmcnt(1)
	v_mul_f64 v[132:133], v[234:235], v[134:135]
	v_mul_f64 v[152:153], v[232:233], v[134:135]
	v_fma_f64 v[132:133], v[232:233], v[242:243], -v[132:133]
	v_fmac_f64_e32 v[152:153], v[234:235], v[242:243]
	ds_read2_b64 v[232:235], v244 offset0:94 offset1:95
	v_add_f64 v[44:45], v[44:45], -v[132:133]
	v_add_f64 v[46:47], v[46:47], -v[152:153]
	s_waitcnt lgkmcnt(1)
	v_mul_f64 v[132:133], v[250:251], v[134:135]
	v_mul_f64 v[152:153], v[248:249], v[134:135]
	v_fma_f64 v[132:133], v[248:249], v[242:243], -v[132:133]
	v_fmac_f64_e32 v[152:153], v[250:251], v[242:243]
	ds_read2_b64 v[248:251], v244 offset0:96 offset1:97
	v_add_f64 v[40:41], v[40:41], -v[132:133]
	v_add_f64 v[42:43], v[42:43], -v[152:153]
	s_waitcnt lgkmcnt(1)
	v_mul_f64 v[132:133], v[234:235], v[134:135]
	v_mul_f64 v[152:153], v[232:233], v[134:135]
	v_fma_f64 v[132:133], v[232:233], v[242:243], -v[132:133]
	v_fmac_f64_e32 v[152:153], v[234:235], v[242:243]
	ds_read2_b64 v[232:235], v244 offset0:98 offset1:99
	v_add_f64 v[36:37], v[36:37], -v[132:133]
	v_add_f64 v[38:39], v[38:39], -v[152:153]
	s_waitcnt lgkmcnt(1)
	v_mul_f64 v[132:133], v[250:251], v[134:135]
	v_mul_f64 v[152:153], v[248:249], v[134:135]
	v_fma_f64 v[132:133], v[248:249], v[242:243], -v[132:133]
	v_fmac_f64_e32 v[152:153], v[250:251], v[242:243]
	ds_read2_b64 v[248:251], v244 offset0:100 offset1:101
	v_add_f64 v[32:33], v[32:33], -v[132:133]
	v_add_f64 v[34:35], v[34:35], -v[152:153]
	s_waitcnt lgkmcnt(1)
	v_mul_f64 v[132:133], v[234:235], v[134:135]
	v_mul_f64 v[152:153], v[232:233], v[134:135]
	v_fma_f64 v[132:133], v[232:233], v[242:243], -v[132:133]
	v_fmac_f64_e32 v[152:153], v[234:235], v[242:243]
	ds_read2_b64 v[232:235], v244 offset0:102 offset1:103
	v_add_f64 v[28:29], v[28:29], -v[132:133]
	v_add_f64 v[30:31], v[30:31], -v[152:153]
	s_waitcnt lgkmcnt(1)
	v_mul_f64 v[132:133], v[250:251], v[134:135]
	v_mul_f64 v[152:153], v[248:249], v[134:135]
	v_fma_f64 v[132:133], v[248:249], v[242:243], -v[132:133]
	v_fmac_f64_e32 v[152:153], v[250:251], v[242:243]
	ds_read2_b64 v[248:251], v244 offset0:104 offset1:105
	v_add_f64 v[24:25], v[24:25], -v[132:133]
	v_add_f64 v[26:27], v[26:27], -v[152:153]
	s_waitcnt lgkmcnt(1)
	v_mul_f64 v[132:133], v[234:235], v[134:135]
	v_mul_f64 v[152:153], v[232:233], v[134:135]
	v_fma_f64 v[132:133], v[232:233], v[242:243], -v[132:133]
	v_fmac_f64_e32 v[152:153], v[234:235], v[242:243]
	ds_read2_b64 v[232:235], v244 offset0:106 offset1:107
	v_add_f64 v[20:21], v[20:21], -v[132:133]
	v_add_f64 v[22:23], v[22:23], -v[152:153]
	s_waitcnt lgkmcnt(1)
	v_mul_f64 v[132:133], v[250:251], v[134:135]
	v_mul_f64 v[152:153], v[248:249], v[134:135]
	v_fma_f64 v[132:133], v[248:249], v[242:243], -v[132:133]
	v_fmac_f64_e32 v[152:153], v[250:251], v[242:243]
	ds_read2_b64 v[248:251], v244 offset0:108 offset1:109
	v_add_f64 v[16:17], v[16:17], -v[132:133]
	v_add_f64 v[18:19], v[18:19], -v[152:153]
	s_waitcnt lgkmcnt(1)
	v_mul_f64 v[132:133], v[234:235], v[134:135]
	v_mul_f64 v[152:153], v[232:233], v[134:135]
	v_fma_f64 v[132:133], v[232:233], v[242:243], -v[132:133]
	v_fmac_f64_e32 v[152:153], v[234:235], v[242:243]
	ds_read2_b64 v[232:235], v244 offset0:110 offset1:111
	v_add_f64 v[12:13], v[12:13], -v[132:133]
	v_add_f64 v[14:15], v[14:15], -v[152:153]
	s_waitcnt lgkmcnt(1)
	v_mul_f64 v[132:133], v[250:251], v[134:135]
	v_mul_f64 v[152:153], v[248:249], v[134:135]
	v_fma_f64 v[132:133], v[248:249], v[242:243], -v[132:133]
	v_fmac_f64_e32 v[152:153], v[250:251], v[242:243]
	ds_read2_b64 v[248:251], v244 offset0:112 offset1:113
	v_add_f64 v[8:9], v[8:9], -v[132:133]
	v_add_f64 v[10:11], v[10:11], -v[152:153]
	s_waitcnt lgkmcnt(1)
	v_mul_f64 v[132:133], v[234:235], v[134:135]
	v_mul_f64 v[152:153], v[232:233], v[134:135]
	v_fma_f64 v[132:133], v[232:233], v[242:243], -v[132:133]
	v_fmac_f64_e32 v[152:153], v[234:235], v[242:243]
	ds_read2_b64 v[232:235], v244 offset0:114 offset1:115
	v_add_f64 v[224:225], v[224:225], -v[132:133]
	v_add_f64 v[226:227], v[226:227], -v[152:153]
	s_waitcnt lgkmcnt(1)
	v_mul_f64 v[132:133], v[250:251], v[134:135]
	v_mul_f64 v[152:153], v[248:249], v[134:135]
	v_fma_f64 v[132:133], v[248:249], v[242:243], -v[132:133]
	v_fmac_f64_e32 v[152:153], v[250:251], v[242:243]
	v_add_f64 v[0:1], v[0:1], -v[132:133]
	v_add_f64 v[2:3], v[2:3], -v[152:153]
	s_waitcnt lgkmcnt(0)
	v_mul_f64 v[132:133], v[234:235], v[134:135]
	v_mul_f64 v[152:153], v[232:233], v[134:135]
	v_fma_f64 v[132:133], v[232:233], v[242:243], -v[132:133]
	v_fmac_f64_e32 v[152:153], v[234:235], v[242:243]
	v_add_f64 v[228:229], v[228:229], -v[132:133]
	v_add_f64 v[230:231], v[230:231], -v[152:153]
	v_mov_b64_e32 v[132:133], v[242:243]
.LBB114_503:
	s_or_b64 exec, exec, s[0:1]
	v_lshl_add_u32 v152, v245, 4, v244
	s_barrier
	ds_write2_b64 v152, v[128:129], v[130:131] offset1:1
	s_waitcnt lgkmcnt(0)
	s_barrier
	ds_read2_b64 v[232:235], v244 offset0:48 offset1:49
	s_cmp_lt_i32 s20, 26
	v_mov_b32_e32 v242, 24
	s_cbranch_scc1 .LBB114_506
; %bb.504:
	v_add_u32_e32 v243, 0x190, v244
	s_mov_b32 s0, 25
	v_mov_b32_e32 v242, 24
.LBB114_505:                            ; =>This Inner Loop Header: Depth=1
	ds_read2_b64 v[248:251], v243 offset1:1
	s_waitcnt lgkmcnt(1)
	v_cmp_gt_f64_e32 vcc, 0, v[232:233]
	v_xor_b32_e32 v152, 0x80000000, v233
	v_xor_b32_e32 v154, 0x80000000, v235
	v_cndmask_b32_e32 v153, v233, v152, vcc
	v_cmp_gt_f64_e32 vcc, 0, v[234:235]
	v_mov_b32_e32 v152, v232
	s_waitcnt lgkmcnt(0)
	v_xor_b32_e32 v156, 0x80000000, v251
	v_cndmask_b32_e32 v155, v235, v154, vcc
	v_mov_b32_e32 v154, v234
	v_add_f64 v[152:153], v[152:153], v[154:155]
	v_cmp_gt_f64_e32 vcc, 0, v[248:249]
	v_xor_b32_e32 v154, 0x80000000, v249
	v_add_u32_e32 v243, 16, v243
	v_cndmask_b32_e32 v155, v249, v154, vcc
	v_cmp_gt_f64_e32 vcc, 0, v[250:251]
	v_mov_b32_e32 v154, v248
	s_nop 0
	v_cndmask_b32_e32 v157, v251, v156, vcc
	v_mov_b32_e32 v156, v250
	v_add_f64 v[154:155], v[154:155], v[156:157]
	v_cmp_lt_f64_e32 vcc, v[152:153], v[154:155]
	v_mov_b32_e32 v152, s0
	s_add_i32 s0, s0, 1
	v_cndmask_b32_e32 v233, v233, v249, vcc
	v_cndmask_b32_e32 v232, v232, v248, vcc
	;; [unrolled: 1-line block ×5, first 2 shown]
	s_cmp_lg_u32 s20, s0
	s_cbranch_scc1 .LBB114_505
.LBB114_506:
	s_waitcnt lgkmcnt(0)
	v_cmp_eq_f64_e32 vcc, 0, v[232:233]
	v_cmp_eq_f64_e64 s[0:1], 0, v[234:235]
	s_and_b64 s[0:1], vcc, s[0:1]
	s_and_saveexec_b64 s[16:17], s[0:1]
	s_xor_b64 s[0:1], exec, s[16:17]
; %bb.507:
	v_cmp_ne_u32_e32 vcc, 0, v246
	s_nop 1
	v_cndmask_b32_e32 v246, 25, v246, vcc
; %bb.508:
	s_andn2_saveexec_b64 s[0:1], s[0:1]
	s_cbranch_execz .LBB114_514
; %bb.509:
	v_cmp_ngt_f64_e64 s[16:17], |v[232:233]|, |v[234:235]|
	s_and_saveexec_b64 s[18:19], s[16:17]
	s_xor_b64 s[16:17], exec, s[18:19]
	s_cbranch_execz .LBB114_511
; %bb.510:
	v_div_scale_f64 v[152:153], s[18:19], v[234:235], v[234:235], v[232:233]
	v_rcp_f64_e32 v[154:155], v[152:153]
	v_div_scale_f64 v[156:157], vcc, v[232:233], v[234:235], v[232:233]
	v_fma_f64 v[158:159], -v[152:153], v[154:155], 1.0
	v_fmac_f64_e32 v[154:155], v[154:155], v[158:159]
	v_fma_f64 v[158:159], -v[152:153], v[154:155], 1.0
	v_fmac_f64_e32 v[154:155], v[154:155], v[158:159]
	v_mul_f64 v[158:159], v[156:157], v[154:155]
	v_fma_f64 v[152:153], -v[152:153], v[158:159], v[156:157]
	v_div_fmas_f64 v[152:153], v[152:153], v[154:155], v[158:159]
	v_div_fixup_f64 v[152:153], v[152:153], v[234:235], v[232:233]
	v_fmac_f64_e32 v[234:235], v[232:233], v[152:153]
	v_div_scale_f64 v[154:155], s[18:19], v[234:235], v[234:235], 1.0
	v_rcp_f64_e32 v[156:157], v[154:155]
	s_nop 0
	v_fma_f64 v[158:159], -v[154:155], v[156:157], 1.0
	v_fmac_f64_e32 v[156:157], v[156:157], v[158:159]
	v_fma_f64 v[158:159], -v[154:155], v[156:157], 1.0
	v_fmac_f64_e32 v[156:157], v[156:157], v[158:159]
	v_div_scale_f64 v[158:159], vcc, 1.0, v[234:235], 1.0
	v_mul_f64 v[220:221], v[158:159], v[156:157]
	v_fma_f64 v[154:155], -v[154:155], v[220:221], v[158:159]
	s_nop 1
	v_div_fmas_f64 v[154:155], v[154:155], v[156:157], v[220:221]
	v_div_fixup_f64 v[234:235], v[154:155], v[234:235], 1.0
	v_mul_f64 v[232:233], v[152:153], v[234:235]
	v_xor_b32_e32 v235, 0x80000000, v235
.LBB114_511:
	s_andn2_saveexec_b64 s[16:17], s[16:17]
	s_cbranch_execz .LBB114_513
; %bb.512:
	v_div_scale_f64 v[152:153], s[18:19], v[232:233], v[232:233], v[234:235]
	v_rcp_f64_e32 v[154:155], v[152:153]
	v_div_scale_f64 v[156:157], vcc, v[234:235], v[232:233], v[234:235]
	v_fma_f64 v[158:159], -v[152:153], v[154:155], 1.0
	v_fmac_f64_e32 v[154:155], v[154:155], v[158:159]
	v_fma_f64 v[158:159], -v[152:153], v[154:155], 1.0
	v_fmac_f64_e32 v[154:155], v[154:155], v[158:159]
	v_mul_f64 v[158:159], v[156:157], v[154:155]
	v_fma_f64 v[152:153], -v[152:153], v[158:159], v[156:157]
	v_div_fmas_f64 v[152:153], v[152:153], v[154:155], v[158:159]
	v_div_fixup_f64 v[152:153], v[152:153], v[232:233], v[234:235]
	v_fmac_f64_e32 v[232:233], v[234:235], v[152:153]
	v_div_scale_f64 v[154:155], s[18:19], v[232:233], v[232:233], 1.0
	v_rcp_f64_e32 v[156:157], v[154:155]
	s_nop 0
	v_fma_f64 v[158:159], -v[154:155], v[156:157], 1.0
	v_fmac_f64_e32 v[156:157], v[156:157], v[158:159]
	v_fma_f64 v[158:159], -v[154:155], v[156:157], 1.0
	v_fmac_f64_e32 v[156:157], v[156:157], v[158:159]
	v_div_scale_f64 v[158:159], vcc, 1.0, v[232:233], 1.0
	v_mul_f64 v[220:221], v[158:159], v[156:157]
	v_fma_f64 v[154:155], -v[154:155], v[220:221], v[158:159]
	s_nop 1
	v_div_fmas_f64 v[154:155], v[154:155], v[156:157], v[220:221]
	v_div_fixup_f64 v[232:233], v[154:155], v[232:233], 1.0
	v_mul_f64 v[234:235], v[152:153], -v[232:233]
.LBB114_513:
	s_or_b64 exec, exec, s[16:17]
.LBB114_514:
	s_or_b64 exec, exec, s[0:1]
	v_cmp_ne_u32_e32 vcc, v245, v242
	s_and_saveexec_b64 s[0:1], vcc
	s_xor_b64 s[0:1], exec, s[0:1]
	s_cbranch_execz .LBB114_520
; %bb.515:
	v_cmp_eq_u32_e32 vcc, 24, v245
	s_and_saveexec_b64 s[16:17], vcc
	s_cbranch_execz .LBB114_519
; %bb.516:
	v_cmp_ne_u32_e32 vcc, 24, v242
	s_xor_b64 s[18:19], s[14:15], -1
	s_and_b64 s[22:23], s[18:19], vcc
	s_and_saveexec_b64 s[18:19], s[22:23]
	s_cbranch_execz .LBB114_518
; %bb.517:
	v_ashrrev_i32_e32 v243, 31, v242
	v_lshl_add_u64 v[152:153], v[242:243], 2, v[4:5]
	global_load_dword v154, v[152:153], off
	global_load_dword v155, v[4:5], off offset:96
	s_waitcnt vmcnt(1)
	global_store_dword v[4:5], v154, off offset:96
	s_waitcnt vmcnt(1)
	global_store_dword v[152:153], v155, off
.LBB114_518:
	s_or_b64 exec, exec, s[18:19]
	v_mov_b32_e32 v245, v242
	v_mov_b32_e32 v236, v242
.LBB114_519:
	s_or_b64 exec, exec, s[16:17]
.LBB114_520:
	s_andn2_saveexec_b64 s[0:1], s[0:1]
	s_cbranch_execz .LBB114_522
; %bb.521:
	v_mov_b32_e32 v245, 24
	ds_write2_b64 v244, v[124:125], v[126:127] offset0:50 offset1:51
	ds_write2_b64 v244, v[120:121], v[122:123] offset0:52 offset1:53
	;; [unrolled: 1-line block ×33, first 2 shown]
.LBB114_522:
	s_or_b64 exec, exec, s[0:1]
	v_cmp_lt_i32_e32 vcc, 24, v245
	s_waitcnt lgkmcnt(0)
	s_barrier
	s_and_saveexec_b64 s[0:1], vcc
	s_cbranch_execz .LBB114_524
; %bb.523:
	ds_read2_b64 v[248:251], v244 offset0:50 offset1:51
	v_mul_f64 v[152:153], v[234:235], v[130:131]
	v_mul_f64 v[130:131], v[232:233], v[130:131]
	v_fma_f64 v[242:243], v[232:233], v[128:129], -v[152:153]
	v_fmac_f64_e32 v[130:131], v[234:235], v[128:129]
	ds_read2_b64 v[232:235], v244 offset0:52 offset1:53
	s_waitcnt lgkmcnt(1)
	v_mul_f64 v[128:129], v[250:251], v[130:131]
	v_mul_f64 v[152:153], v[248:249], v[130:131]
	v_fma_f64 v[128:129], v[248:249], v[242:243], -v[128:129]
	v_fmac_f64_e32 v[152:153], v[250:251], v[242:243]
	ds_read2_b64 v[248:251], v244 offset0:54 offset1:55
	v_add_f64 v[124:125], v[124:125], -v[128:129]
	v_add_f64 v[126:127], v[126:127], -v[152:153]
	s_waitcnt lgkmcnt(1)
	v_mul_f64 v[128:129], v[234:235], v[130:131]
	v_mul_f64 v[152:153], v[232:233], v[130:131]
	v_fma_f64 v[128:129], v[232:233], v[242:243], -v[128:129]
	v_fmac_f64_e32 v[152:153], v[234:235], v[242:243]
	ds_read2_b64 v[232:235], v244 offset0:56 offset1:57
	v_add_f64 v[120:121], v[120:121], -v[128:129]
	v_add_f64 v[122:123], v[122:123], -v[152:153]
	;; [unrolled: 8-line block ×31, first 2 shown]
	s_waitcnt lgkmcnt(1)
	v_mul_f64 v[128:129], v[234:235], v[130:131]
	v_mul_f64 v[152:153], v[232:233], v[130:131]
	v_fma_f64 v[128:129], v[232:233], v[242:243], -v[128:129]
	v_fmac_f64_e32 v[152:153], v[234:235], v[242:243]
	v_add_f64 v[0:1], v[0:1], -v[128:129]
	v_add_f64 v[2:3], v[2:3], -v[152:153]
	s_waitcnt lgkmcnt(0)
	v_mul_f64 v[128:129], v[250:251], v[130:131]
	v_mul_f64 v[152:153], v[248:249], v[130:131]
	v_fma_f64 v[128:129], v[248:249], v[242:243], -v[128:129]
	v_fmac_f64_e32 v[152:153], v[250:251], v[242:243]
	v_add_f64 v[228:229], v[228:229], -v[128:129]
	v_add_f64 v[230:231], v[230:231], -v[152:153]
	v_mov_b64_e32 v[128:129], v[242:243]
.LBB114_524:
	s_or_b64 exec, exec, s[0:1]
	v_lshl_add_u32 v152, v245, 4, v244
	s_barrier
	ds_write2_b64 v152, v[124:125], v[126:127] offset1:1
	s_waitcnt lgkmcnt(0)
	s_barrier
	ds_read2_b64 v[232:235], v244 offset0:50 offset1:51
	s_cmp_lt_i32 s20, 27
	v_mov_b32_e32 v242, 25
	s_cbranch_scc1 .LBB114_527
; %bb.525:
	v_add_u32_e32 v243, 0x1a0, v244
	s_mov_b32 s0, 26
	v_mov_b32_e32 v242, 25
.LBB114_526:                            ; =>This Inner Loop Header: Depth=1
	ds_read2_b64 v[248:251], v243 offset1:1
	s_waitcnt lgkmcnt(1)
	v_cmp_gt_f64_e32 vcc, 0, v[232:233]
	v_xor_b32_e32 v152, 0x80000000, v233
	v_xor_b32_e32 v154, 0x80000000, v235
	v_cndmask_b32_e32 v153, v233, v152, vcc
	v_cmp_gt_f64_e32 vcc, 0, v[234:235]
	v_mov_b32_e32 v152, v232
	s_waitcnt lgkmcnt(0)
	v_xor_b32_e32 v156, 0x80000000, v251
	v_cndmask_b32_e32 v155, v235, v154, vcc
	v_mov_b32_e32 v154, v234
	v_add_f64 v[152:153], v[152:153], v[154:155]
	v_cmp_gt_f64_e32 vcc, 0, v[248:249]
	v_xor_b32_e32 v154, 0x80000000, v249
	v_add_u32_e32 v243, 16, v243
	v_cndmask_b32_e32 v155, v249, v154, vcc
	v_cmp_gt_f64_e32 vcc, 0, v[250:251]
	v_mov_b32_e32 v154, v248
	s_nop 0
	v_cndmask_b32_e32 v157, v251, v156, vcc
	v_mov_b32_e32 v156, v250
	v_add_f64 v[154:155], v[154:155], v[156:157]
	v_cmp_lt_f64_e32 vcc, v[152:153], v[154:155]
	v_mov_b32_e32 v152, s0
	s_add_i32 s0, s0, 1
	v_cndmask_b32_e32 v233, v233, v249, vcc
	v_cndmask_b32_e32 v232, v232, v248, vcc
	;; [unrolled: 1-line block ×5, first 2 shown]
	s_cmp_lg_u32 s20, s0
	s_cbranch_scc1 .LBB114_526
.LBB114_527:
	s_waitcnt lgkmcnt(0)
	v_cmp_eq_f64_e32 vcc, 0, v[232:233]
	v_cmp_eq_f64_e64 s[0:1], 0, v[234:235]
	s_and_b64 s[0:1], vcc, s[0:1]
	s_and_saveexec_b64 s[16:17], s[0:1]
	s_xor_b64 s[0:1], exec, s[16:17]
; %bb.528:
	v_cmp_ne_u32_e32 vcc, 0, v246
	s_nop 1
	v_cndmask_b32_e32 v246, 26, v246, vcc
; %bb.529:
	s_andn2_saveexec_b64 s[0:1], s[0:1]
	s_cbranch_execz .LBB114_535
; %bb.530:
	v_cmp_ngt_f64_e64 s[16:17], |v[232:233]|, |v[234:235]|
	s_and_saveexec_b64 s[18:19], s[16:17]
	s_xor_b64 s[16:17], exec, s[18:19]
	s_cbranch_execz .LBB114_532
; %bb.531:
	v_div_scale_f64 v[152:153], s[18:19], v[234:235], v[234:235], v[232:233]
	v_rcp_f64_e32 v[154:155], v[152:153]
	v_div_scale_f64 v[156:157], vcc, v[232:233], v[234:235], v[232:233]
	v_fma_f64 v[158:159], -v[152:153], v[154:155], 1.0
	v_fmac_f64_e32 v[154:155], v[154:155], v[158:159]
	v_fma_f64 v[158:159], -v[152:153], v[154:155], 1.0
	v_fmac_f64_e32 v[154:155], v[154:155], v[158:159]
	v_mul_f64 v[158:159], v[156:157], v[154:155]
	v_fma_f64 v[152:153], -v[152:153], v[158:159], v[156:157]
	v_div_fmas_f64 v[152:153], v[152:153], v[154:155], v[158:159]
	v_div_fixup_f64 v[152:153], v[152:153], v[234:235], v[232:233]
	v_fmac_f64_e32 v[234:235], v[232:233], v[152:153]
	v_div_scale_f64 v[154:155], s[18:19], v[234:235], v[234:235], 1.0
	v_rcp_f64_e32 v[156:157], v[154:155]
	s_nop 0
	v_fma_f64 v[158:159], -v[154:155], v[156:157], 1.0
	v_fmac_f64_e32 v[156:157], v[156:157], v[158:159]
	v_fma_f64 v[158:159], -v[154:155], v[156:157], 1.0
	v_fmac_f64_e32 v[156:157], v[156:157], v[158:159]
	v_div_scale_f64 v[158:159], vcc, 1.0, v[234:235], 1.0
	v_mul_f64 v[220:221], v[158:159], v[156:157]
	v_fma_f64 v[154:155], -v[154:155], v[220:221], v[158:159]
	s_nop 1
	v_div_fmas_f64 v[154:155], v[154:155], v[156:157], v[220:221]
	v_div_fixup_f64 v[234:235], v[154:155], v[234:235], 1.0
	v_mul_f64 v[232:233], v[152:153], v[234:235]
	v_xor_b32_e32 v235, 0x80000000, v235
.LBB114_532:
	s_andn2_saveexec_b64 s[16:17], s[16:17]
	s_cbranch_execz .LBB114_534
; %bb.533:
	v_div_scale_f64 v[152:153], s[18:19], v[232:233], v[232:233], v[234:235]
	v_rcp_f64_e32 v[154:155], v[152:153]
	v_div_scale_f64 v[156:157], vcc, v[234:235], v[232:233], v[234:235]
	v_fma_f64 v[158:159], -v[152:153], v[154:155], 1.0
	v_fmac_f64_e32 v[154:155], v[154:155], v[158:159]
	v_fma_f64 v[158:159], -v[152:153], v[154:155], 1.0
	v_fmac_f64_e32 v[154:155], v[154:155], v[158:159]
	v_mul_f64 v[158:159], v[156:157], v[154:155]
	v_fma_f64 v[152:153], -v[152:153], v[158:159], v[156:157]
	v_div_fmas_f64 v[152:153], v[152:153], v[154:155], v[158:159]
	v_div_fixup_f64 v[152:153], v[152:153], v[232:233], v[234:235]
	v_fmac_f64_e32 v[232:233], v[234:235], v[152:153]
	v_div_scale_f64 v[154:155], s[18:19], v[232:233], v[232:233], 1.0
	v_rcp_f64_e32 v[156:157], v[154:155]
	s_nop 0
	v_fma_f64 v[158:159], -v[154:155], v[156:157], 1.0
	v_fmac_f64_e32 v[156:157], v[156:157], v[158:159]
	v_fma_f64 v[158:159], -v[154:155], v[156:157], 1.0
	v_fmac_f64_e32 v[156:157], v[156:157], v[158:159]
	v_div_scale_f64 v[158:159], vcc, 1.0, v[232:233], 1.0
	v_mul_f64 v[220:221], v[158:159], v[156:157]
	v_fma_f64 v[154:155], -v[154:155], v[220:221], v[158:159]
	s_nop 1
	v_div_fmas_f64 v[154:155], v[154:155], v[156:157], v[220:221]
	v_div_fixup_f64 v[232:233], v[154:155], v[232:233], 1.0
	v_mul_f64 v[234:235], v[152:153], -v[232:233]
.LBB114_534:
	s_or_b64 exec, exec, s[16:17]
.LBB114_535:
	s_or_b64 exec, exec, s[0:1]
	v_cmp_ne_u32_e32 vcc, v245, v242
	s_and_saveexec_b64 s[0:1], vcc
	s_xor_b64 s[0:1], exec, s[0:1]
	s_cbranch_execz .LBB114_541
; %bb.536:
	v_cmp_eq_u32_e32 vcc, 25, v245
	s_and_saveexec_b64 s[16:17], vcc
	s_cbranch_execz .LBB114_540
; %bb.537:
	v_cmp_ne_u32_e32 vcc, 25, v242
	s_xor_b64 s[18:19], s[14:15], -1
	s_and_b64 s[22:23], s[18:19], vcc
	s_and_saveexec_b64 s[18:19], s[22:23]
	s_cbranch_execz .LBB114_539
; %bb.538:
	v_ashrrev_i32_e32 v243, 31, v242
	v_lshl_add_u64 v[152:153], v[242:243], 2, v[4:5]
	global_load_dword v154, v[152:153], off
	global_load_dword v155, v[4:5], off offset:100
	s_waitcnt vmcnt(1)
	global_store_dword v[4:5], v154, off offset:100
	s_waitcnt vmcnt(1)
	global_store_dword v[152:153], v155, off
.LBB114_539:
	s_or_b64 exec, exec, s[18:19]
	v_mov_b32_e32 v245, v242
	v_mov_b32_e32 v236, v242
.LBB114_540:
	s_or_b64 exec, exec, s[16:17]
.LBB114_541:
	s_andn2_saveexec_b64 s[0:1], s[0:1]
	s_cbranch_execz .LBB114_543
; %bb.542:
	v_mov_b32_e32 v245, 25
	ds_write2_b64 v244, v[120:121], v[122:123] offset0:52 offset1:53
	ds_write2_b64 v244, v[116:117], v[118:119] offset0:54 offset1:55
	;; [unrolled: 1-line block ×32, first 2 shown]
.LBB114_543:
	s_or_b64 exec, exec, s[0:1]
	v_cmp_lt_i32_e32 vcc, 25, v245
	s_waitcnt lgkmcnt(0)
	s_barrier
	s_and_saveexec_b64 s[0:1], vcc
	s_cbranch_execz .LBB114_545
; %bb.544:
	ds_read2_b64 v[248:251], v244 offset0:52 offset1:53
	v_mul_f64 v[152:153], v[234:235], v[126:127]
	v_mul_f64 v[126:127], v[232:233], v[126:127]
	v_fma_f64 v[242:243], v[232:233], v[124:125], -v[152:153]
	v_fmac_f64_e32 v[126:127], v[234:235], v[124:125]
	ds_read2_b64 v[232:235], v244 offset0:54 offset1:55
	s_waitcnt lgkmcnt(1)
	v_mul_f64 v[124:125], v[250:251], v[126:127]
	v_mul_f64 v[152:153], v[248:249], v[126:127]
	v_fma_f64 v[124:125], v[248:249], v[242:243], -v[124:125]
	v_fmac_f64_e32 v[152:153], v[250:251], v[242:243]
	ds_read2_b64 v[248:251], v244 offset0:56 offset1:57
	v_add_f64 v[120:121], v[120:121], -v[124:125]
	v_add_f64 v[122:123], v[122:123], -v[152:153]
	s_waitcnt lgkmcnt(1)
	v_mul_f64 v[124:125], v[234:235], v[126:127]
	v_mul_f64 v[152:153], v[232:233], v[126:127]
	v_fma_f64 v[124:125], v[232:233], v[242:243], -v[124:125]
	v_fmac_f64_e32 v[152:153], v[234:235], v[242:243]
	ds_read2_b64 v[232:235], v244 offset0:58 offset1:59
	v_add_f64 v[116:117], v[116:117], -v[124:125]
	v_add_f64 v[118:119], v[118:119], -v[152:153]
	;; [unrolled: 8-line block ×30, first 2 shown]
	s_waitcnt lgkmcnt(1)
	v_mul_f64 v[124:125], v[250:251], v[126:127]
	v_mul_f64 v[152:153], v[248:249], v[126:127]
	v_fma_f64 v[124:125], v[248:249], v[242:243], -v[124:125]
	v_fmac_f64_e32 v[152:153], v[250:251], v[242:243]
	v_add_f64 v[0:1], v[0:1], -v[124:125]
	v_add_f64 v[2:3], v[2:3], -v[152:153]
	s_waitcnt lgkmcnt(0)
	v_mul_f64 v[124:125], v[234:235], v[126:127]
	v_mul_f64 v[152:153], v[232:233], v[126:127]
	v_fma_f64 v[124:125], v[232:233], v[242:243], -v[124:125]
	v_fmac_f64_e32 v[152:153], v[234:235], v[242:243]
	v_add_f64 v[228:229], v[228:229], -v[124:125]
	v_add_f64 v[230:231], v[230:231], -v[152:153]
	v_mov_b64_e32 v[124:125], v[242:243]
.LBB114_545:
	s_or_b64 exec, exec, s[0:1]
	v_lshl_add_u32 v152, v245, 4, v244
	s_barrier
	ds_write2_b64 v152, v[120:121], v[122:123] offset1:1
	s_waitcnt lgkmcnt(0)
	s_barrier
	ds_read2_b64 v[232:235], v244 offset0:52 offset1:53
	s_cmp_lt_i32 s20, 28
	v_mov_b32_e32 v242, 26
	s_cbranch_scc1 .LBB114_548
; %bb.546:
	v_add_u32_e32 v243, 0x1b0, v244
	s_mov_b32 s0, 27
	v_mov_b32_e32 v242, 26
.LBB114_547:                            ; =>This Inner Loop Header: Depth=1
	ds_read2_b64 v[248:251], v243 offset1:1
	s_waitcnt lgkmcnt(1)
	v_cmp_gt_f64_e32 vcc, 0, v[232:233]
	v_xor_b32_e32 v152, 0x80000000, v233
	v_xor_b32_e32 v154, 0x80000000, v235
	v_cndmask_b32_e32 v153, v233, v152, vcc
	v_cmp_gt_f64_e32 vcc, 0, v[234:235]
	v_mov_b32_e32 v152, v232
	s_waitcnt lgkmcnt(0)
	v_xor_b32_e32 v156, 0x80000000, v251
	v_cndmask_b32_e32 v155, v235, v154, vcc
	v_mov_b32_e32 v154, v234
	v_add_f64 v[152:153], v[152:153], v[154:155]
	v_cmp_gt_f64_e32 vcc, 0, v[248:249]
	v_xor_b32_e32 v154, 0x80000000, v249
	v_add_u32_e32 v243, 16, v243
	v_cndmask_b32_e32 v155, v249, v154, vcc
	v_cmp_gt_f64_e32 vcc, 0, v[250:251]
	v_mov_b32_e32 v154, v248
	s_nop 0
	v_cndmask_b32_e32 v157, v251, v156, vcc
	v_mov_b32_e32 v156, v250
	v_add_f64 v[154:155], v[154:155], v[156:157]
	v_cmp_lt_f64_e32 vcc, v[152:153], v[154:155]
	v_mov_b32_e32 v152, s0
	s_add_i32 s0, s0, 1
	v_cndmask_b32_e32 v233, v233, v249, vcc
	v_cndmask_b32_e32 v232, v232, v248, vcc
	;; [unrolled: 1-line block ×5, first 2 shown]
	s_cmp_lg_u32 s20, s0
	s_cbranch_scc1 .LBB114_547
.LBB114_548:
	s_waitcnt lgkmcnt(0)
	v_cmp_eq_f64_e32 vcc, 0, v[232:233]
	v_cmp_eq_f64_e64 s[0:1], 0, v[234:235]
	s_and_b64 s[0:1], vcc, s[0:1]
	s_and_saveexec_b64 s[16:17], s[0:1]
	s_xor_b64 s[0:1], exec, s[16:17]
; %bb.549:
	v_cmp_ne_u32_e32 vcc, 0, v246
	s_nop 1
	v_cndmask_b32_e32 v246, 27, v246, vcc
; %bb.550:
	s_andn2_saveexec_b64 s[0:1], s[0:1]
	s_cbranch_execz .LBB114_556
; %bb.551:
	v_cmp_ngt_f64_e64 s[16:17], |v[232:233]|, |v[234:235]|
	s_and_saveexec_b64 s[18:19], s[16:17]
	s_xor_b64 s[16:17], exec, s[18:19]
	s_cbranch_execz .LBB114_553
; %bb.552:
	v_div_scale_f64 v[152:153], s[18:19], v[234:235], v[234:235], v[232:233]
	v_rcp_f64_e32 v[154:155], v[152:153]
	v_div_scale_f64 v[156:157], vcc, v[232:233], v[234:235], v[232:233]
	v_fma_f64 v[158:159], -v[152:153], v[154:155], 1.0
	v_fmac_f64_e32 v[154:155], v[154:155], v[158:159]
	v_fma_f64 v[158:159], -v[152:153], v[154:155], 1.0
	v_fmac_f64_e32 v[154:155], v[154:155], v[158:159]
	v_mul_f64 v[158:159], v[156:157], v[154:155]
	v_fma_f64 v[152:153], -v[152:153], v[158:159], v[156:157]
	v_div_fmas_f64 v[152:153], v[152:153], v[154:155], v[158:159]
	v_div_fixup_f64 v[152:153], v[152:153], v[234:235], v[232:233]
	v_fmac_f64_e32 v[234:235], v[232:233], v[152:153]
	v_div_scale_f64 v[154:155], s[18:19], v[234:235], v[234:235], 1.0
	v_rcp_f64_e32 v[156:157], v[154:155]
	s_nop 0
	v_fma_f64 v[158:159], -v[154:155], v[156:157], 1.0
	v_fmac_f64_e32 v[156:157], v[156:157], v[158:159]
	v_fma_f64 v[158:159], -v[154:155], v[156:157], 1.0
	v_fmac_f64_e32 v[156:157], v[156:157], v[158:159]
	v_div_scale_f64 v[158:159], vcc, 1.0, v[234:235], 1.0
	v_mul_f64 v[220:221], v[158:159], v[156:157]
	v_fma_f64 v[154:155], -v[154:155], v[220:221], v[158:159]
	s_nop 1
	v_div_fmas_f64 v[154:155], v[154:155], v[156:157], v[220:221]
	v_div_fixup_f64 v[234:235], v[154:155], v[234:235], 1.0
	v_mul_f64 v[232:233], v[152:153], v[234:235]
	v_xor_b32_e32 v235, 0x80000000, v235
.LBB114_553:
	s_andn2_saveexec_b64 s[16:17], s[16:17]
	s_cbranch_execz .LBB114_555
; %bb.554:
	v_div_scale_f64 v[152:153], s[18:19], v[232:233], v[232:233], v[234:235]
	v_rcp_f64_e32 v[154:155], v[152:153]
	v_div_scale_f64 v[156:157], vcc, v[234:235], v[232:233], v[234:235]
	v_fma_f64 v[158:159], -v[152:153], v[154:155], 1.0
	v_fmac_f64_e32 v[154:155], v[154:155], v[158:159]
	v_fma_f64 v[158:159], -v[152:153], v[154:155], 1.0
	v_fmac_f64_e32 v[154:155], v[154:155], v[158:159]
	v_mul_f64 v[158:159], v[156:157], v[154:155]
	v_fma_f64 v[152:153], -v[152:153], v[158:159], v[156:157]
	v_div_fmas_f64 v[152:153], v[152:153], v[154:155], v[158:159]
	v_div_fixup_f64 v[152:153], v[152:153], v[232:233], v[234:235]
	v_fmac_f64_e32 v[232:233], v[234:235], v[152:153]
	v_div_scale_f64 v[154:155], s[18:19], v[232:233], v[232:233], 1.0
	v_rcp_f64_e32 v[156:157], v[154:155]
	s_nop 0
	v_fma_f64 v[158:159], -v[154:155], v[156:157], 1.0
	v_fmac_f64_e32 v[156:157], v[156:157], v[158:159]
	v_fma_f64 v[158:159], -v[154:155], v[156:157], 1.0
	v_fmac_f64_e32 v[156:157], v[156:157], v[158:159]
	v_div_scale_f64 v[158:159], vcc, 1.0, v[232:233], 1.0
	v_mul_f64 v[220:221], v[158:159], v[156:157]
	v_fma_f64 v[154:155], -v[154:155], v[220:221], v[158:159]
	s_nop 1
	v_div_fmas_f64 v[154:155], v[154:155], v[156:157], v[220:221]
	v_div_fixup_f64 v[232:233], v[154:155], v[232:233], 1.0
	v_mul_f64 v[234:235], v[152:153], -v[232:233]
.LBB114_555:
	s_or_b64 exec, exec, s[16:17]
.LBB114_556:
	s_or_b64 exec, exec, s[0:1]
	v_cmp_ne_u32_e32 vcc, v245, v242
	s_and_saveexec_b64 s[0:1], vcc
	s_xor_b64 s[0:1], exec, s[0:1]
	s_cbranch_execz .LBB114_562
; %bb.557:
	v_cmp_eq_u32_e32 vcc, 26, v245
	s_and_saveexec_b64 s[16:17], vcc
	s_cbranch_execz .LBB114_561
; %bb.558:
	v_cmp_ne_u32_e32 vcc, 26, v242
	s_xor_b64 s[18:19], s[14:15], -1
	s_and_b64 s[22:23], s[18:19], vcc
	s_and_saveexec_b64 s[18:19], s[22:23]
	s_cbranch_execz .LBB114_560
; %bb.559:
	v_ashrrev_i32_e32 v243, 31, v242
	v_lshl_add_u64 v[152:153], v[242:243], 2, v[4:5]
	global_load_dword v154, v[152:153], off
	global_load_dword v155, v[4:5], off offset:104
	s_waitcnt vmcnt(1)
	global_store_dword v[4:5], v154, off offset:104
	s_waitcnt vmcnt(1)
	global_store_dword v[152:153], v155, off
.LBB114_560:
	s_or_b64 exec, exec, s[18:19]
	v_mov_b32_e32 v245, v242
	v_mov_b32_e32 v236, v242
.LBB114_561:
	s_or_b64 exec, exec, s[16:17]
.LBB114_562:
	s_andn2_saveexec_b64 s[0:1], s[0:1]
	s_cbranch_execz .LBB114_564
; %bb.563:
	v_mov_b32_e32 v245, 26
	ds_write2_b64 v244, v[116:117], v[118:119] offset0:54 offset1:55
	ds_write2_b64 v244, v[112:113], v[114:115] offset0:56 offset1:57
	;; [unrolled: 1-line block ×31, first 2 shown]
.LBB114_564:
	s_or_b64 exec, exec, s[0:1]
	v_cmp_lt_i32_e32 vcc, 26, v245
	s_waitcnt lgkmcnt(0)
	s_barrier
	s_and_saveexec_b64 s[0:1], vcc
	s_cbranch_execz .LBB114_566
; %bb.565:
	ds_read2_b64 v[248:251], v244 offset0:54 offset1:55
	v_mul_f64 v[152:153], v[234:235], v[122:123]
	v_mul_f64 v[122:123], v[232:233], v[122:123]
	v_fma_f64 v[242:243], v[232:233], v[120:121], -v[152:153]
	v_fmac_f64_e32 v[122:123], v[234:235], v[120:121]
	ds_read2_b64 v[232:235], v244 offset0:56 offset1:57
	s_waitcnt lgkmcnt(1)
	v_mul_f64 v[120:121], v[250:251], v[122:123]
	v_mul_f64 v[152:153], v[248:249], v[122:123]
	v_fma_f64 v[120:121], v[248:249], v[242:243], -v[120:121]
	v_fmac_f64_e32 v[152:153], v[250:251], v[242:243]
	ds_read2_b64 v[248:251], v244 offset0:58 offset1:59
	v_add_f64 v[116:117], v[116:117], -v[120:121]
	v_add_f64 v[118:119], v[118:119], -v[152:153]
	s_waitcnt lgkmcnt(1)
	v_mul_f64 v[120:121], v[234:235], v[122:123]
	v_mul_f64 v[152:153], v[232:233], v[122:123]
	v_fma_f64 v[120:121], v[232:233], v[242:243], -v[120:121]
	v_fmac_f64_e32 v[152:153], v[234:235], v[242:243]
	ds_read2_b64 v[232:235], v244 offset0:60 offset1:61
	v_add_f64 v[112:113], v[112:113], -v[120:121]
	v_add_f64 v[114:115], v[114:115], -v[152:153]
	;; [unrolled: 8-line block ×29, first 2 shown]
	s_waitcnt lgkmcnt(1)
	v_mul_f64 v[120:121], v[234:235], v[122:123]
	v_mul_f64 v[152:153], v[232:233], v[122:123]
	v_fma_f64 v[120:121], v[232:233], v[242:243], -v[120:121]
	v_fmac_f64_e32 v[152:153], v[234:235], v[242:243]
	v_add_f64 v[0:1], v[0:1], -v[120:121]
	v_add_f64 v[2:3], v[2:3], -v[152:153]
	s_waitcnt lgkmcnt(0)
	v_mul_f64 v[120:121], v[250:251], v[122:123]
	v_mul_f64 v[152:153], v[248:249], v[122:123]
	v_fma_f64 v[120:121], v[248:249], v[242:243], -v[120:121]
	v_fmac_f64_e32 v[152:153], v[250:251], v[242:243]
	v_add_f64 v[228:229], v[228:229], -v[120:121]
	v_add_f64 v[230:231], v[230:231], -v[152:153]
	v_mov_b64_e32 v[120:121], v[242:243]
.LBB114_566:
	s_or_b64 exec, exec, s[0:1]
	v_lshl_add_u32 v152, v245, 4, v244
	s_barrier
	ds_write2_b64 v152, v[116:117], v[118:119] offset1:1
	s_waitcnt lgkmcnt(0)
	s_barrier
	ds_read2_b64 v[232:235], v244 offset0:54 offset1:55
	s_cmp_lt_i32 s20, 29
	v_mov_b32_e32 v242, 27
	s_cbranch_scc1 .LBB114_569
; %bb.567:
	v_add_u32_e32 v243, 0x1c0, v244
	s_mov_b32 s0, 28
	v_mov_b32_e32 v242, 27
.LBB114_568:                            ; =>This Inner Loop Header: Depth=1
	ds_read2_b64 v[248:251], v243 offset1:1
	s_waitcnt lgkmcnt(1)
	v_cmp_gt_f64_e32 vcc, 0, v[232:233]
	v_xor_b32_e32 v152, 0x80000000, v233
	v_xor_b32_e32 v154, 0x80000000, v235
	v_cndmask_b32_e32 v153, v233, v152, vcc
	v_cmp_gt_f64_e32 vcc, 0, v[234:235]
	v_mov_b32_e32 v152, v232
	s_waitcnt lgkmcnt(0)
	v_xor_b32_e32 v156, 0x80000000, v251
	v_cndmask_b32_e32 v155, v235, v154, vcc
	v_mov_b32_e32 v154, v234
	v_add_f64 v[152:153], v[152:153], v[154:155]
	v_cmp_gt_f64_e32 vcc, 0, v[248:249]
	v_xor_b32_e32 v154, 0x80000000, v249
	v_add_u32_e32 v243, 16, v243
	v_cndmask_b32_e32 v155, v249, v154, vcc
	v_cmp_gt_f64_e32 vcc, 0, v[250:251]
	v_mov_b32_e32 v154, v248
	s_nop 0
	v_cndmask_b32_e32 v157, v251, v156, vcc
	v_mov_b32_e32 v156, v250
	v_add_f64 v[154:155], v[154:155], v[156:157]
	v_cmp_lt_f64_e32 vcc, v[152:153], v[154:155]
	v_mov_b32_e32 v152, s0
	s_add_i32 s0, s0, 1
	v_cndmask_b32_e32 v233, v233, v249, vcc
	v_cndmask_b32_e32 v232, v232, v248, vcc
	;; [unrolled: 1-line block ×5, first 2 shown]
	s_cmp_lg_u32 s20, s0
	s_cbranch_scc1 .LBB114_568
.LBB114_569:
	s_waitcnt lgkmcnt(0)
	v_cmp_eq_f64_e32 vcc, 0, v[232:233]
	v_cmp_eq_f64_e64 s[0:1], 0, v[234:235]
	s_and_b64 s[0:1], vcc, s[0:1]
	s_and_saveexec_b64 s[16:17], s[0:1]
	s_xor_b64 s[0:1], exec, s[16:17]
; %bb.570:
	v_cmp_ne_u32_e32 vcc, 0, v246
	s_nop 1
	v_cndmask_b32_e32 v246, 28, v246, vcc
; %bb.571:
	s_andn2_saveexec_b64 s[0:1], s[0:1]
	s_cbranch_execz .LBB114_577
; %bb.572:
	v_cmp_ngt_f64_e64 s[16:17], |v[232:233]|, |v[234:235]|
	s_and_saveexec_b64 s[18:19], s[16:17]
	s_xor_b64 s[16:17], exec, s[18:19]
	s_cbranch_execz .LBB114_574
; %bb.573:
	v_div_scale_f64 v[152:153], s[18:19], v[234:235], v[234:235], v[232:233]
	v_rcp_f64_e32 v[154:155], v[152:153]
	v_div_scale_f64 v[156:157], vcc, v[232:233], v[234:235], v[232:233]
	v_fma_f64 v[158:159], -v[152:153], v[154:155], 1.0
	v_fmac_f64_e32 v[154:155], v[154:155], v[158:159]
	v_fma_f64 v[158:159], -v[152:153], v[154:155], 1.0
	v_fmac_f64_e32 v[154:155], v[154:155], v[158:159]
	v_mul_f64 v[158:159], v[156:157], v[154:155]
	v_fma_f64 v[152:153], -v[152:153], v[158:159], v[156:157]
	v_div_fmas_f64 v[152:153], v[152:153], v[154:155], v[158:159]
	v_div_fixup_f64 v[152:153], v[152:153], v[234:235], v[232:233]
	v_fmac_f64_e32 v[234:235], v[232:233], v[152:153]
	v_div_scale_f64 v[154:155], s[18:19], v[234:235], v[234:235], 1.0
	v_rcp_f64_e32 v[156:157], v[154:155]
	s_nop 0
	v_fma_f64 v[158:159], -v[154:155], v[156:157], 1.0
	v_fmac_f64_e32 v[156:157], v[156:157], v[158:159]
	v_fma_f64 v[158:159], -v[154:155], v[156:157], 1.0
	v_fmac_f64_e32 v[156:157], v[156:157], v[158:159]
	v_div_scale_f64 v[158:159], vcc, 1.0, v[234:235], 1.0
	v_mul_f64 v[220:221], v[158:159], v[156:157]
	v_fma_f64 v[154:155], -v[154:155], v[220:221], v[158:159]
	s_nop 1
	v_div_fmas_f64 v[154:155], v[154:155], v[156:157], v[220:221]
	v_div_fixup_f64 v[234:235], v[154:155], v[234:235], 1.0
	v_mul_f64 v[232:233], v[152:153], v[234:235]
	v_xor_b32_e32 v235, 0x80000000, v235
.LBB114_574:
	s_andn2_saveexec_b64 s[16:17], s[16:17]
	s_cbranch_execz .LBB114_576
; %bb.575:
	v_div_scale_f64 v[152:153], s[18:19], v[232:233], v[232:233], v[234:235]
	v_rcp_f64_e32 v[154:155], v[152:153]
	v_div_scale_f64 v[156:157], vcc, v[234:235], v[232:233], v[234:235]
	v_fma_f64 v[158:159], -v[152:153], v[154:155], 1.0
	v_fmac_f64_e32 v[154:155], v[154:155], v[158:159]
	v_fma_f64 v[158:159], -v[152:153], v[154:155], 1.0
	v_fmac_f64_e32 v[154:155], v[154:155], v[158:159]
	v_mul_f64 v[158:159], v[156:157], v[154:155]
	v_fma_f64 v[152:153], -v[152:153], v[158:159], v[156:157]
	v_div_fmas_f64 v[152:153], v[152:153], v[154:155], v[158:159]
	v_div_fixup_f64 v[152:153], v[152:153], v[232:233], v[234:235]
	v_fmac_f64_e32 v[232:233], v[234:235], v[152:153]
	v_div_scale_f64 v[154:155], s[18:19], v[232:233], v[232:233], 1.0
	v_rcp_f64_e32 v[156:157], v[154:155]
	s_nop 0
	v_fma_f64 v[158:159], -v[154:155], v[156:157], 1.0
	v_fmac_f64_e32 v[156:157], v[156:157], v[158:159]
	v_fma_f64 v[158:159], -v[154:155], v[156:157], 1.0
	v_fmac_f64_e32 v[156:157], v[156:157], v[158:159]
	v_div_scale_f64 v[158:159], vcc, 1.0, v[232:233], 1.0
	v_mul_f64 v[220:221], v[158:159], v[156:157]
	v_fma_f64 v[154:155], -v[154:155], v[220:221], v[158:159]
	s_nop 1
	v_div_fmas_f64 v[154:155], v[154:155], v[156:157], v[220:221]
	v_div_fixup_f64 v[232:233], v[154:155], v[232:233], 1.0
	v_mul_f64 v[234:235], v[152:153], -v[232:233]
.LBB114_576:
	s_or_b64 exec, exec, s[16:17]
.LBB114_577:
	s_or_b64 exec, exec, s[0:1]
	v_cmp_ne_u32_e32 vcc, v245, v242
	s_and_saveexec_b64 s[0:1], vcc
	s_xor_b64 s[0:1], exec, s[0:1]
	s_cbranch_execz .LBB114_583
; %bb.578:
	v_cmp_eq_u32_e32 vcc, 27, v245
	s_and_saveexec_b64 s[16:17], vcc
	s_cbranch_execz .LBB114_582
; %bb.579:
	v_cmp_ne_u32_e32 vcc, 27, v242
	s_xor_b64 s[18:19], s[14:15], -1
	s_and_b64 s[22:23], s[18:19], vcc
	s_and_saveexec_b64 s[18:19], s[22:23]
	s_cbranch_execz .LBB114_581
; %bb.580:
	v_ashrrev_i32_e32 v243, 31, v242
	v_lshl_add_u64 v[152:153], v[242:243], 2, v[4:5]
	global_load_dword v154, v[152:153], off
	global_load_dword v155, v[4:5], off offset:108
	s_waitcnt vmcnt(1)
	global_store_dword v[4:5], v154, off offset:108
	s_waitcnt vmcnt(1)
	global_store_dword v[152:153], v155, off
.LBB114_581:
	s_or_b64 exec, exec, s[18:19]
	v_mov_b32_e32 v245, v242
	v_mov_b32_e32 v236, v242
.LBB114_582:
	s_or_b64 exec, exec, s[16:17]
.LBB114_583:
	s_andn2_saveexec_b64 s[0:1], s[0:1]
	s_cbranch_execz .LBB114_585
; %bb.584:
	v_mov_b32_e32 v245, 27
	ds_write2_b64 v244, v[112:113], v[114:115] offset0:56 offset1:57
	ds_write2_b64 v244, v[108:109], v[110:111] offset0:58 offset1:59
	;; [unrolled: 1-line block ×30, first 2 shown]
.LBB114_585:
	s_or_b64 exec, exec, s[0:1]
	v_cmp_lt_i32_e32 vcc, 27, v245
	s_waitcnt lgkmcnt(0)
	s_barrier
	s_and_saveexec_b64 s[0:1], vcc
	s_cbranch_execz .LBB114_587
; %bb.586:
	ds_read2_b64 v[248:251], v244 offset0:56 offset1:57
	v_mul_f64 v[152:153], v[234:235], v[118:119]
	v_mul_f64 v[118:119], v[232:233], v[118:119]
	v_fma_f64 v[242:243], v[232:233], v[116:117], -v[152:153]
	v_fmac_f64_e32 v[118:119], v[234:235], v[116:117]
	ds_read2_b64 v[232:235], v244 offset0:58 offset1:59
	s_waitcnt lgkmcnt(1)
	v_mul_f64 v[116:117], v[250:251], v[118:119]
	v_mul_f64 v[152:153], v[248:249], v[118:119]
	v_fma_f64 v[116:117], v[248:249], v[242:243], -v[116:117]
	v_fmac_f64_e32 v[152:153], v[250:251], v[242:243]
	ds_read2_b64 v[248:251], v244 offset0:60 offset1:61
	v_add_f64 v[112:113], v[112:113], -v[116:117]
	v_add_f64 v[114:115], v[114:115], -v[152:153]
	s_waitcnt lgkmcnt(1)
	v_mul_f64 v[116:117], v[234:235], v[118:119]
	v_mul_f64 v[152:153], v[232:233], v[118:119]
	v_fma_f64 v[116:117], v[232:233], v[242:243], -v[116:117]
	v_fmac_f64_e32 v[152:153], v[234:235], v[242:243]
	ds_read2_b64 v[232:235], v244 offset0:62 offset1:63
	v_add_f64 v[108:109], v[108:109], -v[116:117]
	v_add_f64 v[110:111], v[110:111], -v[152:153]
	;; [unrolled: 8-line block ×28, first 2 shown]
	s_waitcnt lgkmcnt(1)
	v_mul_f64 v[116:117], v[250:251], v[118:119]
	v_mul_f64 v[152:153], v[248:249], v[118:119]
	v_fma_f64 v[116:117], v[248:249], v[242:243], -v[116:117]
	v_fmac_f64_e32 v[152:153], v[250:251], v[242:243]
	v_add_f64 v[0:1], v[0:1], -v[116:117]
	v_add_f64 v[2:3], v[2:3], -v[152:153]
	s_waitcnt lgkmcnt(0)
	v_mul_f64 v[116:117], v[234:235], v[118:119]
	v_mul_f64 v[152:153], v[232:233], v[118:119]
	v_fma_f64 v[116:117], v[232:233], v[242:243], -v[116:117]
	v_fmac_f64_e32 v[152:153], v[234:235], v[242:243]
	v_add_f64 v[228:229], v[228:229], -v[116:117]
	v_add_f64 v[230:231], v[230:231], -v[152:153]
	v_mov_b64_e32 v[116:117], v[242:243]
.LBB114_587:
	s_or_b64 exec, exec, s[0:1]
	v_lshl_add_u32 v152, v245, 4, v244
	s_barrier
	ds_write2_b64 v152, v[112:113], v[114:115] offset1:1
	s_waitcnt lgkmcnt(0)
	s_barrier
	ds_read2_b64 v[232:235], v244 offset0:56 offset1:57
	s_cmp_lt_i32 s20, 30
	v_mov_b32_e32 v242, 28
	s_cbranch_scc1 .LBB114_590
; %bb.588:
	v_add_u32_e32 v243, 0x1d0, v244
	s_mov_b32 s0, 29
	v_mov_b32_e32 v242, 28
.LBB114_589:                            ; =>This Inner Loop Header: Depth=1
	ds_read2_b64 v[248:251], v243 offset1:1
	s_waitcnt lgkmcnt(1)
	v_cmp_gt_f64_e32 vcc, 0, v[232:233]
	v_xor_b32_e32 v152, 0x80000000, v233
	v_xor_b32_e32 v154, 0x80000000, v235
	v_cndmask_b32_e32 v153, v233, v152, vcc
	v_cmp_gt_f64_e32 vcc, 0, v[234:235]
	v_mov_b32_e32 v152, v232
	s_waitcnt lgkmcnt(0)
	v_xor_b32_e32 v156, 0x80000000, v251
	v_cndmask_b32_e32 v155, v235, v154, vcc
	v_mov_b32_e32 v154, v234
	v_add_f64 v[152:153], v[152:153], v[154:155]
	v_cmp_gt_f64_e32 vcc, 0, v[248:249]
	v_xor_b32_e32 v154, 0x80000000, v249
	v_add_u32_e32 v243, 16, v243
	v_cndmask_b32_e32 v155, v249, v154, vcc
	v_cmp_gt_f64_e32 vcc, 0, v[250:251]
	v_mov_b32_e32 v154, v248
	s_nop 0
	v_cndmask_b32_e32 v157, v251, v156, vcc
	v_mov_b32_e32 v156, v250
	v_add_f64 v[154:155], v[154:155], v[156:157]
	v_cmp_lt_f64_e32 vcc, v[152:153], v[154:155]
	v_mov_b32_e32 v152, s0
	s_add_i32 s0, s0, 1
	v_cndmask_b32_e32 v233, v233, v249, vcc
	v_cndmask_b32_e32 v232, v232, v248, vcc
	;; [unrolled: 1-line block ×5, first 2 shown]
	s_cmp_lg_u32 s20, s0
	s_cbranch_scc1 .LBB114_589
.LBB114_590:
	s_waitcnt lgkmcnt(0)
	v_cmp_eq_f64_e32 vcc, 0, v[232:233]
	v_cmp_eq_f64_e64 s[0:1], 0, v[234:235]
	s_and_b64 s[0:1], vcc, s[0:1]
	s_and_saveexec_b64 s[16:17], s[0:1]
	s_xor_b64 s[0:1], exec, s[16:17]
; %bb.591:
	v_cmp_ne_u32_e32 vcc, 0, v246
	s_nop 1
	v_cndmask_b32_e32 v246, 29, v246, vcc
; %bb.592:
	s_andn2_saveexec_b64 s[0:1], s[0:1]
	s_cbranch_execz .LBB114_598
; %bb.593:
	v_cmp_ngt_f64_e64 s[16:17], |v[232:233]|, |v[234:235]|
	s_and_saveexec_b64 s[18:19], s[16:17]
	s_xor_b64 s[16:17], exec, s[18:19]
	s_cbranch_execz .LBB114_595
; %bb.594:
	v_div_scale_f64 v[152:153], s[18:19], v[234:235], v[234:235], v[232:233]
	v_rcp_f64_e32 v[154:155], v[152:153]
	v_div_scale_f64 v[156:157], vcc, v[232:233], v[234:235], v[232:233]
	v_fma_f64 v[158:159], -v[152:153], v[154:155], 1.0
	v_fmac_f64_e32 v[154:155], v[154:155], v[158:159]
	v_fma_f64 v[158:159], -v[152:153], v[154:155], 1.0
	v_fmac_f64_e32 v[154:155], v[154:155], v[158:159]
	v_mul_f64 v[158:159], v[156:157], v[154:155]
	v_fma_f64 v[152:153], -v[152:153], v[158:159], v[156:157]
	v_div_fmas_f64 v[152:153], v[152:153], v[154:155], v[158:159]
	v_div_fixup_f64 v[152:153], v[152:153], v[234:235], v[232:233]
	v_fmac_f64_e32 v[234:235], v[232:233], v[152:153]
	v_div_scale_f64 v[154:155], s[18:19], v[234:235], v[234:235], 1.0
	v_rcp_f64_e32 v[156:157], v[154:155]
	s_nop 0
	v_fma_f64 v[158:159], -v[154:155], v[156:157], 1.0
	v_fmac_f64_e32 v[156:157], v[156:157], v[158:159]
	v_fma_f64 v[158:159], -v[154:155], v[156:157], 1.0
	v_fmac_f64_e32 v[156:157], v[156:157], v[158:159]
	v_div_scale_f64 v[158:159], vcc, 1.0, v[234:235], 1.0
	v_mul_f64 v[220:221], v[158:159], v[156:157]
	v_fma_f64 v[154:155], -v[154:155], v[220:221], v[158:159]
	s_nop 1
	v_div_fmas_f64 v[154:155], v[154:155], v[156:157], v[220:221]
	v_div_fixup_f64 v[234:235], v[154:155], v[234:235], 1.0
	v_mul_f64 v[232:233], v[152:153], v[234:235]
	v_xor_b32_e32 v235, 0x80000000, v235
.LBB114_595:
	s_andn2_saveexec_b64 s[16:17], s[16:17]
	s_cbranch_execz .LBB114_597
; %bb.596:
	v_div_scale_f64 v[152:153], s[18:19], v[232:233], v[232:233], v[234:235]
	v_rcp_f64_e32 v[154:155], v[152:153]
	v_div_scale_f64 v[156:157], vcc, v[234:235], v[232:233], v[234:235]
	v_fma_f64 v[158:159], -v[152:153], v[154:155], 1.0
	v_fmac_f64_e32 v[154:155], v[154:155], v[158:159]
	v_fma_f64 v[158:159], -v[152:153], v[154:155], 1.0
	v_fmac_f64_e32 v[154:155], v[154:155], v[158:159]
	v_mul_f64 v[158:159], v[156:157], v[154:155]
	v_fma_f64 v[152:153], -v[152:153], v[158:159], v[156:157]
	v_div_fmas_f64 v[152:153], v[152:153], v[154:155], v[158:159]
	v_div_fixup_f64 v[152:153], v[152:153], v[232:233], v[234:235]
	v_fmac_f64_e32 v[232:233], v[234:235], v[152:153]
	v_div_scale_f64 v[154:155], s[18:19], v[232:233], v[232:233], 1.0
	v_rcp_f64_e32 v[156:157], v[154:155]
	s_nop 0
	v_fma_f64 v[158:159], -v[154:155], v[156:157], 1.0
	v_fmac_f64_e32 v[156:157], v[156:157], v[158:159]
	v_fma_f64 v[158:159], -v[154:155], v[156:157], 1.0
	v_fmac_f64_e32 v[156:157], v[156:157], v[158:159]
	v_div_scale_f64 v[158:159], vcc, 1.0, v[232:233], 1.0
	v_mul_f64 v[220:221], v[158:159], v[156:157]
	v_fma_f64 v[154:155], -v[154:155], v[220:221], v[158:159]
	s_nop 1
	v_div_fmas_f64 v[154:155], v[154:155], v[156:157], v[220:221]
	v_div_fixup_f64 v[232:233], v[154:155], v[232:233], 1.0
	v_mul_f64 v[234:235], v[152:153], -v[232:233]
.LBB114_597:
	s_or_b64 exec, exec, s[16:17]
.LBB114_598:
	s_or_b64 exec, exec, s[0:1]
	v_cmp_ne_u32_e32 vcc, v245, v242
	s_and_saveexec_b64 s[0:1], vcc
	s_xor_b64 s[0:1], exec, s[0:1]
	s_cbranch_execz .LBB114_604
; %bb.599:
	v_cmp_eq_u32_e32 vcc, 28, v245
	s_and_saveexec_b64 s[16:17], vcc
	s_cbranch_execz .LBB114_603
; %bb.600:
	v_cmp_ne_u32_e32 vcc, 28, v242
	s_xor_b64 s[18:19], s[14:15], -1
	s_and_b64 s[22:23], s[18:19], vcc
	s_and_saveexec_b64 s[18:19], s[22:23]
	s_cbranch_execz .LBB114_602
; %bb.601:
	v_ashrrev_i32_e32 v243, 31, v242
	v_lshl_add_u64 v[152:153], v[242:243], 2, v[4:5]
	global_load_dword v154, v[152:153], off
	global_load_dword v155, v[4:5], off offset:112
	s_waitcnt vmcnt(1)
	global_store_dword v[4:5], v154, off offset:112
	s_waitcnt vmcnt(1)
	global_store_dword v[152:153], v155, off
.LBB114_602:
	s_or_b64 exec, exec, s[18:19]
	v_mov_b32_e32 v245, v242
	v_mov_b32_e32 v236, v242
.LBB114_603:
	s_or_b64 exec, exec, s[16:17]
.LBB114_604:
	s_andn2_saveexec_b64 s[0:1], s[0:1]
	s_cbranch_execz .LBB114_606
; %bb.605:
	v_mov_b32_e32 v245, 28
	ds_write2_b64 v244, v[108:109], v[110:111] offset0:58 offset1:59
	ds_write2_b64 v244, v[104:105], v[106:107] offset0:60 offset1:61
	;; [unrolled: 1-line block ×29, first 2 shown]
.LBB114_606:
	s_or_b64 exec, exec, s[0:1]
	v_cmp_lt_i32_e32 vcc, 28, v245
	s_waitcnt lgkmcnt(0)
	s_barrier
	s_and_saveexec_b64 s[0:1], vcc
	s_cbranch_execz .LBB114_608
; %bb.607:
	ds_read2_b64 v[248:251], v244 offset0:58 offset1:59
	v_mul_f64 v[152:153], v[234:235], v[114:115]
	v_mul_f64 v[114:115], v[232:233], v[114:115]
	v_fma_f64 v[242:243], v[232:233], v[112:113], -v[152:153]
	v_fmac_f64_e32 v[114:115], v[234:235], v[112:113]
	ds_read2_b64 v[232:235], v244 offset0:60 offset1:61
	s_waitcnt lgkmcnt(1)
	v_mul_f64 v[112:113], v[250:251], v[114:115]
	v_mul_f64 v[152:153], v[248:249], v[114:115]
	v_fma_f64 v[112:113], v[248:249], v[242:243], -v[112:113]
	v_fmac_f64_e32 v[152:153], v[250:251], v[242:243]
	ds_read2_b64 v[248:251], v244 offset0:62 offset1:63
	v_add_f64 v[108:109], v[108:109], -v[112:113]
	v_add_f64 v[110:111], v[110:111], -v[152:153]
	s_waitcnt lgkmcnt(1)
	v_mul_f64 v[112:113], v[234:235], v[114:115]
	v_mul_f64 v[152:153], v[232:233], v[114:115]
	v_fma_f64 v[112:113], v[232:233], v[242:243], -v[112:113]
	v_fmac_f64_e32 v[152:153], v[234:235], v[242:243]
	ds_read2_b64 v[232:235], v244 offset0:64 offset1:65
	v_add_f64 v[104:105], v[104:105], -v[112:113]
	v_add_f64 v[106:107], v[106:107], -v[152:153]
	;; [unrolled: 8-line block ×27, first 2 shown]
	s_waitcnt lgkmcnt(1)
	v_mul_f64 v[112:113], v[234:235], v[114:115]
	v_mul_f64 v[152:153], v[232:233], v[114:115]
	v_fma_f64 v[112:113], v[232:233], v[242:243], -v[112:113]
	v_fmac_f64_e32 v[152:153], v[234:235], v[242:243]
	v_add_f64 v[0:1], v[0:1], -v[112:113]
	v_add_f64 v[2:3], v[2:3], -v[152:153]
	s_waitcnt lgkmcnt(0)
	v_mul_f64 v[112:113], v[250:251], v[114:115]
	v_mul_f64 v[152:153], v[248:249], v[114:115]
	v_fma_f64 v[112:113], v[248:249], v[242:243], -v[112:113]
	v_fmac_f64_e32 v[152:153], v[250:251], v[242:243]
	v_add_f64 v[228:229], v[228:229], -v[112:113]
	v_add_f64 v[230:231], v[230:231], -v[152:153]
	v_mov_b64_e32 v[112:113], v[242:243]
.LBB114_608:
	s_or_b64 exec, exec, s[0:1]
	v_lshl_add_u32 v152, v245, 4, v244
	s_barrier
	ds_write2_b64 v152, v[108:109], v[110:111] offset1:1
	s_waitcnt lgkmcnt(0)
	s_barrier
	ds_read2_b64 v[232:235], v244 offset0:58 offset1:59
	s_cmp_lt_i32 s20, 31
	v_mov_b32_e32 v242, 29
	s_cbranch_scc1 .LBB114_611
; %bb.609:
	v_add_u32_e32 v243, 0x1e0, v244
	s_mov_b32 s0, 30
	v_mov_b32_e32 v242, 29
.LBB114_610:                            ; =>This Inner Loop Header: Depth=1
	ds_read2_b64 v[248:251], v243 offset1:1
	s_waitcnt lgkmcnt(1)
	v_cmp_gt_f64_e32 vcc, 0, v[232:233]
	v_xor_b32_e32 v152, 0x80000000, v233
	v_xor_b32_e32 v154, 0x80000000, v235
	v_cndmask_b32_e32 v153, v233, v152, vcc
	v_cmp_gt_f64_e32 vcc, 0, v[234:235]
	v_mov_b32_e32 v152, v232
	s_waitcnt lgkmcnt(0)
	v_xor_b32_e32 v156, 0x80000000, v251
	v_cndmask_b32_e32 v155, v235, v154, vcc
	v_mov_b32_e32 v154, v234
	v_add_f64 v[152:153], v[152:153], v[154:155]
	v_cmp_gt_f64_e32 vcc, 0, v[248:249]
	v_xor_b32_e32 v154, 0x80000000, v249
	v_add_u32_e32 v243, 16, v243
	v_cndmask_b32_e32 v155, v249, v154, vcc
	v_cmp_gt_f64_e32 vcc, 0, v[250:251]
	v_mov_b32_e32 v154, v248
	s_nop 0
	v_cndmask_b32_e32 v157, v251, v156, vcc
	v_mov_b32_e32 v156, v250
	v_add_f64 v[154:155], v[154:155], v[156:157]
	v_cmp_lt_f64_e32 vcc, v[152:153], v[154:155]
	v_mov_b32_e32 v152, s0
	s_add_i32 s0, s0, 1
	v_cndmask_b32_e32 v233, v233, v249, vcc
	v_cndmask_b32_e32 v232, v232, v248, vcc
	v_cndmask_b32_e32 v235, v235, v251, vcc
	v_cndmask_b32_e32 v234, v234, v250, vcc
	v_cndmask_b32_e32 v242, v242, v152, vcc
	s_cmp_lg_u32 s20, s0
	s_cbranch_scc1 .LBB114_610
.LBB114_611:
	s_waitcnt lgkmcnt(0)
	v_cmp_eq_f64_e32 vcc, 0, v[232:233]
	v_cmp_eq_f64_e64 s[0:1], 0, v[234:235]
	s_and_b64 s[0:1], vcc, s[0:1]
	s_and_saveexec_b64 s[16:17], s[0:1]
	s_xor_b64 s[0:1], exec, s[16:17]
; %bb.612:
	v_cmp_ne_u32_e32 vcc, 0, v246
	s_nop 1
	v_cndmask_b32_e32 v246, 30, v246, vcc
; %bb.613:
	s_andn2_saveexec_b64 s[0:1], s[0:1]
	s_cbranch_execz .LBB114_619
; %bb.614:
	v_cmp_ngt_f64_e64 s[16:17], |v[232:233]|, |v[234:235]|
	s_and_saveexec_b64 s[18:19], s[16:17]
	s_xor_b64 s[16:17], exec, s[18:19]
	s_cbranch_execz .LBB114_616
; %bb.615:
	v_div_scale_f64 v[152:153], s[18:19], v[234:235], v[234:235], v[232:233]
	v_rcp_f64_e32 v[154:155], v[152:153]
	v_div_scale_f64 v[156:157], vcc, v[232:233], v[234:235], v[232:233]
	v_fma_f64 v[158:159], -v[152:153], v[154:155], 1.0
	v_fmac_f64_e32 v[154:155], v[154:155], v[158:159]
	v_fma_f64 v[158:159], -v[152:153], v[154:155], 1.0
	v_fmac_f64_e32 v[154:155], v[154:155], v[158:159]
	v_mul_f64 v[158:159], v[156:157], v[154:155]
	v_fma_f64 v[152:153], -v[152:153], v[158:159], v[156:157]
	v_div_fmas_f64 v[152:153], v[152:153], v[154:155], v[158:159]
	v_div_fixup_f64 v[152:153], v[152:153], v[234:235], v[232:233]
	v_fmac_f64_e32 v[234:235], v[232:233], v[152:153]
	v_div_scale_f64 v[154:155], s[18:19], v[234:235], v[234:235], 1.0
	v_rcp_f64_e32 v[156:157], v[154:155]
	s_nop 0
	v_fma_f64 v[158:159], -v[154:155], v[156:157], 1.0
	v_fmac_f64_e32 v[156:157], v[156:157], v[158:159]
	v_fma_f64 v[158:159], -v[154:155], v[156:157], 1.0
	v_fmac_f64_e32 v[156:157], v[156:157], v[158:159]
	v_div_scale_f64 v[158:159], vcc, 1.0, v[234:235], 1.0
	v_mul_f64 v[220:221], v[158:159], v[156:157]
	v_fma_f64 v[154:155], -v[154:155], v[220:221], v[158:159]
	s_nop 1
	v_div_fmas_f64 v[154:155], v[154:155], v[156:157], v[220:221]
	v_div_fixup_f64 v[234:235], v[154:155], v[234:235], 1.0
	v_mul_f64 v[232:233], v[152:153], v[234:235]
	v_xor_b32_e32 v235, 0x80000000, v235
.LBB114_616:
	s_andn2_saveexec_b64 s[16:17], s[16:17]
	s_cbranch_execz .LBB114_618
; %bb.617:
	v_div_scale_f64 v[152:153], s[18:19], v[232:233], v[232:233], v[234:235]
	v_rcp_f64_e32 v[154:155], v[152:153]
	v_div_scale_f64 v[156:157], vcc, v[234:235], v[232:233], v[234:235]
	v_fma_f64 v[158:159], -v[152:153], v[154:155], 1.0
	v_fmac_f64_e32 v[154:155], v[154:155], v[158:159]
	v_fma_f64 v[158:159], -v[152:153], v[154:155], 1.0
	v_fmac_f64_e32 v[154:155], v[154:155], v[158:159]
	v_mul_f64 v[158:159], v[156:157], v[154:155]
	v_fma_f64 v[152:153], -v[152:153], v[158:159], v[156:157]
	v_div_fmas_f64 v[152:153], v[152:153], v[154:155], v[158:159]
	v_div_fixup_f64 v[152:153], v[152:153], v[232:233], v[234:235]
	v_fmac_f64_e32 v[232:233], v[234:235], v[152:153]
	v_div_scale_f64 v[154:155], s[18:19], v[232:233], v[232:233], 1.0
	v_rcp_f64_e32 v[156:157], v[154:155]
	s_nop 0
	v_fma_f64 v[158:159], -v[154:155], v[156:157], 1.0
	v_fmac_f64_e32 v[156:157], v[156:157], v[158:159]
	v_fma_f64 v[158:159], -v[154:155], v[156:157], 1.0
	v_fmac_f64_e32 v[156:157], v[156:157], v[158:159]
	v_div_scale_f64 v[158:159], vcc, 1.0, v[232:233], 1.0
	v_mul_f64 v[220:221], v[158:159], v[156:157]
	v_fma_f64 v[154:155], -v[154:155], v[220:221], v[158:159]
	s_nop 1
	v_div_fmas_f64 v[154:155], v[154:155], v[156:157], v[220:221]
	v_div_fixup_f64 v[232:233], v[154:155], v[232:233], 1.0
	v_mul_f64 v[234:235], v[152:153], -v[232:233]
.LBB114_618:
	s_or_b64 exec, exec, s[16:17]
.LBB114_619:
	s_or_b64 exec, exec, s[0:1]
	v_cmp_ne_u32_e32 vcc, v245, v242
	s_and_saveexec_b64 s[0:1], vcc
	s_xor_b64 s[0:1], exec, s[0:1]
	s_cbranch_execz .LBB114_625
; %bb.620:
	v_cmp_eq_u32_e32 vcc, 29, v245
	s_and_saveexec_b64 s[16:17], vcc
	s_cbranch_execz .LBB114_624
; %bb.621:
	v_cmp_ne_u32_e32 vcc, 29, v242
	s_xor_b64 s[18:19], s[14:15], -1
	s_and_b64 s[22:23], s[18:19], vcc
	s_and_saveexec_b64 s[18:19], s[22:23]
	s_cbranch_execz .LBB114_623
; %bb.622:
	v_ashrrev_i32_e32 v243, 31, v242
	v_lshl_add_u64 v[152:153], v[242:243], 2, v[4:5]
	global_load_dword v154, v[152:153], off
	global_load_dword v155, v[4:5], off offset:116
	s_waitcnt vmcnt(1)
	global_store_dword v[4:5], v154, off offset:116
	s_waitcnt vmcnt(1)
	global_store_dword v[152:153], v155, off
.LBB114_623:
	s_or_b64 exec, exec, s[18:19]
	v_mov_b32_e32 v245, v242
	v_mov_b32_e32 v236, v242
.LBB114_624:
	s_or_b64 exec, exec, s[16:17]
.LBB114_625:
	s_andn2_saveexec_b64 s[0:1], s[0:1]
	s_cbranch_execz .LBB114_627
; %bb.626:
	v_mov_b32_e32 v245, 29
	ds_write2_b64 v244, v[104:105], v[106:107] offset0:60 offset1:61
	ds_write2_b64 v244, v[100:101], v[102:103] offset0:62 offset1:63
	;; [unrolled: 1-line block ×28, first 2 shown]
.LBB114_627:
	s_or_b64 exec, exec, s[0:1]
	v_cmp_lt_i32_e32 vcc, 29, v245
	s_waitcnt lgkmcnt(0)
	s_barrier
	s_and_saveexec_b64 s[0:1], vcc
	s_cbranch_execz .LBB114_629
; %bb.628:
	ds_read2_b64 v[248:251], v244 offset0:60 offset1:61
	v_mul_f64 v[152:153], v[234:235], v[110:111]
	v_mul_f64 v[110:111], v[232:233], v[110:111]
	v_fma_f64 v[242:243], v[232:233], v[108:109], -v[152:153]
	v_fmac_f64_e32 v[110:111], v[234:235], v[108:109]
	ds_read2_b64 v[232:235], v244 offset0:62 offset1:63
	s_waitcnt lgkmcnt(1)
	v_mul_f64 v[108:109], v[250:251], v[110:111]
	v_mul_f64 v[152:153], v[248:249], v[110:111]
	v_fma_f64 v[108:109], v[248:249], v[242:243], -v[108:109]
	v_fmac_f64_e32 v[152:153], v[250:251], v[242:243]
	ds_read2_b64 v[248:251], v244 offset0:64 offset1:65
	v_add_f64 v[104:105], v[104:105], -v[108:109]
	v_add_f64 v[106:107], v[106:107], -v[152:153]
	s_waitcnt lgkmcnt(1)
	v_mul_f64 v[108:109], v[234:235], v[110:111]
	v_mul_f64 v[152:153], v[232:233], v[110:111]
	v_fma_f64 v[108:109], v[232:233], v[242:243], -v[108:109]
	v_fmac_f64_e32 v[152:153], v[234:235], v[242:243]
	ds_read2_b64 v[232:235], v244 offset0:66 offset1:67
	v_add_f64 v[100:101], v[100:101], -v[108:109]
	v_add_f64 v[102:103], v[102:103], -v[152:153]
	;; [unrolled: 8-line block ×26, first 2 shown]
	s_waitcnt lgkmcnt(1)
	v_mul_f64 v[108:109], v[250:251], v[110:111]
	v_mul_f64 v[152:153], v[248:249], v[110:111]
	v_fma_f64 v[108:109], v[248:249], v[242:243], -v[108:109]
	v_fmac_f64_e32 v[152:153], v[250:251], v[242:243]
	v_add_f64 v[0:1], v[0:1], -v[108:109]
	v_add_f64 v[2:3], v[2:3], -v[152:153]
	s_waitcnt lgkmcnt(0)
	v_mul_f64 v[108:109], v[234:235], v[110:111]
	v_mul_f64 v[152:153], v[232:233], v[110:111]
	v_fma_f64 v[108:109], v[232:233], v[242:243], -v[108:109]
	v_fmac_f64_e32 v[152:153], v[234:235], v[242:243]
	v_add_f64 v[228:229], v[228:229], -v[108:109]
	v_add_f64 v[230:231], v[230:231], -v[152:153]
	v_mov_b64_e32 v[108:109], v[242:243]
.LBB114_629:
	s_or_b64 exec, exec, s[0:1]
	v_lshl_add_u32 v152, v245, 4, v244
	s_barrier
	ds_write2_b64 v152, v[104:105], v[106:107] offset1:1
	s_waitcnt lgkmcnt(0)
	s_barrier
	ds_read2_b64 v[232:235], v244 offset0:60 offset1:61
	s_cmp_lt_i32 s20, 32
	v_mov_b32_e32 v242, 30
	s_cbranch_scc1 .LBB114_632
; %bb.630:
	v_add_u32_e32 v243, 0x1f0, v244
	s_mov_b32 s0, 31
	v_mov_b32_e32 v242, 30
.LBB114_631:                            ; =>This Inner Loop Header: Depth=1
	ds_read2_b64 v[248:251], v243 offset1:1
	s_waitcnt lgkmcnt(1)
	v_cmp_gt_f64_e32 vcc, 0, v[232:233]
	v_xor_b32_e32 v152, 0x80000000, v233
	v_xor_b32_e32 v154, 0x80000000, v235
	v_cndmask_b32_e32 v153, v233, v152, vcc
	v_cmp_gt_f64_e32 vcc, 0, v[234:235]
	v_mov_b32_e32 v152, v232
	s_waitcnt lgkmcnt(0)
	v_xor_b32_e32 v156, 0x80000000, v251
	v_cndmask_b32_e32 v155, v235, v154, vcc
	v_mov_b32_e32 v154, v234
	v_add_f64 v[152:153], v[152:153], v[154:155]
	v_cmp_gt_f64_e32 vcc, 0, v[248:249]
	v_xor_b32_e32 v154, 0x80000000, v249
	v_add_u32_e32 v243, 16, v243
	v_cndmask_b32_e32 v155, v249, v154, vcc
	v_cmp_gt_f64_e32 vcc, 0, v[250:251]
	v_mov_b32_e32 v154, v248
	s_nop 0
	v_cndmask_b32_e32 v157, v251, v156, vcc
	v_mov_b32_e32 v156, v250
	v_add_f64 v[154:155], v[154:155], v[156:157]
	v_cmp_lt_f64_e32 vcc, v[152:153], v[154:155]
	v_mov_b32_e32 v152, s0
	s_add_i32 s0, s0, 1
	v_cndmask_b32_e32 v233, v233, v249, vcc
	v_cndmask_b32_e32 v232, v232, v248, vcc
	;; [unrolled: 1-line block ×5, first 2 shown]
	s_cmp_lg_u32 s20, s0
	s_cbranch_scc1 .LBB114_631
.LBB114_632:
	s_waitcnt lgkmcnt(0)
	v_cmp_eq_f64_e32 vcc, 0, v[232:233]
	v_cmp_eq_f64_e64 s[0:1], 0, v[234:235]
	s_and_b64 s[0:1], vcc, s[0:1]
	s_and_saveexec_b64 s[16:17], s[0:1]
	s_xor_b64 s[0:1], exec, s[16:17]
; %bb.633:
	v_cmp_ne_u32_e32 vcc, 0, v246
	s_nop 1
	v_cndmask_b32_e32 v246, 31, v246, vcc
; %bb.634:
	s_andn2_saveexec_b64 s[0:1], s[0:1]
	s_cbranch_execz .LBB114_640
; %bb.635:
	v_cmp_ngt_f64_e64 s[16:17], |v[232:233]|, |v[234:235]|
	s_and_saveexec_b64 s[18:19], s[16:17]
	s_xor_b64 s[16:17], exec, s[18:19]
	s_cbranch_execz .LBB114_637
; %bb.636:
	v_div_scale_f64 v[152:153], s[18:19], v[234:235], v[234:235], v[232:233]
	v_rcp_f64_e32 v[154:155], v[152:153]
	v_div_scale_f64 v[156:157], vcc, v[232:233], v[234:235], v[232:233]
	v_fma_f64 v[158:159], -v[152:153], v[154:155], 1.0
	v_fmac_f64_e32 v[154:155], v[154:155], v[158:159]
	v_fma_f64 v[158:159], -v[152:153], v[154:155], 1.0
	v_fmac_f64_e32 v[154:155], v[154:155], v[158:159]
	v_mul_f64 v[158:159], v[156:157], v[154:155]
	v_fma_f64 v[152:153], -v[152:153], v[158:159], v[156:157]
	v_div_fmas_f64 v[152:153], v[152:153], v[154:155], v[158:159]
	v_div_fixup_f64 v[152:153], v[152:153], v[234:235], v[232:233]
	v_fmac_f64_e32 v[234:235], v[232:233], v[152:153]
	v_div_scale_f64 v[154:155], s[18:19], v[234:235], v[234:235], 1.0
	v_rcp_f64_e32 v[156:157], v[154:155]
	s_nop 0
	v_fma_f64 v[158:159], -v[154:155], v[156:157], 1.0
	v_fmac_f64_e32 v[156:157], v[156:157], v[158:159]
	v_fma_f64 v[158:159], -v[154:155], v[156:157], 1.0
	v_fmac_f64_e32 v[156:157], v[156:157], v[158:159]
	v_div_scale_f64 v[158:159], vcc, 1.0, v[234:235], 1.0
	v_mul_f64 v[220:221], v[158:159], v[156:157]
	v_fma_f64 v[154:155], -v[154:155], v[220:221], v[158:159]
	s_nop 1
	v_div_fmas_f64 v[154:155], v[154:155], v[156:157], v[220:221]
	v_div_fixup_f64 v[234:235], v[154:155], v[234:235], 1.0
	v_mul_f64 v[232:233], v[152:153], v[234:235]
	v_xor_b32_e32 v235, 0x80000000, v235
.LBB114_637:
	s_andn2_saveexec_b64 s[16:17], s[16:17]
	s_cbranch_execz .LBB114_639
; %bb.638:
	v_div_scale_f64 v[152:153], s[18:19], v[232:233], v[232:233], v[234:235]
	v_rcp_f64_e32 v[154:155], v[152:153]
	v_div_scale_f64 v[156:157], vcc, v[234:235], v[232:233], v[234:235]
	v_fma_f64 v[158:159], -v[152:153], v[154:155], 1.0
	v_fmac_f64_e32 v[154:155], v[154:155], v[158:159]
	v_fma_f64 v[158:159], -v[152:153], v[154:155], 1.0
	v_fmac_f64_e32 v[154:155], v[154:155], v[158:159]
	v_mul_f64 v[158:159], v[156:157], v[154:155]
	v_fma_f64 v[152:153], -v[152:153], v[158:159], v[156:157]
	v_div_fmas_f64 v[152:153], v[152:153], v[154:155], v[158:159]
	v_div_fixup_f64 v[152:153], v[152:153], v[232:233], v[234:235]
	v_fmac_f64_e32 v[232:233], v[234:235], v[152:153]
	v_div_scale_f64 v[154:155], s[18:19], v[232:233], v[232:233], 1.0
	v_rcp_f64_e32 v[156:157], v[154:155]
	s_nop 0
	v_fma_f64 v[158:159], -v[154:155], v[156:157], 1.0
	v_fmac_f64_e32 v[156:157], v[156:157], v[158:159]
	v_fma_f64 v[158:159], -v[154:155], v[156:157], 1.0
	v_fmac_f64_e32 v[156:157], v[156:157], v[158:159]
	v_div_scale_f64 v[158:159], vcc, 1.0, v[232:233], 1.0
	v_mul_f64 v[220:221], v[158:159], v[156:157]
	v_fma_f64 v[154:155], -v[154:155], v[220:221], v[158:159]
	s_nop 1
	v_div_fmas_f64 v[154:155], v[154:155], v[156:157], v[220:221]
	v_div_fixup_f64 v[232:233], v[154:155], v[232:233], 1.0
	v_mul_f64 v[234:235], v[152:153], -v[232:233]
.LBB114_639:
	s_or_b64 exec, exec, s[16:17]
.LBB114_640:
	s_or_b64 exec, exec, s[0:1]
	v_cmp_ne_u32_e32 vcc, v245, v242
	s_and_saveexec_b64 s[0:1], vcc
	s_xor_b64 s[0:1], exec, s[0:1]
	s_cbranch_execz .LBB114_646
; %bb.641:
	v_cmp_eq_u32_e32 vcc, 30, v245
	s_and_saveexec_b64 s[16:17], vcc
	s_cbranch_execz .LBB114_645
; %bb.642:
	v_cmp_ne_u32_e32 vcc, 30, v242
	s_xor_b64 s[18:19], s[14:15], -1
	s_and_b64 s[22:23], s[18:19], vcc
	s_and_saveexec_b64 s[18:19], s[22:23]
	s_cbranch_execz .LBB114_644
; %bb.643:
	v_ashrrev_i32_e32 v243, 31, v242
	v_lshl_add_u64 v[152:153], v[242:243], 2, v[4:5]
	global_load_dword v154, v[152:153], off
	global_load_dword v155, v[4:5], off offset:120
	s_waitcnt vmcnt(1)
	global_store_dword v[4:5], v154, off offset:120
	s_waitcnt vmcnt(1)
	global_store_dword v[152:153], v155, off
.LBB114_644:
	s_or_b64 exec, exec, s[18:19]
	v_mov_b32_e32 v245, v242
	v_mov_b32_e32 v236, v242
.LBB114_645:
	s_or_b64 exec, exec, s[16:17]
.LBB114_646:
	s_andn2_saveexec_b64 s[0:1], s[0:1]
	s_cbranch_execz .LBB114_648
; %bb.647:
	v_mov_b32_e32 v245, 30
	ds_write2_b64 v244, v[100:101], v[102:103] offset0:62 offset1:63
	ds_write2_b64 v244, v[96:97], v[98:99] offset0:64 offset1:65
	;; [unrolled: 1-line block ×27, first 2 shown]
.LBB114_648:
	s_or_b64 exec, exec, s[0:1]
	v_cmp_lt_i32_e32 vcc, 30, v245
	s_waitcnt lgkmcnt(0)
	s_barrier
	s_and_saveexec_b64 s[0:1], vcc
	s_cbranch_execz .LBB114_650
; %bb.649:
	ds_read2_b64 v[248:251], v244 offset0:62 offset1:63
	v_mul_f64 v[152:153], v[234:235], v[106:107]
	v_mul_f64 v[106:107], v[232:233], v[106:107]
	v_fma_f64 v[242:243], v[232:233], v[104:105], -v[152:153]
	v_fmac_f64_e32 v[106:107], v[234:235], v[104:105]
	ds_read2_b64 v[232:235], v244 offset0:64 offset1:65
	s_waitcnt lgkmcnt(1)
	v_mul_f64 v[104:105], v[250:251], v[106:107]
	v_mul_f64 v[152:153], v[248:249], v[106:107]
	v_fma_f64 v[104:105], v[248:249], v[242:243], -v[104:105]
	v_fmac_f64_e32 v[152:153], v[250:251], v[242:243]
	ds_read2_b64 v[248:251], v244 offset0:66 offset1:67
	v_add_f64 v[100:101], v[100:101], -v[104:105]
	v_add_f64 v[102:103], v[102:103], -v[152:153]
	s_waitcnt lgkmcnt(1)
	v_mul_f64 v[104:105], v[234:235], v[106:107]
	v_mul_f64 v[152:153], v[232:233], v[106:107]
	v_fma_f64 v[104:105], v[232:233], v[242:243], -v[104:105]
	v_fmac_f64_e32 v[152:153], v[234:235], v[242:243]
	ds_read2_b64 v[232:235], v244 offset0:68 offset1:69
	v_add_f64 v[96:97], v[96:97], -v[104:105]
	v_add_f64 v[98:99], v[98:99], -v[152:153]
	;; [unrolled: 8-line block ×25, first 2 shown]
	s_waitcnt lgkmcnt(1)
	v_mul_f64 v[104:105], v[234:235], v[106:107]
	v_mul_f64 v[152:153], v[232:233], v[106:107]
	v_fma_f64 v[104:105], v[232:233], v[242:243], -v[104:105]
	v_fmac_f64_e32 v[152:153], v[234:235], v[242:243]
	v_add_f64 v[0:1], v[0:1], -v[104:105]
	v_add_f64 v[2:3], v[2:3], -v[152:153]
	s_waitcnt lgkmcnt(0)
	v_mul_f64 v[104:105], v[250:251], v[106:107]
	v_mul_f64 v[152:153], v[248:249], v[106:107]
	v_fma_f64 v[104:105], v[248:249], v[242:243], -v[104:105]
	v_fmac_f64_e32 v[152:153], v[250:251], v[242:243]
	v_add_f64 v[228:229], v[228:229], -v[104:105]
	v_add_f64 v[230:231], v[230:231], -v[152:153]
	v_mov_b64_e32 v[104:105], v[242:243]
.LBB114_650:
	s_or_b64 exec, exec, s[0:1]
	v_lshl_add_u32 v152, v245, 4, v244
	s_barrier
	ds_write2_b64 v152, v[100:101], v[102:103] offset1:1
	s_waitcnt lgkmcnt(0)
	s_barrier
	ds_read2_b64 v[232:235], v244 offset0:62 offset1:63
	s_cmp_lt_i32 s20, 33
	v_mov_b32_e32 v242, 31
	s_cbranch_scc1 .LBB114_653
; %bb.651:
	v_add_u32_e32 v243, 0x200, v244
	s_mov_b32 s0, 32
	v_mov_b32_e32 v242, 31
.LBB114_652:                            ; =>This Inner Loop Header: Depth=1
	ds_read2_b64 v[248:251], v243 offset1:1
	s_waitcnt lgkmcnt(1)
	v_cmp_gt_f64_e32 vcc, 0, v[232:233]
	v_xor_b32_e32 v152, 0x80000000, v233
	v_xor_b32_e32 v154, 0x80000000, v235
	v_cndmask_b32_e32 v153, v233, v152, vcc
	v_cmp_gt_f64_e32 vcc, 0, v[234:235]
	v_mov_b32_e32 v152, v232
	s_waitcnt lgkmcnt(0)
	v_xor_b32_e32 v156, 0x80000000, v251
	v_cndmask_b32_e32 v155, v235, v154, vcc
	v_mov_b32_e32 v154, v234
	v_add_f64 v[152:153], v[152:153], v[154:155]
	v_cmp_gt_f64_e32 vcc, 0, v[248:249]
	v_xor_b32_e32 v154, 0x80000000, v249
	v_add_u32_e32 v243, 16, v243
	v_cndmask_b32_e32 v155, v249, v154, vcc
	v_cmp_gt_f64_e32 vcc, 0, v[250:251]
	v_mov_b32_e32 v154, v248
	s_nop 0
	v_cndmask_b32_e32 v157, v251, v156, vcc
	v_mov_b32_e32 v156, v250
	v_add_f64 v[154:155], v[154:155], v[156:157]
	v_cmp_lt_f64_e32 vcc, v[152:153], v[154:155]
	v_mov_b32_e32 v152, s0
	s_add_i32 s0, s0, 1
	v_cndmask_b32_e32 v233, v233, v249, vcc
	v_cndmask_b32_e32 v232, v232, v248, vcc
	;; [unrolled: 1-line block ×5, first 2 shown]
	s_cmp_lg_u32 s20, s0
	s_cbranch_scc1 .LBB114_652
.LBB114_653:
	s_waitcnt lgkmcnt(0)
	v_cmp_eq_f64_e32 vcc, 0, v[232:233]
	v_cmp_eq_f64_e64 s[0:1], 0, v[234:235]
	s_and_b64 s[0:1], vcc, s[0:1]
	s_and_saveexec_b64 s[16:17], s[0:1]
	s_xor_b64 s[0:1], exec, s[16:17]
; %bb.654:
	v_cmp_ne_u32_e32 vcc, 0, v246
	s_nop 1
	v_cndmask_b32_e32 v246, 32, v246, vcc
; %bb.655:
	s_andn2_saveexec_b64 s[0:1], s[0:1]
	s_cbranch_execz .LBB114_661
; %bb.656:
	v_cmp_ngt_f64_e64 s[16:17], |v[232:233]|, |v[234:235]|
	s_and_saveexec_b64 s[18:19], s[16:17]
	s_xor_b64 s[16:17], exec, s[18:19]
	s_cbranch_execz .LBB114_658
; %bb.657:
	v_div_scale_f64 v[152:153], s[18:19], v[234:235], v[234:235], v[232:233]
	v_rcp_f64_e32 v[154:155], v[152:153]
	v_div_scale_f64 v[156:157], vcc, v[232:233], v[234:235], v[232:233]
	v_fma_f64 v[158:159], -v[152:153], v[154:155], 1.0
	v_fmac_f64_e32 v[154:155], v[154:155], v[158:159]
	v_fma_f64 v[158:159], -v[152:153], v[154:155], 1.0
	v_fmac_f64_e32 v[154:155], v[154:155], v[158:159]
	v_mul_f64 v[158:159], v[156:157], v[154:155]
	v_fma_f64 v[152:153], -v[152:153], v[158:159], v[156:157]
	v_div_fmas_f64 v[152:153], v[152:153], v[154:155], v[158:159]
	v_div_fixup_f64 v[152:153], v[152:153], v[234:235], v[232:233]
	v_fmac_f64_e32 v[234:235], v[232:233], v[152:153]
	v_div_scale_f64 v[154:155], s[18:19], v[234:235], v[234:235], 1.0
	v_rcp_f64_e32 v[156:157], v[154:155]
	s_nop 0
	v_fma_f64 v[158:159], -v[154:155], v[156:157], 1.0
	v_fmac_f64_e32 v[156:157], v[156:157], v[158:159]
	v_fma_f64 v[158:159], -v[154:155], v[156:157], 1.0
	v_fmac_f64_e32 v[156:157], v[156:157], v[158:159]
	v_div_scale_f64 v[158:159], vcc, 1.0, v[234:235], 1.0
	v_mul_f64 v[220:221], v[158:159], v[156:157]
	v_fma_f64 v[154:155], -v[154:155], v[220:221], v[158:159]
	s_nop 1
	v_div_fmas_f64 v[154:155], v[154:155], v[156:157], v[220:221]
	v_div_fixup_f64 v[234:235], v[154:155], v[234:235], 1.0
	v_mul_f64 v[232:233], v[152:153], v[234:235]
	v_xor_b32_e32 v235, 0x80000000, v235
.LBB114_658:
	s_andn2_saveexec_b64 s[16:17], s[16:17]
	s_cbranch_execz .LBB114_660
; %bb.659:
	v_div_scale_f64 v[152:153], s[18:19], v[232:233], v[232:233], v[234:235]
	v_rcp_f64_e32 v[154:155], v[152:153]
	v_div_scale_f64 v[156:157], vcc, v[234:235], v[232:233], v[234:235]
	v_fma_f64 v[158:159], -v[152:153], v[154:155], 1.0
	v_fmac_f64_e32 v[154:155], v[154:155], v[158:159]
	v_fma_f64 v[158:159], -v[152:153], v[154:155], 1.0
	v_fmac_f64_e32 v[154:155], v[154:155], v[158:159]
	v_mul_f64 v[158:159], v[156:157], v[154:155]
	v_fma_f64 v[152:153], -v[152:153], v[158:159], v[156:157]
	v_div_fmas_f64 v[152:153], v[152:153], v[154:155], v[158:159]
	v_div_fixup_f64 v[152:153], v[152:153], v[232:233], v[234:235]
	v_fmac_f64_e32 v[232:233], v[234:235], v[152:153]
	v_div_scale_f64 v[154:155], s[18:19], v[232:233], v[232:233], 1.0
	v_rcp_f64_e32 v[156:157], v[154:155]
	s_nop 0
	v_fma_f64 v[158:159], -v[154:155], v[156:157], 1.0
	v_fmac_f64_e32 v[156:157], v[156:157], v[158:159]
	v_fma_f64 v[158:159], -v[154:155], v[156:157], 1.0
	v_fmac_f64_e32 v[156:157], v[156:157], v[158:159]
	v_div_scale_f64 v[158:159], vcc, 1.0, v[232:233], 1.0
	v_mul_f64 v[220:221], v[158:159], v[156:157]
	v_fma_f64 v[154:155], -v[154:155], v[220:221], v[158:159]
	s_nop 1
	v_div_fmas_f64 v[154:155], v[154:155], v[156:157], v[220:221]
	v_div_fixup_f64 v[232:233], v[154:155], v[232:233], 1.0
	v_mul_f64 v[234:235], v[152:153], -v[232:233]
.LBB114_660:
	s_or_b64 exec, exec, s[16:17]
.LBB114_661:
	s_or_b64 exec, exec, s[0:1]
	v_cmp_ne_u32_e32 vcc, v245, v242
	s_and_saveexec_b64 s[0:1], vcc
	s_xor_b64 s[0:1], exec, s[0:1]
	s_cbranch_execz .LBB114_667
; %bb.662:
	v_cmp_eq_u32_e32 vcc, 31, v245
	s_and_saveexec_b64 s[16:17], vcc
	s_cbranch_execz .LBB114_666
; %bb.663:
	v_cmp_ne_u32_e32 vcc, 31, v242
	s_xor_b64 s[18:19], s[14:15], -1
	s_and_b64 s[22:23], s[18:19], vcc
	s_and_saveexec_b64 s[18:19], s[22:23]
	s_cbranch_execz .LBB114_665
; %bb.664:
	v_ashrrev_i32_e32 v243, 31, v242
	v_lshl_add_u64 v[152:153], v[242:243], 2, v[4:5]
	global_load_dword v154, v[152:153], off
	global_load_dword v155, v[4:5], off offset:124
	s_waitcnt vmcnt(1)
	global_store_dword v[4:5], v154, off offset:124
	s_waitcnt vmcnt(1)
	global_store_dword v[152:153], v155, off
.LBB114_665:
	s_or_b64 exec, exec, s[18:19]
	v_mov_b32_e32 v245, v242
	v_mov_b32_e32 v236, v242
.LBB114_666:
	s_or_b64 exec, exec, s[16:17]
.LBB114_667:
	s_andn2_saveexec_b64 s[0:1], s[0:1]
	s_cbranch_execz .LBB114_669
; %bb.668:
	v_mov_b32_e32 v245, 31
	ds_write2_b64 v244, v[96:97], v[98:99] offset0:64 offset1:65
	ds_write2_b64 v244, v[92:93], v[94:95] offset0:66 offset1:67
	;; [unrolled: 1-line block ×26, first 2 shown]
.LBB114_669:
	s_or_b64 exec, exec, s[0:1]
	v_cmp_lt_i32_e32 vcc, 31, v245
	s_waitcnt lgkmcnt(0)
	s_barrier
	s_and_saveexec_b64 s[0:1], vcc
	s_cbranch_execz .LBB114_671
; %bb.670:
	ds_read2_b64 v[248:251], v244 offset0:64 offset1:65
	v_mul_f64 v[152:153], v[234:235], v[102:103]
	v_mul_f64 v[102:103], v[232:233], v[102:103]
	v_fma_f64 v[242:243], v[232:233], v[100:101], -v[152:153]
	v_fmac_f64_e32 v[102:103], v[234:235], v[100:101]
	ds_read2_b64 v[232:235], v244 offset0:66 offset1:67
	s_waitcnt lgkmcnt(1)
	v_mul_f64 v[100:101], v[250:251], v[102:103]
	v_mul_f64 v[152:153], v[248:249], v[102:103]
	v_fma_f64 v[100:101], v[248:249], v[242:243], -v[100:101]
	v_fmac_f64_e32 v[152:153], v[250:251], v[242:243]
	ds_read2_b64 v[248:251], v244 offset0:68 offset1:69
	v_add_f64 v[96:97], v[96:97], -v[100:101]
	v_add_f64 v[98:99], v[98:99], -v[152:153]
	s_waitcnt lgkmcnt(1)
	v_mul_f64 v[100:101], v[234:235], v[102:103]
	v_mul_f64 v[152:153], v[232:233], v[102:103]
	v_fma_f64 v[100:101], v[232:233], v[242:243], -v[100:101]
	v_fmac_f64_e32 v[152:153], v[234:235], v[242:243]
	ds_read2_b64 v[232:235], v244 offset0:70 offset1:71
	v_add_f64 v[92:93], v[92:93], -v[100:101]
	v_add_f64 v[94:95], v[94:95], -v[152:153]
	;; [unrolled: 8-line block ×24, first 2 shown]
	s_waitcnt lgkmcnt(1)
	v_mul_f64 v[100:101], v[250:251], v[102:103]
	v_mul_f64 v[152:153], v[248:249], v[102:103]
	v_fma_f64 v[100:101], v[248:249], v[242:243], -v[100:101]
	v_fmac_f64_e32 v[152:153], v[250:251], v[242:243]
	v_add_f64 v[0:1], v[0:1], -v[100:101]
	v_add_f64 v[2:3], v[2:3], -v[152:153]
	s_waitcnt lgkmcnt(0)
	v_mul_f64 v[100:101], v[234:235], v[102:103]
	v_mul_f64 v[152:153], v[232:233], v[102:103]
	v_fma_f64 v[100:101], v[232:233], v[242:243], -v[100:101]
	v_fmac_f64_e32 v[152:153], v[234:235], v[242:243]
	v_add_f64 v[228:229], v[228:229], -v[100:101]
	v_add_f64 v[230:231], v[230:231], -v[152:153]
	v_mov_b64_e32 v[100:101], v[242:243]
.LBB114_671:
	s_or_b64 exec, exec, s[0:1]
	v_lshl_add_u32 v152, v245, 4, v244
	s_barrier
	ds_write2_b64 v152, v[96:97], v[98:99] offset1:1
	s_waitcnt lgkmcnt(0)
	s_barrier
	ds_read2_b64 v[232:235], v244 offset0:64 offset1:65
	s_cmp_lt_i32 s20, 34
	v_mov_b32_e32 v242, 32
	s_cbranch_scc1 .LBB114_674
; %bb.672:
	v_add_u32_e32 v243, 0x210, v244
	s_mov_b32 s0, 33
	v_mov_b32_e32 v242, 32
.LBB114_673:                            ; =>This Inner Loop Header: Depth=1
	ds_read2_b64 v[248:251], v243 offset1:1
	s_waitcnt lgkmcnt(1)
	v_cmp_gt_f64_e32 vcc, 0, v[232:233]
	v_xor_b32_e32 v152, 0x80000000, v233
	v_xor_b32_e32 v154, 0x80000000, v235
	v_cndmask_b32_e32 v153, v233, v152, vcc
	v_cmp_gt_f64_e32 vcc, 0, v[234:235]
	v_mov_b32_e32 v152, v232
	s_waitcnt lgkmcnt(0)
	v_xor_b32_e32 v156, 0x80000000, v251
	v_cndmask_b32_e32 v155, v235, v154, vcc
	v_mov_b32_e32 v154, v234
	v_add_f64 v[152:153], v[152:153], v[154:155]
	v_cmp_gt_f64_e32 vcc, 0, v[248:249]
	v_xor_b32_e32 v154, 0x80000000, v249
	v_add_u32_e32 v243, 16, v243
	v_cndmask_b32_e32 v155, v249, v154, vcc
	v_cmp_gt_f64_e32 vcc, 0, v[250:251]
	v_mov_b32_e32 v154, v248
	s_nop 0
	v_cndmask_b32_e32 v157, v251, v156, vcc
	v_mov_b32_e32 v156, v250
	v_add_f64 v[154:155], v[154:155], v[156:157]
	v_cmp_lt_f64_e32 vcc, v[152:153], v[154:155]
	v_mov_b32_e32 v152, s0
	s_add_i32 s0, s0, 1
	v_cndmask_b32_e32 v233, v233, v249, vcc
	v_cndmask_b32_e32 v232, v232, v248, vcc
	;; [unrolled: 1-line block ×5, first 2 shown]
	s_cmp_lg_u32 s20, s0
	s_cbranch_scc1 .LBB114_673
.LBB114_674:
	s_waitcnt lgkmcnt(0)
	v_cmp_eq_f64_e32 vcc, 0, v[232:233]
	v_cmp_eq_f64_e64 s[0:1], 0, v[234:235]
	s_and_b64 s[0:1], vcc, s[0:1]
	s_and_saveexec_b64 s[16:17], s[0:1]
	s_xor_b64 s[0:1], exec, s[16:17]
; %bb.675:
	v_cmp_ne_u32_e32 vcc, 0, v246
	s_nop 1
	v_cndmask_b32_e32 v246, 33, v246, vcc
; %bb.676:
	s_andn2_saveexec_b64 s[0:1], s[0:1]
	s_cbranch_execz .LBB114_682
; %bb.677:
	v_cmp_ngt_f64_e64 s[16:17], |v[232:233]|, |v[234:235]|
	s_and_saveexec_b64 s[18:19], s[16:17]
	s_xor_b64 s[16:17], exec, s[18:19]
	s_cbranch_execz .LBB114_679
; %bb.678:
	v_div_scale_f64 v[152:153], s[18:19], v[234:235], v[234:235], v[232:233]
	v_rcp_f64_e32 v[154:155], v[152:153]
	v_div_scale_f64 v[156:157], vcc, v[232:233], v[234:235], v[232:233]
	v_fma_f64 v[158:159], -v[152:153], v[154:155], 1.0
	v_fmac_f64_e32 v[154:155], v[154:155], v[158:159]
	v_fma_f64 v[158:159], -v[152:153], v[154:155], 1.0
	v_fmac_f64_e32 v[154:155], v[154:155], v[158:159]
	v_mul_f64 v[158:159], v[156:157], v[154:155]
	v_fma_f64 v[152:153], -v[152:153], v[158:159], v[156:157]
	v_div_fmas_f64 v[152:153], v[152:153], v[154:155], v[158:159]
	v_div_fixup_f64 v[152:153], v[152:153], v[234:235], v[232:233]
	v_fmac_f64_e32 v[234:235], v[232:233], v[152:153]
	v_div_scale_f64 v[154:155], s[18:19], v[234:235], v[234:235], 1.0
	v_rcp_f64_e32 v[156:157], v[154:155]
	s_nop 0
	v_fma_f64 v[158:159], -v[154:155], v[156:157], 1.0
	v_fmac_f64_e32 v[156:157], v[156:157], v[158:159]
	v_fma_f64 v[158:159], -v[154:155], v[156:157], 1.0
	v_fmac_f64_e32 v[156:157], v[156:157], v[158:159]
	v_div_scale_f64 v[158:159], vcc, 1.0, v[234:235], 1.0
	v_mul_f64 v[220:221], v[158:159], v[156:157]
	v_fma_f64 v[154:155], -v[154:155], v[220:221], v[158:159]
	s_nop 1
	v_div_fmas_f64 v[154:155], v[154:155], v[156:157], v[220:221]
	v_div_fixup_f64 v[234:235], v[154:155], v[234:235], 1.0
	v_mul_f64 v[232:233], v[152:153], v[234:235]
	v_xor_b32_e32 v235, 0x80000000, v235
.LBB114_679:
	s_andn2_saveexec_b64 s[16:17], s[16:17]
	s_cbranch_execz .LBB114_681
; %bb.680:
	v_div_scale_f64 v[152:153], s[18:19], v[232:233], v[232:233], v[234:235]
	v_rcp_f64_e32 v[154:155], v[152:153]
	v_div_scale_f64 v[156:157], vcc, v[234:235], v[232:233], v[234:235]
	v_fma_f64 v[158:159], -v[152:153], v[154:155], 1.0
	v_fmac_f64_e32 v[154:155], v[154:155], v[158:159]
	v_fma_f64 v[158:159], -v[152:153], v[154:155], 1.0
	v_fmac_f64_e32 v[154:155], v[154:155], v[158:159]
	v_mul_f64 v[158:159], v[156:157], v[154:155]
	v_fma_f64 v[152:153], -v[152:153], v[158:159], v[156:157]
	v_div_fmas_f64 v[152:153], v[152:153], v[154:155], v[158:159]
	v_div_fixup_f64 v[152:153], v[152:153], v[232:233], v[234:235]
	v_fmac_f64_e32 v[232:233], v[234:235], v[152:153]
	v_div_scale_f64 v[154:155], s[18:19], v[232:233], v[232:233], 1.0
	v_rcp_f64_e32 v[156:157], v[154:155]
	s_nop 0
	v_fma_f64 v[158:159], -v[154:155], v[156:157], 1.0
	v_fmac_f64_e32 v[156:157], v[156:157], v[158:159]
	v_fma_f64 v[158:159], -v[154:155], v[156:157], 1.0
	v_fmac_f64_e32 v[156:157], v[156:157], v[158:159]
	v_div_scale_f64 v[158:159], vcc, 1.0, v[232:233], 1.0
	v_mul_f64 v[220:221], v[158:159], v[156:157]
	v_fma_f64 v[154:155], -v[154:155], v[220:221], v[158:159]
	s_nop 1
	v_div_fmas_f64 v[154:155], v[154:155], v[156:157], v[220:221]
	v_div_fixup_f64 v[232:233], v[154:155], v[232:233], 1.0
	v_mul_f64 v[234:235], v[152:153], -v[232:233]
.LBB114_681:
	s_or_b64 exec, exec, s[16:17]
.LBB114_682:
	s_or_b64 exec, exec, s[0:1]
	v_cmp_ne_u32_e32 vcc, v245, v242
	s_and_saveexec_b64 s[0:1], vcc
	s_xor_b64 s[0:1], exec, s[0:1]
	s_cbranch_execz .LBB114_688
; %bb.683:
	v_cmp_eq_u32_e32 vcc, 32, v245
	s_and_saveexec_b64 s[16:17], vcc
	s_cbranch_execz .LBB114_687
; %bb.684:
	v_cmp_ne_u32_e32 vcc, 32, v242
	s_xor_b64 s[18:19], s[14:15], -1
	s_and_b64 s[22:23], s[18:19], vcc
	s_and_saveexec_b64 s[18:19], s[22:23]
	s_cbranch_execz .LBB114_686
; %bb.685:
	v_ashrrev_i32_e32 v243, 31, v242
	v_lshl_add_u64 v[152:153], v[242:243], 2, v[4:5]
	global_load_dword v154, v[152:153], off
	global_load_dword v155, v[4:5], off offset:128
	s_waitcnt vmcnt(1)
	global_store_dword v[4:5], v154, off offset:128
	s_waitcnt vmcnt(1)
	global_store_dword v[152:153], v155, off
.LBB114_686:
	s_or_b64 exec, exec, s[18:19]
	v_mov_b32_e32 v245, v242
	v_mov_b32_e32 v236, v242
.LBB114_687:
	s_or_b64 exec, exec, s[16:17]
.LBB114_688:
	s_andn2_saveexec_b64 s[0:1], s[0:1]
	s_cbranch_execz .LBB114_690
; %bb.689:
	v_mov_b32_e32 v245, 32
	ds_write2_b64 v244, v[92:93], v[94:95] offset0:66 offset1:67
	ds_write2_b64 v244, v[88:89], v[90:91] offset0:68 offset1:69
	ds_write2_b64 v244, v[84:85], v[86:87] offset0:70 offset1:71
	ds_write2_b64 v244, v[80:81], v[82:83] offset0:72 offset1:73
	ds_write2_b64 v244, v[76:77], v[78:79] offset0:74 offset1:75
	ds_write2_b64 v244, v[72:73], v[74:75] offset0:76 offset1:77
	ds_write2_b64 v244, v[68:69], v[70:71] offset0:78 offset1:79
	ds_write2_b64 v244, v[64:65], v[66:67] offset0:80 offset1:81
	ds_write2_b64 v244, v[60:61], v[62:63] offset0:82 offset1:83
	ds_write2_b64 v244, v[56:57], v[58:59] offset0:84 offset1:85
	ds_write2_b64 v244, v[52:53], v[54:55] offset0:86 offset1:87
	ds_write2_b64 v244, v[48:49], v[50:51] offset0:88 offset1:89
	ds_write2_b64 v244, v[44:45], v[46:47] offset0:90 offset1:91
	ds_write2_b64 v244, v[40:41], v[42:43] offset0:92 offset1:93
	ds_write2_b64 v244, v[36:37], v[38:39] offset0:94 offset1:95
	ds_write2_b64 v244, v[32:33], v[34:35] offset0:96 offset1:97
	ds_write2_b64 v244, v[28:29], v[30:31] offset0:98 offset1:99
	ds_write2_b64 v244, v[24:25], v[26:27] offset0:100 offset1:101
	ds_write2_b64 v244, v[20:21], v[22:23] offset0:102 offset1:103
	ds_write2_b64 v244, v[16:17], v[18:19] offset0:104 offset1:105
	ds_write2_b64 v244, v[12:13], v[14:15] offset0:106 offset1:107
	ds_write2_b64 v244, v[8:9], v[10:11] offset0:108 offset1:109
	ds_write2_b64 v244, v[224:225], v[226:227] offset0:110 offset1:111
	ds_write2_b64 v244, v[0:1], v[2:3] offset0:112 offset1:113
	ds_write2_b64 v244, v[228:229], v[230:231] offset0:114 offset1:115
.LBB114_690:
	s_or_b64 exec, exec, s[0:1]
	v_cmp_lt_i32_e32 vcc, 32, v245
	s_waitcnt lgkmcnt(0)
	s_barrier
	s_and_saveexec_b64 s[0:1], vcc
	s_cbranch_execz .LBB114_692
; %bb.691:
	ds_read2_b64 v[248:251], v244 offset0:66 offset1:67
	v_mul_f64 v[152:153], v[234:235], v[98:99]
	v_mul_f64 v[98:99], v[232:233], v[98:99]
	v_fma_f64 v[242:243], v[232:233], v[96:97], -v[152:153]
	v_fmac_f64_e32 v[98:99], v[234:235], v[96:97]
	ds_read2_b64 v[232:235], v244 offset0:68 offset1:69
	s_waitcnt lgkmcnt(1)
	v_mul_f64 v[96:97], v[250:251], v[98:99]
	v_mul_f64 v[152:153], v[248:249], v[98:99]
	v_fma_f64 v[96:97], v[248:249], v[242:243], -v[96:97]
	v_fmac_f64_e32 v[152:153], v[250:251], v[242:243]
	ds_read2_b64 v[248:251], v244 offset0:70 offset1:71
	v_add_f64 v[92:93], v[92:93], -v[96:97]
	v_add_f64 v[94:95], v[94:95], -v[152:153]
	s_waitcnt lgkmcnt(1)
	v_mul_f64 v[96:97], v[234:235], v[98:99]
	v_mul_f64 v[152:153], v[232:233], v[98:99]
	v_fma_f64 v[96:97], v[232:233], v[242:243], -v[96:97]
	v_fmac_f64_e32 v[152:153], v[234:235], v[242:243]
	ds_read2_b64 v[232:235], v244 offset0:72 offset1:73
	v_add_f64 v[88:89], v[88:89], -v[96:97]
	v_add_f64 v[90:91], v[90:91], -v[152:153]
	;; [unrolled: 8-line block ×23, first 2 shown]
	s_waitcnt lgkmcnt(1)
	v_mul_f64 v[96:97], v[234:235], v[98:99]
	v_mul_f64 v[152:153], v[232:233], v[98:99]
	v_fma_f64 v[96:97], v[232:233], v[242:243], -v[96:97]
	v_fmac_f64_e32 v[152:153], v[234:235], v[242:243]
	v_add_f64 v[0:1], v[0:1], -v[96:97]
	v_add_f64 v[2:3], v[2:3], -v[152:153]
	s_waitcnt lgkmcnt(0)
	v_mul_f64 v[96:97], v[250:251], v[98:99]
	v_mul_f64 v[152:153], v[248:249], v[98:99]
	v_fma_f64 v[96:97], v[248:249], v[242:243], -v[96:97]
	v_fmac_f64_e32 v[152:153], v[250:251], v[242:243]
	v_add_f64 v[228:229], v[228:229], -v[96:97]
	v_add_f64 v[230:231], v[230:231], -v[152:153]
	v_mov_b64_e32 v[96:97], v[242:243]
.LBB114_692:
	s_or_b64 exec, exec, s[0:1]
	v_lshl_add_u32 v152, v245, 4, v244
	s_barrier
	ds_write2_b64 v152, v[92:93], v[94:95] offset1:1
	s_waitcnt lgkmcnt(0)
	s_barrier
	ds_read2_b64 v[232:235], v244 offset0:66 offset1:67
	s_cmp_lt_i32 s20, 35
	v_mov_b32_e32 v242, 33
	s_cbranch_scc1 .LBB114_695
; %bb.693:
	v_add_u32_e32 v243, 0x220, v244
	s_mov_b32 s0, 34
	v_mov_b32_e32 v242, 33
.LBB114_694:                            ; =>This Inner Loop Header: Depth=1
	ds_read2_b64 v[248:251], v243 offset1:1
	s_waitcnt lgkmcnt(1)
	v_cmp_gt_f64_e32 vcc, 0, v[232:233]
	v_xor_b32_e32 v152, 0x80000000, v233
	v_xor_b32_e32 v154, 0x80000000, v235
	v_cndmask_b32_e32 v153, v233, v152, vcc
	v_cmp_gt_f64_e32 vcc, 0, v[234:235]
	v_mov_b32_e32 v152, v232
	s_waitcnt lgkmcnt(0)
	v_xor_b32_e32 v156, 0x80000000, v251
	v_cndmask_b32_e32 v155, v235, v154, vcc
	v_mov_b32_e32 v154, v234
	v_add_f64 v[152:153], v[152:153], v[154:155]
	v_cmp_gt_f64_e32 vcc, 0, v[248:249]
	v_xor_b32_e32 v154, 0x80000000, v249
	v_add_u32_e32 v243, 16, v243
	v_cndmask_b32_e32 v155, v249, v154, vcc
	v_cmp_gt_f64_e32 vcc, 0, v[250:251]
	v_mov_b32_e32 v154, v248
	s_nop 0
	v_cndmask_b32_e32 v157, v251, v156, vcc
	v_mov_b32_e32 v156, v250
	v_add_f64 v[154:155], v[154:155], v[156:157]
	v_cmp_lt_f64_e32 vcc, v[152:153], v[154:155]
	v_mov_b32_e32 v152, s0
	s_add_i32 s0, s0, 1
	v_cndmask_b32_e32 v233, v233, v249, vcc
	v_cndmask_b32_e32 v232, v232, v248, vcc
	;; [unrolled: 1-line block ×5, first 2 shown]
	s_cmp_lg_u32 s20, s0
	s_cbranch_scc1 .LBB114_694
.LBB114_695:
	s_waitcnt lgkmcnt(0)
	v_cmp_eq_f64_e32 vcc, 0, v[232:233]
	v_cmp_eq_f64_e64 s[0:1], 0, v[234:235]
	s_and_b64 s[0:1], vcc, s[0:1]
	s_and_saveexec_b64 s[16:17], s[0:1]
	s_xor_b64 s[0:1], exec, s[16:17]
; %bb.696:
	v_cmp_ne_u32_e32 vcc, 0, v246
	s_nop 1
	v_cndmask_b32_e32 v246, 34, v246, vcc
; %bb.697:
	s_andn2_saveexec_b64 s[0:1], s[0:1]
	s_cbranch_execz .LBB114_703
; %bb.698:
	v_cmp_ngt_f64_e64 s[16:17], |v[232:233]|, |v[234:235]|
	s_and_saveexec_b64 s[18:19], s[16:17]
	s_xor_b64 s[16:17], exec, s[18:19]
	s_cbranch_execz .LBB114_700
; %bb.699:
	v_div_scale_f64 v[152:153], s[18:19], v[234:235], v[234:235], v[232:233]
	v_rcp_f64_e32 v[154:155], v[152:153]
	v_div_scale_f64 v[156:157], vcc, v[232:233], v[234:235], v[232:233]
	v_fma_f64 v[158:159], -v[152:153], v[154:155], 1.0
	v_fmac_f64_e32 v[154:155], v[154:155], v[158:159]
	v_fma_f64 v[158:159], -v[152:153], v[154:155], 1.0
	v_fmac_f64_e32 v[154:155], v[154:155], v[158:159]
	v_mul_f64 v[158:159], v[156:157], v[154:155]
	v_fma_f64 v[152:153], -v[152:153], v[158:159], v[156:157]
	v_div_fmas_f64 v[152:153], v[152:153], v[154:155], v[158:159]
	v_div_fixup_f64 v[152:153], v[152:153], v[234:235], v[232:233]
	v_fmac_f64_e32 v[234:235], v[232:233], v[152:153]
	v_div_scale_f64 v[154:155], s[18:19], v[234:235], v[234:235], 1.0
	v_rcp_f64_e32 v[156:157], v[154:155]
	s_nop 0
	v_fma_f64 v[158:159], -v[154:155], v[156:157], 1.0
	v_fmac_f64_e32 v[156:157], v[156:157], v[158:159]
	v_fma_f64 v[158:159], -v[154:155], v[156:157], 1.0
	v_fmac_f64_e32 v[156:157], v[156:157], v[158:159]
	v_div_scale_f64 v[158:159], vcc, 1.0, v[234:235], 1.0
	v_mul_f64 v[220:221], v[158:159], v[156:157]
	v_fma_f64 v[154:155], -v[154:155], v[220:221], v[158:159]
	s_nop 1
	v_div_fmas_f64 v[154:155], v[154:155], v[156:157], v[220:221]
	v_div_fixup_f64 v[234:235], v[154:155], v[234:235], 1.0
	v_mul_f64 v[232:233], v[152:153], v[234:235]
	v_xor_b32_e32 v235, 0x80000000, v235
.LBB114_700:
	s_andn2_saveexec_b64 s[16:17], s[16:17]
	s_cbranch_execz .LBB114_702
; %bb.701:
	v_div_scale_f64 v[152:153], s[18:19], v[232:233], v[232:233], v[234:235]
	v_rcp_f64_e32 v[154:155], v[152:153]
	v_div_scale_f64 v[156:157], vcc, v[234:235], v[232:233], v[234:235]
	v_fma_f64 v[158:159], -v[152:153], v[154:155], 1.0
	v_fmac_f64_e32 v[154:155], v[154:155], v[158:159]
	v_fma_f64 v[158:159], -v[152:153], v[154:155], 1.0
	v_fmac_f64_e32 v[154:155], v[154:155], v[158:159]
	v_mul_f64 v[158:159], v[156:157], v[154:155]
	v_fma_f64 v[152:153], -v[152:153], v[158:159], v[156:157]
	v_div_fmas_f64 v[152:153], v[152:153], v[154:155], v[158:159]
	v_div_fixup_f64 v[152:153], v[152:153], v[232:233], v[234:235]
	v_fmac_f64_e32 v[232:233], v[234:235], v[152:153]
	v_div_scale_f64 v[154:155], s[18:19], v[232:233], v[232:233], 1.0
	v_rcp_f64_e32 v[156:157], v[154:155]
	s_nop 0
	v_fma_f64 v[158:159], -v[154:155], v[156:157], 1.0
	v_fmac_f64_e32 v[156:157], v[156:157], v[158:159]
	v_fma_f64 v[158:159], -v[154:155], v[156:157], 1.0
	v_fmac_f64_e32 v[156:157], v[156:157], v[158:159]
	v_div_scale_f64 v[158:159], vcc, 1.0, v[232:233], 1.0
	v_mul_f64 v[220:221], v[158:159], v[156:157]
	v_fma_f64 v[154:155], -v[154:155], v[220:221], v[158:159]
	s_nop 1
	v_div_fmas_f64 v[154:155], v[154:155], v[156:157], v[220:221]
	v_div_fixup_f64 v[232:233], v[154:155], v[232:233], 1.0
	v_mul_f64 v[234:235], v[152:153], -v[232:233]
.LBB114_702:
	s_or_b64 exec, exec, s[16:17]
.LBB114_703:
	s_or_b64 exec, exec, s[0:1]
	v_cmp_ne_u32_e32 vcc, v245, v242
	s_and_saveexec_b64 s[0:1], vcc
	s_xor_b64 s[0:1], exec, s[0:1]
	s_cbranch_execz .LBB114_709
; %bb.704:
	v_cmp_eq_u32_e32 vcc, 33, v245
	s_and_saveexec_b64 s[16:17], vcc
	s_cbranch_execz .LBB114_708
; %bb.705:
	v_cmp_ne_u32_e32 vcc, 33, v242
	s_xor_b64 s[18:19], s[14:15], -1
	s_and_b64 s[22:23], s[18:19], vcc
	s_and_saveexec_b64 s[18:19], s[22:23]
	s_cbranch_execz .LBB114_707
; %bb.706:
	v_ashrrev_i32_e32 v243, 31, v242
	v_lshl_add_u64 v[152:153], v[242:243], 2, v[4:5]
	global_load_dword v154, v[152:153], off
	global_load_dword v155, v[4:5], off offset:132
	s_waitcnt vmcnt(1)
	global_store_dword v[4:5], v154, off offset:132
	s_waitcnt vmcnt(1)
	global_store_dword v[152:153], v155, off
.LBB114_707:
	s_or_b64 exec, exec, s[18:19]
	v_mov_b32_e32 v245, v242
	v_mov_b32_e32 v236, v242
.LBB114_708:
	s_or_b64 exec, exec, s[16:17]
.LBB114_709:
	s_andn2_saveexec_b64 s[0:1], s[0:1]
	s_cbranch_execz .LBB114_711
; %bb.710:
	v_mov_b32_e32 v245, 33
	ds_write2_b64 v244, v[88:89], v[90:91] offset0:68 offset1:69
	ds_write2_b64 v244, v[84:85], v[86:87] offset0:70 offset1:71
	ds_write2_b64 v244, v[80:81], v[82:83] offset0:72 offset1:73
	ds_write2_b64 v244, v[76:77], v[78:79] offset0:74 offset1:75
	ds_write2_b64 v244, v[72:73], v[74:75] offset0:76 offset1:77
	ds_write2_b64 v244, v[68:69], v[70:71] offset0:78 offset1:79
	ds_write2_b64 v244, v[64:65], v[66:67] offset0:80 offset1:81
	ds_write2_b64 v244, v[60:61], v[62:63] offset0:82 offset1:83
	ds_write2_b64 v244, v[56:57], v[58:59] offset0:84 offset1:85
	ds_write2_b64 v244, v[52:53], v[54:55] offset0:86 offset1:87
	ds_write2_b64 v244, v[48:49], v[50:51] offset0:88 offset1:89
	ds_write2_b64 v244, v[44:45], v[46:47] offset0:90 offset1:91
	ds_write2_b64 v244, v[40:41], v[42:43] offset0:92 offset1:93
	ds_write2_b64 v244, v[36:37], v[38:39] offset0:94 offset1:95
	ds_write2_b64 v244, v[32:33], v[34:35] offset0:96 offset1:97
	ds_write2_b64 v244, v[28:29], v[30:31] offset0:98 offset1:99
	ds_write2_b64 v244, v[24:25], v[26:27] offset0:100 offset1:101
	ds_write2_b64 v244, v[20:21], v[22:23] offset0:102 offset1:103
	ds_write2_b64 v244, v[16:17], v[18:19] offset0:104 offset1:105
	ds_write2_b64 v244, v[12:13], v[14:15] offset0:106 offset1:107
	ds_write2_b64 v244, v[8:9], v[10:11] offset0:108 offset1:109
	ds_write2_b64 v244, v[224:225], v[226:227] offset0:110 offset1:111
	ds_write2_b64 v244, v[0:1], v[2:3] offset0:112 offset1:113
	ds_write2_b64 v244, v[228:229], v[230:231] offset0:114 offset1:115
.LBB114_711:
	s_or_b64 exec, exec, s[0:1]
	v_cmp_lt_i32_e32 vcc, 33, v245
	s_waitcnt lgkmcnt(0)
	s_barrier
	s_and_saveexec_b64 s[0:1], vcc
	s_cbranch_execz .LBB114_713
; %bb.712:
	ds_read2_b64 v[248:251], v244 offset0:68 offset1:69
	v_mul_f64 v[152:153], v[234:235], v[94:95]
	v_mul_f64 v[94:95], v[232:233], v[94:95]
	v_fma_f64 v[242:243], v[232:233], v[92:93], -v[152:153]
	v_fmac_f64_e32 v[94:95], v[234:235], v[92:93]
	ds_read2_b64 v[232:235], v244 offset0:70 offset1:71
	s_waitcnt lgkmcnt(1)
	v_mul_f64 v[92:93], v[250:251], v[94:95]
	v_mul_f64 v[152:153], v[248:249], v[94:95]
	v_fma_f64 v[92:93], v[248:249], v[242:243], -v[92:93]
	v_fmac_f64_e32 v[152:153], v[250:251], v[242:243]
	ds_read2_b64 v[248:251], v244 offset0:72 offset1:73
	v_add_f64 v[88:89], v[88:89], -v[92:93]
	v_add_f64 v[90:91], v[90:91], -v[152:153]
	s_waitcnt lgkmcnt(1)
	v_mul_f64 v[92:93], v[234:235], v[94:95]
	v_mul_f64 v[152:153], v[232:233], v[94:95]
	v_fma_f64 v[92:93], v[232:233], v[242:243], -v[92:93]
	v_fmac_f64_e32 v[152:153], v[234:235], v[242:243]
	ds_read2_b64 v[232:235], v244 offset0:74 offset1:75
	v_add_f64 v[84:85], v[84:85], -v[92:93]
	v_add_f64 v[86:87], v[86:87], -v[152:153]
	s_waitcnt lgkmcnt(1)
	v_mul_f64 v[92:93], v[250:251], v[94:95]
	v_mul_f64 v[152:153], v[248:249], v[94:95]
	v_fma_f64 v[92:93], v[248:249], v[242:243], -v[92:93]
	v_fmac_f64_e32 v[152:153], v[250:251], v[242:243]
	ds_read2_b64 v[248:251], v244 offset0:76 offset1:77
	v_add_f64 v[80:81], v[80:81], -v[92:93]
	v_add_f64 v[82:83], v[82:83], -v[152:153]
	s_waitcnt lgkmcnt(1)
	v_mul_f64 v[92:93], v[234:235], v[94:95]
	v_mul_f64 v[152:153], v[232:233], v[94:95]
	v_fma_f64 v[92:93], v[232:233], v[242:243], -v[92:93]
	v_fmac_f64_e32 v[152:153], v[234:235], v[242:243]
	ds_read2_b64 v[232:235], v244 offset0:78 offset1:79
	v_add_f64 v[76:77], v[76:77], -v[92:93]
	v_add_f64 v[78:79], v[78:79], -v[152:153]
	s_waitcnt lgkmcnt(1)
	v_mul_f64 v[92:93], v[250:251], v[94:95]
	v_mul_f64 v[152:153], v[248:249], v[94:95]
	v_fma_f64 v[92:93], v[248:249], v[242:243], -v[92:93]
	v_fmac_f64_e32 v[152:153], v[250:251], v[242:243]
	ds_read2_b64 v[248:251], v244 offset0:80 offset1:81
	v_add_f64 v[72:73], v[72:73], -v[92:93]
	v_add_f64 v[74:75], v[74:75], -v[152:153]
	s_waitcnt lgkmcnt(1)
	v_mul_f64 v[92:93], v[234:235], v[94:95]
	v_mul_f64 v[152:153], v[232:233], v[94:95]
	v_fma_f64 v[92:93], v[232:233], v[242:243], -v[92:93]
	v_fmac_f64_e32 v[152:153], v[234:235], v[242:243]
	ds_read2_b64 v[232:235], v244 offset0:82 offset1:83
	v_add_f64 v[68:69], v[68:69], -v[92:93]
	v_add_f64 v[70:71], v[70:71], -v[152:153]
	s_waitcnt lgkmcnt(1)
	v_mul_f64 v[92:93], v[250:251], v[94:95]
	v_mul_f64 v[152:153], v[248:249], v[94:95]
	v_fma_f64 v[92:93], v[248:249], v[242:243], -v[92:93]
	v_fmac_f64_e32 v[152:153], v[250:251], v[242:243]
	ds_read2_b64 v[248:251], v244 offset0:84 offset1:85
	v_add_f64 v[64:65], v[64:65], -v[92:93]
	v_add_f64 v[66:67], v[66:67], -v[152:153]
	s_waitcnt lgkmcnt(1)
	v_mul_f64 v[92:93], v[234:235], v[94:95]
	v_mul_f64 v[152:153], v[232:233], v[94:95]
	v_fma_f64 v[92:93], v[232:233], v[242:243], -v[92:93]
	v_fmac_f64_e32 v[152:153], v[234:235], v[242:243]
	ds_read2_b64 v[232:235], v244 offset0:86 offset1:87
	v_add_f64 v[60:61], v[60:61], -v[92:93]
	v_add_f64 v[62:63], v[62:63], -v[152:153]
	s_waitcnt lgkmcnt(1)
	v_mul_f64 v[92:93], v[250:251], v[94:95]
	v_mul_f64 v[152:153], v[248:249], v[94:95]
	v_fma_f64 v[92:93], v[248:249], v[242:243], -v[92:93]
	v_fmac_f64_e32 v[152:153], v[250:251], v[242:243]
	ds_read2_b64 v[248:251], v244 offset0:88 offset1:89
	v_add_f64 v[56:57], v[56:57], -v[92:93]
	v_add_f64 v[58:59], v[58:59], -v[152:153]
	s_waitcnt lgkmcnt(1)
	v_mul_f64 v[92:93], v[234:235], v[94:95]
	v_mul_f64 v[152:153], v[232:233], v[94:95]
	v_fma_f64 v[92:93], v[232:233], v[242:243], -v[92:93]
	v_fmac_f64_e32 v[152:153], v[234:235], v[242:243]
	ds_read2_b64 v[232:235], v244 offset0:90 offset1:91
	v_add_f64 v[52:53], v[52:53], -v[92:93]
	v_add_f64 v[54:55], v[54:55], -v[152:153]
	s_waitcnt lgkmcnt(1)
	v_mul_f64 v[92:93], v[250:251], v[94:95]
	v_mul_f64 v[152:153], v[248:249], v[94:95]
	v_fma_f64 v[92:93], v[248:249], v[242:243], -v[92:93]
	v_fmac_f64_e32 v[152:153], v[250:251], v[242:243]
	ds_read2_b64 v[248:251], v244 offset0:92 offset1:93
	v_add_f64 v[48:49], v[48:49], -v[92:93]
	v_add_f64 v[50:51], v[50:51], -v[152:153]
	s_waitcnt lgkmcnt(1)
	v_mul_f64 v[92:93], v[234:235], v[94:95]
	v_mul_f64 v[152:153], v[232:233], v[94:95]
	v_fma_f64 v[92:93], v[232:233], v[242:243], -v[92:93]
	v_fmac_f64_e32 v[152:153], v[234:235], v[242:243]
	ds_read2_b64 v[232:235], v244 offset0:94 offset1:95
	v_add_f64 v[44:45], v[44:45], -v[92:93]
	v_add_f64 v[46:47], v[46:47], -v[152:153]
	s_waitcnt lgkmcnt(1)
	v_mul_f64 v[92:93], v[250:251], v[94:95]
	v_mul_f64 v[152:153], v[248:249], v[94:95]
	v_fma_f64 v[92:93], v[248:249], v[242:243], -v[92:93]
	v_fmac_f64_e32 v[152:153], v[250:251], v[242:243]
	ds_read2_b64 v[248:251], v244 offset0:96 offset1:97
	v_add_f64 v[40:41], v[40:41], -v[92:93]
	v_add_f64 v[42:43], v[42:43], -v[152:153]
	s_waitcnt lgkmcnt(1)
	v_mul_f64 v[92:93], v[234:235], v[94:95]
	v_mul_f64 v[152:153], v[232:233], v[94:95]
	v_fma_f64 v[92:93], v[232:233], v[242:243], -v[92:93]
	v_fmac_f64_e32 v[152:153], v[234:235], v[242:243]
	ds_read2_b64 v[232:235], v244 offset0:98 offset1:99
	v_add_f64 v[36:37], v[36:37], -v[92:93]
	v_add_f64 v[38:39], v[38:39], -v[152:153]
	s_waitcnt lgkmcnt(1)
	v_mul_f64 v[92:93], v[250:251], v[94:95]
	v_mul_f64 v[152:153], v[248:249], v[94:95]
	v_fma_f64 v[92:93], v[248:249], v[242:243], -v[92:93]
	v_fmac_f64_e32 v[152:153], v[250:251], v[242:243]
	ds_read2_b64 v[248:251], v244 offset0:100 offset1:101
	v_add_f64 v[32:33], v[32:33], -v[92:93]
	v_add_f64 v[34:35], v[34:35], -v[152:153]
	s_waitcnt lgkmcnt(1)
	v_mul_f64 v[92:93], v[234:235], v[94:95]
	v_mul_f64 v[152:153], v[232:233], v[94:95]
	v_fma_f64 v[92:93], v[232:233], v[242:243], -v[92:93]
	v_fmac_f64_e32 v[152:153], v[234:235], v[242:243]
	ds_read2_b64 v[232:235], v244 offset0:102 offset1:103
	v_add_f64 v[28:29], v[28:29], -v[92:93]
	v_add_f64 v[30:31], v[30:31], -v[152:153]
	s_waitcnt lgkmcnt(1)
	v_mul_f64 v[92:93], v[250:251], v[94:95]
	v_mul_f64 v[152:153], v[248:249], v[94:95]
	v_fma_f64 v[92:93], v[248:249], v[242:243], -v[92:93]
	v_fmac_f64_e32 v[152:153], v[250:251], v[242:243]
	ds_read2_b64 v[248:251], v244 offset0:104 offset1:105
	v_add_f64 v[24:25], v[24:25], -v[92:93]
	v_add_f64 v[26:27], v[26:27], -v[152:153]
	s_waitcnt lgkmcnt(1)
	v_mul_f64 v[92:93], v[234:235], v[94:95]
	v_mul_f64 v[152:153], v[232:233], v[94:95]
	v_fma_f64 v[92:93], v[232:233], v[242:243], -v[92:93]
	v_fmac_f64_e32 v[152:153], v[234:235], v[242:243]
	ds_read2_b64 v[232:235], v244 offset0:106 offset1:107
	v_add_f64 v[20:21], v[20:21], -v[92:93]
	v_add_f64 v[22:23], v[22:23], -v[152:153]
	s_waitcnt lgkmcnt(1)
	v_mul_f64 v[92:93], v[250:251], v[94:95]
	v_mul_f64 v[152:153], v[248:249], v[94:95]
	v_fma_f64 v[92:93], v[248:249], v[242:243], -v[92:93]
	v_fmac_f64_e32 v[152:153], v[250:251], v[242:243]
	ds_read2_b64 v[248:251], v244 offset0:108 offset1:109
	v_add_f64 v[16:17], v[16:17], -v[92:93]
	v_add_f64 v[18:19], v[18:19], -v[152:153]
	s_waitcnt lgkmcnt(1)
	v_mul_f64 v[92:93], v[234:235], v[94:95]
	v_mul_f64 v[152:153], v[232:233], v[94:95]
	v_fma_f64 v[92:93], v[232:233], v[242:243], -v[92:93]
	v_fmac_f64_e32 v[152:153], v[234:235], v[242:243]
	ds_read2_b64 v[232:235], v244 offset0:110 offset1:111
	v_add_f64 v[12:13], v[12:13], -v[92:93]
	v_add_f64 v[14:15], v[14:15], -v[152:153]
	s_waitcnt lgkmcnt(1)
	v_mul_f64 v[92:93], v[250:251], v[94:95]
	v_mul_f64 v[152:153], v[248:249], v[94:95]
	v_fma_f64 v[92:93], v[248:249], v[242:243], -v[92:93]
	v_fmac_f64_e32 v[152:153], v[250:251], v[242:243]
	ds_read2_b64 v[248:251], v244 offset0:112 offset1:113
	v_add_f64 v[8:9], v[8:9], -v[92:93]
	v_add_f64 v[10:11], v[10:11], -v[152:153]
	s_waitcnt lgkmcnt(1)
	v_mul_f64 v[92:93], v[234:235], v[94:95]
	v_mul_f64 v[152:153], v[232:233], v[94:95]
	v_fma_f64 v[92:93], v[232:233], v[242:243], -v[92:93]
	v_fmac_f64_e32 v[152:153], v[234:235], v[242:243]
	ds_read2_b64 v[232:235], v244 offset0:114 offset1:115
	v_add_f64 v[224:225], v[224:225], -v[92:93]
	v_add_f64 v[226:227], v[226:227], -v[152:153]
	s_waitcnt lgkmcnt(1)
	v_mul_f64 v[92:93], v[250:251], v[94:95]
	v_mul_f64 v[152:153], v[248:249], v[94:95]
	v_fma_f64 v[92:93], v[248:249], v[242:243], -v[92:93]
	v_fmac_f64_e32 v[152:153], v[250:251], v[242:243]
	v_add_f64 v[0:1], v[0:1], -v[92:93]
	v_add_f64 v[2:3], v[2:3], -v[152:153]
	s_waitcnt lgkmcnt(0)
	v_mul_f64 v[92:93], v[234:235], v[94:95]
	v_mul_f64 v[152:153], v[232:233], v[94:95]
	v_fma_f64 v[92:93], v[232:233], v[242:243], -v[92:93]
	v_fmac_f64_e32 v[152:153], v[234:235], v[242:243]
	v_add_f64 v[228:229], v[228:229], -v[92:93]
	v_add_f64 v[230:231], v[230:231], -v[152:153]
	v_mov_b64_e32 v[92:93], v[242:243]
.LBB114_713:
	s_or_b64 exec, exec, s[0:1]
	v_lshl_add_u32 v152, v245, 4, v244
	s_barrier
	ds_write2_b64 v152, v[88:89], v[90:91] offset1:1
	s_waitcnt lgkmcnt(0)
	s_barrier
	ds_read2_b64 v[232:235], v244 offset0:68 offset1:69
	s_cmp_lt_i32 s20, 36
	v_mov_b32_e32 v242, 34
	s_cbranch_scc1 .LBB114_716
; %bb.714:
	v_add_u32_e32 v243, 0x230, v244
	s_mov_b32 s0, 35
	v_mov_b32_e32 v242, 34
.LBB114_715:                            ; =>This Inner Loop Header: Depth=1
	ds_read2_b64 v[248:251], v243 offset1:1
	s_waitcnt lgkmcnt(1)
	v_cmp_gt_f64_e32 vcc, 0, v[232:233]
	v_xor_b32_e32 v152, 0x80000000, v233
	v_xor_b32_e32 v154, 0x80000000, v235
	v_cndmask_b32_e32 v153, v233, v152, vcc
	v_cmp_gt_f64_e32 vcc, 0, v[234:235]
	v_mov_b32_e32 v152, v232
	s_waitcnt lgkmcnt(0)
	v_xor_b32_e32 v156, 0x80000000, v251
	v_cndmask_b32_e32 v155, v235, v154, vcc
	v_mov_b32_e32 v154, v234
	v_add_f64 v[152:153], v[152:153], v[154:155]
	v_cmp_gt_f64_e32 vcc, 0, v[248:249]
	v_xor_b32_e32 v154, 0x80000000, v249
	v_add_u32_e32 v243, 16, v243
	v_cndmask_b32_e32 v155, v249, v154, vcc
	v_cmp_gt_f64_e32 vcc, 0, v[250:251]
	v_mov_b32_e32 v154, v248
	s_nop 0
	v_cndmask_b32_e32 v157, v251, v156, vcc
	v_mov_b32_e32 v156, v250
	v_add_f64 v[154:155], v[154:155], v[156:157]
	v_cmp_lt_f64_e32 vcc, v[152:153], v[154:155]
	v_mov_b32_e32 v152, s0
	s_add_i32 s0, s0, 1
	v_cndmask_b32_e32 v233, v233, v249, vcc
	v_cndmask_b32_e32 v232, v232, v248, vcc
	;; [unrolled: 1-line block ×5, first 2 shown]
	s_cmp_lg_u32 s20, s0
	s_cbranch_scc1 .LBB114_715
.LBB114_716:
	s_waitcnt lgkmcnt(0)
	v_cmp_eq_f64_e32 vcc, 0, v[232:233]
	v_cmp_eq_f64_e64 s[0:1], 0, v[234:235]
	s_and_b64 s[0:1], vcc, s[0:1]
	s_and_saveexec_b64 s[16:17], s[0:1]
	s_xor_b64 s[0:1], exec, s[16:17]
; %bb.717:
	v_cmp_ne_u32_e32 vcc, 0, v246
	s_nop 1
	v_cndmask_b32_e32 v246, 35, v246, vcc
; %bb.718:
	s_andn2_saveexec_b64 s[0:1], s[0:1]
	s_cbranch_execz .LBB114_724
; %bb.719:
	v_cmp_ngt_f64_e64 s[16:17], |v[232:233]|, |v[234:235]|
	s_and_saveexec_b64 s[18:19], s[16:17]
	s_xor_b64 s[16:17], exec, s[18:19]
	s_cbranch_execz .LBB114_721
; %bb.720:
	v_div_scale_f64 v[152:153], s[18:19], v[234:235], v[234:235], v[232:233]
	v_rcp_f64_e32 v[154:155], v[152:153]
	v_div_scale_f64 v[156:157], vcc, v[232:233], v[234:235], v[232:233]
	v_fma_f64 v[158:159], -v[152:153], v[154:155], 1.0
	v_fmac_f64_e32 v[154:155], v[154:155], v[158:159]
	v_fma_f64 v[158:159], -v[152:153], v[154:155], 1.0
	v_fmac_f64_e32 v[154:155], v[154:155], v[158:159]
	v_mul_f64 v[158:159], v[156:157], v[154:155]
	v_fma_f64 v[152:153], -v[152:153], v[158:159], v[156:157]
	v_div_fmas_f64 v[152:153], v[152:153], v[154:155], v[158:159]
	v_div_fixup_f64 v[152:153], v[152:153], v[234:235], v[232:233]
	v_fmac_f64_e32 v[234:235], v[232:233], v[152:153]
	v_div_scale_f64 v[154:155], s[18:19], v[234:235], v[234:235], 1.0
	v_rcp_f64_e32 v[156:157], v[154:155]
	s_nop 0
	v_fma_f64 v[158:159], -v[154:155], v[156:157], 1.0
	v_fmac_f64_e32 v[156:157], v[156:157], v[158:159]
	v_fma_f64 v[158:159], -v[154:155], v[156:157], 1.0
	v_fmac_f64_e32 v[156:157], v[156:157], v[158:159]
	v_div_scale_f64 v[158:159], vcc, 1.0, v[234:235], 1.0
	v_mul_f64 v[220:221], v[158:159], v[156:157]
	v_fma_f64 v[154:155], -v[154:155], v[220:221], v[158:159]
	s_nop 1
	v_div_fmas_f64 v[154:155], v[154:155], v[156:157], v[220:221]
	v_div_fixup_f64 v[234:235], v[154:155], v[234:235], 1.0
	v_mul_f64 v[232:233], v[152:153], v[234:235]
	v_xor_b32_e32 v235, 0x80000000, v235
.LBB114_721:
	s_andn2_saveexec_b64 s[16:17], s[16:17]
	s_cbranch_execz .LBB114_723
; %bb.722:
	v_div_scale_f64 v[152:153], s[18:19], v[232:233], v[232:233], v[234:235]
	v_rcp_f64_e32 v[154:155], v[152:153]
	v_div_scale_f64 v[156:157], vcc, v[234:235], v[232:233], v[234:235]
	v_fma_f64 v[158:159], -v[152:153], v[154:155], 1.0
	v_fmac_f64_e32 v[154:155], v[154:155], v[158:159]
	v_fma_f64 v[158:159], -v[152:153], v[154:155], 1.0
	v_fmac_f64_e32 v[154:155], v[154:155], v[158:159]
	v_mul_f64 v[158:159], v[156:157], v[154:155]
	v_fma_f64 v[152:153], -v[152:153], v[158:159], v[156:157]
	v_div_fmas_f64 v[152:153], v[152:153], v[154:155], v[158:159]
	v_div_fixup_f64 v[152:153], v[152:153], v[232:233], v[234:235]
	v_fmac_f64_e32 v[232:233], v[234:235], v[152:153]
	v_div_scale_f64 v[154:155], s[18:19], v[232:233], v[232:233], 1.0
	v_rcp_f64_e32 v[156:157], v[154:155]
	s_nop 0
	v_fma_f64 v[158:159], -v[154:155], v[156:157], 1.0
	v_fmac_f64_e32 v[156:157], v[156:157], v[158:159]
	v_fma_f64 v[158:159], -v[154:155], v[156:157], 1.0
	v_fmac_f64_e32 v[156:157], v[156:157], v[158:159]
	v_div_scale_f64 v[158:159], vcc, 1.0, v[232:233], 1.0
	v_mul_f64 v[220:221], v[158:159], v[156:157]
	v_fma_f64 v[154:155], -v[154:155], v[220:221], v[158:159]
	s_nop 1
	v_div_fmas_f64 v[154:155], v[154:155], v[156:157], v[220:221]
	v_div_fixup_f64 v[232:233], v[154:155], v[232:233], 1.0
	v_mul_f64 v[234:235], v[152:153], -v[232:233]
.LBB114_723:
	s_or_b64 exec, exec, s[16:17]
.LBB114_724:
	s_or_b64 exec, exec, s[0:1]
	v_cmp_ne_u32_e32 vcc, v245, v242
	s_and_saveexec_b64 s[0:1], vcc
	s_xor_b64 s[0:1], exec, s[0:1]
	s_cbranch_execz .LBB114_730
; %bb.725:
	v_cmp_eq_u32_e32 vcc, 34, v245
	s_and_saveexec_b64 s[16:17], vcc
	s_cbranch_execz .LBB114_729
; %bb.726:
	v_cmp_ne_u32_e32 vcc, 34, v242
	s_xor_b64 s[18:19], s[14:15], -1
	s_and_b64 s[22:23], s[18:19], vcc
	s_and_saveexec_b64 s[18:19], s[22:23]
	s_cbranch_execz .LBB114_728
; %bb.727:
	v_ashrrev_i32_e32 v243, 31, v242
	v_lshl_add_u64 v[152:153], v[242:243], 2, v[4:5]
	global_load_dword v154, v[152:153], off
	global_load_dword v155, v[4:5], off offset:136
	s_waitcnt vmcnt(1)
	global_store_dword v[4:5], v154, off offset:136
	s_waitcnt vmcnt(1)
	global_store_dword v[152:153], v155, off
.LBB114_728:
	s_or_b64 exec, exec, s[18:19]
	v_mov_b32_e32 v245, v242
	v_mov_b32_e32 v236, v242
.LBB114_729:
	s_or_b64 exec, exec, s[16:17]
.LBB114_730:
	s_andn2_saveexec_b64 s[0:1], s[0:1]
	s_cbranch_execz .LBB114_732
; %bb.731:
	v_mov_b32_e32 v245, 34
	ds_write2_b64 v244, v[84:85], v[86:87] offset0:70 offset1:71
	ds_write2_b64 v244, v[80:81], v[82:83] offset0:72 offset1:73
	;; [unrolled: 1-line block ×23, first 2 shown]
.LBB114_732:
	s_or_b64 exec, exec, s[0:1]
	v_cmp_lt_i32_e32 vcc, 34, v245
	s_waitcnt lgkmcnt(0)
	s_barrier
	s_and_saveexec_b64 s[0:1], vcc
	s_cbranch_execz .LBB114_734
; %bb.733:
	ds_read2_b64 v[248:251], v244 offset0:70 offset1:71
	v_mul_f64 v[152:153], v[234:235], v[90:91]
	v_mul_f64 v[90:91], v[232:233], v[90:91]
	v_fma_f64 v[242:243], v[232:233], v[88:89], -v[152:153]
	v_fmac_f64_e32 v[90:91], v[234:235], v[88:89]
	ds_read2_b64 v[232:235], v244 offset0:72 offset1:73
	s_waitcnt lgkmcnt(1)
	v_mul_f64 v[88:89], v[250:251], v[90:91]
	v_mul_f64 v[152:153], v[248:249], v[90:91]
	v_fma_f64 v[88:89], v[248:249], v[242:243], -v[88:89]
	v_fmac_f64_e32 v[152:153], v[250:251], v[242:243]
	ds_read2_b64 v[248:251], v244 offset0:74 offset1:75
	v_add_f64 v[84:85], v[84:85], -v[88:89]
	v_add_f64 v[86:87], v[86:87], -v[152:153]
	s_waitcnt lgkmcnt(1)
	v_mul_f64 v[88:89], v[234:235], v[90:91]
	v_mul_f64 v[152:153], v[232:233], v[90:91]
	v_fma_f64 v[88:89], v[232:233], v[242:243], -v[88:89]
	v_fmac_f64_e32 v[152:153], v[234:235], v[242:243]
	ds_read2_b64 v[232:235], v244 offset0:76 offset1:77
	v_add_f64 v[80:81], v[80:81], -v[88:89]
	v_add_f64 v[82:83], v[82:83], -v[152:153]
	;; [unrolled: 8-line block ×21, first 2 shown]
	s_waitcnt lgkmcnt(1)
	v_mul_f64 v[88:89], v[234:235], v[90:91]
	v_mul_f64 v[152:153], v[232:233], v[90:91]
	v_fma_f64 v[88:89], v[232:233], v[242:243], -v[88:89]
	v_fmac_f64_e32 v[152:153], v[234:235], v[242:243]
	v_add_f64 v[0:1], v[0:1], -v[88:89]
	v_add_f64 v[2:3], v[2:3], -v[152:153]
	s_waitcnt lgkmcnt(0)
	v_mul_f64 v[88:89], v[250:251], v[90:91]
	v_mul_f64 v[152:153], v[248:249], v[90:91]
	v_fma_f64 v[88:89], v[248:249], v[242:243], -v[88:89]
	v_fmac_f64_e32 v[152:153], v[250:251], v[242:243]
	v_add_f64 v[228:229], v[228:229], -v[88:89]
	v_add_f64 v[230:231], v[230:231], -v[152:153]
	v_mov_b64_e32 v[88:89], v[242:243]
.LBB114_734:
	s_or_b64 exec, exec, s[0:1]
	v_lshl_add_u32 v152, v245, 4, v244
	s_barrier
	ds_write2_b64 v152, v[84:85], v[86:87] offset1:1
	s_waitcnt lgkmcnt(0)
	s_barrier
	ds_read2_b64 v[232:235], v244 offset0:70 offset1:71
	s_cmp_lt_i32 s20, 37
	v_mov_b32_e32 v242, 35
	s_cbranch_scc1 .LBB114_737
; %bb.735:
	v_add_u32_e32 v243, 0x240, v244
	s_mov_b32 s0, 36
	v_mov_b32_e32 v242, 35
.LBB114_736:                            ; =>This Inner Loop Header: Depth=1
	ds_read2_b64 v[248:251], v243 offset1:1
	s_waitcnt lgkmcnt(1)
	v_cmp_gt_f64_e32 vcc, 0, v[232:233]
	v_xor_b32_e32 v152, 0x80000000, v233
	v_xor_b32_e32 v154, 0x80000000, v235
	v_cndmask_b32_e32 v153, v233, v152, vcc
	v_cmp_gt_f64_e32 vcc, 0, v[234:235]
	v_mov_b32_e32 v152, v232
	s_waitcnt lgkmcnt(0)
	v_xor_b32_e32 v156, 0x80000000, v251
	v_cndmask_b32_e32 v155, v235, v154, vcc
	v_mov_b32_e32 v154, v234
	v_add_f64 v[152:153], v[152:153], v[154:155]
	v_cmp_gt_f64_e32 vcc, 0, v[248:249]
	v_xor_b32_e32 v154, 0x80000000, v249
	v_add_u32_e32 v243, 16, v243
	v_cndmask_b32_e32 v155, v249, v154, vcc
	v_cmp_gt_f64_e32 vcc, 0, v[250:251]
	v_mov_b32_e32 v154, v248
	s_nop 0
	v_cndmask_b32_e32 v157, v251, v156, vcc
	v_mov_b32_e32 v156, v250
	v_add_f64 v[154:155], v[154:155], v[156:157]
	v_cmp_lt_f64_e32 vcc, v[152:153], v[154:155]
	v_mov_b32_e32 v152, s0
	s_add_i32 s0, s0, 1
	v_cndmask_b32_e32 v233, v233, v249, vcc
	v_cndmask_b32_e32 v232, v232, v248, vcc
	;; [unrolled: 1-line block ×5, first 2 shown]
	s_cmp_lg_u32 s20, s0
	s_cbranch_scc1 .LBB114_736
.LBB114_737:
	s_waitcnt lgkmcnt(0)
	v_cmp_eq_f64_e32 vcc, 0, v[232:233]
	v_cmp_eq_f64_e64 s[0:1], 0, v[234:235]
	s_and_b64 s[0:1], vcc, s[0:1]
	s_and_saveexec_b64 s[16:17], s[0:1]
	s_xor_b64 s[0:1], exec, s[16:17]
; %bb.738:
	v_cmp_ne_u32_e32 vcc, 0, v246
	s_nop 1
	v_cndmask_b32_e32 v246, 36, v246, vcc
; %bb.739:
	s_andn2_saveexec_b64 s[0:1], s[0:1]
	s_cbranch_execz .LBB114_745
; %bb.740:
	v_cmp_ngt_f64_e64 s[16:17], |v[232:233]|, |v[234:235]|
	s_and_saveexec_b64 s[18:19], s[16:17]
	s_xor_b64 s[16:17], exec, s[18:19]
	s_cbranch_execz .LBB114_742
; %bb.741:
	v_div_scale_f64 v[152:153], s[18:19], v[234:235], v[234:235], v[232:233]
	v_rcp_f64_e32 v[154:155], v[152:153]
	v_div_scale_f64 v[156:157], vcc, v[232:233], v[234:235], v[232:233]
	v_fma_f64 v[158:159], -v[152:153], v[154:155], 1.0
	v_fmac_f64_e32 v[154:155], v[154:155], v[158:159]
	v_fma_f64 v[158:159], -v[152:153], v[154:155], 1.0
	v_fmac_f64_e32 v[154:155], v[154:155], v[158:159]
	v_mul_f64 v[158:159], v[156:157], v[154:155]
	v_fma_f64 v[152:153], -v[152:153], v[158:159], v[156:157]
	v_div_fmas_f64 v[152:153], v[152:153], v[154:155], v[158:159]
	v_div_fixup_f64 v[152:153], v[152:153], v[234:235], v[232:233]
	v_fmac_f64_e32 v[234:235], v[232:233], v[152:153]
	v_div_scale_f64 v[154:155], s[18:19], v[234:235], v[234:235], 1.0
	v_rcp_f64_e32 v[156:157], v[154:155]
	s_nop 0
	v_fma_f64 v[158:159], -v[154:155], v[156:157], 1.0
	v_fmac_f64_e32 v[156:157], v[156:157], v[158:159]
	v_fma_f64 v[158:159], -v[154:155], v[156:157], 1.0
	v_fmac_f64_e32 v[156:157], v[156:157], v[158:159]
	v_div_scale_f64 v[158:159], vcc, 1.0, v[234:235], 1.0
	v_mul_f64 v[220:221], v[158:159], v[156:157]
	v_fma_f64 v[154:155], -v[154:155], v[220:221], v[158:159]
	s_nop 1
	v_div_fmas_f64 v[154:155], v[154:155], v[156:157], v[220:221]
	v_div_fixup_f64 v[234:235], v[154:155], v[234:235], 1.0
	v_mul_f64 v[232:233], v[152:153], v[234:235]
	v_xor_b32_e32 v235, 0x80000000, v235
.LBB114_742:
	s_andn2_saveexec_b64 s[16:17], s[16:17]
	s_cbranch_execz .LBB114_744
; %bb.743:
	v_div_scale_f64 v[152:153], s[18:19], v[232:233], v[232:233], v[234:235]
	v_rcp_f64_e32 v[154:155], v[152:153]
	v_div_scale_f64 v[156:157], vcc, v[234:235], v[232:233], v[234:235]
	v_fma_f64 v[158:159], -v[152:153], v[154:155], 1.0
	v_fmac_f64_e32 v[154:155], v[154:155], v[158:159]
	v_fma_f64 v[158:159], -v[152:153], v[154:155], 1.0
	v_fmac_f64_e32 v[154:155], v[154:155], v[158:159]
	v_mul_f64 v[158:159], v[156:157], v[154:155]
	v_fma_f64 v[152:153], -v[152:153], v[158:159], v[156:157]
	v_div_fmas_f64 v[152:153], v[152:153], v[154:155], v[158:159]
	v_div_fixup_f64 v[152:153], v[152:153], v[232:233], v[234:235]
	v_fmac_f64_e32 v[232:233], v[234:235], v[152:153]
	v_div_scale_f64 v[154:155], s[18:19], v[232:233], v[232:233], 1.0
	v_rcp_f64_e32 v[156:157], v[154:155]
	s_nop 0
	v_fma_f64 v[158:159], -v[154:155], v[156:157], 1.0
	v_fmac_f64_e32 v[156:157], v[156:157], v[158:159]
	v_fma_f64 v[158:159], -v[154:155], v[156:157], 1.0
	v_fmac_f64_e32 v[156:157], v[156:157], v[158:159]
	v_div_scale_f64 v[158:159], vcc, 1.0, v[232:233], 1.0
	v_mul_f64 v[220:221], v[158:159], v[156:157]
	v_fma_f64 v[154:155], -v[154:155], v[220:221], v[158:159]
	s_nop 1
	v_div_fmas_f64 v[154:155], v[154:155], v[156:157], v[220:221]
	v_div_fixup_f64 v[232:233], v[154:155], v[232:233], 1.0
	v_mul_f64 v[234:235], v[152:153], -v[232:233]
.LBB114_744:
	s_or_b64 exec, exec, s[16:17]
.LBB114_745:
	s_or_b64 exec, exec, s[0:1]
	v_cmp_ne_u32_e32 vcc, v245, v242
	s_and_saveexec_b64 s[0:1], vcc
	s_xor_b64 s[0:1], exec, s[0:1]
	s_cbranch_execz .LBB114_751
; %bb.746:
	v_cmp_eq_u32_e32 vcc, 35, v245
	s_and_saveexec_b64 s[16:17], vcc
	s_cbranch_execz .LBB114_750
; %bb.747:
	v_cmp_ne_u32_e32 vcc, 35, v242
	s_xor_b64 s[18:19], s[14:15], -1
	s_and_b64 s[22:23], s[18:19], vcc
	s_and_saveexec_b64 s[18:19], s[22:23]
	s_cbranch_execz .LBB114_749
; %bb.748:
	v_ashrrev_i32_e32 v243, 31, v242
	v_lshl_add_u64 v[152:153], v[242:243], 2, v[4:5]
	global_load_dword v154, v[152:153], off
	global_load_dword v155, v[4:5], off offset:140
	s_waitcnt vmcnt(1)
	global_store_dword v[4:5], v154, off offset:140
	s_waitcnt vmcnt(1)
	global_store_dword v[152:153], v155, off
.LBB114_749:
	s_or_b64 exec, exec, s[18:19]
	v_mov_b32_e32 v245, v242
	v_mov_b32_e32 v236, v242
.LBB114_750:
	s_or_b64 exec, exec, s[16:17]
.LBB114_751:
	s_andn2_saveexec_b64 s[0:1], s[0:1]
	s_cbranch_execz .LBB114_753
; %bb.752:
	v_mov_b32_e32 v245, 35
	ds_write2_b64 v244, v[80:81], v[82:83] offset0:72 offset1:73
	ds_write2_b64 v244, v[76:77], v[78:79] offset0:74 offset1:75
	;; [unrolled: 1-line block ×22, first 2 shown]
.LBB114_753:
	s_or_b64 exec, exec, s[0:1]
	v_cmp_lt_i32_e32 vcc, 35, v245
	s_waitcnt lgkmcnt(0)
	s_barrier
	s_and_saveexec_b64 s[0:1], vcc
	s_cbranch_execz .LBB114_755
; %bb.754:
	ds_read2_b64 v[248:251], v244 offset0:72 offset1:73
	v_mul_f64 v[152:153], v[234:235], v[86:87]
	v_mul_f64 v[86:87], v[232:233], v[86:87]
	v_fma_f64 v[242:243], v[232:233], v[84:85], -v[152:153]
	v_fmac_f64_e32 v[86:87], v[234:235], v[84:85]
	ds_read2_b64 v[232:235], v244 offset0:74 offset1:75
	s_waitcnt lgkmcnt(1)
	v_mul_f64 v[84:85], v[250:251], v[86:87]
	v_mul_f64 v[152:153], v[248:249], v[86:87]
	v_fma_f64 v[84:85], v[248:249], v[242:243], -v[84:85]
	v_fmac_f64_e32 v[152:153], v[250:251], v[242:243]
	ds_read2_b64 v[248:251], v244 offset0:76 offset1:77
	v_add_f64 v[80:81], v[80:81], -v[84:85]
	v_add_f64 v[82:83], v[82:83], -v[152:153]
	s_waitcnt lgkmcnt(1)
	v_mul_f64 v[84:85], v[234:235], v[86:87]
	v_mul_f64 v[152:153], v[232:233], v[86:87]
	v_fma_f64 v[84:85], v[232:233], v[242:243], -v[84:85]
	v_fmac_f64_e32 v[152:153], v[234:235], v[242:243]
	ds_read2_b64 v[232:235], v244 offset0:78 offset1:79
	v_add_f64 v[76:77], v[76:77], -v[84:85]
	v_add_f64 v[78:79], v[78:79], -v[152:153]
	;; [unrolled: 8-line block ×20, first 2 shown]
	s_waitcnt lgkmcnt(1)
	v_mul_f64 v[84:85], v[250:251], v[86:87]
	v_mul_f64 v[152:153], v[248:249], v[86:87]
	v_fma_f64 v[84:85], v[248:249], v[242:243], -v[84:85]
	v_fmac_f64_e32 v[152:153], v[250:251], v[242:243]
	v_add_f64 v[0:1], v[0:1], -v[84:85]
	v_add_f64 v[2:3], v[2:3], -v[152:153]
	s_waitcnt lgkmcnt(0)
	v_mul_f64 v[84:85], v[234:235], v[86:87]
	v_mul_f64 v[152:153], v[232:233], v[86:87]
	v_fma_f64 v[84:85], v[232:233], v[242:243], -v[84:85]
	v_fmac_f64_e32 v[152:153], v[234:235], v[242:243]
	v_add_f64 v[228:229], v[228:229], -v[84:85]
	v_add_f64 v[230:231], v[230:231], -v[152:153]
	v_mov_b64_e32 v[84:85], v[242:243]
.LBB114_755:
	s_or_b64 exec, exec, s[0:1]
	v_lshl_add_u32 v152, v245, 4, v244
	s_barrier
	ds_write2_b64 v152, v[80:81], v[82:83] offset1:1
	s_waitcnt lgkmcnt(0)
	s_barrier
	ds_read2_b64 v[232:235], v244 offset0:72 offset1:73
	s_cmp_lt_i32 s20, 38
	v_mov_b32_e32 v242, 36
	s_cbranch_scc1 .LBB114_758
; %bb.756:
	v_add_u32_e32 v243, 0x250, v244
	s_mov_b32 s0, 37
	v_mov_b32_e32 v242, 36
.LBB114_757:                            ; =>This Inner Loop Header: Depth=1
	ds_read2_b64 v[248:251], v243 offset1:1
	s_waitcnt lgkmcnt(1)
	v_cmp_gt_f64_e32 vcc, 0, v[232:233]
	v_xor_b32_e32 v152, 0x80000000, v233
	v_xor_b32_e32 v154, 0x80000000, v235
	v_cndmask_b32_e32 v153, v233, v152, vcc
	v_cmp_gt_f64_e32 vcc, 0, v[234:235]
	v_mov_b32_e32 v152, v232
	s_waitcnt lgkmcnt(0)
	v_xor_b32_e32 v156, 0x80000000, v251
	v_cndmask_b32_e32 v155, v235, v154, vcc
	v_mov_b32_e32 v154, v234
	v_add_f64 v[152:153], v[152:153], v[154:155]
	v_cmp_gt_f64_e32 vcc, 0, v[248:249]
	v_xor_b32_e32 v154, 0x80000000, v249
	v_add_u32_e32 v243, 16, v243
	v_cndmask_b32_e32 v155, v249, v154, vcc
	v_cmp_gt_f64_e32 vcc, 0, v[250:251]
	v_mov_b32_e32 v154, v248
	s_nop 0
	v_cndmask_b32_e32 v157, v251, v156, vcc
	v_mov_b32_e32 v156, v250
	v_add_f64 v[154:155], v[154:155], v[156:157]
	v_cmp_lt_f64_e32 vcc, v[152:153], v[154:155]
	v_mov_b32_e32 v152, s0
	s_add_i32 s0, s0, 1
	v_cndmask_b32_e32 v233, v233, v249, vcc
	v_cndmask_b32_e32 v232, v232, v248, vcc
	;; [unrolled: 1-line block ×5, first 2 shown]
	s_cmp_lg_u32 s20, s0
	s_cbranch_scc1 .LBB114_757
.LBB114_758:
	s_waitcnt lgkmcnt(0)
	v_cmp_eq_f64_e32 vcc, 0, v[232:233]
	v_cmp_eq_f64_e64 s[0:1], 0, v[234:235]
	s_and_b64 s[0:1], vcc, s[0:1]
	s_and_saveexec_b64 s[16:17], s[0:1]
	s_xor_b64 s[0:1], exec, s[16:17]
; %bb.759:
	v_cmp_ne_u32_e32 vcc, 0, v246
	s_nop 1
	v_cndmask_b32_e32 v246, 37, v246, vcc
; %bb.760:
	s_andn2_saveexec_b64 s[0:1], s[0:1]
	s_cbranch_execz .LBB114_766
; %bb.761:
	v_cmp_ngt_f64_e64 s[16:17], |v[232:233]|, |v[234:235]|
	s_and_saveexec_b64 s[18:19], s[16:17]
	s_xor_b64 s[16:17], exec, s[18:19]
	s_cbranch_execz .LBB114_763
; %bb.762:
	v_div_scale_f64 v[152:153], s[18:19], v[234:235], v[234:235], v[232:233]
	v_rcp_f64_e32 v[154:155], v[152:153]
	v_div_scale_f64 v[156:157], vcc, v[232:233], v[234:235], v[232:233]
	v_fma_f64 v[158:159], -v[152:153], v[154:155], 1.0
	v_fmac_f64_e32 v[154:155], v[154:155], v[158:159]
	v_fma_f64 v[158:159], -v[152:153], v[154:155], 1.0
	v_fmac_f64_e32 v[154:155], v[154:155], v[158:159]
	v_mul_f64 v[158:159], v[156:157], v[154:155]
	v_fma_f64 v[152:153], -v[152:153], v[158:159], v[156:157]
	v_div_fmas_f64 v[152:153], v[152:153], v[154:155], v[158:159]
	v_div_fixup_f64 v[152:153], v[152:153], v[234:235], v[232:233]
	v_fmac_f64_e32 v[234:235], v[232:233], v[152:153]
	v_div_scale_f64 v[154:155], s[18:19], v[234:235], v[234:235], 1.0
	v_rcp_f64_e32 v[156:157], v[154:155]
	s_nop 0
	v_fma_f64 v[158:159], -v[154:155], v[156:157], 1.0
	v_fmac_f64_e32 v[156:157], v[156:157], v[158:159]
	v_fma_f64 v[158:159], -v[154:155], v[156:157], 1.0
	v_fmac_f64_e32 v[156:157], v[156:157], v[158:159]
	v_div_scale_f64 v[158:159], vcc, 1.0, v[234:235], 1.0
	v_mul_f64 v[220:221], v[158:159], v[156:157]
	v_fma_f64 v[154:155], -v[154:155], v[220:221], v[158:159]
	s_nop 1
	v_div_fmas_f64 v[154:155], v[154:155], v[156:157], v[220:221]
	v_div_fixup_f64 v[234:235], v[154:155], v[234:235], 1.0
	v_mul_f64 v[232:233], v[152:153], v[234:235]
	v_xor_b32_e32 v235, 0x80000000, v235
.LBB114_763:
	s_andn2_saveexec_b64 s[16:17], s[16:17]
	s_cbranch_execz .LBB114_765
; %bb.764:
	v_div_scale_f64 v[152:153], s[18:19], v[232:233], v[232:233], v[234:235]
	v_rcp_f64_e32 v[154:155], v[152:153]
	v_div_scale_f64 v[156:157], vcc, v[234:235], v[232:233], v[234:235]
	v_fma_f64 v[158:159], -v[152:153], v[154:155], 1.0
	v_fmac_f64_e32 v[154:155], v[154:155], v[158:159]
	v_fma_f64 v[158:159], -v[152:153], v[154:155], 1.0
	v_fmac_f64_e32 v[154:155], v[154:155], v[158:159]
	v_mul_f64 v[158:159], v[156:157], v[154:155]
	v_fma_f64 v[152:153], -v[152:153], v[158:159], v[156:157]
	v_div_fmas_f64 v[152:153], v[152:153], v[154:155], v[158:159]
	v_div_fixup_f64 v[152:153], v[152:153], v[232:233], v[234:235]
	v_fmac_f64_e32 v[232:233], v[234:235], v[152:153]
	v_div_scale_f64 v[154:155], s[18:19], v[232:233], v[232:233], 1.0
	v_rcp_f64_e32 v[156:157], v[154:155]
	s_nop 0
	v_fma_f64 v[158:159], -v[154:155], v[156:157], 1.0
	v_fmac_f64_e32 v[156:157], v[156:157], v[158:159]
	v_fma_f64 v[158:159], -v[154:155], v[156:157], 1.0
	v_fmac_f64_e32 v[156:157], v[156:157], v[158:159]
	v_div_scale_f64 v[158:159], vcc, 1.0, v[232:233], 1.0
	v_mul_f64 v[220:221], v[158:159], v[156:157]
	v_fma_f64 v[154:155], -v[154:155], v[220:221], v[158:159]
	s_nop 1
	v_div_fmas_f64 v[154:155], v[154:155], v[156:157], v[220:221]
	v_div_fixup_f64 v[232:233], v[154:155], v[232:233], 1.0
	v_mul_f64 v[234:235], v[152:153], -v[232:233]
.LBB114_765:
	s_or_b64 exec, exec, s[16:17]
.LBB114_766:
	s_or_b64 exec, exec, s[0:1]
	v_cmp_ne_u32_e32 vcc, v245, v242
	s_and_saveexec_b64 s[0:1], vcc
	s_xor_b64 s[0:1], exec, s[0:1]
	s_cbranch_execz .LBB114_772
; %bb.767:
	v_cmp_eq_u32_e32 vcc, 36, v245
	s_and_saveexec_b64 s[16:17], vcc
	s_cbranch_execz .LBB114_771
; %bb.768:
	v_cmp_ne_u32_e32 vcc, 36, v242
	s_xor_b64 s[18:19], s[14:15], -1
	s_and_b64 s[22:23], s[18:19], vcc
	s_and_saveexec_b64 s[18:19], s[22:23]
	s_cbranch_execz .LBB114_770
; %bb.769:
	v_ashrrev_i32_e32 v243, 31, v242
	v_lshl_add_u64 v[152:153], v[242:243], 2, v[4:5]
	global_load_dword v154, v[152:153], off
	global_load_dword v155, v[4:5], off offset:144
	s_waitcnt vmcnt(1)
	global_store_dword v[4:5], v154, off offset:144
	s_waitcnt vmcnt(1)
	global_store_dword v[152:153], v155, off
.LBB114_770:
	s_or_b64 exec, exec, s[18:19]
	v_mov_b32_e32 v245, v242
	v_mov_b32_e32 v236, v242
.LBB114_771:
	s_or_b64 exec, exec, s[16:17]
.LBB114_772:
	s_andn2_saveexec_b64 s[0:1], s[0:1]
	s_cbranch_execz .LBB114_774
; %bb.773:
	v_mov_b32_e32 v245, 36
	ds_write2_b64 v244, v[76:77], v[78:79] offset0:74 offset1:75
	ds_write2_b64 v244, v[72:73], v[74:75] offset0:76 offset1:77
	;; [unrolled: 1-line block ×21, first 2 shown]
.LBB114_774:
	s_or_b64 exec, exec, s[0:1]
	v_cmp_lt_i32_e32 vcc, 36, v245
	s_waitcnt lgkmcnt(0)
	s_barrier
	s_and_saveexec_b64 s[0:1], vcc
	s_cbranch_execz .LBB114_776
; %bb.775:
	ds_read2_b64 v[248:251], v244 offset0:74 offset1:75
	v_mul_f64 v[152:153], v[234:235], v[82:83]
	v_mul_f64 v[82:83], v[232:233], v[82:83]
	v_fma_f64 v[242:243], v[232:233], v[80:81], -v[152:153]
	v_fmac_f64_e32 v[82:83], v[234:235], v[80:81]
	ds_read2_b64 v[232:235], v244 offset0:76 offset1:77
	s_waitcnt lgkmcnt(1)
	v_mul_f64 v[80:81], v[250:251], v[82:83]
	v_mul_f64 v[152:153], v[248:249], v[82:83]
	v_fma_f64 v[80:81], v[248:249], v[242:243], -v[80:81]
	v_fmac_f64_e32 v[152:153], v[250:251], v[242:243]
	ds_read2_b64 v[248:251], v244 offset0:78 offset1:79
	v_add_f64 v[76:77], v[76:77], -v[80:81]
	v_add_f64 v[78:79], v[78:79], -v[152:153]
	s_waitcnt lgkmcnt(1)
	v_mul_f64 v[80:81], v[234:235], v[82:83]
	v_mul_f64 v[152:153], v[232:233], v[82:83]
	v_fma_f64 v[80:81], v[232:233], v[242:243], -v[80:81]
	v_fmac_f64_e32 v[152:153], v[234:235], v[242:243]
	ds_read2_b64 v[232:235], v244 offset0:80 offset1:81
	v_add_f64 v[72:73], v[72:73], -v[80:81]
	v_add_f64 v[74:75], v[74:75], -v[152:153]
	;; [unrolled: 8-line block ×19, first 2 shown]
	s_waitcnt lgkmcnt(1)
	v_mul_f64 v[80:81], v[234:235], v[82:83]
	v_mul_f64 v[152:153], v[232:233], v[82:83]
	v_fma_f64 v[80:81], v[232:233], v[242:243], -v[80:81]
	v_fmac_f64_e32 v[152:153], v[234:235], v[242:243]
	v_add_f64 v[0:1], v[0:1], -v[80:81]
	v_add_f64 v[2:3], v[2:3], -v[152:153]
	s_waitcnt lgkmcnt(0)
	v_mul_f64 v[80:81], v[250:251], v[82:83]
	v_mul_f64 v[152:153], v[248:249], v[82:83]
	v_fma_f64 v[80:81], v[248:249], v[242:243], -v[80:81]
	v_fmac_f64_e32 v[152:153], v[250:251], v[242:243]
	v_add_f64 v[228:229], v[228:229], -v[80:81]
	v_add_f64 v[230:231], v[230:231], -v[152:153]
	v_mov_b64_e32 v[80:81], v[242:243]
.LBB114_776:
	s_or_b64 exec, exec, s[0:1]
	v_lshl_add_u32 v152, v245, 4, v244
	s_barrier
	ds_write2_b64 v152, v[76:77], v[78:79] offset1:1
	s_waitcnt lgkmcnt(0)
	s_barrier
	ds_read2_b64 v[232:235], v244 offset0:74 offset1:75
	s_cmp_lt_i32 s20, 39
	v_mov_b32_e32 v242, 37
	s_cbranch_scc1 .LBB114_779
; %bb.777:
	v_add_u32_e32 v243, 0x260, v244
	s_mov_b32 s0, 38
	v_mov_b32_e32 v242, 37
.LBB114_778:                            ; =>This Inner Loop Header: Depth=1
	ds_read2_b64 v[248:251], v243 offset1:1
	s_waitcnt lgkmcnt(1)
	v_cmp_gt_f64_e32 vcc, 0, v[232:233]
	v_xor_b32_e32 v152, 0x80000000, v233
	v_xor_b32_e32 v154, 0x80000000, v235
	v_cndmask_b32_e32 v153, v233, v152, vcc
	v_cmp_gt_f64_e32 vcc, 0, v[234:235]
	v_mov_b32_e32 v152, v232
	s_waitcnt lgkmcnt(0)
	v_xor_b32_e32 v156, 0x80000000, v251
	v_cndmask_b32_e32 v155, v235, v154, vcc
	v_mov_b32_e32 v154, v234
	v_add_f64 v[152:153], v[152:153], v[154:155]
	v_cmp_gt_f64_e32 vcc, 0, v[248:249]
	v_xor_b32_e32 v154, 0x80000000, v249
	v_add_u32_e32 v243, 16, v243
	v_cndmask_b32_e32 v155, v249, v154, vcc
	v_cmp_gt_f64_e32 vcc, 0, v[250:251]
	v_mov_b32_e32 v154, v248
	s_nop 0
	v_cndmask_b32_e32 v157, v251, v156, vcc
	v_mov_b32_e32 v156, v250
	v_add_f64 v[154:155], v[154:155], v[156:157]
	v_cmp_lt_f64_e32 vcc, v[152:153], v[154:155]
	v_mov_b32_e32 v152, s0
	s_add_i32 s0, s0, 1
	v_cndmask_b32_e32 v233, v233, v249, vcc
	v_cndmask_b32_e32 v232, v232, v248, vcc
	;; [unrolled: 1-line block ×5, first 2 shown]
	s_cmp_lg_u32 s20, s0
	s_cbranch_scc1 .LBB114_778
.LBB114_779:
	s_waitcnt lgkmcnt(0)
	v_cmp_eq_f64_e32 vcc, 0, v[232:233]
	v_cmp_eq_f64_e64 s[0:1], 0, v[234:235]
	s_and_b64 s[0:1], vcc, s[0:1]
	s_and_saveexec_b64 s[16:17], s[0:1]
	s_xor_b64 s[0:1], exec, s[16:17]
; %bb.780:
	v_cmp_ne_u32_e32 vcc, 0, v246
	s_nop 1
	v_cndmask_b32_e32 v246, 38, v246, vcc
; %bb.781:
	s_andn2_saveexec_b64 s[0:1], s[0:1]
	s_cbranch_execz .LBB114_787
; %bb.782:
	v_cmp_ngt_f64_e64 s[16:17], |v[232:233]|, |v[234:235]|
	s_and_saveexec_b64 s[18:19], s[16:17]
	s_xor_b64 s[16:17], exec, s[18:19]
	s_cbranch_execz .LBB114_784
; %bb.783:
	v_div_scale_f64 v[152:153], s[18:19], v[234:235], v[234:235], v[232:233]
	v_rcp_f64_e32 v[154:155], v[152:153]
	v_div_scale_f64 v[156:157], vcc, v[232:233], v[234:235], v[232:233]
	v_fma_f64 v[158:159], -v[152:153], v[154:155], 1.0
	v_fmac_f64_e32 v[154:155], v[154:155], v[158:159]
	v_fma_f64 v[158:159], -v[152:153], v[154:155], 1.0
	v_fmac_f64_e32 v[154:155], v[154:155], v[158:159]
	v_mul_f64 v[158:159], v[156:157], v[154:155]
	v_fma_f64 v[152:153], -v[152:153], v[158:159], v[156:157]
	v_div_fmas_f64 v[152:153], v[152:153], v[154:155], v[158:159]
	v_div_fixup_f64 v[152:153], v[152:153], v[234:235], v[232:233]
	v_fmac_f64_e32 v[234:235], v[232:233], v[152:153]
	v_div_scale_f64 v[154:155], s[18:19], v[234:235], v[234:235], 1.0
	v_rcp_f64_e32 v[156:157], v[154:155]
	s_nop 0
	v_fma_f64 v[158:159], -v[154:155], v[156:157], 1.0
	v_fmac_f64_e32 v[156:157], v[156:157], v[158:159]
	v_fma_f64 v[158:159], -v[154:155], v[156:157], 1.0
	v_fmac_f64_e32 v[156:157], v[156:157], v[158:159]
	v_div_scale_f64 v[158:159], vcc, 1.0, v[234:235], 1.0
	v_mul_f64 v[220:221], v[158:159], v[156:157]
	v_fma_f64 v[154:155], -v[154:155], v[220:221], v[158:159]
	s_nop 1
	v_div_fmas_f64 v[154:155], v[154:155], v[156:157], v[220:221]
	v_div_fixup_f64 v[234:235], v[154:155], v[234:235], 1.0
	v_mul_f64 v[232:233], v[152:153], v[234:235]
	v_xor_b32_e32 v235, 0x80000000, v235
.LBB114_784:
	s_andn2_saveexec_b64 s[16:17], s[16:17]
	s_cbranch_execz .LBB114_786
; %bb.785:
	v_div_scale_f64 v[152:153], s[18:19], v[232:233], v[232:233], v[234:235]
	v_rcp_f64_e32 v[154:155], v[152:153]
	v_div_scale_f64 v[156:157], vcc, v[234:235], v[232:233], v[234:235]
	v_fma_f64 v[158:159], -v[152:153], v[154:155], 1.0
	v_fmac_f64_e32 v[154:155], v[154:155], v[158:159]
	v_fma_f64 v[158:159], -v[152:153], v[154:155], 1.0
	v_fmac_f64_e32 v[154:155], v[154:155], v[158:159]
	v_mul_f64 v[158:159], v[156:157], v[154:155]
	v_fma_f64 v[152:153], -v[152:153], v[158:159], v[156:157]
	v_div_fmas_f64 v[152:153], v[152:153], v[154:155], v[158:159]
	v_div_fixup_f64 v[152:153], v[152:153], v[232:233], v[234:235]
	v_fmac_f64_e32 v[232:233], v[234:235], v[152:153]
	v_div_scale_f64 v[154:155], s[18:19], v[232:233], v[232:233], 1.0
	v_rcp_f64_e32 v[156:157], v[154:155]
	s_nop 0
	v_fma_f64 v[158:159], -v[154:155], v[156:157], 1.0
	v_fmac_f64_e32 v[156:157], v[156:157], v[158:159]
	v_fma_f64 v[158:159], -v[154:155], v[156:157], 1.0
	v_fmac_f64_e32 v[156:157], v[156:157], v[158:159]
	v_div_scale_f64 v[158:159], vcc, 1.0, v[232:233], 1.0
	v_mul_f64 v[220:221], v[158:159], v[156:157]
	v_fma_f64 v[154:155], -v[154:155], v[220:221], v[158:159]
	s_nop 1
	v_div_fmas_f64 v[154:155], v[154:155], v[156:157], v[220:221]
	v_div_fixup_f64 v[232:233], v[154:155], v[232:233], 1.0
	v_mul_f64 v[234:235], v[152:153], -v[232:233]
.LBB114_786:
	s_or_b64 exec, exec, s[16:17]
.LBB114_787:
	s_or_b64 exec, exec, s[0:1]
	v_cmp_ne_u32_e32 vcc, v245, v242
	s_and_saveexec_b64 s[0:1], vcc
	s_xor_b64 s[0:1], exec, s[0:1]
	s_cbranch_execz .LBB114_793
; %bb.788:
	v_cmp_eq_u32_e32 vcc, 37, v245
	s_and_saveexec_b64 s[16:17], vcc
	s_cbranch_execz .LBB114_792
; %bb.789:
	v_cmp_ne_u32_e32 vcc, 37, v242
	s_xor_b64 s[18:19], s[14:15], -1
	s_and_b64 s[22:23], s[18:19], vcc
	s_and_saveexec_b64 s[18:19], s[22:23]
	s_cbranch_execz .LBB114_791
; %bb.790:
	v_ashrrev_i32_e32 v243, 31, v242
	v_lshl_add_u64 v[152:153], v[242:243], 2, v[4:5]
	global_load_dword v154, v[152:153], off
	global_load_dword v155, v[4:5], off offset:148
	s_waitcnt vmcnt(1)
	global_store_dword v[4:5], v154, off offset:148
	s_waitcnt vmcnt(1)
	global_store_dword v[152:153], v155, off
.LBB114_791:
	s_or_b64 exec, exec, s[18:19]
	v_mov_b32_e32 v245, v242
	v_mov_b32_e32 v236, v242
.LBB114_792:
	s_or_b64 exec, exec, s[16:17]
.LBB114_793:
	s_andn2_saveexec_b64 s[0:1], s[0:1]
	s_cbranch_execz .LBB114_795
; %bb.794:
	v_mov_b32_e32 v245, 37
	ds_write2_b64 v244, v[72:73], v[74:75] offset0:76 offset1:77
	ds_write2_b64 v244, v[68:69], v[70:71] offset0:78 offset1:79
	ds_write2_b64 v244, v[64:65], v[66:67] offset0:80 offset1:81
	ds_write2_b64 v244, v[60:61], v[62:63] offset0:82 offset1:83
	ds_write2_b64 v244, v[56:57], v[58:59] offset0:84 offset1:85
	ds_write2_b64 v244, v[52:53], v[54:55] offset0:86 offset1:87
	ds_write2_b64 v244, v[48:49], v[50:51] offset0:88 offset1:89
	ds_write2_b64 v244, v[44:45], v[46:47] offset0:90 offset1:91
	ds_write2_b64 v244, v[40:41], v[42:43] offset0:92 offset1:93
	ds_write2_b64 v244, v[36:37], v[38:39] offset0:94 offset1:95
	ds_write2_b64 v244, v[32:33], v[34:35] offset0:96 offset1:97
	ds_write2_b64 v244, v[28:29], v[30:31] offset0:98 offset1:99
	ds_write2_b64 v244, v[24:25], v[26:27] offset0:100 offset1:101
	ds_write2_b64 v244, v[20:21], v[22:23] offset0:102 offset1:103
	ds_write2_b64 v244, v[16:17], v[18:19] offset0:104 offset1:105
	ds_write2_b64 v244, v[12:13], v[14:15] offset0:106 offset1:107
	ds_write2_b64 v244, v[8:9], v[10:11] offset0:108 offset1:109
	ds_write2_b64 v244, v[224:225], v[226:227] offset0:110 offset1:111
	ds_write2_b64 v244, v[0:1], v[2:3] offset0:112 offset1:113
	ds_write2_b64 v244, v[228:229], v[230:231] offset0:114 offset1:115
.LBB114_795:
	s_or_b64 exec, exec, s[0:1]
	v_cmp_lt_i32_e32 vcc, 37, v245
	s_waitcnt lgkmcnt(0)
	s_barrier
	s_and_saveexec_b64 s[0:1], vcc
	s_cbranch_execz .LBB114_797
; %bb.796:
	ds_read2_b64 v[248:251], v244 offset0:76 offset1:77
	v_mul_f64 v[152:153], v[234:235], v[78:79]
	v_mul_f64 v[78:79], v[232:233], v[78:79]
	v_fma_f64 v[242:243], v[232:233], v[76:77], -v[152:153]
	v_fmac_f64_e32 v[78:79], v[234:235], v[76:77]
	ds_read2_b64 v[232:235], v244 offset0:78 offset1:79
	s_waitcnt lgkmcnt(1)
	v_mul_f64 v[76:77], v[250:251], v[78:79]
	v_mul_f64 v[152:153], v[248:249], v[78:79]
	v_fma_f64 v[76:77], v[248:249], v[242:243], -v[76:77]
	v_fmac_f64_e32 v[152:153], v[250:251], v[242:243]
	ds_read2_b64 v[248:251], v244 offset0:80 offset1:81
	v_add_f64 v[72:73], v[72:73], -v[76:77]
	v_add_f64 v[74:75], v[74:75], -v[152:153]
	s_waitcnt lgkmcnt(1)
	v_mul_f64 v[76:77], v[234:235], v[78:79]
	v_mul_f64 v[152:153], v[232:233], v[78:79]
	v_fma_f64 v[76:77], v[232:233], v[242:243], -v[76:77]
	v_fmac_f64_e32 v[152:153], v[234:235], v[242:243]
	ds_read2_b64 v[232:235], v244 offset0:82 offset1:83
	v_add_f64 v[68:69], v[68:69], -v[76:77]
	v_add_f64 v[70:71], v[70:71], -v[152:153]
	;; [unrolled: 8-line block ×18, first 2 shown]
	s_waitcnt lgkmcnt(1)
	v_mul_f64 v[76:77], v[250:251], v[78:79]
	v_mul_f64 v[152:153], v[248:249], v[78:79]
	v_fma_f64 v[76:77], v[248:249], v[242:243], -v[76:77]
	v_fmac_f64_e32 v[152:153], v[250:251], v[242:243]
	v_add_f64 v[0:1], v[0:1], -v[76:77]
	v_add_f64 v[2:3], v[2:3], -v[152:153]
	s_waitcnt lgkmcnt(0)
	v_mul_f64 v[76:77], v[234:235], v[78:79]
	v_mul_f64 v[152:153], v[232:233], v[78:79]
	v_fma_f64 v[76:77], v[232:233], v[242:243], -v[76:77]
	v_fmac_f64_e32 v[152:153], v[234:235], v[242:243]
	v_add_f64 v[228:229], v[228:229], -v[76:77]
	v_add_f64 v[230:231], v[230:231], -v[152:153]
	v_mov_b64_e32 v[76:77], v[242:243]
.LBB114_797:
	s_or_b64 exec, exec, s[0:1]
	v_lshl_add_u32 v152, v245, 4, v244
	s_barrier
	ds_write2_b64 v152, v[72:73], v[74:75] offset1:1
	s_waitcnt lgkmcnt(0)
	s_barrier
	ds_read2_b64 v[232:235], v244 offset0:76 offset1:77
	s_cmp_lt_i32 s20, 40
	v_mov_b32_e32 v242, 38
	s_cbranch_scc1 .LBB114_800
; %bb.798:
	v_add_u32_e32 v243, 0x270, v244
	s_mov_b32 s0, 39
	v_mov_b32_e32 v242, 38
.LBB114_799:                            ; =>This Inner Loop Header: Depth=1
	ds_read2_b64 v[248:251], v243 offset1:1
	s_waitcnt lgkmcnt(1)
	v_cmp_gt_f64_e32 vcc, 0, v[232:233]
	v_xor_b32_e32 v152, 0x80000000, v233
	v_xor_b32_e32 v154, 0x80000000, v235
	v_cndmask_b32_e32 v153, v233, v152, vcc
	v_cmp_gt_f64_e32 vcc, 0, v[234:235]
	v_mov_b32_e32 v152, v232
	s_waitcnt lgkmcnt(0)
	v_xor_b32_e32 v156, 0x80000000, v251
	v_cndmask_b32_e32 v155, v235, v154, vcc
	v_mov_b32_e32 v154, v234
	v_add_f64 v[152:153], v[152:153], v[154:155]
	v_cmp_gt_f64_e32 vcc, 0, v[248:249]
	v_xor_b32_e32 v154, 0x80000000, v249
	v_add_u32_e32 v243, 16, v243
	v_cndmask_b32_e32 v155, v249, v154, vcc
	v_cmp_gt_f64_e32 vcc, 0, v[250:251]
	v_mov_b32_e32 v154, v248
	s_nop 0
	v_cndmask_b32_e32 v157, v251, v156, vcc
	v_mov_b32_e32 v156, v250
	v_add_f64 v[154:155], v[154:155], v[156:157]
	v_cmp_lt_f64_e32 vcc, v[152:153], v[154:155]
	v_mov_b32_e32 v152, s0
	s_add_i32 s0, s0, 1
	v_cndmask_b32_e32 v233, v233, v249, vcc
	v_cndmask_b32_e32 v232, v232, v248, vcc
	;; [unrolled: 1-line block ×5, first 2 shown]
	s_cmp_lg_u32 s20, s0
	s_cbranch_scc1 .LBB114_799
.LBB114_800:
	s_waitcnt lgkmcnt(0)
	v_cmp_eq_f64_e32 vcc, 0, v[232:233]
	v_cmp_eq_f64_e64 s[0:1], 0, v[234:235]
	s_and_b64 s[0:1], vcc, s[0:1]
	s_and_saveexec_b64 s[16:17], s[0:1]
	s_xor_b64 s[0:1], exec, s[16:17]
; %bb.801:
	v_cmp_ne_u32_e32 vcc, 0, v246
	s_nop 1
	v_cndmask_b32_e32 v246, 39, v246, vcc
; %bb.802:
	s_andn2_saveexec_b64 s[0:1], s[0:1]
	s_cbranch_execz .LBB114_808
; %bb.803:
	v_cmp_ngt_f64_e64 s[16:17], |v[232:233]|, |v[234:235]|
	s_and_saveexec_b64 s[18:19], s[16:17]
	s_xor_b64 s[16:17], exec, s[18:19]
	s_cbranch_execz .LBB114_805
; %bb.804:
	v_div_scale_f64 v[152:153], s[18:19], v[234:235], v[234:235], v[232:233]
	v_rcp_f64_e32 v[154:155], v[152:153]
	v_div_scale_f64 v[156:157], vcc, v[232:233], v[234:235], v[232:233]
	v_fma_f64 v[158:159], -v[152:153], v[154:155], 1.0
	v_fmac_f64_e32 v[154:155], v[154:155], v[158:159]
	v_fma_f64 v[158:159], -v[152:153], v[154:155], 1.0
	v_fmac_f64_e32 v[154:155], v[154:155], v[158:159]
	v_mul_f64 v[158:159], v[156:157], v[154:155]
	v_fma_f64 v[152:153], -v[152:153], v[158:159], v[156:157]
	v_div_fmas_f64 v[152:153], v[152:153], v[154:155], v[158:159]
	v_div_fixup_f64 v[152:153], v[152:153], v[234:235], v[232:233]
	v_fmac_f64_e32 v[234:235], v[232:233], v[152:153]
	v_div_scale_f64 v[154:155], s[18:19], v[234:235], v[234:235], 1.0
	v_rcp_f64_e32 v[156:157], v[154:155]
	s_nop 0
	v_fma_f64 v[158:159], -v[154:155], v[156:157], 1.0
	v_fmac_f64_e32 v[156:157], v[156:157], v[158:159]
	v_fma_f64 v[158:159], -v[154:155], v[156:157], 1.0
	v_fmac_f64_e32 v[156:157], v[156:157], v[158:159]
	v_div_scale_f64 v[158:159], vcc, 1.0, v[234:235], 1.0
	v_mul_f64 v[220:221], v[158:159], v[156:157]
	v_fma_f64 v[154:155], -v[154:155], v[220:221], v[158:159]
	s_nop 1
	v_div_fmas_f64 v[154:155], v[154:155], v[156:157], v[220:221]
	v_div_fixup_f64 v[234:235], v[154:155], v[234:235], 1.0
	v_mul_f64 v[232:233], v[152:153], v[234:235]
	v_xor_b32_e32 v235, 0x80000000, v235
.LBB114_805:
	s_andn2_saveexec_b64 s[16:17], s[16:17]
	s_cbranch_execz .LBB114_807
; %bb.806:
	v_div_scale_f64 v[152:153], s[18:19], v[232:233], v[232:233], v[234:235]
	v_rcp_f64_e32 v[154:155], v[152:153]
	v_div_scale_f64 v[156:157], vcc, v[234:235], v[232:233], v[234:235]
	v_fma_f64 v[158:159], -v[152:153], v[154:155], 1.0
	v_fmac_f64_e32 v[154:155], v[154:155], v[158:159]
	v_fma_f64 v[158:159], -v[152:153], v[154:155], 1.0
	v_fmac_f64_e32 v[154:155], v[154:155], v[158:159]
	v_mul_f64 v[158:159], v[156:157], v[154:155]
	v_fma_f64 v[152:153], -v[152:153], v[158:159], v[156:157]
	v_div_fmas_f64 v[152:153], v[152:153], v[154:155], v[158:159]
	v_div_fixup_f64 v[152:153], v[152:153], v[232:233], v[234:235]
	v_fmac_f64_e32 v[232:233], v[234:235], v[152:153]
	v_div_scale_f64 v[154:155], s[18:19], v[232:233], v[232:233], 1.0
	v_rcp_f64_e32 v[156:157], v[154:155]
	s_nop 0
	v_fma_f64 v[158:159], -v[154:155], v[156:157], 1.0
	v_fmac_f64_e32 v[156:157], v[156:157], v[158:159]
	v_fma_f64 v[158:159], -v[154:155], v[156:157], 1.0
	v_fmac_f64_e32 v[156:157], v[156:157], v[158:159]
	v_div_scale_f64 v[158:159], vcc, 1.0, v[232:233], 1.0
	v_mul_f64 v[220:221], v[158:159], v[156:157]
	v_fma_f64 v[154:155], -v[154:155], v[220:221], v[158:159]
	s_nop 1
	v_div_fmas_f64 v[154:155], v[154:155], v[156:157], v[220:221]
	v_div_fixup_f64 v[232:233], v[154:155], v[232:233], 1.0
	v_mul_f64 v[234:235], v[152:153], -v[232:233]
.LBB114_807:
	s_or_b64 exec, exec, s[16:17]
.LBB114_808:
	s_or_b64 exec, exec, s[0:1]
	v_cmp_ne_u32_e32 vcc, v245, v242
	s_and_saveexec_b64 s[0:1], vcc
	s_xor_b64 s[0:1], exec, s[0:1]
	s_cbranch_execz .LBB114_814
; %bb.809:
	v_cmp_eq_u32_e32 vcc, 38, v245
	s_and_saveexec_b64 s[16:17], vcc
	s_cbranch_execz .LBB114_813
; %bb.810:
	v_cmp_ne_u32_e32 vcc, 38, v242
	s_xor_b64 s[18:19], s[14:15], -1
	s_and_b64 s[22:23], s[18:19], vcc
	s_and_saveexec_b64 s[18:19], s[22:23]
	s_cbranch_execz .LBB114_812
; %bb.811:
	v_ashrrev_i32_e32 v243, 31, v242
	v_lshl_add_u64 v[152:153], v[242:243], 2, v[4:5]
	global_load_dword v154, v[152:153], off
	global_load_dword v155, v[4:5], off offset:152
	s_waitcnt vmcnt(1)
	global_store_dword v[4:5], v154, off offset:152
	s_waitcnt vmcnt(1)
	global_store_dword v[152:153], v155, off
.LBB114_812:
	s_or_b64 exec, exec, s[18:19]
	v_mov_b32_e32 v245, v242
	v_mov_b32_e32 v236, v242
.LBB114_813:
	s_or_b64 exec, exec, s[16:17]
.LBB114_814:
	s_andn2_saveexec_b64 s[0:1], s[0:1]
	s_cbranch_execz .LBB114_816
; %bb.815:
	v_mov_b32_e32 v245, 38
	ds_write2_b64 v244, v[68:69], v[70:71] offset0:78 offset1:79
	ds_write2_b64 v244, v[64:65], v[66:67] offset0:80 offset1:81
	;; [unrolled: 1-line block ×19, first 2 shown]
.LBB114_816:
	s_or_b64 exec, exec, s[0:1]
	v_cmp_lt_i32_e32 vcc, 38, v245
	s_waitcnt lgkmcnt(0)
	s_barrier
	s_and_saveexec_b64 s[0:1], vcc
	s_cbranch_execz .LBB114_818
; %bb.817:
	ds_read2_b64 v[248:251], v244 offset0:78 offset1:79
	v_mul_f64 v[152:153], v[234:235], v[74:75]
	v_mul_f64 v[74:75], v[232:233], v[74:75]
	v_fma_f64 v[242:243], v[232:233], v[72:73], -v[152:153]
	v_fmac_f64_e32 v[74:75], v[234:235], v[72:73]
	ds_read2_b64 v[232:235], v244 offset0:80 offset1:81
	s_waitcnt lgkmcnt(1)
	v_mul_f64 v[72:73], v[250:251], v[74:75]
	v_mul_f64 v[152:153], v[248:249], v[74:75]
	v_fma_f64 v[72:73], v[248:249], v[242:243], -v[72:73]
	v_fmac_f64_e32 v[152:153], v[250:251], v[242:243]
	ds_read2_b64 v[248:251], v244 offset0:82 offset1:83
	v_add_f64 v[68:69], v[68:69], -v[72:73]
	v_add_f64 v[70:71], v[70:71], -v[152:153]
	s_waitcnt lgkmcnt(1)
	v_mul_f64 v[72:73], v[234:235], v[74:75]
	v_mul_f64 v[152:153], v[232:233], v[74:75]
	v_fma_f64 v[72:73], v[232:233], v[242:243], -v[72:73]
	v_fmac_f64_e32 v[152:153], v[234:235], v[242:243]
	ds_read2_b64 v[232:235], v244 offset0:84 offset1:85
	v_add_f64 v[64:65], v[64:65], -v[72:73]
	v_add_f64 v[66:67], v[66:67], -v[152:153]
	;; [unrolled: 8-line block ×17, first 2 shown]
	s_waitcnt lgkmcnt(1)
	v_mul_f64 v[72:73], v[234:235], v[74:75]
	v_mul_f64 v[152:153], v[232:233], v[74:75]
	v_fma_f64 v[72:73], v[232:233], v[242:243], -v[72:73]
	v_fmac_f64_e32 v[152:153], v[234:235], v[242:243]
	v_add_f64 v[0:1], v[0:1], -v[72:73]
	v_add_f64 v[2:3], v[2:3], -v[152:153]
	s_waitcnt lgkmcnt(0)
	v_mul_f64 v[72:73], v[250:251], v[74:75]
	v_mul_f64 v[152:153], v[248:249], v[74:75]
	v_fma_f64 v[72:73], v[248:249], v[242:243], -v[72:73]
	v_fmac_f64_e32 v[152:153], v[250:251], v[242:243]
	v_add_f64 v[228:229], v[228:229], -v[72:73]
	v_add_f64 v[230:231], v[230:231], -v[152:153]
	v_mov_b64_e32 v[72:73], v[242:243]
.LBB114_818:
	s_or_b64 exec, exec, s[0:1]
	v_lshl_add_u32 v152, v245, 4, v244
	s_barrier
	ds_write2_b64 v152, v[68:69], v[70:71] offset1:1
	s_waitcnt lgkmcnt(0)
	s_barrier
	ds_read2_b64 v[232:235], v244 offset0:78 offset1:79
	s_cmp_lt_i32 s20, 41
	v_mov_b32_e32 v242, 39
	s_cbranch_scc1 .LBB114_821
; %bb.819:
	v_add_u32_e32 v243, 0x280, v244
	s_mov_b32 s0, 40
	v_mov_b32_e32 v242, 39
.LBB114_820:                            ; =>This Inner Loop Header: Depth=1
	ds_read2_b64 v[248:251], v243 offset1:1
	s_waitcnt lgkmcnt(1)
	v_cmp_gt_f64_e32 vcc, 0, v[232:233]
	v_xor_b32_e32 v152, 0x80000000, v233
	v_xor_b32_e32 v154, 0x80000000, v235
	v_cndmask_b32_e32 v153, v233, v152, vcc
	v_cmp_gt_f64_e32 vcc, 0, v[234:235]
	v_mov_b32_e32 v152, v232
	s_waitcnt lgkmcnt(0)
	v_xor_b32_e32 v156, 0x80000000, v251
	v_cndmask_b32_e32 v155, v235, v154, vcc
	v_mov_b32_e32 v154, v234
	v_add_f64 v[152:153], v[152:153], v[154:155]
	v_cmp_gt_f64_e32 vcc, 0, v[248:249]
	v_xor_b32_e32 v154, 0x80000000, v249
	v_add_u32_e32 v243, 16, v243
	v_cndmask_b32_e32 v155, v249, v154, vcc
	v_cmp_gt_f64_e32 vcc, 0, v[250:251]
	v_mov_b32_e32 v154, v248
	s_nop 0
	v_cndmask_b32_e32 v157, v251, v156, vcc
	v_mov_b32_e32 v156, v250
	v_add_f64 v[154:155], v[154:155], v[156:157]
	v_cmp_lt_f64_e32 vcc, v[152:153], v[154:155]
	v_mov_b32_e32 v152, s0
	s_add_i32 s0, s0, 1
	v_cndmask_b32_e32 v233, v233, v249, vcc
	v_cndmask_b32_e32 v232, v232, v248, vcc
	;; [unrolled: 1-line block ×5, first 2 shown]
	s_cmp_lg_u32 s20, s0
	s_cbranch_scc1 .LBB114_820
.LBB114_821:
	s_waitcnt lgkmcnt(0)
	v_cmp_eq_f64_e32 vcc, 0, v[232:233]
	v_cmp_eq_f64_e64 s[0:1], 0, v[234:235]
	s_and_b64 s[0:1], vcc, s[0:1]
	s_and_saveexec_b64 s[16:17], s[0:1]
	s_xor_b64 s[0:1], exec, s[16:17]
; %bb.822:
	v_cmp_ne_u32_e32 vcc, 0, v246
	s_nop 1
	v_cndmask_b32_e32 v246, 40, v246, vcc
; %bb.823:
	s_andn2_saveexec_b64 s[0:1], s[0:1]
	s_cbranch_execz .LBB114_829
; %bb.824:
	v_cmp_ngt_f64_e64 s[16:17], |v[232:233]|, |v[234:235]|
	s_and_saveexec_b64 s[18:19], s[16:17]
	s_xor_b64 s[16:17], exec, s[18:19]
	s_cbranch_execz .LBB114_826
; %bb.825:
	v_div_scale_f64 v[152:153], s[18:19], v[234:235], v[234:235], v[232:233]
	v_rcp_f64_e32 v[154:155], v[152:153]
	v_div_scale_f64 v[156:157], vcc, v[232:233], v[234:235], v[232:233]
	v_fma_f64 v[158:159], -v[152:153], v[154:155], 1.0
	v_fmac_f64_e32 v[154:155], v[154:155], v[158:159]
	v_fma_f64 v[158:159], -v[152:153], v[154:155], 1.0
	v_fmac_f64_e32 v[154:155], v[154:155], v[158:159]
	v_mul_f64 v[158:159], v[156:157], v[154:155]
	v_fma_f64 v[152:153], -v[152:153], v[158:159], v[156:157]
	v_div_fmas_f64 v[152:153], v[152:153], v[154:155], v[158:159]
	v_div_fixup_f64 v[152:153], v[152:153], v[234:235], v[232:233]
	v_fmac_f64_e32 v[234:235], v[232:233], v[152:153]
	v_div_scale_f64 v[154:155], s[18:19], v[234:235], v[234:235], 1.0
	v_rcp_f64_e32 v[156:157], v[154:155]
	s_nop 0
	v_fma_f64 v[158:159], -v[154:155], v[156:157], 1.0
	v_fmac_f64_e32 v[156:157], v[156:157], v[158:159]
	v_fma_f64 v[158:159], -v[154:155], v[156:157], 1.0
	v_fmac_f64_e32 v[156:157], v[156:157], v[158:159]
	v_div_scale_f64 v[158:159], vcc, 1.0, v[234:235], 1.0
	v_mul_f64 v[220:221], v[158:159], v[156:157]
	v_fma_f64 v[154:155], -v[154:155], v[220:221], v[158:159]
	s_nop 1
	v_div_fmas_f64 v[154:155], v[154:155], v[156:157], v[220:221]
	v_div_fixup_f64 v[234:235], v[154:155], v[234:235], 1.0
	v_mul_f64 v[232:233], v[152:153], v[234:235]
	v_xor_b32_e32 v235, 0x80000000, v235
.LBB114_826:
	s_andn2_saveexec_b64 s[16:17], s[16:17]
	s_cbranch_execz .LBB114_828
; %bb.827:
	v_div_scale_f64 v[152:153], s[18:19], v[232:233], v[232:233], v[234:235]
	v_rcp_f64_e32 v[154:155], v[152:153]
	v_div_scale_f64 v[156:157], vcc, v[234:235], v[232:233], v[234:235]
	v_fma_f64 v[158:159], -v[152:153], v[154:155], 1.0
	v_fmac_f64_e32 v[154:155], v[154:155], v[158:159]
	v_fma_f64 v[158:159], -v[152:153], v[154:155], 1.0
	v_fmac_f64_e32 v[154:155], v[154:155], v[158:159]
	v_mul_f64 v[158:159], v[156:157], v[154:155]
	v_fma_f64 v[152:153], -v[152:153], v[158:159], v[156:157]
	v_div_fmas_f64 v[152:153], v[152:153], v[154:155], v[158:159]
	v_div_fixup_f64 v[152:153], v[152:153], v[232:233], v[234:235]
	v_fmac_f64_e32 v[232:233], v[234:235], v[152:153]
	v_div_scale_f64 v[154:155], s[18:19], v[232:233], v[232:233], 1.0
	v_rcp_f64_e32 v[156:157], v[154:155]
	s_nop 0
	v_fma_f64 v[158:159], -v[154:155], v[156:157], 1.0
	v_fmac_f64_e32 v[156:157], v[156:157], v[158:159]
	v_fma_f64 v[158:159], -v[154:155], v[156:157], 1.0
	v_fmac_f64_e32 v[156:157], v[156:157], v[158:159]
	v_div_scale_f64 v[158:159], vcc, 1.0, v[232:233], 1.0
	v_mul_f64 v[220:221], v[158:159], v[156:157]
	v_fma_f64 v[154:155], -v[154:155], v[220:221], v[158:159]
	s_nop 1
	v_div_fmas_f64 v[154:155], v[154:155], v[156:157], v[220:221]
	v_div_fixup_f64 v[232:233], v[154:155], v[232:233], 1.0
	v_mul_f64 v[234:235], v[152:153], -v[232:233]
.LBB114_828:
	s_or_b64 exec, exec, s[16:17]
.LBB114_829:
	s_or_b64 exec, exec, s[0:1]
	v_cmp_ne_u32_e32 vcc, v245, v242
	s_and_saveexec_b64 s[0:1], vcc
	s_xor_b64 s[0:1], exec, s[0:1]
	s_cbranch_execz .LBB114_835
; %bb.830:
	v_cmp_eq_u32_e32 vcc, 39, v245
	s_and_saveexec_b64 s[16:17], vcc
	s_cbranch_execz .LBB114_834
; %bb.831:
	v_cmp_ne_u32_e32 vcc, 39, v242
	s_xor_b64 s[18:19], s[14:15], -1
	s_and_b64 s[22:23], s[18:19], vcc
	s_and_saveexec_b64 s[18:19], s[22:23]
	s_cbranch_execz .LBB114_833
; %bb.832:
	v_ashrrev_i32_e32 v243, 31, v242
	v_lshl_add_u64 v[152:153], v[242:243], 2, v[4:5]
	global_load_dword v154, v[152:153], off
	global_load_dword v155, v[4:5], off offset:156
	s_waitcnt vmcnt(1)
	global_store_dword v[4:5], v154, off offset:156
	s_waitcnt vmcnt(1)
	global_store_dword v[152:153], v155, off
.LBB114_833:
	s_or_b64 exec, exec, s[18:19]
	v_mov_b32_e32 v245, v242
	v_mov_b32_e32 v236, v242
.LBB114_834:
	s_or_b64 exec, exec, s[16:17]
.LBB114_835:
	s_andn2_saveexec_b64 s[0:1], s[0:1]
	s_cbranch_execz .LBB114_837
; %bb.836:
	v_mov_b32_e32 v245, 39
	ds_write2_b64 v244, v[64:65], v[66:67] offset0:80 offset1:81
	ds_write2_b64 v244, v[60:61], v[62:63] offset0:82 offset1:83
	;; [unrolled: 1-line block ×18, first 2 shown]
.LBB114_837:
	s_or_b64 exec, exec, s[0:1]
	v_cmp_lt_i32_e32 vcc, 39, v245
	s_waitcnt lgkmcnt(0)
	s_barrier
	s_and_saveexec_b64 s[0:1], vcc
	s_cbranch_execz .LBB114_839
; %bb.838:
	ds_read2_b64 v[248:251], v244 offset0:80 offset1:81
	v_mul_f64 v[152:153], v[234:235], v[70:71]
	v_mul_f64 v[70:71], v[232:233], v[70:71]
	v_fma_f64 v[242:243], v[232:233], v[68:69], -v[152:153]
	v_fmac_f64_e32 v[70:71], v[234:235], v[68:69]
	ds_read2_b64 v[232:235], v244 offset0:82 offset1:83
	s_waitcnt lgkmcnt(1)
	v_mul_f64 v[68:69], v[250:251], v[70:71]
	v_mul_f64 v[152:153], v[248:249], v[70:71]
	v_fma_f64 v[68:69], v[248:249], v[242:243], -v[68:69]
	v_fmac_f64_e32 v[152:153], v[250:251], v[242:243]
	ds_read2_b64 v[248:251], v244 offset0:84 offset1:85
	v_add_f64 v[64:65], v[64:65], -v[68:69]
	v_add_f64 v[66:67], v[66:67], -v[152:153]
	s_waitcnt lgkmcnt(1)
	v_mul_f64 v[68:69], v[234:235], v[70:71]
	v_mul_f64 v[152:153], v[232:233], v[70:71]
	v_fma_f64 v[68:69], v[232:233], v[242:243], -v[68:69]
	v_fmac_f64_e32 v[152:153], v[234:235], v[242:243]
	ds_read2_b64 v[232:235], v244 offset0:86 offset1:87
	v_add_f64 v[60:61], v[60:61], -v[68:69]
	v_add_f64 v[62:63], v[62:63], -v[152:153]
	;; [unrolled: 8-line block ×16, first 2 shown]
	s_waitcnt lgkmcnt(1)
	v_mul_f64 v[68:69], v[250:251], v[70:71]
	v_mul_f64 v[152:153], v[248:249], v[70:71]
	v_fma_f64 v[68:69], v[248:249], v[242:243], -v[68:69]
	v_fmac_f64_e32 v[152:153], v[250:251], v[242:243]
	v_add_f64 v[0:1], v[0:1], -v[68:69]
	v_add_f64 v[2:3], v[2:3], -v[152:153]
	s_waitcnt lgkmcnt(0)
	v_mul_f64 v[68:69], v[234:235], v[70:71]
	v_mul_f64 v[152:153], v[232:233], v[70:71]
	v_fma_f64 v[68:69], v[232:233], v[242:243], -v[68:69]
	v_fmac_f64_e32 v[152:153], v[234:235], v[242:243]
	v_add_f64 v[228:229], v[228:229], -v[68:69]
	v_add_f64 v[230:231], v[230:231], -v[152:153]
	v_mov_b64_e32 v[68:69], v[242:243]
.LBB114_839:
	s_or_b64 exec, exec, s[0:1]
	v_lshl_add_u32 v152, v245, 4, v244
	s_barrier
	ds_write2_b64 v152, v[64:65], v[66:67] offset1:1
	s_waitcnt lgkmcnt(0)
	s_barrier
	ds_read2_b64 v[232:235], v244 offset0:80 offset1:81
	s_cmp_lt_i32 s20, 42
	v_mov_b32_e32 v242, 40
	s_cbranch_scc1 .LBB114_842
; %bb.840:
	v_add_u32_e32 v243, 0x290, v244
	s_mov_b32 s0, 41
	v_mov_b32_e32 v242, 40
.LBB114_841:                            ; =>This Inner Loop Header: Depth=1
	ds_read2_b64 v[248:251], v243 offset1:1
	s_waitcnt lgkmcnt(1)
	v_cmp_gt_f64_e32 vcc, 0, v[232:233]
	v_xor_b32_e32 v152, 0x80000000, v233
	v_xor_b32_e32 v154, 0x80000000, v235
	v_cndmask_b32_e32 v153, v233, v152, vcc
	v_cmp_gt_f64_e32 vcc, 0, v[234:235]
	v_mov_b32_e32 v152, v232
	s_waitcnt lgkmcnt(0)
	v_xor_b32_e32 v156, 0x80000000, v251
	v_cndmask_b32_e32 v155, v235, v154, vcc
	v_mov_b32_e32 v154, v234
	v_add_f64 v[152:153], v[152:153], v[154:155]
	v_cmp_gt_f64_e32 vcc, 0, v[248:249]
	v_xor_b32_e32 v154, 0x80000000, v249
	v_add_u32_e32 v243, 16, v243
	v_cndmask_b32_e32 v155, v249, v154, vcc
	v_cmp_gt_f64_e32 vcc, 0, v[250:251]
	v_mov_b32_e32 v154, v248
	s_nop 0
	v_cndmask_b32_e32 v157, v251, v156, vcc
	v_mov_b32_e32 v156, v250
	v_add_f64 v[154:155], v[154:155], v[156:157]
	v_cmp_lt_f64_e32 vcc, v[152:153], v[154:155]
	v_mov_b32_e32 v152, s0
	s_add_i32 s0, s0, 1
	v_cndmask_b32_e32 v233, v233, v249, vcc
	v_cndmask_b32_e32 v232, v232, v248, vcc
	;; [unrolled: 1-line block ×5, first 2 shown]
	s_cmp_lg_u32 s20, s0
	s_cbranch_scc1 .LBB114_841
.LBB114_842:
	s_waitcnt lgkmcnt(0)
	v_cmp_eq_f64_e32 vcc, 0, v[232:233]
	v_cmp_eq_f64_e64 s[0:1], 0, v[234:235]
	s_and_b64 s[0:1], vcc, s[0:1]
	s_and_saveexec_b64 s[16:17], s[0:1]
	s_xor_b64 s[0:1], exec, s[16:17]
; %bb.843:
	v_cmp_ne_u32_e32 vcc, 0, v246
	s_nop 1
	v_cndmask_b32_e32 v246, 41, v246, vcc
; %bb.844:
	s_andn2_saveexec_b64 s[0:1], s[0:1]
	s_cbranch_execz .LBB114_850
; %bb.845:
	v_cmp_ngt_f64_e64 s[16:17], |v[232:233]|, |v[234:235]|
	s_and_saveexec_b64 s[18:19], s[16:17]
	s_xor_b64 s[16:17], exec, s[18:19]
	s_cbranch_execz .LBB114_847
; %bb.846:
	v_div_scale_f64 v[152:153], s[18:19], v[234:235], v[234:235], v[232:233]
	v_rcp_f64_e32 v[154:155], v[152:153]
	v_div_scale_f64 v[156:157], vcc, v[232:233], v[234:235], v[232:233]
	v_fma_f64 v[158:159], -v[152:153], v[154:155], 1.0
	v_fmac_f64_e32 v[154:155], v[154:155], v[158:159]
	v_fma_f64 v[158:159], -v[152:153], v[154:155], 1.0
	v_fmac_f64_e32 v[154:155], v[154:155], v[158:159]
	v_mul_f64 v[158:159], v[156:157], v[154:155]
	v_fma_f64 v[152:153], -v[152:153], v[158:159], v[156:157]
	v_div_fmas_f64 v[152:153], v[152:153], v[154:155], v[158:159]
	v_div_fixup_f64 v[152:153], v[152:153], v[234:235], v[232:233]
	v_fmac_f64_e32 v[234:235], v[232:233], v[152:153]
	v_div_scale_f64 v[154:155], s[18:19], v[234:235], v[234:235], 1.0
	v_rcp_f64_e32 v[156:157], v[154:155]
	s_nop 0
	v_fma_f64 v[158:159], -v[154:155], v[156:157], 1.0
	v_fmac_f64_e32 v[156:157], v[156:157], v[158:159]
	v_fma_f64 v[158:159], -v[154:155], v[156:157], 1.0
	v_fmac_f64_e32 v[156:157], v[156:157], v[158:159]
	v_div_scale_f64 v[158:159], vcc, 1.0, v[234:235], 1.0
	v_mul_f64 v[220:221], v[158:159], v[156:157]
	v_fma_f64 v[154:155], -v[154:155], v[220:221], v[158:159]
	s_nop 1
	v_div_fmas_f64 v[154:155], v[154:155], v[156:157], v[220:221]
	v_div_fixup_f64 v[234:235], v[154:155], v[234:235], 1.0
	v_mul_f64 v[232:233], v[152:153], v[234:235]
	v_xor_b32_e32 v235, 0x80000000, v235
.LBB114_847:
	s_andn2_saveexec_b64 s[16:17], s[16:17]
	s_cbranch_execz .LBB114_849
; %bb.848:
	v_div_scale_f64 v[152:153], s[18:19], v[232:233], v[232:233], v[234:235]
	v_rcp_f64_e32 v[154:155], v[152:153]
	v_div_scale_f64 v[156:157], vcc, v[234:235], v[232:233], v[234:235]
	v_fma_f64 v[158:159], -v[152:153], v[154:155], 1.0
	v_fmac_f64_e32 v[154:155], v[154:155], v[158:159]
	v_fma_f64 v[158:159], -v[152:153], v[154:155], 1.0
	v_fmac_f64_e32 v[154:155], v[154:155], v[158:159]
	v_mul_f64 v[158:159], v[156:157], v[154:155]
	v_fma_f64 v[152:153], -v[152:153], v[158:159], v[156:157]
	v_div_fmas_f64 v[152:153], v[152:153], v[154:155], v[158:159]
	v_div_fixup_f64 v[152:153], v[152:153], v[232:233], v[234:235]
	v_fmac_f64_e32 v[232:233], v[234:235], v[152:153]
	v_div_scale_f64 v[154:155], s[18:19], v[232:233], v[232:233], 1.0
	v_rcp_f64_e32 v[156:157], v[154:155]
	s_nop 0
	v_fma_f64 v[158:159], -v[154:155], v[156:157], 1.0
	v_fmac_f64_e32 v[156:157], v[156:157], v[158:159]
	v_fma_f64 v[158:159], -v[154:155], v[156:157], 1.0
	v_fmac_f64_e32 v[156:157], v[156:157], v[158:159]
	v_div_scale_f64 v[158:159], vcc, 1.0, v[232:233], 1.0
	v_mul_f64 v[220:221], v[158:159], v[156:157]
	v_fma_f64 v[154:155], -v[154:155], v[220:221], v[158:159]
	s_nop 1
	v_div_fmas_f64 v[154:155], v[154:155], v[156:157], v[220:221]
	v_div_fixup_f64 v[232:233], v[154:155], v[232:233], 1.0
	v_mul_f64 v[234:235], v[152:153], -v[232:233]
.LBB114_849:
	s_or_b64 exec, exec, s[16:17]
.LBB114_850:
	s_or_b64 exec, exec, s[0:1]
	v_cmp_ne_u32_e32 vcc, v245, v242
	s_and_saveexec_b64 s[0:1], vcc
	s_xor_b64 s[0:1], exec, s[0:1]
	s_cbranch_execz .LBB114_856
; %bb.851:
	v_cmp_eq_u32_e32 vcc, 40, v245
	s_and_saveexec_b64 s[16:17], vcc
	s_cbranch_execz .LBB114_855
; %bb.852:
	v_cmp_ne_u32_e32 vcc, 40, v242
	s_xor_b64 s[18:19], s[14:15], -1
	s_and_b64 s[22:23], s[18:19], vcc
	s_and_saveexec_b64 s[18:19], s[22:23]
	s_cbranch_execz .LBB114_854
; %bb.853:
	v_ashrrev_i32_e32 v243, 31, v242
	v_lshl_add_u64 v[152:153], v[242:243], 2, v[4:5]
	global_load_dword v154, v[152:153], off
	global_load_dword v155, v[4:5], off offset:160
	s_waitcnt vmcnt(1)
	global_store_dword v[4:5], v154, off offset:160
	s_waitcnt vmcnt(1)
	global_store_dword v[152:153], v155, off
.LBB114_854:
	s_or_b64 exec, exec, s[18:19]
	v_mov_b32_e32 v245, v242
	v_mov_b32_e32 v236, v242
.LBB114_855:
	s_or_b64 exec, exec, s[16:17]
.LBB114_856:
	s_andn2_saveexec_b64 s[0:1], s[0:1]
	s_cbranch_execz .LBB114_858
; %bb.857:
	v_mov_b32_e32 v245, 40
	ds_write2_b64 v244, v[60:61], v[62:63] offset0:82 offset1:83
	ds_write2_b64 v244, v[56:57], v[58:59] offset0:84 offset1:85
	;; [unrolled: 1-line block ×17, first 2 shown]
.LBB114_858:
	s_or_b64 exec, exec, s[0:1]
	v_cmp_lt_i32_e32 vcc, 40, v245
	s_waitcnt lgkmcnt(0)
	s_barrier
	s_and_saveexec_b64 s[0:1], vcc
	s_cbranch_execz .LBB114_860
; %bb.859:
	ds_read2_b64 v[248:251], v244 offset0:82 offset1:83
	v_mul_f64 v[152:153], v[234:235], v[66:67]
	v_mul_f64 v[66:67], v[232:233], v[66:67]
	v_fma_f64 v[242:243], v[232:233], v[64:65], -v[152:153]
	v_fmac_f64_e32 v[66:67], v[234:235], v[64:65]
	ds_read2_b64 v[232:235], v244 offset0:84 offset1:85
	s_waitcnt lgkmcnt(1)
	v_mul_f64 v[64:65], v[250:251], v[66:67]
	v_mul_f64 v[152:153], v[248:249], v[66:67]
	v_fma_f64 v[64:65], v[248:249], v[242:243], -v[64:65]
	v_fmac_f64_e32 v[152:153], v[250:251], v[242:243]
	ds_read2_b64 v[248:251], v244 offset0:86 offset1:87
	v_add_f64 v[60:61], v[60:61], -v[64:65]
	v_add_f64 v[62:63], v[62:63], -v[152:153]
	s_waitcnt lgkmcnt(1)
	v_mul_f64 v[64:65], v[234:235], v[66:67]
	v_mul_f64 v[152:153], v[232:233], v[66:67]
	v_fma_f64 v[64:65], v[232:233], v[242:243], -v[64:65]
	v_fmac_f64_e32 v[152:153], v[234:235], v[242:243]
	ds_read2_b64 v[232:235], v244 offset0:88 offset1:89
	v_add_f64 v[56:57], v[56:57], -v[64:65]
	v_add_f64 v[58:59], v[58:59], -v[152:153]
	s_waitcnt lgkmcnt(1)
	v_mul_f64 v[64:65], v[250:251], v[66:67]
	v_mul_f64 v[152:153], v[248:249], v[66:67]
	v_fma_f64 v[64:65], v[248:249], v[242:243], -v[64:65]
	v_fmac_f64_e32 v[152:153], v[250:251], v[242:243]
	ds_read2_b64 v[248:251], v244 offset0:90 offset1:91
	v_add_f64 v[52:53], v[52:53], -v[64:65]
	v_add_f64 v[54:55], v[54:55], -v[152:153]
	s_waitcnt lgkmcnt(1)
	v_mul_f64 v[64:65], v[234:235], v[66:67]
	v_mul_f64 v[152:153], v[232:233], v[66:67]
	v_fma_f64 v[64:65], v[232:233], v[242:243], -v[64:65]
	v_fmac_f64_e32 v[152:153], v[234:235], v[242:243]
	ds_read2_b64 v[232:235], v244 offset0:92 offset1:93
	v_add_f64 v[48:49], v[48:49], -v[64:65]
	v_add_f64 v[50:51], v[50:51], -v[152:153]
	s_waitcnt lgkmcnt(1)
	v_mul_f64 v[64:65], v[250:251], v[66:67]
	v_mul_f64 v[152:153], v[248:249], v[66:67]
	v_fma_f64 v[64:65], v[248:249], v[242:243], -v[64:65]
	v_fmac_f64_e32 v[152:153], v[250:251], v[242:243]
	ds_read2_b64 v[248:251], v244 offset0:94 offset1:95
	v_add_f64 v[44:45], v[44:45], -v[64:65]
	v_add_f64 v[46:47], v[46:47], -v[152:153]
	s_waitcnt lgkmcnt(1)
	v_mul_f64 v[64:65], v[234:235], v[66:67]
	v_mul_f64 v[152:153], v[232:233], v[66:67]
	v_fma_f64 v[64:65], v[232:233], v[242:243], -v[64:65]
	v_fmac_f64_e32 v[152:153], v[234:235], v[242:243]
	ds_read2_b64 v[232:235], v244 offset0:96 offset1:97
	v_add_f64 v[40:41], v[40:41], -v[64:65]
	v_add_f64 v[42:43], v[42:43], -v[152:153]
	s_waitcnt lgkmcnt(1)
	v_mul_f64 v[64:65], v[250:251], v[66:67]
	v_mul_f64 v[152:153], v[248:249], v[66:67]
	v_fma_f64 v[64:65], v[248:249], v[242:243], -v[64:65]
	v_fmac_f64_e32 v[152:153], v[250:251], v[242:243]
	ds_read2_b64 v[248:251], v244 offset0:98 offset1:99
	v_add_f64 v[36:37], v[36:37], -v[64:65]
	v_add_f64 v[38:39], v[38:39], -v[152:153]
	s_waitcnt lgkmcnt(1)
	v_mul_f64 v[64:65], v[234:235], v[66:67]
	v_mul_f64 v[152:153], v[232:233], v[66:67]
	v_fma_f64 v[64:65], v[232:233], v[242:243], -v[64:65]
	v_fmac_f64_e32 v[152:153], v[234:235], v[242:243]
	ds_read2_b64 v[232:235], v244 offset0:100 offset1:101
	v_add_f64 v[32:33], v[32:33], -v[64:65]
	v_add_f64 v[34:35], v[34:35], -v[152:153]
	s_waitcnt lgkmcnt(1)
	v_mul_f64 v[64:65], v[250:251], v[66:67]
	v_mul_f64 v[152:153], v[248:249], v[66:67]
	v_fma_f64 v[64:65], v[248:249], v[242:243], -v[64:65]
	v_fmac_f64_e32 v[152:153], v[250:251], v[242:243]
	ds_read2_b64 v[248:251], v244 offset0:102 offset1:103
	v_add_f64 v[28:29], v[28:29], -v[64:65]
	v_add_f64 v[30:31], v[30:31], -v[152:153]
	s_waitcnt lgkmcnt(1)
	v_mul_f64 v[64:65], v[234:235], v[66:67]
	v_mul_f64 v[152:153], v[232:233], v[66:67]
	v_fma_f64 v[64:65], v[232:233], v[242:243], -v[64:65]
	v_fmac_f64_e32 v[152:153], v[234:235], v[242:243]
	ds_read2_b64 v[232:235], v244 offset0:104 offset1:105
	v_add_f64 v[24:25], v[24:25], -v[64:65]
	v_add_f64 v[26:27], v[26:27], -v[152:153]
	s_waitcnt lgkmcnt(1)
	v_mul_f64 v[64:65], v[250:251], v[66:67]
	v_mul_f64 v[152:153], v[248:249], v[66:67]
	v_fma_f64 v[64:65], v[248:249], v[242:243], -v[64:65]
	v_fmac_f64_e32 v[152:153], v[250:251], v[242:243]
	ds_read2_b64 v[248:251], v244 offset0:106 offset1:107
	v_add_f64 v[20:21], v[20:21], -v[64:65]
	v_add_f64 v[22:23], v[22:23], -v[152:153]
	s_waitcnt lgkmcnt(1)
	v_mul_f64 v[64:65], v[234:235], v[66:67]
	v_mul_f64 v[152:153], v[232:233], v[66:67]
	v_fma_f64 v[64:65], v[232:233], v[242:243], -v[64:65]
	v_fmac_f64_e32 v[152:153], v[234:235], v[242:243]
	ds_read2_b64 v[232:235], v244 offset0:108 offset1:109
	v_add_f64 v[16:17], v[16:17], -v[64:65]
	v_add_f64 v[18:19], v[18:19], -v[152:153]
	s_waitcnt lgkmcnt(1)
	v_mul_f64 v[64:65], v[250:251], v[66:67]
	v_mul_f64 v[152:153], v[248:249], v[66:67]
	v_fma_f64 v[64:65], v[248:249], v[242:243], -v[64:65]
	v_fmac_f64_e32 v[152:153], v[250:251], v[242:243]
	ds_read2_b64 v[248:251], v244 offset0:110 offset1:111
	v_add_f64 v[12:13], v[12:13], -v[64:65]
	v_add_f64 v[14:15], v[14:15], -v[152:153]
	s_waitcnt lgkmcnt(1)
	v_mul_f64 v[64:65], v[234:235], v[66:67]
	v_mul_f64 v[152:153], v[232:233], v[66:67]
	v_fma_f64 v[64:65], v[232:233], v[242:243], -v[64:65]
	v_fmac_f64_e32 v[152:153], v[234:235], v[242:243]
	ds_read2_b64 v[232:235], v244 offset0:112 offset1:113
	v_add_f64 v[8:9], v[8:9], -v[64:65]
	v_add_f64 v[10:11], v[10:11], -v[152:153]
	s_waitcnt lgkmcnt(1)
	v_mul_f64 v[64:65], v[250:251], v[66:67]
	v_mul_f64 v[152:153], v[248:249], v[66:67]
	v_fma_f64 v[64:65], v[248:249], v[242:243], -v[64:65]
	v_fmac_f64_e32 v[152:153], v[250:251], v[242:243]
	ds_read2_b64 v[248:251], v244 offset0:114 offset1:115
	v_add_f64 v[224:225], v[224:225], -v[64:65]
	v_add_f64 v[226:227], v[226:227], -v[152:153]
	s_waitcnt lgkmcnt(1)
	v_mul_f64 v[64:65], v[234:235], v[66:67]
	v_mul_f64 v[152:153], v[232:233], v[66:67]
	v_fma_f64 v[64:65], v[232:233], v[242:243], -v[64:65]
	v_fmac_f64_e32 v[152:153], v[234:235], v[242:243]
	v_add_f64 v[0:1], v[0:1], -v[64:65]
	v_add_f64 v[2:3], v[2:3], -v[152:153]
	s_waitcnt lgkmcnt(0)
	v_mul_f64 v[64:65], v[250:251], v[66:67]
	v_mul_f64 v[152:153], v[248:249], v[66:67]
	v_fma_f64 v[64:65], v[248:249], v[242:243], -v[64:65]
	v_fmac_f64_e32 v[152:153], v[250:251], v[242:243]
	v_add_f64 v[228:229], v[228:229], -v[64:65]
	v_add_f64 v[230:231], v[230:231], -v[152:153]
	v_mov_b64_e32 v[64:65], v[242:243]
.LBB114_860:
	s_or_b64 exec, exec, s[0:1]
	v_lshl_add_u32 v152, v245, 4, v244
	s_barrier
	ds_write2_b64 v152, v[60:61], v[62:63] offset1:1
	s_waitcnt lgkmcnt(0)
	s_barrier
	ds_read2_b64 v[232:235], v244 offset0:82 offset1:83
	s_cmp_lt_i32 s20, 43
	v_mov_b32_e32 v242, 41
	s_cbranch_scc1 .LBB114_863
; %bb.861:
	v_add_u32_e32 v243, 0x2a0, v244
	s_mov_b32 s0, 42
	v_mov_b32_e32 v242, 41
.LBB114_862:                            ; =>This Inner Loop Header: Depth=1
	ds_read2_b64 v[248:251], v243 offset1:1
	s_waitcnt lgkmcnt(1)
	v_cmp_gt_f64_e32 vcc, 0, v[232:233]
	v_xor_b32_e32 v152, 0x80000000, v233
	v_xor_b32_e32 v154, 0x80000000, v235
	v_cndmask_b32_e32 v153, v233, v152, vcc
	v_cmp_gt_f64_e32 vcc, 0, v[234:235]
	v_mov_b32_e32 v152, v232
	s_waitcnt lgkmcnt(0)
	v_xor_b32_e32 v156, 0x80000000, v251
	v_cndmask_b32_e32 v155, v235, v154, vcc
	v_mov_b32_e32 v154, v234
	v_add_f64 v[152:153], v[152:153], v[154:155]
	v_cmp_gt_f64_e32 vcc, 0, v[248:249]
	v_xor_b32_e32 v154, 0x80000000, v249
	v_add_u32_e32 v243, 16, v243
	v_cndmask_b32_e32 v155, v249, v154, vcc
	v_cmp_gt_f64_e32 vcc, 0, v[250:251]
	v_mov_b32_e32 v154, v248
	s_nop 0
	v_cndmask_b32_e32 v157, v251, v156, vcc
	v_mov_b32_e32 v156, v250
	v_add_f64 v[154:155], v[154:155], v[156:157]
	v_cmp_lt_f64_e32 vcc, v[152:153], v[154:155]
	v_mov_b32_e32 v152, s0
	s_add_i32 s0, s0, 1
	v_cndmask_b32_e32 v233, v233, v249, vcc
	v_cndmask_b32_e32 v232, v232, v248, vcc
	;; [unrolled: 1-line block ×5, first 2 shown]
	s_cmp_lg_u32 s20, s0
	s_cbranch_scc1 .LBB114_862
.LBB114_863:
	s_waitcnt lgkmcnt(0)
	v_cmp_eq_f64_e32 vcc, 0, v[232:233]
	v_cmp_eq_f64_e64 s[0:1], 0, v[234:235]
	s_and_b64 s[0:1], vcc, s[0:1]
	s_and_saveexec_b64 s[16:17], s[0:1]
	s_xor_b64 s[0:1], exec, s[16:17]
; %bb.864:
	v_cmp_ne_u32_e32 vcc, 0, v246
	s_nop 1
	v_cndmask_b32_e32 v246, 42, v246, vcc
; %bb.865:
	s_andn2_saveexec_b64 s[0:1], s[0:1]
	s_cbranch_execz .LBB114_871
; %bb.866:
	v_cmp_ngt_f64_e64 s[16:17], |v[232:233]|, |v[234:235]|
	s_and_saveexec_b64 s[18:19], s[16:17]
	s_xor_b64 s[16:17], exec, s[18:19]
	s_cbranch_execz .LBB114_868
; %bb.867:
	v_div_scale_f64 v[152:153], s[18:19], v[234:235], v[234:235], v[232:233]
	v_rcp_f64_e32 v[154:155], v[152:153]
	v_div_scale_f64 v[156:157], vcc, v[232:233], v[234:235], v[232:233]
	v_fma_f64 v[158:159], -v[152:153], v[154:155], 1.0
	v_fmac_f64_e32 v[154:155], v[154:155], v[158:159]
	v_fma_f64 v[158:159], -v[152:153], v[154:155], 1.0
	v_fmac_f64_e32 v[154:155], v[154:155], v[158:159]
	v_mul_f64 v[158:159], v[156:157], v[154:155]
	v_fma_f64 v[152:153], -v[152:153], v[158:159], v[156:157]
	v_div_fmas_f64 v[152:153], v[152:153], v[154:155], v[158:159]
	v_div_fixup_f64 v[152:153], v[152:153], v[234:235], v[232:233]
	v_fmac_f64_e32 v[234:235], v[232:233], v[152:153]
	v_div_scale_f64 v[154:155], s[18:19], v[234:235], v[234:235], 1.0
	v_rcp_f64_e32 v[156:157], v[154:155]
	s_nop 0
	v_fma_f64 v[158:159], -v[154:155], v[156:157], 1.0
	v_fmac_f64_e32 v[156:157], v[156:157], v[158:159]
	v_fma_f64 v[158:159], -v[154:155], v[156:157], 1.0
	v_fmac_f64_e32 v[156:157], v[156:157], v[158:159]
	v_div_scale_f64 v[158:159], vcc, 1.0, v[234:235], 1.0
	v_mul_f64 v[220:221], v[158:159], v[156:157]
	v_fma_f64 v[154:155], -v[154:155], v[220:221], v[158:159]
	s_nop 1
	v_div_fmas_f64 v[154:155], v[154:155], v[156:157], v[220:221]
	v_div_fixup_f64 v[234:235], v[154:155], v[234:235], 1.0
	v_mul_f64 v[232:233], v[152:153], v[234:235]
	v_xor_b32_e32 v235, 0x80000000, v235
.LBB114_868:
	s_andn2_saveexec_b64 s[16:17], s[16:17]
	s_cbranch_execz .LBB114_870
; %bb.869:
	v_div_scale_f64 v[152:153], s[18:19], v[232:233], v[232:233], v[234:235]
	v_rcp_f64_e32 v[154:155], v[152:153]
	v_div_scale_f64 v[156:157], vcc, v[234:235], v[232:233], v[234:235]
	v_fma_f64 v[158:159], -v[152:153], v[154:155], 1.0
	v_fmac_f64_e32 v[154:155], v[154:155], v[158:159]
	v_fma_f64 v[158:159], -v[152:153], v[154:155], 1.0
	v_fmac_f64_e32 v[154:155], v[154:155], v[158:159]
	v_mul_f64 v[158:159], v[156:157], v[154:155]
	v_fma_f64 v[152:153], -v[152:153], v[158:159], v[156:157]
	v_div_fmas_f64 v[152:153], v[152:153], v[154:155], v[158:159]
	v_div_fixup_f64 v[152:153], v[152:153], v[232:233], v[234:235]
	v_fmac_f64_e32 v[232:233], v[234:235], v[152:153]
	v_div_scale_f64 v[154:155], s[18:19], v[232:233], v[232:233], 1.0
	v_rcp_f64_e32 v[156:157], v[154:155]
	s_nop 0
	v_fma_f64 v[158:159], -v[154:155], v[156:157], 1.0
	v_fmac_f64_e32 v[156:157], v[156:157], v[158:159]
	v_fma_f64 v[158:159], -v[154:155], v[156:157], 1.0
	v_fmac_f64_e32 v[156:157], v[156:157], v[158:159]
	v_div_scale_f64 v[158:159], vcc, 1.0, v[232:233], 1.0
	v_mul_f64 v[220:221], v[158:159], v[156:157]
	v_fma_f64 v[154:155], -v[154:155], v[220:221], v[158:159]
	s_nop 1
	v_div_fmas_f64 v[154:155], v[154:155], v[156:157], v[220:221]
	v_div_fixup_f64 v[232:233], v[154:155], v[232:233], 1.0
	v_mul_f64 v[234:235], v[152:153], -v[232:233]
.LBB114_870:
	s_or_b64 exec, exec, s[16:17]
.LBB114_871:
	s_or_b64 exec, exec, s[0:1]
	v_cmp_ne_u32_e32 vcc, v245, v242
	s_and_saveexec_b64 s[0:1], vcc
	s_xor_b64 s[0:1], exec, s[0:1]
	s_cbranch_execz .LBB114_877
; %bb.872:
	v_cmp_eq_u32_e32 vcc, 41, v245
	s_and_saveexec_b64 s[16:17], vcc
	s_cbranch_execz .LBB114_876
; %bb.873:
	v_cmp_ne_u32_e32 vcc, 41, v242
	s_xor_b64 s[18:19], s[14:15], -1
	s_and_b64 s[22:23], s[18:19], vcc
	s_and_saveexec_b64 s[18:19], s[22:23]
	s_cbranch_execz .LBB114_875
; %bb.874:
	v_ashrrev_i32_e32 v243, 31, v242
	v_lshl_add_u64 v[152:153], v[242:243], 2, v[4:5]
	global_load_dword v154, v[152:153], off
	global_load_dword v155, v[4:5], off offset:164
	s_waitcnt vmcnt(1)
	global_store_dword v[4:5], v154, off offset:164
	s_waitcnt vmcnt(1)
	global_store_dword v[152:153], v155, off
.LBB114_875:
	s_or_b64 exec, exec, s[18:19]
	v_mov_b32_e32 v245, v242
	v_mov_b32_e32 v236, v242
.LBB114_876:
	s_or_b64 exec, exec, s[16:17]
.LBB114_877:
	s_andn2_saveexec_b64 s[0:1], s[0:1]
	s_cbranch_execz .LBB114_879
; %bb.878:
	v_mov_b32_e32 v245, 41
	ds_write2_b64 v244, v[56:57], v[58:59] offset0:84 offset1:85
	ds_write2_b64 v244, v[52:53], v[54:55] offset0:86 offset1:87
	;; [unrolled: 1-line block ×16, first 2 shown]
.LBB114_879:
	s_or_b64 exec, exec, s[0:1]
	v_cmp_lt_i32_e32 vcc, 41, v245
	s_waitcnt lgkmcnt(0)
	s_barrier
	s_and_saveexec_b64 s[0:1], vcc
	s_cbranch_execz .LBB114_881
; %bb.880:
	ds_read2_b64 v[248:251], v244 offset0:84 offset1:85
	v_mul_f64 v[242:243], v[232:233], v[62:63]
	v_mul_f64 v[62:63], v[234:235], v[62:63]
	v_fmac_f64_e32 v[242:243], v[234:235], v[60:61]
	v_fma_f64 v[60:61], v[232:233], v[60:61], -v[62:63]
	ds_read2_b64 v[232:235], v244 offset0:86 offset1:87
	s_waitcnt lgkmcnt(1)
	v_mul_f64 v[62:63], v[250:251], v[242:243]
	v_mul_f64 v[152:153], v[248:249], v[242:243]
	v_fma_f64 v[62:63], v[248:249], v[60:61], -v[62:63]
	v_fmac_f64_e32 v[152:153], v[250:251], v[60:61]
	ds_read2_b64 v[248:251], v244 offset0:88 offset1:89
	v_add_f64 v[56:57], v[56:57], -v[62:63]
	v_add_f64 v[58:59], v[58:59], -v[152:153]
	s_waitcnt lgkmcnt(1)
	v_mul_f64 v[62:63], v[234:235], v[242:243]
	v_mul_f64 v[152:153], v[232:233], v[242:243]
	v_fma_f64 v[62:63], v[232:233], v[60:61], -v[62:63]
	v_fmac_f64_e32 v[152:153], v[234:235], v[60:61]
	ds_read2_b64 v[232:235], v244 offset0:90 offset1:91
	v_add_f64 v[52:53], v[52:53], -v[62:63]
	v_add_f64 v[54:55], v[54:55], -v[152:153]
	;; [unrolled: 8-line block ×14, first 2 shown]
	s_waitcnt lgkmcnt(1)
	v_mul_f64 v[62:63], v[250:251], v[242:243]
	v_mul_f64 v[152:153], v[248:249], v[242:243]
	v_fma_f64 v[62:63], v[248:249], v[60:61], -v[62:63]
	v_fmac_f64_e32 v[152:153], v[250:251], v[60:61]
	v_add_f64 v[0:1], v[0:1], -v[62:63]
	v_add_f64 v[2:3], v[2:3], -v[152:153]
	s_waitcnt lgkmcnt(0)
	v_mul_f64 v[62:63], v[234:235], v[242:243]
	v_mul_f64 v[152:153], v[232:233], v[242:243]
	v_fma_f64 v[62:63], v[232:233], v[60:61], -v[62:63]
	v_fmac_f64_e32 v[152:153], v[234:235], v[60:61]
	v_add_f64 v[228:229], v[228:229], -v[62:63]
	v_add_f64 v[230:231], v[230:231], -v[152:153]
	v_mov_b64_e32 v[62:63], v[242:243]
.LBB114_881:
	s_or_b64 exec, exec, s[0:1]
	v_lshl_add_u32 v152, v245, 4, v244
	s_barrier
	ds_write2_b64 v152, v[56:57], v[58:59] offset1:1
	s_waitcnt lgkmcnt(0)
	s_barrier
	ds_read2_b64 v[232:235], v244 offset0:84 offset1:85
	s_cmp_lt_i32 s20, 44
	v_mov_b32_e32 v242, 42
	s_cbranch_scc1 .LBB114_884
; %bb.882:
	v_add_u32_e32 v243, 0x2b0, v244
	s_mov_b32 s0, 43
	v_mov_b32_e32 v242, 42
.LBB114_883:                            ; =>This Inner Loop Header: Depth=1
	ds_read2_b64 v[248:251], v243 offset1:1
	s_waitcnt lgkmcnt(1)
	v_cmp_gt_f64_e32 vcc, 0, v[232:233]
	v_xor_b32_e32 v152, 0x80000000, v233
	v_xor_b32_e32 v154, 0x80000000, v235
	v_cndmask_b32_e32 v153, v233, v152, vcc
	v_cmp_gt_f64_e32 vcc, 0, v[234:235]
	v_mov_b32_e32 v152, v232
	s_waitcnt lgkmcnt(0)
	v_xor_b32_e32 v156, 0x80000000, v251
	v_cndmask_b32_e32 v155, v235, v154, vcc
	v_mov_b32_e32 v154, v234
	v_add_f64 v[152:153], v[152:153], v[154:155]
	v_cmp_gt_f64_e32 vcc, 0, v[248:249]
	v_xor_b32_e32 v154, 0x80000000, v249
	v_add_u32_e32 v243, 16, v243
	v_cndmask_b32_e32 v155, v249, v154, vcc
	v_cmp_gt_f64_e32 vcc, 0, v[250:251]
	v_mov_b32_e32 v154, v248
	s_nop 0
	v_cndmask_b32_e32 v157, v251, v156, vcc
	v_mov_b32_e32 v156, v250
	v_add_f64 v[154:155], v[154:155], v[156:157]
	v_cmp_lt_f64_e32 vcc, v[152:153], v[154:155]
	v_mov_b32_e32 v152, s0
	s_add_i32 s0, s0, 1
	v_cndmask_b32_e32 v233, v233, v249, vcc
	v_cndmask_b32_e32 v232, v232, v248, vcc
	;; [unrolled: 1-line block ×5, first 2 shown]
	s_cmp_lg_u32 s20, s0
	s_cbranch_scc1 .LBB114_883
.LBB114_884:
	s_waitcnt lgkmcnt(0)
	v_cmp_eq_f64_e32 vcc, 0, v[232:233]
	v_cmp_eq_f64_e64 s[0:1], 0, v[234:235]
	s_and_b64 s[0:1], vcc, s[0:1]
	s_and_saveexec_b64 s[16:17], s[0:1]
	s_xor_b64 s[0:1], exec, s[16:17]
; %bb.885:
	v_cmp_ne_u32_e32 vcc, 0, v246
	s_nop 1
	v_cndmask_b32_e32 v246, 43, v246, vcc
; %bb.886:
	s_andn2_saveexec_b64 s[0:1], s[0:1]
	s_cbranch_execz .LBB114_892
; %bb.887:
	v_cmp_ngt_f64_e64 s[16:17], |v[232:233]|, |v[234:235]|
	s_and_saveexec_b64 s[18:19], s[16:17]
	s_xor_b64 s[16:17], exec, s[18:19]
	s_cbranch_execz .LBB114_889
; %bb.888:
	v_div_scale_f64 v[152:153], s[18:19], v[234:235], v[234:235], v[232:233]
	v_rcp_f64_e32 v[154:155], v[152:153]
	v_div_scale_f64 v[156:157], vcc, v[232:233], v[234:235], v[232:233]
	v_fma_f64 v[158:159], -v[152:153], v[154:155], 1.0
	v_fmac_f64_e32 v[154:155], v[154:155], v[158:159]
	v_fma_f64 v[158:159], -v[152:153], v[154:155], 1.0
	v_fmac_f64_e32 v[154:155], v[154:155], v[158:159]
	v_mul_f64 v[158:159], v[156:157], v[154:155]
	v_fma_f64 v[152:153], -v[152:153], v[158:159], v[156:157]
	v_div_fmas_f64 v[152:153], v[152:153], v[154:155], v[158:159]
	v_div_fixup_f64 v[152:153], v[152:153], v[234:235], v[232:233]
	v_fmac_f64_e32 v[234:235], v[232:233], v[152:153]
	v_div_scale_f64 v[154:155], s[18:19], v[234:235], v[234:235], 1.0
	v_rcp_f64_e32 v[156:157], v[154:155]
	s_nop 0
	v_fma_f64 v[158:159], -v[154:155], v[156:157], 1.0
	v_fmac_f64_e32 v[156:157], v[156:157], v[158:159]
	v_fma_f64 v[158:159], -v[154:155], v[156:157], 1.0
	v_fmac_f64_e32 v[156:157], v[156:157], v[158:159]
	v_div_scale_f64 v[158:159], vcc, 1.0, v[234:235], 1.0
	v_mul_f64 v[220:221], v[158:159], v[156:157]
	v_fma_f64 v[154:155], -v[154:155], v[220:221], v[158:159]
	s_nop 1
	v_div_fmas_f64 v[154:155], v[154:155], v[156:157], v[220:221]
	v_div_fixup_f64 v[234:235], v[154:155], v[234:235], 1.0
	v_mul_f64 v[232:233], v[152:153], v[234:235]
	v_xor_b32_e32 v235, 0x80000000, v235
.LBB114_889:
	s_andn2_saveexec_b64 s[16:17], s[16:17]
	s_cbranch_execz .LBB114_891
; %bb.890:
	v_div_scale_f64 v[152:153], s[18:19], v[232:233], v[232:233], v[234:235]
	v_rcp_f64_e32 v[154:155], v[152:153]
	v_div_scale_f64 v[156:157], vcc, v[234:235], v[232:233], v[234:235]
	v_fma_f64 v[158:159], -v[152:153], v[154:155], 1.0
	v_fmac_f64_e32 v[154:155], v[154:155], v[158:159]
	v_fma_f64 v[158:159], -v[152:153], v[154:155], 1.0
	v_fmac_f64_e32 v[154:155], v[154:155], v[158:159]
	v_mul_f64 v[158:159], v[156:157], v[154:155]
	v_fma_f64 v[152:153], -v[152:153], v[158:159], v[156:157]
	v_div_fmas_f64 v[152:153], v[152:153], v[154:155], v[158:159]
	v_div_fixup_f64 v[152:153], v[152:153], v[232:233], v[234:235]
	v_fmac_f64_e32 v[232:233], v[234:235], v[152:153]
	v_div_scale_f64 v[154:155], s[18:19], v[232:233], v[232:233], 1.0
	v_rcp_f64_e32 v[156:157], v[154:155]
	s_nop 0
	v_fma_f64 v[158:159], -v[154:155], v[156:157], 1.0
	v_fmac_f64_e32 v[156:157], v[156:157], v[158:159]
	v_fma_f64 v[158:159], -v[154:155], v[156:157], 1.0
	v_fmac_f64_e32 v[156:157], v[156:157], v[158:159]
	v_div_scale_f64 v[158:159], vcc, 1.0, v[232:233], 1.0
	v_mul_f64 v[220:221], v[158:159], v[156:157]
	v_fma_f64 v[154:155], -v[154:155], v[220:221], v[158:159]
	s_nop 1
	v_div_fmas_f64 v[154:155], v[154:155], v[156:157], v[220:221]
	v_div_fixup_f64 v[232:233], v[154:155], v[232:233], 1.0
	v_mul_f64 v[234:235], v[152:153], -v[232:233]
.LBB114_891:
	s_or_b64 exec, exec, s[16:17]
.LBB114_892:
	s_or_b64 exec, exec, s[0:1]
	v_cmp_ne_u32_e32 vcc, v245, v242
	s_and_saveexec_b64 s[0:1], vcc
	s_xor_b64 s[0:1], exec, s[0:1]
	s_cbranch_execz .LBB114_898
; %bb.893:
	v_cmp_eq_u32_e32 vcc, 42, v245
	s_and_saveexec_b64 s[16:17], vcc
	s_cbranch_execz .LBB114_897
; %bb.894:
	v_cmp_ne_u32_e32 vcc, 42, v242
	s_xor_b64 s[18:19], s[14:15], -1
	s_and_b64 s[22:23], s[18:19], vcc
	s_and_saveexec_b64 s[18:19], s[22:23]
	s_cbranch_execz .LBB114_896
; %bb.895:
	v_ashrrev_i32_e32 v243, 31, v242
	v_lshl_add_u64 v[152:153], v[242:243], 2, v[4:5]
	global_load_dword v154, v[152:153], off
	global_load_dword v155, v[4:5], off offset:168
	s_waitcnt vmcnt(1)
	global_store_dword v[4:5], v154, off offset:168
	s_waitcnt vmcnt(1)
	global_store_dword v[152:153], v155, off
.LBB114_896:
	s_or_b64 exec, exec, s[18:19]
	v_mov_b32_e32 v245, v242
	v_mov_b32_e32 v236, v242
.LBB114_897:
	s_or_b64 exec, exec, s[16:17]
.LBB114_898:
	s_andn2_saveexec_b64 s[0:1], s[0:1]
	s_cbranch_execz .LBB114_900
; %bb.899:
	v_mov_b32_e32 v245, 42
	ds_write2_b64 v244, v[52:53], v[54:55] offset0:86 offset1:87
	ds_write2_b64 v244, v[48:49], v[50:51] offset0:88 offset1:89
	;; [unrolled: 1-line block ×15, first 2 shown]
.LBB114_900:
	s_or_b64 exec, exec, s[0:1]
	v_cmp_lt_i32_e32 vcc, 42, v245
	s_waitcnt lgkmcnt(0)
	s_barrier
	s_and_saveexec_b64 s[0:1], vcc
	s_cbranch_execz .LBB114_902
; %bb.901:
	ds_read2_b64 v[248:251], v244 offset0:86 offset1:87
	v_mul_f64 v[242:243], v[232:233], v[58:59]
	v_mul_f64 v[58:59], v[234:235], v[58:59]
	v_fmac_f64_e32 v[242:243], v[234:235], v[56:57]
	v_fma_f64 v[56:57], v[232:233], v[56:57], -v[58:59]
	ds_read2_b64 v[232:235], v244 offset0:88 offset1:89
	s_waitcnt lgkmcnt(1)
	v_mul_f64 v[58:59], v[250:251], v[242:243]
	v_mul_f64 v[152:153], v[248:249], v[242:243]
	v_fma_f64 v[58:59], v[248:249], v[56:57], -v[58:59]
	v_fmac_f64_e32 v[152:153], v[250:251], v[56:57]
	ds_read2_b64 v[248:251], v244 offset0:90 offset1:91
	v_add_f64 v[52:53], v[52:53], -v[58:59]
	v_add_f64 v[54:55], v[54:55], -v[152:153]
	s_waitcnt lgkmcnt(1)
	v_mul_f64 v[58:59], v[234:235], v[242:243]
	v_mul_f64 v[152:153], v[232:233], v[242:243]
	v_fma_f64 v[58:59], v[232:233], v[56:57], -v[58:59]
	v_fmac_f64_e32 v[152:153], v[234:235], v[56:57]
	ds_read2_b64 v[232:235], v244 offset0:92 offset1:93
	v_add_f64 v[48:49], v[48:49], -v[58:59]
	v_add_f64 v[50:51], v[50:51], -v[152:153]
	;; [unrolled: 8-line block ×13, first 2 shown]
	s_waitcnt lgkmcnt(1)
	v_mul_f64 v[58:59], v[234:235], v[242:243]
	v_mul_f64 v[152:153], v[232:233], v[242:243]
	v_fma_f64 v[58:59], v[232:233], v[56:57], -v[58:59]
	v_fmac_f64_e32 v[152:153], v[234:235], v[56:57]
	v_add_f64 v[0:1], v[0:1], -v[58:59]
	v_add_f64 v[2:3], v[2:3], -v[152:153]
	s_waitcnt lgkmcnt(0)
	v_mul_f64 v[58:59], v[250:251], v[242:243]
	v_mul_f64 v[152:153], v[248:249], v[242:243]
	v_fma_f64 v[58:59], v[248:249], v[56:57], -v[58:59]
	v_fmac_f64_e32 v[152:153], v[250:251], v[56:57]
	v_add_f64 v[228:229], v[228:229], -v[58:59]
	v_add_f64 v[230:231], v[230:231], -v[152:153]
	v_mov_b64_e32 v[58:59], v[242:243]
.LBB114_902:
	s_or_b64 exec, exec, s[0:1]
	v_lshl_add_u32 v152, v245, 4, v244
	s_barrier
	ds_write2_b64 v152, v[52:53], v[54:55] offset1:1
	s_waitcnt lgkmcnt(0)
	s_barrier
	ds_read2_b64 v[232:235], v244 offset0:86 offset1:87
	s_cmp_lt_i32 s20, 45
	v_mov_b32_e32 v242, 43
	s_cbranch_scc1 .LBB114_905
; %bb.903:
	v_add_u32_e32 v243, 0x2c0, v244
	s_mov_b32 s0, 44
	v_mov_b32_e32 v242, 43
.LBB114_904:                            ; =>This Inner Loop Header: Depth=1
	ds_read2_b64 v[248:251], v243 offset1:1
	s_waitcnt lgkmcnt(1)
	v_cmp_gt_f64_e32 vcc, 0, v[232:233]
	v_xor_b32_e32 v152, 0x80000000, v233
	v_xor_b32_e32 v154, 0x80000000, v235
	v_cndmask_b32_e32 v153, v233, v152, vcc
	v_cmp_gt_f64_e32 vcc, 0, v[234:235]
	v_mov_b32_e32 v152, v232
	s_waitcnt lgkmcnt(0)
	v_xor_b32_e32 v156, 0x80000000, v251
	v_cndmask_b32_e32 v155, v235, v154, vcc
	v_mov_b32_e32 v154, v234
	v_add_f64 v[152:153], v[152:153], v[154:155]
	v_cmp_gt_f64_e32 vcc, 0, v[248:249]
	v_xor_b32_e32 v154, 0x80000000, v249
	v_add_u32_e32 v243, 16, v243
	v_cndmask_b32_e32 v155, v249, v154, vcc
	v_cmp_gt_f64_e32 vcc, 0, v[250:251]
	v_mov_b32_e32 v154, v248
	s_nop 0
	v_cndmask_b32_e32 v157, v251, v156, vcc
	v_mov_b32_e32 v156, v250
	v_add_f64 v[154:155], v[154:155], v[156:157]
	v_cmp_lt_f64_e32 vcc, v[152:153], v[154:155]
	v_mov_b32_e32 v152, s0
	s_add_i32 s0, s0, 1
	v_cndmask_b32_e32 v233, v233, v249, vcc
	v_cndmask_b32_e32 v232, v232, v248, vcc
	;; [unrolled: 1-line block ×5, first 2 shown]
	s_cmp_lg_u32 s20, s0
	s_cbranch_scc1 .LBB114_904
.LBB114_905:
	s_waitcnt lgkmcnt(0)
	v_cmp_eq_f64_e32 vcc, 0, v[232:233]
	v_cmp_eq_f64_e64 s[0:1], 0, v[234:235]
	s_and_b64 s[0:1], vcc, s[0:1]
	s_and_saveexec_b64 s[16:17], s[0:1]
	s_xor_b64 s[0:1], exec, s[16:17]
; %bb.906:
	v_cmp_ne_u32_e32 vcc, 0, v246
	s_nop 1
	v_cndmask_b32_e32 v246, 44, v246, vcc
; %bb.907:
	s_andn2_saveexec_b64 s[0:1], s[0:1]
	s_cbranch_execz .LBB114_913
; %bb.908:
	v_cmp_ngt_f64_e64 s[16:17], |v[232:233]|, |v[234:235]|
	s_and_saveexec_b64 s[18:19], s[16:17]
	s_xor_b64 s[16:17], exec, s[18:19]
	s_cbranch_execz .LBB114_910
; %bb.909:
	v_div_scale_f64 v[152:153], s[18:19], v[234:235], v[234:235], v[232:233]
	v_rcp_f64_e32 v[154:155], v[152:153]
	v_div_scale_f64 v[156:157], vcc, v[232:233], v[234:235], v[232:233]
	v_fma_f64 v[158:159], -v[152:153], v[154:155], 1.0
	v_fmac_f64_e32 v[154:155], v[154:155], v[158:159]
	v_fma_f64 v[158:159], -v[152:153], v[154:155], 1.0
	v_fmac_f64_e32 v[154:155], v[154:155], v[158:159]
	v_mul_f64 v[158:159], v[156:157], v[154:155]
	v_fma_f64 v[152:153], -v[152:153], v[158:159], v[156:157]
	v_div_fmas_f64 v[152:153], v[152:153], v[154:155], v[158:159]
	v_div_fixup_f64 v[152:153], v[152:153], v[234:235], v[232:233]
	v_fmac_f64_e32 v[234:235], v[232:233], v[152:153]
	v_div_scale_f64 v[154:155], s[18:19], v[234:235], v[234:235], 1.0
	v_rcp_f64_e32 v[156:157], v[154:155]
	s_nop 0
	v_fma_f64 v[158:159], -v[154:155], v[156:157], 1.0
	v_fmac_f64_e32 v[156:157], v[156:157], v[158:159]
	v_fma_f64 v[158:159], -v[154:155], v[156:157], 1.0
	v_fmac_f64_e32 v[156:157], v[156:157], v[158:159]
	v_div_scale_f64 v[158:159], vcc, 1.0, v[234:235], 1.0
	v_mul_f64 v[220:221], v[158:159], v[156:157]
	v_fma_f64 v[154:155], -v[154:155], v[220:221], v[158:159]
	s_nop 1
	v_div_fmas_f64 v[154:155], v[154:155], v[156:157], v[220:221]
	v_div_fixup_f64 v[234:235], v[154:155], v[234:235], 1.0
	v_mul_f64 v[232:233], v[152:153], v[234:235]
	v_xor_b32_e32 v235, 0x80000000, v235
.LBB114_910:
	s_andn2_saveexec_b64 s[16:17], s[16:17]
	s_cbranch_execz .LBB114_912
; %bb.911:
	v_div_scale_f64 v[152:153], s[18:19], v[232:233], v[232:233], v[234:235]
	v_rcp_f64_e32 v[154:155], v[152:153]
	v_div_scale_f64 v[156:157], vcc, v[234:235], v[232:233], v[234:235]
	v_fma_f64 v[158:159], -v[152:153], v[154:155], 1.0
	v_fmac_f64_e32 v[154:155], v[154:155], v[158:159]
	v_fma_f64 v[158:159], -v[152:153], v[154:155], 1.0
	v_fmac_f64_e32 v[154:155], v[154:155], v[158:159]
	v_mul_f64 v[158:159], v[156:157], v[154:155]
	v_fma_f64 v[152:153], -v[152:153], v[158:159], v[156:157]
	v_div_fmas_f64 v[152:153], v[152:153], v[154:155], v[158:159]
	v_div_fixup_f64 v[152:153], v[152:153], v[232:233], v[234:235]
	v_fmac_f64_e32 v[232:233], v[234:235], v[152:153]
	v_div_scale_f64 v[154:155], s[18:19], v[232:233], v[232:233], 1.0
	v_rcp_f64_e32 v[156:157], v[154:155]
	s_nop 0
	v_fma_f64 v[158:159], -v[154:155], v[156:157], 1.0
	v_fmac_f64_e32 v[156:157], v[156:157], v[158:159]
	v_fma_f64 v[158:159], -v[154:155], v[156:157], 1.0
	v_fmac_f64_e32 v[156:157], v[156:157], v[158:159]
	v_div_scale_f64 v[158:159], vcc, 1.0, v[232:233], 1.0
	v_mul_f64 v[220:221], v[158:159], v[156:157]
	v_fma_f64 v[154:155], -v[154:155], v[220:221], v[158:159]
	s_nop 1
	v_div_fmas_f64 v[154:155], v[154:155], v[156:157], v[220:221]
	v_div_fixup_f64 v[232:233], v[154:155], v[232:233], 1.0
	v_mul_f64 v[234:235], v[152:153], -v[232:233]
.LBB114_912:
	s_or_b64 exec, exec, s[16:17]
.LBB114_913:
	s_or_b64 exec, exec, s[0:1]
	v_cmp_ne_u32_e32 vcc, v245, v242
	s_and_saveexec_b64 s[0:1], vcc
	s_xor_b64 s[0:1], exec, s[0:1]
	s_cbranch_execz .LBB114_919
; %bb.914:
	v_cmp_eq_u32_e32 vcc, 43, v245
	s_and_saveexec_b64 s[16:17], vcc
	s_cbranch_execz .LBB114_918
; %bb.915:
	v_cmp_ne_u32_e32 vcc, 43, v242
	s_xor_b64 s[18:19], s[14:15], -1
	s_and_b64 s[22:23], s[18:19], vcc
	s_and_saveexec_b64 s[18:19], s[22:23]
	s_cbranch_execz .LBB114_917
; %bb.916:
	v_ashrrev_i32_e32 v243, 31, v242
	v_lshl_add_u64 v[152:153], v[242:243], 2, v[4:5]
	global_load_dword v154, v[152:153], off
	global_load_dword v155, v[4:5], off offset:172
	s_waitcnt vmcnt(1)
	global_store_dword v[4:5], v154, off offset:172
	s_waitcnt vmcnt(1)
	global_store_dword v[152:153], v155, off
.LBB114_917:
	s_or_b64 exec, exec, s[18:19]
	v_mov_b32_e32 v245, v242
	v_mov_b32_e32 v236, v242
.LBB114_918:
	s_or_b64 exec, exec, s[16:17]
.LBB114_919:
	s_andn2_saveexec_b64 s[0:1], s[0:1]
	s_cbranch_execz .LBB114_921
; %bb.920:
	v_mov_b32_e32 v245, 43
	ds_write2_b64 v244, v[48:49], v[50:51] offset0:88 offset1:89
	ds_write2_b64 v244, v[44:45], v[46:47] offset0:90 offset1:91
	;; [unrolled: 1-line block ×14, first 2 shown]
.LBB114_921:
	s_or_b64 exec, exec, s[0:1]
	v_cmp_lt_i32_e32 vcc, 43, v245
	s_waitcnt lgkmcnt(0)
	s_barrier
	s_and_saveexec_b64 s[0:1], vcc
	s_cbranch_execz .LBB114_923
; %bb.922:
	ds_read2_b64 v[248:251], v244 offset0:88 offset1:89
	v_mul_f64 v[242:243], v[232:233], v[54:55]
	v_mul_f64 v[54:55], v[234:235], v[54:55]
	v_fmac_f64_e32 v[242:243], v[234:235], v[52:53]
	v_fma_f64 v[52:53], v[232:233], v[52:53], -v[54:55]
	ds_read2_b64 v[232:235], v244 offset0:90 offset1:91
	s_waitcnt lgkmcnt(1)
	v_mul_f64 v[54:55], v[250:251], v[242:243]
	v_mul_f64 v[152:153], v[248:249], v[242:243]
	v_fma_f64 v[54:55], v[248:249], v[52:53], -v[54:55]
	v_fmac_f64_e32 v[152:153], v[250:251], v[52:53]
	ds_read2_b64 v[248:251], v244 offset0:92 offset1:93
	v_add_f64 v[48:49], v[48:49], -v[54:55]
	v_add_f64 v[50:51], v[50:51], -v[152:153]
	s_waitcnt lgkmcnt(1)
	v_mul_f64 v[54:55], v[234:235], v[242:243]
	v_mul_f64 v[152:153], v[232:233], v[242:243]
	v_fma_f64 v[54:55], v[232:233], v[52:53], -v[54:55]
	v_fmac_f64_e32 v[152:153], v[234:235], v[52:53]
	ds_read2_b64 v[232:235], v244 offset0:94 offset1:95
	v_add_f64 v[44:45], v[44:45], -v[54:55]
	v_add_f64 v[46:47], v[46:47], -v[152:153]
	;; [unrolled: 8-line block ×12, first 2 shown]
	s_waitcnt lgkmcnt(1)
	v_mul_f64 v[54:55], v[250:251], v[242:243]
	v_mul_f64 v[152:153], v[248:249], v[242:243]
	v_fma_f64 v[54:55], v[248:249], v[52:53], -v[54:55]
	v_fmac_f64_e32 v[152:153], v[250:251], v[52:53]
	v_add_f64 v[0:1], v[0:1], -v[54:55]
	v_add_f64 v[2:3], v[2:3], -v[152:153]
	s_waitcnt lgkmcnt(0)
	v_mul_f64 v[54:55], v[234:235], v[242:243]
	v_mul_f64 v[152:153], v[232:233], v[242:243]
	v_fma_f64 v[54:55], v[232:233], v[52:53], -v[54:55]
	v_fmac_f64_e32 v[152:153], v[234:235], v[52:53]
	v_add_f64 v[228:229], v[228:229], -v[54:55]
	v_add_f64 v[230:231], v[230:231], -v[152:153]
	v_mov_b64_e32 v[54:55], v[242:243]
.LBB114_923:
	s_or_b64 exec, exec, s[0:1]
	v_lshl_add_u32 v152, v245, 4, v244
	s_barrier
	ds_write2_b64 v152, v[48:49], v[50:51] offset1:1
	s_waitcnt lgkmcnt(0)
	s_barrier
	ds_read2_b64 v[232:235], v244 offset0:88 offset1:89
	s_cmp_lt_i32 s20, 46
	v_mov_b32_e32 v242, 44
	s_cbranch_scc1 .LBB114_926
; %bb.924:
	v_add_u32_e32 v243, 0x2d0, v244
	s_mov_b32 s0, 45
	v_mov_b32_e32 v242, 44
.LBB114_925:                            ; =>This Inner Loop Header: Depth=1
	ds_read2_b64 v[248:251], v243 offset1:1
	s_waitcnt lgkmcnt(1)
	v_cmp_gt_f64_e32 vcc, 0, v[232:233]
	v_xor_b32_e32 v152, 0x80000000, v233
	v_xor_b32_e32 v154, 0x80000000, v235
	v_cndmask_b32_e32 v153, v233, v152, vcc
	v_cmp_gt_f64_e32 vcc, 0, v[234:235]
	v_mov_b32_e32 v152, v232
	s_waitcnt lgkmcnt(0)
	v_xor_b32_e32 v156, 0x80000000, v251
	v_cndmask_b32_e32 v155, v235, v154, vcc
	v_mov_b32_e32 v154, v234
	v_add_f64 v[152:153], v[152:153], v[154:155]
	v_cmp_gt_f64_e32 vcc, 0, v[248:249]
	v_xor_b32_e32 v154, 0x80000000, v249
	v_add_u32_e32 v243, 16, v243
	v_cndmask_b32_e32 v155, v249, v154, vcc
	v_cmp_gt_f64_e32 vcc, 0, v[250:251]
	v_mov_b32_e32 v154, v248
	s_nop 0
	v_cndmask_b32_e32 v157, v251, v156, vcc
	v_mov_b32_e32 v156, v250
	v_add_f64 v[154:155], v[154:155], v[156:157]
	v_cmp_lt_f64_e32 vcc, v[152:153], v[154:155]
	v_mov_b32_e32 v152, s0
	s_add_i32 s0, s0, 1
	v_cndmask_b32_e32 v233, v233, v249, vcc
	v_cndmask_b32_e32 v232, v232, v248, vcc
	;; [unrolled: 1-line block ×5, first 2 shown]
	s_cmp_lg_u32 s20, s0
	s_cbranch_scc1 .LBB114_925
.LBB114_926:
	s_waitcnt lgkmcnt(0)
	v_cmp_eq_f64_e32 vcc, 0, v[232:233]
	v_cmp_eq_f64_e64 s[0:1], 0, v[234:235]
	s_and_b64 s[0:1], vcc, s[0:1]
	s_and_saveexec_b64 s[16:17], s[0:1]
	s_xor_b64 s[0:1], exec, s[16:17]
; %bb.927:
	v_cmp_ne_u32_e32 vcc, 0, v246
	s_nop 1
	v_cndmask_b32_e32 v246, 45, v246, vcc
; %bb.928:
	s_andn2_saveexec_b64 s[0:1], s[0:1]
	s_cbranch_execz .LBB114_934
; %bb.929:
	v_cmp_ngt_f64_e64 s[16:17], |v[232:233]|, |v[234:235]|
	s_and_saveexec_b64 s[18:19], s[16:17]
	s_xor_b64 s[16:17], exec, s[18:19]
	s_cbranch_execz .LBB114_931
; %bb.930:
	v_div_scale_f64 v[152:153], s[18:19], v[234:235], v[234:235], v[232:233]
	v_rcp_f64_e32 v[154:155], v[152:153]
	v_div_scale_f64 v[156:157], vcc, v[232:233], v[234:235], v[232:233]
	v_fma_f64 v[158:159], -v[152:153], v[154:155], 1.0
	v_fmac_f64_e32 v[154:155], v[154:155], v[158:159]
	v_fma_f64 v[158:159], -v[152:153], v[154:155], 1.0
	v_fmac_f64_e32 v[154:155], v[154:155], v[158:159]
	v_mul_f64 v[158:159], v[156:157], v[154:155]
	v_fma_f64 v[152:153], -v[152:153], v[158:159], v[156:157]
	v_div_fmas_f64 v[152:153], v[152:153], v[154:155], v[158:159]
	v_div_fixup_f64 v[152:153], v[152:153], v[234:235], v[232:233]
	v_fmac_f64_e32 v[234:235], v[232:233], v[152:153]
	v_div_scale_f64 v[154:155], s[18:19], v[234:235], v[234:235], 1.0
	v_rcp_f64_e32 v[156:157], v[154:155]
	s_nop 0
	v_fma_f64 v[158:159], -v[154:155], v[156:157], 1.0
	v_fmac_f64_e32 v[156:157], v[156:157], v[158:159]
	v_fma_f64 v[158:159], -v[154:155], v[156:157], 1.0
	v_fmac_f64_e32 v[156:157], v[156:157], v[158:159]
	v_div_scale_f64 v[158:159], vcc, 1.0, v[234:235], 1.0
	v_mul_f64 v[220:221], v[158:159], v[156:157]
	v_fma_f64 v[154:155], -v[154:155], v[220:221], v[158:159]
	s_nop 1
	v_div_fmas_f64 v[154:155], v[154:155], v[156:157], v[220:221]
	v_div_fixup_f64 v[234:235], v[154:155], v[234:235], 1.0
	v_mul_f64 v[232:233], v[152:153], v[234:235]
	v_xor_b32_e32 v235, 0x80000000, v235
.LBB114_931:
	s_andn2_saveexec_b64 s[16:17], s[16:17]
	s_cbranch_execz .LBB114_933
; %bb.932:
	v_div_scale_f64 v[152:153], s[18:19], v[232:233], v[232:233], v[234:235]
	v_rcp_f64_e32 v[154:155], v[152:153]
	v_div_scale_f64 v[156:157], vcc, v[234:235], v[232:233], v[234:235]
	v_fma_f64 v[158:159], -v[152:153], v[154:155], 1.0
	v_fmac_f64_e32 v[154:155], v[154:155], v[158:159]
	v_fma_f64 v[158:159], -v[152:153], v[154:155], 1.0
	v_fmac_f64_e32 v[154:155], v[154:155], v[158:159]
	v_mul_f64 v[158:159], v[156:157], v[154:155]
	v_fma_f64 v[152:153], -v[152:153], v[158:159], v[156:157]
	v_div_fmas_f64 v[152:153], v[152:153], v[154:155], v[158:159]
	v_div_fixup_f64 v[152:153], v[152:153], v[232:233], v[234:235]
	v_fmac_f64_e32 v[232:233], v[234:235], v[152:153]
	v_div_scale_f64 v[154:155], s[18:19], v[232:233], v[232:233], 1.0
	v_rcp_f64_e32 v[156:157], v[154:155]
	s_nop 0
	v_fma_f64 v[158:159], -v[154:155], v[156:157], 1.0
	v_fmac_f64_e32 v[156:157], v[156:157], v[158:159]
	v_fma_f64 v[158:159], -v[154:155], v[156:157], 1.0
	v_fmac_f64_e32 v[156:157], v[156:157], v[158:159]
	v_div_scale_f64 v[158:159], vcc, 1.0, v[232:233], 1.0
	v_mul_f64 v[220:221], v[158:159], v[156:157]
	v_fma_f64 v[154:155], -v[154:155], v[220:221], v[158:159]
	s_nop 1
	v_div_fmas_f64 v[154:155], v[154:155], v[156:157], v[220:221]
	v_div_fixup_f64 v[232:233], v[154:155], v[232:233], 1.0
	v_mul_f64 v[234:235], v[152:153], -v[232:233]
.LBB114_933:
	s_or_b64 exec, exec, s[16:17]
.LBB114_934:
	s_or_b64 exec, exec, s[0:1]
	v_cmp_ne_u32_e32 vcc, v245, v242
	s_and_saveexec_b64 s[0:1], vcc
	s_xor_b64 s[0:1], exec, s[0:1]
	s_cbranch_execz .LBB114_940
; %bb.935:
	v_cmp_eq_u32_e32 vcc, 44, v245
	s_and_saveexec_b64 s[16:17], vcc
	s_cbranch_execz .LBB114_939
; %bb.936:
	v_cmp_ne_u32_e32 vcc, 44, v242
	s_xor_b64 s[18:19], s[14:15], -1
	s_and_b64 s[22:23], s[18:19], vcc
	s_and_saveexec_b64 s[18:19], s[22:23]
	s_cbranch_execz .LBB114_938
; %bb.937:
	v_ashrrev_i32_e32 v243, 31, v242
	v_lshl_add_u64 v[152:153], v[242:243], 2, v[4:5]
	global_load_dword v154, v[152:153], off
	global_load_dword v155, v[4:5], off offset:176
	s_waitcnt vmcnt(1)
	global_store_dword v[4:5], v154, off offset:176
	s_waitcnt vmcnt(1)
	global_store_dword v[152:153], v155, off
.LBB114_938:
	s_or_b64 exec, exec, s[18:19]
	v_mov_b32_e32 v245, v242
	v_mov_b32_e32 v236, v242
.LBB114_939:
	s_or_b64 exec, exec, s[16:17]
.LBB114_940:
	s_andn2_saveexec_b64 s[0:1], s[0:1]
	s_cbranch_execz .LBB114_942
; %bb.941:
	v_mov_b32_e32 v245, 44
	ds_write2_b64 v244, v[44:45], v[46:47] offset0:90 offset1:91
	ds_write2_b64 v244, v[40:41], v[42:43] offset0:92 offset1:93
	;; [unrolled: 1-line block ×13, first 2 shown]
.LBB114_942:
	s_or_b64 exec, exec, s[0:1]
	v_cmp_lt_i32_e32 vcc, 44, v245
	s_waitcnt lgkmcnt(0)
	s_barrier
	s_and_saveexec_b64 s[0:1], vcc
	s_cbranch_execz .LBB114_944
; %bb.943:
	ds_read2_b64 v[248:251], v244 offset0:90 offset1:91
	v_mul_f64 v[152:153], v[232:233], v[50:51]
	v_mul_f64 v[50:51], v[234:235], v[50:51]
	v_fmac_f64_e32 v[152:153], v[234:235], v[48:49]
	v_fma_f64 v[48:49], v[232:233], v[48:49], -v[50:51]
	ds_read2_b64 v[232:235], v244 offset0:92 offset1:93
	s_waitcnt lgkmcnt(1)
	v_mul_f64 v[50:51], v[250:251], v[152:153]
	v_mul_f64 v[154:155], v[248:249], v[152:153]
	v_fma_f64 v[50:51], v[248:249], v[48:49], -v[50:51]
	v_fmac_f64_e32 v[154:155], v[250:251], v[48:49]
	ds_read2_b64 v[248:251], v244 offset0:94 offset1:95
	v_add_f64 v[44:45], v[44:45], -v[50:51]
	v_add_f64 v[46:47], v[46:47], -v[154:155]
	s_waitcnt lgkmcnt(1)
	v_mul_f64 v[50:51], v[234:235], v[152:153]
	v_mul_f64 v[154:155], v[232:233], v[152:153]
	v_fma_f64 v[50:51], v[232:233], v[48:49], -v[50:51]
	v_fmac_f64_e32 v[154:155], v[234:235], v[48:49]
	ds_read2_b64 v[232:235], v244 offset0:96 offset1:97
	v_add_f64 v[40:41], v[40:41], -v[50:51]
	v_add_f64 v[42:43], v[42:43], -v[154:155]
	;; [unrolled: 8-line block ×11, first 2 shown]
	s_waitcnt lgkmcnt(1)
	v_mul_f64 v[50:51], v[234:235], v[152:153]
	v_mul_f64 v[154:155], v[232:233], v[152:153]
	v_fma_f64 v[50:51], v[232:233], v[48:49], -v[50:51]
	v_fmac_f64_e32 v[154:155], v[234:235], v[48:49]
	v_add_f64 v[0:1], v[0:1], -v[50:51]
	v_add_f64 v[2:3], v[2:3], -v[154:155]
	s_waitcnt lgkmcnt(0)
	v_mul_f64 v[50:51], v[250:251], v[152:153]
	v_mul_f64 v[154:155], v[248:249], v[152:153]
	v_fma_f64 v[50:51], v[248:249], v[48:49], -v[50:51]
	v_fmac_f64_e32 v[154:155], v[250:251], v[48:49]
	v_add_f64 v[228:229], v[228:229], -v[50:51]
	v_add_f64 v[230:231], v[230:231], -v[154:155]
	v_mov_b64_e32 v[50:51], v[152:153]
.LBB114_944:
	s_or_b64 exec, exec, s[0:1]
	v_lshl_add_u32 v152, v245, 4, v244
	s_barrier
	ds_write2_b64 v152, v[44:45], v[46:47] offset1:1
	s_waitcnt lgkmcnt(0)
	s_barrier
	ds_read2_b64 v[232:235], v244 offset0:90 offset1:91
	s_cmp_lt_i32 s20, 47
	v_mov_b32_e32 v242, 45
	s_cbranch_scc1 .LBB114_947
; %bb.945:
	v_add_u32_e32 v243, 0x2e0, v244
	s_mov_b32 s0, 46
	v_mov_b32_e32 v242, 45
.LBB114_946:                            ; =>This Inner Loop Header: Depth=1
	ds_read2_b64 v[248:251], v243 offset1:1
	s_waitcnt lgkmcnt(1)
	v_cmp_gt_f64_e32 vcc, 0, v[232:233]
	v_xor_b32_e32 v152, 0x80000000, v233
	v_xor_b32_e32 v154, 0x80000000, v235
	v_cndmask_b32_e32 v153, v233, v152, vcc
	v_cmp_gt_f64_e32 vcc, 0, v[234:235]
	v_mov_b32_e32 v152, v232
	s_waitcnt lgkmcnt(0)
	v_xor_b32_e32 v156, 0x80000000, v251
	v_cndmask_b32_e32 v155, v235, v154, vcc
	v_mov_b32_e32 v154, v234
	v_add_f64 v[152:153], v[152:153], v[154:155]
	v_cmp_gt_f64_e32 vcc, 0, v[248:249]
	v_xor_b32_e32 v154, 0x80000000, v249
	v_add_u32_e32 v243, 16, v243
	v_cndmask_b32_e32 v155, v249, v154, vcc
	v_cmp_gt_f64_e32 vcc, 0, v[250:251]
	v_mov_b32_e32 v154, v248
	s_nop 0
	v_cndmask_b32_e32 v157, v251, v156, vcc
	v_mov_b32_e32 v156, v250
	v_add_f64 v[154:155], v[154:155], v[156:157]
	v_cmp_lt_f64_e32 vcc, v[152:153], v[154:155]
	v_mov_b32_e32 v152, s0
	s_add_i32 s0, s0, 1
	v_cndmask_b32_e32 v233, v233, v249, vcc
	v_cndmask_b32_e32 v232, v232, v248, vcc
	;; [unrolled: 1-line block ×5, first 2 shown]
	s_cmp_lg_u32 s20, s0
	s_cbranch_scc1 .LBB114_946
.LBB114_947:
	s_waitcnt lgkmcnt(0)
	v_cmp_eq_f64_e32 vcc, 0, v[232:233]
	v_cmp_eq_f64_e64 s[0:1], 0, v[234:235]
	s_and_b64 s[0:1], vcc, s[0:1]
	s_and_saveexec_b64 s[16:17], s[0:1]
	s_xor_b64 s[0:1], exec, s[16:17]
; %bb.948:
	v_cmp_ne_u32_e32 vcc, 0, v246
	s_nop 1
	v_cndmask_b32_e32 v246, 46, v246, vcc
; %bb.949:
	s_andn2_saveexec_b64 s[0:1], s[0:1]
	s_cbranch_execz .LBB114_955
; %bb.950:
	v_cmp_ngt_f64_e64 s[16:17], |v[232:233]|, |v[234:235]|
	s_and_saveexec_b64 s[18:19], s[16:17]
	s_xor_b64 s[16:17], exec, s[18:19]
	s_cbranch_execz .LBB114_952
; %bb.951:
	v_div_scale_f64 v[152:153], s[18:19], v[234:235], v[234:235], v[232:233]
	v_rcp_f64_e32 v[154:155], v[152:153]
	v_div_scale_f64 v[156:157], vcc, v[232:233], v[234:235], v[232:233]
	v_fma_f64 v[158:159], -v[152:153], v[154:155], 1.0
	v_fmac_f64_e32 v[154:155], v[154:155], v[158:159]
	v_fma_f64 v[158:159], -v[152:153], v[154:155], 1.0
	v_fmac_f64_e32 v[154:155], v[154:155], v[158:159]
	v_mul_f64 v[158:159], v[156:157], v[154:155]
	v_fma_f64 v[152:153], -v[152:153], v[158:159], v[156:157]
	v_div_fmas_f64 v[152:153], v[152:153], v[154:155], v[158:159]
	v_div_fixup_f64 v[152:153], v[152:153], v[234:235], v[232:233]
	v_fmac_f64_e32 v[234:235], v[232:233], v[152:153]
	v_div_scale_f64 v[154:155], s[18:19], v[234:235], v[234:235], 1.0
	v_rcp_f64_e32 v[156:157], v[154:155]
	s_nop 0
	v_fma_f64 v[158:159], -v[154:155], v[156:157], 1.0
	v_fmac_f64_e32 v[156:157], v[156:157], v[158:159]
	v_fma_f64 v[158:159], -v[154:155], v[156:157], 1.0
	v_fmac_f64_e32 v[156:157], v[156:157], v[158:159]
	v_div_scale_f64 v[158:159], vcc, 1.0, v[234:235], 1.0
	v_mul_f64 v[220:221], v[158:159], v[156:157]
	v_fma_f64 v[154:155], -v[154:155], v[220:221], v[158:159]
	s_nop 1
	v_div_fmas_f64 v[154:155], v[154:155], v[156:157], v[220:221]
	v_div_fixup_f64 v[234:235], v[154:155], v[234:235], 1.0
	v_mul_f64 v[232:233], v[152:153], v[234:235]
	v_xor_b32_e32 v235, 0x80000000, v235
.LBB114_952:
	s_andn2_saveexec_b64 s[16:17], s[16:17]
	s_cbranch_execz .LBB114_954
; %bb.953:
	v_div_scale_f64 v[152:153], s[18:19], v[232:233], v[232:233], v[234:235]
	v_rcp_f64_e32 v[154:155], v[152:153]
	v_div_scale_f64 v[156:157], vcc, v[234:235], v[232:233], v[234:235]
	v_fma_f64 v[158:159], -v[152:153], v[154:155], 1.0
	v_fmac_f64_e32 v[154:155], v[154:155], v[158:159]
	v_fma_f64 v[158:159], -v[152:153], v[154:155], 1.0
	v_fmac_f64_e32 v[154:155], v[154:155], v[158:159]
	v_mul_f64 v[158:159], v[156:157], v[154:155]
	v_fma_f64 v[152:153], -v[152:153], v[158:159], v[156:157]
	v_div_fmas_f64 v[152:153], v[152:153], v[154:155], v[158:159]
	v_div_fixup_f64 v[152:153], v[152:153], v[232:233], v[234:235]
	v_fmac_f64_e32 v[232:233], v[234:235], v[152:153]
	v_div_scale_f64 v[154:155], s[18:19], v[232:233], v[232:233], 1.0
	v_rcp_f64_e32 v[156:157], v[154:155]
	s_nop 0
	v_fma_f64 v[158:159], -v[154:155], v[156:157], 1.0
	v_fmac_f64_e32 v[156:157], v[156:157], v[158:159]
	v_fma_f64 v[158:159], -v[154:155], v[156:157], 1.0
	v_fmac_f64_e32 v[156:157], v[156:157], v[158:159]
	v_div_scale_f64 v[158:159], vcc, 1.0, v[232:233], 1.0
	v_mul_f64 v[220:221], v[158:159], v[156:157]
	v_fma_f64 v[154:155], -v[154:155], v[220:221], v[158:159]
	s_nop 1
	v_div_fmas_f64 v[154:155], v[154:155], v[156:157], v[220:221]
	v_div_fixup_f64 v[232:233], v[154:155], v[232:233], 1.0
	v_mul_f64 v[234:235], v[152:153], -v[232:233]
.LBB114_954:
	s_or_b64 exec, exec, s[16:17]
.LBB114_955:
	s_or_b64 exec, exec, s[0:1]
	v_cmp_ne_u32_e32 vcc, v245, v242
	s_and_saveexec_b64 s[0:1], vcc
	s_xor_b64 s[0:1], exec, s[0:1]
	s_cbranch_execz .LBB114_961
; %bb.956:
	v_cmp_eq_u32_e32 vcc, 45, v245
	s_and_saveexec_b64 s[16:17], vcc
	s_cbranch_execz .LBB114_960
; %bb.957:
	v_cmp_ne_u32_e32 vcc, 45, v242
	s_xor_b64 s[18:19], s[14:15], -1
	s_and_b64 s[22:23], s[18:19], vcc
	s_and_saveexec_b64 s[18:19], s[22:23]
	s_cbranch_execz .LBB114_959
; %bb.958:
	v_ashrrev_i32_e32 v243, 31, v242
	v_lshl_add_u64 v[152:153], v[242:243], 2, v[4:5]
	global_load_dword v154, v[152:153], off
	global_load_dword v155, v[4:5], off offset:180
	s_waitcnt vmcnt(1)
	global_store_dword v[4:5], v154, off offset:180
	s_waitcnt vmcnt(1)
	global_store_dword v[152:153], v155, off
.LBB114_959:
	s_or_b64 exec, exec, s[18:19]
	v_mov_b32_e32 v245, v242
	v_mov_b32_e32 v236, v242
.LBB114_960:
	s_or_b64 exec, exec, s[16:17]
.LBB114_961:
	s_andn2_saveexec_b64 s[0:1], s[0:1]
	s_cbranch_execz .LBB114_963
; %bb.962:
	v_mov_b32_e32 v245, 45
	ds_write2_b64 v244, v[40:41], v[42:43] offset0:92 offset1:93
	ds_write2_b64 v244, v[36:37], v[38:39] offset0:94 offset1:95
	;; [unrolled: 1-line block ×12, first 2 shown]
.LBB114_963:
	s_or_b64 exec, exec, s[0:1]
	v_cmp_lt_i32_e32 vcc, 45, v245
	s_waitcnt lgkmcnt(0)
	s_barrier
	s_and_saveexec_b64 s[0:1], vcc
	s_cbranch_execz .LBB114_965
; %bb.964:
	ds_read2_b64 v[248:251], v244 offset0:92 offset1:93
	v_mul_f64 v[152:153], v[232:233], v[46:47]
	v_mul_f64 v[46:47], v[234:235], v[46:47]
	v_fmac_f64_e32 v[152:153], v[234:235], v[44:45]
	v_fma_f64 v[44:45], v[232:233], v[44:45], -v[46:47]
	ds_read2_b64 v[232:235], v244 offset0:94 offset1:95
	s_waitcnt lgkmcnt(1)
	v_mul_f64 v[46:47], v[250:251], v[152:153]
	v_mul_f64 v[154:155], v[248:249], v[152:153]
	v_fma_f64 v[46:47], v[248:249], v[44:45], -v[46:47]
	v_fmac_f64_e32 v[154:155], v[250:251], v[44:45]
	ds_read2_b64 v[248:251], v244 offset0:96 offset1:97
	v_add_f64 v[40:41], v[40:41], -v[46:47]
	v_add_f64 v[42:43], v[42:43], -v[154:155]
	s_waitcnt lgkmcnt(1)
	v_mul_f64 v[46:47], v[234:235], v[152:153]
	v_mul_f64 v[154:155], v[232:233], v[152:153]
	v_fma_f64 v[46:47], v[232:233], v[44:45], -v[46:47]
	v_fmac_f64_e32 v[154:155], v[234:235], v[44:45]
	ds_read2_b64 v[232:235], v244 offset0:98 offset1:99
	v_add_f64 v[36:37], v[36:37], -v[46:47]
	v_add_f64 v[38:39], v[38:39], -v[154:155]
	;; [unrolled: 8-line block ×10, first 2 shown]
	s_waitcnt lgkmcnt(1)
	v_mul_f64 v[46:47], v[250:251], v[152:153]
	v_mul_f64 v[154:155], v[248:249], v[152:153]
	v_fma_f64 v[46:47], v[248:249], v[44:45], -v[46:47]
	v_fmac_f64_e32 v[154:155], v[250:251], v[44:45]
	v_add_f64 v[0:1], v[0:1], -v[46:47]
	v_add_f64 v[2:3], v[2:3], -v[154:155]
	s_waitcnt lgkmcnt(0)
	v_mul_f64 v[46:47], v[234:235], v[152:153]
	v_mul_f64 v[154:155], v[232:233], v[152:153]
	v_fma_f64 v[46:47], v[232:233], v[44:45], -v[46:47]
	v_fmac_f64_e32 v[154:155], v[234:235], v[44:45]
	v_add_f64 v[228:229], v[228:229], -v[46:47]
	v_add_f64 v[230:231], v[230:231], -v[154:155]
	v_mov_b64_e32 v[46:47], v[152:153]
.LBB114_965:
	s_or_b64 exec, exec, s[0:1]
	v_lshl_add_u32 v152, v245, 4, v244
	s_barrier
	ds_write2_b64 v152, v[40:41], v[42:43] offset1:1
	s_waitcnt lgkmcnt(0)
	s_barrier
	ds_read2_b64 v[232:235], v244 offset0:92 offset1:93
	s_cmp_lt_i32 s20, 48
	v_mov_b32_e32 v242, 46
	s_cbranch_scc1 .LBB114_968
; %bb.966:
	v_add_u32_e32 v243, 0x2f0, v244
	s_mov_b32 s0, 47
	v_mov_b32_e32 v242, 46
.LBB114_967:                            ; =>This Inner Loop Header: Depth=1
	ds_read2_b64 v[248:251], v243 offset1:1
	s_waitcnt lgkmcnt(1)
	v_cmp_gt_f64_e32 vcc, 0, v[232:233]
	v_xor_b32_e32 v152, 0x80000000, v233
	v_xor_b32_e32 v154, 0x80000000, v235
	v_cndmask_b32_e32 v153, v233, v152, vcc
	v_cmp_gt_f64_e32 vcc, 0, v[234:235]
	v_mov_b32_e32 v152, v232
	s_waitcnt lgkmcnt(0)
	v_xor_b32_e32 v156, 0x80000000, v251
	v_cndmask_b32_e32 v155, v235, v154, vcc
	v_mov_b32_e32 v154, v234
	v_add_f64 v[152:153], v[152:153], v[154:155]
	v_cmp_gt_f64_e32 vcc, 0, v[248:249]
	v_xor_b32_e32 v154, 0x80000000, v249
	v_add_u32_e32 v243, 16, v243
	v_cndmask_b32_e32 v155, v249, v154, vcc
	v_cmp_gt_f64_e32 vcc, 0, v[250:251]
	v_mov_b32_e32 v154, v248
	s_nop 0
	v_cndmask_b32_e32 v157, v251, v156, vcc
	v_mov_b32_e32 v156, v250
	v_add_f64 v[154:155], v[154:155], v[156:157]
	v_cmp_lt_f64_e32 vcc, v[152:153], v[154:155]
	v_mov_b32_e32 v152, s0
	s_add_i32 s0, s0, 1
	v_cndmask_b32_e32 v233, v233, v249, vcc
	v_cndmask_b32_e32 v232, v232, v248, vcc
	;; [unrolled: 1-line block ×5, first 2 shown]
	s_cmp_lg_u32 s20, s0
	s_cbranch_scc1 .LBB114_967
.LBB114_968:
	s_waitcnt lgkmcnt(0)
	v_cmp_eq_f64_e32 vcc, 0, v[232:233]
	v_cmp_eq_f64_e64 s[0:1], 0, v[234:235]
	s_and_b64 s[0:1], vcc, s[0:1]
	s_and_saveexec_b64 s[16:17], s[0:1]
	s_xor_b64 s[0:1], exec, s[16:17]
; %bb.969:
	v_cmp_ne_u32_e32 vcc, 0, v246
	s_nop 1
	v_cndmask_b32_e32 v246, 47, v246, vcc
; %bb.970:
	s_andn2_saveexec_b64 s[0:1], s[0:1]
	s_cbranch_execz .LBB114_976
; %bb.971:
	v_cmp_ngt_f64_e64 s[16:17], |v[232:233]|, |v[234:235]|
	s_and_saveexec_b64 s[18:19], s[16:17]
	s_xor_b64 s[16:17], exec, s[18:19]
	s_cbranch_execz .LBB114_973
; %bb.972:
	v_div_scale_f64 v[152:153], s[18:19], v[234:235], v[234:235], v[232:233]
	v_rcp_f64_e32 v[154:155], v[152:153]
	v_div_scale_f64 v[156:157], vcc, v[232:233], v[234:235], v[232:233]
	v_fma_f64 v[158:159], -v[152:153], v[154:155], 1.0
	v_fmac_f64_e32 v[154:155], v[154:155], v[158:159]
	v_fma_f64 v[158:159], -v[152:153], v[154:155], 1.0
	v_fmac_f64_e32 v[154:155], v[154:155], v[158:159]
	v_mul_f64 v[158:159], v[156:157], v[154:155]
	v_fma_f64 v[152:153], -v[152:153], v[158:159], v[156:157]
	v_div_fmas_f64 v[152:153], v[152:153], v[154:155], v[158:159]
	v_div_fixup_f64 v[152:153], v[152:153], v[234:235], v[232:233]
	v_fmac_f64_e32 v[234:235], v[232:233], v[152:153]
	v_div_scale_f64 v[154:155], s[18:19], v[234:235], v[234:235], 1.0
	v_rcp_f64_e32 v[156:157], v[154:155]
	s_nop 0
	v_fma_f64 v[158:159], -v[154:155], v[156:157], 1.0
	v_fmac_f64_e32 v[156:157], v[156:157], v[158:159]
	v_fma_f64 v[158:159], -v[154:155], v[156:157], 1.0
	v_fmac_f64_e32 v[156:157], v[156:157], v[158:159]
	v_div_scale_f64 v[158:159], vcc, 1.0, v[234:235], 1.0
	v_mul_f64 v[220:221], v[158:159], v[156:157]
	v_fma_f64 v[154:155], -v[154:155], v[220:221], v[158:159]
	s_nop 1
	v_div_fmas_f64 v[154:155], v[154:155], v[156:157], v[220:221]
	v_div_fixup_f64 v[234:235], v[154:155], v[234:235], 1.0
	v_mul_f64 v[232:233], v[152:153], v[234:235]
	v_xor_b32_e32 v235, 0x80000000, v235
.LBB114_973:
	s_andn2_saveexec_b64 s[16:17], s[16:17]
	s_cbranch_execz .LBB114_975
; %bb.974:
	v_div_scale_f64 v[152:153], s[18:19], v[232:233], v[232:233], v[234:235]
	v_rcp_f64_e32 v[154:155], v[152:153]
	v_div_scale_f64 v[156:157], vcc, v[234:235], v[232:233], v[234:235]
	v_fma_f64 v[158:159], -v[152:153], v[154:155], 1.0
	v_fmac_f64_e32 v[154:155], v[154:155], v[158:159]
	v_fma_f64 v[158:159], -v[152:153], v[154:155], 1.0
	v_fmac_f64_e32 v[154:155], v[154:155], v[158:159]
	v_mul_f64 v[158:159], v[156:157], v[154:155]
	v_fma_f64 v[152:153], -v[152:153], v[158:159], v[156:157]
	v_div_fmas_f64 v[152:153], v[152:153], v[154:155], v[158:159]
	v_div_fixup_f64 v[152:153], v[152:153], v[232:233], v[234:235]
	v_fmac_f64_e32 v[232:233], v[234:235], v[152:153]
	v_div_scale_f64 v[154:155], s[18:19], v[232:233], v[232:233], 1.0
	v_rcp_f64_e32 v[156:157], v[154:155]
	s_nop 0
	v_fma_f64 v[158:159], -v[154:155], v[156:157], 1.0
	v_fmac_f64_e32 v[156:157], v[156:157], v[158:159]
	v_fma_f64 v[158:159], -v[154:155], v[156:157], 1.0
	v_fmac_f64_e32 v[156:157], v[156:157], v[158:159]
	v_div_scale_f64 v[158:159], vcc, 1.0, v[232:233], 1.0
	v_mul_f64 v[220:221], v[158:159], v[156:157]
	v_fma_f64 v[154:155], -v[154:155], v[220:221], v[158:159]
	s_nop 1
	v_div_fmas_f64 v[154:155], v[154:155], v[156:157], v[220:221]
	v_div_fixup_f64 v[232:233], v[154:155], v[232:233], 1.0
	v_mul_f64 v[234:235], v[152:153], -v[232:233]
.LBB114_975:
	s_or_b64 exec, exec, s[16:17]
.LBB114_976:
	s_or_b64 exec, exec, s[0:1]
	v_cmp_ne_u32_e32 vcc, v245, v242
	s_and_saveexec_b64 s[0:1], vcc
	s_xor_b64 s[0:1], exec, s[0:1]
	s_cbranch_execz .LBB114_982
; %bb.977:
	v_cmp_eq_u32_e32 vcc, 46, v245
	s_and_saveexec_b64 s[16:17], vcc
	s_cbranch_execz .LBB114_981
; %bb.978:
	v_cmp_ne_u32_e32 vcc, 46, v242
	s_xor_b64 s[18:19], s[14:15], -1
	s_and_b64 s[22:23], s[18:19], vcc
	s_and_saveexec_b64 s[18:19], s[22:23]
	s_cbranch_execz .LBB114_980
; %bb.979:
	v_ashrrev_i32_e32 v243, 31, v242
	v_lshl_add_u64 v[152:153], v[242:243], 2, v[4:5]
	global_load_dword v154, v[152:153], off
	global_load_dword v155, v[4:5], off offset:184
	s_waitcnt vmcnt(1)
	global_store_dword v[4:5], v154, off offset:184
	s_waitcnt vmcnt(1)
	global_store_dword v[152:153], v155, off
.LBB114_980:
	s_or_b64 exec, exec, s[18:19]
	v_mov_b32_e32 v245, v242
	v_mov_b32_e32 v236, v242
.LBB114_981:
	s_or_b64 exec, exec, s[16:17]
.LBB114_982:
	s_andn2_saveexec_b64 s[0:1], s[0:1]
	s_cbranch_execz .LBB114_984
; %bb.983:
	v_mov_b32_e32 v245, 46
	ds_write2_b64 v244, v[36:37], v[38:39] offset0:94 offset1:95
	ds_write2_b64 v244, v[32:33], v[34:35] offset0:96 offset1:97
	;; [unrolled: 1-line block ×11, first 2 shown]
.LBB114_984:
	s_or_b64 exec, exec, s[0:1]
	v_cmp_lt_i32_e32 vcc, 46, v245
	s_waitcnt lgkmcnt(0)
	s_barrier
	s_and_saveexec_b64 s[0:1], vcc
	s_cbranch_execz .LBB114_986
; %bb.985:
	ds_read2_b64 v[248:251], v244 offset0:94 offset1:95
	v_mul_f64 v[152:153], v[232:233], v[42:43]
	v_mul_f64 v[42:43], v[234:235], v[42:43]
	v_fmac_f64_e32 v[152:153], v[234:235], v[40:41]
	v_fma_f64 v[40:41], v[232:233], v[40:41], -v[42:43]
	ds_read2_b64 v[232:235], v244 offset0:96 offset1:97
	s_waitcnt lgkmcnt(1)
	v_mul_f64 v[42:43], v[250:251], v[152:153]
	v_mul_f64 v[154:155], v[248:249], v[152:153]
	v_fma_f64 v[42:43], v[248:249], v[40:41], -v[42:43]
	v_fmac_f64_e32 v[154:155], v[250:251], v[40:41]
	ds_read2_b64 v[248:251], v244 offset0:98 offset1:99
	v_add_f64 v[36:37], v[36:37], -v[42:43]
	v_add_f64 v[38:39], v[38:39], -v[154:155]
	s_waitcnt lgkmcnt(1)
	v_mul_f64 v[42:43], v[234:235], v[152:153]
	v_mul_f64 v[154:155], v[232:233], v[152:153]
	v_fma_f64 v[42:43], v[232:233], v[40:41], -v[42:43]
	v_fmac_f64_e32 v[154:155], v[234:235], v[40:41]
	ds_read2_b64 v[232:235], v244 offset0:100 offset1:101
	v_add_f64 v[32:33], v[32:33], -v[42:43]
	v_add_f64 v[34:35], v[34:35], -v[154:155]
	;; [unrolled: 8-line block ×9, first 2 shown]
	s_waitcnt lgkmcnt(1)
	v_mul_f64 v[42:43], v[234:235], v[152:153]
	v_mul_f64 v[154:155], v[232:233], v[152:153]
	v_fma_f64 v[42:43], v[232:233], v[40:41], -v[42:43]
	v_fmac_f64_e32 v[154:155], v[234:235], v[40:41]
	v_add_f64 v[0:1], v[0:1], -v[42:43]
	v_add_f64 v[2:3], v[2:3], -v[154:155]
	s_waitcnt lgkmcnt(0)
	v_mul_f64 v[42:43], v[250:251], v[152:153]
	v_mul_f64 v[154:155], v[248:249], v[152:153]
	v_fma_f64 v[42:43], v[248:249], v[40:41], -v[42:43]
	v_fmac_f64_e32 v[154:155], v[250:251], v[40:41]
	v_add_f64 v[228:229], v[228:229], -v[42:43]
	v_add_f64 v[230:231], v[230:231], -v[154:155]
	v_mov_b64_e32 v[42:43], v[152:153]
.LBB114_986:
	s_or_b64 exec, exec, s[0:1]
	v_lshl_add_u32 v152, v245, 4, v244
	s_barrier
	ds_write2_b64 v152, v[36:37], v[38:39] offset1:1
	s_waitcnt lgkmcnt(0)
	s_barrier
	ds_read2_b64 v[232:235], v244 offset0:94 offset1:95
	s_cmp_lt_i32 s20, 49
	v_mov_b32_e32 v242, 47
	s_cbranch_scc1 .LBB114_989
; %bb.987:
	v_add_u32_e32 v243, 0x300, v244
	s_mov_b32 s0, 48
	v_mov_b32_e32 v242, 47
.LBB114_988:                            ; =>This Inner Loop Header: Depth=1
	ds_read2_b64 v[248:251], v243 offset1:1
	s_waitcnt lgkmcnt(1)
	v_cmp_gt_f64_e32 vcc, 0, v[232:233]
	v_xor_b32_e32 v152, 0x80000000, v233
	v_xor_b32_e32 v154, 0x80000000, v235
	v_cndmask_b32_e32 v153, v233, v152, vcc
	v_cmp_gt_f64_e32 vcc, 0, v[234:235]
	v_mov_b32_e32 v152, v232
	s_waitcnt lgkmcnt(0)
	v_xor_b32_e32 v156, 0x80000000, v251
	v_cndmask_b32_e32 v155, v235, v154, vcc
	v_mov_b32_e32 v154, v234
	v_add_f64 v[152:153], v[152:153], v[154:155]
	v_cmp_gt_f64_e32 vcc, 0, v[248:249]
	v_xor_b32_e32 v154, 0x80000000, v249
	v_add_u32_e32 v243, 16, v243
	v_cndmask_b32_e32 v155, v249, v154, vcc
	v_cmp_gt_f64_e32 vcc, 0, v[250:251]
	v_mov_b32_e32 v154, v248
	s_nop 0
	v_cndmask_b32_e32 v157, v251, v156, vcc
	v_mov_b32_e32 v156, v250
	v_add_f64 v[154:155], v[154:155], v[156:157]
	v_cmp_lt_f64_e32 vcc, v[152:153], v[154:155]
	v_mov_b32_e32 v152, s0
	s_add_i32 s0, s0, 1
	v_cndmask_b32_e32 v233, v233, v249, vcc
	v_cndmask_b32_e32 v232, v232, v248, vcc
	;; [unrolled: 1-line block ×5, first 2 shown]
	s_cmp_lg_u32 s20, s0
	s_cbranch_scc1 .LBB114_988
.LBB114_989:
	s_waitcnt lgkmcnt(0)
	v_cmp_eq_f64_e32 vcc, 0, v[232:233]
	v_cmp_eq_f64_e64 s[0:1], 0, v[234:235]
	s_and_b64 s[0:1], vcc, s[0:1]
	s_and_saveexec_b64 s[16:17], s[0:1]
	s_xor_b64 s[0:1], exec, s[16:17]
; %bb.990:
	v_cmp_ne_u32_e32 vcc, 0, v246
	s_nop 1
	v_cndmask_b32_e32 v246, 48, v246, vcc
; %bb.991:
	s_andn2_saveexec_b64 s[0:1], s[0:1]
	s_cbranch_execz .LBB114_997
; %bb.992:
	v_cmp_ngt_f64_e64 s[16:17], |v[232:233]|, |v[234:235]|
	s_and_saveexec_b64 s[18:19], s[16:17]
	s_xor_b64 s[16:17], exec, s[18:19]
	s_cbranch_execz .LBB114_994
; %bb.993:
	v_div_scale_f64 v[152:153], s[18:19], v[234:235], v[234:235], v[232:233]
	v_rcp_f64_e32 v[154:155], v[152:153]
	v_div_scale_f64 v[156:157], vcc, v[232:233], v[234:235], v[232:233]
	v_fma_f64 v[158:159], -v[152:153], v[154:155], 1.0
	v_fmac_f64_e32 v[154:155], v[154:155], v[158:159]
	v_fma_f64 v[158:159], -v[152:153], v[154:155], 1.0
	v_fmac_f64_e32 v[154:155], v[154:155], v[158:159]
	v_mul_f64 v[158:159], v[156:157], v[154:155]
	v_fma_f64 v[152:153], -v[152:153], v[158:159], v[156:157]
	v_div_fmas_f64 v[152:153], v[152:153], v[154:155], v[158:159]
	v_div_fixup_f64 v[152:153], v[152:153], v[234:235], v[232:233]
	v_fmac_f64_e32 v[234:235], v[232:233], v[152:153]
	v_div_scale_f64 v[154:155], s[18:19], v[234:235], v[234:235], 1.0
	v_rcp_f64_e32 v[156:157], v[154:155]
	s_nop 0
	v_fma_f64 v[158:159], -v[154:155], v[156:157], 1.0
	v_fmac_f64_e32 v[156:157], v[156:157], v[158:159]
	v_fma_f64 v[158:159], -v[154:155], v[156:157], 1.0
	v_fmac_f64_e32 v[156:157], v[156:157], v[158:159]
	v_div_scale_f64 v[158:159], vcc, 1.0, v[234:235], 1.0
	v_mul_f64 v[220:221], v[158:159], v[156:157]
	v_fma_f64 v[154:155], -v[154:155], v[220:221], v[158:159]
	s_nop 1
	v_div_fmas_f64 v[154:155], v[154:155], v[156:157], v[220:221]
	v_div_fixup_f64 v[234:235], v[154:155], v[234:235], 1.0
	v_mul_f64 v[232:233], v[152:153], v[234:235]
	v_xor_b32_e32 v235, 0x80000000, v235
.LBB114_994:
	s_andn2_saveexec_b64 s[16:17], s[16:17]
	s_cbranch_execz .LBB114_996
; %bb.995:
	v_div_scale_f64 v[152:153], s[18:19], v[232:233], v[232:233], v[234:235]
	v_rcp_f64_e32 v[154:155], v[152:153]
	v_div_scale_f64 v[156:157], vcc, v[234:235], v[232:233], v[234:235]
	v_fma_f64 v[158:159], -v[152:153], v[154:155], 1.0
	v_fmac_f64_e32 v[154:155], v[154:155], v[158:159]
	v_fma_f64 v[158:159], -v[152:153], v[154:155], 1.0
	v_fmac_f64_e32 v[154:155], v[154:155], v[158:159]
	v_mul_f64 v[158:159], v[156:157], v[154:155]
	v_fma_f64 v[152:153], -v[152:153], v[158:159], v[156:157]
	v_div_fmas_f64 v[152:153], v[152:153], v[154:155], v[158:159]
	v_div_fixup_f64 v[152:153], v[152:153], v[232:233], v[234:235]
	v_fmac_f64_e32 v[232:233], v[234:235], v[152:153]
	v_div_scale_f64 v[154:155], s[18:19], v[232:233], v[232:233], 1.0
	v_rcp_f64_e32 v[156:157], v[154:155]
	s_nop 0
	v_fma_f64 v[158:159], -v[154:155], v[156:157], 1.0
	v_fmac_f64_e32 v[156:157], v[156:157], v[158:159]
	v_fma_f64 v[158:159], -v[154:155], v[156:157], 1.0
	v_fmac_f64_e32 v[156:157], v[156:157], v[158:159]
	v_div_scale_f64 v[158:159], vcc, 1.0, v[232:233], 1.0
	v_mul_f64 v[220:221], v[158:159], v[156:157]
	v_fma_f64 v[154:155], -v[154:155], v[220:221], v[158:159]
	s_nop 1
	v_div_fmas_f64 v[154:155], v[154:155], v[156:157], v[220:221]
	v_div_fixup_f64 v[232:233], v[154:155], v[232:233], 1.0
	v_mul_f64 v[234:235], v[152:153], -v[232:233]
.LBB114_996:
	s_or_b64 exec, exec, s[16:17]
.LBB114_997:
	s_or_b64 exec, exec, s[0:1]
	v_cmp_ne_u32_e32 vcc, v245, v242
	s_and_saveexec_b64 s[0:1], vcc
	s_xor_b64 s[0:1], exec, s[0:1]
	s_cbranch_execz .LBB114_1003
; %bb.998:
	v_cmp_eq_u32_e32 vcc, 47, v245
	s_and_saveexec_b64 s[16:17], vcc
	s_cbranch_execz .LBB114_1002
; %bb.999:
	v_cmp_ne_u32_e32 vcc, 47, v242
	s_xor_b64 s[18:19], s[14:15], -1
	s_and_b64 s[22:23], s[18:19], vcc
	s_and_saveexec_b64 s[18:19], s[22:23]
	s_cbranch_execz .LBB114_1001
; %bb.1000:
	v_ashrrev_i32_e32 v243, 31, v242
	v_lshl_add_u64 v[152:153], v[242:243], 2, v[4:5]
	global_load_dword v154, v[152:153], off
	global_load_dword v155, v[4:5], off offset:188
	s_waitcnt vmcnt(1)
	global_store_dword v[4:5], v154, off offset:188
	s_waitcnt vmcnt(1)
	global_store_dword v[152:153], v155, off
.LBB114_1001:
	s_or_b64 exec, exec, s[18:19]
	v_mov_b32_e32 v245, v242
	v_mov_b32_e32 v236, v242
.LBB114_1002:
	s_or_b64 exec, exec, s[16:17]
.LBB114_1003:
	s_andn2_saveexec_b64 s[0:1], s[0:1]
	s_cbranch_execz .LBB114_1005
; %bb.1004:
	v_mov_b32_e32 v245, 47
	ds_write2_b64 v244, v[32:33], v[34:35] offset0:96 offset1:97
	ds_write2_b64 v244, v[28:29], v[30:31] offset0:98 offset1:99
	;; [unrolled: 1-line block ×10, first 2 shown]
.LBB114_1005:
	s_or_b64 exec, exec, s[0:1]
	v_cmp_lt_i32_e32 vcc, 47, v245
	s_waitcnt lgkmcnt(0)
	s_barrier
	s_and_saveexec_b64 s[0:1], vcc
	s_cbranch_execz .LBB114_1007
; %bb.1006:
	ds_read2_b64 v[248:251], v244 offset0:96 offset1:97
	v_mul_f64 v[152:153], v[232:233], v[38:39]
	v_mul_f64 v[38:39], v[234:235], v[38:39]
	v_fmac_f64_e32 v[152:153], v[234:235], v[36:37]
	v_fma_f64 v[36:37], v[232:233], v[36:37], -v[38:39]
	ds_read2_b64 v[232:235], v244 offset0:98 offset1:99
	s_waitcnt lgkmcnt(1)
	v_mul_f64 v[38:39], v[250:251], v[152:153]
	v_mul_f64 v[154:155], v[248:249], v[152:153]
	v_fma_f64 v[38:39], v[248:249], v[36:37], -v[38:39]
	v_fmac_f64_e32 v[154:155], v[250:251], v[36:37]
	ds_read2_b64 v[248:251], v244 offset0:100 offset1:101
	v_add_f64 v[32:33], v[32:33], -v[38:39]
	v_add_f64 v[34:35], v[34:35], -v[154:155]
	s_waitcnt lgkmcnt(1)
	v_mul_f64 v[38:39], v[234:235], v[152:153]
	v_mul_f64 v[154:155], v[232:233], v[152:153]
	v_fma_f64 v[38:39], v[232:233], v[36:37], -v[38:39]
	v_fmac_f64_e32 v[154:155], v[234:235], v[36:37]
	ds_read2_b64 v[232:235], v244 offset0:102 offset1:103
	v_add_f64 v[28:29], v[28:29], -v[38:39]
	v_add_f64 v[30:31], v[30:31], -v[154:155]
	;; [unrolled: 8-line block ×8, first 2 shown]
	s_waitcnt lgkmcnt(1)
	v_mul_f64 v[38:39], v[250:251], v[152:153]
	v_mul_f64 v[154:155], v[248:249], v[152:153]
	v_fma_f64 v[38:39], v[248:249], v[36:37], -v[38:39]
	v_fmac_f64_e32 v[154:155], v[250:251], v[36:37]
	v_add_f64 v[0:1], v[0:1], -v[38:39]
	v_add_f64 v[2:3], v[2:3], -v[154:155]
	s_waitcnt lgkmcnt(0)
	v_mul_f64 v[38:39], v[234:235], v[152:153]
	v_mul_f64 v[154:155], v[232:233], v[152:153]
	v_fma_f64 v[38:39], v[232:233], v[36:37], -v[38:39]
	v_fmac_f64_e32 v[154:155], v[234:235], v[36:37]
	v_add_f64 v[228:229], v[228:229], -v[38:39]
	v_add_f64 v[230:231], v[230:231], -v[154:155]
	v_mov_b64_e32 v[38:39], v[152:153]
.LBB114_1007:
	s_or_b64 exec, exec, s[0:1]
	v_lshl_add_u32 v152, v245, 4, v244
	s_barrier
	ds_write2_b64 v152, v[32:33], v[34:35] offset1:1
	s_waitcnt lgkmcnt(0)
	s_barrier
	ds_read2_b64 v[232:235], v244 offset0:96 offset1:97
	s_cmp_lt_i32 s20, 50
	v_mov_b32_e32 v242, 48
	s_cbranch_scc1 .LBB114_1010
; %bb.1008:
	v_add_u32_e32 v243, 0x310, v244
	s_mov_b32 s0, 49
	v_mov_b32_e32 v242, 48
.LBB114_1009:                           ; =>This Inner Loop Header: Depth=1
	ds_read2_b64 v[248:251], v243 offset1:1
	s_waitcnt lgkmcnt(1)
	v_cmp_gt_f64_e32 vcc, 0, v[232:233]
	v_xor_b32_e32 v152, 0x80000000, v233
	v_xor_b32_e32 v154, 0x80000000, v235
	v_cndmask_b32_e32 v153, v233, v152, vcc
	v_cmp_gt_f64_e32 vcc, 0, v[234:235]
	v_mov_b32_e32 v152, v232
	s_waitcnt lgkmcnt(0)
	v_xor_b32_e32 v156, 0x80000000, v251
	v_cndmask_b32_e32 v155, v235, v154, vcc
	v_mov_b32_e32 v154, v234
	v_add_f64 v[152:153], v[152:153], v[154:155]
	v_cmp_gt_f64_e32 vcc, 0, v[248:249]
	v_xor_b32_e32 v154, 0x80000000, v249
	v_add_u32_e32 v243, 16, v243
	v_cndmask_b32_e32 v155, v249, v154, vcc
	v_cmp_gt_f64_e32 vcc, 0, v[250:251]
	v_mov_b32_e32 v154, v248
	s_nop 0
	v_cndmask_b32_e32 v157, v251, v156, vcc
	v_mov_b32_e32 v156, v250
	v_add_f64 v[154:155], v[154:155], v[156:157]
	v_cmp_lt_f64_e32 vcc, v[152:153], v[154:155]
	v_mov_b32_e32 v152, s0
	s_add_i32 s0, s0, 1
	v_cndmask_b32_e32 v233, v233, v249, vcc
	v_cndmask_b32_e32 v232, v232, v248, vcc
	;; [unrolled: 1-line block ×5, first 2 shown]
	s_cmp_lg_u32 s20, s0
	s_cbranch_scc1 .LBB114_1009
.LBB114_1010:
	s_waitcnt lgkmcnt(0)
	v_cmp_eq_f64_e32 vcc, 0, v[232:233]
	v_cmp_eq_f64_e64 s[0:1], 0, v[234:235]
	s_and_b64 s[0:1], vcc, s[0:1]
	s_and_saveexec_b64 s[16:17], s[0:1]
	s_xor_b64 s[0:1], exec, s[16:17]
; %bb.1011:
	v_cmp_ne_u32_e32 vcc, 0, v246
	s_nop 1
	v_cndmask_b32_e32 v246, 49, v246, vcc
; %bb.1012:
	s_andn2_saveexec_b64 s[0:1], s[0:1]
	s_cbranch_execz .LBB114_1018
; %bb.1013:
	v_cmp_ngt_f64_e64 s[16:17], |v[232:233]|, |v[234:235]|
	s_and_saveexec_b64 s[18:19], s[16:17]
	s_xor_b64 s[16:17], exec, s[18:19]
	s_cbranch_execz .LBB114_1015
; %bb.1014:
	v_div_scale_f64 v[152:153], s[18:19], v[234:235], v[234:235], v[232:233]
	v_rcp_f64_e32 v[154:155], v[152:153]
	v_div_scale_f64 v[156:157], vcc, v[232:233], v[234:235], v[232:233]
	v_fma_f64 v[158:159], -v[152:153], v[154:155], 1.0
	v_fmac_f64_e32 v[154:155], v[154:155], v[158:159]
	v_fma_f64 v[158:159], -v[152:153], v[154:155], 1.0
	v_fmac_f64_e32 v[154:155], v[154:155], v[158:159]
	v_mul_f64 v[158:159], v[156:157], v[154:155]
	v_fma_f64 v[152:153], -v[152:153], v[158:159], v[156:157]
	v_div_fmas_f64 v[152:153], v[152:153], v[154:155], v[158:159]
	v_div_fixup_f64 v[152:153], v[152:153], v[234:235], v[232:233]
	v_fmac_f64_e32 v[234:235], v[232:233], v[152:153]
	v_div_scale_f64 v[154:155], s[18:19], v[234:235], v[234:235], 1.0
	v_rcp_f64_e32 v[156:157], v[154:155]
	s_nop 0
	v_fma_f64 v[158:159], -v[154:155], v[156:157], 1.0
	v_fmac_f64_e32 v[156:157], v[156:157], v[158:159]
	v_fma_f64 v[158:159], -v[154:155], v[156:157], 1.0
	v_fmac_f64_e32 v[156:157], v[156:157], v[158:159]
	v_div_scale_f64 v[158:159], vcc, 1.0, v[234:235], 1.0
	v_mul_f64 v[220:221], v[158:159], v[156:157]
	v_fma_f64 v[154:155], -v[154:155], v[220:221], v[158:159]
	s_nop 1
	v_div_fmas_f64 v[154:155], v[154:155], v[156:157], v[220:221]
	v_div_fixup_f64 v[234:235], v[154:155], v[234:235], 1.0
	v_mul_f64 v[232:233], v[152:153], v[234:235]
	v_xor_b32_e32 v235, 0x80000000, v235
.LBB114_1015:
	s_andn2_saveexec_b64 s[16:17], s[16:17]
	s_cbranch_execz .LBB114_1017
; %bb.1016:
	v_div_scale_f64 v[152:153], s[18:19], v[232:233], v[232:233], v[234:235]
	v_rcp_f64_e32 v[154:155], v[152:153]
	v_div_scale_f64 v[156:157], vcc, v[234:235], v[232:233], v[234:235]
	v_fma_f64 v[158:159], -v[152:153], v[154:155], 1.0
	v_fmac_f64_e32 v[154:155], v[154:155], v[158:159]
	v_fma_f64 v[158:159], -v[152:153], v[154:155], 1.0
	v_fmac_f64_e32 v[154:155], v[154:155], v[158:159]
	v_mul_f64 v[158:159], v[156:157], v[154:155]
	v_fma_f64 v[152:153], -v[152:153], v[158:159], v[156:157]
	v_div_fmas_f64 v[152:153], v[152:153], v[154:155], v[158:159]
	v_div_fixup_f64 v[152:153], v[152:153], v[232:233], v[234:235]
	v_fmac_f64_e32 v[232:233], v[234:235], v[152:153]
	v_div_scale_f64 v[154:155], s[18:19], v[232:233], v[232:233], 1.0
	v_rcp_f64_e32 v[156:157], v[154:155]
	s_nop 0
	v_fma_f64 v[158:159], -v[154:155], v[156:157], 1.0
	v_fmac_f64_e32 v[156:157], v[156:157], v[158:159]
	v_fma_f64 v[158:159], -v[154:155], v[156:157], 1.0
	v_fmac_f64_e32 v[156:157], v[156:157], v[158:159]
	v_div_scale_f64 v[158:159], vcc, 1.0, v[232:233], 1.0
	v_mul_f64 v[220:221], v[158:159], v[156:157]
	v_fma_f64 v[154:155], -v[154:155], v[220:221], v[158:159]
	s_nop 1
	v_div_fmas_f64 v[154:155], v[154:155], v[156:157], v[220:221]
	v_div_fixup_f64 v[232:233], v[154:155], v[232:233], 1.0
	v_mul_f64 v[234:235], v[152:153], -v[232:233]
.LBB114_1017:
	s_or_b64 exec, exec, s[16:17]
.LBB114_1018:
	s_or_b64 exec, exec, s[0:1]
	v_cmp_ne_u32_e32 vcc, v245, v242
	s_and_saveexec_b64 s[0:1], vcc
	s_xor_b64 s[0:1], exec, s[0:1]
	s_cbranch_execz .LBB114_1024
; %bb.1019:
	v_cmp_eq_u32_e32 vcc, 48, v245
	s_and_saveexec_b64 s[16:17], vcc
	s_cbranch_execz .LBB114_1023
; %bb.1020:
	v_cmp_ne_u32_e32 vcc, 48, v242
	s_xor_b64 s[18:19], s[14:15], -1
	s_and_b64 s[22:23], s[18:19], vcc
	s_and_saveexec_b64 s[18:19], s[22:23]
	s_cbranch_execz .LBB114_1022
; %bb.1021:
	v_ashrrev_i32_e32 v243, 31, v242
	v_lshl_add_u64 v[152:153], v[242:243], 2, v[4:5]
	global_load_dword v154, v[152:153], off
	global_load_dword v155, v[4:5], off offset:192
	s_waitcnt vmcnt(1)
	global_store_dword v[4:5], v154, off offset:192
	s_waitcnt vmcnt(1)
	global_store_dword v[152:153], v155, off
.LBB114_1022:
	s_or_b64 exec, exec, s[18:19]
	v_mov_b32_e32 v245, v242
	v_mov_b32_e32 v236, v242
.LBB114_1023:
	s_or_b64 exec, exec, s[16:17]
.LBB114_1024:
	s_andn2_saveexec_b64 s[0:1], s[0:1]
	s_cbranch_execz .LBB114_1026
; %bb.1025:
	v_mov_b32_e32 v245, 48
	ds_write2_b64 v244, v[28:29], v[30:31] offset0:98 offset1:99
	ds_write2_b64 v244, v[24:25], v[26:27] offset0:100 offset1:101
	;; [unrolled: 1-line block ×9, first 2 shown]
.LBB114_1026:
	s_or_b64 exec, exec, s[0:1]
	v_cmp_lt_i32_e32 vcc, 48, v245
	s_waitcnt lgkmcnt(0)
	s_barrier
	s_and_saveexec_b64 s[0:1], vcc
	s_cbranch_execz .LBB114_1028
; %bb.1027:
	ds_read2_b64 v[248:251], v244 offset0:98 offset1:99
	v_mul_f64 v[152:153], v[232:233], v[34:35]
	v_mul_f64 v[34:35], v[234:235], v[34:35]
	v_fmac_f64_e32 v[152:153], v[234:235], v[32:33]
	v_fma_f64 v[32:33], v[232:233], v[32:33], -v[34:35]
	ds_read2_b64 v[232:235], v244 offset0:100 offset1:101
	s_waitcnt lgkmcnt(1)
	v_mul_f64 v[34:35], v[250:251], v[152:153]
	v_mul_f64 v[154:155], v[248:249], v[152:153]
	v_fma_f64 v[34:35], v[248:249], v[32:33], -v[34:35]
	v_fmac_f64_e32 v[154:155], v[250:251], v[32:33]
	ds_read2_b64 v[248:251], v244 offset0:102 offset1:103
	v_add_f64 v[28:29], v[28:29], -v[34:35]
	v_add_f64 v[30:31], v[30:31], -v[154:155]
	s_waitcnt lgkmcnt(1)
	v_mul_f64 v[34:35], v[234:235], v[152:153]
	v_mul_f64 v[154:155], v[232:233], v[152:153]
	v_fma_f64 v[34:35], v[232:233], v[32:33], -v[34:35]
	v_fmac_f64_e32 v[154:155], v[234:235], v[32:33]
	ds_read2_b64 v[232:235], v244 offset0:104 offset1:105
	v_add_f64 v[24:25], v[24:25], -v[34:35]
	v_add_f64 v[26:27], v[26:27], -v[154:155]
	;; [unrolled: 8-line block ×7, first 2 shown]
	s_waitcnt lgkmcnt(1)
	v_mul_f64 v[34:35], v[234:235], v[152:153]
	v_mul_f64 v[154:155], v[232:233], v[152:153]
	v_fma_f64 v[34:35], v[232:233], v[32:33], -v[34:35]
	v_fmac_f64_e32 v[154:155], v[234:235], v[32:33]
	v_add_f64 v[0:1], v[0:1], -v[34:35]
	v_add_f64 v[2:3], v[2:3], -v[154:155]
	s_waitcnt lgkmcnt(0)
	v_mul_f64 v[34:35], v[250:251], v[152:153]
	v_mul_f64 v[154:155], v[248:249], v[152:153]
	v_fma_f64 v[34:35], v[248:249], v[32:33], -v[34:35]
	v_fmac_f64_e32 v[154:155], v[250:251], v[32:33]
	v_add_f64 v[228:229], v[228:229], -v[34:35]
	v_add_f64 v[230:231], v[230:231], -v[154:155]
	v_mov_b64_e32 v[34:35], v[152:153]
.LBB114_1028:
	s_or_b64 exec, exec, s[0:1]
	v_lshl_add_u32 v152, v245, 4, v244
	s_barrier
	ds_write2_b64 v152, v[28:29], v[30:31] offset1:1
	s_waitcnt lgkmcnt(0)
	s_barrier
	ds_read2_b64 v[232:235], v244 offset0:98 offset1:99
	s_cmp_lt_i32 s20, 51
	v_mov_b32_e32 v242, 49
	s_cbranch_scc1 .LBB114_1031
; %bb.1029:
	v_add_u32_e32 v243, 0x320, v244
	s_mov_b32 s0, 50
	v_mov_b32_e32 v242, 49
.LBB114_1030:                           ; =>This Inner Loop Header: Depth=1
	ds_read2_b64 v[248:251], v243 offset1:1
	s_waitcnt lgkmcnt(1)
	v_cmp_gt_f64_e32 vcc, 0, v[232:233]
	v_xor_b32_e32 v152, 0x80000000, v233
	v_xor_b32_e32 v154, 0x80000000, v235
	v_cndmask_b32_e32 v153, v233, v152, vcc
	v_cmp_gt_f64_e32 vcc, 0, v[234:235]
	v_mov_b32_e32 v152, v232
	s_waitcnt lgkmcnt(0)
	v_xor_b32_e32 v156, 0x80000000, v251
	v_cndmask_b32_e32 v155, v235, v154, vcc
	v_mov_b32_e32 v154, v234
	v_add_f64 v[152:153], v[152:153], v[154:155]
	v_cmp_gt_f64_e32 vcc, 0, v[248:249]
	v_xor_b32_e32 v154, 0x80000000, v249
	v_add_u32_e32 v243, 16, v243
	v_cndmask_b32_e32 v155, v249, v154, vcc
	v_cmp_gt_f64_e32 vcc, 0, v[250:251]
	v_mov_b32_e32 v154, v248
	s_nop 0
	v_cndmask_b32_e32 v157, v251, v156, vcc
	v_mov_b32_e32 v156, v250
	v_add_f64 v[154:155], v[154:155], v[156:157]
	v_cmp_lt_f64_e32 vcc, v[152:153], v[154:155]
	v_mov_b32_e32 v152, s0
	s_add_i32 s0, s0, 1
	v_cndmask_b32_e32 v233, v233, v249, vcc
	v_cndmask_b32_e32 v232, v232, v248, vcc
	v_cndmask_b32_e32 v235, v235, v251, vcc
	v_cndmask_b32_e32 v234, v234, v250, vcc
	v_cndmask_b32_e32 v242, v242, v152, vcc
	s_cmp_lg_u32 s20, s0
	s_cbranch_scc1 .LBB114_1030
.LBB114_1031:
	s_waitcnt lgkmcnt(0)
	v_cmp_eq_f64_e32 vcc, 0, v[232:233]
	v_cmp_eq_f64_e64 s[0:1], 0, v[234:235]
	s_and_b64 s[0:1], vcc, s[0:1]
	s_and_saveexec_b64 s[16:17], s[0:1]
	s_xor_b64 s[0:1], exec, s[16:17]
; %bb.1032:
	v_cmp_ne_u32_e32 vcc, 0, v246
	s_nop 1
	v_cndmask_b32_e32 v246, 50, v246, vcc
; %bb.1033:
	s_andn2_saveexec_b64 s[0:1], s[0:1]
	s_cbranch_execz .LBB114_1039
; %bb.1034:
	v_cmp_ngt_f64_e64 s[16:17], |v[232:233]|, |v[234:235]|
	s_and_saveexec_b64 s[18:19], s[16:17]
	s_xor_b64 s[16:17], exec, s[18:19]
	s_cbranch_execz .LBB114_1036
; %bb.1035:
	v_div_scale_f64 v[152:153], s[18:19], v[234:235], v[234:235], v[232:233]
	v_rcp_f64_e32 v[154:155], v[152:153]
	v_div_scale_f64 v[156:157], vcc, v[232:233], v[234:235], v[232:233]
	v_fma_f64 v[158:159], -v[152:153], v[154:155], 1.0
	v_fmac_f64_e32 v[154:155], v[154:155], v[158:159]
	v_fma_f64 v[158:159], -v[152:153], v[154:155], 1.0
	v_fmac_f64_e32 v[154:155], v[154:155], v[158:159]
	v_mul_f64 v[158:159], v[156:157], v[154:155]
	v_fma_f64 v[152:153], -v[152:153], v[158:159], v[156:157]
	v_div_fmas_f64 v[152:153], v[152:153], v[154:155], v[158:159]
	v_div_fixup_f64 v[152:153], v[152:153], v[234:235], v[232:233]
	v_fmac_f64_e32 v[234:235], v[232:233], v[152:153]
	v_div_scale_f64 v[154:155], s[18:19], v[234:235], v[234:235], 1.0
	v_rcp_f64_e32 v[156:157], v[154:155]
	s_nop 0
	v_fma_f64 v[158:159], -v[154:155], v[156:157], 1.0
	v_fmac_f64_e32 v[156:157], v[156:157], v[158:159]
	v_fma_f64 v[158:159], -v[154:155], v[156:157], 1.0
	v_fmac_f64_e32 v[156:157], v[156:157], v[158:159]
	v_div_scale_f64 v[158:159], vcc, 1.0, v[234:235], 1.0
	v_mul_f64 v[220:221], v[158:159], v[156:157]
	v_fma_f64 v[154:155], -v[154:155], v[220:221], v[158:159]
	s_nop 1
	v_div_fmas_f64 v[154:155], v[154:155], v[156:157], v[220:221]
	v_div_fixup_f64 v[234:235], v[154:155], v[234:235], 1.0
	v_mul_f64 v[232:233], v[152:153], v[234:235]
	v_xor_b32_e32 v235, 0x80000000, v235
.LBB114_1036:
	s_andn2_saveexec_b64 s[16:17], s[16:17]
	s_cbranch_execz .LBB114_1038
; %bb.1037:
	v_div_scale_f64 v[152:153], s[18:19], v[232:233], v[232:233], v[234:235]
	v_rcp_f64_e32 v[154:155], v[152:153]
	v_div_scale_f64 v[156:157], vcc, v[234:235], v[232:233], v[234:235]
	v_fma_f64 v[158:159], -v[152:153], v[154:155], 1.0
	v_fmac_f64_e32 v[154:155], v[154:155], v[158:159]
	v_fma_f64 v[158:159], -v[152:153], v[154:155], 1.0
	v_fmac_f64_e32 v[154:155], v[154:155], v[158:159]
	v_mul_f64 v[158:159], v[156:157], v[154:155]
	v_fma_f64 v[152:153], -v[152:153], v[158:159], v[156:157]
	v_div_fmas_f64 v[152:153], v[152:153], v[154:155], v[158:159]
	v_div_fixup_f64 v[152:153], v[152:153], v[232:233], v[234:235]
	v_fmac_f64_e32 v[232:233], v[234:235], v[152:153]
	v_div_scale_f64 v[154:155], s[18:19], v[232:233], v[232:233], 1.0
	v_rcp_f64_e32 v[156:157], v[154:155]
	s_nop 0
	v_fma_f64 v[158:159], -v[154:155], v[156:157], 1.0
	v_fmac_f64_e32 v[156:157], v[156:157], v[158:159]
	v_fma_f64 v[158:159], -v[154:155], v[156:157], 1.0
	v_fmac_f64_e32 v[156:157], v[156:157], v[158:159]
	v_div_scale_f64 v[158:159], vcc, 1.0, v[232:233], 1.0
	v_mul_f64 v[220:221], v[158:159], v[156:157]
	v_fma_f64 v[154:155], -v[154:155], v[220:221], v[158:159]
	s_nop 1
	v_div_fmas_f64 v[154:155], v[154:155], v[156:157], v[220:221]
	v_div_fixup_f64 v[232:233], v[154:155], v[232:233], 1.0
	v_mul_f64 v[234:235], v[152:153], -v[232:233]
.LBB114_1038:
	s_or_b64 exec, exec, s[16:17]
.LBB114_1039:
	s_or_b64 exec, exec, s[0:1]
	v_cmp_ne_u32_e32 vcc, v245, v242
	s_and_saveexec_b64 s[0:1], vcc
	s_xor_b64 s[0:1], exec, s[0:1]
	s_cbranch_execz .LBB114_1045
; %bb.1040:
	v_cmp_eq_u32_e32 vcc, 49, v245
	s_and_saveexec_b64 s[16:17], vcc
	s_cbranch_execz .LBB114_1044
; %bb.1041:
	v_cmp_ne_u32_e32 vcc, 49, v242
	s_xor_b64 s[18:19], s[14:15], -1
	s_and_b64 s[22:23], s[18:19], vcc
	s_and_saveexec_b64 s[18:19], s[22:23]
	s_cbranch_execz .LBB114_1043
; %bb.1042:
	v_ashrrev_i32_e32 v243, 31, v242
	v_lshl_add_u64 v[152:153], v[242:243], 2, v[4:5]
	global_load_dword v154, v[152:153], off
	global_load_dword v155, v[4:5], off offset:196
	s_waitcnt vmcnt(1)
	global_store_dword v[4:5], v154, off offset:196
	s_waitcnt vmcnt(1)
	global_store_dword v[152:153], v155, off
.LBB114_1043:
	s_or_b64 exec, exec, s[18:19]
	v_mov_b32_e32 v245, v242
	v_mov_b32_e32 v236, v242
.LBB114_1044:
	s_or_b64 exec, exec, s[16:17]
.LBB114_1045:
	s_andn2_saveexec_b64 s[0:1], s[0:1]
	s_cbranch_execz .LBB114_1047
; %bb.1046:
	v_mov_b32_e32 v245, 49
	ds_write2_b64 v244, v[24:25], v[26:27] offset0:100 offset1:101
	ds_write2_b64 v244, v[20:21], v[22:23] offset0:102 offset1:103
	;; [unrolled: 1-line block ×8, first 2 shown]
.LBB114_1047:
	s_or_b64 exec, exec, s[0:1]
	v_cmp_lt_i32_e32 vcc, 49, v245
	s_waitcnt lgkmcnt(0)
	s_barrier
	s_and_saveexec_b64 s[0:1], vcc
	s_cbranch_execz .LBB114_1049
; %bb.1048:
	ds_read2_b64 v[248:251], v244 offset0:100 offset1:101
	v_mul_f64 v[152:153], v[232:233], v[30:31]
	v_mul_f64 v[30:31], v[234:235], v[30:31]
	v_fmac_f64_e32 v[152:153], v[234:235], v[28:29]
	v_fma_f64 v[28:29], v[232:233], v[28:29], -v[30:31]
	ds_read2_b64 v[232:235], v244 offset0:102 offset1:103
	s_waitcnt lgkmcnt(1)
	v_mul_f64 v[30:31], v[250:251], v[152:153]
	v_mul_f64 v[154:155], v[248:249], v[152:153]
	v_fma_f64 v[30:31], v[248:249], v[28:29], -v[30:31]
	v_fmac_f64_e32 v[154:155], v[250:251], v[28:29]
	ds_read2_b64 v[248:251], v244 offset0:104 offset1:105
	v_add_f64 v[24:25], v[24:25], -v[30:31]
	v_add_f64 v[26:27], v[26:27], -v[154:155]
	s_waitcnt lgkmcnt(1)
	v_mul_f64 v[30:31], v[234:235], v[152:153]
	v_mul_f64 v[154:155], v[232:233], v[152:153]
	v_fma_f64 v[30:31], v[232:233], v[28:29], -v[30:31]
	v_fmac_f64_e32 v[154:155], v[234:235], v[28:29]
	ds_read2_b64 v[232:235], v244 offset0:106 offset1:107
	v_add_f64 v[20:21], v[20:21], -v[30:31]
	v_add_f64 v[22:23], v[22:23], -v[154:155]
	s_waitcnt lgkmcnt(1)
	v_mul_f64 v[30:31], v[250:251], v[152:153]
	v_mul_f64 v[154:155], v[248:249], v[152:153]
	v_fma_f64 v[30:31], v[248:249], v[28:29], -v[30:31]
	v_fmac_f64_e32 v[154:155], v[250:251], v[28:29]
	ds_read2_b64 v[248:251], v244 offset0:108 offset1:109
	v_add_f64 v[16:17], v[16:17], -v[30:31]
	v_add_f64 v[18:19], v[18:19], -v[154:155]
	s_waitcnt lgkmcnt(1)
	v_mul_f64 v[30:31], v[234:235], v[152:153]
	v_mul_f64 v[154:155], v[232:233], v[152:153]
	v_fma_f64 v[30:31], v[232:233], v[28:29], -v[30:31]
	v_fmac_f64_e32 v[154:155], v[234:235], v[28:29]
	ds_read2_b64 v[232:235], v244 offset0:110 offset1:111
	v_add_f64 v[12:13], v[12:13], -v[30:31]
	v_add_f64 v[14:15], v[14:15], -v[154:155]
	s_waitcnt lgkmcnt(1)
	v_mul_f64 v[30:31], v[250:251], v[152:153]
	v_mul_f64 v[154:155], v[248:249], v[152:153]
	v_fma_f64 v[30:31], v[248:249], v[28:29], -v[30:31]
	v_fmac_f64_e32 v[154:155], v[250:251], v[28:29]
	ds_read2_b64 v[248:251], v244 offset0:112 offset1:113
	v_add_f64 v[8:9], v[8:9], -v[30:31]
	v_add_f64 v[10:11], v[10:11], -v[154:155]
	s_waitcnt lgkmcnt(1)
	v_mul_f64 v[30:31], v[234:235], v[152:153]
	v_mul_f64 v[154:155], v[232:233], v[152:153]
	v_fma_f64 v[30:31], v[232:233], v[28:29], -v[30:31]
	v_fmac_f64_e32 v[154:155], v[234:235], v[28:29]
	ds_read2_b64 v[232:235], v244 offset0:114 offset1:115
	v_add_f64 v[224:225], v[224:225], -v[30:31]
	v_add_f64 v[226:227], v[226:227], -v[154:155]
	s_waitcnt lgkmcnt(1)
	v_mul_f64 v[30:31], v[250:251], v[152:153]
	v_mul_f64 v[154:155], v[248:249], v[152:153]
	v_fma_f64 v[30:31], v[248:249], v[28:29], -v[30:31]
	v_fmac_f64_e32 v[154:155], v[250:251], v[28:29]
	v_add_f64 v[0:1], v[0:1], -v[30:31]
	v_add_f64 v[2:3], v[2:3], -v[154:155]
	s_waitcnt lgkmcnt(0)
	v_mul_f64 v[30:31], v[234:235], v[152:153]
	v_mul_f64 v[154:155], v[232:233], v[152:153]
	v_fma_f64 v[30:31], v[232:233], v[28:29], -v[30:31]
	v_fmac_f64_e32 v[154:155], v[234:235], v[28:29]
	v_add_f64 v[228:229], v[228:229], -v[30:31]
	v_add_f64 v[230:231], v[230:231], -v[154:155]
	v_mov_b64_e32 v[30:31], v[152:153]
.LBB114_1049:
	s_or_b64 exec, exec, s[0:1]
	v_lshl_add_u32 v152, v245, 4, v244
	s_barrier
	ds_write2_b64 v152, v[24:25], v[26:27] offset1:1
	s_waitcnt lgkmcnt(0)
	s_barrier
	ds_read2_b64 v[232:235], v244 offset0:100 offset1:101
	s_cmp_lt_i32 s20, 52
	v_mov_b32_e32 v242, 50
	s_cbranch_scc1 .LBB114_1052
; %bb.1050:
	v_add_u32_e32 v243, 0x330, v244
	s_mov_b32 s0, 51
	v_mov_b32_e32 v242, 50
.LBB114_1051:                           ; =>This Inner Loop Header: Depth=1
	ds_read2_b64 v[248:251], v243 offset1:1
	s_waitcnt lgkmcnt(1)
	v_cmp_gt_f64_e32 vcc, 0, v[232:233]
	v_xor_b32_e32 v152, 0x80000000, v233
	v_xor_b32_e32 v154, 0x80000000, v235
	v_cndmask_b32_e32 v153, v233, v152, vcc
	v_cmp_gt_f64_e32 vcc, 0, v[234:235]
	v_mov_b32_e32 v152, v232
	s_waitcnt lgkmcnt(0)
	v_xor_b32_e32 v156, 0x80000000, v251
	v_cndmask_b32_e32 v155, v235, v154, vcc
	v_mov_b32_e32 v154, v234
	v_add_f64 v[152:153], v[152:153], v[154:155]
	v_cmp_gt_f64_e32 vcc, 0, v[248:249]
	v_xor_b32_e32 v154, 0x80000000, v249
	v_add_u32_e32 v243, 16, v243
	v_cndmask_b32_e32 v155, v249, v154, vcc
	v_cmp_gt_f64_e32 vcc, 0, v[250:251]
	v_mov_b32_e32 v154, v248
	s_nop 0
	v_cndmask_b32_e32 v157, v251, v156, vcc
	v_mov_b32_e32 v156, v250
	v_add_f64 v[154:155], v[154:155], v[156:157]
	v_cmp_lt_f64_e32 vcc, v[152:153], v[154:155]
	v_mov_b32_e32 v152, s0
	s_add_i32 s0, s0, 1
	v_cndmask_b32_e32 v233, v233, v249, vcc
	v_cndmask_b32_e32 v232, v232, v248, vcc
	;; [unrolled: 1-line block ×5, first 2 shown]
	s_cmp_lg_u32 s20, s0
	s_cbranch_scc1 .LBB114_1051
.LBB114_1052:
	s_waitcnt lgkmcnt(0)
	v_cmp_eq_f64_e32 vcc, 0, v[232:233]
	v_cmp_eq_f64_e64 s[0:1], 0, v[234:235]
	s_and_b64 s[0:1], vcc, s[0:1]
	s_and_saveexec_b64 s[16:17], s[0:1]
	s_xor_b64 s[0:1], exec, s[16:17]
; %bb.1053:
	v_cmp_ne_u32_e32 vcc, 0, v246
	s_nop 1
	v_cndmask_b32_e32 v246, 51, v246, vcc
; %bb.1054:
	s_andn2_saveexec_b64 s[0:1], s[0:1]
	s_cbranch_execz .LBB114_1060
; %bb.1055:
	v_cmp_ngt_f64_e64 s[16:17], |v[232:233]|, |v[234:235]|
	s_and_saveexec_b64 s[18:19], s[16:17]
	s_xor_b64 s[16:17], exec, s[18:19]
	s_cbranch_execz .LBB114_1057
; %bb.1056:
	v_div_scale_f64 v[152:153], s[18:19], v[234:235], v[234:235], v[232:233]
	v_rcp_f64_e32 v[154:155], v[152:153]
	v_div_scale_f64 v[156:157], vcc, v[232:233], v[234:235], v[232:233]
	v_fma_f64 v[158:159], -v[152:153], v[154:155], 1.0
	v_fmac_f64_e32 v[154:155], v[154:155], v[158:159]
	v_fma_f64 v[158:159], -v[152:153], v[154:155], 1.0
	v_fmac_f64_e32 v[154:155], v[154:155], v[158:159]
	v_mul_f64 v[158:159], v[156:157], v[154:155]
	v_fma_f64 v[152:153], -v[152:153], v[158:159], v[156:157]
	v_div_fmas_f64 v[152:153], v[152:153], v[154:155], v[158:159]
	v_div_fixup_f64 v[152:153], v[152:153], v[234:235], v[232:233]
	v_fmac_f64_e32 v[234:235], v[232:233], v[152:153]
	v_div_scale_f64 v[154:155], s[18:19], v[234:235], v[234:235], 1.0
	v_rcp_f64_e32 v[156:157], v[154:155]
	s_nop 0
	v_fma_f64 v[158:159], -v[154:155], v[156:157], 1.0
	v_fmac_f64_e32 v[156:157], v[156:157], v[158:159]
	v_fma_f64 v[158:159], -v[154:155], v[156:157], 1.0
	v_fmac_f64_e32 v[156:157], v[156:157], v[158:159]
	v_div_scale_f64 v[158:159], vcc, 1.0, v[234:235], 1.0
	v_mul_f64 v[220:221], v[158:159], v[156:157]
	v_fma_f64 v[154:155], -v[154:155], v[220:221], v[158:159]
	s_nop 1
	v_div_fmas_f64 v[154:155], v[154:155], v[156:157], v[220:221]
	v_div_fixup_f64 v[234:235], v[154:155], v[234:235], 1.0
	v_mul_f64 v[232:233], v[152:153], v[234:235]
	v_xor_b32_e32 v235, 0x80000000, v235
.LBB114_1057:
	s_andn2_saveexec_b64 s[16:17], s[16:17]
	s_cbranch_execz .LBB114_1059
; %bb.1058:
	v_div_scale_f64 v[152:153], s[18:19], v[232:233], v[232:233], v[234:235]
	v_rcp_f64_e32 v[154:155], v[152:153]
	v_div_scale_f64 v[156:157], vcc, v[234:235], v[232:233], v[234:235]
	v_fma_f64 v[158:159], -v[152:153], v[154:155], 1.0
	v_fmac_f64_e32 v[154:155], v[154:155], v[158:159]
	v_fma_f64 v[158:159], -v[152:153], v[154:155], 1.0
	v_fmac_f64_e32 v[154:155], v[154:155], v[158:159]
	v_mul_f64 v[158:159], v[156:157], v[154:155]
	v_fma_f64 v[152:153], -v[152:153], v[158:159], v[156:157]
	v_div_fmas_f64 v[152:153], v[152:153], v[154:155], v[158:159]
	v_div_fixup_f64 v[152:153], v[152:153], v[232:233], v[234:235]
	v_fmac_f64_e32 v[232:233], v[234:235], v[152:153]
	v_div_scale_f64 v[154:155], s[18:19], v[232:233], v[232:233], 1.0
	v_rcp_f64_e32 v[156:157], v[154:155]
	s_nop 0
	v_fma_f64 v[158:159], -v[154:155], v[156:157], 1.0
	v_fmac_f64_e32 v[156:157], v[156:157], v[158:159]
	v_fma_f64 v[158:159], -v[154:155], v[156:157], 1.0
	v_fmac_f64_e32 v[156:157], v[156:157], v[158:159]
	v_div_scale_f64 v[158:159], vcc, 1.0, v[232:233], 1.0
	v_mul_f64 v[220:221], v[158:159], v[156:157]
	v_fma_f64 v[154:155], -v[154:155], v[220:221], v[158:159]
	s_nop 1
	v_div_fmas_f64 v[154:155], v[154:155], v[156:157], v[220:221]
	v_div_fixup_f64 v[232:233], v[154:155], v[232:233], 1.0
	v_mul_f64 v[234:235], v[152:153], -v[232:233]
.LBB114_1059:
	s_or_b64 exec, exec, s[16:17]
.LBB114_1060:
	s_or_b64 exec, exec, s[0:1]
	v_cmp_ne_u32_e32 vcc, v245, v242
	s_and_saveexec_b64 s[0:1], vcc
	s_xor_b64 s[0:1], exec, s[0:1]
	s_cbranch_execz .LBB114_1066
; %bb.1061:
	v_cmp_eq_u32_e32 vcc, 50, v245
	s_and_saveexec_b64 s[16:17], vcc
	s_cbranch_execz .LBB114_1065
; %bb.1062:
	v_cmp_ne_u32_e32 vcc, 50, v242
	s_xor_b64 s[18:19], s[14:15], -1
	s_and_b64 s[22:23], s[18:19], vcc
	s_and_saveexec_b64 s[18:19], s[22:23]
	s_cbranch_execz .LBB114_1064
; %bb.1063:
	v_ashrrev_i32_e32 v243, 31, v242
	v_lshl_add_u64 v[152:153], v[242:243], 2, v[4:5]
	global_load_dword v154, v[152:153], off
	global_load_dword v155, v[4:5], off offset:200
	s_waitcnt vmcnt(1)
	global_store_dword v[4:5], v154, off offset:200
	s_waitcnt vmcnt(1)
	global_store_dword v[152:153], v155, off
.LBB114_1064:
	s_or_b64 exec, exec, s[18:19]
	v_mov_b32_e32 v245, v242
	v_mov_b32_e32 v236, v242
.LBB114_1065:
	s_or_b64 exec, exec, s[16:17]
.LBB114_1066:
	s_andn2_saveexec_b64 s[0:1], s[0:1]
	s_cbranch_execz .LBB114_1068
; %bb.1067:
	v_mov_b32_e32 v245, 50
	ds_write2_b64 v244, v[20:21], v[22:23] offset0:102 offset1:103
	ds_write2_b64 v244, v[16:17], v[18:19] offset0:104 offset1:105
	;; [unrolled: 1-line block ×7, first 2 shown]
.LBB114_1068:
	s_or_b64 exec, exec, s[0:1]
	v_cmp_lt_i32_e32 vcc, 50, v245
	s_waitcnt lgkmcnt(0)
	s_barrier
	s_and_saveexec_b64 s[0:1], vcc
	s_cbranch_execz .LBB114_1070
; %bb.1069:
	ds_read2_b64 v[248:251], v244 offset0:102 offset1:103
	v_mul_f64 v[152:153], v[232:233], v[26:27]
	v_mul_f64 v[26:27], v[234:235], v[26:27]
	v_fmac_f64_e32 v[152:153], v[234:235], v[24:25]
	v_fma_f64 v[24:25], v[232:233], v[24:25], -v[26:27]
	ds_read2_b64 v[232:235], v244 offset0:104 offset1:105
	s_waitcnt lgkmcnt(1)
	v_mul_f64 v[26:27], v[250:251], v[152:153]
	v_mul_f64 v[154:155], v[248:249], v[152:153]
	v_fma_f64 v[26:27], v[248:249], v[24:25], -v[26:27]
	v_fmac_f64_e32 v[154:155], v[250:251], v[24:25]
	ds_read2_b64 v[248:251], v244 offset0:106 offset1:107
	v_add_f64 v[20:21], v[20:21], -v[26:27]
	v_add_f64 v[22:23], v[22:23], -v[154:155]
	s_waitcnt lgkmcnt(1)
	v_mul_f64 v[26:27], v[234:235], v[152:153]
	v_mul_f64 v[154:155], v[232:233], v[152:153]
	v_fma_f64 v[26:27], v[232:233], v[24:25], -v[26:27]
	v_fmac_f64_e32 v[154:155], v[234:235], v[24:25]
	ds_read2_b64 v[232:235], v244 offset0:108 offset1:109
	v_add_f64 v[16:17], v[16:17], -v[26:27]
	v_add_f64 v[18:19], v[18:19], -v[154:155]
	;; [unrolled: 8-line block ×5, first 2 shown]
	s_waitcnt lgkmcnt(1)
	v_mul_f64 v[26:27], v[234:235], v[152:153]
	v_mul_f64 v[154:155], v[232:233], v[152:153]
	v_fma_f64 v[26:27], v[232:233], v[24:25], -v[26:27]
	v_fmac_f64_e32 v[154:155], v[234:235], v[24:25]
	v_add_f64 v[0:1], v[0:1], -v[26:27]
	v_add_f64 v[2:3], v[2:3], -v[154:155]
	s_waitcnt lgkmcnt(0)
	v_mul_f64 v[26:27], v[250:251], v[152:153]
	v_mul_f64 v[154:155], v[248:249], v[152:153]
	v_fma_f64 v[26:27], v[248:249], v[24:25], -v[26:27]
	v_fmac_f64_e32 v[154:155], v[250:251], v[24:25]
	v_add_f64 v[228:229], v[228:229], -v[26:27]
	v_add_f64 v[230:231], v[230:231], -v[154:155]
	v_mov_b64_e32 v[26:27], v[152:153]
.LBB114_1070:
	s_or_b64 exec, exec, s[0:1]
	v_lshl_add_u32 v152, v245, 4, v244
	s_barrier
	ds_write2_b64 v152, v[20:21], v[22:23] offset1:1
	s_waitcnt lgkmcnt(0)
	s_barrier
	ds_read2_b64 v[232:235], v244 offset0:102 offset1:103
	s_cmp_lt_i32 s20, 53
	v_mov_b32_e32 v242, 51
	s_cbranch_scc1 .LBB114_1073
; %bb.1071:
	v_add_u32_e32 v243, 0x340, v244
	s_mov_b32 s0, 52
	v_mov_b32_e32 v242, 51
.LBB114_1072:                           ; =>This Inner Loop Header: Depth=1
	ds_read2_b64 v[248:251], v243 offset1:1
	s_waitcnt lgkmcnt(1)
	v_cmp_gt_f64_e32 vcc, 0, v[232:233]
	v_xor_b32_e32 v152, 0x80000000, v233
	v_xor_b32_e32 v154, 0x80000000, v235
	v_cndmask_b32_e32 v153, v233, v152, vcc
	v_cmp_gt_f64_e32 vcc, 0, v[234:235]
	v_mov_b32_e32 v152, v232
	s_waitcnt lgkmcnt(0)
	v_xor_b32_e32 v156, 0x80000000, v251
	v_cndmask_b32_e32 v155, v235, v154, vcc
	v_mov_b32_e32 v154, v234
	v_add_f64 v[152:153], v[152:153], v[154:155]
	v_cmp_gt_f64_e32 vcc, 0, v[248:249]
	v_xor_b32_e32 v154, 0x80000000, v249
	v_add_u32_e32 v243, 16, v243
	v_cndmask_b32_e32 v155, v249, v154, vcc
	v_cmp_gt_f64_e32 vcc, 0, v[250:251]
	v_mov_b32_e32 v154, v248
	s_nop 0
	v_cndmask_b32_e32 v157, v251, v156, vcc
	v_mov_b32_e32 v156, v250
	v_add_f64 v[154:155], v[154:155], v[156:157]
	v_cmp_lt_f64_e32 vcc, v[152:153], v[154:155]
	v_mov_b32_e32 v152, s0
	s_add_i32 s0, s0, 1
	v_cndmask_b32_e32 v233, v233, v249, vcc
	v_cndmask_b32_e32 v232, v232, v248, vcc
	v_cndmask_b32_e32 v235, v235, v251, vcc
	v_cndmask_b32_e32 v234, v234, v250, vcc
	v_cndmask_b32_e32 v242, v242, v152, vcc
	s_cmp_lg_u32 s20, s0
	s_cbranch_scc1 .LBB114_1072
.LBB114_1073:
	s_waitcnt lgkmcnt(0)
	v_cmp_eq_f64_e32 vcc, 0, v[232:233]
	v_cmp_eq_f64_e64 s[0:1], 0, v[234:235]
	s_and_b64 s[0:1], vcc, s[0:1]
	s_and_saveexec_b64 s[16:17], s[0:1]
	s_xor_b64 s[0:1], exec, s[16:17]
; %bb.1074:
	v_cmp_ne_u32_e32 vcc, 0, v246
	s_nop 1
	v_cndmask_b32_e32 v246, 52, v246, vcc
; %bb.1075:
	s_andn2_saveexec_b64 s[0:1], s[0:1]
	s_cbranch_execz .LBB114_1081
; %bb.1076:
	v_cmp_ngt_f64_e64 s[16:17], |v[232:233]|, |v[234:235]|
	s_and_saveexec_b64 s[18:19], s[16:17]
	s_xor_b64 s[16:17], exec, s[18:19]
	s_cbranch_execz .LBB114_1078
; %bb.1077:
	v_div_scale_f64 v[152:153], s[18:19], v[234:235], v[234:235], v[232:233]
	v_rcp_f64_e32 v[154:155], v[152:153]
	v_div_scale_f64 v[156:157], vcc, v[232:233], v[234:235], v[232:233]
	v_fma_f64 v[158:159], -v[152:153], v[154:155], 1.0
	v_fmac_f64_e32 v[154:155], v[154:155], v[158:159]
	v_fma_f64 v[158:159], -v[152:153], v[154:155], 1.0
	v_fmac_f64_e32 v[154:155], v[154:155], v[158:159]
	v_mul_f64 v[158:159], v[156:157], v[154:155]
	v_fma_f64 v[152:153], -v[152:153], v[158:159], v[156:157]
	v_div_fmas_f64 v[152:153], v[152:153], v[154:155], v[158:159]
	v_div_fixup_f64 v[152:153], v[152:153], v[234:235], v[232:233]
	v_fmac_f64_e32 v[234:235], v[232:233], v[152:153]
	v_div_scale_f64 v[154:155], s[18:19], v[234:235], v[234:235], 1.0
	v_rcp_f64_e32 v[156:157], v[154:155]
	s_nop 0
	v_fma_f64 v[158:159], -v[154:155], v[156:157], 1.0
	v_fmac_f64_e32 v[156:157], v[156:157], v[158:159]
	v_fma_f64 v[158:159], -v[154:155], v[156:157], 1.0
	v_fmac_f64_e32 v[156:157], v[156:157], v[158:159]
	v_div_scale_f64 v[158:159], vcc, 1.0, v[234:235], 1.0
	v_mul_f64 v[220:221], v[158:159], v[156:157]
	v_fma_f64 v[154:155], -v[154:155], v[220:221], v[158:159]
	s_nop 1
	v_div_fmas_f64 v[154:155], v[154:155], v[156:157], v[220:221]
	v_div_fixup_f64 v[234:235], v[154:155], v[234:235], 1.0
	v_mul_f64 v[232:233], v[152:153], v[234:235]
	v_xor_b32_e32 v235, 0x80000000, v235
.LBB114_1078:
	s_andn2_saveexec_b64 s[16:17], s[16:17]
	s_cbranch_execz .LBB114_1080
; %bb.1079:
	v_div_scale_f64 v[152:153], s[18:19], v[232:233], v[232:233], v[234:235]
	v_rcp_f64_e32 v[154:155], v[152:153]
	v_div_scale_f64 v[156:157], vcc, v[234:235], v[232:233], v[234:235]
	v_fma_f64 v[158:159], -v[152:153], v[154:155], 1.0
	v_fmac_f64_e32 v[154:155], v[154:155], v[158:159]
	v_fma_f64 v[158:159], -v[152:153], v[154:155], 1.0
	v_fmac_f64_e32 v[154:155], v[154:155], v[158:159]
	v_mul_f64 v[158:159], v[156:157], v[154:155]
	v_fma_f64 v[152:153], -v[152:153], v[158:159], v[156:157]
	v_div_fmas_f64 v[152:153], v[152:153], v[154:155], v[158:159]
	v_div_fixup_f64 v[152:153], v[152:153], v[232:233], v[234:235]
	v_fmac_f64_e32 v[232:233], v[234:235], v[152:153]
	v_div_scale_f64 v[154:155], s[18:19], v[232:233], v[232:233], 1.0
	v_rcp_f64_e32 v[156:157], v[154:155]
	s_nop 0
	v_fma_f64 v[158:159], -v[154:155], v[156:157], 1.0
	v_fmac_f64_e32 v[156:157], v[156:157], v[158:159]
	v_fma_f64 v[158:159], -v[154:155], v[156:157], 1.0
	v_fmac_f64_e32 v[156:157], v[156:157], v[158:159]
	v_div_scale_f64 v[158:159], vcc, 1.0, v[232:233], 1.0
	v_mul_f64 v[220:221], v[158:159], v[156:157]
	v_fma_f64 v[154:155], -v[154:155], v[220:221], v[158:159]
	s_nop 1
	v_div_fmas_f64 v[154:155], v[154:155], v[156:157], v[220:221]
	v_div_fixup_f64 v[232:233], v[154:155], v[232:233], 1.0
	v_mul_f64 v[234:235], v[152:153], -v[232:233]
.LBB114_1080:
	s_or_b64 exec, exec, s[16:17]
.LBB114_1081:
	s_or_b64 exec, exec, s[0:1]
	v_cmp_ne_u32_e32 vcc, v245, v242
	s_and_saveexec_b64 s[0:1], vcc
	s_xor_b64 s[0:1], exec, s[0:1]
	s_cbranch_execz .LBB114_1087
; %bb.1082:
	v_cmp_eq_u32_e32 vcc, 51, v245
	s_and_saveexec_b64 s[16:17], vcc
	s_cbranch_execz .LBB114_1086
; %bb.1083:
	v_cmp_ne_u32_e32 vcc, 51, v242
	s_xor_b64 s[18:19], s[14:15], -1
	s_and_b64 s[22:23], s[18:19], vcc
	s_and_saveexec_b64 s[18:19], s[22:23]
	s_cbranch_execz .LBB114_1085
; %bb.1084:
	v_ashrrev_i32_e32 v243, 31, v242
	v_lshl_add_u64 v[152:153], v[242:243], 2, v[4:5]
	global_load_dword v154, v[152:153], off
	global_load_dword v155, v[4:5], off offset:204
	s_waitcnt vmcnt(1)
	global_store_dword v[4:5], v154, off offset:204
	s_waitcnt vmcnt(1)
	global_store_dword v[152:153], v155, off
.LBB114_1085:
	s_or_b64 exec, exec, s[18:19]
	v_mov_b32_e32 v245, v242
	v_mov_b32_e32 v236, v242
.LBB114_1086:
	s_or_b64 exec, exec, s[16:17]
.LBB114_1087:
	s_andn2_saveexec_b64 s[0:1], s[0:1]
	s_cbranch_execz .LBB114_1089
; %bb.1088:
	v_mov_b32_e32 v245, 51
	ds_write2_b64 v244, v[16:17], v[18:19] offset0:104 offset1:105
	ds_write2_b64 v244, v[12:13], v[14:15] offset0:106 offset1:107
	;; [unrolled: 1-line block ×6, first 2 shown]
.LBB114_1089:
	s_or_b64 exec, exec, s[0:1]
	v_cmp_lt_i32_e32 vcc, 51, v245
	s_waitcnt lgkmcnt(0)
	s_barrier
	s_and_saveexec_b64 s[0:1], vcc
	s_cbranch_execz .LBB114_1091
; %bb.1090:
	ds_read2_b64 v[248:251], v244 offset0:104 offset1:105
	v_mul_f64 v[152:153], v[232:233], v[22:23]
	v_mul_f64 v[22:23], v[234:235], v[22:23]
	v_fmac_f64_e32 v[152:153], v[234:235], v[20:21]
	v_fma_f64 v[20:21], v[232:233], v[20:21], -v[22:23]
	ds_read2_b64 v[232:235], v244 offset0:106 offset1:107
	s_waitcnt lgkmcnt(1)
	v_mul_f64 v[22:23], v[250:251], v[152:153]
	v_mul_f64 v[154:155], v[248:249], v[152:153]
	v_fma_f64 v[22:23], v[248:249], v[20:21], -v[22:23]
	v_fmac_f64_e32 v[154:155], v[250:251], v[20:21]
	ds_read2_b64 v[248:251], v244 offset0:108 offset1:109
	v_add_f64 v[16:17], v[16:17], -v[22:23]
	v_add_f64 v[18:19], v[18:19], -v[154:155]
	s_waitcnt lgkmcnt(1)
	v_mul_f64 v[22:23], v[234:235], v[152:153]
	v_mul_f64 v[154:155], v[232:233], v[152:153]
	v_fma_f64 v[22:23], v[232:233], v[20:21], -v[22:23]
	v_fmac_f64_e32 v[154:155], v[234:235], v[20:21]
	ds_read2_b64 v[232:235], v244 offset0:110 offset1:111
	v_add_f64 v[12:13], v[12:13], -v[22:23]
	v_add_f64 v[14:15], v[14:15], -v[154:155]
	;; [unrolled: 8-line block ×4, first 2 shown]
	s_waitcnt lgkmcnt(1)
	v_mul_f64 v[22:23], v[250:251], v[152:153]
	v_mul_f64 v[154:155], v[248:249], v[152:153]
	v_fma_f64 v[22:23], v[248:249], v[20:21], -v[22:23]
	v_fmac_f64_e32 v[154:155], v[250:251], v[20:21]
	v_add_f64 v[0:1], v[0:1], -v[22:23]
	v_add_f64 v[2:3], v[2:3], -v[154:155]
	s_waitcnt lgkmcnt(0)
	v_mul_f64 v[22:23], v[234:235], v[152:153]
	v_mul_f64 v[154:155], v[232:233], v[152:153]
	v_fma_f64 v[22:23], v[232:233], v[20:21], -v[22:23]
	v_fmac_f64_e32 v[154:155], v[234:235], v[20:21]
	v_add_f64 v[228:229], v[228:229], -v[22:23]
	v_add_f64 v[230:231], v[230:231], -v[154:155]
	v_mov_b64_e32 v[22:23], v[152:153]
.LBB114_1091:
	s_or_b64 exec, exec, s[0:1]
	v_lshl_add_u32 v152, v245, 4, v244
	s_barrier
	ds_write2_b64 v152, v[16:17], v[18:19] offset1:1
	s_waitcnt lgkmcnt(0)
	s_barrier
	ds_read2_b64 v[232:235], v244 offset0:104 offset1:105
	s_cmp_lt_i32 s20, 54
	v_mov_b32_e32 v242, 52
	s_cbranch_scc1 .LBB114_1094
; %bb.1092:
	v_add_u32_e32 v243, 0x350, v244
	s_mov_b32 s0, 53
	v_mov_b32_e32 v242, 52
.LBB114_1093:                           ; =>This Inner Loop Header: Depth=1
	ds_read2_b64 v[248:251], v243 offset1:1
	s_waitcnt lgkmcnt(1)
	v_cmp_gt_f64_e32 vcc, 0, v[232:233]
	v_xor_b32_e32 v152, 0x80000000, v233
	v_xor_b32_e32 v154, 0x80000000, v235
	v_cndmask_b32_e32 v153, v233, v152, vcc
	v_cmp_gt_f64_e32 vcc, 0, v[234:235]
	v_mov_b32_e32 v152, v232
	s_waitcnt lgkmcnt(0)
	v_xor_b32_e32 v156, 0x80000000, v251
	v_cndmask_b32_e32 v155, v235, v154, vcc
	v_mov_b32_e32 v154, v234
	v_add_f64 v[152:153], v[152:153], v[154:155]
	v_cmp_gt_f64_e32 vcc, 0, v[248:249]
	v_xor_b32_e32 v154, 0x80000000, v249
	v_add_u32_e32 v243, 16, v243
	v_cndmask_b32_e32 v155, v249, v154, vcc
	v_cmp_gt_f64_e32 vcc, 0, v[250:251]
	v_mov_b32_e32 v154, v248
	s_nop 0
	v_cndmask_b32_e32 v157, v251, v156, vcc
	v_mov_b32_e32 v156, v250
	v_add_f64 v[154:155], v[154:155], v[156:157]
	v_cmp_lt_f64_e32 vcc, v[152:153], v[154:155]
	v_mov_b32_e32 v152, s0
	s_add_i32 s0, s0, 1
	v_cndmask_b32_e32 v233, v233, v249, vcc
	v_cndmask_b32_e32 v232, v232, v248, vcc
	;; [unrolled: 1-line block ×5, first 2 shown]
	s_cmp_lg_u32 s20, s0
	s_cbranch_scc1 .LBB114_1093
.LBB114_1094:
	s_waitcnt lgkmcnt(0)
	v_cmp_eq_f64_e32 vcc, 0, v[232:233]
	v_cmp_eq_f64_e64 s[0:1], 0, v[234:235]
	s_and_b64 s[0:1], vcc, s[0:1]
	s_and_saveexec_b64 s[16:17], s[0:1]
	s_xor_b64 s[0:1], exec, s[16:17]
; %bb.1095:
	v_cmp_ne_u32_e32 vcc, 0, v246
	s_nop 1
	v_cndmask_b32_e32 v246, 53, v246, vcc
; %bb.1096:
	s_andn2_saveexec_b64 s[0:1], s[0:1]
	s_cbranch_execz .LBB114_1102
; %bb.1097:
	v_cmp_ngt_f64_e64 s[16:17], |v[232:233]|, |v[234:235]|
	s_and_saveexec_b64 s[18:19], s[16:17]
	s_xor_b64 s[16:17], exec, s[18:19]
	s_cbranch_execz .LBB114_1099
; %bb.1098:
	v_div_scale_f64 v[152:153], s[18:19], v[234:235], v[234:235], v[232:233]
	v_rcp_f64_e32 v[154:155], v[152:153]
	v_div_scale_f64 v[156:157], vcc, v[232:233], v[234:235], v[232:233]
	v_fma_f64 v[158:159], -v[152:153], v[154:155], 1.0
	v_fmac_f64_e32 v[154:155], v[154:155], v[158:159]
	v_fma_f64 v[158:159], -v[152:153], v[154:155], 1.0
	v_fmac_f64_e32 v[154:155], v[154:155], v[158:159]
	v_mul_f64 v[158:159], v[156:157], v[154:155]
	v_fma_f64 v[152:153], -v[152:153], v[158:159], v[156:157]
	v_div_fmas_f64 v[152:153], v[152:153], v[154:155], v[158:159]
	v_div_fixup_f64 v[152:153], v[152:153], v[234:235], v[232:233]
	v_fmac_f64_e32 v[234:235], v[232:233], v[152:153]
	v_div_scale_f64 v[154:155], s[18:19], v[234:235], v[234:235], 1.0
	v_rcp_f64_e32 v[156:157], v[154:155]
	s_nop 0
	v_fma_f64 v[158:159], -v[154:155], v[156:157], 1.0
	v_fmac_f64_e32 v[156:157], v[156:157], v[158:159]
	v_fma_f64 v[158:159], -v[154:155], v[156:157], 1.0
	v_fmac_f64_e32 v[156:157], v[156:157], v[158:159]
	v_div_scale_f64 v[158:159], vcc, 1.0, v[234:235], 1.0
	v_mul_f64 v[220:221], v[158:159], v[156:157]
	v_fma_f64 v[154:155], -v[154:155], v[220:221], v[158:159]
	s_nop 1
	v_div_fmas_f64 v[154:155], v[154:155], v[156:157], v[220:221]
	v_div_fixup_f64 v[234:235], v[154:155], v[234:235], 1.0
	v_mul_f64 v[232:233], v[152:153], v[234:235]
	v_xor_b32_e32 v235, 0x80000000, v235
.LBB114_1099:
	s_andn2_saveexec_b64 s[16:17], s[16:17]
	s_cbranch_execz .LBB114_1101
; %bb.1100:
	v_div_scale_f64 v[152:153], s[18:19], v[232:233], v[232:233], v[234:235]
	v_rcp_f64_e32 v[154:155], v[152:153]
	v_div_scale_f64 v[156:157], vcc, v[234:235], v[232:233], v[234:235]
	v_fma_f64 v[158:159], -v[152:153], v[154:155], 1.0
	v_fmac_f64_e32 v[154:155], v[154:155], v[158:159]
	v_fma_f64 v[158:159], -v[152:153], v[154:155], 1.0
	v_fmac_f64_e32 v[154:155], v[154:155], v[158:159]
	v_mul_f64 v[158:159], v[156:157], v[154:155]
	v_fma_f64 v[152:153], -v[152:153], v[158:159], v[156:157]
	v_div_fmas_f64 v[152:153], v[152:153], v[154:155], v[158:159]
	v_div_fixup_f64 v[152:153], v[152:153], v[232:233], v[234:235]
	v_fmac_f64_e32 v[232:233], v[234:235], v[152:153]
	v_div_scale_f64 v[154:155], s[18:19], v[232:233], v[232:233], 1.0
	v_rcp_f64_e32 v[156:157], v[154:155]
	s_nop 0
	v_fma_f64 v[158:159], -v[154:155], v[156:157], 1.0
	v_fmac_f64_e32 v[156:157], v[156:157], v[158:159]
	v_fma_f64 v[158:159], -v[154:155], v[156:157], 1.0
	v_fmac_f64_e32 v[156:157], v[156:157], v[158:159]
	v_div_scale_f64 v[158:159], vcc, 1.0, v[232:233], 1.0
	v_mul_f64 v[220:221], v[158:159], v[156:157]
	v_fma_f64 v[154:155], -v[154:155], v[220:221], v[158:159]
	s_nop 1
	v_div_fmas_f64 v[154:155], v[154:155], v[156:157], v[220:221]
	v_div_fixup_f64 v[232:233], v[154:155], v[232:233], 1.0
	v_mul_f64 v[234:235], v[152:153], -v[232:233]
.LBB114_1101:
	s_or_b64 exec, exec, s[16:17]
.LBB114_1102:
	s_or_b64 exec, exec, s[0:1]
	v_cmp_ne_u32_e32 vcc, v245, v242
	s_and_saveexec_b64 s[0:1], vcc
	s_xor_b64 s[0:1], exec, s[0:1]
	s_cbranch_execz .LBB114_1108
; %bb.1103:
	v_cmp_eq_u32_e32 vcc, 52, v245
	s_and_saveexec_b64 s[16:17], vcc
	s_cbranch_execz .LBB114_1107
; %bb.1104:
	v_cmp_ne_u32_e32 vcc, 52, v242
	s_xor_b64 s[18:19], s[14:15], -1
	s_and_b64 s[22:23], s[18:19], vcc
	s_and_saveexec_b64 s[18:19], s[22:23]
	s_cbranch_execz .LBB114_1106
; %bb.1105:
	v_ashrrev_i32_e32 v243, 31, v242
	v_lshl_add_u64 v[152:153], v[242:243], 2, v[4:5]
	global_load_dword v154, v[152:153], off
	global_load_dword v155, v[4:5], off offset:208
	s_waitcnt vmcnt(1)
	global_store_dword v[4:5], v154, off offset:208
	s_waitcnt vmcnt(1)
	global_store_dword v[152:153], v155, off
.LBB114_1106:
	s_or_b64 exec, exec, s[18:19]
	v_mov_b32_e32 v245, v242
	v_mov_b32_e32 v236, v242
.LBB114_1107:
	s_or_b64 exec, exec, s[16:17]
.LBB114_1108:
	s_andn2_saveexec_b64 s[0:1], s[0:1]
	s_cbranch_execz .LBB114_1110
; %bb.1109:
	v_mov_b32_e32 v245, 52
	ds_write2_b64 v244, v[12:13], v[14:15] offset0:106 offset1:107
	ds_write2_b64 v244, v[8:9], v[10:11] offset0:108 offset1:109
	;; [unrolled: 1-line block ×5, first 2 shown]
.LBB114_1110:
	s_or_b64 exec, exec, s[0:1]
	v_cmp_lt_i32_e32 vcc, 52, v245
	s_waitcnt lgkmcnt(0)
	s_barrier
	s_and_saveexec_b64 s[0:1], vcc
	s_cbranch_execz .LBB114_1112
; %bb.1111:
	ds_read2_b64 v[248:251], v244 offset0:106 offset1:107
	v_mul_f64 v[152:153], v[232:233], v[18:19]
	v_mul_f64 v[18:19], v[234:235], v[18:19]
	v_fmac_f64_e32 v[152:153], v[234:235], v[16:17]
	v_fma_f64 v[16:17], v[232:233], v[16:17], -v[18:19]
	ds_read2_b64 v[232:235], v244 offset0:108 offset1:109
	s_waitcnt lgkmcnt(1)
	v_mul_f64 v[18:19], v[250:251], v[152:153]
	v_mul_f64 v[154:155], v[248:249], v[152:153]
	v_fma_f64 v[18:19], v[248:249], v[16:17], -v[18:19]
	v_fmac_f64_e32 v[154:155], v[250:251], v[16:17]
	ds_read2_b64 v[248:251], v244 offset0:110 offset1:111
	v_add_f64 v[12:13], v[12:13], -v[18:19]
	v_add_f64 v[14:15], v[14:15], -v[154:155]
	s_waitcnt lgkmcnt(1)
	v_mul_f64 v[18:19], v[234:235], v[152:153]
	v_mul_f64 v[154:155], v[232:233], v[152:153]
	v_fma_f64 v[18:19], v[232:233], v[16:17], -v[18:19]
	v_fmac_f64_e32 v[154:155], v[234:235], v[16:17]
	ds_read2_b64 v[232:235], v244 offset0:112 offset1:113
	v_add_f64 v[8:9], v[8:9], -v[18:19]
	v_add_f64 v[10:11], v[10:11], -v[154:155]
	;; [unrolled: 8-line block ×3, first 2 shown]
	s_waitcnt lgkmcnt(1)
	v_mul_f64 v[18:19], v[234:235], v[152:153]
	v_mul_f64 v[154:155], v[232:233], v[152:153]
	v_fma_f64 v[18:19], v[232:233], v[16:17], -v[18:19]
	v_fmac_f64_e32 v[154:155], v[234:235], v[16:17]
	v_add_f64 v[0:1], v[0:1], -v[18:19]
	v_add_f64 v[2:3], v[2:3], -v[154:155]
	s_waitcnt lgkmcnt(0)
	v_mul_f64 v[18:19], v[250:251], v[152:153]
	v_mul_f64 v[154:155], v[248:249], v[152:153]
	v_fma_f64 v[18:19], v[248:249], v[16:17], -v[18:19]
	v_fmac_f64_e32 v[154:155], v[250:251], v[16:17]
	v_add_f64 v[228:229], v[228:229], -v[18:19]
	v_add_f64 v[230:231], v[230:231], -v[154:155]
	v_mov_b64_e32 v[18:19], v[152:153]
.LBB114_1112:
	s_or_b64 exec, exec, s[0:1]
	v_lshl_add_u32 v152, v245, 4, v244
	s_barrier
	ds_write2_b64 v152, v[12:13], v[14:15] offset1:1
	s_waitcnt lgkmcnt(0)
	s_barrier
	ds_read2_b64 v[232:235], v244 offset0:106 offset1:107
	s_cmp_lt_i32 s20, 55
	v_mov_b32_e32 v242, 53
	s_cbranch_scc1 .LBB114_1115
; %bb.1113:
	v_add_u32_e32 v243, 0x360, v244
	s_mov_b32 s0, 54
	v_mov_b32_e32 v242, 53
.LBB114_1114:                           ; =>This Inner Loop Header: Depth=1
	ds_read2_b64 v[248:251], v243 offset1:1
	s_waitcnt lgkmcnt(1)
	v_cmp_gt_f64_e32 vcc, 0, v[232:233]
	v_xor_b32_e32 v152, 0x80000000, v233
	v_xor_b32_e32 v154, 0x80000000, v235
	v_cndmask_b32_e32 v153, v233, v152, vcc
	v_cmp_gt_f64_e32 vcc, 0, v[234:235]
	v_mov_b32_e32 v152, v232
	s_waitcnt lgkmcnt(0)
	v_xor_b32_e32 v156, 0x80000000, v251
	v_cndmask_b32_e32 v155, v235, v154, vcc
	v_mov_b32_e32 v154, v234
	v_add_f64 v[152:153], v[152:153], v[154:155]
	v_cmp_gt_f64_e32 vcc, 0, v[248:249]
	v_xor_b32_e32 v154, 0x80000000, v249
	v_add_u32_e32 v243, 16, v243
	v_cndmask_b32_e32 v155, v249, v154, vcc
	v_cmp_gt_f64_e32 vcc, 0, v[250:251]
	v_mov_b32_e32 v154, v248
	s_nop 0
	v_cndmask_b32_e32 v157, v251, v156, vcc
	v_mov_b32_e32 v156, v250
	v_add_f64 v[154:155], v[154:155], v[156:157]
	v_cmp_lt_f64_e32 vcc, v[152:153], v[154:155]
	v_mov_b32_e32 v152, s0
	s_add_i32 s0, s0, 1
	v_cndmask_b32_e32 v233, v233, v249, vcc
	v_cndmask_b32_e32 v232, v232, v248, vcc
	;; [unrolled: 1-line block ×5, first 2 shown]
	s_cmp_lg_u32 s20, s0
	s_cbranch_scc1 .LBB114_1114
.LBB114_1115:
	s_waitcnt lgkmcnt(0)
	v_cmp_eq_f64_e32 vcc, 0, v[232:233]
	v_cmp_eq_f64_e64 s[0:1], 0, v[234:235]
	s_and_b64 s[0:1], vcc, s[0:1]
	s_and_saveexec_b64 s[16:17], s[0:1]
	s_xor_b64 s[0:1], exec, s[16:17]
; %bb.1116:
	v_cmp_ne_u32_e32 vcc, 0, v246
	s_nop 1
	v_cndmask_b32_e32 v246, 54, v246, vcc
; %bb.1117:
	s_andn2_saveexec_b64 s[0:1], s[0:1]
	s_cbranch_execz .LBB114_1123
; %bb.1118:
	v_cmp_ngt_f64_e64 s[16:17], |v[232:233]|, |v[234:235]|
	s_and_saveexec_b64 s[18:19], s[16:17]
	s_xor_b64 s[16:17], exec, s[18:19]
	s_cbranch_execz .LBB114_1120
; %bb.1119:
	v_div_scale_f64 v[152:153], s[18:19], v[234:235], v[234:235], v[232:233]
	v_rcp_f64_e32 v[154:155], v[152:153]
	v_div_scale_f64 v[156:157], vcc, v[232:233], v[234:235], v[232:233]
	v_fma_f64 v[158:159], -v[152:153], v[154:155], 1.0
	v_fmac_f64_e32 v[154:155], v[154:155], v[158:159]
	v_fma_f64 v[158:159], -v[152:153], v[154:155], 1.0
	v_fmac_f64_e32 v[154:155], v[154:155], v[158:159]
	v_mul_f64 v[158:159], v[156:157], v[154:155]
	v_fma_f64 v[152:153], -v[152:153], v[158:159], v[156:157]
	v_div_fmas_f64 v[152:153], v[152:153], v[154:155], v[158:159]
	v_div_fixup_f64 v[152:153], v[152:153], v[234:235], v[232:233]
	v_fmac_f64_e32 v[234:235], v[232:233], v[152:153]
	v_div_scale_f64 v[154:155], s[18:19], v[234:235], v[234:235], 1.0
	v_rcp_f64_e32 v[156:157], v[154:155]
	s_nop 0
	v_fma_f64 v[158:159], -v[154:155], v[156:157], 1.0
	v_fmac_f64_e32 v[156:157], v[156:157], v[158:159]
	v_fma_f64 v[158:159], -v[154:155], v[156:157], 1.0
	v_fmac_f64_e32 v[156:157], v[156:157], v[158:159]
	v_div_scale_f64 v[158:159], vcc, 1.0, v[234:235], 1.0
	v_mul_f64 v[220:221], v[158:159], v[156:157]
	v_fma_f64 v[154:155], -v[154:155], v[220:221], v[158:159]
	s_nop 1
	v_div_fmas_f64 v[154:155], v[154:155], v[156:157], v[220:221]
	v_div_fixup_f64 v[234:235], v[154:155], v[234:235], 1.0
	v_mul_f64 v[232:233], v[152:153], v[234:235]
	v_xor_b32_e32 v235, 0x80000000, v235
.LBB114_1120:
	s_andn2_saveexec_b64 s[16:17], s[16:17]
	s_cbranch_execz .LBB114_1122
; %bb.1121:
	v_div_scale_f64 v[152:153], s[18:19], v[232:233], v[232:233], v[234:235]
	v_rcp_f64_e32 v[154:155], v[152:153]
	v_div_scale_f64 v[156:157], vcc, v[234:235], v[232:233], v[234:235]
	v_fma_f64 v[158:159], -v[152:153], v[154:155], 1.0
	v_fmac_f64_e32 v[154:155], v[154:155], v[158:159]
	v_fma_f64 v[158:159], -v[152:153], v[154:155], 1.0
	v_fmac_f64_e32 v[154:155], v[154:155], v[158:159]
	v_mul_f64 v[158:159], v[156:157], v[154:155]
	v_fma_f64 v[152:153], -v[152:153], v[158:159], v[156:157]
	v_div_fmas_f64 v[152:153], v[152:153], v[154:155], v[158:159]
	v_div_fixup_f64 v[152:153], v[152:153], v[232:233], v[234:235]
	v_fmac_f64_e32 v[232:233], v[234:235], v[152:153]
	v_div_scale_f64 v[154:155], s[18:19], v[232:233], v[232:233], 1.0
	v_rcp_f64_e32 v[156:157], v[154:155]
	s_nop 0
	v_fma_f64 v[158:159], -v[154:155], v[156:157], 1.0
	v_fmac_f64_e32 v[156:157], v[156:157], v[158:159]
	v_fma_f64 v[158:159], -v[154:155], v[156:157], 1.0
	v_fmac_f64_e32 v[156:157], v[156:157], v[158:159]
	v_div_scale_f64 v[158:159], vcc, 1.0, v[232:233], 1.0
	v_mul_f64 v[220:221], v[158:159], v[156:157]
	v_fma_f64 v[154:155], -v[154:155], v[220:221], v[158:159]
	s_nop 1
	v_div_fmas_f64 v[154:155], v[154:155], v[156:157], v[220:221]
	v_div_fixup_f64 v[232:233], v[154:155], v[232:233], 1.0
	v_mul_f64 v[234:235], v[152:153], -v[232:233]
.LBB114_1122:
	s_or_b64 exec, exec, s[16:17]
.LBB114_1123:
	s_or_b64 exec, exec, s[0:1]
	v_cmp_ne_u32_e32 vcc, v245, v242
	s_and_saveexec_b64 s[0:1], vcc
	s_xor_b64 s[0:1], exec, s[0:1]
	s_cbranch_execz .LBB114_1129
; %bb.1124:
	v_cmp_eq_u32_e32 vcc, 53, v245
	s_and_saveexec_b64 s[16:17], vcc
	s_cbranch_execz .LBB114_1128
; %bb.1125:
	v_cmp_ne_u32_e32 vcc, 53, v242
	s_xor_b64 s[18:19], s[14:15], -1
	s_and_b64 s[22:23], s[18:19], vcc
	s_and_saveexec_b64 s[18:19], s[22:23]
	s_cbranch_execz .LBB114_1127
; %bb.1126:
	v_ashrrev_i32_e32 v243, 31, v242
	v_lshl_add_u64 v[152:153], v[242:243], 2, v[4:5]
	global_load_dword v154, v[152:153], off
	global_load_dword v155, v[4:5], off offset:212
	s_waitcnt vmcnt(1)
	global_store_dword v[4:5], v154, off offset:212
	s_waitcnt vmcnt(1)
	global_store_dword v[152:153], v155, off
.LBB114_1127:
	s_or_b64 exec, exec, s[18:19]
	v_mov_b32_e32 v245, v242
	v_mov_b32_e32 v236, v242
.LBB114_1128:
	s_or_b64 exec, exec, s[16:17]
.LBB114_1129:
	s_andn2_saveexec_b64 s[0:1], s[0:1]
	s_cbranch_execz .LBB114_1131
; %bb.1130:
	v_mov_b32_e32 v245, 53
	ds_write2_b64 v244, v[8:9], v[10:11] offset0:108 offset1:109
	ds_write2_b64 v244, v[224:225], v[226:227] offset0:110 offset1:111
	;; [unrolled: 1-line block ×4, first 2 shown]
.LBB114_1131:
	s_or_b64 exec, exec, s[0:1]
	v_cmp_lt_i32_e32 vcc, 53, v245
	s_waitcnt lgkmcnt(0)
	s_barrier
	s_and_saveexec_b64 s[0:1], vcc
	s_cbranch_execz .LBB114_1133
; %bb.1132:
	ds_read2_b64 v[248:251], v244 offset0:108 offset1:109
	v_mul_f64 v[152:153], v[232:233], v[14:15]
	v_mul_f64 v[14:15], v[234:235], v[14:15]
	v_fmac_f64_e32 v[152:153], v[234:235], v[12:13]
	v_fma_f64 v[12:13], v[232:233], v[12:13], -v[14:15]
	ds_read2_b64 v[232:235], v244 offset0:110 offset1:111
	s_waitcnt lgkmcnt(1)
	v_mul_f64 v[14:15], v[250:251], v[152:153]
	v_mul_f64 v[154:155], v[248:249], v[152:153]
	v_fma_f64 v[14:15], v[248:249], v[12:13], -v[14:15]
	v_fmac_f64_e32 v[154:155], v[250:251], v[12:13]
	ds_read2_b64 v[248:251], v244 offset0:112 offset1:113
	v_add_f64 v[8:9], v[8:9], -v[14:15]
	v_add_f64 v[10:11], v[10:11], -v[154:155]
	s_waitcnt lgkmcnt(1)
	v_mul_f64 v[14:15], v[234:235], v[152:153]
	v_mul_f64 v[154:155], v[232:233], v[152:153]
	v_fma_f64 v[14:15], v[232:233], v[12:13], -v[14:15]
	v_fmac_f64_e32 v[154:155], v[234:235], v[12:13]
	ds_read2_b64 v[232:235], v244 offset0:114 offset1:115
	v_add_f64 v[224:225], v[224:225], -v[14:15]
	v_add_f64 v[226:227], v[226:227], -v[154:155]
	s_waitcnt lgkmcnt(1)
	v_mul_f64 v[14:15], v[250:251], v[152:153]
	v_mul_f64 v[154:155], v[248:249], v[152:153]
	v_fma_f64 v[14:15], v[248:249], v[12:13], -v[14:15]
	v_fmac_f64_e32 v[154:155], v[250:251], v[12:13]
	v_add_f64 v[0:1], v[0:1], -v[14:15]
	v_add_f64 v[2:3], v[2:3], -v[154:155]
	s_waitcnt lgkmcnt(0)
	v_mul_f64 v[14:15], v[234:235], v[152:153]
	v_mul_f64 v[154:155], v[232:233], v[152:153]
	v_fma_f64 v[14:15], v[232:233], v[12:13], -v[14:15]
	v_fmac_f64_e32 v[154:155], v[234:235], v[12:13]
	v_add_f64 v[228:229], v[228:229], -v[14:15]
	v_add_f64 v[230:231], v[230:231], -v[154:155]
	v_mov_b64_e32 v[14:15], v[152:153]
.LBB114_1133:
	s_or_b64 exec, exec, s[0:1]
	v_lshl_add_u32 v152, v245, 4, v244
	s_barrier
	ds_write2_b64 v152, v[8:9], v[10:11] offset1:1
	s_waitcnt lgkmcnt(0)
	s_barrier
	ds_read2_b64 v[232:235], v244 offset0:108 offset1:109
	s_cmp_lt_i32 s20, 56
	v_mov_b32_e32 v242, 54
	s_cbranch_scc1 .LBB114_1136
; %bb.1134:
	v_add_u32_e32 v243, 0x370, v244
	s_mov_b32 s0, 55
	v_mov_b32_e32 v242, 54
.LBB114_1135:                           ; =>This Inner Loop Header: Depth=1
	ds_read2_b64 v[248:251], v243 offset1:1
	s_waitcnt lgkmcnt(1)
	v_cmp_gt_f64_e32 vcc, 0, v[232:233]
	v_xor_b32_e32 v152, 0x80000000, v233
	v_xor_b32_e32 v154, 0x80000000, v235
	v_cndmask_b32_e32 v153, v233, v152, vcc
	v_cmp_gt_f64_e32 vcc, 0, v[234:235]
	v_mov_b32_e32 v152, v232
	s_waitcnt lgkmcnt(0)
	v_xor_b32_e32 v156, 0x80000000, v251
	v_cndmask_b32_e32 v155, v235, v154, vcc
	v_mov_b32_e32 v154, v234
	v_add_f64 v[152:153], v[152:153], v[154:155]
	v_cmp_gt_f64_e32 vcc, 0, v[248:249]
	v_xor_b32_e32 v154, 0x80000000, v249
	v_add_u32_e32 v243, 16, v243
	v_cndmask_b32_e32 v155, v249, v154, vcc
	v_cmp_gt_f64_e32 vcc, 0, v[250:251]
	v_mov_b32_e32 v154, v248
	s_nop 0
	v_cndmask_b32_e32 v157, v251, v156, vcc
	v_mov_b32_e32 v156, v250
	v_add_f64 v[154:155], v[154:155], v[156:157]
	v_cmp_lt_f64_e32 vcc, v[152:153], v[154:155]
	v_mov_b32_e32 v152, s0
	s_add_i32 s0, s0, 1
	v_cndmask_b32_e32 v233, v233, v249, vcc
	v_cndmask_b32_e32 v232, v232, v248, vcc
	;; [unrolled: 1-line block ×5, first 2 shown]
	s_cmp_lg_u32 s20, s0
	s_cbranch_scc1 .LBB114_1135
.LBB114_1136:
	s_waitcnt lgkmcnt(0)
	v_cmp_eq_f64_e32 vcc, 0, v[232:233]
	v_cmp_eq_f64_e64 s[0:1], 0, v[234:235]
	s_and_b64 s[0:1], vcc, s[0:1]
	s_and_saveexec_b64 s[16:17], s[0:1]
	s_xor_b64 s[0:1], exec, s[16:17]
; %bb.1137:
	v_cmp_ne_u32_e32 vcc, 0, v246
	s_nop 1
	v_cndmask_b32_e32 v246, 55, v246, vcc
; %bb.1138:
	s_andn2_saveexec_b64 s[0:1], s[0:1]
	s_cbranch_execz .LBB114_1144
; %bb.1139:
	v_cmp_ngt_f64_e64 s[16:17], |v[232:233]|, |v[234:235]|
	s_and_saveexec_b64 s[18:19], s[16:17]
	s_xor_b64 s[16:17], exec, s[18:19]
	s_cbranch_execz .LBB114_1141
; %bb.1140:
	v_div_scale_f64 v[152:153], s[18:19], v[234:235], v[234:235], v[232:233]
	v_rcp_f64_e32 v[154:155], v[152:153]
	v_div_scale_f64 v[156:157], vcc, v[232:233], v[234:235], v[232:233]
	v_fma_f64 v[158:159], -v[152:153], v[154:155], 1.0
	v_fmac_f64_e32 v[154:155], v[154:155], v[158:159]
	v_fma_f64 v[158:159], -v[152:153], v[154:155], 1.0
	v_fmac_f64_e32 v[154:155], v[154:155], v[158:159]
	v_mul_f64 v[158:159], v[156:157], v[154:155]
	v_fma_f64 v[152:153], -v[152:153], v[158:159], v[156:157]
	v_div_fmas_f64 v[152:153], v[152:153], v[154:155], v[158:159]
	v_div_fixup_f64 v[152:153], v[152:153], v[234:235], v[232:233]
	v_fmac_f64_e32 v[234:235], v[232:233], v[152:153]
	v_div_scale_f64 v[154:155], s[18:19], v[234:235], v[234:235], 1.0
	v_rcp_f64_e32 v[156:157], v[154:155]
	s_nop 0
	v_fma_f64 v[158:159], -v[154:155], v[156:157], 1.0
	v_fmac_f64_e32 v[156:157], v[156:157], v[158:159]
	v_fma_f64 v[158:159], -v[154:155], v[156:157], 1.0
	v_fmac_f64_e32 v[156:157], v[156:157], v[158:159]
	v_div_scale_f64 v[158:159], vcc, 1.0, v[234:235], 1.0
	v_mul_f64 v[220:221], v[158:159], v[156:157]
	v_fma_f64 v[154:155], -v[154:155], v[220:221], v[158:159]
	s_nop 1
	v_div_fmas_f64 v[154:155], v[154:155], v[156:157], v[220:221]
	v_div_fixup_f64 v[234:235], v[154:155], v[234:235], 1.0
	v_mul_f64 v[232:233], v[152:153], v[234:235]
	v_xor_b32_e32 v235, 0x80000000, v235
.LBB114_1141:
	s_andn2_saveexec_b64 s[16:17], s[16:17]
	s_cbranch_execz .LBB114_1143
; %bb.1142:
	v_div_scale_f64 v[152:153], s[18:19], v[232:233], v[232:233], v[234:235]
	v_rcp_f64_e32 v[154:155], v[152:153]
	v_div_scale_f64 v[156:157], vcc, v[234:235], v[232:233], v[234:235]
	v_fma_f64 v[158:159], -v[152:153], v[154:155], 1.0
	v_fmac_f64_e32 v[154:155], v[154:155], v[158:159]
	v_fma_f64 v[158:159], -v[152:153], v[154:155], 1.0
	v_fmac_f64_e32 v[154:155], v[154:155], v[158:159]
	v_mul_f64 v[158:159], v[156:157], v[154:155]
	v_fma_f64 v[152:153], -v[152:153], v[158:159], v[156:157]
	v_div_fmas_f64 v[152:153], v[152:153], v[154:155], v[158:159]
	v_div_fixup_f64 v[152:153], v[152:153], v[232:233], v[234:235]
	v_fmac_f64_e32 v[232:233], v[234:235], v[152:153]
	v_div_scale_f64 v[154:155], s[18:19], v[232:233], v[232:233], 1.0
	v_rcp_f64_e32 v[156:157], v[154:155]
	s_nop 0
	v_fma_f64 v[158:159], -v[154:155], v[156:157], 1.0
	v_fmac_f64_e32 v[156:157], v[156:157], v[158:159]
	v_fma_f64 v[158:159], -v[154:155], v[156:157], 1.0
	v_fmac_f64_e32 v[156:157], v[156:157], v[158:159]
	v_div_scale_f64 v[158:159], vcc, 1.0, v[232:233], 1.0
	v_mul_f64 v[220:221], v[158:159], v[156:157]
	v_fma_f64 v[154:155], -v[154:155], v[220:221], v[158:159]
	s_nop 1
	v_div_fmas_f64 v[154:155], v[154:155], v[156:157], v[220:221]
	v_div_fixup_f64 v[232:233], v[154:155], v[232:233], 1.0
	v_mul_f64 v[234:235], v[152:153], -v[232:233]
.LBB114_1143:
	s_or_b64 exec, exec, s[16:17]
.LBB114_1144:
	s_or_b64 exec, exec, s[0:1]
	v_cmp_ne_u32_e32 vcc, v245, v242
	s_and_saveexec_b64 s[0:1], vcc
	s_xor_b64 s[0:1], exec, s[0:1]
	s_cbranch_execz .LBB114_1150
; %bb.1145:
	v_cmp_eq_u32_e32 vcc, 54, v245
	s_and_saveexec_b64 s[16:17], vcc
	s_cbranch_execz .LBB114_1149
; %bb.1146:
	v_cmp_ne_u32_e32 vcc, 54, v242
	s_xor_b64 s[18:19], s[14:15], -1
	s_and_b64 s[22:23], s[18:19], vcc
	s_and_saveexec_b64 s[18:19], s[22:23]
	s_cbranch_execz .LBB114_1148
; %bb.1147:
	v_ashrrev_i32_e32 v243, 31, v242
	v_lshl_add_u64 v[152:153], v[242:243], 2, v[4:5]
	global_load_dword v154, v[152:153], off
	global_load_dword v155, v[4:5], off offset:216
	s_waitcnt vmcnt(1)
	global_store_dword v[4:5], v154, off offset:216
	s_waitcnt vmcnt(1)
	global_store_dword v[152:153], v155, off
.LBB114_1148:
	s_or_b64 exec, exec, s[18:19]
	v_mov_b32_e32 v245, v242
	v_mov_b32_e32 v236, v242
.LBB114_1149:
	s_or_b64 exec, exec, s[16:17]
.LBB114_1150:
	s_andn2_saveexec_b64 s[0:1], s[0:1]
	s_cbranch_execz .LBB114_1152
; %bb.1151:
	v_mov_b32_e32 v245, 54
	ds_write2_b64 v244, v[224:225], v[226:227] offset0:110 offset1:111
	ds_write2_b64 v244, v[0:1], v[2:3] offset0:112 offset1:113
	;; [unrolled: 1-line block ×3, first 2 shown]
.LBB114_1152:
	s_or_b64 exec, exec, s[0:1]
	v_cmp_lt_i32_e32 vcc, 54, v245
	s_waitcnt lgkmcnt(0)
	s_barrier
	s_and_saveexec_b64 s[0:1], vcc
	s_cbranch_execz .LBB114_1154
; %bb.1153:
	ds_read2_b64 v[248:251], v244 offset0:110 offset1:111
	v_mul_f64 v[152:153], v[232:233], v[10:11]
	v_mul_f64 v[10:11], v[234:235], v[10:11]
	v_fmac_f64_e32 v[152:153], v[234:235], v[8:9]
	v_fma_f64 v[8:9], v[232:233], v[8:9], -v[10:11]
	ds_read2_b64 v[232:235], v244 offset0:112 offset1:113
	s_waitcnt lgkmcnt(1)
	v_mul_f64 v[10:11], v[250:251], v[152:153]
	v_mul_f64 v[154:155], v[248:249], v[152:153]
	v_fma_f64 v[10:11], v[248:249], v[8:9], -v[10:11]
	v_fmac_f64_e32 v[154:155], v[250:251], v[8:9]
	ds_read2_b64 v[248:251], v244 offset0:114 offset1:115
	v_add_f64 v[224:225], v[224:225], -v[10:11]
	v_add_f64 v[226:227], v[226:227], -v[154:155]
	s_waitcnt lgkmcnt(1)
	v_mul_f64 v[10:11], v[234:235], v[152:153]
	v_mul_f64 v[154:155], v[232:233], v[152:153]
	v_fma_f64 v[10:11], v[232:233], v[8:9], -v[10:11]
	v_fmac_f64_e32 v[154:155], v[234:235], v[8:9]
	v_add_f64 v[0:1], v[0:1], -v[10:11]
	v_add_f64 v[2:3], v[2:3], -v[154:155]
	s_waitcnt lgkmcnt(0)
	v_mul_f64 v[10:11], v[250:251], v[152:153]
	v_mul_f64 v[154:155], v[248:249], v[152:153]
	v_fma_f64 v[10:11], v[248:249], v[8:9], -v[10:11]
	v_fmac_f64_e32 v[154:155], v[250:251], v[8:9]
	v_add_f64 v[228:229], v[228:229], -v[10:11]
	v_add_f64 v[230:231], v[230:231], -v[154:155]
	v_mov_b64_e32 v[10:11], v[152:153]
.LBB114_1154:
	s_or_b64 exec, exec, s[0:1]
	v_lshl_add_u32 v152, v245, 4, v244
	s_barrier
	ds_write2_b64 v152, v[224:225], v[226:227] offset1:1
	s_waitcnt lgkmcnt(0)
	s_barrier
	ds_read2_b64 v[232:235], v244 offset0:110 offset1:111
	s_cmp_lt_i32 s20, 57
	v_mov_b32_e32 v242, 55
	s_cbranch_scc1 .LBB114_1157
; %bb.1155:
	v_add_u32_e32 v243, 0x380, v244
	s_mov_b32 s0, 56
	v_mov_b32_e32 v242, 55
.LBB114_1156:                           ; =>This Inner Loop Header: Depth=1
	ds_read2_b64 v[248:251], v243 offset1:1
	s_waitcnt lgkmcnt(1)
	v_cmp_gt_f64_e32 vcc, 0, v[232:233]
	v_xor_b32_e32 v152, 0x80000000, v233
	v_xor_b32_e32 v154, 0x80000000, v235
	v_cndmask_b32_e32 v153, v233, v152, vcc
	v_cmp_gt_f64_e32 vcc, 0, v[234:235]
	v_mov_b32_e32 v152, v232
	s_waitcnt lgkmcnt(0)
	v_xor_b32_e32 v156, 0x80000000, v251
	v_cndmask_b32_e32 v155, v235, v154, vcc
	v_mov_b32_e32 v154, v234
	v_add_f64 v[152:153], v[152:153], v[154:155]
	v_cmp_gt_f64_e32 vcc, 0, v[248:249]
	v_xor_b32_e32 v154, 0x80000000, v249
	v_add_u32_e32 v243, 16, v243
	v_cndmask_b32_e32 v155, v249, v154, vcc
	v_cmp_gt_f64_e32 vcc, 0, v[250:251]
	v_mov_b32_e32 v154, v248
	s_nop 0
	v_cndmask_b32_e32 v157, v251, v156, vcc
	v_mov_b32_e32 v156, v250
	v_add_f64 v[154:155], v[154:155], v[156:157]
	v_cmp_lt_f64_e32 vcc, v[152:153], v[154:155]
	v_mov_b32_e32 v152, s0
	s_add_i32 s0, s0, 1
	v_cndmask_b32_e32 v233, v233, v249, vcc
	v_cndmask_b32_e32 v232, v232, v248, vcc
	v_cndmask_b32_e32 v235, v235, v251, vcc
	v_cndmask_b32_e32 v234, v234, v250, vcc
	v_cndmask_b32_e32 v242, v242, v152, vcc
	s_cmp_lg_u32 s20, s0
	s_cbranch_scc1 .LBB114_1156
.LBB114_1157:
	s_waitcnt lgkmcnt(0)
	v_cmp_eq_f64_e32 vcc, 0, v[232:233]
	v_cmp_eq_f64_e64 s[0:1], 0, v[234:235]
	s_and_b64 s[0:1], vcc, s[0:1]
	s_and_saveexec_b64 s[16:17], s[0:1]
	s_xor_b64 s[0:1], exec, s[16:17]
; %bb.1158:
	v_cmp_ne_u32_e32 vcc, 0, v246
	s_nop 1
	v_cndmask_b32_e32 v246, 56, v246, vcc
; %bb.1159:
	s_andn2_saveexec_b64 s[0:1], s[0:1]
	s_cbranch_execz .LBB114_1165
; %bb.1160:
	v_cmp_ngt_f64_e64 s[16:17], |v[232:233]|, |v[234:235]|
	s_and_saveexec_b64 s[18:19], s[16:17]
	s_xor_b64 s[16:17], exec, s[18:19]
	s_cbranch_execz .LBB114_1162
; %bb.1161:
	v_div_scale_f64 v[152:153], s[18:19], v[234:235], v[234:235], v[232:233]
	v_rcp_f64_e32 v[154:155], v[152:153]
	v_div_scale_f64 v[156:157], vcc, v[232:233], v[234:235], v[232:233]
	v_fma_f64 v[158:159], -v[152:153], v[154:155], 1.0
	v_fmac_f64_e32 v[154:155], v[154:155], v[158:159]
	v_fma_f64 v[158:159], -v[152:153], v[154:155], 1.0
	v_fmac_f64_e32 v[154:155], v[154:155], v[158:159]
	v_mul_f64 v[158:159], v[156:157], v[154:155]
	v_fma_f64 v[152:153], -v[152:153], v[158:159], v[156:157]
	v_div_fmas_f64 v[152:153], v[152:153], v[154:155], v[158:159]
	v_div_fixup_f64 v[152:153], v[152:153], v[234:235], v[232:233]
	v_fmac_f64_e32 v[234:235], v[232:233], v[152:153]
	v_div_scale_f64 v[154:155], s[18:19], v[234:235], v[234:235], 1.0
	v_rcp_f64_e32 v[156:157], v[154:155]
	s_nop 0
	v_fma_f64 v[158:159], -v[154:155], v[156:157], 1.0
	v_fmac_f64_e32 v[156:157], v[156:157], v[158:159]
	v_fma_f64 v[158:159], -v[154:155], v[156:157], 1.0
	v_fmac_f64_e32 v[156:157], v[156:157], v[158:159]
	v_div_scale_f64 v[158:159], vcc, 1.0, v[234:235], 1.0
	v_mul_f64 v[220:221], v[158:159], v[156:157]
	v_fma_f64 v[154:155], -v[154:155], v[220:221], v[158:159]
	s_nop 1
	v_div_fmas_f64 v[154:155], v[154:155], v[156:157], v[220:221]
	v_div_fixup_f64 v[234:235], v[154:155], v[234:235], 1.0
	v_mul_f64 v[232:233], v[152:153], v[234:235]
	v_xor_b32_e32 v235, 0x80000000, v235
.LBB114_1162:
	s_andn2_saveexec_b64 s[16:17], s[16:17]
	s_cbranch_execz .LBB114_1164
; %bb.1163:
	v_div_scale_f64 v[152:153], s[18:19], v[232:233], v[232:233], v[234:235]
	v_rcp_f64_e32 v[154:155], v[152:153]
	v_div_scale_f64 v[156:157], vcc, v[234:235], v[232:233], v[234:235]
	v_fma_f64 v[158:159], -v[152:153], v[154:155], 1.0
	v_fmac_f64_e32 v[154:155], v[154:155], v[158:159]
	v_fma_f64 v[158:159], -v[152:153], v[154:155], 1.0
	v_fmac_f64_e32 v[154:155], v[154:155], v[158:159]
	v_mul_f64 v[158:159], v[156:157], v[154:155]
	v_fma_f64 v[152:153], -v[152:153], v[158:159], v[156:157]
	v_div_fmas_f64 v[152:153], v[152:153], v[154:155], v[158:159]
	v_div_fixup_f64 v[152:153], v[152:153], v[232:233], v[234:235]
	v_fmac_f64_e32 v[232:233], v[234:235], v[152:153]
	v_div_scale_f64 v[154:155], s[18:19], v[232:233], v[232:233], 1.0
	v_rcp_f64_e32 v[156:157], v[154:155]
	s_nop 0
	v_fma_f64 v[158:159], -v[154:155], v[156:157], 1.0
	v_fmac_f64_e32 v[156:157], v[156:157], v[158:159]
	v_fma_f64 v[158:159], -v[154:155], v[156:157], 1.0
	v_fmac_f64_e32 v[156:157], v[156:157], v[158:159]
	v_div_scale_f64 v[158:159], vcc, 1.0, v[232:233], 1.0
	v_mul_f64 v[220:221], v[158:159], v[156:157]
	v_fma_f64 v[154:155], -v[154:155], v[220:221], v[158:159]
	s_nop 1
	v_div_fmas_f64 v[154:155], v[154:155], v[156:157], v[220:221]
	v_div_fixup_f64 v[232:233], v[154:155], v[232:233], 1.0
	v_mul_f64 v[234:235], v[152:153], -v[232:233]
.LBB114_1164:
	s_or_b64 exec, exec, s[16:17]
.LBB114_1165:
	s_or_b64 exec, exec, s[0:1]
	v_cmp_ne_u32_e32 vcc, v245, v242
	s_and_saveexec_b64 s[0:1], vcc
	s_xor_b64 s[0:1], exec, s[0:1]
	s_cbranch_execz .LBB114_1171
; %bb.1166:
	v_cmp_eq_u32_e32 vcc, 55, v245
	s_and_saveexec_b64 s[16:17], vcc
	s_cbranch_execz .LBB114_1170
; %bb.1167:
	v_cmp_ne_u32_e32 vcc, 55, v242
	s_xor_b64 s[18:19], s[14:15], -1
	s_and_b64 s[22:23], s[18:19], vcc
	s_and_saveexec_b64 s[18:19], s[22:23]
	s_cbranch_execz .LBB114_1169
; %bb.1168:
	v_ashrrev_i32_e32 v243, 31, v242
	v_lshl_add_u64 v[152:153], v[242:243], 2, v[4:5]
	global_load_dword v154, v[152:153], off
	global_load_dword v155, v[4:5], off offset:220
	s_waitcnt vmcnt(1)
	global_store_dword v[4:5], v154, off offset:220
	s_waitcnt vmcnt(1)
	global_store_dword v[152:153], v155, off
.LBB114_1169:
	s_or_b64 exec, exec, s[18:19]
	v_mov_b32_e32 v245, v242
	v_mov_b32_e32 v236, v242
.LBB114_1170:
	s_or_b64 exec, exec, s[16:17]
.LBB114_1171:
	s_andn2_saveexec_b64 s[0:1], s[0:1]
	s_cbranch_execz .LBB114_1173
; %bb.1172:
	v_mov_b32_e32 v245, 55
	ds_write2_b64 v244, v[0:1], v[2:3] offset0:112 offset1:113
	ds_write2_b64 v244, v[228:229], v[230:231] offset0:114 offset1:115
.LBB114_1173:
	s_or_b64 exec, exec, s[0:1]
	v_cmp_lt_i32_e32 vcc, 55, v245
	s_waitcnt lgkmcnt(0)
	s_barrier
	s_and_saveexec_b64 s[0:1], vcc
	s_cbranch_execz .LBB114_1175
; %bb.1174:
	ds_read2_b64 v[248:251], v244 offset0:112 offset1:113
	v_mul_f64 v[152:153], v[232:233], v[226:227]
	v_mul_f64 v[6:7], v[234:235], v[226:227]
	v_fmac_f64_e32 v[152:153], v[234:235], v[224:225]
	v_fma_f64 v[224:225], v[232:233], v[224:225], -v[6:7]
	ds_read2_b64 v[232:235], v244 offset0:114 offset1:115
	s_waitcnt lgkmcnt(1)
	v_mul_f64 v[6:7], v[250:251], v[152:153]
	v_mul_f64 v[154:155], v[248:249], v[152:153]
	v_fma_f64 v[6:7], v[248:249], v[224:225], -v[6:7]
	v_fmac_f64_e32 v[154:155], v[250:251], v[224:225]
	v_add_f64 v[0:1], v[0:1], -v[6:7]
	v_add_f64 v[2:3], v[2:3], -v[154:155]
	s_waitcnt lgkmcnt(0)
	v_mul_f64 v[6:7], v[234:235], v[152:153]
	v_mul_f64 v[154:155], v[232:233], v[152:153]
	v_fma_f64 v[6:7], v[232:233], v[224:225], -v[6:7]
	v_fmac_f64_e32 v[154:155], v[234:235], v[224:225]
	v_add_f64 v[228:229], v[228:229], -v[6:7]
	v_add_f64 v[230:231], v[230:231], -v[154:155]
	v_mov_b64_e32 v[226:227], v[152:153]
.LBB114_1175:
	s_or_b64 exec, exec, s[0:1]
	v_lshl_add_u32 v152, v245, 4, v244
	s_barrier
	ds_write2_b64 v152, v[0:1], v[2:3] offset1:1
	s_waitcnt lgkmcnt(0)
	s_barrier
	ds_read2_b64 v[232:235], v244 offset0:112 offset1:113
	s_cmp_lt_i32 s20, 58
	v_mov_b32_e32 v242, 56
	s_cbranch_scc1 .LBB114_1178
; %bb.1176:
	v_add_u32_e32 v243, 0x390, v244
	s_mov_b32 s0, 57
	v_mov_b32_e32 v242, 56
.LBB114_1177:                           ; =>This Inner Loop Header: Depth=1
	ds_read2_b64 v[248:251], v243 offset1:1
	s_waitcnt lgkmcnt(1)
	v_cmp_gt_f64_e32 vcc, 0, v[232:233]
	v_xor_b32_e32 v152, 0x80000000, v233
	v_xor_b32_e32 v154, 0x80000000, v235
	v_cndmask_b32_e32 v153, v233, v152, vcc
	v_cmp_gt_f64_e32 vcc, 0, v[234:235]
	v_mov_b32_e32 v152, v232
	s_waitcnt lgkmcnt(0)
	v_xor_b32_e32 v156, 0x80000000, v251
	v_cndmask_b32_e32 v155, v235, v154, vcc
	v_mov_b32_e32 v154, v234
	v_add_f64 v[152:153], v[152:153], v[154:155]
	v_cmp_gt_f64_e32 vcc, 0, v[248:249]
	v_xor_b32_e32 v154, 0x80000000, v249
	v_add_u32_e32 v243, 16, v243
	v_cndmask_b32_e32 v155, v249, v154, vcc
	v_cmp_gt_f64_e32 vcc, 0, v[250:251]
	v_mov_b32_e32 v154, v248
	s_nop 0
	v_cndmask_b32_e32 v157, v251, v156, vcc
	v_mov_b32_e32 v156, v250
	v_add_f64 v[154:155], v[154:155], v[156:157]
	v_cmp_lt_f64_e32 vcc, v[152:153], v[154:155]
	v_mov_b32_e32 v152, s0
	s_add_i32 s0, s0, 1
	v_cndmask_b32_e32 v233, v233, v249, vcc
	v_cndmask_b32_e32 v232, v232, v248, vcc
	;; [unrolled: 1-line block ×5, first 2 shown]
	s_cmp_lg_u32 s20, s0
	s_cbranch_scc1 .LBB114_1177
.LBB114_1178:
	s_waitcnt lgkmcnt(0)
	v_cmp_eq_f64_e32 vcc, 0, v[232:233]
	v_cmp_eq_f64_e64 s[0:1], 0, v[234:235]
	s_and_b64 s[0:1], vcc, s[0:1]
	s_and_saveexec_b64 s[16:17], s[0:1]
	s_xor_b64 s[0:1], exec, s[16:17]
; %bb.1179:
	v_cmp_ne_u32_e32 vcc, 0, v246
	s_nop 1
	v_cndmask_b32_e32 v246, 57, v246, vcc
; %bb.1180:
	s_andn2_saveexec_b64 s[0:1], s[0:1]
	s_cbranch_execz .LBB114_1186
; %bb.1181:
	v_cmp_ngt_f64_e64 s[16:17], |v[232:233]|, |v[234:235]|
	s_and_saveexec_b64 s[18:19], s[16:17]
	s_xor_b64 s[16:17], exec, s[18:19]
	s_cbranch_execz .LBB114_1183
; %bb.1182:
	v_div_scale_f64 v[152:153], s[18:19], v[234:235], v[234:235], v[232:233]
	v_rcp_f64_e32 v[154:155], v[152:153]
	v_div_scale_f64 v[156:157], vcc, v[232:233], v[234:235], v[232:233]
	v_fma_f64 v[158:159], -v[152:153], v[154:155], 1.0
	v_fmac_f64_e32 v[154:155], v[154:155], v[158:159]
	v_fma_f64 v[158:159], -v[152:153], v[154:155], 1.0
	v_fmac_f64_e32 v[154:155], v[154:155], v[158:159]
	v_mul_f64 v[158:159], v[156:157], v[154:155]
	v_fma_f64 v[152:153], -v[152:153], v[158:159], v[156:157]
	v_div_fmas_f64 v[152:153], v[152:153], v[154:155], v[158:159]
	v_div_fixup_f64 v[152:153], v[152:153], v[234:235], v[232:233]
	v_fmac_f64_e32 v[234:235], v[232:233], v[152:153]
	v_div_scale_f64 v[154:155], s[18:19], v[234:235], v[234:235], 1.0
	v_rcp_f64_e32 v[156:157], v[154:155]
	s_nop 0
	v_fma_f64 v[158:159], -v[154:155], v[156:157], 1.0
	v_fmac_f64_e32 v[156:157], v[156:157], v[158:159]
	v_fma_f64 v[158:159], -v[154:155], v[156:157], 1.0
	v_fmac_f64_e32 v[156:157], v[156:157], v[158:159]
	v_div_scale_f64 v[158:159], vcc, 1.0, v[234:235], 1.0
	v_mul_f64 v[220:221], v[158:159], v[156:157]
	v_fma_f64 v[154:155], -v[154:155], v[220:221], v[158:159]
	s_nop 1
	v_div_fmas_f64 v[154:155], v[154:155], v[156:157], v[220:221]
	v_div_fixup_f64 v[234:235], v[154:155], v[234:235], 1.0
	v_mul_f64 v[232:233], v[152:153], v[234:235]
	v_xor_b32_e32 v235, 0x80000000, v235
.LBB114_1183:
	s_andn2_saveexec_b64 s[16:17], s[16:17]
	s_cbranch_execz .LBB114_1185
; %bb.1184:
	v_div_scale_f64 v[152:153], s[18:19], v[232:233], v[232:233], v[234:235]
	v_rcp_f64_e32 v[154:155], v[152:153]
	v_div_scale_f64 v[156:157], vcc, v[234:235], v[232:233], v[234:235]
	v_fma_f64 v[158:159], -v[152:153], v[154:155], 1.0
	v_fmac_f64_e32 v[154:155], v[154:155], v[158:159]
	v_fma_f64 v[158:159], -v[152:153], v[154:155], 1.0
	v_fmac_f64_e32 v[154:155], v[154:155], v[158:159]
	v_mul_f64 v[158:159], v[156:157], v[154:155]
	v_fma_f64 v[152:153], -v[152:153], v[158:159], v[156:157]
	v_div_fmas_f64 v[152:153], v[152:153], v[154:155], v[158:159]
	v_div_fixup_f64 v[152:153], v[152:153], v[232:233], v[234:235]
	v_fmac_f64_e32 v[232:233], v[234:235], v[152:153]
	v_div_scale_f64 v[154:155], s[18:19], v[232:233], v[232:233], 1.0
	v_rcp_f64_e32 v[156:157], v[154:155]
	s_nop 0
	v_fma_f64 v[158:159], -v[154:155], v[156:157], 1.0
	v_fmac_f64_e32 v[156:157], v[156:157], v[158:159]
	v_fma_f64 v[158:159], -v[154:155], v[156:157], 1.0
	v_fmac_f64_e32 v[156:157], v[156:157], v[158:159]
	v_div_scale_f64 v[158:159], vcc, 1.0, v[232:233], 1.0
	v_mul_f64 v[220:221], v[158:159], v[156:157]
	v_fma_f64 v[154:155], -v[154:155], v[220:221], v[158:159]
	s_nop 1
	v_div_fmas_f64 v[154:155], v[154:155], v[156:157], v[220:221]
	v_div_fixup_f64 v[232:233], v[154:155], v[232:233], 1.0
	v_mul_f64 v[234:235], v[152:153], -v[232:233]
.LBB114_1185:
	s_or_b64 exec, exec, s[16:17]
.LBB114_1186:
	s_or_b64 exec, exec, s[0:1]
	v_cmp_ne_u32_e32 vcc, v245, v242
	s_and_saveexec_b64 s[0:1], vcc
	s_xor_b64 s[0:1], exec, s[0:1]
	s_cbranch_execz .LBB114_1192
; %bb.1187:
	v_cmp_eq_u32_e32 vcc, 56, v245
	s_and_saveexec_b64 s[16:17], vcc
	s_cbranch_execz .LBB114_1191
; %bb.1188:
	v_cmp_ne_u32_e32 vcc, 56, v242
	s_xor_b64 s[18:19], s[14:15], -1
	s_and_b64 s[22:23], s[18:19], vcc
	s_and_saveexec_b64 s[18:19], s[22:23]
	s_cbranch_execz .LBB114_1190
; %bb.1189:
	v_ashrrev_i32_e32 v243, 31, v242
	v_lshl_add_u64 v[152:153], v[242:243], 2, v[4:5]
	global_load_dword v154, v[152:153], off
	global_load_dword v155, v[4:5], off offset:224
	s_waitcnt vmcnt(1)
	global_store_dword v[4:5], v154, off offset:224
	s_waitcnt vmcnt(1)
	global_store_dword v[152:153], v155, off
.LBB114_1190:
	s_or_b64 exec, exec, s[18:19]
	v_mov_b32_e32 v245, v242
	v_mov_b32_e32 v236, v242
.LBB114_1191:
	s_or_b64 exec, exec, s[16:17]
.LBB114_1192:
	s_andn2_saveexec_b64 s[0:1], s[0:1]
; %bb.1193:
	v_mov_b32_e32 v245, 56
	ds_write2_b64 v244, v[228:229], v[230:231] offset0:114 offset1:115
; %bb.1194:
	s_or_b64 exec, exec, s[0:1]
	v_cmp_lt_i32_e32 vcc, 56, v245
	s_waitcnt lgkmcnt(0)
	s_barrier
	s_and_saveexec_b64 s[0:1], vcc
	s_cbranch_execz .LBB114_1196
; %bb.1195:
	ds_read2_b64 v[248:251], v244 offset0:114 offset1:115
	v_mul_f64 v[152:153], v[232:233], v[2:3]
	v_mul_f64 v[2:3], v[234:235], v[2:3]
	v_fmac_f64_e32 v[152:153], v[234:235], v[0:1]
	v_fma_f64 v[0:1], v[232:233], v[0:1], -v[2:3]
	s_waitcnt lgkmcnt(0)
	v_mul_f64 v[2:3], v[250:251], v[152:153]
	v_mul_f64 v[154:155], v[248:249], v[152:153]
	v_fma_f64 v[2:3], v[248:249], v[0:1], -v[2:3]
	v_fmac_f64_e32 v[154:155], v[250:251], v[0:1]
	v_add_f64 v[228:229], v[228:229], -v[2:3]
	v_add_f64 v[230:231], v[230:231], -v[154:155]
	v_mov_b64_e32 v[2:3], v[152:153]
.LBB114_1196:
	s_or_b64 exec, exec, s[0:1]
	v_lshl_add_u32 v152, v245, 4, v244
	s_barrier
	ds_write2_b64 v152, v[228:229], v[230:231] offset1:1
	s_waitcnt lgkmcnt(0)
	s_barrier
	ds_read2_b64 v[232:235], v244 offset0:114 offset1:115
	s_cmp_lt_i32 s20, 59
	v_mov_b32_e32 v242, 57
	s_cbranch_scc1 .LBB114_1199
; %bb.1197:
	v_add_u32_e32 v243, 0x3a0, v244
	s_mov_b32 s0, 58
	v_mov_b32_e32 v242, 57
.LBB114_1198:                           ; =>This Inner Loop Header: Depth=1
	ds_read2_b64 v[248:251], v243 offset1:1
	s_waitcnt lgkmcnt(1)
	v_cmp_gt_f64_e32 vcc, 0, v[232:233]
	v_xor_b32_e32 v152, 0x80000000, v233
	v_xor_b32_e32 v154, 0x80000000, v235
	v_cndmask_b32_e32 v153, v233, v152, vcc
	v_cmp_gt_f64_e32 vcc, 0, v[234:235]
	v_mov_b32_e32 v152, v232
	s_waitcnt lgkmcnt(0)
	v_xor_b32_e32 v156, 0x80000000, v251
	v_cndmask_b32_e32 v155, v235, v154, vcc
	v_mov_b32_e32 v154, v234
	v_add_f64 v[152:153], v[152:153], v[154:155]
	v_cmp_gt_f64_e32 vcc, 0, v[248:249]
	v_xor_b32_e32 v154, 0x80000000, v249
	v_add_u32_e32 v243, 16, v243
	v_cndmask_b32_e32 v155, v249, v154, vcc
	v_cmp_gt_f64_e32 vcc, 0, v[250:251]
	v_mov_b32_e32 v154, v248
	s_nop 0
	v_cndmask_b32_e32 v157, v251, v156, vcc
	v_mov_b32_e32 v156, v250
	v_add_f64 v[154:155], v[154:155], v[156:157]
	v_cmp_lt_f64_e32 vcc, v[152:153], v[154:155]
	v_mov_b32_e32 v152, s0
	s_add_i32 s0, s0, 1
	v_cndmask_b32_e32 v233, v233, v249, vcc
	v_cndmask_b32_e32 v232, v232, v248, vcc
	;; [unrolled: 1-line block ×5, first 2 shown]
	s_cmp_lg_u32 s20, s0
	s_cbranch_scc1 .LBB114_1198
.LBB114_1199:
	s_waitcnt lgkmcnt(0)
	v_cmp_eq_f64_e32 vcc, 0, v[232:233]
	v_cmp_eq_f64_e64 s[0:1], 0, v[234:235]
	s_and_b64 s[0:1], vcc, s[0:1]
	s_and_saveexec_b64 s[16:17], s[0:1]
	s_xor_b64 s[0:1], exec, s[16:17]
; %bb.1200:
	v_cmp_ne_u32_e32 vcc, 0, v246
	s_nop 1
	v_cndmask_b32_e32 v246, 58, v246, vcc
; %bb.1201:
	s_andn2_saveexec_b64 s[0:1], s[0:1]
	s_cbranch_execz .LBB114_1207
; %bb.1202:
	v_cmp_ngt_f64_e64 s[16:17], |v[232:233]|, |v[234:235]|
	s_and_saveexec_b64 s[18:19], s[16:17]
	s_xor_b64 s[16:17], exec, s[18:19]
	s_cbranch_execz .LBB114_1204
; %bb.1203:
	v_div_scale_f64 v[152:153], s[18:19], v[234:235], v[234:235], v[232:233]
	v_rcp_f64_e32 v[154:155], v[152:153]
	v_div_scale_f64 v[156:157], vcc, v[232:233], v[234:235], v[232:233]
	v_fma_f64 v[158:159], -v[152:153], v[154:155], 1.0
	v_fmac_f64_e32 v[154:155], v[154:155], v[158:159]
	v_fma_f64 v[158:159], -v[152:153], v[154:155], 1.0
	v_fmac_f64_e32 v[154:155], v[154:155], v[158:159]
	v_mul_f64 v[158:159], v[156:157], v[154:155]
	v_fma_f64 v[152:153], -v[152:153], v[158:159], v[156:157]
	v_div_fmas_f64 v[152:153], v[152:153], v[154:155], v[158:159]
	v_div_fixup_f64 v[152:153], v[152:153], v[234:235], v[232:233]
	v_fmac_f64_e32 v[234:235], v[232:233], v[152:153]
	v_div_scale_f64 v[154:155], s[18:19], v[234:235], v[234:235], 1.0
	v_rcp_f64_e32 v[156:157], v[154:155]
	s_nop 0
	v_fma_f64 v[158:159], -v[154:155], v[156:157], 1.0
	v_fmac_f64_e32 v[156:157], v[156:157], v[158:159]
	v_fma_f64 v[158:159], -v[154:155], v[156:157], 1.0
	v_fmac_f64_e32 v[156:157], v[156:157], v[158:159]
	v_div_scale_f64 v[158:159], vcc, 1.0, v[234:235], 1.0
	v_mul_f64 v[220:221], v[158:159], v[156:157]
	v_fma_f64 v[154:155], -v[154:155], v[220:221], v[158:159]
	s_nop 1
	v_div_fmas_f64 v[154:155], v[154:155], v[156:157], v[220:221]
	v_div_fixup_f64 v[234:235], v[154:155], v[234:235], 1.0
	v_mul_f64 v[232:233], v[152:153], v[234:235]
	v_xor_b32_e32 v235, 0x80000000, v235
.LBB114_1204:
	s_andn2_saveexec_b64 s[16:17], s[16:17]
	s_cbranch_execz .LBB114_1206
; %bb.1205:
	v_div_scale_f64 v[152:153], s[18:19], v[232:233], v[232:233], v[234:235]
	v_rcp_f64_e32 v[154:155], v[152:153]
	v_div_scale_f64 v[156:157], vcc, v[234:235], v[232:233], v[234:235]
	v_fma_f64 v[158:159], -v[152:153], v[154:155], 1.0
	v_fmac_f64_e32 v[154:155], v[154:155], v[158:159]
	v_fma_f64 v[158:159], -v[152:153], v[154:155], 1.0
	v_fmac_f64_e32 v[154:155], v[154:155], v[158:159]
	v_mul_f64 v[158:159], v[156:157], v[154:155]
	v_fma_f64 v[152:153], -v[152:153], v[158:159], v[156:157]
	v_div_fmas_f64 v[152:153], v[152:153], v[154:155], v[158:159]
	v_div_fixup_f64 v[152:153], v[152:153], v[232:233], v[234:235]
	v_fmac_f64_e32 v[232:233], v[234:235], v[152:153]
	v_div_scale_f64 v[154:155], s[18:19], v[232:233], v[232:233], 1.0
	v_rcp_f64_e32 v[156:157], v[154:155]
	s_nop 0
	v_fma_f64 v[158:159], -v[154:155], v[156:157], 1.0
	v_fmac_f64_e32 v[156:157], v[156:157], v[158:159]
	v_fma_f64 v[158:159], -v[154:155], v[156:157], 1.0
	v_fmac_f64_e32 v[156:157], v[156:157], v[158:159]
	v_div_scale_f64 v[158:159], vcc, 1.0, v[232:233], 1.0
	v_mul_f64 v[220:221], v[158:159], v[156:157]
	v_fma_f64 v[154:155], -v[154:155], v[220:221], v[158:159]
	s_nop 1
	v_div_fmas_f64 v[154:155], v[154:155], v[156:157], v[220:221]
	v_div_fixup_f64 v[232:233], v[154:155], v[232:233], 1.0
	v_mul_f64 v[234:235], v[152:153], -v[232:233]
.LBB114_1206:
	s_or_b64 exec, exec, s[16:17]
.LBB114_1207:
	s_or_b64 exec, exec, s[0:1]
	v_mov_b64_e32 v[212:213], v[238:239]
	v_mov_b64_e32 v[214:215], v[240:241]
	v_cmp_ne_u32_e32 vcc, v245, v242
	v_mov_b32_e32 v244, 57
	s_and_saveexec_b64 s[0:1], vcc
	s_cbranch_execz .LBB114_1213
; %bb.1208:
	v_cmp_eq_u32_e32 vcc, 57, v245
	s_and_saveexec_b64 s[16:17], vcc
	s_cbranch_execz .LBB114_1212
; %bb.1209:
	v_cmp_ne_u32_e32 vcc, 57, v242
	s_xor_b64 s[14:15], s[14:15], -1
	s_and_b64 s[18:19], s[14:15], vcc
	s_and_saveexec_b64 s[14:15], s[18:19]
	s_cbranch_execz .LBB114_1211
; %bb.1210:
	v_ashrrev_i32_e32 v243, 31, v242
	v_lshl_add_u64 v[152:153], v[242:243], 2, v[4:5]
	global_load_dword v154, v[152:153], off
	global_load_dword v155, v[4:5], off offset:228
	s_waitcnt vmcnt(1)
	global_store_dword v[4:5], v154, off offset:228
	s_waitcnt vmcnt(1)
	global_store_dword v[152:153], v155, off
.LBB114_1211:
	s_or_b64 exec, exec, s[14:15]
	v_mov_b32_e32 v245, v242
	v_mov_b32_e32 v236, v242
.LBB114_1212:
	s_or_b64 exec, exec, s[16:17]
	v_mov_b32_e32 v244, v245
.LBB114_1213:
	s_or_b64 exec, exec, s[0:1]
	v_cmp_gt_i32_e32 vcc, 58, v244
	v_ashrrev_i32_e32 v245, 31, v244
	s_barrier
	s_barrier
	s_and_saveexec_b64 s[0:1], vcc
	s_cbranch_execz .LBB114_1215
; %bb.1214:
	v_mov_b32_e32 v152, s6
	v_mov_b32_e32 v153, s7
	v_mul_lo_u32 v156, s11, v222
	v_mul_lo_u32 v157, s10, v223
	v_mad_u64_u32 v[154:155], s[6:7], s10, v222, 0
	v_add3_u32 v155, v155, v157, v156
	v_lshl_add_u64 v[152:153], v[154:155], 2, v[152:153]
	v_lshl_add_u64 v[152:153], s[8:9], 2, v[152:153]
	;; [unrolled: 1-line block ×3, first 2 shown]
	v_add3_u32 v154, v236, s13, 1
	global_store_dword v[152:153], v154, off
.LBB114_1215:
	s_or_b64 exec, exec, s[0:1]
	v_cmp_eq_u32_e32 vcc, 0, v244
	s_and_saveexec_b64 s[6:7], vcc
	s_cbranch_execz .LBB114_1218
; %bb.1216:
	v_mov_b32_e32 v152, s4
	v_mov_b32_e32 v153, s5
	v_lshl_add_u64 v[238:239], v[222:223], 2, v[152:153]
	global_load_dword v152, v[238:239], off
	v_cmp_ne_u32_e64 s[0:1], 0, v246
	s_waitcnt vmcnt(0)
	v_cmp_eq_u32_e32 vcc, 0, v152
	s_and_b64 s[0:1], vcc, s[0:1]
	s_and_b64 exec, exec, s[0:1]
	s_cbranch_execz .LBB114_1218
; %bb.1217:
	v_add_u32_e32 v152, s13, v246
	global_store_dword v[238:239], v152, off
.LBB114_1218:
	s_or_b64 exec, exec, s[6:7]
	scratch_load_dwordx2 v[156:157], off, off offset:64 ; 8-byte Folded Reload
	scratch_load_dwordx4 v[4:7], off, off offset:48 ; 16-byte Folded Reload
	v_mul_f64 v[152:153], v[234:235], v[230:231]
	v_fma_f64 v[152:153], v[232:233], v[228:229], -v[152:153]
	v_mul_f64 v[154:155], v[232:233], v[230:231]
	v_cmp_lt_i32_e32 vcc, 57, v244
	v_fmac_f64_e32 v[154:155], v[234:235], v[228:229]
	s_nop 0
	v_cndmask_b32_e32 v229, v229, v153, vcc
	v_cndmask_b32_e32 v228, v228, v152, vcc
	;; [unrolled: 1-line block ×4, first 2 shown]
	s_waitcnt vmcnt(1)
	v_lshl_add_u64 v[152:153], v[244:245], 4, v[156:157]
	s_waitcnt vmcnt(0)
	global_store_dwordx4 v[152:153], v[4:7], off
	scratch_load_dwordx4 v[4:7], off, off offset:32 ; 16-byte Folded Reload
	v_lshl_add_u64 v[152:153], s[2:3], 4, v[152:153]
	s_waitcnt vmcnt(0)
	global_store_dwordx4 v[152:153], v[4:7], off
	scratch_load_dwordx4 v[4:7], off, off offset:16 ; 16-byte Folded Reload
	v_add_u32_e32 v152, s12, v244
	v_ashrrev_i32_e32 v153, 31, v152
	v_lshl_add_u64 v[154:155], v[152:153], 4, v[156:157]
	v_add_u32_e32 v152, s2, v152
	v_ashrrev_i32_e32 v153, 31, v152
	s_waitcnt vmcnt(0)
	global_store_dwordx4 v[154:155], v[4:7], off
	scratch_load_dwordx4 v[4:7], off, off   ; 16-byte Folded Reload
	v_lshl_add_u64 v[154:155], v[152:153], 4, v[156:157]
	v_add_u32_e32 v152, s2, v152
	v_ashrrev_i32_e32 v153, 31, v152
	s_waitcnt vmcnt(0)
	global_store_dwordx4 v[154:155], v[4:7], off
	v_lshl_add_u64 v[154:155], v[152:153], 4, v[156:157]
	v_add_u32_e32 v152, s2, v152
	v_ashrrev_i32_e32 v153, 31, v152
	global_store_dwordx4 v[154:155], v[212:215], off
	v_lshl_add_u64 v[154:155], v[152:153], 4, v[156:157]
	v_add_u32_e32 v152, s2, v152
	v_ashrrev_i32_e32 v153, 31, v152
	;; [unrolled: 4-line block ×15, first 2 shown]
	global_store_dwordx4 v[154:155], v[160:163], off
	v_lshl_add_u64 v[154:155], v[152:153], 4, v[156:157]
	global_store_dwordx4 v[154:155], v[148:151], off
	s_nop 1
	v_add_u32_e32 v148, s2, v152
	v_ashrrev_i32_e32 v149, 31, v148
	v_lshl_add_u64 v[150:151], v[148:149], 4, v[156:157]
	global_store_dwordx4 v[150:151], v[144:147], off
	s_nop 1
	v_add_u32_e32 v144, s2, v148
	v_ashrrev_i32_e32 v145, 31, v144
	v_lshl_add_u64 v[146:147], v[144:145], 4, v[156:157]
	global_store_dwordx4 v[146:147], v[140:143], off
	s_nop 1
	v_add_u32_e32 v140, s2, v144
	v_ashrrev_i32_e32 v141, 31, v140
	v_lshl_add_u64 v[142:143], v[140:141], 4, v[156:157]
	global_store_dwordx4 v[142:143], v[136:139], off
	s_nop 1
	v_add_u32_e32 v136, s2, v140
	v_ashrrev_i32_e32 v137, 31, v136
	v_lshl_add_u64 v[138:139], v[136:137], 4, v[156:157]
	global_store_dwordx4 v[138:139], v[132:135], off
	s_nop 1
	v_add_u32_e32 v132, s2, v136
	v_ashrrev_i32_e32 v133, 31, v132
	v_lshl_add_u64 v[134:135], v[132:133], 4, v[156:157]
	global_store_dwordx4 v[134:135], v[128:131], off
	s_nop 1
	v_add_u32_e32 v128, s2, v132
	v_ashrrev_i32_e32 v129, 31, v128
	v_lshl_add_u64 v[130:131], v[128:129], 4, v[156:157]
	global_store_dwordx4 v[130:131], v[124:127], off
	s_nop 1
	v_add_u32_e32 v124, s2, v128
	v_ashrrev_i32_e32 v125, 31, v124
	v_lshl_add_u64 v[126:127], v[124:125], 4, v[156:157]
	global_store_dwordx4 v[126:127], v[120:123], off
	s_nop 1
	v_add_u32_e32 v120, s2, v124
	v_ashrrev_i32_e32 v121, 31, v120
	v_lshl_add_u64 v[122:123], v[120:121], 4, v[156:157]
	global_store_dwordx4 v[122:123], v[116:119], off
	s_nop 1
	v_add_u32_e32 v116, s2, v120
	v_ashrrev_i32_e32 v117, 31, v116
	v_lshl_add_u64 v[118:119], v[116:117], 4, v[156:157]
	global_store_dwordx4 v[118:119], v[112:115], off
	s_nop 1
	v_add_u32_e32 v112, s2, v116
	v_ashrrev_i32_e32 v113, 31, v112
	v_lshl_add_u64 v[114:115], v[112:113], 4, v[156:157]
	global_store_dwordx4 v[114:115], v[108:111], off
	s_nop 1
	v_add_u32_e32 v108, s2, v112
	v_ashrrev_i32_e32 v109, 31, v108
	v_lshl_add_u64 v[110:111], v[108:109], 4, v[156:157]
	global_store_dwordx4 v[110:111], v[104:107], off
	s_nop 1
	v_add_u32_e32 v104, s2, v108
	v_ashrrev_i32_e32 v105, 31, v104
	v_lshl_add_u64 v[106:107], v[104:105], 4, v[156:157]
	global_store_dwordx4 v[106:107], v[100:103], off
	s_nop 1
	v_add_u32_e32 v100, s2, v104
	v_ashrrev_i32_e32 v101, 31, v100
	v_lshl_add_u64 v[102:103], v[100:101], 4, v[156:157]
	global_store_dwordx4 v[102:103], v[96:99], off
	s_nop 1
	v_add_u32_e32 v96, s2, v100
	v_ashrrev_i32_e32 v97, 31, v96
	v_lshl_add_u64 v[98:99], v[96:97], 4, v[156:157]
	global_store_dwordx4 v[98:99], v[92:95], off
	s_nop 1
	v_add_u32_e32 v92, s2, v96
	v_ashrrev_i32_e32 v93, 31, v92
	v_lshl_add_u64 v[94:95], v[92:93], 4, v[156:157]
	global_store_dwordx4 v[94:95], v[88:91], off
	s_nop 1
	v_add_u32_e32 v88, s2, v92
	v_ashrrev_i32_e32 v89, 31, v88
	v_lshl_add_u64 v[90:91], v[88:89], 4, v[156:157]
	global_store_dwordx4 v[90:91], v[84:87], off
	s_nop 1
	v_add_u32_e32 v84, s2, v88
	v_ashrrev_i32_e32 v85, 31, v84
	v_lshl_add_u64 v[86:87], v[84:85], 4, v[156:157]
	global_store_dwordx4 v[86:87], v[80:83], off
	s_nop 1
	v_add_u32_e32 v80, s2, v84
	v_ashrrev_i32_e32 v81, 31, v80
	v_lshl_add_u64 v[82:83], v[80:81], 4, v[156:157]
	global_store_dwordx4 v[82:83], v[76:79], off
	s_nop 1
	v_add_u32_e32 v76, s2, v80
	v_ashrrev_i32_e32 v77, 31, v76
	v_lshl_add_u64 v[78:79], v[76:77], 4, v[156:157]
	global_store_dwordx4 v[78:79], v[72:75], off
	s_nop 1
	v_add_u32_e32 v72, s2, v76
	v_ashrrev_i32_e32 v73, 31, v72
	v_lshl_add_u64 v[74:75], v[72:73], 4, v[156:157]
	global_store_dwordx4 v[74:75], v[68:71], off
	s_nop 1
	v_add_u32_e32 v68, s2, v72
	v_ashrrev_i32_e32 v69, 31, v68
	v_lshl_add_u64 v[70:71], v[68:69], 4, v[156:157]
	global_store_dwordx4 v[70:71], v[64:67], off
	s_nop 1
	v_add_u32_e32 v64, s2, v68
	v_ashrrev_i32_e32 v65, 31, v64
	v_lshl_add_u64 v[66:67], v[64:65], 4, v[156:157]
	global_store_dwordx4 v[66:67], v[60:63], off
	s_nop 1
	v_add_u32_e32 v60, s2, v64
	v_ashrrev_i32_e32 v61, 31, v60
	v_lshl_add_u64 v[62:63], v[60:61], 4, v[156:157]
	global_store_dwordx4 v[62:63], v[56:59], off
	s_nop 1
	v_add_u32_e32 v56, s2, v60
	v_ashrrev_i32_e32 v57, 31, v56
	v_lshl_add_u64 v[58:59], v[56:57], 4, v[156:157]
	global_store_dwordx4 v[58:59], v[52:55], off
	s_nop 1
	v_add_u32_e32 v52, s2, v56
	v_ashrrev_i32_e32 v53, 31, v52
	v_lshl_add_u64 v[54:55], v[52:53], 4, v[156:157]
	global_store_dwordx4 v[54:55], v[48:51], off
	s_nop 1
	v_add_u32_e32 v48, s2, v52
	v_ashrrev_i32_e32 v49, 31, v48
	v_lshl_add_u64 v[50:51], v[48:49], 4, v[156:157]
	global_store_dwordx4 v[50:51], v[44:47], off
	s_nop 1
	v_add_u32_e32 v44, s2, v48
	v_ashrrev_i32_e32 v45, 31, v44
	v_lshl_add_u64 v[46:47], v[44:45], 4, v[156:157]
	global_store_dwordx4 v[46:47], v[40:43], off
	s_nop 1
	v_add_u32_e32 v40, s2, v44
	v_ashrrev_i32_e32 v41, 31, v40
	v_lshl_add_u64 v[42:43], v[40:41], 4, v[156:157]
	global_store_dwordx4 v[42:43], v[36:39], off
	s_nop 1
	v_add_u32_e32 v36, s2, v40
	v_ashrrev_i32_e32 v37, 31, v36
	v_lshl_add_u64 v[38:39], v[36:37], 4, v[156:157]
	global_store_dwordx4 v[38:39], v[32:35], off
	s_nop 1
	v_add_u32_e32 v32, s2, v36
	v_ashrrev_i32_e32 v33, 31, v32
	v_lshl_add_u64 v[34:35], v[32:33], 4, v[156:157]
	global_store_dwordx4 v[34:35], v[28:31], off
	s_nop 1
	v_add_u32_e32 v28, s2, v32
	v_ashrrev_i32_e32 v29, 31, v28
	v_lshl_add_u64 v[30:31], v[28:29], 4, v[156:157]
	global_store_dwordx4 v[30:31], v[24:27], off
	s_nop 1
	v_add_u32_e32 v24, s2, v28
	v_ashrrev_i32_e32 v25, 31, v24
	v_lshl_add_u64 v[26:27], v[24:25], 4, v[156:157]
	global_store_dwordx4 v[26:27], v[20:23], off
	s_nop 1
	v_add_u32_e32 v20, s2, v24
	v_ashrrev_i32_e32 v21, 31, v20
	v_lshl_add_u64 v[22:23], v[20:21], 4, v[156:157]
	global_store_dwordx4 v[22:23], v[16:19], off
	s_nop 1
	v_add_u32_e32 v16, s2, v20
	v_ashrrev_i32_e32 v17, 31, v16
	v_lshl_add_u64 v[18:19], v[16:17], 4, v[156:157]
	global_store_dwordx4 v[18:19], v[12:15], off
	s_nop 1
	v_add_u32_e32 v12, s2, v16
	v_ashrrev_i32_e32 v13, 31, v12
	v_lshl_add_u64 v[14:15], v[12:13], 4, v[156:157]
	global_store_dwordx4 v[14:15], v[8:11], off
	s_nop 1
	v_add_u32_e32 v8, s2, v12
	v_add_u32_e32 v4, s2, v8
	v_ashrrev_i32_e32 v9, 31, v8
	v_ashrrev_i32_e32 v5, 31, v4
	v_lshl_add_u64 v[10:11], v[8:9], 4, v[156:157]
	v_lshl_add_u64 v[6:7], v[4:5], 4, v[156:157]
	global_store_dwordx4 v[10:11], v[224:227], off
	global_store_dwordx4 v[6:7], v[0:3], off
	s_nop 1
	v_add_u32_e32 v0, s2, v4
	v_ashrrev_i32_e32 v1, 31, v0
	v_lshl_add_u64 v[0:1], v[0:1], 4, v[156:157]
	global_store_dwordx4 v[0:1], v[228:231], off
.LBB114_1219:
	s_endpgm
	.section	.rodata,"a",@progbits
	.p2align	6, 0x0
	.amdhsa_kernel _ZN9rocsolver6v33100L18getf2_small_kernelILi58E19rocblas_complex_numIdEiiPS3_EEvT1_T3_lS5_lPS5_llPT2_S5_S5_S7_l
		.amdhsa_group_segment_fixed_size 0
		.amdhsa_private_segment_fixed_size 84
		.amdhsa_kernarg_size 352
		.amdhsa_user_sgpr_count 2
		.amdhsa_user_sgpr_dispatch_ptr 0
		.amdhsa_user_sgpr_queue_ptr 0
		.amdhsa_user_sgpr_kernarg_segment_ptr 1
		.amdhsa_user_sgpr_dispatch_id 0
		.amdhsa_user_sgpr_kernarg_preload_length 0
		.amdhsa_user_sgpr_kernarg_preload_offset 0
		.amdhsa_user_sgpr_private_segment_size 0
		.amdhsa_uses_dynamic_stack 0
		.amdhsa_enable_private_segment 1
		.amdhsa_system_sgpr_workgroup_id_x 1
		.amdhsa_system_sgpr_workgroup_id_y 1
		.amdhsa_system_sgpr_workgroup_id_z 0
		.amdhsa_system_sgpr_workgroup_info 0
		.amdhsa_system_vgpr_workitem_id 1
		.amdhsa_next_free_vgpr 256
		.amdhsa_next_free_sgpr 26
		.amdhsa_accum_offset 256
		.amdhsa_reserve_vcc 1
		.amdhsa_float_round_mode_32 0
		.amdhsa_float_round_mode_16_64 0
		.amdhsa_float_denorm_mode_32 3
		.amdhsa_float_denorm_mode_16_64 3
		.amdhsa_dx10_clamp 1
		.amdhsa_ieee_mode 1
		.amdhsa_fp16_overflow 0
		.amdhsa_tg_split 0
		.amdhsa_exception_fp_ieee_invalid_op 0
		.amdhsa_exception_fp_denorm_src 0
		.amdhsa_exception_fp_ieee_div_zero 0
		.amdhsa_exception_fp_ieee_overflow 0
		.amdhsa_exception_fp_ieee_underflow 0
		.amdhsa_exception_fp_ieee_inexact 0
		.amdhsa_exception_int_div_zero 0
	.end_amdhsa_kernel
	.section	.text._ZN9rocsolver6v33100L18getf2_small_kernelILi58E19rocblas_complex_numIdEiiPS3_EEvT1_T3_lS5_lPS5_llPT2_S5_S5_S7_l,"axG",@progbits,_ZN9rocsolver6v33100L18getf2_small_kernelILi58E19rocblas_complex_numIdEiiPS3_EEvT1_T3_lS5_lPS5_llPT2_S5_S5_S7_l,comdat
.Lfunc_end114:
	.size	_ZN9rocsolver6v33100L18getf2_small_kernelILi58E19rocblas_complex_numIdEiiPS3_EEvT1_T3_lS5_lPS5_llPT2_S5_S5_S7_l, .Lfunc_end114-_ZN9rocsolver6v33100L18getf2_small_kernelILi58E19rocblas_complex_numIdEiiPS3_EEvT1_T3_lS5_lPS5_llPT2_S5_S5_S7_l
                                        ; -- End function
	.set _ZN9rocsolver6v33100L18getf2_small_kernelILi58E19rocblas_complex_numIdEiiPS3_EEvT1_T3_lS5_lPS5_llPT2_S5_S5_S7_l.num_vgpr, 256
	.set _ZN9rocsolver6v33100L18getf2_small_kernelILi58E19rocblas_complex_numIdEiiPS3_EEvT1_T3_lS5_lPS5_llPT2_S5_S5_S7_l.num_agpr, 0
	.set _ZN9rocsolver6v33100L18getf2_small_kernelILi58E19rocblas_complex_numIdEiiPS3_EEvT1_T3_lS5_lPS5_llPT2_S5_S5_S7_l.numbered_sgpr, 26
	.set _ZN9rocsolver6v33100L18getf2_small_kernelILi58E19rocblas_complex_numIdEiiPS3_EEvT1_T3_lS5_lPS5_llPT2_S5_S5_S7_l.num_named_barrier, 0
	.set _ZN9rocsolver6v33100L18getf2_small_kernelILi58E19rocblas_complex_numIdEiiPS3_EEvT1_T3_lS5_lPS5_llPT2_S5_S5_S7_l.private_seg_size, 84
	.set _ZN9rocsolver6v33100L18getf2_small_kernelILi58E19rocblas_complex_numIdEiiPS3_EEvT1_T3_lS5_lPS5_llPT2_S5_S5_S7_l.uses_vcc, 1
	.set _ZN9rocsolver6v33100L18getf2_small_kernelILi58E19rocblas_complex_numIdEiiPS3_EEvT1_T3_lS5_lPS5_llPT2_S5_S5_S7_l.uses_flat_scratch, 0
	.set _ZN9rocsolver6v33100L18getf2_small_kernelILi58E19rocblas_complex_numIdEiiPS3_EEvT1_T3_lS5_lPS5_llPT2_S5_S5_S7_l.has_dyn_sized_stack, 0
	.set _ZN9rocsolver6v33100L18getf2_small_kernelILi58E19rocblas_complex_numIdEiiPS3_EEvT1_T3_lS5_lPS5_llPT2_S5_S5_S7_l.has_recursion, 0
	.set _ZN9rocsolver6v33100L18getf2_small_kernelILi58E19rocblas_complex_numIdEiiPS3_EEvT1_T3_lS5_lPS5_llPT2_S5_S5_S7_l.has_indirect_call, 0
	.section	.AMDGPU.csdata,"",@progbits
; Kernel info:
; codeLenInByte = 158884
; TotalNumSgprs: 32
; NumVgprs: 256
; NumAgprs: 0
; TotalNumVgprs: 256
; ScratchSize: 84
; MemoryBound: 0
; FloatMode: 240
; IeeeMode: 1
; LDSByteSize: 0 bytes/workgroup (compile time only)
; SGPRBlocks: 3
; VGPRBlocks: 31
; NumSGPRsForWavesPerEU: 32
; NumVGPRsForWavesPerEU: 256
; AccumOffset: 256
; Occupancy: 2
; WaveLimiterHint : 0
; COMPUTE_PGM_RSRC2:SCRATCH_EN: 1
; COMPUTE_PGM_RSRC2:USER_SGPR: 2
; COMPUTE_PGM_RSRC2:TRAP_HANDLER: 0
; COMPUTE_PGM_RSRC2:TGID_X_EN: 1
; COMPUTE_PGM_RSRC2:TGID_Y_EN: 1
; COMPUTE_PGM_RSRC2:TGID_Z_EN: 0
; COMPUTE_PGM_RSRC2:TIDIG_COMP_CNT: 1
; COMPUTE_PGM_RSRC3_GFX90A:ACCUM_OFFSET: 63
; COMPUTE_PGM_RSRC3_GFX90A:TG_SPLIT: 0
	.section	.text._ZN9rocsolver6v33100L23getf2_npvt_small_kernelILi58E19rocblas_complex_numIdEiiPS3_EEvT1_T3_lS5_lPT2_S5_S5_,"axG",@progbits,_ZN9rocsolver6v33100L23getf2_npvt_small_kernelILi58E19rocblas_complex_numIdEiiPS3_EEvT1_T3_lS5_lPT2_S5_S5_,comdat
	.globl	_ZN9rocsolver6v33100L23getf2_npvt_small_kernelILi58E19rocblas_complex_numIdEiiPS3_EEvT1_T3_lS5_lPT2_S5_S5_ ; -- Begin function _ZN9rocsolver6v33100L23getf2_npvt_small_kernelILi58E19rocblas_complex_numIdEiiPS3_EEvT1_T3_lS5_lPT2_S5_S5_
	.p2align	8
	.type	_ZN9rocsolver6v33100L23getf2_npvt_small_kernelILi58E19rocblas_complex_numIdEiiPS3_EEvT1_T3_lS5_lPT2_S5_S5_,@function
_ZN9rocsolver6v33100L23getf2_npvt_small_kernelILi58E19rocblas_complex_numIdEiiPS3_EEvT1_T3_lS5_lPT2_S5_S5_: ; @_ZN9rocsolver6v33100L23getf2_npvt_small_kernelILi58E19rocblas_complex_numIdEiiPS3_EEvT1_T3_lS5_lPT2_S5_S5_
; %bb.0:
	s_load_dword s2, s[0:1], 0x44
	s_load_dwordx2 s[8:9], s[0:1], 0x30
	v_bfe_u32 v2, v0, 10, 10
	s_waitcnt lgkmcnt(0)
	s_lshr_b32 s2, s2, 16
	s_mul_i32 s3, s3, s2
	v_add_u32_e32 v4, s3, v2
	v_cmp_gt_i32_e32 vcc, s8, v4
	s_and_saveexec_b64 s[4:5], vcc
	s_cbranch_execnz .LBB115_1
; %bb.526:
	s_getpc_b64 s[16:17]
.Lpost_getpc12:
	s_add_u32 s16, s16, (.LBB115_525-.Lpost_getpc12)&4294967295
	s_addc_u32 s17, s17, (.LBB115_525-.Lpost_getpc12)>>32
	s_setpc_b64 s[16:17]
.LBB115_1:
	s_load_dwordx4 s[12:15], s[0:1], 0x8
	s_load_dword s10, s[0:1], 0x18
	s_load_dwordx4 s[4:7], s[0:1], 0x20
	v_ashrrev_i32_e32 v5, 31, v4
	scratch_store_dwordx2 off, v[4:5], off offset:1344 ; 8-byte Folded Spill
	v_and_b32_e32 v200, 0x3ff, v0
	s_waitcnt lgkmcnt(0)
	v_mov_b32_e32 v0, s12
	v_mul_lo_u32 v3, s5, v4
	v_mul_lo_u32 v6, s4, v5
	v_mad_u64_u32 v[4:5], s[0:1], s4, v4, 0
	v_mov_b32_e32 v1, s13
	v_add3_u32 v5, v5, v6, v3
	v_lshl_add_u64 v[0:1], v[4:5], 4, v[0:1]
	v_lshl_add_u64 v[0:1], s[14:15], 4, v[0:1]
	v_lshlrev_b32_e32 v4, 4, v200
	v_mov_b32_e32 v5, 0
	s_add_i32 s0, s10, s10
	v_lshl_add_u64 v[6:7], v[0:1], 0, v[4:5]
	v_add_u32_e32 v4, s0, v200
	v_ashrrev_i32_e32 v5, 31, v4
	v_lshl_add_u64 v[8:9], v[4:5], 4, v[0:1]
	v_add_u32_e32 v4, s10, v4
	v_ashrrev_i32_e32 v5, 31, v4
	;; [unrolled: 3-line block ×55, first 2 shown]
	v_lshl_add_u64 v[236:237], v[4:5], 4, v[0:1]
	v_add_u32_e32 v4, s10, v4
	s_mulk_i32 s2, 0x3a0
	v_ashrrev_i32_e32 v5, 31, v4
	s_movk_i32 s0, 0x3a0
	s_add_i32 s1, s2, 0
	v_lshl_add_u64 v[238:239], v[4:5], 4, v[0:1]
	v_mad_u32_u24 v202, v2, s0, 0
	v_lshl_add_u32 v201, v2, 4, s1
	global_load_dwordx4 v[2:5], v[6:7], off
	s_ashr_i32 s11, s10, 31
	v_lshl_add_u64 v[0:1], s[10:11], 4, v[6:7]
	scratch_store_dwordx2 off, v[6:7], off offset:128 ; 8-byte Folded Spill
	v_cmp_ne_u32_e64 s[2:3], 0, v200
	v_cmp_eq_u32_e64 s[0:1], 0, v200
	s_waitcnt vmcnt(1)
	scratch_store_dwordx4 off, v[2:5], off offset:112 ; 16-byte Folded Spill
	scratch_store_dwordx2 off, v[0:1], off offset:584 ; 8-byte Folded Spill
	global_load_dwordx4 v[0:3], v[0:1], off
	s_waitcnt vmcnt(0)
	scratch_store_dwordx4 off, v[0:3], off offset:96 ; 16-byte Folded Spill
	scratch_store_dwordx2 off, v[8:9], off offset:136 ; 8-byte Folded Spill
	global_load_dwordx4 v[0:3], v[8:9], off
	;; [unrolled: 4-line block ×7, first 2 shown]
	s_nop 0
	global_load_dwordx4 v[4:7], v[20:21], off
	s_nop 0
	scratch_store_dwordx2 off, v[20:21], off offset:184 ; 8-byte Folded Spill
	s_waitcnt vmcnt(1)
	scratch_store_dwordx4 off, v[4:7], off  ; 16-byte Folded Spill
	scratch_store_dwordx2 off, v[22:23], off offset:192 ; 8-byte Folded Spill
	global_load_dwordx4 v[108:111], v[62:63], off
	global_load_dwordx4 v[104:107], v[64:65], off
	;; [unrolled: 1-line block ×33, first 2 shown]
	s_nop 0
	scratch_store_dwordx2 off, v[64:65], off offset:360 ; 8-byte Folded Spill
	scratch_store_dwordx2 off, v[66:67], off offset:368 ; 8-byte Folded Spill
	;; [unrolled: 1-line block ×8, first 2 shown]
	global_load_dwordx4 v[76:79], v[78:79], off
	s_nop 0
	global_load_dwordx4 v[72:75], v[196:197], off
	global_load_dwordx4 v[68:71], v[198:199], off
	;; [unrolled: 1-line block ×3, first 2 shown]
	s_nop 0
	scratch_store_dwordx2 off, v[196:197], off offset:424 ; 8-byte Folded Spill
	scratch_store_dwordx2 off, v[198:199], off offset:432 ; 8-byte Folded Spill
	v_mov_b64_e32 v[198:199], v[2:3]
	scratch_store_dwordx2 off, v[24:25], off offset:200 ; 8-byte Folded Spill
	scratch_store_dwordx2 off, v[26:27], off offset:208 ; 8-byte Folded Spill
	;; [unrolled: 1-line block ×20, first 2 shown]
	v_mov_b64_e32 v[196:197], v[0:1]
	global_load_dwordx4 v[60:63], v[206:207], off
	global_load_dwordx4 v[56:59], v[208:209], off
	;; [unrolled: 1-line block ×11, first 2 shown]
	s_nop 0
	scratch_store_dwordx2 off, v[228:229], off offset:536 ; 8-byte Folded Spill
	scratch_store_dwordx2 off, v[230:231], off offset:544 ; 8-byte Folded Spill
	global_load_dwordx4 v[228:231], v[238:239], off
	s_nop 0
	scratch_store_dwordx2 off, v[204:205], off offset:440 ; 8-byte Folded Spill
	scratch_store_dwordx2 off, v[206:207], off offset:448 ; 8-byte Folded Spill
	;; [unrolled: 1-line block ×16, first 2 shown]
	s_and_saveexec_b64 s[10:11], s[0:1]
	s_cbranch_execz .LBB115_8
; %bb.2:
	scratch_load_dwordx4 v[192:195], off, off offset:112 ; 16-byte Folded Reload
	s_waitcnt vmcnt(0)
	ds_write2_b64 v201, v[192:193], v[194:195] offset1:1
	scratch_load_dwordx4 v[192:195], off, off offset:96 ; 16-byte Folded Reload
	s_waitcnt vmcnt(0)
	ds_write2_b64 v202, v[192:193], v[194:195] offset0:2 offset1:3
	scratch_load_dwordx4 v[192:195], off, off offset:80 ; 16-byte Folded Reload
	s_waitcnt vmcnt(0)
	ds_write2_b64 v202, v[192:193], v[194:195] offset0:4 offset1:5
	;; [unrolled: 3-line block ×6, first 2 shown]
	ds_write2_b64 v202, v[196:197], v[198:199] offset0:14 offset1:15
	scratch_load_dwordx4 v[192:195], off, off ; 16-byte Folded Reload
	s_waitcnt vmcnt(0)
	ds_write2_b64 v202, v[192:193], v[194:195] offset0:16 offset1:17
	ds_write2_b64 v202, v[188:189], v[190:191] offset0:18 offset1:19
	;; [unrolled: 1-line block ×50, first 2 shown]
	ds_read2_b64 v[208:211], v201 offset1:1
	s_waitcnt lgkmcnt(0)
	v_cmp_neq_f64_e32 vcc, 0, v[208:209]
	v_cmp_neq_f64_e64 s[4:5], 0, v[210:211]
	s_or_b64 s[4:5], vcc, s[4:5]
	s_and_b64 exec, exec, s[4:5]
	s_cbranch_execz .LBB115_8
; %bb.3:
	v_cmp_ngt_f64_e64 s[4:5], |v[208:209]|, |v[210:211]|
                                        ; implicit-def: $vgpr204_vgpr205
	s_and_saveexec_b64 s[12:13], s[4:5]
	s_xor_b64 s[4:5], exec, s[12:13]
                                        ; implicit-def: $vgpr206_vgpr207
	s_cbranch_execz .LBB115_5
; %bb.4:
	v_div_scale_f64 v[204:205], s[12:13], v[210:211], v[210:211], v[208:209]
	v_rcp_f64_e32 v[206:207], v[204:205]
	v_div_scale_f64 v[212:213], vcc, v[208:209], v[210:211], v[208:209]
	v_fma_f64 v[214:215], -v[204:205], v[206:207], 1.0
	v_fmac_f64_e32 v[206:207], v[206:207], v[214:215]
	v_fma_f64 v[214:215], -v[204:205], v[206:207], 1.0
	v_fmac_f64_e32 v[206:207], v[206:207], v[214:215]
	v_mul_f64 v[214:215], v[212:213], v[206:207]
	v_fma_f64 v[204:205], -v[204:205], v[214:215], v[212:213]
	v_div_fmas_f64 v[204:205], v[204:205], v[206:207], v[214:215]
	v_div_fixup_f64 v[204:205], v[204:205], v[210:211], v[208:209]
	v_fmac_f64_e32 v[210:211], v[208:209], v[204:205]
	v_div_scale_f64 v[206:207], s[12:13], v[210:211], v[210:211], 1.0
	v_rcp_f64_e32 v[208:209], v[206:207]
	s_nop 0
	v_fma_f64 v[212:213], -v[206:207], v[208:209], 1.0
	v_fmac_f64_e32 v[208:209], v[208:209], v[212:213]
	v_fma_f64 v[212:213], -v[206:207], v[208:209], 1.0
	v_fmac_f64_e32 v[208:209], v[208:209], v[212:213]
	v_div_scale_f64 v[212:213], vcc, 1.0, v[210:211], 1.0
	v_mul_f64 v[214:215], v[212:213], v[208:209]
	v_fma_f64 v[206:207], -v[206:207], v[214:215], v[212:213]
	s_nop 1
	v_div_fmas_f64 v[206:207], v[206:207], v[208:209], v[214:215]
	v_div_fixup_f64 v[206:207], v[206:207], v[210:211], 1.0
	v_mul_f64 v[204:205], v[204:205], v[206:207]
	v_xor_b32_e32 v207, 0x80000000, v207
                                        ; implicit-def: $vgpr208_vgpr209
.LBB115_5:
	s_andn2_saveexec_b64 s[4:5], s[4:5]
	s_cbranch_execz .LBB115_7
; %bb.6:
	v_div_scale_f64 v[204:205], s[12:13], v[208:209], v[208:209], v[210:211]
	v_rcp_f64_e32 v[206:207], v[204:205]
	v_div_scale_f64 v[212:213], vcc, v[210:211], v[208:209], v[210:211]
	v_fma_f64 v[214:215], -v[204:205], v[206:207], 1.0
	v_fmac_f64_e32 v[206:207], v[206:207], v[214:215]
	v_fma_f64 v[214:215], -v[204:205], v[206:207], 1.0
	v_fmac_f64_e32 v[206:207], v[206:207], v[214:215]
	v_mul_f64 v[214:215], v[212:213], v[206:207]
	v_fma_f64 v[204:205], -v[204:205], v[214:215], v[212:213]
	v_div_fmas_f64 v[204:205], v[204:205], v[206:207], v[214:215]
	v_div_fixup_f64 v[206:207], v[204:205], v[208:209], v[210:211]
	v_fmac_f64_e32 v[208:209], v[210:211], v[206:207]
	v_div_scale_f64 v[204:205], s[12:13], v[208:209], v[208:209], 1.0
	v_rcp_f64_e32 v[210:211], v[204:205]
	s_nop 0
	v_fma_f64 v[212:213], -v[204:205], v[210:211], 1.0
	v_fmac_f64_e32 v[210:211], v[210:211], v[212:213]
	v_fma_f64 v[212:213], -v[204:205], v[210:211], 1.0
	v_fmac_f64_e32 v[210:211], v[210:211], v[212:213]
	v_div_scale_f64 v[212:213], vcc, 1.0, v[208:209], 1.0
	v_mul_f64 v[214:215], v[212:213], v[210:211]
	v_fma_f64 v[204:205], -v[204:205], v[214:215], v[212:213]
	s_nop 1
	v_div_fmas_f64 v[204:205], v[204:205], v[210:211], v[214:215]
	v_div_fixup_f64 v[204:205], v[204:205], v[208:209], 1.0
	v_mul_f64 v[206:207], v[206:207], -v[204:205]
.LBB115_7:
	s_or_b64 exec, exec, s[4:5]
	ds_write2_b64 v201, v[204:205], v[206:207] offset1:1
.LBB115_8:
	s_or_b64 exec, exec, s[10:11]
	s_waitcnt lgkmcnt(0)
	s_barrier
	ds_read2_b64 v[192:195], v201 offset1:1
	s_waitcnt lgkmcnt(0)
	scratch_store_dwordx4 off, v[192:195], off offset:592 ; 16-byte Folded Spill
	s_and_saveexec_b64 s[4:5], s[2:3]
	s_cbranch_execz .LBB115_10
; %bb.9:
	scratch_load_dwordx4 v[210:213], off, off offset:112 ; 16-byte Folded Reload
	scratch_load_dwordx4 v[192:195], off, off offset:592 ; 16-byte Folded Reload
	s_waitcnt vmcnt(0)
	v_mul_f64 v[204:205], v[194:195], v[212:213]
	v_mul_f64 v[212:213], v[192:193], v[212:213]
	v_fma_f64 v[208:209], v[192:193], v[210:211], -v[204:205]
	v_fmac_f64_e32 v[212:213], v[194:195], v[210:211]
	scratch_load_dwordx4 v[192:195], off, off offset:96 ; 16-byte Folded Reload
	ds_read2_b64 v[204:207], v202 offset0:2 offset1:3
	s_waitcnt lgkmcnt(0)
	v_mul_f64 v[210:211], v[206:207], v[212:213]
	v_fma_f64 v[210:211], v[204:205], v[208:209], -v[210:211]
	v_mul_f64 v[204:205], v[204:205], v[212:213]
	v_fmac_f64_e32 v[204:205], v[206:207], v[208:209]
	s_waitcnt vmcnt(0)
	v_add_f64 v[192:193], v[192:193], -v[210:211]
	v_add_f64 v[194:195], v[194:195], -v[204:205]
	scratch_store_dwordx4 off, v[192:195], off offset:96 ; 16-byte Folded Spill
	scratch_load_dwordx4 v[192:195], off, off offset:80 ; 16-byte Folded Reload
	ds_read2_b64 v[204:207], v202 offset0:4 offset1:5
	s_waitcnt lgkmcnt(0)
	v_mul_f64 v[210:211], v[206:207], v[212:213]
	v_fma_f64 v[210:211], v[204:205], v[208:209], -v[210:211]
	v_mul_f64 v[204:205], v[204:205], v[212:213]
	v_fmac_f64_e32 v[204:205], v[206:207], v[208:209]
	s_waitcnt vmcnt(0)
	v_add_f64 v[192:193], v[192:193], -v[210:211]
	v_add_f64 v[194:195], v[194:195], -v[204:205]
	scratch_store_dwordx4 off, v[192:195], off offset:80 ; 16-byte Folded Spill
	scratch_load_dwordx4 v[192:195], off, off offset:64 ; 16-byte Folded Reload
	ds_read2_b64 v[204:207], v202 offset0:6 offset1:7
	s_waitcnt lgkmcnt(0)
	v_mul_f64 v[210:211], v[206:207], v[212:213]
	v_fma_f64 v[210:211], v[204:205], v[208:209], -v[210:211]
	v_mul_f64 v[204:205], v[204:205], v[212:213]
	v_fmac_f64_e32 v[204:205], v[206:207], v[208:209]
	s_waitcnt vmcnt(0)
	v_add_f64 v[192:193], v[192:193], -v[210:211]
	v_add_f64 v[194:195], v[194:195], -v[204:205]
	scratch_store_dwordx4 off, v[192:195], off offset:64 ; 16-byte Folded Spill
	scratch_load_dwordx4 v[192:195], off, off offset:48 ; 16-byte Folded Reload
	ds_read2_b64 v[204:207], v202 offset0:8 offset1:9
	s_waitcnt lgkmcnt(0)
	v_mul_f64 v[210:211], v[206:207], v[212:213]
	v_fma_f64 v[210:211], v[204:205], v[208:209], -v[210:211]
	v_mul_f64 v[204:205], v[204:205], v[212:213]
	v_fmac_f64_e32 v[204:205], v[206:207], v[208:209]
	s_waitcnt vmcnt(0)
	v_add_f64 v[192:193], v[192:193], -v[210:211]
	v_add_f64 v[194:195], v[194:195], -v[204:205]
	scratch_store_dwordx4 off, v[192:195], off offset:48 ; 16-byte Folded Spill
	scratch_load_dwordx4 v[192:195], off, off offset:32 ; 16-byte Folded Reload
	ds_read2_b64 v[204:207], v202 offset0:10 offset1:11
	s_waitcnt lgkmcnt(0)
	v_mul_f64 v[210:211], v[206:207], v[212:213]
	v_fma_f64 v[210:211], v[204:205], v[208:209], -v[210:211]
	v_mul_f64 v[204:205], v[204:205], v[212:213]
	v_fmac_f64_e32 v[204:205], v[206:207], v[208:209]
	s_waitcnt vmcnt(0)
	v_add_f64 v[192:193], v[192:193], -v[210:211]
	v_add_f64 v[194:195], v[194:195], -v[204:205]
	scratch_store_dwordx4 off, v[192:195], off offset:32 ; 16-byte Folded Spill
	scratch_load_dwordx4 v[192:195], off, off offset:16 ; 16-byte Folded Reload
	ds_read2_b64 v[204:207], v202 offset0:12 offset1:13
	s_waitcnt lgkmcnt(0)
	v_mul_f64 v[210:211], v[206:207], v[212:213]
	v_fma_f64 v[210:211], v[204:205], v[208:209], -v[210:211]
	v_mul_f64 v[204:205], v[204:205], v[212:213]
	v_fmac_f64_e32 v[204:205], v[206:207], v[208:209]
	s_waitcnt vmcnt(0)
	v_add_f64 v[192:193], v[192:193], -v[210:211]
	v_add_f64 v[194:195], v[194:195], -v[204:205]
	scratch_store_dwordx4 off, v[192:195], off offset:16 ; 16-byte Folded Spill
	scratch_load_dwordx4 v[192:195], off, off ; 16-byte Folded Reload
	ds_read2_b64 v[204:207], v202 offset0:14 offset1:15
	s_waitcnt lgkmcnt(0)
	v_mul_f64 v[210:211], v[206:207], v[212:213]
	v_fma_f64 v[210:211], v[204:205], v[208:209], -v[210:211]
	v_mul_f64 v[204:205], v[204:205], v[212:213]
	v_fmac_f64_e32 v[204:205], v[206:207], v[208:209]
	v_add_f64 v[198:199], v[198:199], -v[204:205]
	ds_read2_b64 v[204:207], v202 offset0:16 offset1:17
	v_add_f64 v[196:197], v[196:197], -v[210:211]
	s_waitcnt lgkmcnt(0)
	v_mul_f64 v[210:211], v[206:207], v[212:213]
	v_fma_f64 v[210:211], v[204:205], v[208:209], -v[210:211]
	v_mul_f64 v[204:205], v[204:205], v[212:213]
	v_fmac_f64_e32 v[204:205], v[206:207], v[208:209]
	s_waitcnt vmcnt(0)
	v_add_f64 v[194:195], v[194:195], -v[204:205]
	ds_read2_b64 v[204:207], v202 offset0:18 offset1:19
	v_add_f64 v[192:193], v[192:193], -v[210:211]
	scratch_store_dwordx4 off, v[192:195], off ; 16-byte Folded Spill
	s_waitcnt lgkmcnt(0)
	v_mul_f64 v[210:211], v[206:207], v[212:213]
	v_fma_f64 v[210:211], v[204:205], v[208:209], -v[210:211]
	v_mul_f64 v[204:205], v[204:205], v[212:213]
	v_fmac_f64_e32 v[204:205], v[206:207], v[208:209]
	v_add_f64 v[190:191], v[190:191], -v[204:205]
	ds_read2_b64 v[204:207], v202 offset0:20 offset1:21
	v_add_f64 v[188:189], v[188:189], -v[210:211]
	s_waitcnt lgkmcnt(0)
	v_mul_f64 v[210:211], v[206:207], v[212:213]
	v_fma_f64 v[210:211], v[204:205], v[208:209], -v[210:211]
	v_mul_f64 v[204:205], v[204:205], v[212:213]
	v_fmac_f64_e32 v[204:205], v[206:207], v[208:209]
	v_add_f64 v[186:187], v[186:187], -v[204:205]
	ds_read2_b64 v[204:207], v202 offset0:22 offset1:23
	v_add_f64 v[184:185], v[184:185], -v[210:211]
	;; [unrolled: 8-line block ×48, first 2 shown]
	s_waitcnt lgkmcnt(0)
	v_mul_f64 v[210:211], v[206:207], v[212:213]
	v_fma_f64 v[210:211], v[204:205], v[208:209], -v[210:211]
	v_mul_f64 v[204:205], v[204:205], v[212:213]
	v_fmac_f64_e32 v[204:205], v[206:207], v[208:209]
	v_add_f64 v[228:229], v[228:229], -v[210:211]
	v_add_f64 v[230:231], v[230:231], -v[204:205]
	v_mov_b64_e32 v[210:211], v[208:209]
	scratch_store_dwordx4 off, v[210:213], off offset:112 ; 16-byte Folded Spill
.LBB115_10:
	s_or_b64 exec, exec, s[4:5]
	v_cmp_eq_u32_e32 vcc, 1, v200
	s_waitcnt vmcnt(63) expcnt(7) lgkmcnt(15)
	s_barrier
	s_and_saveexec_b64 s[4:5], vcc
	s_cbranch_execz .LBB115_17
; %bb.11:
	scratch_load_dwordx4 v[192:195], off, off offset:96 ; 16-byte Folded Reload
	s_waitcnt vmcnt(0)
	ds_write2_b64 v201, v[192:193], v[194:195] offset1:1
	scratch_load_dwordx4 v[192:195], off, off offset:80 ; 16-byte Folded Reload
	s_waitcnt vmcnt(0)
	ds_write2_b64 v202, v[192:193], v[194:195] offset0:4 offset1:5
	scratch_load_dwordx4 v[192:195], off, off offset:64 ; 16-byte Folded Reload
	s_waitcnt vmcnt(0)
	ds_write2_b64 v202, v[192:193], v[194:195] offset0:6 offset1:7
	;; [unrolled: 3-line block ×5, first 2 shown]
	ds_write2_b64 v202, v[196:197], v[198:199] offset0:14 offset1:15
	scratch_load_dwordx4 v[192:195], off, off ; 16-byte Folded Reload
	s_waitcnt vmcnt(0)
	ds_write2_b64 v202, v[192:193], v[194:195] offset0:16 offset1:17
	ds_write2_b64 v202, v[188:189], v[190:191] offset0:18 offset1:19
	ds_write2_b64 v202, v[184:185], v[186:187] offset0:20 offset1:21
	ds_write2_b64 v202, v[180:181], v[182:183] offset0:22 offset1:23
	ds_write2_b64 v202, v[176:177], v[178:179] offset0:24 offset1:25
	ds_write2_b64 v202, v[172:173], v[174:175] offset0:26 offset1:27
	ds_write2_b64 v202, v[168:169], v[170:171] offset0:28 offset1:29
	ds_write2_b64 v202, v[164:165], v[166:167] offset0:30 offset1:31
	ds_write2_b64 v202, v[160:161], v[162:163] offset0:32 offset1:33
	ds_write2_b64 v202, v[156:157], v[158:159] offset0:34 offset1:35
	ds_write2_b64 v202, v[152:153], v[154:155] offset0:36 offset1:37
	ds_write2_b64 v202, v[148:149], v[150:151] offset0:38 offset1:39
	ds_write2_b64 v202, v[144:145], v[146:147] offset0:40 offset1:41
	ds_write2_b64 v202, v[140:141], v[142:143] offset0:42 offset1:43
	ds_write2_b64 v202, v[136:137], v[138:139] offset0:44 offset1:45
	ds_write2_b64 v202, v[132:133], v[134:135] offset0:46 offset1:47
	ds_write2_b64 v202, v[128:129], v[130:131] offset0:48 offset1:49
	ds_write2_b64 v202, v[124:125], v[126:127] offset0:50 offset1:51
	ds_write2_b64 v202, v[120:121], v[122:123] offset0:52 offset1:53
	ds_write2_b64 v202, v[116:117], v[118:119] offset0:54 offset1:55
	ds_write2_b64 v202, v[112:113], v[114:115] offset0:56 offset1:57
	ds_write2_b64 v202, v[108:109], v[110:111] offset0:58 offset1:59
	ds_write2_b64 v202, v[104:105], v[106:107] offset0:60 offset1:61
	ds_write2_b64 v202, v[100:101], v[102:103] offset0:62 offset1:63
	ds_write2_b64 v202, v[96:97], v[98:99] offset0:64 offset1:65
	ds_write2_b64 v202, v[92:93], v[94:95] offset0:66 offset1:67
	ds_write2_b64 v202, v[88:89], v[90:91] offset0:68 offset1:69
	ds_write2_b64 v202, v[84:85], v[86:87] offset0:70 offset1:71
	ds_write2_b64 v202, v[80:81], v[82:83] offset0:72 offset1:73
	ds_write2_b64 v202, v[76:77], v[78:79] offset0:74 offset1:75
	ds_write2_b64 v202, v[72:73], v[74:75] offset0:76 offset1:77
	ds_write2_b64 v202, v[68:69], v[70:71] offset0:78 offset1:79
	ds_write2_b64 v202, v[64:65], v[66:67] offset0:80 offset1:81
	ds_write2_b64 v202, v[60:61], v[62:63] offset0:82 offset1:83
	ds_write2_b64 v202, v[56:57], v[58:59] offset0:84 offset1:85
	ds_write2_b64 v202, v[52:53], v[54:55] offset0:86 offset1:87
	ds_write2_b64 v202, v[48:49], v[50:51] offset0:88 offset1:89
	ds_write2_b64 v202, v[44:45], v[46:47] offset0:90 offset1:91
	ds_write2_b64 v202, v[40:41], v[42:43] offset0:92 offset1:93
	ds_write2_b64 v202, v[36:37], v[38:39] offset0:94 offset1:95
	ds_write2_b64 v202, v[32:33], v[34:35] offset0:96 offset1:97
	ds_write2_b64 v202, v[28:29], v[30:31] offset0:98 offset1:99
	ds_write2_b64 v202, v[24:25], v[26:27] offset0:100 offset1:101
	ds_write2_b64 v202, v[20:21], v[22:23] offset0:102 offset1:103
	ds_write2_b64 v202, v[16:17], v[18:19] offset0:104 offset1:105
	ds_write2_b64 v202, v[12:13], v[14:15] offset0:106 offset1:107
	ds_write2_b64 v202, v[8:9], v[10:11] offset0:108 offset1:109
	ds_write2_b64 v202, v[4:5], v[6:7] offset0:110 offset1:111
	ds_write2_b64 v202, v[0:1], v[2:3] offset0:112 offset1:113
	ds_write2_b64 v202, v[228:229], v[230:231] offset0:114 offset1:115
	ds_read2_b64 v[208:211], v201 offset1:1
	s_waitcnt lgkmcnt(0)
	v_cmp_neq_f64_e32 vcc, 0, v[208:209]
	v_cmp_neq_f64_e64 s[2:3], 0, v[210:211]
	s_or_b64 s[2:3], vcc, s[2:3]
	s_and_b64 exec, exec, s[2:3]
	s_cbranch_execz .LBB115_17
; %bb.12:
	v_cmp_ngt_f64_e64 s[2:3], |v[208:209]|, |v[210:211]|
                                        ; implicit-def: $vgpr204_vgpr205
	s_and_saveexec_b64 s[10:11], s[2:3]
	s_xor_b64 s[2:3], exec, s[10:11]
                                        ; implicit-def: $vgpr206_vgpr207
	s_cbranch_execz .LBB115_14
; %bb.13:
	v_div_scale_f64 v[204:205], s[10:11], v[210:211], v[210:211], v[208:209]
	v_rcp_f64_e32 v[206:207], v[204:205]
	v_div_scale_f64 v[212:213], vcc, v[208:209], v[210:211], v[208:209]
	v_fma_f64 v[214:215], -v[204:205], v[206:207], 1.0
	v_fmac_f64_e32 v[206:207], v[206:207], v[214:215]
	v_fma_f64 v[214:215], -v[204:205], v[206:207], 1.0
	v_fmac_f64_e32 v[206:207], v[206:207], v[214:215]
	v_mul_f64 v[214:215], v[212:213], v[206:207]
	v_fma_f64 v[204:205], -v[204:205], v[214:215], v[212:213]
	v_div_fmas_f64 v[204:205], v[204:205], v[206:207], v[214:215]
	v_div_fixup_f64 v[204:205], v[204:205], v[210:211], v[208:209]
	v_fmac_f64_e32 v[210:211], v[208:209], v[204:205]
	v_div_scale_f64 v[206:207], s[10:11], v[210:211], v[210:211], 1.0
	v_rcp_f64_e32 v[208:209], v[206:207]
	s_nop 0
	v_fma_f64 v[212:213], -v[206:207], v[208:209], 1.0
	v_fmac_f64_e32 v[208:209], v[208:209], v[212:213]
	v_fma_f64 v[212:213], -v[206:207], v[208:209], 1.0
	v_fmac_f64_e32 v[208:209], v[208:209], v[212:213]
	v_div_scale_f64 v[212:213], vcc, 1.0, v[210:211], 1.0
	v_mul_f64 v[214:215], v[212:213], v[208:209]
	v_fma_f64 v[206:207], -v[206:207], v[214:215], v[212:213]
	s_nop 1
	v_div_fmas_f64 v[206:207], v[206:207], v[208:209], v[214:215]
	v_div_fixup_f64 v[206:207], v[206:207], v[210:211], 1.0
	v_mul_f64 v[204:205], v[204:205], v[206:207]
	v_xor_b32_e32 v207, 0x80000000, v207
                                        ; implicit-def: $vgpr208_vgpr209
.LBB115_14:
	s_andn2_saveexec_b64 s[2:3], s[2:3]
	s_cbranch_execz .LBB115_16
; %bb.15:
	v_div_scale_f64 v[204:205], s[10:11], v[208:209], v[208:209], v[210:211]
	v_rcp_f64_e32 v[206:207], v[204:205]
	v_div_scale_f64 v[212:213], vcc, v[210:211], v[208:209], v[210:211]
	v_fma_f64 v[214:215], -v[204:205], v[206:207], 1.0
	v_fmac_f64_e32 v[206:207], v[206:207], v[214:215]
	v_fma_f64 v[214:215], -v[204:205], v[206:207], 1.0
	v_fmac_f64_e32 v[206:207], v[206:207], v[214:215]
	v_mul_f64 v[214:215], v[212:213], v[206:207]
	v_fma_f64 v[204:205], -v[204:205], v[214:215], v[212:213]
	v_div_fmas_f64 v[204:205], v[204:205], v[206:207], v[214:215]
	v_div_fixup_f64 v[206:207], v[204:205], v[208:209], v[210:211]
	v_fmac_f64_e32 v[208:209], v[210:211], v[206:207]
	v_div_scale_f64 v[204:205], s[10:11], v[208:209], v[208:209], 1.0
	v_rcp_f64_e32 v[210:211], v[204:205]
	s_nop 0
	v_fma_f64 v[212:213], -v[204:205], v[210:211], 1.0
	v_fmac_f64_e32 v[210:211], v[210:211], v[212:213]
	v_fma_f64 v[212:213], -v[204:205], v[210:211], 1.0
	v_fmac_f64_e32 v[210:211], v[210:211], v[212:213]
	v_div_scale_f64 v[212:213], vcc, 1.0, v[208:209], 1.0
	v_mul_f64 v[214:215], v[212:213], v[210:211]
	v_fma_f64 v[204:205], -v[204:205], v[214:215], v[212:213]
	s_nop 1
	v_div_fmas_f64 v[204:205], v[204:205], v[210:211], v[214:215]
	v_div_fixup_f64 v[204:205], v[204:205], v[208:209], 1.0
	v_mul_f64 v[206:207], v[206:207], -v[204:205]
.LBB115_16:
	s_or_b64 exec, exec, s[2:3]
	ds_write2_b64 v201, v[204:205], v[206:207] offset1:1
.LBB115_17:
	s_or_b64 exec, exec, s[4:5]
	s_waitcnt lgkmcnt(0)
	s_barrier
	ds_read2_b64 v[192:195], v201 offset1:1
	v_cmp_lt_u32_e32 vcc, 1, v200
	s_waitcnt lgkmcnt(0)
	scratch_store_dwordx4 off, v[192:195], off offset:608 ; 16-byte Folded Spill
	s_and_saveexec_b64 s[2:3], vcc
	s_cbranch_execz .LBB115_19
; %bb.18:
	scratch_load_dwordx4 v[210:213], off, off offset:96 ; 16-byte Folded Reload
	scratch_load_dwordx4 v[192:195], off, off offset:608 ; 16-byte Folded Reload
	s_waitcnt vmcnt(0)
	v_mul_f64 v[204:205], v[194:195], v[212:213]
	v_mul_f64 v[212:213], v[192:193], v[212:213]
	v_fma_f64 v[208:209], v[192:193], v[210:211], -v[204:205]
	v_fmac_f64_e32 v[212:213], v[194:195], v[210:211]
	scratch_load_dwordx4 v[192:195], off, off offset:80 ; 16-byte Folded Reload
	ds_read2_b64 v[204:207], v202 offset0:4 offset1:5
	s_waitcnt lgkmcnt(0)
	v_mul_f64 v[210:211], v[206:207], v[212:213]
	v_fma_f64 v[210:211], v[204:205], v[208:209], -v[210:211]
	v_mul_f64 v[204:205], v[204:205], v[212:213]
	v_fmac_f64_e32 v[204:205], v[206:207], v[208:209]
	s_waitcnt vmcnt(0)
	v_add_f64 v[192:193], v[192:193], -v[210:211]
	v_add_f64 v[194:195], v[194:195], -v[204:205]
	scratch_store_dwordx4 off, v[192:195], off offset:80 ; 16-byte Folded Spill
	scratch_load_dwordx4 v[192:195], off, off offset:64 ; 16-byte Folded Reload
	ds_read2_b64 v[204:207], v202 offset0:6 offset1:7
	s_waitcnt lgkmcnt(0)
	v_mul_f64 v[210:211], v[206:207], v[212:213]
	v_fma_f64 v[210:211], v[204:205], v[208:209], -v[210:211]
	v_mul_f64 v[204:205], v[204:205], v[212:213]
	v_fmac_f64_e32 v[204:205], v[206:207], v[208:209]
	s_waitcnt vmcnt(0)
	v_add_f64 v[192:193], v[192:193], -v[210:211]
	v_add_f64 v[194:195], v[194:195], -v[204:205]
	scratch_store_dwordx4 off, v[192:195], off offset:64 ; 16-byte Folded Spill
	;; [unrolled: 11-line block ×5, first 2 shown]
	scratch_load_dwordx4 v[192:195], off, off ; 16-byte Folded Reload
	ds_read2_b64 v[204:207], v202 offset0:14 offset1:15
	s_waitcnt lgkmcnt(0)
	v_mul_f64 v[210:211], v[206:207], v[212:213]
	v_fma_f64 v[210:211], v[204:205], v[208:209], -v[210:211]
	v_mul_f64 v[204:205], v[204:205], v[212:213]
	v_fmac_f64_e32 v[204:205], v[206:207], v[208:209]
	v_add_f64 v[198:199], v[198:199], -v[204:205]
	ds_read2_b64 v[204:207], v202 offset0:16 offset1:17
	v_add_f64 v[196:197], v[196:197], -v[210:211]
	s_waitcnt lgkmcnt(0)
	v_mul_f64 v[210:211], v[206:207], v[212:213]
	v_fma_f64 v[210:211], v[204:205], v[208:209], -v[210:211]
	v_mul_f64 v[204:205], v[204:205], v[212:213]
	v_fmac_f64_e32 v[204:205], v[206:207], v[208:209]
	s_waitcnt vmcnt(0)
	v_add_f64 v[194:195], v[194:195], -v[204:205]
	ds_read2_b64 v[204:207], v202 offset0:18 offset1:19
	v_add_f64 v[192:193], v[192:193], -v[210:211]
	scratch_store_dwordx4 off, v[192:195], off ; 16-byte Folded Spill
	s_waitcnt lgkmcnt(0)
	v_mul_f64 v[210:211], v[206:207], v[212:213]
	v_fma_f64 v[210:211], v[204:205], v[208:209], -v[210:211]
	v_mul_f64 v[204:205], v[204:205], v[212:213]
	v_fmac_f64_e32 v[204:205], v[206:207], v[208:209]
	v_add_f64 v[190:191], v[190:191], -v[204:205]
	ds_read2_b64 v[204:207], v202 offset0:20 offset1:21
	v_add_f64 v[188:189], v[188:189], -v[210:211]
	s_waitcnt lgkmcnt(0)
	v_mul_f64 v[210:211], v[206:207], v[212:213]
	v_fma_f64 v[210:211], v[204:205], v[208:209], -v[210:211]
	v_mul_f64 v[204:205], v[204:205], v[212:213]
	v_fmac_f64_e32 v[204:205], v[206:207], v[208:209]
	v_add_f64 v[186:187], v[186:187], -v[204:205]
	ds_read2_b64 v[204:207], v202 offset0:22 offset1:23
	v_add_f64 v[184:185], v[184:185], -v[210:211]
	;; [unrolled: 8-line block ×48, first 2 shown]
	s_waitcnt lgkmcnt(0)
	v_mul_f64 v[210:211], v[206:207], v[212:213]
	v_fma_f64 v[210:211], v[204:205], v[208:209], -v[210:211]
	v_mul_f64 v[204:205], v[204:205], v[212:213]
	v_fmac_f64_e32 v[204:205], v[206:207], v[208:209]
	v_add_f64 v[228:229], v[228:229], -v[210:211]
	v_add_f64 v[230:231], v[230:231], -v[204:205]
	v_mov_b64_e32 v[210:211], v[208:209]
	scratch_store_dwordx4 off, v[210:213], off offset:96 ; 16-byte Folded Spill
.LBB115_19:
	s_or_b64 exec, exec, s[2:3]
	v_cmp_eq_u32_e32 vcc, 2, v200
	s_waitcnt vmcnt(63) expcnt(7) lgkmcnt(15)
	s_barrier
	s_and_saveexec_b64 s[4:5], vcc
	s_cbranch_execz .LBB115_26
; %bb.20:
	scratch_load_dwordx4 v[192:195], off, off offset:80 ; 16-byte Folded Reload
	s_waitcnt vmcnt(0)
	ds_write2_b64 v201, v[192:193], v[194:195] offset1:1
	scratch_load_dwordx4 v[192:195], off, off offset:64 ; 16-byte Folded Reload
	s_waitcnt vmcnt(0)
	ds_write2_b64 v202, v[192:193], v[194:195] offset0:6 offset1:7
	scratch_load_dwordx4 v[192:195], off, off offset:48 ; 16-byte Folded Reload
	s_waitcnt vmcnt(0)
	ds_write2_b64 v202, v[192:193], v[194:195] offset0:8 offset1:9
	;; [unrolled: 3-line block ×4, first 2 shown]
	ds_write2_b64 v202, v[196:197], v[198:199] offset0:14 offset1:15
	scratch_load_dwordx4 v[192:195], off, off ; 16-byte Folded Reload
	s_waitcnt vmcnt(0)
	ds_write2_b64 v202, v[192:193], v[194:195] offset0:16 offset1:17
	ds_write2_b64 v202, v[188:189], v[190:191] offset0:18 offset1:19
	;; [unrolled: 1-line block ×50, first 2 shown]
	ds_read2_b64 v[208:211], v201 offset1:1
	s_waitcnt lgkmcnt(0)
	v_cmp_neq_f64_e32 vcc, 0, v[208:209]
	v_cmp_neq_f64_e64 s[2:3], 0, v[210:211]
	s_or_b64 s[2:3], vcc, s[2:3]
	s_and_b64 exec, exec, s[2:3]
	s_cbranch_execz .LBB115_26
; %bb.21:
	v_cmp_ngt_f64_e64 s[2:3], |v[208:209]|, |v[210:211]|
                                        ; implicit-def: $vgpr204_vgpr205
	s_and_saveexec_b64 s[10:11], s[2:3]
	s_xor_b64 s[2:3], exec, s[10:11]
                                        ; implicit-def: $vgpr206_vgpr207
	s_cbranch_execz .LBB115_23
; %bb.22:
	v_div_scale_f64 v[204:205], s[10:11], v[210:211], v[210:211], v[208:209]
	v_rcp_f64_e32 v[206:207], v[204:205]
	v_div_scale_f64 v[212:213], vcc, v[208:209], v[210:211], v[208:209]
	v_fma_f64 v[214:215], -v[204:205], v[206:207], 1.0
	v_fmac_f64_e32 v[206:207], v[206:207], v[214:215]
	v_fma_f64 v[214:215], -v[204:205], v[206:207], 1.0
	v_fmac_f64_e32 v[206:207], v[206:207], v[214:215]
	v_mul_f64 v[214:215], v[212:213], v[206:207]
	v_fma_f64 v[204:205], -v[204:205], v[214:215], v[212:213]
	v_div_fmas_f64 v[204:205], v[204:205], v[206:207], v[214:215]
	v_div_fixup_f64 v[204:205], v[204:205], v[210:211], v[208:209]
	v_fmac_f64_e32 v[210:211], v[208:209], v[204:205]
	v_div_scale_f64 v[206:207], s[10:11], v[210:211], v[210:211], 1.0
	v_rcp_f64_e32 v[208:209], v[206:207]
	s_nop 0
	v_fma_f64 v[212:213], -v[206:207], v[208:209], 1.0
	v_fmac_f64_e32 v[208:209], v[208:209], v[212:213]
	v_fma_f64 v[212:213], -v[206:207], v[208:209], 1.0
	v_fmac_f64_e32 v[208:209], v[208:209], v[212:213]
	v_div_scale_f64 v[212:213], vcc, 1.0, v[210:211], 1.0
	v_mul_f64 v[214:215], v[212:213], v[208:209]
	v_fma_f64 v[206:207], -v[206:207], v[214:215], v[212:213]
	s_nop 1
	v_div_fmas_f64 v[206:207], v[206:207], v[208:209], v[214:215]
	v_div_fixup_f64 v[206:207], v[206:207], v[210:211], 1.0
	v_mul_f64 v[204:205], v[204:205], v[206:207]
	v_xor_b32_e32 v207, 0x80000000, v207
                                        ; implicit-def: $vgpr208_vgpr209
.LBB115_23:
	s_andn2_saveexec_b64 s[2:3], s[2:3]
	s_cbranch_execz .LBB115_25
; %bb.24:
	v_div_scale_f64 v[204:205], s[10:11], v[208:209], v[208:209], v[210:211]
	v_rcp_f64_e32 v[206:207], v[204:205]
	v_div_scale_f64 v[212:213], vcc, v[210:211], v[208:209], v[210:211]
	v_fma_f64 v[214:215], -v[204:205], v[206:207], 1.0
	v_fmac_f64_e32 v[206:207], v[206:207], v[214:215]
	v_fma_f64 v[214:215], -v[204:205], v[206:207], 1.0
	v_fmac_f64_e32 v[206:207], v[206:207], v[214:215]
	v_mul_f64 v[214:215], v[212:213], v[206:207]
	v_fma_f64 v[204:205], -v[204:205], v[214:215], v[212:213]
	v_div_fmas_f64 v[204:205], v[204:205], v[206:207], v[214:215]
	v_div_fixup_f64 v[206:207], v[204:205], v[208:209], v[210:211]
	v_fmac_f64_e32 v[208:209], v[210:211], v[206:207]
	v_div_scale_f64 v[204:205], s[10:11], v[208:209], v[208:209], 1.0
	v_rcp_f64_e32 v[210:211], v[204:205]
	s_nop 0
	v_fma_f64 v[212:213], -v[204:205], v[210:211], 1.0
	v_fmac_f64_e32 v[210:211], v[210:211], v[212:213]
	v_fma_f64 v[212:213], -v[204:205], v[210:211], 1.0
	v_fmac_f64_e32 v[210:211], v[210:211], v[212:213]
	v_div_scale_f64 v[212:213], vcc, 1.0, v[208:209], 1.0
	v_mul_f64 v[214:215], v[212:213], v[210:211]
	v_fma_f64 v[204:205], -v[204:205], v[214:215], v[212:213]
	s_nop 1
	v_div_fmas_f64 v[204:205], v[204:205], v[210:211], v[214:215]
	v_div_fixup_f64 v[204:205], v[204:205], v[208:209], 1.0
	v_mul_f64 v[206:207], v[206:207], -v[204:205]
.LBB115_25:
	s_or_b64 exec, exec, s[2:3]
	ds_write2_b64 v201, v[204:205], v[206:207] offset1:1
.LBB115_26:
	s_or_b64 exec, exec, s[4:5]
	s_waitcnt lgkmcnt(0)
	s_barrier
	ds_read2_b64 v[192:195], v201 offset1:1
	v_cmp_lt_u32_e32 vcc, 2, v200
	s_waitcnt lgkmcnt(0)
	scratch_store_dwordx4 off, v[192:195], off offset:624 ; 16-byte Folded Spill
	s_and_saveexec_b64 s[2:3], vcc
	s_cbranch_execz .LBB115_28
; %bb.27:
	scratch_load_dwordx4 v[210:213], off, off offset:80 ; 16-byte Folded Reload
	scratch_load_dwordx4 v[192:195], off, off offset:624 ; 16-byte Folded Reload
	s_waitcnt vmcnt(0)
	v_mul_f64 v[204:205], v[194:195], v[212:213]
	v_mul_f64 v[212:213], v[192:193], v[212:213]
	v_fma_f64 v[208:209], v[192:193], v[210:211], -v[204:205]
	v_fmac_f64_e32 v[212:213], v[194:195], v[210:211]
	scratch_load_dwordx4 v[192:195], off, off offset:64 ; 16-byte Folded Reload
	ds_read2_b64 v[204:207], v202 offset0:6 offset1:7
	s_waitcnt lgkmcnt(0)
	v_mul_f64 v[210:211], v[206:207], v[212:213]
	v_fma_f64 v[210:211], v[204:205], v[208:209], -v[210:211]
	v_mul_f64 v[204:205], v[204:205], v[212:213]
	v_fmac_f64_e32 v[204:205], v[206:207], v[208:209]
	s_waitcnt vmcnt(0)
	v_add_f64 v[192:193], v[192:193], -v[210:211]
	v_add_f64 v[194:195], v[194:195], -v[204:205]
	scratch_store_dwordx4 off, v[192:195], off offset:64 ; 16-byte Folded Spill
	scratch_load_dwordx4 v[192:195], off, off offset:48 ; 16-byte Folded Reload
	ds_read2_b64 v[204:207], v202 offset0:8 offset1:9
	s_waitcnt lgkmcnt(0)
	v_mul_f64 v[210:211], v[206:207], v[212:213]
	v_fma_f64 v[210:211], v[204:205], v[208:209], -v[210:211]
	v_mul_f64 v[204:205], v[204:205], v[212:213]
	v_fmac_f64_e32 v[204:205], v[206:207], v[208:209]
	s_waitcnt vmcnt(0)
	v_add_f64 v[192:193], v[192:193], -v[210:211]
	v_add_f64 v[194:195], v[194:195], -v[204:205]
	scratch_store_dwordx4 off, v[192:195], off offset:48 ; 16-byte Folded Spill
	;; [unrolled: 11-line block ×4, first 2 shown]
	scratch_load_dwordx4 v[192:195], off, off ; 16-byte Folded Reload
	ds_read2_b64 v[204:207], v202 offset0:14 offset1:15
	s_waitcnt lgkmcnt(0)
	v_mul_f64 v[210:211], v[206:207], v[212:213]
	v_fma_f64 v[210:211], v[204:205], v[208:209], -v[210:211]
	v_mul_f64 v[204:205], v[204:205], v[212:213]
	v_fmac_f64_e32 v[204:205], v[206:207], v[208:209]
	v_add_f64 v[198:199], v[198:199], -v[204:205]
	ds_read2_b64 v[204:207], v202 offset0:16 offset1:17
	v_add_f64 v[196:197], v[196:197], -v[210:211]
	s_waitcnt lgkmcnt(0)
	v_mul_f64 v[210:211], v[206:207], v[212:213]
	v_fma_f64 v[210:211], v[204:205], v[208:209], -v[210:211]
	v_mul_f64 v[204:205], v[204:205], v[212:213]
	v_fmac_f64_e32 v[204:205], v[206:207], v[208:209]
	s_waitcnt vmcnt(0)
	v_add_f64 v[194:195], v[194:195], -v[204:205]
	ds_read2_b64 v[204:207], v202 offset0:18 offset1:19
	v_add_f64 v[192:193], v[192:193], -v[210:211]
	scratch_store_dwordx4 off, v[192:195], off ; 16-byte Folded Spill
	s_waitcnt lgkmcnt(0)
	v_mul_f64 v[210:211], v[206:207], v[212:213]
	v_fma_f64 v[210:211], v[204:205], v[208:209], -v[210:211]
	v_mul_f64 v[204:205], v[204:205], v[212:213]
	v_fmac_f64_e32 v[204:205], v[206:207], v[208:209]
	v_add_f64 v[190:191], v[190:191], -v[204:205]
	ds_read2_b64 v[204:207], v202 offset0:20 offset1:21
	v_add_f64 v[188:189], v[188:189], -v[210:211]
	s_waitcnt lgkmcnt(0)
	v_mul_f64 v[210:211], v[206:207], v[212:213]
	v_fma_f64 v[210:211], v[204:205], v[208:209], -v[210:211]
	v_mul_f64 v[204:205], v[204:205], v[212:213]
	v_fmac_f64_e32 v[204:205], v[206:207], v[208:209]
	v_add_f64 v[186:187], v[186:187], -v[204:205]
	ds_read2_b64 v[204:207], v202 offset0:22 offset1:23
	v_add_f64 v[184:185], v[184:185], -v[210:211]
	;; [unrolled: 8-line block ×48, first 2 shown]
	s_waitcnt lgkmcnt(0)
	v_mul_f64 v[210:211], v[206:207], v[212:213]
	v_fma_f64 v[210:211], v[204:205], v[208:209], -v[210:211]
	v_mul_f64 v[204:205], v[204:205], v[212:213]
	v_fmac_f64_e32 v[204:205], v[206:207], v[208:209]
	v_add_f64 v[228:229], v[228:229], -v[210:211]
	v_add_f64 v[230:231], v[230:231], -v[204:205]
	v_mov_b64_e32 v[210:211], v[208:209]
	scratch_store_dwordx4 off, v[210:213], off offset:80 ; 16-byte Folded Spill
.LBB115_28:
	s_or_b64 exec, exec, s[2:3]
	v_cmp_eq_u32_e32 vcc, 3, v200
	s_waitcnt vmcnt(63) expcnt(7) lgkmcnt(15)
	s_barrier
	s_and_saveexec_b64 s[4:5], vcc
	s_cbranch_execz .LBB115_35
; %bb.29:
	scratch_load_dwordx4 v[192:195], off, off offset:64 ; 16-byte Folded Reload
	s_waitcnt vmcnt(0)
	ds_write2_b64 v201, v[192:193], v[194:195] offset1:1
	scratch_load_dwordx4 v[192:195], off, off offset:48 ; 16-byte Folded Reload
	s_waitcnt vmcnt(0)
	ds_write2_b64 v202, v[192:193], v[194:195] offset0:8 offset1:9
	scratch_load_dwordx4 v[192:195], off, off offset:32 ; 16-byte Folded Reload
	s_waitcnt vmcnt(0)
	ds_write2_b64 v202, v[192:193], v[194:195] offset0:10 offset1:11
	;; [unrolled: 3-line block ×3, first 2 shown]
	ds_write2_b64 v202, v[196:197], v[198:199] offset0:14 offset1:15
	scratch_load_dwordx4 v[192:195], off, off ; 16-byte Folded Reload
	s_waitcnt vmcnt(0)
	ds_write2_b64 v202, v[192:193], v[194:195] offset0:16 offset1:17
	ds_write2_b64 v202, v[188:189], v[190:191] offset0:18 offset1:19
	;; [unrolled: 1-line block ×50, first 2 shown]
	ds_read2_b64 v[208:211], v201 offset1:1
	s_waitcnt lgkmcnt(0)
	v_cmp_neq_f64_e32 vcc, 0, v[208:209]
	v_cmp_neq_f64_e64 s[2:3], 0, v[210:211]
	s_or_b64 s[2:3], vcc, s[2:3]
	s_and_b64 exec, exec, s[2:3]
	s_cbranch_execz .LBB115_35
; %bb.30:
	v_cmp_ngt_f64_e64 s[2:3], |v[208:209]|, |v[210:211]|
                                        ; implicit-def: $vgpr204_vgpr205
	s_and_saveexec_b64 s[10:11], s[2:3]
	s_xor_b64 s[2:3], exec, s[10:11]
                                        ; implicit-def: $vgpr206_vgpr207
	s_cbranch_execz .LBB115_32
; %bb.31:
	v_div_scale_f64 v[204:205], s[10:11], v[210:211], v[210:211], v[208:209]
	v_rcp_f64_e32 v[206:207], v[204:205]
	v_div_scale_f64 v[212:213], vcc, v[208:209], v[210:211], v[208:209]
	v_fma_f64 v[214:215], -v[204:205], v[206:207], 1.0
	v_fmac_f64_e32 v[206:207], v[206:207], v[214:215]
	v_fma_f64 v[214:215], -v[204:205], v[206:207], 1.0
	v_fmac_f64_e32 v[206:207], v[206:207], v[214:215]
	v_mul_f64 v[214:215], v[212:213], v[206:207]
	v_fma_f64 v[204:205], -v[204:205], v[214:215], v[212:213]
	v_div_fmas_f64 v[204:205], v[204:205], v[206:207], v[214:215]
	v_div_fixup_f64 v[204:205], v[204:205], v[210:211], v[208:209]
	v_fmac_f64_e32 v[210:211], v[208:209], v[204:205]
	v_div_scale_f64 v[206:207], s[10:11], v[210:211], v[210:211], 1.0
	v_rcp_f64_e32 v[208:209], v[206:207]
	s_nop 0
	v_fma_f64 v[212:213], -v[206:207], v[208:209], 1.0
	v_fmac_f64_e32 v[208:209], v[208:209], v[212:213]
	v_fma_f64 v[212:213], -v[206:207], v[208:209], 1.0
	v_fmac_f64_e32 v[208:209], v[208:209], v[212:213]
	v_div_scale_f64 v[212:213], vcc, 1.0, v[210:211], 1.0
	v_mul_f64 v[214:215], v[212:213], v[208:209]
	v_fma_f64 v[206:207], -v[206:207], v[214:215], v[212:213]
	s_nop 1
	v_div_fmas_f64 v[206:207], v[206:207], v[208:209], v[214:215]
	v_div_fixup_f64 v[206:207], v[206:207], v[210:211], 1.0
	v_mul_f64 v[204:205], v[204:205], v[206:207]
	v_xor_b32_e32 v207, 0x80000000, v207
                                        ; implicit-def: $vgpr208_vgpr209
.LBB115_32:
	s_andn2_saveexec_b64 s[2:3], s[2:3]
	s_cbranch_execz .LBB115_34
; %bb.33:
	v_div_scale_f64 v[204:205], s[10:11], v[208:209], v[208:209], v[210:211]
	v_rcp_f64_e32 v[206:207], v[204:205]
	v_div_scale_f64 v[212:213], vcc, v[210:211], v[208:209], v[210:211]
	v_fma_f64 v[214:215], -v[204:205], v[206:207], 1.0
	v_fmac_f64_e32 v[206:207], v[206:207], v[214:215]
	v_fma_f64 v[214:215], -v[204:205], v[206:207], 1.0
	v_fmac_f64_e32 v[206:207], v[206:207], v[214:215]
	v_mul_f64 v[214:215], v[212:213], v[206:207]
	v_fma_f64 v[204:205], -v[204:205], v[214:215], v[212:213]
	v_div_fmas_f64 v[204:205], v[204:205], v[206:207], v[214:215]
	v_div_fixup_f64 v[206:207], v[204:205], v[208:209], v[210:211]
	v_fmac_f64_e32 v[208:209], v[210:211], v[206:207]
	v_div_scale_f64 v[204:205], s[10:11], v[208:209], v[208:209], 1.0
	v_rcp_f64_e32 v[210:211], v[204:205]
	s_nop 0
	v_fma_f64 v[212:213], -v[204:205], v[210:211], 1.0
	v_fmac_f64_e32 v[210:211], v[210:211], v[212:213]
	v_fma_f64 v[212:213], -v[204:205], v[210:211], 1.0
	v_fmac_f64_e32 v[210:211], v[210:211], v[212:213]
	v_div_scale_f64 v[212:213], vcc, 1.0, v[208:209], 1.0
	v_mul_f64 v[214:215], v[212:213], v[210:211]
	v_fma_f64 v[204:205], -v[204:205], v[214:215], v[212:213]
	s_nop 1
	v_div_fmas_f64 v[204:205], v[204:205], v[210:211], v[214:215]
	v_div_fixup_f64 v[204:205], v[204:205], v[208:209], 1.0
	v_mul_f64 v[206:207], v[206:207], -v[204:205]
.LBB115_34:
	s_or_b64 exec, exec, s[2:3]
	ds_write2_b64 v201, v[204:205], v[206:207] offset1:1
.LBB115_35:
	s_or_b64 exec, exec, s[4:5]
	s_waitcnt lgkmcnt(0)
	s_barrier
	ds_read2_b64 v[192:195], v201 offset1:1
	v_cmp_lt_u32_e32 vcc, 3, v200
	s_waitcnt lgkmcnt(0)
	scratch_store_dwordx4 off, v[192:195], off offset:640 ; 16-byte Folded Spill
	s_and_saveexec_b64 s[2:3], vcc
	s_cbranch_execz .LBB115_37
; %bb.36:
	scratch_load_dwordx4 v[210:213], off, off offset:64 ; 16-byte Folded Reload
	scratch_load_dwordx4 v[192:195], off, off offset:640 ; 16-byte Folded Reload
	s_waitcnt vmcnt(0)
	v_mul_f64 v[204:205], v[194:195], v[212:213]
	v_mul_f64 v[212:213], v[192:193], v[212:213]
	v_fma_f64 v[208:209], v[192:193], v[210:211], -v[204:205]
	v_fmac_f64_e32 v[212:213], v[194:195], v[210:211]
	scratch_load_dwordx4 v[192:195], off, off offset:48 ; 16-byte Folded Reload
	ds_read2_b64 v[204:207], v202 offset0:8 offset1:9
	s_waitcnt lgkmcnt(0)
	v_mul_f64 v[210:211], v[206:207], v[212:213]
	v_fma_f64 v[210:211], v[204:205], v[208:209], -v[210:211]
	v_mul_f64 v[204:205], v[204:205], v[212:213]
	v_fmac_f64_e32 v[204:205], v[206:207], v[208:209]
	s_waitcnt vmcnt(0)
	v_add_f64 v[192:193], v[192:193], -v[210:211]
	v_add_f64 v[194:195], v[194:195], -v[204:205]
	scratch_store_dwordx4 off, v[192:195], off offset:48 ; 16-byte Folded Spill
	scratch_load_dwordx4 v[192:195], off, off offset:32 ; 16-byte Folded Reload
	ds_read2_b64 v[204:207], v202 offset0:10 offset1:11
	s_waitcnt lgkmcnt(0)
	v_mul_f64 v[210:211], v[206:207], v[212:213]
	v_fma_f64 v[210:211], v[204:205], v[208:209], -v[210:211]
	v_mul_f64 v[204:205], v[204:205], v[212:213]
	v_fmac_f64_e32 v[204:205], v[206:207], v[208:209]
	s_waitcnt vmcnt(0)
	v_add_f64 v[192:193], v[192:193], -v[210:211]
	v_add_f64 v[194:195], v[194:195], -v[204:205]
	scratch_store_dwordx4 off, v[192:195], off offset:32 ; 16-byte Folded Spill
	;; [unrolled: 11-line block ×3, first 2 shown]
	scratch_load_dwordx4 v[192:195], off, off ; 16-byte Folded Reload
	ds_read2_b64 v[204:207], v202 offset0:14 offset1:15
	s_waitcnt lgkmcnt(0)
	v_mul_f64 v[210:211], v[206:207], v[212:213]
	v_fma_f64 v[210:211], v[204:205], v[208:209], -v[210:211]
	v_mul_f64 v[204:205], v[204:205], v[212:213]
	v_fmac_f64_e32 v[204:205], v[206:207], v[208:209]
	v_add_f64 v[198:199], v[198:199], -v[204:205]
	ds_read2_b64 v[204:207], v202 offset0:16 offset1:17
	v_add_f64 v[196:197], v[196:197], -v[210:211]
	s_waitcnt lgkmcnt(0)
	v_mul_f64 v[210:211], v[206:207], v[212:213]
	v_fma_f64 v[210:211], v[204:205], v[208:209], -v[210:211]
	v_mul_f64 v[204:205], v[204:205], v[212:213]
	v_fmac_f64_e32 v[204:205], v[206:207], v[208:209]
	s_waitcnt vmcnt(0)
	v_add_f64 v[194:195], v[194:195], -v[204:205]
	ds_read2_b64 v[204:207], v202 offset0:18 offset1:19
	v_add_f64 v[192:193], v[192:193], -v[210:211]
	scratch_store_dwordx4 off, v[192:195], off ; 16-byte Folded Spill
	s_waitcnt lgkmcnt(0)
	v_mul_f64 v[210:211], v[206:207], v[212:213]
	v_fma_f64 v[210:211], v[204:205], v[208:209], -v[210:211]
	v_mul_f64 v[204:205], v[204:205], v[212:213]
	v_fmac_f64_e32 v[204:205], v[206:207], v[208:209]
	v_add_f64 v[190:191], v[190:191], -v[204:205]
	ds_read2_b64 v[204:207], v202 offset0:20 offset1:21
	v_add_f64 v[188:189], v[188:189], -v[210:211]
	s_waitcnt lgkmcnt(0)
	v_mul_f64 v[210:211], v[206:207], v[212:213]
	v_fma_f64 v[210:211], v[204:205], v[208:209], -v[210:211]
	v_mul_f64 v[204:205], v[204:205], v[212:213]
	v_fmac_f64_e32 v[204:205], v[206:207], v[208:209]
	v_add_f64 v[186:187], v[186:187], -v[204:205]
	ds_read2_b64 v[204:207], v202 offset0:22 offset1:23
	v_add_f64 v[184:185], v[184:185], -v[210:211]
	;; [unrolled: 8-line block ×48, first 2 shown]
	s_waitcnt lgkmcnt(0)
	v_mul_f64 v[210:211], v[206:207], v[212:213]
	v_fma_f64 v[210:211], v[204:205], v[208:209], -v[210:211]
	v_mul_f64 v[204:205], v[204:205], v[212:213]
	v_fmac_f64_e32 v[204:205], v[206:207], v[208:209]
	v_add_f64 v[228:229], v[228:229], -v[210:211]
	v_add_f64 v[230:231], v[230:231], -v[204:205]
	v_mov_b64_e32 v[210:211], v[208:209]
	scratch_store_dwordx4 off, v[210:213], off offset:64 ; 16-byte Folded Spill
.LBB115_37:
	s_or_b64 exec, exec, s[2:3]
	v_cmp_eq_u32_e32 vcc, 4, v200
	s_waitcnt vmcnt(63) expcnt(7) lgkmcnt(15)
	s_barrier
	s_and_saveexec_b64 s[4:5], vcc
	s_cbranch_execz .LBB115_44
; %bb.38:
	scratch_load_dwordx4 v[192:195], off, off offset:48 ; 16-byte Folded Reload
	s_waitcnt vmcnt(0)
	ds_write2_b64 v201, v[192:193], v[194:195] offset1:1
	scratch_load_dwordx4 v[192:195], off, off offset:32 ; 16-byte Folded Reload
	s_waitcnt vmcnt(0)
	ds_write2_b64 v202, v[192:193], v[194:195] offset0:10 offset1:11
	scratch_load_dwordx4 v[192:195], off, off offset:16 ; 16-byte Folded Reload
	s_waitcnt vmcnt(0)
	ds_write2_b64 v202, v[192:193], v[194:195] offset0:12 offset1:13
	ds_write2_b64 v202, v[196:197], v[198:199] offset0:14 offset1:15
	scratch_load_dwordx4 v[192:195], off, off ; 16-byte Folded Reload
	s_waitcnt vmcnt(0)
	ds_write2_b64 v202, v[192:193], v[194:195] offset0:16 offset1:17
	ds_write2_b64 v202, v[188:189], v[190:191] offset0:18 offset1:19
	;; [unrolled: 1-line block ×50, first 2 shown]
	ds_read2_b64 v[208:211], v201 offset1:1
	s_waitcnt lgkmcnt(0)
	v_cmp_neq_f64_e32 vcc, 0, v[208:209]
	v_cmp_neq_f64_e64 s[2:3], 0, v[210:211]
	s_or_b64 s[2:3], vcc, s[2:3]
	s_and_b64 exec, exec, s[2:3]
	s_cbranch_execz .LBB115_44
; %bb.39:
	v_cmp_ngt_f64_e64 s[2:3], |v[208:209]|, |v[210:211]|
                                        ; implicit-def: $vgpr204_vgpr205
	s_and_saveexec_b64 s[10:11], s[2:3]
	s_xor_b64 s[2:3], exec, s[10:11]
                                        ; implicit-def: $vgpr206_vgpr207
	s_cbranch_execz .LBB115_41
; %bb.40:
	v_div_scale_f64 v[204:205], s[10:11], v[210:211], v[210:211], v[208:209]
	v_rcp_f64_e32 v[206:207], v[204:205]
	v_div_scale_f64 v[212:213], vcc, v[208:209], v[210:211], v[208:209]
	v_fma_f64 v[214:215], -v[204:205], v[206:207], 1.0
	v_fmac_f64_e32 v[206:207], v[206:207], v[214:215]
	v_fma_f64 v[214:215], -v[204:205], v[206:207], 1.0
	v_fmac_f64_e32 v[206:207], v[206:207], v[214:215]
	v_mul_f64 v[214:215], v[212:213], v[206:207]
	v_fma_f64 v[204:205], -v[204:205], v[214:215], v[212:213]
	v_div_fmas_f64 v[204:205], v[204:205], v[206:207], v[214:215]
	v_div_fixup_f64 v[204:205], v[204:205], v[210:211], v[208:209]
	v_fmac_f64_e32 v[210:211], v[208:209], v[204:205]
	v_div_scale_f64 v[206:207], s[10:11], v[210:211], v[210:211], 1.0
	v_rcp_f64_e32 v[208:209], v[206:207]
	s_nop 0
	v_fma_f64 v[212:213], -v[206:207], v[208:209], 1.0
	v_fmac_f64_e32 v[208:209], v[208:209], v[212:213]
	v_fma_f64 v[212:213], -v[206:207], v[208:209], 1.0
	v_fmac_f64_e32 v[208:209], v[208:209], v[212:213]
	v_div_scale_f64 v[212:213], vcc, 1.0, v[210:211], 1.0
	v_mul_f64 v[214:215], v[212:213], v[208:209]
	v_fma_f64 v[206:207], -v[206:207], v[214:215], v[212:213]
	s_nop 1
	v_div_fmas_f64 v[206:207], v[206:207], v[208:209], v[214:215]
	v_div_fixup_f64 v[206:207], v[206:207], v[210:211], 1.0
	v_mul_f64 v[204:205], v[204:205], v[206:207]
	v_xor_b32_e32 v207, 0x80000000, v207
                                        ; implicit-def: $vgpr208_vgpr209
.LBB115_41:
	s_andn2_saveexec_b64 s[2:3], s[2:3]
	s_cbranch_execz .LBB115_43
; %bb.42:
	v_div_scale_f64 v[204:205], s[10:11], v[208:209], v[208:209], v[210:211]
	v_rcp_f64_e32 v[206:207], v[204:205]
	v_div_scale_f64 v[212:213], vcc, v[210:211], v[208:209], v[210:211]
	v_fma_f64 v[214:215], -v[204:205], v[206:207], 1.0
	v_fmac_f64_e32 v[206:207], v[206:207], v[214:215]
	v_fma_f64 v[214:215], -v[204:205], v[206:207], 1.0
	v_fmac_f64_e32 v[206:207], v[206:207], v[214:215]
	v_mul_f64 v[214:215], v[212:213], v[206:207]
	v_fma_f64 v[204:205], -v[204:205], v[214:215], v[212:213]
	v_div_fmas_f64 v[204:205], v[204:205], v[206:207], v[214:215]
	v_div_fixup_f64 v[206:207], v[204:205], v[208:209], v[210:211]
	v_fmac_f64_e32 v[208:209], v[210:211], v[206:207]
	v_div_scale_f64 v[204:205], s[10:11], v[208:209], v[208:209], 1.0
	v_rcp_f64_e32 v[210:211], v[204:205]
	s_nop 0
	v_fma_f64 v[212:213], -v[204:205], v[210:211], 1.0
	v_fmac_f64_e32 v[210:211], v[210:211], v[212:213]
	v_fma_f64 v[212:213], -v[204:205], v[210:211], 1.0
	v_fmac_f64_e32 v[210:211], v[210:211], v[212:213]
	v_div_scale_f64 v[212:213], vcc, 1.0, v[208:209], 1.0
	v_mul_f64 v[214:215], v[212:213], v[210:211]
	v_fma_f64 v[204:205], -v[204:205], v[214:215], v[212:213]
	s_nop 1
	v_div_fmas_f64 v[204:205], v[204:205], v[210:211], v[214:215]
	v_div_fixup_f64 v[204:205], v[204:205], v[208:209], 1.0
	v_mul_f64 v[206:207], v[206:207], -v[204:205]
.LBB115_43:
	s_or_b64 exec, exec, s[2:3]
	ds_write2_b64 v201, v[204:205], v[206:207] offset1:1
.LBB115_44:
	s_or_b64 exec, exec, s[4:5]
	s_waitcnt lgkmcnt(0)
	s_barrier
	ds_read2_b64 v[192:195], v201 offset1:1
	v_cmp_lt_u32_e32 vcc, 4, v200
	s_waitcnt lgkmcnt(0)
	scratch_store_dwordx4 off, v[192:195], off offset:656 ; 16-byte Folded Spill
	s_and_saveexec_b64 s[2:3], vcc
	s_cbranch_execz .LBB115_46
; %bb.45:
	scratch_load_dwordx4 v[210:213], off, off offset:48 ; 16-byte Folded Reload
	scratch_load_dwordx4 v[192:195], off, off offset:656 ; 16-byte Folded Reload
	s_waitcnt vmcnt(0)
	v_mul_f64 v[204:205], v[194:195], v[212:213]
	v_mul_f64 v[212:213], v[192:193], v[212:213]
	v_fma_f64 v[208:209], v[192:193], v[210:211], -v[204:205]
	v_fmac_f64_e32 v[212:213], v[194:195], v[210:211]
	scratch_load_dwordx4 v[192:195], off, off offset:32 ; 16-byte Folded Reload
	ds_read2_b64 v[204:207], v202 offset0:10 offset1:11
	s_waitcnt lgkmcnt(0)
	v_mul_f64 v[210:211], v[206:207], v[212:213]
	v_fma_f64 v[210:211], v[204:205], v[208:209], -v[210:211]
	v_mul_f64 v[204:205], v[204:205], v[212:213]
	v_fmac_f64_e32 v[204:205], v[206:207], v[208:209]
	s_waitcnt vmcnt(0)
	v_add_f64 v[192:193], v[192:193], -v[210:211]
	v_add_f64 v[194:195], v[194:195], -v[204:205]
	scratch_store_dwordx4 off, v[192:195], off offset:32 ; 16-byte Folded Spill
	scratch_load_dwordx4 v[192:195], off, off offset:16 ; 16-byte Folded Reload
	ds_read2_b64 v[204:207], v202 offset0:12 offset1:13
	s_waitcnt lgkmcnt(0)
	v_mul_f64 v[210:211], v[206:207], v[212:213]
	v_fma_f64 v[210:211], v[204:205], v[208:209], -v[210:211]
	v_mul_f64 v[204:205], v[204:205], v[212:213]
	v_fmac_f64_e32 v[204:205], v[206:207], v[208:209]
	s_waitcnt vmcnt(0)
	v_add_f64 v[192:193], v[192:193], -v[210:211]
	v_add_f64 v[194:195], v[194:195], -v[204:205]
	scratch_store_dwordx4 off, v[192:195], off offset:16 ; 16-byte Folded Spill
	scratch_load_dwordx4 v[192:195], off, off ; 16-byte Folded Reload
	ds_read2_b64 v[204:207], v202 offset0:14 offset1:15
	s_waitcnt lgkmcnt(0)
	v_mul_f64 v[210:211], v[206:207], v[212:213]
	v_fma_f64 v[210:211], v[204:205], v[208:209], -v[210:211]
	v_mul_f64 v[204:205], v[204:205], v[212:213]
	v_fmac_f64_e32 v[204:205], v[206:207], v[208:209]
	v_add_f64 v[198:199], v[198:199], -v[204:205]
	ds_read2_b64 v[204:207], v202 offset0:16 offset1:17
	v_add_f64 v[196:197], v[196:197], -v[210:211]
	s_waitcnt lgkmcnt(0)
	v_mul_f64 v[210:211], v[206:207], v[212:213]
	v_fma_f64 v[210:211], v[204:205], v[208:209], -v[210:211]
	v_mul_f64 v[204:205], v[204:205], v[212:213]
	v_fmac_f64_e32 v[204:205], v[206:207], v[208:209]
	s_waitcnt vmcnt(0)
	v_add_f64 v[194:195], v[194:195], -v[204:205]
	ds_read2_b64 v[204:207], v202 offset0:18 offset1:19
	v_add_f64 v[192:193], v[192:193], -v[210:211]
	scratch_store_dwordx4 off, v[192:195], off ; 16-byte Folded Spill
	s_waitcnt lgkmcnt(0)
	v_mul_f64 v[210:211], v[206:207], v[212:213]
	v_fma_f64 v[210:211], v[204:205], v[208:209], -v[210:211]
	v_mul_f64 v[204:205], v[204:205], v[212:213]
	v_fmac_f64_e32 v[204:205], v[206:207], v[208:209]
	v_add_f64 v[190:191], v[190:191], -v[204:205]
	ds_read2_b64 v[204:207], v202 offset0:20 offset1:21
	v_add_f64 v[188:189], v[188:189], -v[210:211]
	s_waitcnt lgkmcnt(0)
	v_mul_f64 v[210:211], v[206:207], v[212:213]
	v_fma_f64 v[210:211], v[204:205], v[208:209], -v[210:211]
	v_mul_f64 v[204:205], v[204:205], v[212:213]
	v_fmac_f64_e32 v[204:205], v[206:207], v[208:209]
	v_add_f64 v[186:187], v[186:187], -v[204:205]
	ds_read2_b64 v[204:207], v202 offset0:22 offset1:23
	v_add_f64 v[184:185], v[184:185], -v[210:211]
	;; [unrolled: 8-line block ×48, first 2 shown]
	s_waitcnt lgkmcnt(0)
	v_mul_f64 v[210:211], v[206:207], v[212:213]
	v_fma_f64 v[210:211], v[204:205], v[208:209], -v[210:211]
	v_mul_f64 v[204:205], v[204:205], v[212:213]
	v_fmac_f64_e32 v[204:205], v[206:207], v[208:209]
	v_add_f64 v[228:229], v[228:229], -v[210:211]
	v_add_f64 v[230:231], v[230:231], -v[204:205]
	v_mov_b64_e32 v[210:211], v[208:209]
	scratch_store_dwordx4 off, v[210:213], off offset:48 ; 16-byte Folded Spill
.LBB115_46:
	s_or_b64 exec, exec, s[2:3]
	v_cmp_eq_u32_e32 vcc, 5, v200
	s_waitcnt vmcnt(63) expcnt(7) lgkmcnt(15)
	s_barrier
	s_and_saveexec_b64 s[4:5], vcc
	s_cbranch_execz .LBB115_53
; %bb.47:
	scratch_load_dwordx4 v[192:195], off, off offset:32 ; 16-byte Folded Reload
	s_waitcnt vmcnt(0)
	ds_write2_b64 v201, v[192:193], v[194:195] offset1:1
	scratch_load_dwordx4 v[192:195], off, off offset:16 ; 16-byte Folded Reload
	s_waitcnt vmcnt(0)
	ds_write2_b64 v202, v[192:193], v[194:195] offset0:12 offset1:13
	ds_write2_b64 v202, v[196:197], v[198:199] offset0:14 offset1:15
	scratch_load_dwordx4 v[192:195], off, off ; 16-byte Folded Reload
	s_waitcnt vmcnt(0)
	ds_write2_b64 v202, v[192:193], v[194:195] offset0:16 offset1:17
	ds_write2_b64 v202, v[188:189], v[190:191] offset0:18 offset1:19
	;; [unrolled: 1-line block ×50, first 2 shown]
	ds_read2_b64 v[208:211], v201 offset1:1
	s_waitcnt lgkmcnt(0)
	v_cmp_neq_f64_e32 vcc, 0, v[208:209]
	v_cmp_neq_f64_e64 s[2:3], 0, v[210:211]
	s_or_b64 s[2:3], vcc, s[2:3]
	s_and_b64 exec, exec, s[2:3]
	s_cbranch_execz .LBB115_53
; %bb.48:
	v_cmp_ngt_f64_e64 s[2:3], |v[208:209]|, |v[210:211]|
                                        ; implicit-def: $vgpr204_vgpr205
	s_and_saveexec_b64 s[10:11], s[2:3]
	s_xor_b64 s[2:3], exec, s[10:11]
                                        ; implicit-def: $vgpr206_vgpr207
	s_cbranch_execz .LBB115_50
; %bb.49:
	v_div_scale_f64 v[204:205], s[10:11], v[210:211], v[210:211], v[208:209]
	v_rcp_f64_e32 v[206:207], v[204:205]
	v_div_scale_f64 v[212:213], vcc, v[208:209], v[210:211], v[208:209]
	v_fma_f64 v[214:215], -v[204:205], v[206:207], 1.0
	v_fmac_f64_e32 v[206:207], v[206:207], v[214:215]
	v_fma_f64 v[214:215], -v[204:205], v[206:207], 1.0
	v_fmac_f64_e32 v[206:207], v[206:207], v[214:215]
	v_mul_f64 v[214:215], v[212:213], v[206:207]
	v_fma_f64 v[204:205], -v[204:205], v[214:215], v[212:213]
	v_div_fmas_f64 v[204:205], v[204:205], v[206:207], v[214:215]
	v_div_fixup_f64 v[204:205], v[204:205], v[210:211], v[208:209]
	v_fmac_f64_e32 v[210:211], v[208:209], v[204:205]
	v_div_scale_f64 v[206:207], s[10:11], v[210:211], v[210:211], 1.0
	v_rcp_f64_e32 v[208:209], v[206:207]
	s_nop 0
	v_fma_f64 v[212:213], -v[206:207], v[208:209], 1.0
	v_fmac_f64_e32 v[208:209], v[208:209], v[212:213]
	v_fma_f64 v[212:213], -v[206:207], v[208:209], 1.0
	v_fmac_f64_e32 v[208:209], v[208:209], v[212:213]
	v_div_scale_f64 v[212:213], vcc, 1.0, v[210:211], 1.0
	v_mul_f64 v[214:215], v[212:213], v[208:209]
	v_fma_f64 v[206:207], -v[206:207], v[214:215], v[212:213]
	s_nop 1
	v_div_fmas_f64 v[206:207], v[206:207], v[208:209], v[214:215]
	v_div_fixup_f64 v[206:207], v[206:207], v[210:211], 1.0
	v_mul_f64 v[204:205], v[204:205], v[206:207]
	v_xor_b32_e32 v207, 0x80000000, v207
                                        ; implicit-def: $vgpr208_vgpr209
.LBB115_50:
	s_andn2_saveexec_b64 s[2:3], s[2:3]
	s_cbranch_execz .LBB115_52
; %bb.51:
	v_div_scale_f64 v[204:205], s[10:11], v[208:209], v[208:209], v[210:211]
	v_rcp_f64_e32 v[206:207], v[204:205]
	v_div_scale_f64 v[212:213], vcc, v[210:211], v[208:209], v[210:211]
	v_fma_f64 v[214:215], -v[204:205], v[206:207], 1.0
	v_fmac_f64_e32 v[206:207], v[206:207], v[214:215]
	v_fma_f64 v[214:215], -v[204:205], v[206:207], 1.0
	v_fmac_f64_e32 v[206:207], v[206:207], v[214:215]
	v_mul_f64 v[214:215], v[212:213], v[206:207]
	v_fma_f64 v[204:205], -v[204:205], v[214:215], v[212:213]
	v_div_fmas_f64 v[204:205], v[204:205], v[206:207], v[214:215]
	v_div_fixup_f64 v[206:207], v[204:205], v[208:209], v[210:211]
	v_fmac_f64_e32 v[208:209], v[210:211], v[206:207]
	v_div_scale_f64 v[204:205], s[10:11], v[208:209], v[208:209], 1.0
	v_rcp_f64_e32 v[210:211], v[204:205]
	s_nop 0
	v_fma_f64 v[212:213], -v[204:205], v[210:211], 1.0
	v_fmac_f64_e32 v[210:211], v[210:211], v[212:213]
	v_fma_f64 v[212:213], -v[204:205], v[210:211], 1.0
	v_fmac_f64_e32 v[210:211], v[210:211], v[212:213]
	v_div_scale_f64 v[212:213], vcc, 1.0, v[208:209], 1.0
	v_mul_f64 v[214:215], v[212:213], v[210:211]
	v_fma_f64 v[204:205], -v[204:205], v[214:215], v[212:213]
	s_nop 1
	v_div_fmas_f64 v[204:205], v[204:205], v[210:211], v[214:215]
	v_div_fixup_f64 v[204:205], v[204:205], v[208:209], 1.0
	v_mul_f64 v[206:207], v[206:207], -v[204:205]
.LBB115_52:
	s_or_b64 exec, exec, s[2:3]
	ds_write2_b64 v201, v[204:205], v[206:207] offset1:1
.LBB115_53:
	s_or_b64 exec, exec, s[4:5]
	s_waitcnt lgkmcnt(0)
	s_barrier
	ds_read2_b64 v[192:195], v201 offset1:1
	v_cmp_lt_u32_e32 vcc, 5, v200
	s_waitcnt lgkmcnt(0)
	scratch_store_dwordx4 off, v[192:195], off offset:672 ; 16-byte Folded Spill
	s_and_saveexec_b64 s[2:3], vcc
	s_cbranch_execz .LBB115_55
; %bb.54:
	scratch_load_dwordx4 v[210:213], off, off offset:32 ; 16-byte Folded Reload
	scratch_load_dwordx4 v[192:195], off, off offset:672 ; 16-byte Folded Reload
	s_waitcnt vmcnt(0)
	v_mul_f64 v[204:205], v[194:195], v[212:213]
	v_mul_f64 v[212:213], v[192:193], v[212:213]
	v_fma_f64 v[208:209], v[192:193], v[210:211], -v[204:205]
	v_fmac_f64_e32 v[212:213], v[194:195], v[210:211]
	scratch_load_dwordx4 v[192:195], off, off offset:16 ; 16-byte Folded Reload
	ds_read2_b64 v[204:207], v202 offset0:12 offset1:13
	s_waitcnt lgkmcnt(0)
	v_mul_f64 v[210:211], v[206:207], v[212:213]
	v_fma_f64 v[210:211], v[204:205], v[208:209], -v[210:211]
	v_mul_f64 v[204:205], v[204:205], v[212:213]
	v_fmac_f64_e32 v[204:205], v[206:207], v[208:209]
	s_waitcnt vmcnt(0)
	v_add_f64 v[192:193], v[192:193], -v[210:211]
	v_add_f64 v[194:195], v[194:195], -v[204:205]
	scratch_store_dwordx4 off, v[192:195], off offset:16 ; 16-byte Folded Spill
	scratch_load_dwordx4 v[192:195], off, off ; 16-byte Folded Reload
	ds_read2_b64 v[204:207], v202 offset0:14 offset1:15
	s_waitcnt lgkmcnt(0)
	v_mul_f64 v[210:211], v[206:207], v[212:213]
	v_fma_f64 v[210:211], v[204:205], v[208:209], -v[210:211]
	v_mul_f64 v[204:205], v[204:205], v[212:213]
	v_fmac_f64_e32 v[204:205], v[206:207], v[208:209]
	v_add_f64 v[198:199], v[198:199], -v[204:205]
	ds_read2_b64 v[204:207], v202 offset0:16 offset1:17
	v_add_f64 v[196:197], v[196:197], -v[210:211]
	s_waitcnt lgkmcnt(0)
	v_mul_f64 v[210:211], v[206:207], v[212:213]
	v_fma_f64 v[210:211], v[204:205], v[208:209], -v[210:211]
	v_mul_f64 v[204:205], v[204:205], v[212:213]
	v_fmac_f64_e32 v[204:205], v[206:207], v[208:209]
	s_waitcnt vmcnt(0)
	v_add_f64 v[194:195], v[194:195], -v[204:205]
	ds_read2_b64 v[204:207], v202 offset0:18 offset1:19
	v_add_f64 v[192:193], v[192:193], -v[210:211]
	scratch_store_dwordx4 off, v[192:195], off ; 16-byte Folded Spill
	s_waitcnt lgkmcnt(0)
	v_mul_f64 v[210:211], v[206:207], v[212:213]
	v_fma_f64 v[210:211], v[204:205], v[208:209], -v[210:211]
	v_mul_f64 v[204:205], v[204:205], v[212:213]
	v_fmac_f64_e32 v[204:205], v[206:207], v[208:209]
	v_add_f64 v[190:191], v[190:191], -v[204:205]
	ds_read2_b64 v[204:207], v202 offset0:20 offset1:21
	v_add_f64 v[188:189], v[188:189], -v[210:211]
	s_waitcnt lgkmcnt(0)
	v_mul_f64 v[210:211], v[206:207], v[212:213]
	v_fma_f64 v[210:211], v[204:205], v[208:209], -v[210:211]
	v_mul_f64 v[204:205], v[204:205], v[212:213]
	v_fmac_f64_e32 v[204:205], v[206:207], v[208:209]
	v_add_f64 v[186:187], v[186:187], -v[204:205]
	ds_read2_b64 v[204:207], v202 offset0:22 offset1:23
	v_add_f64 v[184:185], v[184:185], -v[210:211]
	;; [unrolled: 8-line block ×48, first 2 shown]
	s_waitcnt lgkmcnt(0)
	v_mul_f64 v[210:211], v[206:207], v[212:213]
	v_fma_f64 v[210:211], v[204:205], v[208:209], -v[210:211]
	v_mul_f64 v[204:205], v[204:205], v[212:213]
	v_fmac_f64_e32 v[204:205], v[206:207], v[208:209]
	v_add_f64 v[228:229], v[228:229], -v[210:211]
	v_add_f64 v[230:231], v[230:231], -v[204:205]
	v_mov_b64_e32 v[210:211], v[208:209]
	scratch_store_dwordx4 off, v[210:213], off offset:32 ; 16-byte Folded Spill
.LBB115_55:
	s_or_b64 exec, exec, s[2:3]
	v_cmp_eq_u32_e32 vcc, 6, v200
	s_waitcnt vmcnt(63) expcnt(7) lgkmcnt(15)
	s_barrier
	s_and_saveexec_b64 s[4:5], vcc
	s_cbranch_execz .LBB115_62
; %bb.56:
	scratch_load_dwordx4 v[192:195], off, off offset:16 ; 16-byte Folded Reload
	s_waitcnt vmcnt(0)
	ds_write2_b64 v201, v[192:193], v[194:195] offset1:1
	ds_write2_b64 v202, v[196:197], v[198:199] offset0:14 offset1:15
	scratch_load_dwordx4 v[192:195], off, off ; 16-byte Folded Reload
	s_waitcnt vmcnt(0)
	ds_write2_b64 v202, v[192:193], v[194:195] offset0:16 offset1:17
	ds_write2_b64 v202, v[188:189], v[190:191] offset0:18 offset1:19
	;; [unrolled: 1-line block ×50, first 2 shown]
	ds_read2_b64 v[208:211], v201 offset1:1
	s_waitcnt lgkmcnt(0)
	v_cmp_neq_f64_e32 vcc, 0, v[208:209]
	v_cmp_neq_f64_e64 s[2:3], 0, v[210:211]
	s_or_b64 s[2:3], vcc, s[2:3]
	s_and_b64 exec, exec, s[2:3]
	s_cbranch_execz .LBB115_62
; %bb.57:
	v_cmp_ngt_f64_e64 s[2:3], |v[208:209]|, |v[210:211]|
                                        ; implicit-def: $vgpr204_vgpr205
	s_and_saveexec_b64 s[10:11], s[2:3]
	s_xor_b64 s[2:3], exec, s[10:11]
                                        ; implicit-def: $vgpr206_vgpr207
	s_cbranch_execz .LBB115_59
; %bb.58:
	v_div_scale_f64 v[204:205], s[10:11], v[210:211], v[210:211], v[208:209]
	v_rcp_f64_e32 v[206:207], v[204:205]
	v_div_scale_f64 v[212:213], vcc, v[208:209], v[210:211], v[208:209]
	v_fma_f64 v[214:215], -v[204:205], v[206:207], 1.0
	v_fmac_f64_e32 v[206:207], v[206:207], v[214:215]
	v_fma_f64 v[214:215], -v[204:205], v[206:207], 1.0
	v_fmac_f64_e32 v[206:207], v[206:207], v[214:215]
	v_mul_f64 v[214:215], v[212:213], v[206:207]
	v_fma_f64 v[204:205], -v[204:205], v[214:215], v[212:213]
	v_div_fmas_f64 v[204:205], v[204:205], v[206:207], v[214:215]
	v_div_fixup_f64 v[204:205], v[204:205], v[210:211], v[208:209]
	v_fmac_f64_e32 v[210:211], v[208:209], v[204:205]
	v_div_scale_f64 v[206:207], s[10:11], v[210:211], v[210:211], 1.0
	v_rcp_f64_e32 v[208:209], v[206:207]
	s_nop 0
	v_fma_f64 v[212:213], -v[206:207], v[208:209], 1.0
	v_fmac_f64_e32 v[208:209], v[208:209], v[212:213]
	v_fma_f64 v[212:213], -v[206:207], v[208:209], 1.0
	v_fmac_f64_e32 v[208:209], v[208:209], v[212:213]
	v_div_scale_f64 v[212:213], vcc, 1.0, v[210:211], 1.0
	v_mul_f64 v[214:215], v[212:213], v[208:209]
	v_fma_f64 v[206:207], -v[206:207], v[214:215], v[212:213]
	s_nop 1
	v_div_fmas_f64 v[206:207], v[206:207], v[208:209], v[214:215]
	v_div_fixup_f64 v[206:207], v[206:207], v[210:211], 1.0
	v_mul_f64 v[204:205], v[204:205], v[206:207]
	v_xor_b32_e32 v207, 0x80000000, v207
                                        ; implicit-def: $vgpr208_vgpr209
.LBB115_59:
	s_andn2_saveexec_b64 s[2:3], s[2:3]
	s_cbranch_execz .LBB115_61
; %bb.60:
	v_div_scale_f64 v[204:205], s[10:11], v[208:209], v[208:209], v[210:211]
	v_rcp_f64_e32 v[206:207], v[204:205]
	v_div_scale_f64 v[212:213], vcc, v[210:211], v[208:209], v[210:211]
	v_fma_f64 v[214:215], -v[204:205], v[206:207], 1.0
	v_fmac_f64_e32 v[206:207], v[206:207], v[214:215]
	v_fma_f64 v[214:215], -v[204:205], v[206:207], 1.0
	v_fmac_f64_e32 v[206:207], v[206:207], v[214:215]
	v_mul_f64 v[214:215], v[212:213], v[206:207]
	v_fma_f64 v[204:205], -v[204:205], v[214:215], v[212:213]
	v_div_fmas_f64 v[204:205], v[204:205], v[206:207], v[214:215]
	v_div_fixup_f64 v[206:207], v[204:205], v[208:209], v[210:211]
	v_fmac_f64_e32 v[208:209], v[210:211], v[206:207]
	v_div_scale_f64 v[204:205], s[10:11], v[208:209], v[208:209], 1.0
	v_rcp_f64_e32 v[210:211], v[204:205]
	s_nop 0
	v_fma_f64 v[212:213], -v[204:205], v[210:211], 1.0
	v_fmac_f64_e32 v[210:211], v[210:211], v[212:213]
	v_fma_f64 v[212:213], -v[204:205], v[210:211], 1.0
	v_fmac_f64_e32 v[210:211], v[210:211], v[212:213]
	v_div_scale_f64 v[212:213], vcc, 1.0, v[208:209], 1.0
	v_mul_f64 v[214:215], v[212:213], v[210:211]
	v_fma_f64 v[204:205], -v[204:205], v[214:215], v[212:213]
	s_nop 1
	v_div_fmas_f64 v[204:205], v[204:205], v[210:211], v[214:215]
	v_div_fixup_f64 v[204:205], v[204:205], v[208:209], 1.0
	v_mul_f64 v[206:207], v[206:207], -v[204:205]
.LBB115_61:
	s_or_b64 exec, exec, s[2:3]
	ds_write2_b64 v201, v[204:205], v[206:207] offset1:1
.LBB115_62:
	s_or_b64 exec, exec, s[4:5]
	s_waitcnt lgkmcnt(0)
	s_barrier
	ds_read2_b64 v[192:195], v201 offset1:1
	v_cmp_lt_u32_e32 vcc, 6, v200
	s_waitcnt lgkmcnt(0)
	scratch_store_dwordx4 off, v[192:195], off offset:688 ; 16-byte Folded Spill
	s_and_saveexec_b64 s[2:3], vcc
	s_cbranch_execz .LBB115_64
; %bb.63:
	scratch_load_dwordx4 v[210:213], off, off offset:16 ; 16-byte Folded Reload
	scratch_load_dwordx4 v[192:195], off, off offset:688 ; 16-byte Folded Reload
	s_waitcnt vmcnt(0)
	v_mul_f64 v[204:205], v[194:195], v[212:213]
	v_mul_f64 v[212:213], v[192:193], v[212:213]
	v_fma_f64 v[208:209], v[192:193], v[210:211], -v[204:205]
	v_fmac_f64_e32 v[212:213], v[194:195], v[210:211]
	scratch_load_dwordx4 v[192:195], off, off ; 16-byte Folded Reload
	ds_read2_b64 v[204:207], v202 offset0:14 offset1:15
	s_waitcnt lgkmcnt(0)
	v_mul_f64 v[210:211], v[206:207], v[212:213]
	v_fma_f64 v[210:211], v[204:205], v[208:209], -v[210:211]
	v_mul_f64 v[204:205], v[204:205], v[212:213]
	v_fmac_f64_e32 v[204:205], v[206:207], v[208:209]
	v_add_f64 v[198:199], v[198:199], -v[204:205]
	ds_read2_b64 v[204:207], v202 offset0:16 offset1:17
	v_add_f64 v[196:197], v[196:197], -v[210:211]
	s_waitcnt lgkmcnt(0)
	v_mul_f64 v[210:211], v[206:207], v[212:213]
	v_fma_f64 v[210:211], v[204:205], v[208:209], -v[210:211]
	v_mul_f64 v[204:205], v[204:205], v[212:213]
	v_fmac_f64_e32 v[204:205], v[206:207], v[208:209]
	s_waitcnt vmcnt(0)
	v_add_f64 v[194:195], v[194:195], -v[204:205]
	ds_read2_b64 v[204:207], v202 offset0:18 offset1:19
	v_add_f64 v[192:193], v[192:193], -v[210:211]
	scratch_store_dwordx4 off, v[192:195], off ; 16-byte Folded Spill
	s_waitcnt lgkmcnt(0)
	v_mul_f64 v[210:211], v[206:207], v[212:213]
	v_fma_f64 v[210:211], v[204:205], v[208:209], -v[210:211]
	v_mul_f64 v[204:205], v[204:205], v[212:213]
	v_fmac_f64_e32 v[204:205], v[206:207], v[208:209]
	v_add_f64 v[190:191], v[190:191], -v[204:205]
	ds_read2_b64 v[204:207], v202 offset0:20 offset1:21
	v_add_f64 v[188:189], v[188:189], -v[210:211]
	s_waitcnt lgkmcnt(0)
	v_mul_f64 v[210:211], v[206:207], v[212:213]
	v_fma_f64 v[210:211], v[204:205], v[208:209], -v[210:211]
	v_mul_f64 v[204:205], v[204:205], v[212:213]
	v_fmac_f64_e32 v[204:205], v[206:207], v[208:209]
	v_add_f64 v[186:187], v[186:187], -v[204:205]
	ds_read2_b64 v[204:207], v202 offset0:22 offset1:23
	v_add_f64 v[184:185], v[184:185], -v[210:211]
	;; [unrolled: 8-line block ×48, first 2 shown]
	s_waitcnt lgkmcnt(0)
	v_mul_f64 v[210:211], v[206:207], v[212:213]
	v_fma_f64 v[210:211], v[204:205], v[208:209], -v[210:211]
	v_mul_f64 v[204:205], v[204:205], v[212:213]
	v_fmac_f64_e32 v[204:205], v[206:207], v[208:209]
	v_add_f64 v[228:229], v[228:229], -v[210:211]
	v_add_f64 v[230:231], v[230:231], -v[204:205]
	v_mov_b64_e32 v[210:211], v[208:209]
	scratch_store_dwordx4 off, v[210:213], off offset:16 ; 16-byte Folded Spill
.LBB115_64:
	s_or_b64 exec, exec, s[2:3]
	v_cmp_eq_u32_e32 vcc, 7, v200
	s_waitcnt vmcnt(63) expcnt(7) lgkmcnt(15)
	s_barrier
	s_and_saveexec_b64 s[4:5], vcc
	s_cbranch_execz .LBB115_71
; %bb.65:
	scratch_load_dwordx4 v[192:195], off, off ; 16-byte Folded Reload
	ds_write2_b64 v201, v[196:197], v[198:199] offset1:1
	s_waitcnt vmcnt(0)
	ds_write2_b64 v202, v[192:193], v[194:195] offset0:16 offset1:17
	ds_write2_b64 v202, v[188:189], v[190:191] offset0:18 offset1:19
	;; [unrolled: 1-line block ×50, first 2 shown]
	ds_read2_b64 v[208:211], v201 offset1:1
	s_waitcnt lgkmcnt(0)
	v_cmp_neq_f64_e32 vcc, 0, v[208:209]
	v_cmp_neq_f64_e64 s[2:3], 0, v[210:211]
	s_or_b64 s[2:3], vcc, s[2:3]
	s_and_b64 exec, exec, s[2:3]
	s_cbranch_execz .LBB115_71
; %bb.66:
	v_cmp_ngt_f64_e64 s[2:3], |v[208:209]|, |v[210:211]|
                                        ; implicit-def: $vgpr204_vgpr205
	s_and_saveexec_b64 s[10:11], s[2:3]
	s_xor_b64 s[2:3], exec, s[10:11]
                                        ; implicit-def: $vgpr206_vgpr207
	s_cbranch_execz .LBB115_68
; %bb.67:
	v_div_scale_f64 v[204:205], s[10:11], v[210:211], v[210:211], v[208:209]
	v_rcp_f64_e32 v[206:207], v[204:205]
	v_div_scale_f64 v[212:213], vcc, v[208:209], v[210:211], v[208:209]
	v_fma_f64 v[214:215], -v[204:205], v[206:207], 1.0
	v_fmac_f64_e32 v[206:207], v[206:207], v[214:215]
	v_fma_f64 v[214:215], -v[204:205], v[206:207], 1.0
	v_fmac_f64_e32 v[206:207], v[206:207], v[214:215]
	v_mul_f64 v[214:215], v[212:213], v[206:207]
	v_fma_f64 v[204:205], -v[204:205], v[214:215], v[212:213]
	v_div_fmas_f64 v[204:205], v[204:205], v[206:207], v[214:215]
	v_div_fixup_f64 v[204:205], v[204:205], v[210:211], v[208:209]
	v_fmac_f64_e32 v[210:211], v[208:209], v[204:205]
	v_div_scale_f64 v[206:207], s[10:11], v[210:211], v[210:211], 1.0
	v_rcp_f64_e32 v[208:209], v[206:207]
	s_nop 0
	v_fma_f64 v[212:213], -v[206:207], v[208:209], 1.0
	v_fmac_f64_e32 v[208:209], v[208:209], v[212:213]
	v_fma_f64 v[212:213], -v[206:207], v[208:209], 1.0
	v_fmac_f64_e32 v[208:209], v[208:209], v[212:213]
	v_div_scale_f64 v[212:213], vcc, 1.0, v[210:211], 1.0
	v_mul_f64 v[214:215], v[212:213], v[208:209]
	v_fma_f64 v[206:207], -v[206:207], v[214:215], v[212:213]
	s_nop 1
	v_div_fmas_f64 v[206:207], v[206:207], v[208:209], v[214:215]
	v_div_fixup_f64 v[206:207], v[206:207], v[210:211], 1.0
	v_mul_f64 v[204:205], v[204:205], v[206:207]
	v_xor_b32_e32 v207, 0x80000000, v207
                                        ; implicit-def: $vgpr208_vgpr209
.LBB115_68:
	s_andn2_saveexec_b64 s[2:3], s[2:3]
	s_cbranch_execz .LBB115_70
; %bb.69:
	v_div_scale_f64 v[204:205], s[10:11], v[208:209], v[208:209], v[210:211]
	v_rcp_f64_e32 v[206:207], v[204:205]
	v_div_scale_f64 v[212:213], vcc, v[210:211], v[208:209], v[210:211]
	v_fma_f64 v[214:215], -v[204:205], v[206:207], 1.0
	v_fmac_f64_e32 v[206:207], v[206:207], v[214:215]
	v_fma_f64 v[214:215], -v[204:205], v[206:207], 1.0
	v_fmac_f64_e32 v[206:207], v[206:207], v[214:215]
	v_mul_f64 v[214:215], v[212:213], v[206:207]
	v_fma_f64 v[204:205], -v[204:205], v[214:215], v[212:213]
	v_div_fmas_f64 v[204:205], v[204:205], v[206:207], v[214:215]
	v_div_fixup_f64 v[206:207], v[204:205], v[208:209], v[210:211]
	v_fmac_f64_e32 v[208:209], v[210:211], v[206:207]
	v_div_scale_f64 v[204:205], s[10:11], v[208:209], v[208:209], 1.0
	v_rcp_f64_e32 v[210:211], v[204:205]
	s_nop 0
	v_fma_f64 v[212:213], -v[204:205], v[210:211], 1.0
	v_fmac_f64_e32 v[210:211], v[210:211], v[212:213]
	v_fma_f64 v[212:213], -v[204:205], v[210:211], 1.0
	v_fmac_f64_e32 v[210:211], v[210:211], v[212:213]
	v_div_scale_f64 v[212:213], vcc, 1.0, v[208:209], 1.0
	v_mul_f64 v[214:215], v[212:213], v[210:211]
	v_fma_f64 v[204:205], -v[204:205], v[214:215], v[212:213]
	s_nop 1
	v_div_fmas_f64 v[204:205], v[204:205], v[210:211], v[214:215]
	v_div_fixup_f64 v[204:205], v[204:205], v[208:209], 1.0
	v_mul_f64 v[206:207], v[206:207], -v[204:205]
.LBB115_70:
	s_or_b64 exec, exec, s[2:3]
	ds_write2_b64 v201, v[204:205], v[206:207] offset1:1
.LBB115_71:
	s_or_b64 exec, exec, s[4:5]
	s_waitcnt lgkmcnt(0)
	s_barrier
	ds_read2_b64 v[192:195], v201 offset1:1
	v_cmp_lt_u32_e32 vcc, 7, v200
	s_waitcnt lgkmcnt(0)
	scratch_store_dwordx4 off, v[192:195], off offset:704 ; 16-byte Folded Spill
	s_and_saveexec_b64 s[2:3], vcc
	s_cbranch_execz .LBB115_73
; %bb.72:
	scratch_load_dwordx4 v[192:195], off, off offset:704 ; 16-byte Folded Reload
	s_waitcnt vmcnt(0)
	v_mul_f64 v[204:205], v[194:195], v[198:199]
	v_mul_f64 v[198:199], v[192:193], v[198:199]
	v_fma_f64 v[208:209], v[192:193], v[196:197], -v[204:205]
	v_fmac_f64_e32 v[198:199], v[194:195], v[196:197]
	scratch_load_dwordx4 v[192:195], off, off ; 16-byte Folded Reload
	ds_read2_b64 v[204:207], v202 offset0:16 offset1:17
	s_waitcnt lgkmcnt(0)
	v_mul_f64 v[196:197], v[206:207], v[198:199]
	v_fma_f64 v[196:197], v[204:205], v[208:209], -v[196:197]
	v_mul_f64 v[204:205], v[204:205], v[198:199]
	v_fmac_f64_e32 v[204:205], v[206:207], v[208:209]
	s_waitcnt vmcnt(0)
	v_add_f64 v[194:195], v[194:195], -v[204:205]
	ds_read2_b64 v[204:207], v202 offset0:18 offset1:19
	v_add_f64 v[192:193], v[192:193], -v[196:197]
	scratch_store_dwordx4 off, v[192:195], off ; 16-byte Folded Spill
	s_waitcnt lgkmcnt(0)
	v_mul_f64 v[196:197], v[206:207], v[198:199]
	v_fma_f64 v[196:197], v[204:205], v[208:209], -v[196:197]
	v_mul_f64 v[204:205], v[204:205], v[198:199]
	v_fmac_f64_e32 v[204:205], v[206:207], v[208:209]
	v_add_f64 v[190:191], v[190:191], -v[204:205]
	ds_read2_b64 v[204:207], v202 offset0:20 offset1:21
	v_add_f64 v[188:189], v[188:189], -v[196:197]
	s_waitcnt lgkmcnt(0)
	v_mul_f64 v[196:197], v[206:207], v[198:199]
	v_fma_f64 v[196:197], v[204:205], v[208:209], -v[196:197]
	v_mul_f64 v[204:205], v[204:205], v[198:199]
	v_fmac_f64_e32 v[204:205], v[206:207], v[208:209]
	v_add_f64 v[186:187], v[186:187], -v[204:205]
	ds_read2_b64 v[204:207], v202 offset0:22 offset1:23
	v_add_f64 v[184:185], v[184:185], -v[196:197]
	;; [unrolled: 8-line block ×48, first 2 shown]
	s_waitcnt lgkmcnt(0)
	v_mul_f64 v[196:197], v[206:207], v[198:199]
	v_fma_f64 v[196:197], v[204:205], v[208:209], -v[196:197]
	v_mul_f64 v[204:205], v[204:205], v[198:199]
	v_fmac_f64_e32 v[204:205], v[206:207], v[208:209]
	v_add_f64 v[228:229], v[228:229], -v[196:197]
	v_add_f64 v[230:231], v[230:231], -v[204:205]
	v_mov_b64_e32 v[196:197], v[208:209]
.LBB115_73:
	s_or_b64 exec, exec, s[2:3]
	v_cmp_eq_u32_e32 vcc, 8, v200
	s_waitcnt vmcnt(63) expcnt(7) lgkmcnt(15)
	s_barrier
	s_and_saveexec_b64 s[4:5], vcc
	s_cbranch_execz .LBB115_80
; %bb.74:
	scratch_load_dwordx4 v[192:195], off, off ; 16-byte Folded Reload
	s_waitcnt vmcnt(0)
	ds_write2_b64 v201, v[192:193], v[194:195] offset1:1
	ds_write2_b64 v202, v[188:189], v[190:191] offset0:18 offset1:19
	ds_write2_b64 v202, v[184:185], v[186:187] offset0:20 offset1:21
	;; [unrolled: 1-line block ×49, first 2 shown]
	ds_read2_b64 v[208:211], v201 offset1:1
	s_waitcnt lgkmcnt(0)
	v_cmp_neq_f64_e32 vcc, 0, v[208:209]
	v_cmp_neq_f64_e64 s[2:3], 0, v[210:211]
	s_or_b64 s[2:3], vcc, s[2:3]
	s_and_b64 exec, exec, s[2:3]
	s_cbranch_execz .LBB115_80
; %bb.75:
	v_cmp_ngt_f64_e64 s[2:3], |v[208:209]|, |v[210:211]|
                                        ; implicit-def: $vgpr204_vgpr205
	s_and_saveexec_b64 s[10:11], s[2:3]
	s_xor_b64 s[2:3], exec, s[10:11]
                                        ; implicit-def: $vgpr206_vgpr207
	s_cbranch_execz .LBB115_77
; %bb.76:
	v_div_scale_f64 v[204:205], s[10:11], v[210:211], v[210:211], v[208:209]
	v_rcp_f64_e32 v[206:207], v[204:205]
	v_div_scale_f64 v[212:213], vcc, v[208:209], v[210:211], v[208:209]
	v_fma_f64 v[214:215], -v[204:205], v[206:207], 1.0
	v_fmac_f64_e32 v[206:207], v[206:207], v[214:215]
	v_fma_f64 v[214:215], -v[204:205], v[206:207], 1.0
	v_fmac_f64_e32 v[206:207], v[206:207], v[214:215]
	v_mul_f64 v[214:215], v[212:213], v[206:207]
	v_fma_f64 v[204:205], -v[204:205], v[214:215], v[212:213]
	v_div_fmas_f64 v[204:205], v[204:205], v[206:207], v[214:215]
	v_div_fixup_f64 v[204:205], v[204:205], v[210:211], v[208:209]
	v_fmac_f64_e32 v[210:211], v[208:209], v[204:205]
	v_div_scale_f64 v[206:207], s[10:11], v[210:211], v[210:211], 1.0
	v_rcp_f64_e32 v[208:209], v[206:207]
	s_nop 0
	v_fma_f64 v[212:213], -v[206:207], v[208:209], 1.0
	v_fmac_f64_e32 v[208:209], v[208:209], v[212:213]
	v_fma_f64 v[212:213], -v[206:207], v[208:209], 1.0
	v_fmac_f64_e32 v[208:209], v[208:209], v[212:213]
	v_div_scale_f64 v[212:213], vcc, 1.0, v[210:211], 1.0
	v_mul_f64 v[214:215], v[212:213], v[208:209]
	v_fma_f64 v[206:207], -v[206:207], v[214:215], v[212:213]
	s_nop 1
	v_div_fmas_f64 v[206:207], v[206:207], v[208:209], v[214:215]
	v_div_fixup_f64 v[206:207], v[206:207], v[210:211], 1.0
	v_mul_f64 v[204:205], v[204:205], v[206:207]
	v_xor_b32_e32 v207, 0x80000000, v207
                                        ; implicit-def: $vgpr208_vgpr209
.LBB115_77:
	s_andn2_saveexec_b64 s[2:3], s[2:3]
	s_cbranch_execz .LBB115_79
; %bb.78:
	v_div_scale_f64 v[204:205], s[10:11], v[208:209], v[208:209], v[210:211]
	v_rcp_f64_e32 v[206:207], v[204:205]
	v_div_scale_f64 v[212:213], vcc, v[210:211], v[208:209], v[210:211]
	v_fma_f64 v[214:215], -v[204:205], v[206:207], 1.0
	v_fmac_f64_e32 v[206:207], v[206:207], v[214:215]
	v_fma_f64 v[214:215], -v[204:205], v[206:207], 1.0
	v_fmac_f64_e32 v[206:207], v[206:207], v[214:215]
	v_mul_f64 v[214:215], v[212:213], v[206:207]
	v_fma_f64 v[204:205], -v[204:205], v[214:215], v[212:213]
	v_div_fmas_f64 v[204:205], v[204:205], v[206:207], v[214:215]
	v_div_fixup_f64 v[206:207], v[204:205], v[208:209], v[210:211]
	v_fmac_f64_e32 v[208:209], v[210:211], v[206:207]
	v_div_scale_f64 v[204:205], s[10:11], v[208:209], v[208:209], 1.0
	v_rcp_f64_e32 v[210:211], v[204:205]
	s_nop 0
	v_fma_f64 v[212:213], -v[204:205], v[210:211], 1.0
	v_fmac_f64_e32 v[210:211], v[210:211], v[212:213]
	v_fma_f64 v[212:213], -v[204:205], v[210:211], 1.0
	v_fmac_f64_e32 v[210:211], v[210:211], v[212:213]
	v_div_scale_f64 v[212:213], vcc, 1.0, v[208:209], 1.0
	v_mul_f64 v[214:215], v[212:213], v[210:211]
	v_fma_f64 v[204:205], -v[204:205], v[214:215], v[212:213]
	s_nop 1
	v_div_fmas_f64 v[204:205], v[204:205], v[210:211], v[214:215]
	v_div_fixup_f64 v[204:205], v[204:205], v[208:209], 1.0
	v_mul_f64 v[206:207], v[206:207], -v[204:205]
.LBB115_79:
	s_or_b64 exec, exec, s[2:3]
	ds_write2_b64 v201, v[204:205], v[206:207] offset1:1
.LBB115_80:
	s_or_b64 exec, exec, s[4:5]
	s_waitcnt lgkmcnt(0)
	s_barrier
	ds_read2_b64 v[192:195], v201 offset1:1
	v_cmp_lt_u32_e32 vcc, 8, v200
	s_waitcnt lgkmcnt(0)
	scratch_store_dwordx4 off, v[192:195], off offset:720 ; 16-byte Folded Spill
	s_and_saveexec_b64 s[2:3], vcc
	s_cbranch_execz .LBB115_82
; %bb.81:
	scratch_load_dwordx4 v[192:195], off, off ; 16-byte Folded Reload
	scratch_load_dwordx4 v[210:213], off, off offset:720 ; 16-byte Folded Reload
	s_waitcnt vmcnt(0)
	v_mul_f64 v[204:205], v[212:213], v[194:195]
	v_fma_f64 v[208:209], v[210:211], v[192:193], -v[204:205]
	ds_read2_b64 v[204:207], v202 offset0:18 offset1:19
	v_mul_f64 v[194:195], v[210:211], v[194:195]
	v_fmac_f64_e32 v[194:195], v[212:213], v[192:193]
	s_waitcnt lgkmcnt(0)
	v_mul_f64 v[192:193], v[206:207], v[194:195]
	v_fma_f64 v[192:193], v[204:205], v[208:209], -v[192:193]
	v_mul_f64 v[204:205], v[204:205], v[194:195]
	v_fmac_f64_e32 v[204:205], v[206:207], v[208:209]
	v_add_f64 v[190:191], v[190:191], -v[204:205]
	ds_read2_b64 v[204:207], v202 offset0:20 offset1:21
	v_add_f64 v[188:189], v[188:189], -v[192:193]
	s_waitcnt lgkmcnt(0)
	v_mul_f64 v[192:193], v[206:207], v[194:195]
	v_fma_f64 v[192:193], v[204:205], v[208:209], -v[192:193]
	v_mul_f64 v[204:205], v[204:205], v[194:195]
	v_fmac_f64_e32 v[204:205], v[206:207], v[208:209]
	v_add_f64 v[186:187], v[186:187], -v[204:205]
	ds_read2_b64 v[204:207], v202 offset0:22 offset1:23
	v_add_f64 v[184:185], v[184:185], -v[192:193]
	;; [unrolled: 8-line block ×48, first 2 shown]
	s_waitcnt lgkmcnt(0)
	v_mul_f64 v[192:193], v[206:207], v[194:195]
	v_fma_f64 v[192:193], v[204:205], v[208:209], -v[192:193]
	v_mul_f64 v[204:205], v[204:205], v[194:195]
	v_fmac_f64_e32 v[204:205], v[206:207], v[208:209]
	v_add_f64 v[228:229], v[228:229], -v[192:193]
	v_add_f64 v[230:231], v[230:231], -v[204:205]
	v_mov_b64_e32 v[192:193], v[208:209]
	scratch_store_dwordx4 off, v[192:195], off ; 16-byte Folded Spill
.LBB115_82:
	s_or_b64 exec, exec, s[2:3]
	v_cmp_eq_u32_e32 vcc, 9, v200
	s_waitcnt vmcnt(63) expcnt(7) lgkmcnt(15)
	s_barrier
	s_and_saveexec_b64 s[4:5], vcc
	s_cbranch_execz .LBB115_89
; %bb.83:
	ds_write2_b64 v201, v[188:189], v[190:191] offset1:1
	ds_write2_b64 v202, v[184:185], v[186:187] offset0:20 offset1:21
	ds_write2_b64 v202, v[180:181], v[182:183] offset0:22 offset1:23
	;; [unrolled: 1-line block ×29, first 2 shown]
	s_waitcnt vmcnt(62)
	ds_write2_b64 v202, v[68:69], v[70:71] offset0:78 offset1:79
	s_waitcnt vmcnt(61)
	ds_write2_b64 v202, v[64:65], v[66:67] offset0:80 offset1:81
	;; [unrolled: 2-line block ×12, first 2 shown]
	ds_write2_b64 v202, v[20:21], v[22:23] offset0:102 offset1:103
	ds_write2_b64 v202, v[16:17], v[18:19] offset0:104 offset1:105
	;; [unrolled: 1-line block ×5, first 2 shown]
	s_waitcnt vmcnt(28)
	ds_write2_b64 v202, v[0:1], v[2:3] offset0:112 offset1:113
	s_waitcnt vmcnt(25)
	ds_write2_b64 v202, v[228:229], v[230:231] offset0:114 offset1:115
	ds_read2_b64 v[208:211], v201 offset1:1
	s_waitcnt lgkmcnt(0)
	v_cmp_neq_f64_e32 vcc, 0, v[208:209]
	v_cmp_neq_f64_e64 s[2:3], 0, v[210:211]
	s_or_b64 s[2:3], vcc, s[2:3]
	s_and_b64 exec, exec, s[2:3]
	s_cbranch_execz .LBB115_89
; %bb.84:
	v_cmp_ngt_f64_e64 s[2:3], |v[208:209]|, |v[210:211]|
                                        ; implicit-def: $vgpr204_vgpr205
	s_and_saveexec_b64 s[10:11], s[2:3]
	s_xor_b64 s[2:3], exec, s[10:11]
                                        ; implicit-def: $vgpr206_vgpr207
	s_cbranch_execz .LBB115_86
; %bb.85:
	v_div_scale_f64 v[204:205], s[10:11], v[210:211], v[210:211], v[208:209]
	v_rcp_f64_e32 v[206:207], v[204:205]
	v_div_scale_f64 v[212:213], vcc, v[208:209], v[210:211], v[208:209]
	v_fma_f64 v[214:215], -v[204:205], v[206:207], 1.0
	v_fmac_f64_e32 v[206:207], v[206:207], v[214:215]
	v_fma_f64 v[214:215], -v[204:205], v[206:207], 1.0
	v_fmac_f64_e32 v[206:207], v[206:207], v[214:215]
	v_mul_f64 v[214:215], v[212:213], v[206:207]
	v_fma_f64 v[204:205], -v[204:205], v[214:215], v[212:213]
	v_div_fmas_f64 v[204:205], v[204:205], v[206:207], v[214:215]
	v_div_fixup_f64 v[204:205], v[204:205], v[210:211], v[208:209]
	v_fmac_f64_e32 v[210:211], v[208:209], v[204:205]
	v_div_scale_f64 v[206:207], s[10:11], v[210:211], v[210:211], 1.0
	v_rcp_f64_e32 v[208:209], v[206:207]
	s_nop 0
	v_fma_f64 v[212:213], -v[206:207], v[208:209], 1.0
	v_fmac_f64_e32 v[208:209], v[208:209], v[212:213]
	v_fma_f64 v[212:213], -v[206:207], v[208:209], 1.0
	v_fmac_f64_e32 v[208:209], v[208:209], v[212:213]
	v_div_scale_f64 v[212:213], vcc, 1.0, v[210:211], 1.0
	v_mul_f64 v[214:215], v[212:213], v[208:209]
	v_fma_f64 v[206:207], -v[206:207], v[214:215], v[212:213]
	s_nop 1
	v_div_fmas_f64 v[206:207], v[206:207], v[208:209], v[214:215]
	v_div_fixup_f64 v[206:207], v[206:207], v[210:211], 1.0
	v_mul_f64 v[204:205], v[204:205], v[206:207]
	v_xor_b32_e32 v207, 0x80000000, v207
                                        ; implicit-def: $vgpr208_vgpr209
.LBB115_86:
	s_andn2_saveexec_b64 s[2:3], s[2:3]
	s_cbranch_execz .LBB115_88
; %bb.87:
	v_div_scale_f64 v[204:205], s[10:11], v[208:209], v[208:209], v[210:211]
	v_rcp_f64_e32 v[206:207], v[204:205]
	v_div_scale_f64 v[212:213], vcc, v[210:211], v[208:209], v[210:211]
	v_fma_f64 v[214:215], -v[204:205], v[206:207], 1.0
	v_fmac_f64_e32 v[206:207], v[206:207], v[214:215]
	v_fma_f64 v[214:215], -v[204:205], v[206:207], 1.0
	v_fmac_f64_e32 v[206:207], v[206:207], v[214:215]
	v_mul_f64 v[214:215], v[212:213], v[206:207]
	v_fma_f64 v[204:205], -v[204:205], v[214:215], v[212:213]
	v_div_fmas_f64 v[204:205], v[204:205], v[206:207], v[214:215]
	v_div_fixup_f64 v[206:207], v[204:205], v[208:209], v[210:211]
	v_fmac_f64_e32 v[208:209], v[210:211], v[206:207]
	v_div_scale_f64 v[204:205], s[10:11], v[208:209], v[208:209], 1.0
	v_rcp_f64_e32 v[210:211], v[204:205]
	s_nop 0
	v_fma_f64 v[212:213], -v[204:205], v[210:211], 1.0
	v_fmac_f64_e32 v[210:211], v[210:211], v[212:213]
	v_fma_f64 v[212:213], -v[204:205], v[210:211], 1.0
	v_fmac_f64_e32 v[210:211], v[210:211], v[212:213]
	v_div_scale_f64 v[212:213], vcc, 1.0, v[208:209], 1.0
	v_mul_f64 v[214:215], v[212:213], v[210:211]
	v_fma_f64 v[204:205], -v[204:205], v[214:215], v[212:213]
	s_nop 1
	v_div_fmas_f64 v[204:205], v[204:205], v[210:211], v[214:215]
	v_div_fixup_f64 v[204:205], v[204:205], v[208:209], 1.0
	v_mul_f64 v[206:207], v[206:207], -v[204:205]
.LBB115_88:
	s_or_b64 exec, exec, s[2:3]
	ds_write2_b64 v201, v[204:205], v[206:207] offset1:1
.LBB115_89:
	s_or_b64 exec, exec, s[4:5]
	s_waitcnt lgkmcnt(0)
	s_barrier
	ds_read2_b64 v[192:195], v201 offset1:1
	v_cmp_lt_u32_e32 vcc, 9, v200
	s_waitcnt lgkmcnt(0)
	scratch_store_dwordx4 off, v[192:195], off offset:736 ; 16-byte Folded Spill
	s_and_saveexec_b64 s[2:3], vcc
	s_cbranch_execz .LBB115_91
; %bb.90:
	scratch_load_dwordx4 v[192:195], off, off offset:736 ; 16-byte Folded Reload
	s_waitcnt vmcnt(0)
	v_mul_f64 v[204:205], v[194:195], v[190:191]
	v_fma_f64 v[208:209], v[192:193], v[188:189], -v[204:205]
	ds_read2_b64 v[204:207], v202 offset0:20 offset1:21
	v_mul_f64 v[190:191], v[192:193], v[190:191]
	v_fmac_f64_e32 v[190:191], v[194:195], v[188:189]
	s_waitcnt lgkmcnt(0)
	v_mul_f64 v[188:189], v[206:207], v[190:191]
	v_fma_f64 v[188:189], v[204:205], v[208:209], -v[188:189]
	v_mul_f64 v[204:205], v[204:205], v[190:191]
	v_fmac_f64_e32 v[204:205], v[206:207], v[208:209]
	v_add_f64 v[186:187], v[186:187], -v[204:205]
	ds_read2_b64 v[204:207], v202 offset0:22 offset1:23
	v_add_f64 v[184:185], v[184:185], -v[188:189]
	s_waitcnt lgkmcnt(0)
	v_mul_f64 v[188:189], v[206:207], v[190:191]
	v_fma_f64 v[188:189], v[204:205], v[208:209], -v[188:189]
	v_mul_f64 v[204:205], v[204:205], v[190:191]
	v_fmac_f64_e32 v[204:205], v[206:207], v[208:209]
	v_add_f64 v[182:183], v[182:183], -v[204:205]
	ds_read2_b64 v[204:207], v202 offset0:24 offset1:25
	v_add_f64 v[180:181], v[180:181], -v[188:189]
	;; [unrolled: 8-line block ×47, first 2 shown]
	s_waitcnt lgkmcnt(0)
	v_mul_f64 v[188:189], v[206:207], v[190:191]
	v_fma_f64 v[188:189], v[204:205], v[208:209], -v[188:189]
	v_mul_f64 v[204:205], v[204:205], v[190:191]
	v_fmac_f64_e32 v[204:205], v[206:207], v[208:209]
	v_add_f64 v[228:229], v[228:229], -v[188:189]
	v_add_f64 v[230:231], v[230:231], -v[204:205]
	v_mov_b64_e32 v[188:189], v[208:209]
.LBB115_91:
	s_or_b64 exec, exec, s[2:3]
	v_cmp_eq_u32_e32 vcc, 10, v200
	s_waitcnt vmcnt(63) expcnt(7) lgkmcnt(15)
	s_barrier
	s_and_saveexec_b64 s[4:5], vcc
	s_cbranch_execz .LBB115_98
; %bb.92:
	ds_write2_b64 v201, v[184:185], v[186:187] offset1:1
	ds_write2_b64 v202, v[180:181], v[182:183] offset0:22 offset1:23
	ds_write2_b64 v202, v[176:177], v[178:179] offset0:24 offset1:25
	;; [unrolled: 1-line block ×29, first 2 shown]
	s_waitcnt vmcnt(62)
	ds_write2_b64 v202, v[64:65], v[66:67] offset0:80 offset1:81
	s_waitcnt vmcnt(39)
	ds_write2_b64 v202, v[60:61], v[62:63] offset0:82 offset1:83
	;; [unrolled: 2-line block ×11, first 2 shown]
	ds_write2_b64 v202, v[20:21], v[22:23] offset0:102 offset1:103
	ds_write2_b64 v202, v[16:17], v[18:19] offset0:104 offset1:105
	;; [unrolled: 1-line block ×5, first 2 shown]
	s_waitcnt vmcnt(29)
	ds_write2_b64 v202, v[0:1], v[2:3] offset0:112 offset1:113
	s_waitcnt vmcnt(26)
	ds_write2_b64 v202, v[228:229], v[230:231] offset0:114 offset1:115
	ds_read2_b64 v[208:211], v201 offset1:1
	s_waitcnt lgkmcnt(0)
	v_cmp_neq_f64_e32 vcc, 0, v[208:209]
	v_cmp_neq_f64_e64 s[2:3], 0, v[210:211]
	s_or_b64 s[2:3], vcc, s[2:3]
	s_and_b64 exec, exec, s[2:3]
	s_cbranch_execz .LBB115_98
; %bb.93:
	v_cmp_ngt_f64_e64 s[2:3], |v[208:209]|, |v[210:211]|
                                        ; implicit-def: $vgpr204_vgpr205
	s_and_saveexec_b64 s[10:11], s[2:3]
	s_xor_b64 s[2:3], exec, s[10:11]
                                        ; implicit-def: $vgpr206_vgpr207
	s_cbranch_execz .LBB115_95
; %bb.94:
	v_div_scale_f64 v[204:205], s[10:11], v[210:211], v[210:211], v[208:209]
	v_rcp_f64_e32 v[206:207], v[204:205]
	v_div_scale_f64 v[212:213], vcc, v[208:209], v[210:211], v[208:209]
	v_fma_f64 v[214:215], -v[204:205], v[206:207], 1.0
	v_fmac_f64_e32 v[206:207], v[206:207], v[214:215]
	v_fma_f64 v[214:215], -v[204:205], v[206:207], 1.0
	v_fmac_f64_e32 v[206:207], v[206:207], v[214:215]
	v_mul_f64 v[214:215], v[212:213], v[206:207]
	v_fma_f64 v[204:205], -v[204:205], v[214:215], v[212:213]
	v_div_fmas_f64 v[204:205], v[204:205], v[206:207], v[214:215]
	v_div_fixup_f64 v[204:205], v[204:205], v[210:211], v[208:209]
	v_fmac_f64_e32 v[210:211], v[208:209], v[204:205]
	v_div_scale_f64 v[206:207], s[10:11], v[210:211], v[210:211], 1.0
	v_rcp_f64_e32 v[208:209], v[206:207]
	s_nop 0
	v_fma_f64 v[212:213], -v[206:207], v[208:209], 1.0
	v_fmac_f64_e32 v[208:209], v[208:209], v[212:213]
	v_fma_f64 v[212:213], -v[206:207], v[208:209], 1.0
	v_fmac_f64_e32 v[208:209], v[208:209], v[212:213]
	v_div_scale_f64 v[212:213], vcc, 1.0, v[210:211], 1.0
	v_mul_f64 v[214:215], v[212:213], v[208:209]
	v_fma_f64 v[206:207], -v[206:207], v[214:215], v[212:213]
	s_nop 1
	v_div_fmas_f64 v[206:207], v[206:207], v[208:209], v[214:215]
	v_div_fixup_f64 v[206:207], v[206:207], v[210:211], 1.0
	v_mul_f64 v[204:205], v[204:205], v[206:207]
	v_xor_b32_e32 v207, 0x80000000, v207
                                        ; implicit-def: $vgpr208_vgpr209
.LBB115_95:
	s_andn2_saveexec_b64 s[2:3], s[2:3]
	s_cbranch_execz .LBB115_97
; %bb.96:
	v_div_scale_f64 v[204:205], s[10:11], v[208:209], v[208:209], v[210:211]
	v_rcp_f64_e32 v[206:207], v[204:205]
	v_div_scale_f64 v[212:213], vcc, v[210:211], v[208:209], v[210:211]
	v_fma_f64 v[214:215], -v[204:205], v[206:207], 1.0
	v_fmac_f64_e32 v[206:207], v[206:207], v[214:215]
	v_fma_f64 v[214:215], -v[204:205], v[206:207], 1.0
	v_fmac_f64_e32 v[206:207], v[206:207], v[214:215]
	v_mul_f64 v[214:215], v[212:213], v[206:207]
	v_fma_f64 v[204:205], -v[204:205], v[214:215], v[212:213]
	v_div_fmas_f64 v[204:205], v[204:205], v[206:207], v[214:215]
	v_div_fixup_f64 v[206:207], v[204:205], v[208:209], v[210:211]
	v_fmac_f64_e32 v[208:209], v[210:211], v[206:207]
	v_div_scale_f64 v[204:205], s[10:11], v[208:209], v[208:209], 1.0
	v_rcp_f64_e32 v[210:211], v[204:205]
	s_nop 0
	v_fma_f64 v[212:213], -v[204:205], v[210:211], 1.0
	v_fmac_f64_e32 v[210:211], v[210:211], v[212:213]
	v_fma_f64 v[212:213], -v[204:205], v[210:211], 1.0
	v_fmac_f64_e32 v[210:211], v[210:211], v[212:213]
	v_div_scale_f64 v[212:213], vcc, 1.0, v[208:209], 1.0
	v_mul_f64 v[214:215], v[212:213], v[210:211]
	v_fma_f64 v[204:205], -v[204:205], v[214:215], v[212:213]
	s_nop 1
	v_div_fmas_f64 v[204:205], v[204:205], v[210:211], v[214:215]
	v_div_fixup_f64 v[204:205], v[204:205], v[208:209], 1.0
	v_mul_f64 v[206:207], v[206:207], -v[204:205]
.LBB115_97:
	s_or_b64 exec, exec, s[2:3]
	ds_write2_b64 v201, v[204:205], v[206:207] offset1:1
.LBB115_98:
	s_or_b64 exec, exec, s[4:5]
	s_waitcnt lgkmcnt(0)
	s_barrier
	ds_read2_b64 v[192:195], v201 offset1:1
	v_cmp_lt_u32_e32 vcc, 10, v200
	s_waitcnt lgkmcnt(0)
	scratch_store_dwordx4 off, v[192:195], off offset:752 ; 16-byte Folded Spill
	s_and_saveexec_b64 s[2:3], vcc
	s_cbranch_execz .LBB115_100
; %bb.99:
	scratch_load_dwordx4 v[192:195], off, off offset:752 ; 16-byte Folded Reload
	s_waitcnt vmcnt(0)
	v_mul_f64 v[204:205], v[194:195], v[186:187]
	v_fma_f64 v[208:209], v[192:193], v[184:185], -v[204:205]
	ds_read2_b64 v[204:207], v202 offset0:22 offset1:23
	v_mul_f64 v[186:187], v[192:193], v[186:187]
	v_fmac_f64_e32 v[186:187], v[194:195], v[184:185]
	s_waitcnt lgkmcnt(0)
	v_mul_f64 v[184:185], v[206:207], v[186:187]
	v_fma_f64 v[184:185], v[204:205], v[208:209], -v[184:185]
	v_mul_f64 v[204:205], v[204:205], v[186:187]
	v_fmac_f64_e32 v[204:205], v[206:207], v[208:209]
	v_add_f64 v[182:183], v[182:183], -v[204:205]
	ds_read2_b64 v[204:207], v202 offset0:24 offset1:25
	v_add_f64 v[180:181], v[180:181], -v[184:185]
	s_waitcnt lgkmcnt(0)
	v_mul_f64 v[184:185], v[206:207], v[186:187]
	v_fma_f64 v[184:185], v[204:205], v[208:209], -v[184:185]
	v_mul_f64 v[204:205], v[204:205], v[186:187]
	v_fmac_f64_e32 v[204:205], v[206:207], v[208:209]
	v_add_f64 v[178:179], v[178:179], -v[204:205]
	ds_read2_b64 v[204:207], v202 offset0:26 offset1:27
	v_add_f64 v[176:177], v[176:177], -v[184:185]
	;; [unrolled: 8-line block ×46, first 2 shown]
	s_waitcnt lgkmcnt(0)
	v_mul_f64 v[184:185], v[206:207], v[186:187]
	v_fma_f64 v[184:185], v[204:205], v[208:209], -v[184:185]
	v_mul_f64 v[204:205], v[204:205], v[186:187]
	v_fmac_f64_e32 v[204:205], v[206:207], v[208:209]
	v_add_f64 v[228:229], v[228:229], -v[184:185]
	v_add_f64 v[230:231], v[230:231], -v[204:205]
	v_mov_b64_e32 v[184:185], v[208:209]
.LBB115_100:
	s_or_b64 exec, exec, s[2:3]
	v_cmp_eq_u32_e32 vcc, 11, v200
	s_waitcnt vmcnt(63) expcnt(7) lgkmcnt(15)
	s_barrier
	s_and_saveexec_b64 s[4:5], vcc
	s_cbranch_execz .LBB115_107
; %bb.101:
	ds_write2_b64 v201, v[180:181], v[182:183] offset1:1
	ds_write2_b64 v202, v[176:177], v[178:179] offset0:24 offset1:25
	ds_write2_b64 v202, v[172:173], v[174:175] offset0:26 offset1:27
	;; [unrolled: 1-line block ×29, first 2 shown]
	s_waitcnt vmcnt(40)
	ds_write2_b64 v202, v[60:61], v[62:63] offset0:82 offset1:83
	s_waitcnt vmcnt(39)
	ds_write2_b64 v202, v[56:57], v[58:59] offset0:84 offset1:85
	;; [unrolled: 2-line block ×10, first 2 shown]
	ds_write2_b64 v202, v[20:21], v[22:23] offset0:102 offset1:103
	ds_write2_b64 v202, v[16:17], v[18:19] offset0:104 offset1:105
	;; [unrolled: 1-line block ×5, first 2 shown]
	s_waitcnt vmcnt(30)
	ds_write2_b64 v202, v[0:1], v[2:3] offset0:112 offset1:113
	s_waitcnt vmcnt(27)
	ds_write2_b64 v202, v[228:229], v[230:231] offset0:114 offset1:115
	ds_read2_b64 v[208:211], v201 offset1:1
	s_waitcnt lgkmcnt(0)
	v_cmp_neq_f64_e32 vcc, 0, v[208:209]
	v_cmp_neq_f64_e64 s[2:3], 0, v[210:211]
	s_or_b64 s[2:3], vcc, s[2:3]
	s_and_b64 exec, exec, s[2:3]
	s_cbranch_execz .LBB115_107
; %bb.102:
	v_cmp_ngt_f64_e64 s[2:3], |v[208:209]|, |v[210:211]|
                                        ; implicit-def: $vgpr204_vgpr205
	s_and_saveexec_b64 s[10:11], s[2:3]
	s_xor_b64 s[2:3], exec, s[10:11]
                                        ; implicit-def: $vgpr206_vgpr207
	s_cbranch_execz .LBB115_104
; %bb.103:
	v_div_scale_f64 v[204:205], s[10:11], v[210:211], v[210:211], v[208:209]
	v_rcp_f64_e32 v[206:207], v[204:205]
	v_div_scale_f64 v[212:213], vcc, v[208:209], v[210:211], v[208:209]
	v_fma_f64 v[214:215], -v[204:205], v[206:207], 1.0
	v_fmac_f64_e32 v[206:207], v[206:207], v[214:215]
	v_fma_f64 v[214:215], -v[204:205], v[206:207], 1.0
	v_fmac_f64_e32 v[206:207], v[206:207], v[214:215]
	v_mul_f64 v[214:215], v[212:213], v[206:207]
	v_fma_f64 v[204:205], -v[204:205], v[214:215], v[212:213]
	v_div_fmas_f64 v[204:205], v[204:205], v[206:207], v[214:215]
	v_div_fixup_f64 v[204:205], v[204:205], v[210:211], v[208:209]
	v_fmac_f64_e32 v[210:211], v[208:209], v[204:205]
	v_div_scale_f64 v[206:207], s[10:11], v[210:211], v[210:211], 1.0
	v_rcp_f64_e32 v[208:209], v[206:207]
	s_nop 0
	v_fma_f64 v[212:213], -v[206:207], v[208:209], 1.0
	v_fmac_f64_e32 v[208:209], v[208:209], v[212:213]
	v_fma_f64 v[212:213], -v[206:207], v[208:209], 1.0
	v_fmac_f64_e32 v[208:209], v[208:209], v[212:213]
	v_div_scale_f64 v[212:213], vcc, 1.0, v[210:211], 1.0
	v_mul_f64 v[214:215], v[212:213], v[208:209]
	v_fma_f64 v[206:207], -v[206:207], v[214:215], v[212:213]
	s_nop 1
	v_div_fmas_f64 v[206:207], v[206:207], v[208:209], v[214:215]
	v_div_fixup_f64 v[206:207], v[206:207], v[210:211], 1.0
	v_mul_f64 v[204:205], v[204:205], v[206:207]
	v_xor_b32_e32 v207, 0x80000000, v207
                                        ; implicit-def: $vgpr208_vgpr209
.LBB115_104:
	s_andn2_saveexec_b64 s[2:3], s[2:3]
	s_cbranch_execz .LBB115_106
; %bb.105:
	v_div_scale_f64 v[204:205], s[10:11], v[208:209], v[208:209], v[210:211]
	v_rcp_f64_e32 v[206:207], v[204:205]
	v_div_scale_f64 v[212:213], vcc, v[210:211], v[208:209], v[210:211]
	v_fma_f64 v[214:215], -v[204:205], v[206:207], 1.0
	v_fmac_f64_e32 v[206:207], v[206:207], v[214:215]
	v_fma_f64 v[214:215], -v[204:205], v[206:207], 1.0
	v_fmac_f64_e32 v[206:207], v[206:207], v[214:215]
	v_mul_f64 v[214:215], v[212:213], v[206:207]
	v_fma_f64 v[204:205], -v[204:205], v[214:215], v[212:213]
	v_div_fmas_f64 v[204:205], v[204:205], v[206:207], v[214:215]
	v_div_fixup_f64 v[206:207], v[204:205], v[208:209], v[210:211]
	v_fmac_f64_e32 v[208:209], v[210:211], v[206:207]
	v_div_scale_f64 v[204:205], s[10:11], v[208:209], v[208:209], 1.0
	v_rcp_f64_e32 v[210:211], v[204:205]
	s_nop 0
	v_fma_f64 v[212:213], -v[204:205], v[210:211], 1.0
	v_fmac_f64_e32 v[210:211], v[210:211], v[212:213]
	v_fma_f64 v[212:213], -v[204:205], v[210:211], 1.0
	v_fmac_f64_e32 v[210:211], v[210:211], v[212:213]
	v_div_scale_f64 v[212:213], vcc, 1.0, v[208:209], 1.0
	v_mul_f64 v[214:215], v[212:213], v[210:211]
	v_fma_f64 v[204:205], -v[204:205], v[214:215], v[212:213]
	s_nop 1
	v_div_fmas_f64 v[204:205], v[204:205], v[210:211], v[214:215]
	v_div_fixup_f64 v[204:205], v[204:205], v[208:209], 1.0
	v_mul_f64 v[206:207], v[206:207], -v[204:205]
.LBB115_106:
	s_or_b64 exec, exec, s[2:3]
	ds_write2_b64 v201, v[204:205], v[206:207] offset1:1
.LBB115_107:
	s_or_b64 exec, exec, s[4:5]
	s_waitcnt lgkmcnt(0)
	s_barrier
	ds_read2_b64 v[192:195], v201 offset1:1
	v_cmp_lt_u32_e32 vcc, 11, v200
	s_waitcnt lgkmcnt(0)
	scratch_store_dwordx4 off, v[192:195], off offset:768 ; 16-byte Folded Spill
	s_and_saveexec_b64 s[2:3], vcc
	s_cbranch_execz .LBB115_109
; %bb.108:
	scratch_load_dwordx4 v[192:195], off, off offset:768 ; 16-byte Folded Reload
	s_waitcnt vmcnt(0)
	v_mul_f64 v[204:205], v[194:195], v[182:183]
	v_fma_f64 v[208:209], v[192:193], v[180:181], -v[204:205]
	ds_read2_b64 v[204:207], v202 offset0:24 offset1:25
	v_mul_f64 v[182:183], v[192:193], v[182:183]
	v_fmac_f64_e32 v[182:183], v[194:195], v[180:181]
	s_waitcnt lgkmcnt(0)
	v_mul_f64 v[180:181], v[206:207], v[182:183]
	v_fma_f64 v[180:181], v[204:205], v[208:209], -v[180:181]
	v_mul_f64 v[204:205], v[204:205], v[182:183]
	v_fmac_f64_e32 v[204:205], v[206:207], v[208:209]
	v_add_f64 v[178:179], v[178:179], -v[204:205]
	ds_read2_b64 v[204:207], v202 offset0:26 offset1:27
	v_add_f64 v[176:177], v[176:177], -v[180:181]
	s_waitcnt lgkmcnt(0)
	v_mul_f64 v[180:181], v[206:207], v[182:183]
	v_fma_f64 v[180:181], v[204:205], v[208:209], -v[180:181]
	v_mul_f64 v[204:205], v[204:205], v[182:183]
	v_fmac_f64_e32 v[204:205], v[206:207], v[208:209]
	v_add_f64 v[174:175], v[174:175], -v[204:205]
	ds_read2_b64 v[204:207], v202 offset0:28 offset1:29
	v_add_f64 v[172:173], v[172:173], -v[180:181]
	;; [unrolled: 8-line block ×45, first 2 shown]
	s_waitcnt lgkmcnt(0)
	v_mul_f64 v[180:181], v[206:207], v[182:183]
	v_fma_f64 v[180:181], v[204:205], v[208:209], -v[180:181]
	v_mul_f64 v[204:205], v[204:205], v[182:183]
	v_fmac_f64_e32 v[204:205], v[206:207], v[208:209]
	v_add_f64 v[228:229], v[228:229], -v[180:181]
	v_add_f64 v[230:231], v[230:231], -v[204:205]
	v_mov_b64_e32 v[180:181], v[208:209]
.LBB115_109:
	s_or_b64 exec, exec, s[2:3]
	v_cmp_eq_u32_e32 vcc, 12, v200
	s_waitcnt vmcnt(63) expcnt(7) lgkmcnt(15)
	s_barrier
	s_and_saveexec_b64 s[4:5], vcc
	s_cbranch_execz .LBB115_116
; %bb.110:
	ds_write2_b64 v201, v[176:177], v[178:179] offset1:1
	ds_write2_b64 v202, v[172:173], v[174:175] offset0:26 offset1:27
	ds_write2_b64 v202, v[168:169], v[170:171] offset0:28 offset1:29
	;; [unrolled: 1-line block ×28, first 2 shown]
	s_waitcnt vmcnt(41)
	ds_write2_b64 v202, v[60:61], v[62:63] offset0:82 offset1:83
	s_waitcnt vmcnt(40)
	ds_write2_b64 v202, v[56:57], v[58:59] offset0:84 offset1:85
	;; [unrolled: 2-line block ×10, first 2 shown]
	ds_write2_b64 v202, v[20:21], v[22:23] offset0:102 offset1:103
	ds_write2_b64 v202, v[16:17], v[18:19] offset0:104 offset1:105
	;; [unrolled: 1-line block ×5, first 2 shown]
	s_waitcnt vmcnt(31)
	ds_write2_b64 v202, v[0:1], v[2:3] offset0:112 offset1:113
	s_waitcnt vmcnt(28)
	ds_write2_b64 v202, v[228:229], v[230:231] offset0:114 offset1:115
	ds_read2_b64 v[208:211], v201 offset1:1
	s_waitcnt lgkmcnt(0)
	v_cmp_neq_f64_e32 vcc, 0, v[208:209]
	v_cmp_neq_f64_e64 s[2:3], 0, v[210:211]
	s_or_b64 s[2:3], vcc, s[2:3]
	s_and_b64 exec, exec, s[2:3]
	s_cbranch_execz .LBB115_116
; %bb.111:
	v_cmp_ngt_f64_e64 s[2:3], |v[208:209]|, |v[210:211]|
                                        ; implicit-def: $vgpr204_vgpr205
	s_and_saveexec_b64 s[10:11], s[2:3]
	s_xor_b64 s[2:3], exec, s[10:11]
                                        ; implicit-def: $vgpr206_vgpr207
	s_cbranch_execz .LBB115_113
; %bb.112:
	v_div_scale_f64 v[204:205], s[10:11], v[210:211], v[210:211], v[208:209]
	v_rcp_f64_e32 v[206:207], v[204:205]
	v_div_scale_f64 v[212:213], vcc, v[208:209], v[210:211], v[208:209]
	v_fma_f64 v[214:215], -v[204:205], v[206:207], 1.0
	v_fmac_f64_e32 v[206:207], v[206:207], v[214:215]
	v_fma_f64 v[214:215], -v[204:205], v[206:207], 1.0
	v_fmac_f64_e32 v[206:207], v[206:207], v[214:215]
	v_mul_f64 v[214:215], v[212:213], v[206:207]
	v_fma_f64 v[204:205], -v[204:205], v[214:215], v[212:213]
	v_div_fmas_f64 v[204:205], v[204:205], v[206:207], v[214:215]
	v_div_fixup_f64 v[204:205], v[204:205], v[210:211], v[208:209]
	v_fmac_f64_e32 v[210:211], v[208:209], v[204:205]
	v_div_scale_f64 v[206:207], s[10:11], v[210:211], v[210:211], 1.0
	v_rcp_f64_e32 v[208:209], v[206:207]
	s_nop 0
	v_fma_f64 v[212:213], -v[206:207], v[208:209], 1.0
	v_fmac_f64_e32 v[208:209], v[208:209], v[212:213]
	v_fma_f64 v[212:213], -v[206:207], v[208:209], 1.0
	v_fmac_f64_e32 v[208:209], v[208:209], v[212:213]
	v_div_scale_f64 v[212:213], vcc, 1.0, v[210:211], 1.0
	v_mul_f64 v[214:215], v[212:213], v[208:209]
	v_fma_f64 v[206:207], -v[206:207], v[214:215], v[212:213]
	s_nop 1
	v_div_fmas_f64 v[206:207], v[206:207], v[208:209], v[214:215]
	v_div_fixup_f64 v[206:207], v[206:207], v[210:211], 1.0
	v_mul_f64 v[204:205], v[204:205], v[206:207]
	v_xor_b32_e32 v207, 0x80000000, v207
                                        ; implicit-def: $vgpr208_vgpr209
.LBB115_113:
	s_andn2_saveexec_b64 s[2:3], s[2:3]
	s_cbranch_execz .LBB115_115
; %bb.114:
	v_div_scale_f64 v[204:205], s[10:11], v[208:209], v[208:209], v[210:211]
	v_rcp_f64_e32 v[206:207], v[204:205]
	v_div_scale_f64 v[212:213], vcc, v[210:211], v[208:209], v[210:211]
	v_fma_f64 v[214:215], -v[204:205], v[206:207], 1.0
	v_fmac_f64_e32 v[206:207], v[206:207], v[214:215]
	v_fma_f64 v[214:215], -v[204:205], v[206:207], 1.0
	v_fmac_f64_e32 v[206:207], v[206:207], v[214:215]
	v_mul_f64 v[214:215], v[212:213], v[206:207]
	v_fma_f64 v[204:205], -v[204:205], v[214:215], v[212:213]
	v_div_fmas_f64 v[204:205], v[204:205], v[206:207], v[214:215]
	v_div_fixup_f64 v[206:207], v[204:205], v[208:209], v[210:211]
	v_fmac_f64_e32 v[208:209], v[210:211], v[206:207]
	v_div_scale_f64 v[204:205], s[10:11], v[208:209], v[208:209], 1.0
	v_rcp_f64_e32 v[210:211], v[204:205]
	s_nop 0
	v_fma_f64 v[212:213], -v[204:205], v[210:211], 1.0
	v_fmac_f64_e32 v[210:211], v[210:211], v[212:213]
	v_fma_f64 v[212:213], -v[204:205], v[210:211], 1.0
	v_fmac_f64_e32 v[210:211], v[210:211], v[212:213]
	v_div_scale_f64 v[212:213], vcc, 1.0, v[208:209], 1.0
	v_mul_f64 v[214:215], v[212:213], v[210:211]
	v_fma_f64 v[204:205], -v[204:205], v[214:215], v[212:213]
	s_nop 1
	v_div_fmas_f64 v[204:205], v[204:205], v[210:211], v[214:215]
	v_div_fixup_f64 v[204:205], v[204:205], v[208:209], 1.0
	v_mul_f64 v[206:207], v[206:207], -v[204:205]
.LBB115_115:
	s_or_b64 exec, exec, s[2:3]
	ds_write2_b64 v201, v[204:205], v[206:207] offset1:1
.LBB115_116:
	s_or_b64 exec, exec, s[4:5]
	s_waitcnt lgkmcnt(0)
	s_barrier
	ds_read2_b64 v[192:195], v201 offset1:1
	v_cmp_lt_u32_e32 vcc, 12, v200
	s_waitcnt lgkmcnt(0)
	scratch_store_dwordx4 off, v[192:195], off offset:784 ; 16-byte Folded Spill
	s_and_saveexec_b64 s[2:3], vcc
	s_cbranch_execz .LBB115_118
; %bb.117:
	scratch_load_dwordx4 v[192:195], off, off offset:784 ; 16-byte Folded Reload
	s_waitcnt vmcnt(0)
	v_mul_f64 v[204:205], v[194:195], v[178:179]
	v_fma_f64 v[208:209], v[192:193], v[176:177], -v[204:205]
	ds_read2_b64 v[204:207], v202 offset0:26 offset1:27
	v_mul_f64 v[178:179], v[192:193], v[178:179]
	v_fmac_f64_e32 v[178:179], v[194:195], v[176:177]
	s_waitcnt lgkmcnt(0)
	v_mul_f64 v[176:177], v[206:207], v[178:179]
	v_fma_f64 v[176:177], v[204:205], v[208:209], -v[176:177]
	v_mul_f64 v[204:205], v[204:205], v[178:179]
	v_fmac_f64_e32 v[204:205], v[206:207], v[208:209]
	v_add_f64 v[174:175], v[174:175], -v[204:205]
	ds_read2_b64 v[204:207], v202 offset0:28 offset1:29
	v_add_f64 v[172:173], v[172:173], -v[176:177]
	s_waitcnt lgkmcnt(0)
	v_mul_f64 v[176:177], v[206:207], v[178:179]
	v_fma_f64 v[176:177], v[204:205], v[208:209], -v[176:177]
	v_mul_f64 v[204:205], v[204:205], v[178:179]
	v_fmac_f64_e32 v[204:205], v[206:207], v[208:209]
	v_add_f64 v[170:171], v[170:171], -v[204:205]
	ds_read2_b64 v[204:207], v202 offset0:30 offset1:31
	v_add_f64 v[168:169], v[168:169], -v[176:177]
	;; [unrolled: 8-line block ×44, first 2 shown]
	s_waitcnt lgkmcnt(0)
	v_mul_f64 v[176:177], v[206:207], v[178:179]
	v_fma_f64 v[176:177], v[204:205], v[208:209], -v[176:177]
	v_mul_f64 v[204:205], v[204:205], v[178:179]
	v_fmac_f64_e32 v[204:205], v[206:207], v[208:209]
	v_add_f64 v[228:229], v[228:229], -v[176:177]
	v_add_f64 v[230:231], v[230:231], -v[204:205]
	v_mov_b64_e32 v[176:177], v[208:209]
.LBB115_118:
	s_or_b64 exec, exec, s[2:3]
	v_cmp_eq_u32_e32 vcc, 13, v200
	s_waitcnt vmcnt(63) expcnt(7) lgkmcnt(15)
	s_barrier
	s_and_saveexec_b64 s[4:5], vcc
	s_cbranch_execz .LBB115_125
; %bb.119:
	ds_write2_b64 v201, v[172:173], v[174:175] offset1:1
	ds_write2_b64 v202, v[168:169], v[170:171] offset0:28 offset1:29
	ds_write2_b64 v202, v[164:165], v[166:167] offset0:30 offset1:31
	;; [unrolled: 1-line block ×27, first 2 shown]
	s_waitcnt vmcnt(42)
	ds_write2_b64 v202, v[60:61], v[62:63] offset0:82 offset1:83
	s_waitcnt vmcnt(41)
	ds_write2_b64 v202, v[56:57], v[58:59] offset0:84 offset1:85
	;; [unrolled: 2-line block ×10, first 2 shown]
	ds_write2_b64 v202, v[20:21], v[22:23] offset0:102 offset1:103
	ds_write2_b64 v202, v[16:17], v[18:19] offset0:104 offset1:105
	;; [unrolled: 1-line block ×5, first 2 shown]
	s_waitcnt vmcnt(32)
	ds_write2_b64 v202, v[0:1], v[2:3] offset0:112 offset1:113
	s_waitcnt vmcnt(29)
	ds_write2_b64 v202, v[228:229], v[230:231] offset0:114 offset1:115
	ds_read2_b64 v[208:211], v201 offset1:1
	s_waitcnt lgkmcnt(0)
	v_cmp_neq_f64_e32 vcc, 0, v[208:209]
	v_cmp_neq_f64_e64 s[2:3], 0, v[210:211]
	s_or_b64 s[2:3], vcc, s[2:3]
	s_and_b64 exec, exec, s[2:3]
	s_cbranch_execz .LBB115_125
; %bb.120:
	v_cmp_ngt_f64_e64 s[2:3], |v[208:209]|, |v[210:211]|
                                        ; implicit-def: $vgpr204_vgpr205
	s_and_saveexec_b64 s[10:11], s[2:3]
	s_xor_b64 s[2:3], exec, s[10:11]
                                        ; implicit-def: $vgpr206_vgpr207
	s_cbranch_execz .LBB115_122
; %bb.121:
	v_div_scale_f64 v[204:205], s[10:11], v[210:211], v[210:211], v[208:209]
	v_rcp_f64_e32 v[206:207], v[204:205]
	v_div_scale_f64 v[212:213], vcc, v[208:209], v[210:211], v[208:209]
	v_fma_f64 v[214:215], -v[204:205], v[206:207], 1.0
	v_fmac_f64_e32 v[206:207], v[206:207], v[214:215]
	v_fma_f64 v[214:215], -v[204:205], v[206:207], 1.0
	v_fmac_f64_e32 v[206:207], v[206:207], v[214:215]
	v_mul_f64 v[214:215], v[212:213], v[206:207]
	v_fma_f64 v[204:205], -v[204:205], v[214:215], v[212:213]
	v_div_fmas_f64 v[204:205], v[204:205], v[206:207], v[214:215]
	v_div_fixup_f64 v[204:205], v[204:205], v[210:211], v[208:209]
	v_fmac_f64_e32 v[210:211], v[208:209], v[204:205]
	v_div_scale_f64 v[206:207], s[10:11], v[210:211], v[210:211], 1.0
	v_rcp_f64_e32 v[208:209], v[206:207]
	s_nop 0
	v_fma_f64 v[212:213], -v[206:207], v[208:209], 1.0
	v_fmac_f64_e32 v[208:209], v[208:209], v[212:213]
	v_fma_f64 v[212:213], -v[206:207], v[208:209], 1.0
	v_fmac_f64_e32 v[208:209], v[208:209], v[212:213]
	v_div_scale_f64 v[212:213], vcc, 1.0, v[210:211], 1.0
	v_mul_f64 v[214:215], v[212:213], v[208:209]
	v_fma_f64 v[206:207], -v[206:207], v[214:215], v[212:213]
	s_nop 1
	v_div_fmas_f64 v[206:207], v[206:207], v[208:209], v[214:215]
	v_div_fixup_f64 v[206:207], v[206:207], v[210:211], 1.0
	v_mul_f64 v[204:205], v[204:205], v[206:207]
	v_xor_b32_e32 v207, 0x80000000, v207
                                        ; implicit-def: $vgpr208_vgpr209
.LBB115_122:
	s_andn2_saveexec_b64 s[2:3], s[2:3]
	s_cbranch_execz .LBB115_124
; %bb.123:
	v_div_scale_f64 v[204:205], s[10:11], v[208:209], v[208:209], v[210:211]
	v_rcp_f64_e32 v[206:207], v[204:205]
	v_div_scale_f64 v[212:213], vcc, v[210:211], v[208:209], v[210:211]
	v_fma_f64 v[214:215], -v[204:205], v[206:207], 1.0
	v_fmac_f64_e32 v[206:207], v[206:207], v[214:215]
	v_fma_f64 v[214:215], -v[204:205], v[206:207], 1.0
	v_fmac_f64_e32 v[206:207], v[206:207], v[214:215]
	v_mul_f64 v[214:215], v[212:213], v[206:207]
	v_fma_f64 v[204:205], -v[204:205], v[214:215], v[212:213]
	v_div_fmas_f64 v[204:205], v[204:205], v[206:207], v[214:215]
	v_div_fixup_f64 v[206:207], v[204:205], v[208:209], v[210:211]
	v_fmac_f64_e32 v[208:209], v[210:211], v[206:207]
	v_div_scale_f64 v[204:205], s[10:11], v[208:209], v[208:209], 1.0
	v_rcp_f64_e32 v[210:211], v[204:205]
	s_nop 0
	v_fma_f64 v[212:213], -v[204:205], v[210:211], 1.0
	v_fmac_f64_e32 v[210:211], v[210:211], v[212:213]
	v_fma_f64 v[212:213], -v[204:205], v[210:211], 1.0
	v_fmac_f64_e32 v[210:211], v[210:211], v[212:213]
	v_div_scale_f64 v[212:213], vcc, 1.0, v[208:209], 1.0
	v_mul_f64 v[214:215], v[212:213], v[210:211]
	v_fma_f64 v[204:205], -v[204:205], v[214:215], v[212:213]
	s_nop 1
	v_div_fmas_f64 v[204:205], v[204:205], v[210:211], v[214:215]
	v_div_fixup_f64 v[204:205], v[204:205], v[208:209], 1.0
	v_mul_f64 v[206:207], v[206:207], -v[204:205]
.LBB115_124:
	s_or_b64 exec, exec, s[2:3]
	ds_write2_b64 v201, v[204:205], v[206:207] offset1:1
.LBB115_125:
	s_or_b64 exec, exec, s[4:5]
	s_waitcnt lgkmcnt(0)
	s_barrier
	ds_read2_b64 v[192:195], v201 offset1:1
	v_cmp_lt_u32_e32 vcc, 13, v200
	s_waitcnt lgkmcnt(0)
	scratch_store_dwordx4 off, v[192:195], off offset:800 ; 16-byte Folded Spill
	s_and_saveexec_b64 s[2:3], vcc
	s_cbranch_execz .LBB115_127
; %bb.126:
	scratch_load_dwordx4 v[192:195], off, off offset:800 ; 16-byte Folded Reload
	s_waitcnt vmcnt(0)
	v_mul_f64 v[204:205], v[194:195], v[174:175]
	v_fma_f64 v[208:209], v[192:193], v[172:173], -v[204:205]
	ds_read2_b64 v[204:207], v202 offset0:28 offset1:29
	v_mul_f64 v[174:175], v[192:193], v[174:175]
	v_fmac_f64_e32 v[174:175], v[194:195], v[172:173]
	s_waitcnt lgkmcnt(0)
	v_mul_f64 v[172:173], v[206:207], v[174:175]
	v_fma_f64 v[172:173], v[204:205], v[208:209], -v[172:173]
	v_mul_f64 v[204:205], v[204:205], v[174:175]
	v_fmac_f64_e32 v[204:205], v[206:207], v[208:209]
	v_add_f64 v[170:171], v[170:171], -v[204:205]
	ds_read2_b64 v[204:207], v202 offset0:30 offset1:31
	v_add_f64 v[168:169], v[168:169], -v[172:173]
	s_waitcnt lgkmcnt(0)
	v_mul_f64 v[172:173], v[206:207], v[174:175]
	v_fma_f64 v[172:173], v[204:205], v[208:209], -v[172:173]
	v_mul_f64 v[204:205], v[204:205], v[174:175]
	v_fmac_f64_e32 v[204:205], v[206:207], v[208:209]
	v_add_f64 v[166:167], v[166:167], -v[204:205]
	ds_read2_b64 v[204:207], v202 offset0:32 offset1:33
	v_add_f64 v[164:165], v[164:165], -v[172:173]
	;; [unrolled: 8-line block ×43, first 2 shown]
	s_waitcnt lgkmcnt(0)
	v_mul_f64 v[172:173], v[206:207], v[174:175]
	v_fma_f64 v[172:173], v[204:205], v[208:209], -v[172:173]
	v_mul_f64 v[204:205], v[204:205], v[174:175]
	v_fmac_f64_e32 v[204:205], v[206:207], v[208:209]
	v_add_f64 v[228:229], v[228:229], -v[172:173]
	v_add_f64 v[230:231], v[230:231], -v[204:205]
	v_mov_b64_e32 v[172:173], v[208:209]
.LBB115_127:
	s_or_b64 exec, exec, s[2:3]
	v_cmp_eq_u32_e32 vcc, 14, v200
	s_waitcnt vmcnt(63) expcnt(7) lgkmcnt(15)
	s_barrier
	s_and_saveexec_b64 s[4:5], vcc
	s_cbranch_execz .LBB115_134
; %bb.128:
	ds_write2_b64 v201, v[168:169], v[170:171] offset1:1
	ds_write2_b64 v202, v[164:165], v[166:167] offset0:30 offset1:31
	ds_write2_b64 v202, v[160:161], v[162:163] offset0:32 offset1:33
	;; [unrolled: 1-line block ×26, first 2 shown]
	s_waitcnt vmcnt(43)
	ds_write2_b64 v202, v[60:61], v[62:63] offset0:82 offset1:83
	s_waitcnt vmcnt(42)
	ds_write2_b64 v202, v[56:57], v[58:59] offset0:84 offset1:85
	;; [unrolled: 2-line block ×10, first 2 shown]
	ds_write2_b64 v202, v[20:21], v[22:23] offset0:102 offset1:103
	ds_write2_b64 v202, v[16:17], v[18:19] offset0:104 offset1:105
	;; [unrolled: 1-line block ×5, first 2 shown]
	s_waitcnt vmcnt(33)
	ds_write2_b64 v202, v[0:1], v[2:3] offset0:112 offset1:113
	s_waitcnt vmcnt(30)
	ds_write2_b64 v202, v[228:229], v[230:231] offset0:114 offset1:115
	ds_read2_b64 v[208:211], v201 offset1:1
	s_waitcnt lgkmcnt(0)
	v_cmp_neq_f64_e32 vcc, 0, v[208:209]
	v_cmp_neq_f64_e64 s[2:3], 0, v[210:211]
	s_or_b64 s[2:3], vcc, s[2:3]
	s_and_b64 exec, exec, s[2:3]
	s_cbranch_execz .LBB115_134
; %bb.129:
	v_cmp_ngt_f64_e64 s[2:3], |v[208:209]|, |v[210:211]|
                                        ; implicit-def: $vgpr204_vgpr205
	s_and_saveexec_b64 s[10:11], s[2:3]
	s_xor_b64 s[2:3], exec, s[10:11]
                                        ; implicit-def: $vgpr206_vgpr207
	s_cbranch_execz .LBB115_131
; %bb.130:
	v_div_scale_f64 v[204:205], s[10:11], v[210:211], v[210:211], v[208:209]
	v_rcp_f64_e32 v[206:207], v[204:205]
	v_div_scale_f64 v[212:213], vcc, v[208:209], v[210:211], v[208:209]
	v_fma_f64 v[214:215], -v[204:205], v[206:207], 1.0
	v_fmac_f64_e32 v[206:207], v[206:207], v[214:215]
	v_fma_f64 v[214:215], -v[204:205], v[206:207], 1.0
	v_fmac_f64_e32 v[206:207], v[206:207], v[214:215]
	v_mul_f64 v[214:215], v[212:213], v[206:207]
	v_fma_f64 v[204:205], -v[204:205], v[214:215], v[212:213]
	v_div_fmas_f64 v[204:205], v[204:205], v[206:207], v[214:215]
	v_div_fixup_f64 v[204:205], v[204:205], v[210:211], v[208:209]
	v_fmac_f64_e32 v[210:211], v[208:209], v[204:205]
	v_div_scale_f64 v[206:207], s[10:11], v[210:211], v[210:211], 1.0
	v_rcp_f64_e32 v[208:209], v[206:207]
	s_nop 0
	v_fma_f64 v[212:213], -v[206:207], v[208:209], 1.0
	v_fmac_f64_e32 v[208:209], v[208:209], v[212:213]
	v_fma_f64 v[212:213], -v[206:207], v[208:209], 1.0
	v_fmac_f64_e32 v[208:209], v[208:209], v[212:213]
	v_div_scale_f64 v[212:213], vcc, 1.0, v[210:211], 1.0
	v_mul_f64 v[214:215], v[212:213], v[208:209]
	v_fma_f64 v[206:207], -v[206:207], v[214:215], v[212:213]
	s_nop 1
	v_div_fmas_f64 v[206:207], v[206:207], v[208:209], v[214:215]
	v_div_fixup_f64 v[206:207], v[206:207], v[210:211], 1.0
	v_mul_f64 v[204:205], v[204:205], v[206:207]
	v_xor_b32_e32 v207, 0x80000000, v207
                                        ; implicit-def: $vgpr208_vgpr209
.LBB115_131:
	s_andn2_saveexec_b64 s[2:3], s[2:3]
	s_cbranch_execz .LBB115_133
; %bb.132:
	v_div_scale_f64 v[204:205], s[10:11], v[208:209], v[208:209], v[210:211]
	v_rcp_f64_e32 v[206:207], v[204:205]
	v_div_scale_f64 v[212:213], vcc, v[210:211], v[208:209], v[210:211]
	v_fma_f64 v[214:215], -v[204:205], v[206:207], 1.0
	v_fmac_f64_e32 v[206:207], v[206:207], v[214:215]
	v_fma_f64 v[214:215], -v[204:205], v[206:207], 1.0
	v_fmac_f64_e32 v[206:207], v[206:207], v[214:215]
	v_mul_f64 v[214:215], v[212:213], v[206:207]
	v_fma_f64 v[204:205], -v[204:205], v[214:215], v[212:213]
	v_div_fmas_f64 v[204:205], v[204:205], v[206:207], v[214:215]
	v_div_fixup_f64 v[206:207], v[204:205], v[208:209], v[210:211]
	v_fmac_f64_e32 v[208:209], v[210:211], v[206:207]
	v_div_scale_f64 v[204:205], s[10:11], v[208:209], v[208:209], 1.0
	v_rcp_f64_e32 v[210:211], v[204:205]
	s_nop 0
	v_fma_f64 v[212:213], -v[204:205], v[210:211], 1.0
	v_fmac_f64_e32 v[210:211], v[210:211], v[212:213]
	v_fma_f64 v[212:213], -v[204:205], v[210:211], 1.0
	v_fmac_f64_e32 v[210:211], v[210:211], v[212:213]
	v_div_scale_f64 v[212:213], vcc, 1.0, v[208:209], 1.0
	v_mul_f64 v[214:215], v[212:213], v[210:211]
	v_fma_f64 v[204:205], -v[204:205], v[214:215], v[212:213]
	s_nop 1
	v_div_fmas_f64 v[204:205], v[204:205], v[210:211], v[214:215]
	v_div_fixup_f64 v[204:205], v[204:205], v[208:209], 1.0
	v_mul_f64 v[206:207], v[206:207], -v[204:205]
.LBB115_133:
	s_or_b64 exec, exec, s[2:3]
	ds_write2_b64 v201, v[204:205], v[206:207] offset1:1
.LBB115_134:
	s_or_b64 exec, exec, s[4:5]
	s_waitcnt lgkmcnt(0)
	s_barrier
	ds_read2_b64 v[192:195], v201 offset1:1
	v_cmp_lt_u32_e32 vcc, 14, v200
	s_waitcnt lgkmcnt(0)
	scratch_store_dwordx4 off, v[192:195], off offset:816 ; 16-byte Folded Spill
	s_and_saveexec_b64 s[2:3], vcc
	s_cbranch_execz .LBB115_136
; %bb.135:
	scratch_load_dwordx4 v[192:195], off, off offset:816 ; 16-byte Folded Reload
	s_waitcnt vmcnt(0)
	v_mul_f64 v[204:205], v[194:195], v[170:171]
	v_fma_f64 v[208:209], v[192:193], v[168:169], -v[204:205]
	ds_read2_b64 v[204:207], v202 offset0:30 offset1:31
	v_mul_f64 v[170:171], v[192:193], v[170:171]
	v_fmac_f64_e32 v[170:171], v[194:195], v[168:169]
	s_waitcnt lgkmcnt(0)
	v_mul_f64 v[168:169], v[206:207], v[170:171]
	v_fma_f64 v[168:169], v[204:205], v[208:209], -v[168:169]
	v_mul_f64 v[204:205], v[204:205], v[170:171]
	v_fmac_f64_e32 v[204:205], v[206:207], v[208:209]
	v_add_f64 v[166:167], v[166:167], -v[204:205]
	ds_read2_b64 v[204:207], v202 offset0:32 offset1:33
	v_add_f64 v[164:165], v[164:165], -v[168:169]
	s_waitcnt lgkmcnt(0)
	v_mul_f64 v[168:169], v[206:207], v[170:171]
	v_fma_f64 v[168:169], v[204:205], v[208:209], -v[168:169]
	v_mul_f64 v[204:205], v[204:205], v[170:171]
	v_fmac_f64_e32 v[204:205], v[206:207], v[208:209]
	v_add_f64 v[162:163], v[162:163], -v[204:205]
	ds_read2_b64 v[204:207], v202 offset0:34 offset1:35
	v_add_f64 v[160:161], v[160:161], -v[168:169]
	;; [unrolled: 8-line block ×42, first 2 shown]
	s_waitcnt lgkmcnt(0)
	v_mul_f64 v[168:169], v[206:207], v[170:171]
	v_fma_f64 v[168:169], v[204:205], v[208:209], -v[168:169]
	v_mul_f64 v[204:205], v[204:205], v[170:171]
	v_fmac_f64_e32 v[204:205], v[206:207], v[208:209]
	v_add_f64 v[228:229], v[228:229], -v[168:169]
	v_add_f64 v[230:231], v[230:231], -v[204:205]
	v_mov_b64_e32 v[168:169], v[208:209]
.LBB115_136:
	s_or_b64 exec, exec, s[2:3]
	v_cmp_eq_u32_e32 vcc, 15, v200
	s_waitcnt vmcnt(63) expcnt(7) lgkmcnt(15)
	s_barrier
	s_and_saveexec_b64 s[4:5], vcc
	s_cbranch_execz .LBB115_143
; %bb.137:
	ds_write2_b64 v201, v[164:165], v[166:167] offset1:1
	ds_write2_b64 v202, v[160:161], v[162:163] offset0:32 offset1:33
	ds_write2_b64 v202, v[156:157], v[158:159] offset0:34 offset1:35
	;; [unrolled: 1-line block ×25, first 2 shown]
	s_waitcnt vmcnt(44)
	ds_write2_b64 v202, v[60:61], v[62:63] offset0:82 offset1:83
	s_waitcnt vmcnt(43)
	ds_write2_b64 v202, v[56:57], v[58:59] offset0:84 offset1:85
	;; [unrolled: 2-line block ×10, first 2 shown]
	ds_write2_b64 v202, v[20:21], v[22:23] offset0:102 offset1:103
	ds_write2_b64 v202, v[16:17], v[18:19] offset0:104 offset1:105
	;; [unrolled: 1-line block ×5, first 2 shown]
	s_waitcnt vmcnt(34)
	ds_write2_b64 v202, v[0:1], v[2:3] offset0:112 offset1:113
	s_waitcnt vmcnt(31)
	ds_write2_b64 v202, v[228:229], v[230:231] offset0:114 offset1:115
	ds_read2_b64 v[208:211], v201 offset1:1
	s_waitcnt lgkmcnt(0)
	v_cmp_neq_f64_e32 vcc, 0, v[208:209]
	v_cmp_neq_f64_e64 s[2:3], 0, v[210:211]
	s_or_b64 s[2:3], vcc, s[2:3]
	s_and_b64 exec, exec, s[2:3]
	s_cbranch_execz .LBB115_143
; %bb.138:
	v_cmp_ngt_f64_e64 s[2:3], |v[208:209]|, |v[210:211]|
                                        ; implicit-def: $vgpr204_vgpr205
	s_and_saveexec_b64 s[10:11], s[2:3]
	s_xor_b64 s[2:3], exec, s[10:11]
                                        ; implicit-def: $vgpr206_vgpr207
	s_cbranch_execz .LBB115_140
; %bb.139:
	v_div_scale_f64 v[204:205], s[10:11], v[210:211], v[210:211], v[208:209]
	v_rcp_f64_e32 v[206:207], v[204:205]
	v_div_scale_f64 v[212:213], vcc, v[208:209], v[210:211], v[208:209]
	v_fma_f64 v[214:215], -v[204:205], v[206:207], 1.0
	v_fmac_f64_e32 v[206:207], v[206:207], v[214:215]
	v_fma_f64 v[214:215], -v[204:205], v[206:207], 1.0
	v_fmac_f64_e32 v[206:207], v[206:207], v[214:215]
	v_mul_f64 v[214:215], v[212:213], v[206:207]
	v_fma_f64 v[204:205], -v[204:205], v[214:215], v[212:213]
	v_div_fmas_f64 v[204:205], v[204:205], v[206:207], v[214:215]
	v_div_fixup_f64 v[204:205], v[204:205], v[210:211], v[208:209]
	v_fmac_f64_e32 v[210:211], v[208:209], v[204:205]
	v_div_scale_f64 v[206:207], s[10:11], v[210:211], v[210:211], 1.0
	v_rcp_f64_e32 v[208:209], v[206:207]
	s_nop 0
	v_fma_f64 v[212:213], -v[206:207], v[208:209], 1.0
	v_fmac_f64_e32 v[208:209], v[208:209], v[212:213]
	v_fma_f64 v[212:213], -v[206:207], v[208:209], 1.0
	v_fmac_f64_e32 v[208:209], v[208:209], v[212:213]
	v_div_scale_f64 v[212:213], vcc, 1.0, v[210:211], 1.0
	v_mul_f64 v[214:215], v[212:213], v[208:209]
	v_fma_f64 v[206:207], -v[206:207], v[214:215], v[212:213]
	s_nop 1
	v_div_fmas_f64 v[206:207], v[206:207], v[208:209], v[214:215]
	v_div_fixup_f64 v[206:207], v[206:207], v[210:211], 1.0
	v_mul_f64 v[204:205], v[204:205], v[206:207]
	v_xor_b32_e32 v207, 0x80000000, v207
                                        ; implicit-def: $vgpr208_vgpr209
.LBB115_140:
	s_andn2_saveexec_b64 s[2:3], s[2:3]
	s_cbranch_execz .LBB115_142
; %bb.141:
	v_div_scale_f64 v[204:205], s[10:11], v[208:209], v[208:209], v[210:211]
	v_rcp_f64_e32 v[206:207], v[204:205]
	v_div_scale_f64 v[212:213], vcc, v[210:211], v[208:209], v[210:211]
	v_fma_f64 v[214:215], -v[204:205], v[206:207], 1.0
	v_fmac_f64_e32 v[206:207], v[206:207], v[214:215]
	v_fma_f64 v[214:215], -v[204:205], v[206:207], 1.0
	v_fmac_f64_e32 v[206:207], v[206:207], v[214:215]
	v_mul_f64 v[214:215], v[212:213], v[206:207]
	v_fma_f64 v[204:205], -v[204:205], v[214:215], v[212:213]
	v_div_fmas_f64 v[204:205], v[204:205], v[206:207], v[214:215]
	v_div_fixup_f64 v[206:207], v[204:205], v[208:209], v[210:211]
	v_fmac_f64_e32 v[208:209], v[210:211], v[206:207]
	v_div_scale_f64 v[204:205], s[10:11], v[208:209], v[208:209], 1.0
	v_rcp_f64_e32 v[210:211], v[204:205]
	s_nop 0
	v_fma_f64 v[212:213], -v[204:205], v[210:211], 1.0
	v_fmac_f64_e32 v[210:211], v[210:211], v[212:213]
	v_fma_f64 v[212:213], -v[204:205], v[210:211], 1.0
	v_fmac_f64_e32 v[210:211], v[210:211], v[212:213]
	v_div_scale_f64 v[212:213], vcc, 1.0, v[208:209], 1.0
	v_mul_f64 v[214:215], v[212:213], v[210:211]
	v_fma_f64 v[204:205], -v[204:205], v[214:215], v[212:213]
	s_nop 1
	v_div_fmas_f64 v[204:205], v[204:205], v[210:211], v[214:215]
	v_div_fixup_f64 v[204:205], v[204:205], v[208:209], 1.0
	v_mul_f64 v[206:207], v[206:207], -v[204:205]
.LBB115_142:
	s_or_b64 exec, exec, s[2:3]
	ds_write2_b64 v201, v[204:205], v[206:207] offset1:1
.LBB115_143:
	s_or_b64 exec, exec, s[4:5]
	s_waitcnt lgkmcnt(0)
	s_barrier
	ds_read2_b64 v[192:195], v201 offset1:1
	v_cmp_lt_u32_e32 vcc, 15, v200
	s_waitcnt lgkmcnt(0)
	scratch_store_dwordx4 off, v[192:195], off offset:832 ; 16-byte Folded Spill
	s_and_saveexec_b64 s[2:3], vcc
	s_cbranch_execz .LBB115_145
; %bb.144:
	scratch_load_dwordx4 v[192:195], off, off offset:832 ; 16-byte Folded Reload
	s_waitcnt vmcnt(0)
	v_mul_f64 v[204:205], v[194:195], v[166:167]
	v_fma_f64 v[208:209], v[192:193], v[164:165], -v[204:205]
	ds_read2_b64 v[204:207], v202 offset0:32 offset1:33
	v_mul_f64 v[166:167], v[192:193], v[166:167]
	v_fmac_f64_e32 v[166:167], v[194:195], v[164:165]
	s_waitcnt lgkmcnt(0)
	v_mul_f64 v[164:165], v[206:207], v[166:167]
	v_fma_f64 v[164:165], v[204:205], v[208:209], -v[164:165]
	v_mul_f64 v[204:205], v[204:205], v[166:167]
	v_fmac_f64_e32 v[204:205], v[206:207], v[208:209]
	v_add_f64 v[162:163], v[162:163], -v[204:205]
	ds_read2_b64 v[204:207], v202 offset0:34 offset1:35
	v_add_f64 v[160:161], v[160:161], -v[164:165]
	s_waitcnt lgkmcnt(0)
	v_mul_f64 v[164:165], v[206:207], v[166:167]
	v_fma_f64 v[164:165], v[204:205], v[208:209], -v[164:165]
	v_mul_f64 v[204:205], v[204:205], v[166:167]
	v_fmac_f64_e32 v[204:205], v[206:207], v[208:209]
	v_add_f64 v[158:159], v[158:159], -v[204:205]
	ds_read2_b64 v[204:207], v202 offset0:36 offset1:37
	v_add_f64 v[156:157], v[156:157], -v[164:165]
	;; [unrolled: 8-line block ×41, first 2 shown]
	s_waitcnt lgkmcnt(0)
	v_mul_f64 v[164:165], v[206:207], v[166:167]
	v_fma_f64 v[164:165], v[204:205], v[208:209], -v[164:165]
	v_mul_f64 v[204:205], v[204:205], v[166:167]
	v_fmac_f64_e32 v[204:205], v[206:207], v[208:209]
	v_add_f64 v[228:229], v[228:229], -v[164:165]
	v_add_f64 v[230:231], v[230:231], -v[204:205]
	v_mov_b64_e32 v[164:165], v[208:209]
.LBB115_145:
	s_or_b64 exec, exec, s[2:3]
	v_cmp_eq_u32_e32 vcc, 16, v200
	s_waitcnt vmcnt(63) expcnt(7) lgkmcnt(15)
	s_barrier
	s_and_saveexec_b64 s[4:5], vcc
	s_cbranch_execz .LBB115_152
; %bb.146:
	ds_write2_b64 v201, v[160:161], v[162:163] offset1:1
	ds_write2_b64 v202, v[156:157], v[158:159] offset0:34 offset1:35
	ds_write2_b64 v202, v[152:153], v[154:155] offset0:36 offset1:37
	ds_write2_b64 v202, v[148:149], v[150:151] offset0:38 offset1:39
	ds_write2_b64 v202, v[144:145], v[146:147] offset0:40 offset1:41
	ds_write2_b64 v202, v[140:141], v[142:143] offset0:42 offset1:43
	ds_write2_b64 v202, v[136:137], v[138:139] offset0:44 offset1:45
	ds_write2_b64 v202, v[132:133], v[134:135] offset0:46 offset1:47
	ds_write2_b64 v202, v[128:129], v[130:131] offset0:48 offset1:49
	ds_write2_b64 v202, v[124:125], v[126:127] offset0:50 offset1:51
	ds_write2_b64 v202, v[120:121], v[122:123] offset0:52 offset1:53
	ds_write2_b64 v202, v[116:117], v[118:119] offset0:54 offset1:55
	ds_write2_b64 v202, v[112:113], v[114:115] offset0:56 offset1:57
	ds_write2_b64 v202, v[108:109], v[110:111] offset0:58 offset1:59
	ds_write2_b64 v202, v[104:105], v[106:107] offset0:60 offset1:61
	ds_write2_b64 v202, v[100:101], v[102:103] offset0:62 offset1:63
	ds_write2_b64 v202, v[96:97], v[98:99] offset0:64 offset1:65
	ds_write2_b64 v202, v[92:93], v[94:95] offset0:66 offset1:67
	ds_write2_b64 v202, v[88:89], v[90:91] offset0:68 offset1:69
	ds_write2_b64 v202, v[84:85], v[86:87] offset0:70 offset1:71
	ds_write2_b64 v202, v[80:81], v[82:83] offset0:72 offset1:73
	ds_write2_b64 v202, v[76:77], v[78:79] offset0:74 offset1:75
	ds_write2_b64 v202, v[72:73], v[74:75] offset0:76 offset1:77
	ds_write2_b64 v202, v[68:69], v[70:71] offset0:78 offset1:79
	ds_write2_b64 v202, v[64:65], v[66:67] offset0:80 offset1:81
	s_waitcnt vmcnt(45)
	ds_write2_b64 v202, v[60:61], v[62:63] offset0:82 offset1:83
	s_waitcnt vmcnt(44)
	ds_write2_b64 v202, v[56:57], v[58:59] offset0:84 offset1:85
	;; [unrolled: 2-line block ×10, first 2 shown]
	ds_write2_b64 v202, v[20:21], v[22:23] offset0:102 offset1:103
	ds_write2_b64 v202, v[16:17], v[18:19] offset0:104 offset1:105
	;; [unrolled: 1-line block ×5, first 2 shown]
	s_waitcnt vmcnt(35)
	ds_write2_b64 v202, v[0:1], v[2:3] offset0:112 offset1:113
	s_waitcnt vmcnt(32)
	ds_write2_b64 v202, v[228:229], v[230:231] offset0:114 offset1:115
	ds_read2_b64 v[208:211], v201 offset1:1
	s_waitcnt lgkmcnt(0)
	v_cmp_neq_f64_e32 vcc, 0, v[208:209]
	v_cmp_neq_f64_e64 s[2:3], 0, v[210:211]
	s_or_b64 s[2:3], vcc, s[2:3]
	s_and_b64 exec, exec, s[2:3]
	s_cbranch_execz .LBB115_152
; %bb.147:
	v_cmp_ngt_f64_e64 s[2:3], |v[208:209]|, |v[210:211]|
                                        ; implicit-def: $vgpr204_vgpr205
	s_and_saveexec_b64 s[10:11], s[2:3]
	s_xor_b64 s[2:3], exec, s[10:11]
                                        ; implicit-def: $vgpr206_vgpr207
	s_cbranch_execz .LBB115_149
; %bb.148:
	v_div_scale_f64 v[204:205], s[10:11], v[210:211], v[210:211], v[208:209]
	v_rcp_f64_e32 v[206:207], v[204:205]
	v_div_scale_f64 v[212:213], vcc, v[208:209], v[210:211], v[208:209]
	v_fma_f64 v[214:215], -v[204:205], v[206:207], 1.0
	v_fmac_f64_e32 v[206:207], v[206:207], v[214:215]
	v_fma_f64 v[214:215], -v[204:205], v[206:207], 1.0
	v_fmac_f64_e32 v[206:207], v[206:207], v[214:215]
	v_mul_f64 v[214:215], v[212:213], v[206:207]
	v_fma_f64 v[204:205], -v[204:205], v[214:215], v[212:213]
	v_div_fmas_f64 v[204:205], v[204:205], v[206:207], v[214:215]
	v_div_fixup_f64 v[204:205], v[204:205], v[210:211], v[208:209]
	v_fmac_f64_e32 v[210:211], v[208:209], v[204:205]
	v_div_scale_f64 v[206:207], s[10:11], v[210:211], v[210:211], 1.0
	v_rcp_f64_e32 v[208:209], v[206:207]
	s_nop 0
	v_fma_f64 v[212:213], -v[206:207], v[208:209], 1.0
	v_fmac_f64_e32 v[208:209], v[208:209], v[212:213]
	v_fma_f64 v[212:213], -v[206:207], v[208:209], 1.0
	v_fmac_f64_e32 v[208:209], v[208:209], v[212:213]
	v_div_scale_f64 v[212:213], vcc, 1.0, v[210:211], 1.0
	v_mul_f64 v[214:215], v[212:213], v[208:209]
	v_fma_f64 v[206:207], -v[206:207], v[214:215], v[212:213]
	s_nop 1
	v_div_fmas_f64 v[206:207], v[206:207], v[208:209], v[214:215]
	v_div_fixup_f64 v[206:207], v[206:207], v[210:211], 1.0
	v_mul_f64 v[204:205], v[204:205], v[206:207]
	v_xor_b32_e32 v207, 0x80000000, v207
                                        ; implicit-def: $vgpr208_vgpr209
.LBB115_149:
	s_andn2_saveexec_b64 s[2:3], s[2:3]
	s_cbranch_execz .LBB115_151
; %bb.150:
	v_div_scale_f64 v[204:205], s[10:11], v[208:209], v[208:209], v[210:211]
	v_rcp_f64_e32 v[206:207], v[204:205]
	v_div_scale_f64 v[212:213], vcc, v[210:211], v[208:209], v[210:211]
	v_fma_f64 v[214:215], -v[204:205], v[206:207], 1.0
	v_fmac_f64_e32 v[206:207], v[206:207], v[214:215]
	v_fma_f64 v[214:215], -v[204:205], v[206:207], 1.0
	v_fmac_f64_e32 v[206:207], v[206:207], v[214:215]
	v_mul_f64 v[214:215], v[212:213], v[206:207]
	v_fma_f64 v[204:205], -v[204:205], v[214:215], v[212:213]
	v_div_fmas_f64 v[204:205], v[204:205], v[206:207], v[214:215]
	v_div_fixup_f64 v[206:207], v[204:205], v[208:209], v[210:211]
	v_fmac_f64_e32 v[208:209], v[210:211], v[206:207]
	v_div_scale_f64 v[204:205], s[10:11], v[208:209], v[208:209], 1.0
	v_rcp_f64_e32 v[210:211], v[204:205]
	s_nop 0
	v_fma_f64 v[212:213], -v[204:205], v[210:211], 1.0
	v_fmac_f64_e32 v[210:211], v[210:211], v[212:213]
	v_fma_f64 v[212:213], -v[204:205], v[210:211], 1.0
	v_fmac_f64_e32 v[210:211], v[210:211], v[212:213]
	v_div_scale_f64 v[212:213], vcc, 1.0, v[208:209], 1.0
	v_mul_f64 v[214:215], v[212:213], v[210:211]
	v_fma_f64 v[204:205], -v[204:205], v[214:215], v[212:213]
	s_nop 1
	v_div_fmas_f64 v[204:205], v[204:205], v[210:211], v[214:215]
	v_div_fixup_f64 v[204:205], v[204:205], v[208:209], 1.0
	v_mul_f64 v[206:207], v[206:207], -v[204:205]
.LBB115_151:
	s_or_b64 exec, exec, s[2:3]
	ds_write2_b64 v201, v[204:205], v[206:207] offset1:1
.LBB115_152:
	s_or_b64 exec, exec, s[4:5]
	s_waitcnt lgkmcnt(0)
	s_barrier
	ds_read2_b64 v[192:195], v201 offset1:1
	v_cmp_lt_u32_e32 vcc, 16, v200
	s_waitcnt lgkmcnt(0)
	scratch_store_dwordx4 off, v[192:195], off offset:848 ; 16-byte Folded Spill
	s_and_saveexec_b64 s[2:3], vcc
	s_cbranch_execz .LBB115_154
; %bb.153:
	scratch_load_dwordx4 v[192:195], off, off offset:848 ; 16-byte Folded Reload
	s_waitcnt vmcnt(0)
	v_mul_f64 v[204:205], v[194:195], v[162:163]
	v_fma_f64 v[208:209], v[192:193], v[160:161], -v[204:205]
	ds_read2_b64 v[204:207], v202 offset0:34 offset1:35
	v_mul_f64 v[162:163], v[192:193], v[162:163]
	v_fmac_f64_e32 v[162:163], v[194:195], v[160:161]
	s_waitcnt lgkmcnt(0)
	v_mul_f64 v[160:161], v[206:207], v[162:163]
	v_fma_f64 v[160:161], v[204:205], v[208:209], -v[160:161]
	v_mul_f64 v[204:205], v[204:205], v[162:163]
	v_fmac_f64_e32 v[204:205], v[206:207], v[208:209]
	v_add_f64 v[158:159], v[158:159], -v[204:205]
	ds_read2_b64 v[204:207], v202 offset0:36 offset1:37
	v_add_f64 v[156:157], v[156:157], -v[160:161]
	s_waitcnt lgkmcnt(0)
	v_mul_f64 v[160:161], v[206:207], v[162:163]
	v_fma_f64 v[160:161], v[204:205], v[208:209], -v[160:161]
	v_mul_f64 v[204:205], v[204:205], v[162:163]
	v_fmac_f64_e32 v[204:205], v[206:207], v[208:209]
	v_add_f64 v[154:155], v[154:155], -v[204:205]
	ds_read2_b64 v[204:207], v202 offset0:38 offset1:39
	v_add_f64 v[152:153], v[152:153], -v[160:161]
	;; [unrolled: 8-line block ×40, first 2 shown]
	s_waitcnt lgkmcnt(0)
	v_mul_f64 v[160:161], v[206:207], v[162:163]
	v_fma_f64 v[160:161], v[204:205], v[208:209], -v[160:161]
	v_mul_f64 v[204:205], v[204:205], v[162:163]
	v_fmac_f64_e32 v[204:205], v[206:207], v[208:209]
	v_add_f64 v[228:229], v[228:229], -v[160:161]
	v_add_f64 v[230:231], v[230:231], -v[204:205]
	v_mov_b64_e32 v[160:161], v[208:209]
.LBB115_154:
	s_or_b64 exec, exec, s[2:3]
	v_cmp_eq_u32_e32 vcc, 17, v200
	s_waitcnt vmcnt(63) expcnt(7) lgkmcnt(15)
	s_barrier
	s_and_saveexec_b64 s[4:5], vcc
	s_cbranch_execz .LBB115_161
; %bb.155:
	ds_write2_b64 v201, v[156:157], v[158:159] offset1:1
	ds_write2_b64 v202, v[152:153], v[154:155] offset0:36 offset1:37
	ds_write2_b64 v202, v[148:149], v[150:151] offset0:38 offset1:39
	;; [unrolled: 1-line block ×23, first 2 shown]
	s_waitcnt vmcnt(46)
	ds_write2_b64 v202, v[60:61], v[62:63] offset0:82 offset1:83
	s_waitcnt vmcnt(45)
	ds_write2_b64 v202, v[56:57], v[58:59] offset0:84 offset1:85
	;; [unrolled: 2-line block ×10, first 2 shown]
	ds_write2_b64 v202, v[20:21], v[22:23] offset0:102 offset1:103
	ds_write2_b64 v202, v[16:17], v[18:19] offset0:104 offset1:105
	;; [unrolled: 1-line block ×5, first 2 shown]
	s_waitcnt vmcnt(36)
	ds_write2_b64 v202, v[0:1], v[2:3] offset0:112 offset1:113
	s_waitcnt vmcnt(33)
	ds_write2_b64 v202, v[228:229], v[230:231] offset0:114 offset1:115
	ds_read2_b64 v[208:211], v201 offset1:1
	s_waitcnt lgkmcnt(0)
	v_cmp_neq_f64_e32 vcc, 0, v[208:209]
	v_cmp_neq_f64_e64 s[2:3], 0, v[210:211]
	s_or_b64 s[2:3], vcc, s[2:3]
	s_and_b64 exec, exec, s[2:3]
	s_cbranch_execz .LBB115_161
; %bb.156:
	v_cmp_ngt_f64_e64 s[2:3], |v[208:209]|, |v[210:211]|
                                        ; implicit-def: $vgpr204_vgpr205
	s_and_saveexec_b64 s[10:11], s[2:3]
	s_xor_b64 s[2:3], exec, s[10:11]
                                        ; implicit-def: $vgpr206_vgpr207
	s_cbranch_execz .LBB115_158
; %bb.157:
	v_div_scale_f64 v[204:205], s[10:11], v[210:211], v[210:211], v[208:209]
	v_rcp_f64_e32 v[206:207], v[204:205]
	v_div_scale_f64 v[212:213], vcc, v[208:209], v[210:211], v[208:209]
	v_fma_f64 v[214:215], -v[204:205], v[206:207], 1.0
	v_fmac_f64_e32 v[206:207], v[206:207], v[214:215]
	v_fma_f64 v[214:215], -v[204:205], v[206:207], 1.0
	v_fmac_f64_e32 v[206:207], v[206:207], v[214:215]
	v_mul_f64 v[214:215], v[212:213], v[206:207]
	v_fma_f64 v[204:205], -v[204:205], v[214:215], v[212:213]
	v_div_fmas_f64 v[204:205], v[204:205], v[206:207], v[214:215]
	v_div_fixup_f64 v[204:205], v[204:205], v[210:211], v[208:209]
	v_fmac_f64_e32 v[210:211], v[208:209], v[204:205]
	v_div_scale_f64 v[206:207], s[10:11], v[210:211], v[210:211], 1.0
	v_rcp_f64_e32 v[208:209], v[206:207]
	s_nop 0
	v_fma_f64 v[212:213], -v[206:207], v[208:209], 1.0
	v_fmac_f64_e32 v[208:209], v[208:209], v[212:213]
	v_fma_f64 v[212:213], -v[206:207], v[208:209], 1.0
	v_fmac_f64_e32 v[208:209], v[208:209], v[212:213]
	v_div_scale_f64 v[212:213], vcc, 1.0, v[210:211], 1.0
	v_mul_f64 v[214:215], v[212:213], v[208:209]
	v_fma_f64 v[206:207], -v[206:207], v[214:215], v[212:213]
	s_nop 1
	v_div_fmas_f64 v[206:207], v[206:207], v[208:209], v[214:215]
	v_div_fixup_f64 v[206:207], v[206:207], v[210:211], 1.0
	v_mul_f64 v[204:205], v[204:205], v[206:207]
	v_xor_b32_e32 v207, 0x80000000, v207
                                        ; implicit-def: $vgpr208_vgpr209
.LBB115_158:
	s_andn2_saveexec_b64 s[2:3], s[2:3]
	s_cbranch_execz .LBB115_160
; %bb.159:
	v_div_scale_f64 v[204:205], s[10:11], v[208:209], v[208:209], v[210:211]
	v_rcp_f64_e32 v[206:207], v[204:205]
	v_div_scale_f64 v[212:213], vcc, v[210:211], v[208:209], v[210:211]
	v_fma_f64 v[214:215], -v[204:205], v[206:207], 1.0
	v_fmac_f64_e32 v[206:207], v[206:207], v[214:215]
	v_fma_f64 v[214:215], -v[204:205], v[206:207], 1.0
	v_fmac_f64_e32 v[206:207], v[206:207], v[214:215]
	v_mul_f64 v[214:215], v[212:213], v[206:207]
	v_fma_f64 v[204:205], -v[204:205], v[214:215], v[212:213]
	v_div_fmas_f64 v[204:205], v[204:205], v[206:207], v[214:215]
	v_div_fixup_f64 v[206:207], v[204:205], v[208:209], v[210:211]
	v_fmac_f64_e32 v[208:209], v[210:211], v[206:207]
	v_div_scale_f64 v[204:205], s[10:11], v[208:209], v[208:209], 1.0
	v_rcp_f64_e32 v[210:211], v[204:205]
	s_nop 0
	v_fma_f64 v[212:213], -v[204:205], v[210:211], 1.0
	v_fmac_f64_e32 v[210:211], v[210:211], v[212:213]
	v_fma_f64 v[212:213], -v[204:205], v[210:211], 1.0
	v_fmac_f64_e32 v[210:211], v[210:211], v[212:213]
	v_div_scale_f64 v[212:213], vcc, 1.0, v[208:209], 1.0
	v_mul_f64 v[214:215], v[212:213], v[210:211]
	v_fma_f64 v[204:205], -v[204:205], v[214:215], v[212:213]
	s_nop 1
	v_div_fmas_f64 v[204:205], v[204:205], v[210:211], v[214:215]
	v_div_fixup_f64 v[204:205], v[204:205], v[208:209], 1.0
	v_mul_f64 v[206:207], v[206:207], -v[204:205]
.LBB115_160:
	s_or_b64 exec, exec, s[2:3]
	ds_write2_b64 v201, v[204:205], v[206:207] offset1:1
.LBB115_161:
	s_or_b64 exec, exec, s[4:5]
	s_waitcnt lgkmcnt(0)
	s_barrier
	ds_read2_b64 v[192:195], v201 offset1:1
	v_cmp_lt_u32_e32 vcc, 17, v200
	s_waitcnt lgkmcnt(0)
	scratch_store_dwordx4 off, v[192:195], off offset:864 ; 16-byte Folded Spill
	s_and_saveexec_b64 s[2:3], vcc
	s_cbranch_execz .LBB115_163
; %bb.162:
	scratch_load_dwordx4 v[192:195], off, off offset:864 ; 16-byte Folded Reload
	s_waitcnt vmcnt(0)
	v_mul_f64 v[204:205], v[194:195], v[158:159]
	v_fma_f64 v[208:209], v[192:193], v[156:157], -v[204:205]
	ds_read2_b64 v[204:207], v202 offset0:36 offset1:37
	v_mul_f64 v[158:159], v[192:193], v[158:159]
	v_fmac_f64_e32 v[158:159], v[194:195], v[156:157]
	s_waitcnt lgkmcnt(0)
	v_mul_f64 v[156:157], v[206:207], v[158:159]
	v_fma_f64 v[156:157], v[204:205], v[208:209], -v[156:157]
	v_mul_f64 v[204:205], v[204:205], v[158:159]
	v_fmac_f64_e32 v[204:205], v[206:207], v[208:209]
	v_add_f64 v[154:155], v[154:155], -v[204:205]
	ds_read2_b64 v[204:207], v202 offset0:38 offset1:39
	v_add_f64 v[152:153], v[152:153], -v[156:157]
	s_waitcnt lgkmcnt(0)
	v_mul_f64 v[156:157], v[206:207], v[158:159]
	v_fma_f64 v[156:157], v[204:205], v[208:209], -v[156:157]
	v_mul_f64 v[204:205], v[204:205], v[158:159]
	v_fmac_f64_e32 v[204:205], v[206:207], v[208:209]
	v_add_f64 v[150:151], v[150:151], -v[204:205]
	ds_read2_b64 v[204:207], v202 offset0:40 offset1:41
	v_add_f64 v[148:149], v[148:149], -v[156:157]
	;; [unrolled: 8-line block ×39, first 2 shown]
	s_waitcnt lgkmcnt(0)
	v_mul_f64 v[156:157], v[206:207], v[158:159]
	v_fma_f64 v[156:157], v[204:205], v[208:209], -v[156:157]
	v_mul_f64 v[204:205], v[204:205], v[158:159]
	v_fmac_f64_e32 v[204:205], v[206:207], v[208:209]
	v_add_f64 v[228:229], v[228:229], -v[156:157]
	v_add_f64 v[230:231], v[230:231], -v[204:205]
	v_mov_b64_e32 v[156:157], v[208:209]
.LBB115_163:
	s_or_b64 exec, exec, s[2:3]
	v_cmp_eq_u32_e32 vcc, 18, v200
	s_waitcnt vmcnt(63) expcnt(7) lgkmcnt(15)
	s_barrier
	s_and_saveexec_b64 s[4:5], vcc
	s_cbranch_execz .LBB115_170
; %bb.164:
	ds_write2_b64 v201, v[152:153], v[154:155] offset1:1
	ds_write2_b64 v202, v[148:149], v[150:151] offset0:38 offset1:39
	ds_write2_b64 v202, v[144:145], v[146:147] offset0:40 offset1:41
	;; [unrolled: 1-line block ×22, first 2 shown]
	s_waitcnt vmcnt(47)
	ds_write2_b64 v202, v[60:61], v[62:63] offset0:82 offset1:83
	s_waitcnt vmcnt(46)
	ds_write2_b64 v202, v[56:57], v[58:59] offset0:84 offset1:85
	;; [unrolled: 2-line block ×10, first 2 shown]
	ds_write2_b64 v202, v[20:21], v[22:23] offset0:102 offset1:103
	ds_write2_b64 v202, v[16:17], v[18:19] offset0:104 offset1:105
	;; [unrolled: 1-line block ×5, first 2 shown]
	s_waitcnt vmcnt(37)
	ds_write2_b64 v202, v[0:1], v[2:3] offset0:112 offset1:113
	s_waitcnt vmcnt(34)
	ds_write2_b64 v202, v[228:229], v[230:231] offset0:114 offset1:115
	ds_read2_b64 v[208:211], v201 offset1:1
	s_waitcnt lgkmcnt(0)
	v_cmp_neq_f64_e32 vcc, 0, v[208:209]
	v_cmp_neq_f64_e64 s[2:3], 0, v[210:211]
	s_or_b64 s[2:3], vcc, s[2:3]
	s_and_b64 exec, exec, s[2:3]
	s_cbranch_execz .LBB115_170
; %bb.165:
	v_cmp_ngt_f64_e64 s[2:3], |v[208:209]|, |v[210:211]|
                                        ; implicit-def: $vgpr204_vgpr205
	s_and_saveexec_b64 s[10:11], s[2:3]
	s_xor_b64 s[2:3], exec, s[10:11]
                                        ; implicit-def: $vgpr206_vgpr207
	s_cbranch_execz .LBB115_167
; %bb.166:
	v_div_scale_f64 v[204:205], s[10:11], v[210:211], v[210:211], v[208:209]
	v_rcp_f64_e32 v[206:207], v[204:205]
	v_div_scale_f64 v[212:213], vcc, v[208:209], v[210:211], v[208:209]
	v_fma_f64 v[214:215], -v[204:205], v[206:207], 1.0
	v_fmac_f64_e32 v[206:207], v[206:207], v[214:215]
	v_fma_f64 v[214:215], -v[204:205], v[206:207], 1.0
	v_fmac_f64_e32 v[206:207], v[206:207], v[214:215]
	v_mul_f64 v[214:215], v[212:213], v[206:207]
	v_fma_f64 v[204:205], -v[204:205], v[214:215], v[212:213]
	v_div_fmas_f64 v[204:205], v[204:205], v[206:207], v[214:215]
	v_div_fixup_f64 v[204:205], v[204:205], v[210:211], v[208:209]
	v_fmac_f64_e32 v[210:211], v[208:209], v[204:205]
	v_div_scale_f64 v[206:207], s[10:11], v[210:211], v[210:211], 1.0
	v_rcp_f64_e32 v[208:209], v[206:207]
	s_nop 0
	v_fma_f64 v[212:213], -v[206:207], v[208:209], 1.0
	v_fmac_f64_e32 v[208:209], v[208:209], v[212:213]
	v_fma_f64 v[212:213], -v[206:207], v[208:209], 1.0
	v_fmac_f64_e32 v[208:209], v[208:209], v[212:213]
	v_div_scale_f64 v[212:213], vcc, 1.0, v[210:211], 1.0
	v_mul_f64 v[214:215], v[212:213], v[208:209]
	v_fma_f64 v[206:207], -v[206:207], v[214:215], v[212:213]
	s_nop 1
	v_div_fmas_f64 v[206:207], v[206:207], v[208:209], v[214:215]
	v_div_fixup_f64 v[206:207], v[206:207], v[210:211], 1.0
	v_mul_f64 v[204:205], v[204:205], v[206:207]
	v_xor_b32_e32 v207, 0x80000000, v207
                                        ; implicit-def: $vgpr208_vgpr209
.LBB115_167:
	s_andn2_saveexec_b64 s[2:3], s[2:3]
	s_cbranch_execz .LBB115_169
; %bb.168:
	v_div_scale_f64 v[204:205], s[10:11], v[208:209], v[208:209], v[210:211]
	v_rcp_f64_e32 v[206:207], v[204:205]
	v_div_scale_f64 v[212:213], vcc, v[210:211], v[208:209], v[210:211]
	v_fma_f64 v[214:215], -v[204:205], v[206:207], 1.0
	v_fmac_f64_e32 v[206:207], v[206:207], v[214:215]
	v_fma_f64 v[214:215], -v[204:205], v[206:207], 1.0
	v_fmac_f64_e32 v[206:207], v[206:207], v[214:215]
	v_mul_f64 v[214:215], v[212:213], v[206:207]
	v_fma_f64 v[204:205], -v[204:205], v[214:215], v[212:213]
	v_div_fmas_f64 v[204:205], v[204:205], v[206:207], v[214:215]
	v_div_fixup_f64 v[206:207], v[204:205], v[208:209], v[210:211]
	v_fmac_f64_e32 v[208:209], v[210:211], v[206:207]
	v_div_scale_f64 v[204:205], s[10:11], v[208:209], v[208:209], 1.0
	v_rcp_f64_e32 v[210:211], v[204:205]
	s_nop 0
	v_fma_f64 v[212:213], -v[204:205], v[210:211], 1.0
	v_fmac_f64_e32 v[210:211], v[210:211], v[212:213]
	v_fma_f64 v[212:213], -v[204:205], v[210:211], 1.0
	v_fmac_f64_e32 v[210:211], v[210:211], v[212:213]
	v_div_scale_f64 v[212:213], vcc, 1.0, v[208:209], 1.0
	v_mul_f64 v[214:215], v[212:213], v[210:211]
	v_fma_f64 v[204:205], -v[204:205], v[214:215], v[212:213]
	s_nop 1
	v_div_fmas_f64 v[204:205], v[204:205], v[210:211], v[214:215]
	v_div_fixup_f64 v[204:205], v[204:205], v[208:209], 1.0
	v_mul_f64 v[206:207], v[206:207], -v[204:205]
.LBB115_169:
	s_or_b64 exec, exec, s[2:3]
	ds_write2_b64 v201, v[204:205], v[206:207] offset1:1
.LBB115_170:
	s_or_b64 exec, exec, s[4:5]
	s_waitcnt lgkmcnt(0)
	s_barrier
	ds_read2_b64 v[192:195], v201 offset1:1
	v_cmp_lt_u32_e32 vcc, 18, v200
	s_waitcnt lgkmcnt(0)
	scratch_store_dwordx4 off, v[192:195], off offset:880 ; 16-byte Folded Spill
	s_and_saveexec_b64 s[2:3], vcc
	s_cbranch_execz .LBB115_172
; %bb.171:
	scratch_load_dwordx4 v[192:195], off, off offset:880 ; 16-byte Folded Reload
	s_waitcnt vmcnt(0)
	v_mul_f64 v[204:205], v[194:195], v[154:155]
	v_fma_f64 v[208:209], v[192:193], v[152:153], -v[204:205]
	ds_read2_b64 v[204:207], v202 offset0:38 offset1:39
	v_mul_f64 v[154:155], v[192:193], v[154:155]
	v_fmac_f64_e32 v[154:155], v[194:195], v[152:153]
	s_waitcnt lgkmcnt(0)
	v_mul_f64 v[152:153], v[206:207], v[154:155]
	v_fma_f64 v[152:153], v[204:205], v[208:209], -v[152:153]
	v_mul_f64 v[204:205], v[204:205], v[154:155]
	v_fmac_f64_e32 v[204:205], v[206:207], v[208:209]
	v_add_f64 v[150:151], v[150:151], -v[204:205]
	ds_read2_b64 v[204:207], v202 offset0:40 offset1:41
	v_add_f64 v[148:149], v[148:149], -v[152:153]
	s_waitcnt lgkmcnt(0)
	v_mul_f64 v[152:153], v[206:207], v[154:155]
	v_fma_f64 v[152:153], v[204:205], v[208:209], -v[152:153]
	v_mul_f64 v[204:205], v[204:205], v[154:155]
	v_fmac_f64_e32 v[204:205], v[206:207], v[208:209]
	v_add_f64 v[146:147], v[146:147], -v[204:205]
	ds_read2_b64 v[204:207], v202 offset0:42 offset1:43
	v_add_f64 v[144:145], v[144:145], -v[152:153]
	;; [unrolled: 8-line block ×38, first 2 shown]
	s_waitcnt lgkmcnt(0)
	v_mul_f64 v[152:153], v[206:207], v[154:155]
	v_fma_f64 v[152:153], v[204:205], v[208:209], -v[152:153]
	v_mul_f64 v[204:205], v[204:205], v[154:155]
	v_fmac_f64_e32 v[204:205], v[206:207], v[208:209]
	v_add_f64 v[228:229], v[228:229], -v[152:153]
	v_add_f64 v[230:231], v[230:231], -v[204:205]
	v_mov_b64_e32 v[152:153], v[208:209]
.LBB115_172:
	s_or_b64 exec, exec, s[2:3]
	v_cmp_eq_u32_e32 vcc, 19, v200
	s_waitcnt vmcnt(63) expcnt(7) lgkmcnt(15)
	s_barrier
	s_and_saveexec_b64 s[4:5], vcc
	s_cbranch_execz .LBB115_179
; %bb.173:
	ds_write2_b64 v201, v[148:149], v[150:151] offset1:1
	ds_write2_b64 v202, v[144:145], v[146:147] offset0:40 offset1:41
	ds_write2_b64 v202, v[140:141], v[142:143] offset0:42 offset1:43
	;; [unrolled: 1-line block ×21, first 2 shown]
	s_waitcnt vmcnt(48)
	ds_write2_b64 v202, v[60:61], v[62:63] offset0:82 offset1:83
	s_waitcnt vmcnt(47)
	ds_write2_b64 v202, v[56:57], v[58:59] offset0:84 offset1:85
	s_waitcnt vmcnt(46)
	ds_write2_b64 v202, v[52:53], v[54:55] offset0:86 offset1:87
	s_waitcnt vmcnt(45)
	ds_write2_b64 v202, v[48:49], v[50:51] offset0:88 offset1:89
	s_waitcnt vmcnt(44)
	ds_write2_b64 v202, v[44:45], v[46:47] offset0:90 offset1:91
	s_waitcnt vmcnt(43)
	ds_write2_b64 v202, v[40:41], v[42:43] offset0:92 offset1:93
	s_waitcnt vmcnt(42)
	ds_write2_b64 v202, v[36:37], v[38:39] offset0:94 offset1:95
	s_waitcnt vmcnt(41)
	ds_write2_b64 v202, v[32:33], v[34:35] offset0:96 offset1:97
	s_waitcnt vmcnt(40)
	ds_write2_b64 v202, v[28:29], v[30:31] offset0:98 offset1:99
	s_waitcnt vmcnt(39)
	ds_write2_b64 v202, v[24:25], v[26:27] offset0:100 offset1:101
	ds_write2_b64 v202, v[20:21], v[22:23] offset0:102 offset1:103
	ds_write2_b64 v202, v[16:17], v[18:19] offset0:104 offset1:105
	;; [unrolled: 1-line block ×5, first 2 shown]
	s_waitcnt vmcnt(38)
	ds_write2_b64 v202, v[0:1], v[2:3] offset0:112 offset1:113
	s_waitcnt vmcnt(35)
	ds_write2_b64 v202, v[228:229], v[230:231] offset0:114 offset1:115
	ds_read2_b64 v[208:211], v201 offset1:1
	s_waitcnt lgkmcnt(0)
	v_cmp_neq_f64_e32 vcc, 0, v[208:209]
	v_cmp_neq_f64_e64 s[2:3], 0, v[210:211]
	s_or_b64 s[2:3], vcc, s[2:3]
	s_and_b64 exec, exec, s[2:3]
	s_cbranch_execz .LBB115_179
; %bb.174:
	v_cmp_ngt_f64_e64 s[2:3], |v[208:209]|, |v[210:211]|
                                        ; implicit-def: $vgpr204_vgpr205
	s_and_saveexec_b64 s[10:11], s[2:3]
	s_xor_b64 s[2:3], exec, s[10:11]
                                        ; implicit-def: $vgpr206_vgpr207
	s_cbranch_execz .LBB115_176
; %bb.175:
	v_div_scale_f64 v[204:205], s[10:11], v[210:211], v[210:211], v[208:209]
	v_rcp_f64_e32 v[206:207], v[204:205]
	v_div_scale_f64 v[212:213], vcc, v[208:209], v[210:211], v[208:209]
	v_fma_f64 v[214:215], -v[204:205], v[206:207], 1.0
	v_fmac_f64_e32 v[206:207], v[206:207], v[214:215]
	v_fma_f64 v[214:215], -v[204:205], v[206:207], 1.0
	v_fmac_f64_e32 v[206:207], v[206:207], v[214:215]
	v_mul_f64 v[214:215], v[212:213], v[206:207]
	v_fma_f64 v[204:205], -v[204:205], v[214:215], v[212:213]
	v_div_fmas_f64 v[204:205], v[204:205], v[206:207], v[214:215]
	v_div_fixup_f64 v[204:205], v[204:205], v[210:211], v[208:209]
	v_fmac_f64_e32 v[210:211], v[208:209], v[204:205]
	v_div_scale_f64 v[206:207], s[10:11], v[210:211], v[210:211], 1.0
	v_rcp_f64_e32 v[208:209], v[206:207]
	s_nop 0
	v_fma_f64 v[212:213], -v[206:207], v[208:209], 1.0
	v_fmac_f64_e32 v[208:209], v[208:209], v[212:213]
	v_fma_f64 v[212:213], -v[206:207], v[208:209], 1.0
	v_fmac_f64_e32 v[208:209], v[208:209], v[212:213]
	v_div_scale_f64 v[212:213], vcc, 1.0, v[210:211], 1.0
	v_mul_f64 v[214:215], v[212:213], v[208:209]
	v_fma_f64 v[206:207], -v[206:207], v[214:215], v[212:213]
	s_nop 1
	v_div_fmas_f64 v[206:207], v[206:207], v[208:209], v[214:215]
	v_div_fixup_f64 v[206:207], v[206:207], v[210:211], 1.0
	v_mul_f64 v[204:205], v[204:205], v[206:207]
	v_xor_b32_e32 v207, 0x80000000, v207
                                        ; implicit-def: $vgpr208_vgpr209
.LBB115_176:
	s_andn2_saveexec_b64 s[2:3], s[2:3]
	s_cbranch_execz .LBB115_178
; %bb.177:
	v_div_scale_f64 v[204:205], s[10:11], v[208:209], v[208:209], v[210:211]
	v_rcp_f64_e32 v[206:207], v[204:205]
	v_div_scale_f64 v[212:213], vcc, v[210:211], v[208:209], v[210:211]
	v_fma_f64 v[214:215], -v[204:205], v[206:207], 1.0
	v_fmac_f64_e32 v[206:207], v[206:207], v[214:215]
	v_fma_f64 v[214:215], -v[204:205], v[206:207], 1.0
	v_fmac_f64_e32 v[206:207], v[206:207], v[214:215]
	v_mul_f64 v[214:215], v[212:213], v[206:207]
	v_fma_f64 v[204:205], -v[204:205], v[214:215], v[212:213]
	v_div_fmas_f64 v[204:205], v[204:205], v[206:207], v[214:215]
	v_div_fixup_f64 v[206:207], v[204:205], v[208:209], v[210:211]
	v_fmac_f64_e32 v[208:209], v[210:211], v[206:207]
	v_div_scale_f64 v[204:205], s[10:11], v[208:209], v[208:209], 1.0
	v_rcp_f64_e32 v[210:211], v[204:205]
	s_nop 0
	v_fma_f64 v[212:213], -v[204:205], v[210:211], 1.0
	v_fmac_f64_e32 v[210:211], v[210:211], v[212:213]
	v_fma_f64 v[212:213], -v[204:205], v[210:211], 1.0
	v_fmac_f64_e32 v[210:211], v[210:211], v[212:213]
	v_div_scale_f64 v[212:213], vcc, 1.0, v[208:209], 1.0
	v_mul_f64 v[214:215], v[212:213], v[210:211]
	v_fma_f64 v[204:205], -v[204:205], v[214:215], v[212:213]
	s_nop 1
	v_div_fmas_f64 v[204:205], v[204:205], v[210:211], v[214:215]
	v_div_fixup_f64 v[204:205], v[204:205], v[208:209], 1.0
	v_mul_f64 v[206:207], v[206:207], -v[204:205]
.LBB115_178:
	s_or_b64 exec, exec, s[2:3]
	ds_write2_b64 v201, v[204:205], v[206:207] offset1:1
.LBB115_179:
	s_or_b64 exec, exec, s[4:5]
	s_waitcnt lgkmcnt(0)
	s_barrier
	ds_read2_b64 v[192:195], v201 offset1:1
	v_cmp_lt_u32_e32 vcc, 19, v200
	s_waitcnt lgkmcnt(0)
	scratch_store_dwordx4 off, v[192:195], off offset:896 ; 16-byte Folded Spill
	s_and_saveexec_b64 s[2:3], vcc
	s_cbranch_execz .LBB115_181
; %bb.180:
	scratch_load_dwordx4 v[192:195], off, off offset:896 ; 16-byte Folded Reload
	s_waitcnt vmcnt(0)
	v_mul_f64 v[204:205], v[194:195], v[150:151]
	v_fma_f64 v[208:209], v[192:193], v[148:149], -v[204:205]
	ds_read2_b64 v[204:207], v202 offset0:40 offset1:41
	v_mul_f64 v[150:151], v[192:193], v[150:151]
	v_fmac_f64_e32 v[150:151], v[194:195], v[148:149]
	s_waitcnt lgkmcnt(0)
	v_mul_f64 v[148:149], v[206:207], v[150:151]
	v_fma_f64 v[148:149], v[204:205], v[208:209], -v[148:149]
	v_mul_f64 v[204:205], v[204:205], v[150:151]
	v_fmac_f64_e32 v[204:205], v[206:207], v[208:209]
	v_add_f64 v[146:147], v[146:147], -v[204:205]
	ds_read2_b64 v[204:207], v202 offset0:42 offset1:43
	v_add_f64 v[144:145], v[144:145], -v[148:149]
	s_waitcnt lgkmcnt(0)
	v_mul_f64 v[148:149], v[206:207], v[150:151]
	v_fma_f64 v[148:149], v[204:205], v[208:209], -v[148:149]
	v_mul_f64 v[204:205], v[204:205], v[150:151]
	v_fmac_f64_e32 v[204:205], v[206:207], v[208:209]
	v_add_f64 v[142:143], v[142:143], -v[204:205]
	ds_read2_b64 v[204:207], v202 offset0:44 offset1:45
	v_add_f64 v[140:141], v[140:141], -v[148:149]
	;; [unrolled: 8-line block ×37, first 2 shown]
	s_waitcnt lgkmcnt(0)
	v_mul_f64 v[148:149], v[206:207], v[150:151]
	v_fma_f64 v[148:149], v[204:205], v[208:209], -v[148:149]
	v_mul_f64 v[204:205], v[204:205], v[150:151]
	v_fmac_f64_e32 v[204:205], v[206:207], v[208:209]
	v_add_f64 v[228:229], v[228:229], -v[148:149]
	v_add_f64 v[230:231], v[230:231], -v[204:205]
	v_mov_b64_e32 v[148:149], v[208:209]
.LBB115_181:
	s_or_b64 exec, exec, s[2:3]
	v_cmp_eq_u32_e32 vcc, 20, v200
	s_waitcnt vmcnt(63) expcnt(7) lgkmcnt(15)
	s_barrier
	s_and_saveexec_b64 s[4:5], vcc
	s_cbranch_execz .LBB115_188
; %bb.182:
	ds_write2_b64 v201, v[144:145], v[146:147] offset1:1
	ds_write2_b64 v202, v[140:141], v[142:143] offset0:42 offset1:43
	ds_write2_b64 v202, v[136:137], v[138:139] offset0:44 offset1:45
	;; [unrolled: 1-line block ×20, first 2 shown]
	s_waitcnt vmcnt(49)
	ds_write2_b64 v202, v[60:61], v[62:63] offset0:82 offset1:83
	s_waitcnt vmcnt(48)
	ds_write2_b64 v202, v[56:57], v[58:59] offset0:84 offset1:85
	;; [unrolled: 2-line block ×10, first 2 shown]
	ds_write2_b64 v202, v[20:21], v[22:23] offset0:102 offset1:103
	ds_write2_b64 v202, v[16:17], v[18:19] offset0:104 offset1:105
	;; [unrolled: 1-line block ×5, first 2 shown]
	s_waitcnt vmcnt(39)
	ds_write2_b64 v202, v[0:1], v[2:3] offset0:112 offset1:113
	s_waitcnt vmcnt(36)
	ds_write2_b64 v202, v[228:229], v[230:231] offset0:114 offset1:115
	ds_read2_b64 v[208:211], v201 offset1:1
	s_waitcnt lgkmcnt(0)
	v_cmp_neq_f64_e32 vcc, 0, v[208:209]
	v_cmp_neq_f64_e64 s[2:3], 0, v[210:211]
	s_or_b64 s[2:3], vcc, s[2:3]
	s_and_b64 exec, exec, s[2:3]
	s_cbranch_execz .LBB115_188
; %bb.183:
	v_cmp_ngt_f64_e64 s[2:3], |v[208:209]|, |v[210:211]|
                                        ; implicit-def: $vgpr204_vgpr205
	s_and_saveexec_b64 s[10:11], s[2:3]
	s_xor_b64 s[2:3], exec, s[10:11]
                                        ; implicit-def: $vgpr206_vgpr207
	s_cbranch_execz .LBB115_185
; %bb.184:
	v_div_scale_f64 v[204:205], s[10:11], v[210:211], v[210:211], v[208:209]
	v_rcp_f64_e32 v[206:207], v[204:205]
	v_div_scale_f64 v[212:213], vcc, v[208:209], v[210:211], v[208:209]
	v_fma_f64 v[214:215], -v[204:205], v[206:207], 1.0
	v_fmac_f64_e32 v[206:207], v[206:207], v[214:215]
	v_fma_f64 v[214:215], -v[204:205], v[206:207], 1.0
	v_fmac_f64_e32 v[206:207], v[206:207], v[214:215]
	v_mul_f64 v[214:215], v[212:213], v[206:207]
	v_fma_f64 v[204:205], -v[204:205], v[214:215], v[212:213]
	v_div_fmas_f64 v[204:205], v[204:205], v[206:207], v[214:215]
	v_div_fixup_f64 v[204:205], v[204:205], v[210:211], v[208:209]
	v_fmac_f64_e32 v[210:211], v[208:209], v[204:205]
	v_div_scale_f64 v[206:207], s[10:11], v[210:211], v[210:211], 1.0
	v_rcp_f64_e32 v[208:209], v[206:207]
	s_nop 0
	v_fma_f64 v[212:213], -v[206:207], v[208:209], 1.0
	v_fmac_f64_e32 v[208:209], v[208:209], v[212:213]
	v_fma_f64 v[212:213], -v[206:207], v[208:209], 1.0
	v_fmac_f64_e32 v[208:209], v[208:209], v[212:213]
	v_div_scale_f64 v[212:213], vcc, 1.0, v[210:211], 1.0
	v_mul_f64 v[214:215], v[212:213], v[208:209]
	v_fma_f64 v[206:207], -v[206:207], v[214:215], v[212:213]
	s_nop 1
	v_div_fmas_f64 v[206:207], v[206:207], v[208:209], v[214:215]
	v_div_fixup_f64 v[206:207], v[206:207], v[210:211], 1.0
	v_mul_f64 v[204:205], v[204:205], v[206:207]
	v_xor_b32_e32 v207, 0x80000000, v207
                                        ; implicit-def: $vgpr208_vgpr209
.LBB115_185:
	s_andn2_saveexec_b64 s[2:3], s[2:3]
	s_cbranch_execz .LBB115_187
; %bb.186:
	v_div_scale_f64 v[204:205], s[10:11], v[208:209], v[208:209], v[210:211]
	v_rcp_f64_e32 v[206:207], v[204:205]
	v_div_scale_f64 v[212:213], vcc, v[210:211], v[208:209], v[210:211]
	v_fma_f64 v[214:215], -v[204:205], v[206:207], 1.0
	v_fmac_f64_e32 v[206:207], v[206:207], v[214:215]
	v_fma_f64 v[214:215], -v[204:205], v[206:207], 1.0
	v_fmac_f64_e32 v[206:207], v[206:207], v[214:215]
	v_mul_f64 v[214:215], v[212:213], v[206:207]
	v_fma_f64 v[204:205], -v[204:205], v[214:215], v[212:213]
	v_div_fmas_f64 v[204:205], v[204:205], v[206:207], v[214:215]
	v_div_fixup_f64 v[206:207], v[204:205], v[208:209], v[210:211]
	v_fmac_f64_e32 v[208:209], v[210:211], v[206:207]
	v_div_scale_f64 v[204:205], s[10:11], v[208:209], v[208:209], 1.0
	v_rcp_f64_e32 v[210:211], v[204:205]
	s_nop 0
	v_fma_f64 v[212:213], -v[204:205], v[210:211], 1.0
	v_fmac_f64_e32 v[210:211], v[210:211], v[212:213]
	v_fma_f64 v[212:213], -v[204:205], v[210:211], 1.0
	v_fmac_f64_e32 v[210:211], v[210:211], v[212:213]
	v_div_scale_f64 v[212:213], vcc, 1.0, v[208:209], 1.0
	v_mul_f64 v[214:215], v[212:213], v[210:211]
	v_fma_f64 v[204:205], -v[204:205], v[214:215], v[212:213]
	s_nop 1
	v_div_fmas_f64 v[204:205], v[204:205], v[210:211], v[214:215]
	v_div_fixup_f64 v[204:205], v[204:205], v[208:209], 1.0
	v_mul_f64 v[206:207], v[206:207], -v[204:205]
.LBB115_187:
	s_or_b64 exec, exec, s[2:3]
	ds_write2_b64 v201, v[204:205], v[206:207] offset1:1
.LBB115_188:
	s_or_b64 exec, exec, s[4:5]
	s_waitcnt lgkmcnt(0)
	s_barrier
	ds_read2_b64 v[192:195], v201 offset1:1
	v_cmp_lt_u32_e32 vcc, 20, v200
	s_waitcnt lgkmcnt(0)
	scratch_store_dwordx4 off, v[192:195], off offset:912 ; 16-byte Folded Spill
	s_and_saveexec_b64 s[2:3], vcc
	s_cbranch_execz .LBB115_190
; %bb.189:
	scratch_load_dwordx4 v[192:195], off, off offset:912 ; 16-byte Folded Reload
	s_waitcnt vmcnt(0)
	v_mul_f64 v[204:205], v[194:195], v[146:147]
	v_fma_f64 v[208:209], v[192:193], v[144:145], -v[204:205]
	ds_read2_b64 v[204:207], v202 offset0:42 offset1:43
	v_mul_f64 v[146:147], v[192:193], v[146:147]
	v_fmac_f64_e32 v[146:147], v[194:195], v[144:145]
	s_waitcnt lgkmcnt(0)
	v_mul_f64 v[144:145], v[206:207], v[146:147]
	v_fma_f64 v[144:145], v[204:205], v[208:209], -v[144:145]
	v_mul_f64 v[204:205], v[204:205], v[146:147]
	v_fmac_f64_e32 v[204:205], v[206:207], v[208:209]
	v_add_f64 v[142:143], v[142:143], -v[204:205]
	ds_read2_b64 v[204:207], v202 offset0:44 offset1:45
	v_add_f64 v[140:141], v[140:141], -v[144:145]
	s_waitcnt lgkmcnt(0)
	v_mul_f64 v[144:145], v[206:207], v[146:147]
	v_fma_f64 v[144:145], v[204:205], v[208:209], -v[144:145]
	v_mul_f64 v[204:205], v[204:205], v[146:147]
	v_fmac_f64_e32 v[204:205], v[206:207], v[208:209]
	v_add_f64 v[138:139], v[138:139], -v[204:205]
	ds_read2_b64 v[204:207], v202 offset0:46 offset1:47
	v_add_f64 v[136:137], v[136:137], -v[144:145]
	;; [unrolled: 8-line block ×36, first 2 shown]
	s_waitcnt lgkmcnt(0)
	v_mul_f64 v[144:145], v[206:207], v[146:147]
	v_fma_f64 v[144:145], v[204:205], v[208:209], -v[144:145]
	v_mul_f64 v[204:205], v[204:205], v[146:147]
	v_fmac_f64_e32 v[204:205], v[206:207], v[208:209]
	v_add_f64 v[228:229], v[228:229], -v[144:145]
	v_add_f64 v[230:231], v[230:231], -v[204:205]
	v_mov_b64_e32 v[144:145], v[208:209]
.LBB115_190:
	s_or_b64 exec, exec, s[2:3]
	v_cmp_eq_u32_e32 vcc, 21, v200
	s_waitcnt vmcnt(63) expcnt(7) lgkmcnt(15)
	s_barrier
	s_and_saveexec_b64 s[4:5], vcc
	s_cbranch_execz .LBB115_197
; %bb.191:
	ds_write2_b64 v201, v[140:141], v[142:143] offset1:1
	ds_write2_b64 v202, v[136:137], v[138:139] offset0:44 offset1:45
	ds_write2_b64 v202, v[132:133], v[134:135] offset0:46 offset1:47
	;; [unrolled: 1-line block ×19, first 2 shown]
	s_waitcnt vmcnt(50)
	ds_write2_b64 v202, v[60:61], v[62:63] offset0:82 offset1:83
	s_waitcnt vmcnt(49)
	ds_write2_b64 v202, v[56:57], v[58:59] offset0:84 offset1:85
	;; [unrolled: 2-line block ×10, first 2 shown]
	ds_write2_b64 v202, v[20:21], v[22:23] offset0:102 offset1:103
	ds_write2_b64 v202, v[16:17], v[18:19] offset0:104 offset1:105
	ds_write2_b64 v202, v[12:13], v[14:15] offset0:106 offset1:107
	ds_write2_b64 v202, v[8:9], v[10:11] offset0:108 offset1:109
	ds_write2_b64 v202, v[4:5], v[6:7] offset0:110 offset1:111
	s_waitcnt vmcnt(40)
	ds_write2_b64 v202, v[0:1], v[2:3] offset0:112 offset1:113
	s_waitcnt vmcnt(37)
	ds_write2_b64 v202, v[228:229], v[230:231] offset0:114 offset1:115
	ds_read2_b64 v[208:211], v201 offset1:1
	s_waitcnt lgkmcnt(0)
	v_cmp_neq_f64_e32 vcc, 0, v[208:209]
	v_cmp_neq_f64_e64 s[2:3], 0, v[210:211]
	s_or_b64 s[2:3], vcc, s[2:3]
	s_and_b64 exec, exec, s[2:3]
	s_cbranch_execz .LBB115_197
; %bb.192:
	v_cmp_ngt_f64_e64 s[2:3], |v[208:209]|, |v[210:211]|
                                        ; implicit-def: $vgpr204_vgpr205
	s_and_saveexec_b64 s[10:11], s[2:3]
	s_xor_b64 s[2:3], exec, s[10:11]
                                        ; implicit-def: $vgpr206_vgpr207
	s_cbranch_execz .LBB115_194
; %bb.193:
	v_div_scale_f64 v[204:205], s[10:11], v[210:211], v[210:211], v[208:209]
	v_rcp_f64_e32 v[206:207], v[204:205]
	v_div_scale_f64 v[212:213], vcc, v[208:209], v[210:211], v[208:209]
	v_fma_f64 v[214:215], -v[204:205], v[206:207], 1.0
	v_fmac_f64_e32 v[206:207], v[206:207], v[214:215]
	v_fma_f64 v[214:215], -v[204:205], v[206:207], 1.0
	v_fmac_f64_e32 v[206:207], v[206:207], v[214:215]
	v_mul_f64 v[214:215], v[212:213], v[206:207]
	v_fma_f64 v[204:205], -v[204:205], v[214:215], v[212:213]
	v_div_fmas_f64 v[204:205], v[204:205], v[206:207], v[214:215]
	v_div_fixup_f64 v[204:205], v[204:205], v[210:211], v[208:209]
	v_fmac_f64_e32 v[210:211], v[208:209], v[204:205]
	v_div_scale_f64 v[206:207], s[10:11], v[210:211], v[210:211], 1.0
	v_rcp_f64_e32 v[208:209], v[206:207]
	s_nop 0
	v_fma_f64 v[212:213], -v[206:207], v[208:209], 1.0
	v_fmac_f64_e32 v[208:209], v[208:209], v[212:213]
	v_fma_f64 v[212:213], -v[206:207], v[208:209], 1.0
	v_fmac_f64_e32 v[208:209], v[208:209], v[212:213]
	v_div_scale_f64 v[212:213], vcc, 1.0, v[210:211], 1.0
	v_mul_f64 v[214:215], v[212:213], v[208:209]
	v_fma_f64 v[206:207], -v[206:207], v[214:215], v[212:213]
	s_nop 1
	v_div_fmas_f64 v[206:207], v[206:207], v[208:209], v[214:215]
	v_div_fixup_f64 v[206:207], v[206:207], v[210:211], 1.0
	v_mul_f64 v[204:205], v[204:205], v[206:207]
	v_xor_b32_e32 v207, 0x80000000, v207
                                        ; implicit-def: $vgpr208_vgpr209
.LBB115_194:
	s_andn2_saveexec_b64 s[2:3], s[2:3]
	s_cbranch_execz .LBB115_196
; %bb.195:
	v_div_scale_f64 v[204:205], s[10:11], v[208:209], v[208:209], v[210:211]
	v_rcp_f64_e32 v[206:207], v[204:205]
	v_div_scale_f64 v[212:213], vcc, v[210:211], v[208:209], v[210:211]
	v_fma_f64 v[214:215], -v[204:205], v[206:207], 1.0
	v_fmac_f64_e32 v[206:207], v[206:207], v[214:215]
	v_fma_f64 v[214:215], -v[204:205], v[206:207], 1.0
	v_fmac_f64_e32 v[206:207], v[206:207], v[214:215]
	v_mul_f64 v[214:215], v[212:213], v[206:207]
	v_fma_f64 v[204:205], -v[204:205], v[214:215], v[212:213]
	v_div_fmas_f64 v[204:205], v[204:205], v[206:207], v[214:215]
	v_div_fixup_f64 v[206:207], v[204:205], v[208:209], v[210:211]
	v_fmac_f64_e32 v[208:209], v[210:211], v[206:207]
	v_div_scale_f64 v[204:205], s[10:11], v[208:209], v[208:209], 1.0
	v_rcp_f64_e32 v[210:211], v[204:205]
	s_nop 0
	v_fma_f64 v[212:213], -v[204:205], v[210:211], 1.0
	v_fmac_f64_e32 v[210:211], v[210:211], v[212:213]
	v_fma_f64 v[212:213], -v[204:205], v[210:211], 1.0
	v_fmac_f64_e32 v[210:211], v[210:211], v[212:213]
	v_div_scale_f64 v[212:213], vcc, 1.0, v[208:209], 1.0
	v_mul_f64 v[214:215], v[212:213], v[210:211]
	v_fma_f64 v[204:205], -v[204:205], v[214:215], v[212:213]
	s_nop 1
	v_div_fmas_f64 v[204:205], v[204:205], v[210:211], v[214:215]
	v_div_fixup_f64 v[204:205], v[204:205], v[208:209], 1.0
	v_mul_f64 v[206:207], v[206:207], -v[204:205]
.LBB115_196:
	s_or_b64 exec, exec, s[2:3]
	ds_write2_b64 v201, v[204:205], v[206:207] offset1:1
.LBB115_197:
	s_or_b64 exec, exec, s[4:5]
	s_waitcnt lgkmcnt(0)
	s_barrier
	ds_read2_b64 v[192:195], v201 offset1:1
	v_cmp_lt_u32_e32 vcc, 21, v200
	s_waitcnt lgkmcnt(0)
	scratch_store_dwordx4 off, v[192:195], off offset:928 ; 16-byte Folded Spill
	s_and_saveexec_b64 s[2:3], vcc
	s_cbranch_execz .LBB115_199
; %bb.198:
	scratch_load_dwordx4 v[192:195], off, off offset:928 ; 16-byte Folded Reload
	s_waitcnt vmcnt(0)
	v_mul_f64 v[204:205], v[194:195], v[142:143]
	v_fma_f64 v[208:209], v[192:193], v[140:141], -v[204:205]
	ds_read2_b64 v[204:207], v202 offset0:44 offset1:45
	v_mul_f64 v[142:143], v[192:193], v[142:143]
	v_fmac_f64_e32 v[142:143], v[194:195], v[140:141]
	s_waitcnt lgkmcnt(0)
	v_mul_f64 v[140:141], v[206:207], v[142:143]
	v_fma_f64 v[140:141], v[204:205], v[208:209], -v[140:141]
	v_mul_f64 v[204:205], v[204:205], v[142:143]
	v_fmac_f64_e32 v[204:205], v[206:207], v[208:209]
	v_add_f64 v[138:139], v[138:139], -v[204:205]
	ds_read2_b64 v[204:207], v202 offset0:46 offset1:47
	v_add_f64 v[136:137], v[136:137], -v[140:141]
	s_waitcnt lgkmcnt(0)
	v_mul_f64 v[140:141], v[206:207], v[142:143]
	v_fma_f64 v[140:141], v[204:205], v[208:209], -v[140:141]
	v_mul_f64 v[204:205], v[204:205], v[142:143]
	v_fmac_f64_e32 v[204:205], v[206:207], v[208:209]
	v_add_f64 v[134:135], v[134:135], -v[204:205]
	ds_read2_b64 v[204:207], v202 offset0:48 offset1:49
	v_add_f64 v[132:133], v[132:133], -v[140:141]
	;; [unrolled: 8-line block ×35, first 2 shown]
	s_waitcnt lgkmcnt(0)
	v_mul_f64 v[140:141], v[206:207], v[142:143]
	v_fma_f64 v[140:141], v[204:205], v[208:209], -v[140:141]
	v_mul_f64 v[204:205], v[204:205], v[142:143]
	v_fmac_f64_e32 v[204:205], v[206:207], v[208:209]
	v_add_f64 v[228:229], v[228:229], -v[140:141]
	v_add_f64 v[230:231], v[230:231], -v[204:205]
	v_mov_b64_e32 v[140:141], v[208:209]
.LBB115_199:
	s_or_b64 exec, exec, s[2:3]
	v_cmp_eq_u32_e32 vcc, 22, v200
	s_waitcnt vmcnt(63) expcnt(7) lgkmcnt(15)
	s_barrier
	s_and_saveexec_b64 s[4:5], vcc
	s_cbranch_execz .LBB115_206
; %bb.200:
	ds_write2_b64 v201, v[136:137], v[138:139] offset1:1
	ds_write2_b64 v202, v[132:133], v[134:135] offset0:46 offset1:47
	ds_write2_b64 v202, v[128:129], v[130:131] offset0:48 offset1:49
	;; [unrolled: 1-line block ×18, first 2 shown]
	s_waitcnt vmcnt(51)
	ds_write2_b64 v202, v[60:61], v[62:63] offset0:82 offset1:83
	s_waitcnt vmcnt(50)
	ds_write2_b64 v202, v[56:57], v[58:59] offset0:84 offset1:85
	;; [unrolled: 2-line block ×10, first 2 shown]
	ds_write2_b64 v202, v[20:21], v[22:23] offset0:102 offset1:103
	ds_write2_b64 v202, v[16:17], v[18:19] offset0:104 offset1:105
	;; [unrolled: 1-line block ×5, first 2 shown]
	s_waitcnt vmcnt(41)
	ds_write2_b64 v202, v[0:1], v[2:3] offset0:112 offset1:113
	s_waitcnt vmcnt(38)
	ds_write2_b64 v202, v[228:229], v[230:231] offset0:114 offset1:115
	ds_read2_b64 v[208:211], v201 offset1:1
	s_waitcnt lgkmcnt(0)
	v_cmp_neq_f64_e32 vcc, 0, v[208:209]
	v_cmp_neq_f64_e64 s[2:3], 0, v[210:211]
	s_or_b64 s[2:3], vcc, s[2:3]
	s_and_b64 exec, exec, s[2:3]
	s_cbranch_execz .LBB115_206
; %bb.201:
	v_cmp_ngt_f64_e64 s[2:3], |v[208:209]|, |v[210:211]|
                                        ; implicit-def: $vgpr204_vgpr205
	s_and_saveexec_b64 s[10:11], s[2:3]
	s_xor_b64 s[2:3], exec, s[10:11]
                                        ; implicit-def: $vgpr206_vgpr207
	s_cbranch_execz .LBB115_203
; %bb.202:
	v_div_scale_f64 v[204:205], s[10:11], v[210:211], v[210:211], v[208:209]
	v_rcp_f64_e32 v[206:207], v[204:205]
	v_div_scale_f64 v[212:213], vcc, v[208:209], v[210:211], v[208:209]
	v_fma_f64 v[214:215], -v[204:205], v[206:207], 1.0
	v_fmac_f64_e32 v[206:207], v[206:207], v[214:215]
	v_fma_f64 v[214:215], -v[204:205], v[206:207], 1.0
	v_fmac_f64_e32 v[206:207], v[206:207], v[214:215]
	v_mul_f64 v[214:215], v[212:213], v[206:207]
	v_fma_f64 v[204:205], -v[204:205], v[214:215], v[212:213]
	v_div_fmas_f64 v[204:205], v[204:205], v[206:207], v[214:215]
	v_div_fixup_f64 v[204:205], v[204:205], v[210:211], v[208:209]
	v_fmac_f64_e32 v[210:211], v[208:209], v[204:205]
	v_div_scale_f64 v[206:207], s[10:11], v[210:211], v[210:211], 1.0
	v_rcp_f64_e32 v[208:209], v[206:207]
	s_nop 0
	v_fma_f64 v[212:213], -v[206:207], v[208:209], 1.0
	v_fmac_f64_e32 v[208:209], v[208:209], v[212:213]
	v_fma_f64 v[212:213], -v[206:207], v[208:209], 1.0
	v_fmac_f64_e32 v[208:209], v[208:209], v[212:213]
	v_div_scale_f64 v[212:213], vcc, 1.0, v[210:211], 1.0
	v_mul_f64 v[214:215], v[212:213], v[208:209]
	v_fma_f64 v[206:207], -v[206:207], v[214:215], v[212:213]
	s_nop 1
	v_div_fmas_f64 v[206:207], v[206:207], v[208:209], v[214:215]
	v_div_fixup_f64 v[206:207], v[206:207], v[210:211], 1.0
	v_mul_f64 v[204:205], v[204:205], v[206:207]
	v_xor_b32_e32 v207, 0x80000000, v207
                                        ; implicit-def: $vgpr208_vgpr209
.LBB115_203:
	s_andn2_saveexec_b64 s[2:3], s[2:3]
	s_cbranch_execz .LBB115_205
; %bb.204:
	v_div_scale_f64 v[204:205], s[10:11], v[208:209], v[208:209], v[210:211]
	v_rcp_f64_e32 v[206:207], v[204:205]
	v_div_scale_f64 v[212:213], vcc, v[210:211], v[208:209], v[210:211]
	v_fma_f64 v[214:215], -v[204:205], v[206:207], 1.0
	v_fmac_f64_e32 v[206:207], v[206:207], v[214:215]
	v_fma_f64 v[214:215], -v[204:205], v[206:207], 1.0
	v_fmac_f64_e32 v[206:207], v[206:207], v[214:215]
	v_mul_f64 v[214:215], v[212:213], v[206:207]
	v_fma_f64 v[204:205], -v[204:205], v[214:215], v[212:213]
	v_div_fmas_f64 v[204:205], v[204:205], v[206:207], v[214:215]
	v_div_fixup_f64 v[206:207], v[204:205], v[208:209], v[210:211]
	v_fmac_f64_e32 v[208:209], v[210:211], v[206:207]
	v_div_scale_f64 v[204:205], s[10:11], v[208:209], v[208:209], 1.0
	v_rcp_f64_e32 v[210:211], v[204:205]
	s_nop 0
	v_fma_f64 v[212:213], -v[204:205], v[210:211], 1.0
	v_fmac_f64_e32 v[210:211], v[210:211], v[212:213]
	v_fma_f64 v[212:213], -v[204:205], v[210:211], 1.0
	v_fmac_f64_e32 v[210:211], v[210:211], v[212:213]
	v_div_scale_f64 v[212:213], vcc, 1.0, v[208:209], 1.0
	v_mul_f64 v[214:215], v[212:213], v[210:211]
	v_fma_f64 v[204:205], -v[204:205], v[214:215], v[212:213]
	s_nop 1
	v_div_fmas_f64 v[204:205], v[204:205], v[210:211], v[214:215]
	v_div_fixup_f64 v[204:205], v[204:205], v[208:209], 1.0
	v_mul_f64 v[206:207], v[206:207], -v[204:205]
.LBB115_205:
	s_or_b64 exec, exec, s[2:3]
	ds_write2_b64 v201, v[204:205], v[206:207] offset1:1
.LBB115_206:
	s_or_b64 exec, exec, s[4:5]
	s_waitcnt lgkmcnt(0)
	s_barrier
	ds_read2_b64 v[192:195], v201 offset1:1
	v_cmp_lt_u32_e32 vcc, 22, v200
	s_waitcnt lgkmcnt(0)
	scratch_store_dwordx4 off, v[192:195], off offset:944 ; 16-byte Folded Spill
	s_and_saveexec_b64 s[2:3], vcc
	s_cbranch_execz .LBB115_208
; %bb.207:
	scratch_load_dwordx4 v[192:195], off, off offset:944 ; 16-byte Folded Reload
	s_waitcnt vmcnt(0)
	v_mul_f64 v[204:205], v[194:195], v[138:139]
	v_fma_f64 v[208:209], v[192:193], v[136:137], -v[204:205]
	ds_read2_b64 v[204:207], v202 offset0:46 offset1:47
	v_mul_f64 v[138:139], v[192:193], v[138:139]
	v_fmac_f64_e32 v[138:139], v[194:195], v[136:137]
	s_waitcnt lgkmcnt(0)
	v_mul_f64 v[136:137], v[206:207], v[138:139]
	v_fma_f64 v[136:137], v[204:205], v[208:209], -v[136:137]
	v_mul_f64 v[204:205], v[204:205], v[138:139]
	v_fmac_f64_e32 v[204:205], v[206:207], v[208:209]
	v_add_f64 v[134:135], v[134:135], -v[204:205]
	ds_read2_b64 v[204:207], v202 offset0:48 offset1:49
	v_add_f64 v[132:133], v[132:133], -v[136:137]
	s_waitcnt lgkmcnt(0)
	v_mul_f64 v[136:137], v[206:207], v[138:139]
	v_fma_f64 v[136:137], v[204:205], v[208:209], -v[136:137]
	v_mul_f64 v[204:205], v[204:205], v[138:139]
	v_fmac_f64_e32 v[204:205], v[206:207], v[208:209]
	v_add_f64 v[130:131], v[130:131], -v[204:205]
	ds_read2_b64 v[204:207], v202 offset0:50 offset1:51
	v_add_f64 v[128:129], v[128:129], -v[136:137]
	;; [unrolled: 8-line block ×34, first 2 shown]
	s_waitcnt lgkmcnt(0)
	v_mul_f64 v[136:137], v[206:207], v[138:139]
	v_fma_f64 v[136:137], v[204:205], v[208:209], -v[136:137]
	v_mul_f64 v[204:205], v[204:205], v[138:139]
	v_fmac_f64_e32 v[204:205], v[206:207], v[208:209]
	v_add_f64 v[228:229], v[228:229], -v[136:137]
	v_add_f64 v[230:231], v[230:231], -v[204:205]
	v_mov_b64_e32 v[136:137], v[208:209]
.LBB115_208:
	s_or_b64 exec, exec, s[2:3]
	v_cmp_eq_u32_e32 vcc, 23, v200
	s_waitcnt vmcnt(63) expcnt(7) lgkmcnt(15)
	s_barrier
	s_and_saveexec_b64 s[4:5], vcc
	s_cbranch_execz .LBB115_215
; %bb.209:
	ds_write2_b64 v201, v[132:133], v[134:135] offset1:1
	ds_write2_b64 v202, v[128:129], v[130:131] offset0:48 offset1:49
	ds_write2_b64 v202, v[124:125], v[126:127] offset0:50 offset1:51
	;; [unrolled: 1-line block ×17, first 2 shown]
	s_waitcnt vmcnt(52)
	ds_write2_b64 v202, v[60:61], v[62:63] offset0:82 offset1:83
	s_waitcnt vmcnt(51)
	ds_write2_b64 v202, v[56:57], v[58:59] offset0:84 offset1:85
	;; [unrolled: 2-line block ×10, first 2 shown]
	ds_write2_b64 v202, v[20:21], v[22:23] offset0:102 offset1:103
	ds_write2_b64 v202, v[16:17], v[18:19] offset0:104 offset1:105
	;; [unrolled: 1-line block ×5, first 2 shown]
	s_waitcnt vmcnt(42)
	ds_write2_b64 v202, v[0:1], v[2:3] offset0:112 offset1:113
	s_waitcnt vmcnt(39)
	ds_write2_b64 v202, v[228:229], v[230:231] offset0:114 offset1:115
	ds_read2_b64 v[208:211], v201 offset1:1
	s_waitcnt lgkmcnt(0)
	v_cmp_neq_f64_e32 vcc, 0, v[208:209]
	v_cmp_neq_f64_e64 s[2:3], 0, v[210:211]
	s_or_b64 s[2:3], vcc, s[2:3]
	s_and_b64 exec, exec, s[2:3]
	s_cbranch_execz .LBB115_215
; %bb.210:
	v_cmp_ngt_f64_e64 s[2:3], |v[208:209]|, |v[210:211]|
                                        ; implicit-def: $vgpr204_vgpr205
	s_and_saveexec_b64 s[10:11], s[2:3]
	s_xor_b64 s[2:3], exec, s[10:11]
                                        ; implicit-def: $vgpr206_vgpr207
	s_cbranch_execz .LBB115_212
; %bb.211:
	v_div_scale_f64 v[204:205], s[10:11], v[210:211], v[210:211], v[208:209]
	v_rcp_f64_e32 v[206:207], v[204:205]
	v_div_scale_f64 v[212:213], vcc, v[208:209], v[210:211], v[208:209]
	v_fma_f64 v[214:215], -v[204:205], v[206:207], 1.0
	v_fmac_f64_e32 v[206:207], v[206:207], v[214:215]
	v_fma_f64 v[214:215], -v[204:205], v[206:207], 1.0
	v_fmac_f64_e32 v[206:207], v[206:207], v[214:215]
	v_mul_f64 v[214:215], v[212:213], v[206:207]
	v_fma_f64 v[204:205], -v[204:205], v[214:215], v[212:213]
	v_div_fmas_f64 v[204:205], v[204:205], v[206:207], v[214:215]
	v_div_fixup_f64 v[204:205], v[204:205], v[210:211], v[208:209]
	v_fmac_f64_e32 v[210:211], v[208:209], v[204:205]
	v_div_scale_f64 v[206:207], s[10:11], v[210:211], v[210:211], 1.0
	v_rcp_f64_e32 v[208:209], v[206:207]
	s_nop 0
	v_fma_f64 v[212:213], -v[206:207], v[208:209], 1.0
	v_fmac_f64_e32 v[208:209], v[208:209], v[212:213]
	v_fma_f64 v[212:213], -v[206:207], v[208:209], 1.0
	v_fmac_f64_e32 v[208:209], v[208:209], v[212:213]
	v_div_scale_f64 v[212:213], vcc, 1.0, v[210:211], 1.0
	v_mul_f64 v[214:215], v[212:213], v[208:209]
	v_fma_f64 v[206:207], -v[206:207], v[214:215], v[212:213]
	s_nop 1
	v_div_fmas_f64 v[206:207], v[206:207], v[208:209], v[214:215]
	v_div_fixup_f64 v[206:207], v[206:207], v[210:211], 1.0
	v_mul_f64 v[204:205], v[204:205], v[206:207]
	v_xor_b32_e32 v207, 0x80000000, v207
                                        ; implicit-def: $vgpr208_vgpr209
.LBB115_212:
	s_andn2_saveexec_b64 s[2:3], s[2:3]
	s_cbranch_execz .LBB115_214
; %bb.213:
	v_div_scale_f64 v[204:205], s[10:11], v[208:209], v[208:209], v[210:211]
	v_rcp_f64_e32 v[206:207], v[204:205]
	v_div_scale_f64 v[212:213], vcc, v[210:211], v[208:209], v[210:211]
	v_fma_f64 v[214:215], -v[204:205], v[206:207], 1.0
	v_fmac_f64_e32 v[206:207], v[206:207], v[214:215]
	v_fma_f64 v[214:215], -v[204:205], v[206:207], 1.0
	v_fmac_f64_e32 v[206:207], v[206:207], v[214:215]
	v_mul_f64 v[214:215], v[212:213], v[206:207]
	v_fma_f64 v[204:205], -v[204:205], v[214:215], v[212:213]
	v_div_fmas_f64 v[204:205], v[204:205], v[206:207], v[214:215]
	v_div_fixup_f64 v[206:207], v[204:205], v[208:209], v[210:211]
	v_fmac_f64_e32 v[208:209], v[210:211], v[206:207]
	v_div_scale_f64 v[204:205], s[10:11], v[208:209], v[208:209], 1.0
	v_rcp_f64_e32 v[210:211], v[204:205]
	s_nop 0
	v_fma_f64 v[212:213], -v[204:205], v[210:211], 1.0
	v_fmac_f64_e32 v[210:211], v[210:211], v[212:213]
	v_fma_f64 v[212:213], -v[204:205], v[210:211], 1.0
	v_fmac_f64_e32 v[210:211], v[210:211], v[212:213]
	v_div_scale_f64 v[212:213], vcc, 1.0, v[208:209], 1.0
	v_mul_f64 v[214:215], v[212:213], v[210:211]
	v_fma_f64 v[204:205], -v[204:205], v[214:215], v[212:213]
	s_nop 1
	v_div_fmas_f64 v[204:205], v[204:205], v[210:211], v[214:215]
	v_div_fixup_f64 v[204:205], v[204:205], v[208:209], 1.0
	v_mul_f64 v[206:207], v[206:207], -v[204:205]
.LBB115_214:
	s_or_b64 exec, exec, s[2:3]
	ds_write2_b64 v201, v[204:205], v[206:207] offset1:1
.LBB115_215:
	s_or_b64 exec, exec, s[4:5]
	s_waitcnt lgkmcnt(0)
	s_barrier
	ds_read2_b64 v[192:195], v201 offset1:1
	v_cmp_lt_u32_e32 vcc, 23, v200
	s_waitcnt lgkmcnt(0)
	scratch_store_dwordx4 off, v[192:195], off offset:960 ; 16-byte Folded Spill
	s_and_saveexec_b64 s[2:3], vcc
	s_cbranch_execz .LBB115_217
; %bb.216:
	scratch_load_dwordx4 v[192:195], off, off offset:960 ; 16-byte Folded Reload
	s_waitcnt vmcnt(0)
	v_mul_f64 v[204:205], v[194:195], v[134:135]
	v_fma_f64 v[208:209], v[192:193], v[132:133], -v[204:205]
	ds_read2_b64 v[204:207], v202 offset0:48 offset1:49
	v_mul_f64 v[134:135], v[192:193], v[134:135]
	v_fmac_f64_e32 v[134:135], v[194:195], v[132:133]
	s_waitcnt lgkmcnt(0)
	v_mul_f64 v[132:133], v[206:207], v[134:135]
	v_fma_f64 v[132:133], v[204:205], v[208:209], -v[132:133]
	v_mul_f64 v[204:205], v[204:205], v[134:135]
	v_fmac_f64_e32 v[204:205], v[206:207], v[208:209]
	v_add_f64 v[130:131], v[130:131], -v[204:205]
	ds_read2_b64 v[204:207], v202 offset0:50 offset1:51
	v_add_f64 v[128:129], v[128:129], -v[132:133]
	s_waitcnt lgkmcnt(0)
	v_mul_f64 v[132:133], v[206:207], v[134:135]
	v_fma_f64 v[132:133], v[204:205], v[208:209], -v[132:133]
	v_mul_f64 v[204:205], v[204:205], v[134:135]
	v_fmac_f64_e32 v[204:205], v[206:207], v[208:209]
	v_add_f64 v[126:127], v[126:127], -v[204:205]
	ds_read2_b64 v[204:207], v202 offset0:52 offset1:53
	v_add_f64 v[124:125], v[124:125], -v[132:133]
	;; [unrolled: 8-line block ×33, first 2 shown]
	s_waitcnt lgkmcnt(0)
	v_mul_f64 v[132:133], v[206:207], v[134:135]
	v_fma_f64 v[132:133], v[204:205], v[208:209], -v[132:133]
	v_mul_f64 v[204:205], v[204:205], v[134:135]
	v_fmac_f64_e32 v[204:205], v[206:207], v[208:209]
	v_add_f64 v[228:229], v[228:229], -v[132:133]
	v_add_f64 v[230:231], v[230:231], -v[204:205]
	v_mov_b64_e32 v[132:133], v[208:209]
.LBB115_217:
	s_or_b64 exec, exec, s[2:3]
	v_cmp_eq_u32_e32 vcc, 24, v200
	s_waitcnt vmcnt(63) expcnt(7) lgkmcnt(15)
	s_barrier
	s_and_saveexec_b64 s[4:5], vcc
	s_cbranch_execz .LBB115_224
; %bb.218:
	ds_write2_b64 v201, v[128:129], v[130:131] offset1:1
	ds_write2_b64 v202, v[124:125], v[126:127] offset0:50 offset1:51
	ds_write2_b64 v202, v[120:121], v[122:123] offset0:52 offset1:53
	;; [unrolled: 1-line block ×16, first 2 shown]
	s_waitcnt vmcnt(53)
	ds_write2_b64 v202, v[60:61], v[62:63] offset0:82 offset1:83
	s_waitcnt vmcnt(52)
	ds_write2_b64 v202, v[56:57], v[58:59] offset0:84 offset1:85
	;; [unrolled: 2-line block ×10, first 2 shown]
	ds_write2_b64 v202, v[20:21], v[22:23] offset0:102 offset1:103
	ds_write2_b64 v202, v[16:17], v[18:19] offset0:104 offset1:105
	;; [unrolled: 1-line block ×5, first 2 shown]
	s_waitcnt vmcnt(43)
	ds_write2_b64 v202, v[0:1], v[2:3] offset0:112 offset1:113
	s_waitcnt vmcnt(40)
	ds_write2_b64 v202, v[228:229], v[230:231] offset0:114 offset1:115
	ds_read2_b64 v[208:211], v201 offset1:1
	s_waitcnt lgkmcnt(0)
	v_cmp_neq_f64_e32 vcc, 0, v[208:209]
	v_cmp_neq_f64_e64 s[2:3], 0, v[210:211]
	s_or_b64 s[2:3], vcc, s[2:3]
	s_and_b64 exec, exec, s[2:3]
	s_cbranch_execz .LBB115_224
; %bb.219:
	v_cmp_ngt_f64_e64 s[2:3], |v[208:209]|, |v[210:211]|
                                        ; implicit-def: $vgpr204_vgpr205
	s_and_saveexec_b64 s[10:11], s[2:3]
	s_xor_b64 s[2:3], exec, s[10:11]
                                        ; implicit-def: $vgpr206_vgpr207
	s_cbranch_execz .LBB115_221
; %bb.220:
	v_div_scale_f64 v[204:205], s[10:11], v[210:211], v[210:211], v[208:209]
	v_rcp_f64_e32 v[206:207], v[204:205]
	v_div_scale_f64 v[212:213], vcc, v[208:209], v[210:211], v[208:209]
	v_fma_f64 v[214:215], -v[204:205], v[206:207], 1.0
	v_fmac_f64_e32 v[206:207], v[206:207], v[214:215]
	v_fma_f64 v[214:215], -v[204:205], v[206:207], 1.0
	v_fmac_f64_e32 v[206:207], v[206:207], v[214:215]
	v_mul_f64 v[214:215], v[212:213], v[206:207]
	v_fma_f64 v[204:205], -v[204:205], v[214:215], v[212:213]
	v_div_fmas_f64 v[204:205], v[204:205], v[206:207], v[214:215]
	v_div_fixup_f64 v[204:205], v[204:205], v[210:211], v[208:209]
	v_fmac_f64_e32 v[210:211], v[208:209], v[204:205]
	v_div_scale_f64 v[206:207], s[10:11], v[210:211], v[210:211], 1.0
	v_rcp_f64_e32 v[208:209], v[206:207]
	s_nop 0
	v_fma_f64 v[212:213], -v[206:207], v[208:209], 1.0
	v_fmac_f64_e32 v[208:209], v[208:209], v[212:213]
	v_fma_f64 v[212:213], -v[206:207], v[208:209], 1.0
	v_fmac_f64_e32 v[208:209], v[208:209], v[212:213]
	v_div_scale_f64 v[212:213], vcc, 1.0, v[210:211], 1.0
	v_mul_f64 v[214:215], v[212:213], v[208:209]
	v_fma_f64 v[206:207], -v[206:207], v[214:215], v[212:213]
	s_nop 1
	v_div_fmas_f64 v[206:207], v[206:207], v[208:209], v[214:215]
	v_div_fixup_f64 v[206:207], v[206:207], v[210:211], 1.0
	v_mul_f64 v[204:205], v[204:205], v[206:207]
	v_xor_b32_e32 v207, 0x80000000, v207
                                        ; implicit-def: $vgpr208_vgpr209
.LBB115_221:
	s_andn2_saveexec_b64 s[2:3], s[2:3]
	s_cbranch_execz .LBB115_223
; %bb.222:
	v_div_scale_f64 v[204:205], s[10:11], v[208:209], v[208:209], v[210:211]
	v_rcp_f64_e32 v[206:207], v[204:205]
	v_div_scale_f64 v[212:213], vcc, v[210:211], v[208:209], v[210:211]
	v_fma_f64 v[214:215], -v[204:205], v[206:207], 1.0
	v_fmac_f64_e32 v[206:207], v[206:207], v[214:215]
	v_fma_f64 v[214:215], -v[204:205], v[206:207], 1.0
	v_fmac_f64_e32 v[206:207], v[206:207], v[214:215]
	v_mul_f64 v[214:215], v[212:213], v[206:207]
	v_fma_f64 v[204:205], -v[204:205], v[214:215], v[212:213]
	v_div_fmas_f64 v[204:205], v[204:205], v[206:207], v[214:215]
	v_div_fixup_f64 v[206:207], v[204:205], v[208:209], v[210:211]
	v_fmac_f64_e32 v[208:209], v[210:211], v[206:207]
	v_div_scale_f64 v[204:205], s[10:11], v[208:209], v[208:209], 1.0
	v_rcp_f64_e32 v[210:211], v[204:205]
	s_nop 0
	v_fma_f64 v[212:213], -v[204:205], v[210:211], 1.0
	v_fmac_f64_e32 v[210:211], v[210:211], v[212:213]
	v_fma_f64 v[212:213], -v[204:205], v[210:211], 1.0
	v_fmac_f64_e32 v[210:211], v[210:211], v[212:213]
	v_div_scale_f64 v[212:213], vcc, 1.0, v[208:209], 1.0
	v_mul_f64 v[214:215], v[212:213], v[210:211]
	v_fma_f64 v[204:205], -v[204:205], v[214:215], v[212:213]
	s_nop 1
	v_div_fmas_f64 v[204:205], v[204:205], v[210:211], v[214:215]
	v_div_fixup_f64 v[204:205], v[204:205], v[208:209], 1.0
	v_mul_f64 v[206:207], v[206:207], -v[204:205]
.LBB115_223:
	s_or_b64 exec, exec, s[2:3]
	ds_write2_b64 v201, v[204:205], v[206:207] offset1:1
.LBB115_224:
	s_or_b64 exec, exec, s[4:5]
	s_waitcnt lgkmcnt(0)
	s_barrier
	ds_read2_b64 v[192:195], v201 offset1:1
	v_cmp_lt_u32_e32 vcc, 24, v200
	s_waitcnt lgkmcnt(0)
	scratch_store_dwordx4 off, v[192:195], off offset:976 ; 16-byte Folded Spill
	s_and_saveexec_b64 s[2:3], vcc
	s_cbranch_execz .LBB115_226
; %bb.225:
	scratch_load_dwordx4 v[192:195], off, off offset:976 ; 16-byte Folded Reload
	s_waitcnt vmcnt(0)
	v_mul_f64 v[204:205], v[194:195], v[130:131]
	v_fma_f64 v[208:209], v[192:193], v[128:129], -v[204:205]
	ds_read2_b64 v[204:207], v202 offset0:50 offset1:51
	v_mul_f64 v[130:131], v[192:193], v[130:131]
	v_fmac_f64_e32 v[130:131], v[194:195], v[128:129]
	s_waitcnt lgkmcnt(0)
	v_mul_f64 v[128:129], v[206:207], v[130:131]
	v_fma_f64 v[128:129], v[204:205], v[208:209], -v[128:129]
	v_mul_f64 v[204:205], v[204:205], v[130:131]
	v_fmac_f64_e32 v[204:205], v[206:207], v[208:209]
	v_add_f64 v[126:127], v[126:127], -v[204:205]
	ds_read2_b64 v[204:207], v202 offset0:52 offset1:53
	v_add_f64 v[124:125], v[124:125], -v[128:129]
	s_waitcnt lgkmcnt(0)
	v_mul_f64 v[128:129], v[206:207], v[130:131]
	v_fma_f64 v[128:129], v[204:205], v[208:209], -v[128:129]
	v_mul_f64 v[204:205], v[204:205], v[130:131]
	v_fmac_f64_e32 v[204:205], v[206:207], v[208:209]
	v_add_f64 v[122:123], v[122:123], -v[204:205]
	ds_read2_b64 v[204:207], v202 offset0:54 offset1:55
	v_add_f64 v[120:121], v[120:121], -v[128:129]
	;; [unrolled: 8-line block ×32, first 2 shown]
	s_waitcnt lgkmcnt(0)
	v_mul_f64 v[128:129], v[206:207], v[130:131]
	v_fma_f64 v[128:129], v[204:205], v[208:209], -v[128:129]
	v_mul_f64 v[204:205], v[204:205], v[130:131]
	v_fmac_f64_e32 v[204:205], v[206:207], v[208:209]
	v_add_f64 v[228:229], v[228:229], -v[128:129]
	v_add_f64 v[230:231], v[230:231], -v[204:205]
	v_mov_b64_e32 v[128:129], v[208:209]
.LBB115_226:
	s_or_b64 exec, exec, s[2:3]
	v_cmp_eq_u32_e32 vcc, 25, v200
	s_waitcnt vmcnt(63) expcnt(7) lgkmcnt(15)
	s_barrier
	s_and_saveexec_b64 s[4:5], vcc
	s_cbranch_execz .LBB115_233
; %bb.227:
	ds_write2_b64 v201, v[124:125], v[126:127] offset1:1
	ds_write2_b64 v202, v[120:121], v[122:123] offset0:52 offset1:53
	ds_write2_b64 v202, v[116:117], v[118:119] offset0:54 offset1:55
	;; [unrolled: 1-line block ×15, first 2 shown]
	s_waitcnt vmcnt(54)
	ds_write2_b64 v202, v[60:61], v[62:63] offset0:82 offset1:83
	s_waitcnt vmcnt(53)
	ds_write2_b64 v202, v[56:57], v[58:59] offset0:84 offset1:85
	s_waitcnt vmcnt(52)
	ds_write2_b64 v202, v[52:53], v[54:55] offset0:86 offset1:87
	s_waitcnt vmcnt(51)
	ds_write2_b64 v202, v[48:49], v[50:51] offset0:88 offset1:89
	s_waitcnt vmcnt(50)
	ds_write2_b64 v202, v[44:45], v[46:47] offset0:90 offset1:91
	s_waitcnt vmcnt(49)
	ds_write2_b64 v202, v[40:41], v[42:43] offset0:92 offset1:93
	s_waitcnt vmcnt(48)
	ds_write2_b64 v202, v[36:37], v[38:39] offset0:94 offset1:95
	s_waitcnt vmcnt(47)
	ds_write2_b64 v202, v[32:33], v[34:35] offset0:96 offset1:97
	s_waitcnt vmcnt(46)
	ds_write2_b64 v202, v[28:29], v[30:31] offset0:98 offset1:99
	s_waitcnt vmcnt(45)
	ds_write2_b64 v202, v[24:25], v[26:27] offset0:100 offset1:101
	ds_write2_b64 v202, v[20:21], v[22:23] offset0:102 offset1:103
	ds_write2_b64 v202, v[16:17], v[18:19] offset0:104 offset1:105
	;; [unrolled: 1-line block ×5, first 2 shown]
	s_waitcnt vmcnt(44)
	ds_write2_b64 v202, v[0:1], v[2:3] offset0:112 offset1:113
	s_waitcnt vmcnt(41)
	ds_write2_b64 v202, v[228:229], v[230:231] offset0:114 offset1:115
	ds_read2_b64 v[208:211], v201 offset1:1
	s_waitcnt lgkmcnt(0)
	v_cmp_neq_f64_e32 vcc, 0, v[208:209]
	v_cmp_neq_f64_e64 s[2:3], 0, v[210:211]
	s_or_b64 s[2:3], vcc, s[2:3]
	s_and_b64 exec, exec, s[2:3]
	s_cbranch_execz .LBB115_233
; %bb.228:
	v_cmp_ngt_f64_e64 s[2:3], |v[208:209]|, |v[210:211]|
                                        ; implicit-def: $vgpr204_vgpr205
	s_and_saveexec_b64 s[10:11], s[2:3]
	s_xor_b64 s[2:3], exec, s[10:11]
                                        ; implicit-def: $vgpr206_vgpr207
	s_cbranch_execz .LBB115_230
; %bb.229:
	v_div_scale_f64 v[204:205], s[10:11], v[210:211], v[210:211], v[208:209]
	v_rcp_f64_e32 v[206:207], v[204:205]
	v_div_scale_f64 v[212:213], vcc, v[208:209], v[210:211], v[208:209]
	v_fma_f64 v[214:215], -v[204:205], v[206:207], 1.0
	v_fmac_f64_e32 v[206:207], v[206:207], v[214:215]
	v_fma_f64 v[214:215], -v[204:205], v[206:207], 1.0
	v_fmac_f64_e32 v[206:207], v[206:207], v[214:215]
	v_mul_f64 v[214:215], v[212:213], v[206:207]
	v_fma_f64 v[204:205], -v[204:205], v[214:215], v[212:213]
	v_div_fmas_f64 v[204:205], v[204:205], v[206:207], v[214:215]
	v_div_fixup_f64 v[204:205], v[204:205], v[210:211], v[208:209]
	v_fmac_f64_e32 v[210:211], v[208:209], v[204:205]
	v_div_scale_f64 v[206:207], s[10:11], v[210:211], v[210:211], 1.0
	v_rcp_f64_e32 v[208:209], v[206:207]
	s_nop 0
	v_fma_f64 v[212:213], -v[206:207], v[208:209], 1.0
	v_fmac_f64_e32 v[208:209], v[208:209], v[212:213]
	v_fma_f64 v[212:213], -v[206:207], v[208:209], 1.0
	v_fmac_f64_e32 v[208:209], v[208:209], v[212:213]
	v_div_scale_f64 v[212:213], vcc, 1.0, v[210:211], 1.0
	v_mul_f64 v[214:215], v[212:213], v[208:209]
	v_fma_f64 v[206:207], -v[206:207], v[214:215], v[212:213]
	s_nop 1
	v_div_fmas_f64 v[206:207], v[206:207], v[208:209], v[214:215]
	v_div_fixup_f64 v[206:207], v[206:207], v[210:211], 1.0
	v_mul_f64 v[204:205], v[204:205], v[206:207]
	v_xor_b32_e32 v207, 0x80000000, v207
                                        ; implicit-def: $vgpr208_vgpr209
.LBB115_230:
	s_andn2_saveexec_b64 s[2:3], s[2:3]
	s_cbranch_execz .LBB115_232
; %bb.231:
	v_div_scale_f64 v[204:205], s[10:11], v[208:209], v[208:209], v[210:211]
	v_rcp_f64_e32 v[206:207], v[204:205]
	v_div_scale_f64 v[212:213], vcc, v[210:211], v[208:209], v[210:211]
	v_fma_f64 v[214:215], -v[204:205], v[206:207], 1.0
	v_fmac_f64_e32 v[206:207], v[206:207], v[214:215]
	v_fma_f64 v[214:215], -v[204:205], v[206:207], 1.0
	v_fmac_f64_e32 v[206:207], v[206:207], v[214:215]
	v_mul_f64 v[214:215], v[212:213], v[206:207]
	v_fma_f64 v[204:205], -v[204:205], v[214:215], v[212:213]
	v_div_fmas_f64 v[204:205], v[204:205], v[206:207], v[214:215]
	v_div_fixup_f64 v[206:207], v[204:205], v[208:209], v[210:211]
	v_fmac_f64_e32 v[208:209], v[210:211], v[206:207]
	v_div_scale_f64 v[204:205], s[10:11], v[208:209], v[208:209], 1.0
	v_rcp_f64_e32 v[210:211], v[204:205]
	s_nop 0
	v_fma_f64 v[212:213], -v[204:205], v[210:211], 1.0
	v_fmac_f64_e32 v[210:211], v[210:211], v[212:213]
	v_fma_f64 v[212:213], -v[204:205], v[210:211], 1.0
	v_fmac_f64_e32 v[210:211], v[210:211], v[212:213]
	v_div_scale_f64 v[212:213], vcc, 1.0, v[208:209], 1.0
	v_mul_f64 v[214:215], v[212:213], v[210:211]
	v_fma_f64 v[204:205], -v[204:205], v[214:215], v[212:213]
	s_nop 1
	v_div_fmas_f64 v[204:205], v[204:205], v[210:211], v[214:215]
	v_div_fixup_f64 v[204:205], v[204:205], v[208:209], 1.0
	v_mul_f64 v[206:207], v[206:207], -v[204:205]
.LBB115_232:
	s_or_b64 exec, exec, s[2:3]
	ds_write2_b64 v201, v[204:205], v[206:207] offset1:1
.LBB115_233:
	s_or_b64 exec, exec, s[4:5]
	s_waitcnt lgkmcnt(0)
	s_barrier
	ds_read2_b64 v[192:195], v201 offset1:1
	v_cmp_lt_u32_e32 vcc, 25, v200
	s_waitcnt lgkmcnt(0)
	scratch_store_dwordx4 off, v[192:195], off offset:992 ; 16-byte Folded Spill
	s_and_saveexec_b64 s[2:3], vcc
	s_cbranch_execz .LBB115_235
; %bb.234:
	scratch_load_dwordx4 v[192:195], off, off offset:992 ; 16-byte Folded Reload
	s_waitcnt vmcnt(0)
	v_mul_f64 v[204:205], v[194:195], v[126:127]
	v_fma_f64 v[208:209], v[192:193], v[124:125], -v[204:205]
	ds_read2_b64 v[204:207], v202 offset0:52 offset1:53
	v_mul_f64 v[126:127], v[192:193], v[126:127]
	v_fmac_f64_e32 v[126:127], v[194:195], v[124:125]
	s_waitcnt lgkmcnt(0)
	v_mul_f64 v[124:125], v[206:207], v[126:127]
	v_fma_f64 v[124:125], v[204:205], v[208:209], -v[124:125]
	v_mul_f64 v[204:205], v[204:205], v[126:127]
	v_fmac_f64_e32 v[204:205], v[206:207], v[208:209]
	v_add_f64 v[122:123], v[122:123], -v[204:205]
	ds_read2_b64 v[204:207], v202 offset0:54 offset1:55
	v_add_f64 v[120:121], v[120:121], -v[124:125]
	s_waitcnt lgkmcnt(0)
	v_mul_f64 v[124:125], v[206:207], v[126:127]
	v_fma_f64 v[124:125], v[204:205], v[208:209], -v[124:125]
	v_mul_f64 v[204:205], v[204:205], v[126:127]
	v_fmac_f64_e32 v[204:205], v[206:207], v[208:209]
	v_add_f64 v[118:119], v[118:119], -v[204:205]
	ds_read2_b64 v[204:207], v202 offset0:56 offset1:57
	v_add_f64 v[116:117], v[116:117], -v[124:125]
	;; [unrolled: 8-line block ×31, first 2 shown]
	s_waitcnt lgkmcnt(0)
	v_mul_f64 v[124:125], v[206:207], v[126:127]
	v_fma_f64 v[124:125], v[204:205], v[208:209], -v[124:125]
	v_mul_f64 v[204:205], v[204:205], v[126:127]
	v_fmac_f64_e32 v[204:205], v[206:207], v[208:209]
	v_add_f64 v[228:229], v[228:229], -v[124:125]
	v_add_f64 v[230:231], v[230:231], -v[204:205]
	v_mov_b64_e32 v[124:125], v[208:209]
.LBB115_235:
	s_or_b64 exec, exec, s[2:3]
	v_cmp_eq_u32_e32 vcc, 26, v200
	s_waitcnt vmcnt(63) expcnt(7) lgkmcnt(15)
	s_barrier
	s_and_saveexec_b64 s[4:5], vcc
	s_cbranch_execz .LBB115_242
; %bb.236:
	ds_write2_b64 v201, v[120:121], v[122:123] offset1:1
	ds_write2_b64 v202, v[116:117], v[118:119] offset0:54 offset1:55
	ds_write2_b64 v202, v[112:113], v[114:115] offset0:56 offset1:57
	;; [unrolled: 1-line block ×14, first 2 shown]
	s_waitcnt vmcnt(55)
	ds_write2_b64 v202, v[60:61], v[62:63] offset0:82 offset1:83
	s_waitcnt vmcnt(54)
	ds_write2_b64 v202, v[56:57], v[58:59] offset0:84 offset1:85
	;; [unrolled: 2-line block ×10, first 2 shown]
	ds_write2_b64 v202, v[20:21], v[22:23] offset0:102 offset1:103
	ds_write2_b64 v202, v[16:17], v[18:19] offset0:104 offset1:105
	;; [unrolled: 1-line block ×5, first 2 shown]
	s_waitcnt vmcnt(45)
	ds_write2_b64 v202, v[0:1], v[2:3] offset0:112 offset1:113
	s_waitcnt vmcnt(42)
	ds_write2_b64 v202, v[228:229], v[230:231] offset0:114 offset1:115
	ds_read2_b64 v[208:211], v201 offset1:1
	s_waitcnt lgkmcnt(0)
	v_cmp_neq_f64_e32 vcc, 0, v[208:209]
	v_cmp_neq_f64_e64 s[2:3], 0, v[210:211]
	s_or_b64 s[2:3], vcc, s[2:3]
	s_and_b64 exec, exec, s[2:3]
	s_cbranch_execz .LBB115_242
; %bb.237:
	v_cmp_ngt_f64_e64 s[2:3], |v[208:209]|, |v[210:211]|
                                        ; implicit-def: $vgpr204_vgpr205
	s_and_saveexec_b64 s[10:11], s[2:3]
	s_xor_b64 s[2:3], exec, s[10:11]
                                        ; implicit-def: $vgpr206_vgpr207
	s_cbranch_execz .LBB115_239
; %bb.238:
	v_div_scale_f64 v[204:205], s[10:11], v[210:211], v[210:211], v[208:209]
	v_rcp_f64_e32 v[206:207], v[204:205]
	v_div_scale_f64 v[212:213], vcc, v[208:209], v[210:211], v[208:209]
	v_fma_f64 v[214:215], -v[204:205], v[206:207], 1.0
	v_fmac_f64_e32 v[206:207], v[206:207], v[214:215]
	v_fma_f64 v[214:215], -v[204:205], v[206:207], 1.0
	v_fmac_f64_e32 v[206:207], v[206:207], v[214:215]
	v_mul_f64 v[214:215], v[212:213], v[206:207]
	v_fma_f64 v[204:205], -v[204:205], v[214:215], v[212:213]
	v_div_fmas_f64 v[204:205], v[204:205], v[206:207], v[214:215]
	v_div_fixup_f64 v[204:205], v[204:205], v[210:211], v[208:209]
	v_fmac_f64_e32 v[210:211], v[208:209], v[204:205]
	v_div_scale_f64 v[206:207], s[10:11], v[210:211], v[210:211], 1.0
	v_rcp_f64_e32 v[208:209], v[206:207]
	s_nop 0
	v_fma_f64 v[212:213], -v[206:207], v[208:209], 1.0
	v_fmac_f64_e32 v[208:209], v[208:209], v[212:213]
	v_fma_f64 v[212:213], -v[206:207], v[208:209], 1.0
	v_fmac_f64_e32 v[208:209], v[208:209], v[212:213]
	v_div_scale_f64 v[212:213], vcc, 1.0, v[210:211], 1.0
	v_mul_f64 v[214:215], v[212:213], v[208:209]
	v_fma_f64 v[206:207], -v[206:207], v[214:215], v[212:213]
	s_nop 1
	v_div_fmas_f64 v[206:207], v[206:207], v[208:209], v[214:215]
	v_div_fixup_f64 v[206:207], v[206:207], v[210:211], 1.0
	v_mul_f64 v[204:205], v[204:205], v[206:207]
	v_xor_b32_e32 v207, 0x80000000, v207
                                        ; implicit-def: $vgpr208_vgpr209
.LBB115_239:
	s_andn2_saveexec_b64 s[2:3], s[2:3]
	s_cbranch_execz .LBB115_241
; %bb.240:
	v_div_scale_f64 v[204:205], s[10:11], v[208:209], v[208:209], v[210:211]
	v_rcp_f64_e32 v[206:207], v[204:205]
	v_div_scale_f64 v[212:213], vcc, v[210:211], v[208:209], v[210:211]
	v_fma_f64 v[214:215], -v[204:205], v[206:207], 1.0
	v_fmac_f64_e32 v[206:207], v[206:207], v[214:215]
	v_fma_f64 v[214:215], -v[204:205], v[206:207], 1.0
	v_fmac_f64_e32 v[206:207], v[206:207], v[214:215]
	v_mul_f64 v[214:215], v[212:213], v[206:207]
	v_fma_f64 v[204:205], -v[204:205], v[214:215], v[212:213]
	v_div_fmas_f64 v[204:205], v[204:205], v[206:207], v[214:215]
	v_div_fixup_f64 v[206:207], v[204:205], v[208:209], v[210:211]
	v_fmac_f64_e32 v[208:209], v[210:211], v[206:207]
	v_div_scale_f64 v[204:205], s[10:11], v[208:209], v[208:209], 1.0
	v_rcp_f64_e32 v[210:211], v[204:205]
	s_nop 0
	v_fma_f64 v[212:213], -v[204:205], v[210:211], 1.0
	v_fmac_f64_e32 v[210:211], v[210:211], v[212:213]
	v_fma_f64 v[212:213], -v[204:205], v[210:211], 1.0
	v_fmac_f64_e32 v[210:211], v[210:211], v[212:213]
	v_div_scale_f64 v[212:213], vcc, 1.0, v[208:209], 1.0
	v_mul_f64 v[214:215], v[212:213], v[210:211]
	v_fma_f64 v[204:205], -v[204:205], v[214:215], v[212:213]
	s_nop 1
	v_div_fmas_f64 v[204:205], v[204:205], v[210:211], v[214:215]
	v_div_fixup_f64 v[204:205], v[204:205], v[208:209], 1.0
	v_mul_f64 v[206:207], v[206:207], -v[204:205]
.LBB115_241:
	s_or_b64 exec, exec, s[2:3]
	ds_write2_b64 v201, v[204:205], v[206:207] offset1:1
.LBB115_242:
	s_or_b64 exec, exec, s[4:5]
	s_waitcnt lgkmcnt(0)
	s_barrier
	ds_read2_b64 v[192:195], v201 offset1:1
	v_cmp_lt_u32_e32 vcc, 26, v200
	s_waitcnt lgkmcnt(0)
	scratch_store_dwordx4 off, v[192:195], off offset:1008 ; 16-byte Folded Spill
	s_and_saveexec_b64 s[2:3], vcc
	s_cbranch_execz .LBB115_244
; %bb.243:
	scratch_load_dwordx4 v[192:195], off, off offset:1008 ; 16-byte Folded Reload
	s_waitcnt vmcnt(0)
	v_mul_f64 v[204:205], v[194:195], v[122:123]
	v_fma_f64 v[208:209], v[192:193], v[120:121], -v[204:205]
	ds_read2_b64 v[204:207], v202 offset0:54 offset1:55
	v_mul_f64 v[122:123], v[192:193], v[122:123]
	v_fmac_f64_e32 v[122:123], v[194:195], v[120:121]
	s_waitcnt lgkmcnt(0)
	v_mul_f64 v[120:121], v[206:207], v[122:123]
	v_fma_f64 v[120:121], v[204:205], v[208:209], -v[120:121]
	v_mul_f64 v[204:205], v[204:205], v[122:123]
	v_fmac_f64_e32 v[204:205], v[206:207], v[208:209]
	v_add_f64 v[118:119], v[118:119], -v[204:205]
	ds_read2_b64 v[204:207], v202 offset0:56 offset1:57
	v_add_f64 v[116:117], v[116:117], -v[120:121]
	s_waitcnt lgkmcnt(0)
	v_mul_f64 v[120:121], v[206:207], v[122:123]
	v_fma_f64 v[120:121], v[204:205], v[208:209], -v[120:121]
	v_mul_f64 v[204:205], v[204:205], v[122:123]
	v_fmac_f64_e32 v[204:205], v[206:207], v[208:209]
	v_add_f64 v[114:115], v[114:115], -v[204:205]
	ds_read2_b64 v[204:207], v202 offset0:58 offset1:59
	v_add_f64 v[112:113], v[112:113], -v[120:121]
	;; [unrolled: 8-line block ×30, first 2 shown]
	s_waitcnt lgkmcnt(0)
	v_mul_f64 v[120:121], v[206:207], v[122:123]
	v_fma_f64 v[120:121], v[204:205], v[208:209], -v[120:121]
	v_mul_f64 v[204:205], v[204:205], v[122:123]
	v_fmac_f64_e32 v[204:205], v[206:207], v[208:209]
	v_add_f64 v[228:229], v[228:229], -v[120:121]
	v_add_f64 v[230:231], v[230:231], -v[204:205]
	v_mov_b64_e32 v[120:121], v[208:209]
.LBB115_244:
	s_or_b64 exec, exec, s[2:3]
	v_cmp_eq_u32_e32 vcc, 27, v200
	s_waitcnt vmcnt(63) expcnt(7) lgkmcnt(15)
	s_barrier
	s_and_saveexec_b64 s[4:5], vcc
	s_cbranch_execz .LBB115_251
; %bb.245:
	ds_write2_b64 v201, v[116:117], v[118:119] offset1:1
	ds_write2_b64 v202, v[112:113], v[114:115] offset0:56 offset1:57
	ds_write2_b64 v202, v[108:109], v[110:111] offset0:58 offset1:59
	;; [unrolled: 1-line block ×13, first 2 shown]
	s_waitcnt vmcnt(56)
	ds_write2_b64 v202, v[60:61], v[62:63] offset0:82 offset1:83
	s_waitcnt vmcnt(55)
	ds_write2_b64 v202, v[56:57], v[58:59] offset0:84 offset1:85
	;; [unrolled: 2-line block ×10, first 2 shown]
	ds_write2_b64 v202, v[20:21], v[22:23] offset0:102 offset1:103
	ds_write2_b64 v202, v[16:17], v[18:19] offset0:104 offset1:105
	ds_write2_b64 v202, v[12:13], v[14:15] offset0:106 offset1:107
	ds_write2_b64 v202, v[8:9], v[10:11] offset0:108 offset1:109
	ds_write2_b64 v202, v[4:5], v[6:7] offset0:110 offset1:111
	s_waitcnt vmcnt(46)
	ds_write2_b64 v202, v[0:1], v[2:3] offset0:112 offset1:113
	s_waitcnt vmcnt(43)
	ds_write2_b64 v202, v[228:229], v[230:231] offset0:114 offset1:115
	ds_read2_b64 v[208:211], v201 offset1:1
	s_waitcnt lgkmcnt(0)
	v_cmp_neq_f64_e32 vcc, 0, v[208:209]
	v_cmp_neq_f64_e64 s[2:3], 0, v[210:211]
	s_or_b64 s[2:3], vcc, s[2:3]
	s_and_b64 exec, exec, s[2:3]
	s_cbranch_execz .LBB115_251
; %bb.246:
	v_cmp_ngt_f64_e64 s[2:3], |v[208:209]|, |v[210:211]|
                                        ; implicit-def: $vgpr204_vgpr205
	s_and_saveexec_b64 s[10:11], s[2:3]
	s_xor_b64 s[2:3], exec, s[10:11]
                                        ; implicit-def: $vgpr206_vgpr207
	s_cbranch_execz .LBB115_248
; %bb.247:
	v_div_scale_f64 v[204:205], s[10:11], v[210:211], v[210:211], v[208:209]
	v_rcp_f64_e32 v[206:207], v[204:205]
	v_div_scale_f64 v[212:213], vcc, v[208:209], v[210:211], v[208:209]
	v_fma_f64 v[214:215], -v[204:205], v[206:207], 1.0
	v_fmac_f64_e32 v[206:207], v[206:207], v[214:215]
	v_fma_f64 v[214:215], -v[204:205], v[206:207], 1.0
	v_fmac_f64_e32 v[206:207], v[206:207], v[214:215]
	v_mul_f64 v[214:215], v[212:213], v[206:207]
	v_fma_f64 v[204:205], -v[204:205], v[214:215], v[212:213]
	v_div_fmas_f64 v[204:205], v[204:205], v[206:207], v[214:215]
	v_div_fixup_f64 v[204:205], v[204:205], v[210:211], v[208:209]
	v_fmac_f64_e32 v[210:211], v[208:209], v[204:205]
	v_div_scale_f64 v[206:207], s[10:11], v[210:211], v[210:211], 1.0
	v_rcp_f64_e32 v[208:209], v[206:207]
	s_nop 0
	v_fma_f64 v[212:213], -v[206:207], v[208:209], 1.0
	v_fmac_f64_e32 v[208:209], v[208:209], v[212:213]
	v_fma_f64 v[212:213], -v[206:207], v[208:209], 1.0
	v_fmac_f64_e32 v[208:209], v[208:209], v[212:213]
	v_div_scale_f64 v[212:213], vcc, 1.0, v[210:211], 1.0
	v_mul_f64 v[214:215], v[212:213], v[208:209]
	v_fma_f64 v[206:207], -v[206:207], v[214:215], v[212:213]
	s_nop 1
	v_div_fmas_f64 v[206:207], v[206:207], v[208:209], v[214:215]
	v_div_fixup_f64 v[206:207], v[206:207], v[210:211], 1.0
	v_mul_f64 v[204:205], v[204:205], v[206:207]
	v_xor_b32_e32 v207, 0x80000000, v207
                                        ; implicit-def: $vgpr208_vgpr209
.LBB115_248:
	s_andn2_saveexec_b64 s[2:3], s[2:3]
	s_cbranch_execz .LBB115_250
; %bb.249:
	v_div_scale_f64 v[204:205], s[10:11], v[208:209], v[208:209], v[210:211]
	v_rcp_f64_e32 v[206:207], v[204:205]
	v_div_scale_f64 v[212:213], vcc, v[210:211], v[208:209], v[210:211]
	v_fma_f64 v[214:215], -v[204:205], v[206:207], 1.0
	v_fmac_f64_e32 v[206:207], v[206:207], v[214:215]
	v_fma_f64 v[214:215], -v[204:205], v[206:207], 1.0
	v_fmac_f64_e32 v[206:207], v[206:207], v[214:215]
	v_mul_f64 v[214:215], v[212:213], v[206:207]
	v_fma_f64 v[204:205], -v[204:205], v[214:215], v[212:213]
	v_div_fmas_f64 v[204:205], v[204:205], v[206:207], v[214:215]
	v_div_fixup_f64 v[206:207], v[204:205], v[208:209], v[210:211]
	v_fmac_f64_e32 v[208:209], v[210:211], v[206:207]
	v_div_scale_f64 v[204:205], s[10:11], v[208:209], v[208:209], 1.0
	v_rcp_f64_e32 v[210:211], v[204:205]
	s_nop 0
	v_fma_f64 v[212:213], -v[204:205], v[210:211], 1.0
	v_fmac_f64_e32 v[210:211], v[210:211], v[212:213]
	v_fma_f64 v[212:213], -v[204:205], v[210:211], 1.0
	v_fmac_f64_e32 v[210:211], v[210:211], v[212:213]
	v_div_scale_f64 v[212:213], vcc, 1.0, v[208:209], 1.0
	v_mul_f64 v[214:215], v[212:213], v[210:211]
	v_fma_f64 v[204:205], -v[204:205], v[214:215], v[212:213]
	s_nop 1
	v_div_fmas_f64 v[204:205], v[204:205], v[210:211], v[214:215]
	v_div_fixup_f64 v[204:205], v[204:205], v[208:209], 1.0
	v_mul_f64 v[206:207], v[206:207], -v[204:205]
.LBB115_250:
	s_or_b64 exec, exec, s[2:3]
	ds_write2_b64 v201, v[204:205], v[206:207] offset1:1
.LBB115_251:
	s_or_b64 exec, exec, s[4:5]
	s_waitcnt lgkmcnt(0)
	s_barrier
	ds_read2_b64 v[192:195], v201 offset1:1
	v_cmp_lt_u32_e32 vcc, 27, v200
	s_waitcnt lgkmcnt(0)
	scratch_store_dwordx4 off, v[192:195], off offset:1024 ; 16-byte Folded Spill
	s_and_saveexec_b64 s[2:3], vcc
	s_cbranch_execz .LBB115_253
; %bb.252:
	scratch_load_dwordx4 v[192:195], off, off offset:1024 ; 16-byte Folded Reload
	s_waitcnt vmcnt(0)
	v_mul_f64 v[204:205], v[194:195], v[118:119]
	v_fma_f64 v[208:209], v[192:193], v[116:117], -v[204:205]
	ds_read2_b64 v[204:207], v202 offset0:56 offset1:57
	v_mul_f64 v[118:119], v[192:193], v[118:119]
	v_fmac_f64_e32 v[118:119], v[194:195], v[116:117]
	s_waitcnt lgkmcnt(0)
	v_mul_f64 v[116:117], v[206:207], v[118:119]
	v_fma_f64 v[116:117], v[204:205], v[208:209], -v[116:117]
	v_mul_f64 v[204:205], v[204:205], v[118:119]
	v_fmac_f64_e32 v[204:205], v[206:207], v[208:209]
	v_add_f64 v[114:115], v[114:115], -v[204:205]
	ds_read2_b64 v[204:207], v202 offset0:58 offset1:59
	v_add_f64 v[112:113], v[112:113], -v[116:117]
	s_waitcnt lgkmcnt(0)
	v_mul_f64 v[116:117], v[206:207], v[118:119]
	v_fma_f64 v[116:117], v[204:205], v[208:209], -v[116:117]
	v_mul_f64 v[204:205], v[204:205], v[118:119]
	v_fmac_f64_e32 v[204:205], v[206:207], v[208:209]
	v_add_f64 v[110:111], v[110:111], -v[204:205]
	ds_read2_b64 v[204:207], v202 offset0:60 offset1:61
	v_add_f64 v[108:109], v[108:109], -v[116:117]
	;; [unrolled: 8-line block ×29, first 2 shown]
	s_waitcnt lgkmcnt(0)
	v_mul_f64 v[116:117], v[206:207], v[118:119]
	v_fma_f64 v[116:117], v[204:205], v[208:209], -v[116:117]
	v_mul_f64 v[204:205], v[204:205], v[118:119]
	v_fmac_f64_e32 v[204:205], v[206:207], v[208:209]
	v_add_f64 v[228:229], v[228:229], -v[116:117]
	v_add_f64 v[230:231], v[230:231], -v[204:205]
	v_mov_b64_e32 v[116:117], v[208:209]
.LBB115_253:
	s_or_b64 exec, exec, s[2:3]
	v_cmp_eq_u32_e32 vcc, 28, v200
	s_waitcnt vmcnt(63) expcnt(7) lgkmcnt(15)
	s_barrier
	s_and_saveexec_b64 s[4:5], vcc
	s_cbranch_execz .LBB115_260
; %bb.254:
	ds_write2_b64 v201, v[112:113], v[114:115] offset1:1
	ds_write2_b64 v202, v[108:109], v[110:111] offset0:58 offset1:59
	ds_write2_b64 v202, v[104:105], v[106:107] offset0:60 offset1:61
	;; [unrolled: 1-line block ×12, first 2 shown]
	s_waitcnt vmcnt(57)
	ds_write2_b64 v202, v[60:61], v[62:63] offset0:82 offset1:83
	s_waitcnt vmcnt(56)
	ds_write2_b64 v202, v[56:57], v[58:59] offset0:84 offset1:85
	;; [unrolled: 2-line block ×10, first 2 shown]
	ds_write2_b64 v202, v[20:21], v[22:23] offset0:102 offset1:103
	ds_write2_b64 v202, v[16:17], v[18:19] offset0:104 offset1:105
	;; [unrolled: 1-line block ×5, first 2 shown]
	s_waitcnt vmcnt(47)
	ds_write2_b64 v202, v[0:1], v[2:3] offset0:112 offset1:113
	s_waitcnt vmcnt(44)
	ds_write2_b64 v202, v[228:229], v[230:231] offset0:114 offset1:115
	ds_read2_b64 v[208:211], v201 offset1:1
	s_waitcnt lgkmcnt(0)
	v_cmp_neq_f64_e32 vcc, 0, v[208:209]
	v_cmp_neq_f64_e64 s[2:3], 0, v[210:211]
	s_or_b64 s[2:3], vcc, s[2:3]
	s_and_b64 exec, exec, s[2:3]
	s_cbranch_execz .LBB115_260
; %bb.255:
	v_cmp_ngt_f64_e64 s[2:3], |v[208:209]|, |v[210:211]|
                                        ; implicit-def: $vgpr204_vgpr205
	s_and_saveexec_b64 s[10:11], s[2:3]
	s_xor_b64 s[2:3], exec, s[10:11]
                                        ; implicit-def: $vgpr206_vgpr207
	s_cbranch_execz .LBB115_257
; %bb.256:
	v_div_scale_f64 v[204:205], s[10:11], v[210:211], v[210:211], v[208:209]
	v_rcp_f64_e32 v[206:207], v[204:205]
	v_div_scale_f64 v[212:213], vcc, v[208:209], v[210:211], v[208:209]
	v_fma_f64 v[214:215], -v[204:205], v[206:207], 1.0
	v_fmac_f64_e32 v[206:207], v[206:207], v[214:215]
	v_fma_f64 v[214:215], -v[204:205], v[206:207], 1.0
	v_fmac_f64_e32 v[206:207], v[206:207], v[214:215]
	v_mul_f64 v[214:215], v[212:213], v[206:207]
	v_fma_f64 v[204:205], -v[204:205], v[214:215], v[212:213]
	v_div_fmas_f64 v[204:205], v[204:205], v[206:207], v[214:215]
	v_div_fixup_f64 v[204:205], v[204:205], v[210:211], v[208:209]
	v_fmac_f64_e32 v[210:211], v[208:209], v[204:205]
	v_div_scale_f64 v[206:207], s[10:11], v[210:211], v[210:211], 1.0
	v_rcp_f64_e32 v[208:209], v[206:207]
	s_nop 0
	v_fma_f64 v[212:213], -v[206:207], v[208:209], 1.0
	v_fmac_f64_e32 v[208:209], v[208:209], v[212:213]
	v_fma_f64 v[212:213], -v[206:207], v[208:209], 1.0
	v_fmac_f64_e32 v[208:209], v[208:209], v[212:213]
	v_div_scale_f64 v[212:213], vcc, 1.0, v[210:211], 1.0
	v_mul_f64 v[214:215], v[212:213], v[208:209]
	v_fma_f64 v[206:207], -v[206:207], v[214:215], v[212:213]
	s_nop 1
	v_div_fmas_f64 v[206:207], v[206:207], v[208:209], v[214:215]
	v_div_fixup_f64 v[206:207], v[206:207], v[210:211], 1.0
	v_mul_f64 v[204:205], v[204:205], v[206:207]
	v_xor_b32_e32 v207, 0x80000000, v207
                                        ; implicit-def: $vgpr208_vgpr209
.LBB115_257:
	s_andn2_saveexec_b64 s[2:3], s[2:3]
	s_cbranch_execz .LBB115_259
; %bb.258:
	v_div_scale_f64 v[204:205], s[10:11], v[208:209], v[208:209], v[210:211]
	v_rcp_f64_e32 v[206:207], v[204:205]
	v_div_scale_f64 v[212:213], vcc, v[210:211], v[208:209], v[210:211]
	v_fma_f64 v[214:215], -v[204:205], v[206:207], 1.0
	v_fmac_f64_e32 v[206:207], v[206:207], v[214:215]
	v_fma_f64 v[214:215], -v[204:205], v[206:207], 1.0
	v_fmac_f64_e32 v[206:207], v[206:207], v[214:215]
	v_mul_f64 v[214:215], v[212:213], v[206:207]
	v_fma_f64 v[204:205], -v[204:205], v[214:215], v[212:213]
	v_div_fmas_f64 v[204:205], v[204:205], v[206:207], v[214:215]
	v_div_fixup_f64 v[206:207], v[204:205], v[208:209], v[210:211]
	v_fmac_f64_e32 v[208:209], v[210:211], v[206:207]
	v_div_scale_f64 v[204:205], s[10:11], v[208:209], v[208:209], 1.0
	v_rcp_f64_e32 v[210:211], v[204:205]
	s_nop 0
	v_fma_f64 v[212:213], -v[204:205], v[210:211], 1.0
	v_fmac_f64_e32 v[210:211], v[210:211], v[212:213]
	v_fma_f64 v[212:213], -v[204:205], v[210:211], 1.0
	v_fmac_f64_e32 v[210:211], v[210:211], v[212:213]
	v_div_scale_f64 v[212:213], vcc, 1.0, v[208:209], 1.0
	v_mul_f64 v[214:215], v[212:213], v[210:211]
	v_fma_f64 v[204:205], -v[204:205], v[214:215], v[212:213]
	s_nop 1
	v_div_fmas_f64 v[204:205], v[204:205], v[210:211], v[214:215]
	v_div_fixup_f64 v[204:205], v[204:205], v[208:209], 1.0
	v_mul_f64 v[206:207], v[206:207], -v[204:205]
.LBB115_259:
	s_or_b64 exec, exec, s[2:3]
	ds_write2_b64 v201, v[204:205], v[206:207] offset1:1
.LBB115_260:
	s_or_b64 exec, exec, s[4:5]
	s_waitcnt lgkmcnt(0)
	s_barrier
	ds_read2_b64 v[192:195], v201 offset1:1
	v_cmp_lt_u32_e32 vcc, 28, v200
	s_waitcnt lgkmcnt(0)
	scratch_store_dwordx4 off, v[192:195], off offset:1040 ; 16-byte Folded Spill
	s_and_saveexec_b64 s[2:3], vcc
	s_cbranch_execz .LBB115_262
; %bb.261:
	scratch_load_dwordx4 v[192:195], off, off offset:1040 ; 16-byte Folded Reload
	s_waitcnt vmcnt(0)
	v_mul_f64 v[204:205], v[194:195], v[114:115]
	v_fma_f64 v[208:209], v[192:193], v[112:113], -v[204:205]
	ds_read2_b64 v[204:207], v202 offset0:58 offset1:59
	v_mul_f64 v[114:115], v[192:193], v[114:115]
	v_fmac_f64_e32 v[114:115], v[194:195], v[112:113]
	s_waitcnt lgkmcnt(0)
	v_mul_f64 v[112:113], v[206:207], v[114:115]
	v_fma_f64 v[112:113], v[204:205], v[208:209], -v[112:113]
	v_mul_f64 v[204:205], v[204:205], v[114:115]
	v_fmac_f64_e32 v[204:205], v[206:207], v[208:209]
	v_add_f64 v[110:111], v[110:111], -v[204:205]
	ds_read2_b64 v[204:207], v202 offset0:60 offset1:61
	v_add_f64 v[108:109], v[108:109], -v[112:113]
	s_waitcnt lgkmcnt(0)
	v_mul_f64 v[112:113], v[206:207], v[114:115]
	v_fma_f64 v[112:113], v[204:205], v[208:209], -v[112:113]
	v_mul_f64 v[204:205], v[204:205], v[114:115]
	v_fmac_f64_e32 v[204:205], v[206:207], v[208:209]
	v_add_f64 v[106:107], v[106:107], -v[204:205]
	ds_read2_b64 v[204:207], v202 offset0:62 offset1:63
	v_add_f64 v[104:105], v[104:105], -v[112:113]
	;; [unrolled: 8-line block ×28, first 2 shown]
	s_waitcnt lgkmcnt(0)
	v_mul_f64 v[112:113], v[206:207], v[114:115]
	v_fma_f64 v[112:113], v[204:205], v[208:209], -v[112:113]
	v_mul_f64 v[204:205], v[204:205], v[114:115]
	v_fmac_f64_e32 v[204:205], v[206:207], v[208:209]
	v_add_f64 v[228:229], v[228:229], -v[112:113]
	v_add_f64 v[230:231], v[230:231], -v[204:205]
	v_mov_b64_e32 v[112:113], v[208:209]
.LBB115_262:
	s_or_b64 exec, exec, s[2:3]
	v_cmp_eq_u32_e32 vcc, 29, v200
	s_waitcnt vmcnt(63) expcnt(7) lgkmcnt(15)
	s_barrier
	s_and_saveexec_b64 s[4:5], vcc
	s_cbranch_execz .LBB115_269
; %bb.263:
	ds_write2_b64 v201, v[108:109], v[110:111] offset1:1
	ds_write2_b64 v202, v[104:105], v[106:107] offset0:60 offset1:61
	ds_write2_b64 v202, v[100:101], v[102:103] offset0:62 offset1:63
	ds_write2_b64 v202, v[96:97], v[98:99] offset0:64 offset1:65
	ds_write2_b64 v202, v[92:93], v[94:95] offset0:66 offset1:67
	ds_write2_b64 v202, v[88:89], v[90:91] offset0:68 offset1:69
	ds_write2_b64 v202, v[84:85], v[86:87] offset0:70 offset1:71
	ds_write2_b64 v202, v[80:81], v[82:83] offset0:72 offset1:73
	ds_write2_b64 v202, v[76:77], v[78:79] offset0:74 offset1:75
	ds_write2_b64 v202, v[72:73], v[74:75] offset0:76 offset1:77
	ds_write2_b64 v202, v[68:69], v[70:71] offset0:78 offset1:79
	ds_write2_b64 v202, v[64:65], v[66:67] offset0:80 offset1:81
	s_waitcnt vmcnt(58)
	ds_write2_b64 v202, v[60:61], v[62:63] offset0:82 offset1:83
	s_waitcnt vmcnt(57)
	ds_write2_b64 v202, v[56:57], v[58:59] offset0:84 offset1:85
	;; [unrolled: 2-line block ×10, first 2 shown]
	ds_write2_b64 v202, v[20:21], v[22:23] offset0:102 offset1:103
	ds_write2_b64 v202, v[16:17], v[18:19] offset0:104 offset1:105
	;; [unrolled: 1-line block ×5, first 2 shown]
	s_waitcnt vmcnt(48)
	ds_write2_b64 v202, v[0:1], v[2:3] offset0:112 offset1:113
	s_waitcnt vmcnt(45)
	ds_write2_b64 v202, v[228:229], v[230:231] offset0:114 offset1:115
	ds_read2_b64 v[208:211], v201 offset1:1
	s_waitcnt lgkmcnt(0)
	v_cmp_neq_f64_e32 vcc, 0, v[208:209]
	v_cmp_neq_f64_e64 s[2:3], 0, v[210:211]
	s_or_b64 s[2:3], vcc, s[2:3]
	s_and_b64 exec, exec, s[2:3]
	s_cbranch_execz .LBB115_269
; %bb.264:
	v_cmp_ngt_f64_e64 s[2:3], |v[208:209]|, |v[210:211]|
                                        ; implicit-def: $vgpr204_vgpr205
	s_and_saveexec_b64 s[10:11], s[2:3]
	s_xor_b64 s[2:3], exec, s[10:11]
                                        ; implicit-def: $vgpr206_vgpr207
	s_cbranch_execz .LBB115_266
; %bb.265:
	v_div_scale_f64 v[204:205], s[10:11], v[210:211], v[210:211], v[208:209]
	v_rcp_f64_e32 v[206:207], v[204:205]
	v_div_scale_f64 v[212:213], vcc, v[208:209], v[210:211], v[208:209]
	v_fma_f64 v[214:215], -v[204:205], v[206:207], 1.0
	v_fmac_f64_e32 v[206:207], v[206:207], v[214:215]
	v_fma_f64 v[214:215], -v[204:205], v[206:207], 1.0
	v_fmac_f64_e32 v[206:207], v[206:207], v[214:215]
	v_mul_f64 v[214:215], v[212:213], v[206:207]
	v_fma_f64 v[204:205], -v[204:205], v[214:215], v[212:213]
	v_div_fmas_f64 v[204:205], v[204:205], v[206:207], v[214:215]
	v_div_fixup_f64 v[204:205], v[204:205], v[210:211], v[208:209]
	v_fmac_f64_e32 v[210:211], v[208:209], v[204:205]
	v_div_scale_f64 v[206:207], s[10:11], v[210:211], v[210:211], 1.0
	v_rcp_f64_e32 v[208:209], v[206:207]
	s_nop 0
	v_fma_f64 v[212:213], -v[206:207], v[208:209], 1.0
	v_fmac_f64_e32 v[208:209], v[208:209], v[212:213]
	v_fma_f64 v[212:213], -v[206:207], v[208:209], 1.0
	v_fmac_f64_e32 v[208:209], v[208:209], v[212:213]
	v_div_scale_f64 v[212:213], vcc, 1.0, v[210:211], 1.0
	v_mul_f64 v[214:215], v[212:213], v[208:209]
	v_fma_f64 v[206:207], -v[206:207], v[214:215], v[212:213]
	s_nop 1
	v_div_fmas_f64 v[206:207], v[206:207], v[208:209], v[214:215]
	v_div_fixup_f64 v[206:207], v[206:207], v[210:211], 1.0
	v_mul_f64 v[204:205], v[204:205], v[206:207]
	v_xor_b32_e32 v207, 0x80000000, v207
                                        ; implicit-def: $vgpr208_vgpr209
.LBB115_266:
	s_andn2_saveexec_b64 s[2:3], s[2:3]
	s_cbranch_execz .LBB115_268
; %bb.267:
	v_div_scale_f64 v[204:205], s[10:11], v[208:209], v[208:209], v[210:211]
	v_rcp_f64_e32 v[206:207], v[204:205]
	v_div_scale_f64 v[212:213], vcc, v[210:211], v[208:209], v[210:211]
	v_fma_f64 v[214:215], -v[204:205], v[206:207], 1.0
	v_fmac_f64_e32 v[206:207], v[206:207], v[214:215]
	v_fma_f64 v[214:215], -v[204:205], v[206:207], 1.0
	v_fmac_f64_e32 v[206:207], v[206:207], v[214:215]
	v_mul_f64 v[214:215], v[212:213], v[206:207]
	v_fma_f64 v[204:205], -v[204:205], v[214:215], v[212:213]
	v_div_fmas_f64 v[204:205], v[204:205], v[206:207], v[214:215]
	v_div_fixup_f64 v[206:207], v[204:205], v[208:209], v[210:211]
	v_fmac_f64_e32 v[208:209], v[210:211], v[206:207]
	v_div_scale_f64 v[204:205], s[10:11], v[208:209], v[208:209], 1.0
	v_rcp_f64_e32 v[210:211], v[204:205]
	s_nop 0
	v_fma_f64 v[212:213], -v[204:205], v[210:211], 1.0
	v_fmac_f64_e32 v[210:211], v[210:211], v[212:213]
	v_fma_f64 v[212:213], -v[204:205], v[210:211], 1.0
	v_fmac_f64_e32 v[210:211], v[210:211], v[212:213]
	v_div_scale_f64 v[212:213], vcc, 1.0, v[208:209], 1.0
	v_mul_f64 v[214:215], v[212:213], v[210:211]
	v_fma_f64 v[204:205], -v[204:205], v[214:215], v[212:213]
	s_nop 1
	v_div_fmas_f64 v[204:205], v[204:205], v[210:211], v[214:215]
	v_div_fixup_f64 v[204:205], v[204:205], v[208:209], 1.0
	v_mul_f64 v[206:207], v[206:207], -v[204:205]
.LBB115_268:
	s_or_b64 exec, exec, s[2:3]
	ds_write2_b64 v201, v[204:205], v[206:207] offset1:1
.LBB115_269:
	s_or_b64 exec, exec, s[4:5]
	s_waitcnt lgkmcnt(0)
	s_barrier
	ds_read2_b64 v[192:195], v201 offset1:1
	v_cmp_lt_u32_e32 vcc, 29, v200
	s_waitcnt lgkmcnt(0)
	scratch_store_dwordx4 off, v[192:195], off offset:1056 ; 16-byte Folded Spill
	s_and_saveexec_b64 s[2:3], vcc
	s_cbranch_execz .LBB115_271
; %bb.270:
	scratch_load_dwordx4 v[192:195], off, off offset:1056 ; 16-byte Folded Reload
	s_waitcnt vmcnt(0)
	v_mul_f64 v[204:205], v[194:195], v[110:111]
	v_fma_f64 v[208:209], v[192:193], v[108:109], -v[204:205]
	ds_read2_b64 v[204:207], v202 offset0:60 offset1:61
	v_mul_f64 v[110:111], v[192:193], v[110:111]
	v_fmac_f64_e32 v[110:111], v[194:195], v[108:109]
	s_waitcnt lgkmcnt(0)
	v_mul_f64 v[108:109], v[206:207], v[110:111]
	v_fma_f64 v[108:109], v[204:205], v[208:209], -v[108:109]
	v_mul_f64 v[204:205], v[204:205], v[110:111]
	v_fmac_f64_e32 v[204:205], v[206:207], v[208:209]
	v_add_f64 v[106:107], v[106:107], -v[204:205]
	ds_read2_b64 v[204:207], v202 offset0:62 offset1:63
	v_add_f64 v[104:105], v[104:105], -v[108:109]
	s_waitcnt lgkmcnt(0)
	v_mul_f64 v[108:109], v[206:207], v[110:111]
	v_fma_f64 v[108:109], v[204:205], v[208:209], -v[108:109]
	v_mul_f64 v[204:205], v[204:205], v[110:111]
	v_fmac_f64_e32 v[204:205], v[206:207], v[208:209]
	v_add_f64 v[102:103], v[102:103], -v[204:205]
	ds_read2_b64 v[204:207], v202 offset0:64 offset1:65
	v_add_f64 v[100:101], v[100:101], -v[108:109]
	;; [unrolled: 8-line block ×27, first 2 shown]
	s_waitcnt lgkmcnt(0)
	v_mul_f64 v[108:109], v[206:207], v[110:111]
	v_fma_f64 v[108:109], v[204:205], v[208:209], -v[108:109]
	v_mul_f64 v[204:205], v[204:205], v[110:111]
	v_fmac_f64_e32 v[204:205], v[206:207], v[208:209]
	v_add_f64 v[228:229], v[228:229], -v[108:109]
	v_add_f64 v[230:231], v[230:231], -v[204:205]
	v_mov_b64_e32 v[108:109], v[208:209]
.LBB115_271:
	s_or_b64 exec, exec, s[2:3]
	v_cmp_eq_u32_e32 vcc, 30, v200
	s_waitcnt vmcnt(63) expcnt(7) lgkmcnt(15)
	s_barrier
	s_and_saveexec_b64 s[4:5], vcc
	s_cbranch_execz .LBB115_278
; %bb.272:
	ds_write2_b64 v201, v[104:105], v[106:107] offset1:1
	ds_write2_b64 v202, v[100:101], v[102:103] offset0:62 offset1:63
	ds_write2_b64 v202, v[96:97], v[98:99] offset0:64 offset1:65
	;; [unrolled: 1-line block ×10, first 2 shown]
	s_waitcnt vmcnt(59)
	ds_write2_b64 v202, v[60:61], v[62:63] offset0:82 offset1:83
	s_waitcnt vmcnt(58)
	ds_write2_b64 v202, v[56:57], v[58:59] offset0:84 offset1:85
	s_waitcnt vmcnt(57)
	ds_write2_b64 v202, v[52:53], v[54:55] offset0:86 offset1:87
	s_waitcnt vmcnt(56)
	ds_write2_b64 v202, v[48:49], v[50:51] offset0:88 offset1:89
	s_waitcnt vmcnt(55)
	ds_write2_b64 v202, v[44:45], v[46:47] offset0:90 offset1:91
	s_waitcnt vmcnt(54)
	ds_write2_b64 v202, v[40:41], v[42:43] offset0:92 offset1:93
	s_waitcnt vmcnt(53)
	ds_write2_b64 v202, v[36:37], v[38:39] offset0:94 offset1:95
	s_waitcnt vmcnt(52)
	ds_write2_b64 v202, v[32:33], v[34:35] offset0:96 offset1:97
	s_waitcnt vmcnt(51)
	ds_write2_b64 v202, v[28:29], v[30:31] offset0:98 offset1:99
	s_waitcnt vmcnt(50)
	ds_write2_b64 v202, v[24:25], v[26:27] offset0:100 offset1:101
	ds_write2_b64 v202, v[20:21], v[22:23] offset0:102 offset1:103
	ds_write2_b64 v202, v[16:17], v[18:19] offset0:104 offset1:105
	;; [unrolled: 1-line block ×5, first 2 shown]
	s_waitcnt vmcnt(49)
	ds_write2_b64 v202, v[0:1], v[2:3] offset0:112 offset1:113
	s_waitcnt vmcnt(46)
	ds_write2_b64 v202, v[228:229], v[230:231] offset0:114 offset1:115
	ds_read2_b64 v[208:211], v201 offset1:1
	s_waitcnt lgkmcnt(0)
	v_cmp_neq_f64_e32 vcc, 0, v[208:209]
	v_cmp_neq_f64_e64 s[2:3], 0, v[210:211]
	s_or_b64 s[2:3], vcc, s[2:3]
	s_and_b64 exec, exec, s[2:3]
	s_cbranch_execz .LBB115_278
; %bb.273:
	v_cmp_ngt_f64_e64 s[2:3], |v[208:209]|, |v[210:211]|
                                        ; implicit-def: $vgpr204_vgpr205
	s_and_saveexec_b64 s[10:11], s[2:3]
	s_xor_b64 s[2:3], exec, s[10:11]
                                        ; implicit-def: $vgpr206_vgpr207
	s_cbranch_execz .LBB115_275
; %bb.274:
	v_div_scale_f64 v[204:205], s[10:11], v[210:211], v[210:211], v[208:209]
	v_rcp_f64_e32 v[206:207], v[204:205]
	v_div_scale_f64 v[212:213], vcc, v[208:209], v[210:211], v[208:209]
	v_fma_f64 v[214:215], -v[204:205], v[206:207], 1.0
	v_fmac_f64_e32 v[206:207], v[206:207], v[214:215]
	v_fma_f64 v[214:215], -v[204:205], v[206:207], 1.0
	v_fmac_f64_e32 v[206:207], v[206:207], v[214:215]
	v_mul_f64 v[214:215], v[212:213], v[206:207]
	v_fma_f64 v[204:205], -v[204:205], v[214:215], v[212:213]
	v_div_fmas_f64 v[204:205], v[204:205], v[206:207], v[214:215]
	v_div_fixup_f64 v[204:205], v[204:205], v[210:211], v[208:209]
	v_fmac_f64_e32 v[210:211], v[208:209], v[204:205]
	v_div_scale_f64 v[206:207], s[10:11], v[210:211], v[210:211], 1.0
	v_rcp_f64_e32 v[208:209], v[206:207]
	s_nop 0
	v_fma_f64 v[212:213], -v[206:207], v[208:209], 1.0
	v_fmac_f64_e32 v[208:209], v[208:209], v[212:213]
	v_fma_f64 v[212:213], -v[206:207], v[208:209], 1.0
	v_fmac_f64_e32 v[208:209], v[208:209], v[212:213]
	v_div_scale_f64 v[212:213], vcc, 1.0, v[210:211], 1.0
	v_mul_f64 v[214:215], v[212:213], v[208:209]
	v_fma_f64 v[206:207], -v[206:207], v[214:215], v[212:213]
	s_nop 1
	v_div_fmas_f64 v[206:207], v[206:207], v[208:209], v[214:215]
	v_div_fixup_f64 v[206:207], v[206:207], v[210:211], 1.0
	v_mul_f64 v[204:205], v[204:205], v[206:207]
	v_xor_b32_e32 v207, 0x80000000, v207
                                        ; implicit-def: $vgpr208_vgpr209
.LBB115_275:
	s_andn2_saveexec_b64 s[2:3], s[2:3]
	s_cbranch_execz .LBB115_277
; %bb.276:
	v_div_scale_f64 v[204:205], s[10:11], v[208:209], v[208:209], v[210:211]
	v_rcp_f64_e32 v[206:207], v[204:205]
	v_div_scale_f64 v[212:213], vcc, v[210:211], v[208:209], v[210:211]
	v_fma_f64 v[214:215], -v[204:205], v[206:207], 1.0
	v_fmac_f64_e32 v[206:207], v[206:207], v[214:215]
	v_fma_f64 v[214:215], -v[204:205], v[206:207], 1.0
	v_fmac_f64_e32 v[206:207], v[206:207], v[214:215]
	v_mul_f64 v[214:215], v[212:213], v[206:207]
	v_fma_f64 v[204:205], -v[204:205], v[214:215], v[212:213]
	v_div_fmas_f64 v[204:205], v[204:205], v[206:207], v[214:215]
	v_div_fixup_f64 v[206:207], v[204:205], v[208:209], v[210:211]
	v_fmac_f64_e32 v[208:209], v[210:211], v[206:207]
	v_div_scale_f64 v[204:205], s[10:11], v[208:209], v[208:209], 1.0
	v_rcp_f64_e32 v[210:211], v[204:205]
	s_nop 0
	v_fma_f64 v[212:213], -v[204:205], v[210:211], 1.0
	v_fmac_f64_e32 v[210:211], v[210:211], v[212:213]
	v_fma_f64 v[212:213], -v[204:205], v[210:211], 1.0
	v_fmac_f64_e32 v[210:211], v[210:211], v[212:213]
	v_div_scale_f64 v[212:213], vcc, 1.0, v[208:209], 1.0
	v_mul_f64 v[214:215], v[212:213], v[210:211]
	v_fma_f64 v[204:205], -v[204:205], v[214:215], v[212:213]
	s_nop 1
	v_div_fmas_f64 v[204:205], v[204:205], v[210:211], v[214:215]
	v_div_fixup_f64 v[204:205], v[204:205], v[208:209], 1.0
	v_mul_f64 v[206:207], v[206:207], -v[204:205]
.LBB115_277:
	s_or_b64 exec, exec, s[2:3]
	ds_write2_b64 v201, v[204:205], v[206:207] offset1:1
.LBB115_278:
	s_or_b64 exec, exec, s[4:5]
	s_waitcnt lgkmcnt(0)
	s_barrier
	ds_read2_b64 v[192:195], v201 offset1:1
	v_cmp_lt_u32_e32 vcc, 30, v200
	s_waitcnt lgkmcnt(0)
	scratch_store_dwordx4 off, v[192:195], off offset:1072 ; 16-byte Folded Spill
	s_and_saveexec_b64 s[2:3], vcc
	s_cbranch_execz .LBB115_280
; %bb.279:
	scratch_load_dwordx4 v[192:195], off, off offset:1072 ; 16-byte Folded Reload
	s_waitcnt vmcnt(0)
	v_mul_f64 v[204:205], v[194:195], v[106:107]
	v_fma_f64 v[208:209], v[192:193], v[104:105], -v[204:205]
	ds_read2_b64 v[204:207], v202 offset0:62 offset1:63
	v_mul_f64 v[106:107], v[192:193], v[106:107]
	v_fmac_f64_e32 v[106:107], v[194:195], v[104:105]
	s_waitcnt lgkmcnt(0)
	v_mul_f64 v[104:105], v[206:207], v[106:107]
	v_fma_f64 v[104:105], v[204:205], v[208:209], -v[104:105]
	v_mul_f64 v[204:205], v[204:205], v[106:107]
	v_fmac_f64_e32 v[204:205], v[206:207], v[208:209]
	v_add_f64 v[102:103], v[102:103], -v[204:205]
	ds_read2_b64 v[204:207], v202 offset0:64 offset1:65
	v_add_f64 v[100:101], v[100:101], -v[104:105]
	s_waitcnt lgkmcnt(0)
	v_mul_f64 v[104:105], v[206:207], v[106:107]
	v_fma_f64 v[104:105], v[204:205], v[208:209], -v[104:105]
	v_mul_f64 v[204:205], v[204:205], v[106:107]
	v_fmac_f64_e32 v[204:205], v[206:207], v[208:209]
	v_add_f64 v[98:99], v[98:99], -v[204:205]
	ds_read2_b64 v[204:207], v202 offset0:66 offset1:67
	v_add_f64 v[96:97], v[96:97], -v[104:105]
	;; [unrolled: 8-line block ×26, first 2 shown]
	s_waitcnt lgkmcnt(0)
	v_mul_f64 v[104:105], v[206:207], v[106:107]
	v_fma_f64 v[104:105], v[204:205], v[208:209], -v[104:105]
	v_mul_f64 v[204:205], v[204:205], v[106:107]
	v_fmac_f64_e32 v[204:205], v[206:207], v[208:209]
	v_add_f64 v[228:229], v[228:229], -v[104:105]
	v_add_f64 v[230:231], v[230:231], -v[204:205]
	v_mov_b64_e32 v[104:105], v[208:209]
.LBB115_280:
	s_or_b64 exec, exec, s[2:3]
	v_cmp_eq_u32_e32 vcc, 31, v200
	s_waitcnt vmcnt(63) expcnt(7) lgkmcnt(15)
	s_barrier
	s_and_saveexec_b64 s[4:5], vcc
	s_cbranch_execz .LBB115_287
; %bb.281:
	ds_write2_b64 v201, v[100:101], v[102:103] offset1:1
	ds_write2_b64 v202, v[96:97], v[98:99] offset0:64 offset1:65
	ds_write2_b64 v202, v[92:93], v[94:95] offset0:66 offset1:67
	;; [unrolled: 1-line block ×9, first 2 shown]
	s_waitcnt vmcnt(60)
	ds_write2_b64 v202, v[60:61], v[62:63] offset0:82 offset1:83
	s_waitcnt vmcnt(59)
	ds_write2_b64 v202, v[56:57], v[58:59] offset0:84 offset1:85
	;; [unrolled: 2-line block ×10, first 2 shown]
	ds_write2_b64 v202, v[20:21], v[22:23] offset0:102 offset1:103
	ds_write2_b64 v202, v[16:17], v[18:19] offset0:104 offset1:105
	;; [unrolled: 1-line block ×5, first 2 shown]
	s_waitcnt vmcnt(50)
	ds_write2_b64 v202, v[0:1], v[2:3] offset0:112 offset1:113
	s_waitcnt vmcnt(47)
	ds_write2_b64 v202, v[228:229], v[230:231] offset0:114 offset1:115
	ds_read2_b64 v[208:211], v201 offset1:1
	s_waitcnt lgkmcnt(0)
	v_cmp_neq_f64_e32 vcc, 0, v[208:209]
	v_cmp_neq_f64_e64 s[2:3], 0, v[210:211]
	s_or_b64 s[2:3], vcc, s[2:3]
	s_and_b64 exec, exec, s[2:3]
	s_cbranch_execz .LBB115_287
; %bb.282:
	v_cmp_ngt_f64_e64 s[2:3], |v[208:209]|, |v[210:211]|
                                        ; implicit-def: $vgpr204_vgpr205
	s_and_saveexec_b64 s[10:11], s[2:3]
	s_xor_b64 s[2:3], exec, s[10:11]
                                        ; implicit-def: $vgpr206_vgpr207
	s_cbranch_execz .LBB115_284
; %bb.283:
	v_div_scale_f64 v[204:205], s[10:11], v[210:211], v[210:211], v[208:209]
	v_rcp_f64_e32 v[206:207], v[204:205]
	v_div_scale_f64 v[212:213], vcc, v[208:209], v[210:211], v[208:209]
	v_fma_f64 v[214:215], -v[204:205], v[206:207], 1.0
	v_fmac_f64_e32 v[206:207], v[206:207], v[214:215]
	v_fma_f64 v[214:215], -v[204:205], v[206:207], 1.0
	v_fmac_f64_e32 v[206:207], v[206:207], v[214:215]
	v_mul_f64 v[214:215], v[212:213], v[206:207]
	v_fma_f64 v[204:205], -v[204:205], v[214:215], v[212:213]
	v_div_fmas_f64 v[204:205], v[204:205], v[206:207], v[214:215]
	v_div_fixup_f64 v[204:205], v[204:205], v[210:211], v[208:209]
	v_fmac_f64_e32 v[210:211], v[208:209], v[204:205]
	v_div_scale_f64 v[206:207], s[10:11], v[210:211], v[210:211], 1.0
	v_rcp_f64_e32 v[208:209], v[206:207]
	s_nop 0
	v_fma_f64 v[212:213], -v[206:207], v[208:209], 1.0
	v_fmac_f64_e32 v[208:209], v[208:209], v[212:213]
	v_fma_f64 v[212:213], -v[206:207], v[208:209], 1.0
	v_fmac_f64_e32 v[208:209], v[208:209], v[212:213]
	v_div_scale_f64 v[212:213], vcc, 1.0, v[210:211], 1.0
	v_mul_f64 v[214:215], v[212:213], v[208:209]
	v_fma_f64 v[206:207], -v[206:207], v[214:215], v[212:213]
	s_nop 1
	v_div_fmas_f64 v[206:207], v[206:207], v[208:209], v[214:215]
	v_div_fixup_f64 v[206:207], v[206:207], v[210:211], 1.0
	v_mul_f64 v[204:205], v[204:205], v[206:207]
	v_xor_b32_e32 v207, 0x80000000, v207
                                        ; implicit-def: $vgpr208_vgpr209
.LBB115_284:
	s_andn2_saveexec_b64 s[2:3], s[2:3]
	s_cbranch_execz .LBB115_286
; %bb.285:
	v_div_scale_f64 v[204:205], s[10:11], v[208:209], v[208:209], v[210:211]
	v_rcp_f64_e32 v[206:207], v[204:205]
	v_div_scale_f64 v[212:213], vcc, v[210:211], v[208:209], v[210:211]
	v_fma_f64 v[214:215], -v[204:205], v[206:207], 1.0
	v_fmac_f64_e32 v[206:207], v[206:207], v[214:215]
	v_fma_f64 v[214:215], -v[204:205], v[206:207], 1.0
	v_fmac_f64_e32 v[206:207], v[206:207], v[214:215]
	v_mul_f64 v[214:215], v[212:213], v[206:207]
	v_fma_f64 v[204:205], -v[204:205], v[214:215], v[212:213]
	v_div_fmas_f64 v[204:205], v[204:205], v[206:207], v[214:215]
	v_div_fixup_f64 v[206:207], v[204:205], v[208:209], v[210:211]
	v_fmac_f64_e32 v[208:209], v[210:211], v[206:207]
	v_div_scale_f64 v[204:205], s[10:11], v[208:209], v[208:209], 1.0
	v_rcp_f64_e32 v[210:211], v[204:205]
	s_nop 0
	v_fma_f64 v[212:213], -v[204:205], v[210:211], 1.0
	v_fmac_f64_e32 v[210:211], v[210:211], v[212:213]
	v_fma_f64 v[212:213], -v[204:205], v[210:211], 1.0
	v_fmac_f64_e32 v[210:211], v[210:211], v[212:213]
	v_div_scale_f64 v[212:213], vcc, 1.0, v[208:209], 1.0
	v_mul_f64 v[214:215], v[212:213], v[210:211]
	v_fma_f64 v[204:205], -v[204:205], v[214:215], v[212:213]
	s_nop 1
	v_div_fmas_f64 v[204:205], v[204:205], v[210:211], v[214:215]
	v_div_fixup_f64 v[204:205], v[204:205], v[208:209], 1.0
	v_mul_f64 v[206:207], v[206:207], -v[204:205]
.LBB115_286:
	s_or_b64 exec, exec, s[2:3]
	ds_write2_b64 v201, v[204:205], v[206:207] offset1:1
.LBB115_287:
	s_or_b64 exec, exec, s[4:5]
	s_waitcnt lgkmcnt(0)
	s_barrier
	ds_read2_b64 v[192:195], v201 offset1:1
	v_cmp_lt_u32_e32 vcc, 31, v200
	s_waitcnt lgkmcnt(0)
	scratch_store_dwordx4 off, v[192:195], off offset:1088 ; 16-byte Folded Spill
	s_and_saveexec_b64 s[2:3], vcc
	s_cbranch_execz .LBB115_289
; %bb.288:
	scratch_load_dwordx4 v[192:195], off, off offset:1088 ; 16-byte Folded Reload
	s_waitcnt vmcnt(0)
	v_mul_f64 v[204:205], v[194:195], v[102:103]
	v_fma_f64 v[208:209], v[192:193], v[100:101], -v[204:205]
	ds_read2_b64 v[204:207], v202 offset0:64 offset1:65
	v_mul_f64 v[102:103], v[192:193], v[102:103]
	v_fmac_f64_e32 v[102:103], v[194:195], v[100:101]
	s_waitcnt lgkmcnt(0)
	v_mul_f64 v[100:101], v[206:207], v[102:103]
	v_fma_f64 v[100:101], v[204:205], v[208:209], -v[100:101]
	v_mul_f64 v[204:205], v[204:205], v[102:103]
	v_fmac_f64_e32 v[204:205], v[206:207], v[208:209]
	v_add_f64 v[98:99], v[98:99], -v[204:205]
	ds_read2_b64 v[204:207], v202 offset0:66 offset1:67
	v_add_f64 v[96:97], v[96:97], -v[100:101]
	s_waitcnt lgkmcnt(0)
	v_mul_f64 v[100:101], v[206:207], v[102:103]
	v_fma_f64 v[100:101], v[204:205], v[208:209], -v[100:101]
	v_mul_f64 v[204:205], v[204:205], v[102:103]
	v_fmac_f64_e32 v[204:205], v[206:207], v[208:209]
	v_add_f64 v[94:95], v[94:95], -v[204:205]
	ds_read2_b64 v[204:207], v202 offset0:68 offset1:69
	v_add_f64 v[92:93], v[92:93], -v[100:101]
	;; [unrolled: 8-line block ×25, first 2 shown]
	s_waitcnt lgkmcnt(0)
	v_mul_f64 v[100:101], v[206:207], v[102:103]
	v_fma_f64 v[100:101], v[204:205], v[208:209], -v[100:101]
	v_mul_f64 v[204:205], v[204:205], v[102:103]
	v_fmac_f64_e32 v[204:205], v[206:207], v[208:209]
	v_add_f64 v[228:229], v[228:229], -v[100:101]
	v_add_f64 v[230:231], v[230:231], -v[204:205]
	v_mov_b64_e32 v[100:101], v[208:209]
.LBB115_289:
	s_or_b64 exec, exec, s[2:3]
	v_cmp_eq_u32_e32 vcc, 32, v200
	s_waitcnt vmcnt(63) expcnt(7) lgkmcnt(15)
	s_barrier
	s_and_saveexec_b64 s[4:5], vcc
	s_cbranch_execz .LBB115_296
; %bb.290:
	ds_write2_b64 v201, v[96:97], v[98:99] offset1:1
	ds_write2_b64 v202, v[92:93], v[94:95] offset0:66 offset1:67
	ds_write2_b64 v202, v[88:89], v[90:91] offset0:68 offset1:69
	;; [unrolled: 1-line block ×8, first 2 shown]
	s_waitcnt vmcnt(61)
	ds_write2_b64 v202, v[60:61], v[62:63] offset0:82 offset1:83
	s_waitcnt vmcnt(60)
	ds_write2_b64 v202, v[56:57], v[58:59] offset0:84 offset1:85
	;; [unrolled: 2-line block ×10, first 2 shown]
	ds_write2_b64 v202, v[20:21], v[22:23] offset0:102 offset1:103
	ds_write2_b64 v202, v[16:17], v[18:19] offset0:104 offset1:105
	;; [unrolled: 1-line block ×5, first 2 shown]
	s_waitcnt vmcnt(51)
	ds_write2_b64 v202, v[0:1], v[2:3] offset0:112 offset1:113
	s_waitcnt vmcnt(48)
	ds_write2_b64 v202, v[228:229], v[230:231] offset0:114 offset1:115
	ds_read2_b64 v[208:211], v201 offset1:1
	s_waitcnt lgkmcnt(0)
	v_cmp_neq_f64_e32 vcc, 0, v[208:209]
	v_cmp_neq_f64_e64 s[2:3], 0, v[210:211]
	s_or_b64 s[2:3], vcc, s[2:3]
	s_and_b64 exec, exec, s[2:3]
	s_cbranch_execz .LBB115_296
; %bb.291:
	v_cmp_ngt_f64_e64 s[2:3], |v[208:209]|, |v[210:211]|
                                        ; implicit-def: $vgpr204_vgpr205
	s_and_saveexec_b64 s[10:11], s[2:3]
	s_xor_b64 s[2:3], exec, s[10:11]
                                        ; implicit-def: $vgpr206_vgpr207
	s_cbranch_execz .LBB115_293
; %bb.292:
	v_div_scale_f64 v[204:205], s[10:11], v[210:211], v[210:211], v[208:209]
	v_rcp_f64_e32 v[206:207], v[204:205]
	v_div_scale_f64 v[212:213], vcc, v[208:209], v[210:211], v[208:209]
	v_fma_f64 v[214:215], -v[204:205], v[206:207], 1.0
	v_fmac_f64_e32 v[206:207], v[206:207], v[214:215]
	v_fma_f64 v[214:215], -v[204:205], v[206:207], 1.0
	v_fmac_f64_e32 v[206:207], v[206:207], v[214:215]
	v_mul_f64 v[214:215], v[212:213], v[206:207]
	v_fma_f64 v[204:205], -v[204:205], v[214:215], v[212:213]
	v_div_fmas_f64 v[204:205], v[204:205], v[206:207], v[214:215]
	v_div_fixup_f64 v[204:205], v[204:205], v[210:211], v[208:209]
	v_fmac_f64_e32 v[210:211], v[208:209], v[204:205]
	v_div_scale_f64 v[206:207], s[10:11], v[210:211], v[210:211], 1.0
	v_rcp_f64_e32 v[208:209], v[206:207]
	s_nop 0
	v_fma_f64 v[212:213], -v[206:207], v[208:209], 1.0
	v_fmac_f64_e32 v[208:209], v[208:209], v[212:213]
	v_fma_f64 v[212:213], -v[206:207], v[208:209], 1.0
	v_fmac_f64_e32 v[208:209], v[208:209], v[212:213]
	v_div_scale_f64 v[212:213], vcc, 1.0, v[210:211], 1.0
	v_mul_f64 v[214:215], v[212:213], v[208:209]
	v_fma_f64 v[206:207], -v[206:207], v[214:215], v[212:213]
	s_nop 1
	v_div_fmas_f64 v[206:207], v[206:207], v[208:209], v[214:215]
	v_div_fixup_f64 v[206:207], v[206:207], v[210:211], 1.0
	v_mul_f64 v[204:205], v[204:205], v[206:207]
	v_xor_b32_e32 v207, 0x80000000, v207
                                        ; implicit-def: $vgpr208_vgpr209
.LBB115_293:
	s_andn2_saveexec_b64 s[2:3], s[2:3]
	s_cbranch_execz .LBB115_295
; %bb.294:
	v_div_scale_f64 v[204:205], s[10:11], v[208:209], v[208:209], v[210:211]
	v_rcp_f64_e32 v[206:207], v[204:205]
	v_div_scale_f64 v[212:213], vcc, v[210:211], v[208:209], v[210:211]
	v_fma_f64 v[214:215], -v[204:205], v[206:207], 1.0
	v_fmac_f64_e32 v[206:207], v[206:207], v[214:215]
	v_fma_f64 v[214:215], -v[204:205], v[206:207], 1.0
	v_fmac_f64_e32 v[206:207], v[206:207], v[214:215]
	v_mul_f64 v[214:215], v[212:213], v[206:207]
	v_fma_f64 v[204:205], -v[204:205], v[214:215], v[212:213]
	v_div_fmas_f64 v[204:205], v[204:205], v[206:207], v[214:215]
	v_div_fixup_f64 v[206:207], v[204:205], v[208:209], v[210:211]
	v_fmac_f64_e32 v[208:209], v[210:211], v[206:207]
	v_div_scale_f64 v[204:205], s[10:11], v[208:209], v[208:209], 1.0
	v_rcp_f64_e32 v[210:211], v[204:205]
	s_nop 0
	v_fma_f64 v[212:213], -v[204:205], v[210:211], 1.0
	v_fmac_f64_e32 v[210:211], v[210:211], v[212:213]
	v_fma_f64 v[212:213], -v[204:205], v[210:211], 1.0
	v_fmac_f64_e32 v[210:211], v[210:211], v[212:213]
	v_div_scale_f64 v[212:213], vcc, 1.0, v[208:209], 1.0
	v_mul_f64 v[214:215], v[212:213], v[210:211]
	v_fma_f64 v[204:205], -v[204:205], v[214:215], v[212:213]
	s_nop 1
	v_div_fmas_f64 v[204:205], v[204:205], v[210:211], v[214:215]
	v_div_fixup_f64 v[204:205], v[204:205], v[208:209], 1.0
	v_mul_f64 v[206:207], v[206:207], -v[204:205]
.LBB115_295:
	s_or_b64 exec, exec, s[2:3]
	ds_write2_b64 v201, v[204:205], v[206:207] offset1:1
.LBB115_296:
	s_or_b64 exec, exec, s[4:5]
	s_waitcnt lgkmcnt(0)
	s_barrier
	ds_read2_b64 v[192:195], v201 offset1:1
	v_cmp_lt_u32_e32 vcc, 32, v200
	s_waitcnt lgkmcnt(0)
	scratch_store_dwordx4 off, v[192:195], off offset:1104 ; 16-byte Folded Spill
	s_and_saveexec_b64 s[2:3], vcc
	s_cbranch_execz .LBB115_298
; %bb.297:
	scratch_load_dwordx4 v[192:195], off, off offset:1104 ; 16-byte Folded Reload
	s_waitcnt vmcnt(0)
	v_mul_f64 v[204:205], v[194:195], v[98:99]
	v_fma_f64 v[208:209], v[192:193], v[96:97], -v[204:205]
	ds_read2_b64 v[204:207], v202 offset0:66 offset1:67
	v_mul_f64 v[98:99], v[192:193], v[98:99]
	v_fmac_f64_e32 v[98:99], v[194:195], v[96:97]
	s_waitcnt lgkmcnt(0)
	v_mul_f64 v[96:97], v[206:207], v[98:99]
	v_fma_f64 v[96:97], v[204:205], v[208:209], -v[96:97]
	v_mul_f64 v[204:205], v[204:205], v[98:99]
	v_fmac_f64_e32 v[204:205], v[206:207], v[208:209]
	v_add_f64 v[94:95], v[94:95], -v[204:205]
	ds_read2_b64 v[204:207], v202 offset0:68 offset1:69
	v_add_f64 v[92:93], v[92:93], -v[96:97]
	s_waitcnt lgkmcnt(0)
	v_mul_f64 v[96:97], v[206:207], v[98:99]
	v_fma_f64 v[96:97], v[204:205], v[208:209], -v[96:97]
	v_mul_f64 v[204:205], v[204:205], v[98:99]
	v_fmac_f64_e32 v[204:205], v[206:207], v[208:209]
	v_add_f64 v[90:91], v[90:91], -v[204:205]
	ds_read2_b64 v[204:207], v202 offset0:70 offset1:71
	v_add_f64 v[88:89], v[88:89], -v[96:97]
	;; [unrolled: 8-line block ×24, first 2 shown]
	s_waitcnt lgkmcnt(0)
	v_mul_f64 v[96:97], v[206:207], v[98:99]
	v_fma_f64 v[96:97], v[204:205], v[208:209], -v[96:97]
	v_mul_f64 v[204:205], v[204:205], v[98:99]
	v_fmac_f64_e32 v[204:205], v[206:207], v[208:209]
	v_add_f64 v[228:229], v[228:229], -v[96:97]
	v_add_f64 v[230:231], v[230:231], -v[204:205]
	v_mov_b64_e32 v[96:97], v[208:209]
.LBB115_298:
	s_or_b64 exec, exec, s[2:3]
	v_cmp_eq_u32_e32 vcc, 33, v200
	s_waitcnt vmcnt(63) expcnt(7) lgkmcnt(15)
	s_barrier
	s_and_saveexec_b64 s[4:5], vcc
	s_cbranch_execz .LBB115_305
; %bb.299:
	ds_write2_b64 v201, v[92:93], v[94:95] offset1:1
	ds_write2_b64 v202, v[88:89], v[90:91] offset0:68 offset1:69
	ds_write2_b64 v202, v[84:85], v[86:87] offset0:70 offset1:71
	;; [unrolled: 1-line block ×7, first 2 shown]
	s_waitcnt vmcnt(62)
	ds_write2_b64 v202, v[60:61], v[62:63] offset0:82 offset1:83
	s_waitcnt vmcnt(61)
	ds_write2_b64 v202, v[56:57], v[58:59] offset0:84 offset1:85
	;; [unrolled: 2-line block ×10, first 2 shown]
	ds_write2_b64 v202, v[20:21], v[22:23] offset0:102 offset1:103
	ds_write2_b64 v202, v[16:17], v[18:19] offset0:104 offset1:105
	ds_write2_b64 v202, v[12:13], v[14:15] offset0:106 offset1:107
	ds_write2_b64 v202, v[8:9], v[10:11] offset0:108 offset1:109
	ds_write2_b64 v202, v[4:5], v[6:7] offset0:110 offset1:111
	s_waitcnt vmcnt(52)
	ds_write2_b64 v202, v[0:1], v[2:3] offset0:112 offset1:113
	s_waitcnt vmcnt(49)
	ds_write2_b64 v202, v[228:229], v[230:231] offset0:114 offset1:115
	ds_read2_b64 v[208:211], v201 offset1:1
	s_waitcnt lgkmcnt(0)
	v_cmp_neq_f64_e32 vcc, 0, v[208:209]
	v_cmp_neq_f64_e64 s[2:3], 0, v[210:211]
	s_or_b64 s[2:3], vcc, s[2:3]
	s_and_b64 exec, exec, s[2:3]
	s_cbranch_execz .LBB115_305
; %bb.300:
	v_cmp_ngt_f64_e64 s[2:3], |v[208:209]|, |v[210:211]|
                                        ; implicit-def: $vgpr204_vgpr205
	s_and_saveexec_b64 s[10:11], s[2:3]
	s_xor_b64 s[2:3], exec, s[10:11]
                                        ; implicit-def: $vgpr206_vgpr207
	s_cbranch_execz .LBB115_302
; %bb.301:
	v_div_scale_f64 v[204:205], s[10:11], v[210:211], v[210:211], v[208:209]
	v_rcp_f64_e32 v[206:207], v[204:205]
	v_div_scale_f64 v[212:213], vcc, v[208:209], v[210:211], v[208:209]
	v_fma_f64 v[214:215], -v[204:205], v[206:207], 1.0
	v_fmac_f64_e32 v[206:207], v[206:207], v[214:215]
	v_fma_f64 v[214:215], -v[204:205], v[206:207], 1.0
	v_fmac_f64_e32 v[206:207], v[206:207], v[214:215]
	v_mul_f64 v[214:215], v[212:213], v[206:207]
	v_fma_f64 v[204:205], -v[204:205], v[214:215], v[212:213]
	v_div_fmas_f64 v[204:205], v[204:205], v[206:207], v[214:215]
	v_div_fixup_f64 v[204:205], v[204:205], v[210:211], v[208:209]
	v_fmac_f64_e32 v[210:211], v[208:209], v[204:205]
	v_div_scale_f64 v[206:207], s[10:11], v[210:211], v[210:211], 1.0
	v_rcp_f64_e32 v[208:209], v[206:207]
	s_nop 0
	v_fma_f64 v[212:213], -v[206:207], v[208:209], 1.0
	v_fmac_f64_e32 v[208:209], v[208:209], v[212:213]
	v_fma_f64 v[212:213], -v[206:207], v[208:209], 1.0
	v_fmac_f64_e32 v[208:209], v[208:209], v[212:213]
	v_div_scale_f64 v[212:213], vcc, 1.0, v[210:211], 1.0
	v_mul_f64 v[214:215], v[212:213], v[208:209]
	v_fma_f64 v[206:207], -v[206:207], v[214:215], v[212:213]
	s_nop 1
	v_div_fmas_f64 v[206:207], v[206:207], v[208:209], v[214:215]
	v_div_fixup_f64 v[206:207], v[206:207], v[210:211], 1.0
	v_mul_f64 v[204:205], v[204:205], v[206:207]
	v_xor_b32_e32 v207, 0x80000000, v207
                                        ; implicit-def: $vgpr208_vgpr209
.LBB115_302:
	s_andn2_saveexec_b64 s[2:3], s[2:3]
	s_cbranch_execz .LBB115_304
; %bb.303:
	v_div_scale_f64 v[204:205], s[10:11], v[208:209], v[208:209], v[210:211]
	v_rcp_f64_e32 v[206:207], v[204:205]
	v_div_scale_f64 v[212:213], vcc, v[210:211], v[208:209], v[210:211]
	v_fma_f64 v[214:215], -v[204:205], v[206:207], 1.0
	v_fmac_f64_e32 v[206:207], v[206:207], v[214:215]
	v_fma_f64 v[214:215], -v[204:205], v[206:207], 1.0
	v_fmac_f64_e32 v[206:207], v[206:207], v[214:215]
	v_mul_f64 v[214:215], v[212:213], v[206:207]
	v_fma_f64 v[204:205], -v[204:205], v[214:215], v[212:213]
	v_div_fmas_f64 v[204:205], v[204:205], v[206:207], v[214:215]
	v_div_fixup_f64 v[206:207], v[204:205], v[208:209], v[210:211]
	v_fmac_f64_e32 v[208:209], v[210:211], v[206:207]
	v_div_scale_f64 v[204:205], s[10:11], v[208:209], v[208:209], 1.0
	v_rcp_f64_e32 v[210:211], v[204:205]
	s_nop 0
	v_fma_f64 v[212:213], -v[204:205], v[210:211], 1.0
	v_fmac_f64_e32 v[210:211], v[210:211], v[212:213]
	v_fma_f64 v[212:213], -v[204:205], v[210:211], 1.0
	v_fmac_f64_e32 v[210:211], v[210:211], v[212:213]
	v_div_scale_f64 v[212:213], vcc, 1.0, v[208:209], 1.0
	v_mul_f64 v[214:215], v[212:213], v[210:211]
	v_fma_f64 v[204:205], -v[204:205], v[214:215], v[212:213]
	s_nop 1
	v_div_fmas_f64 v[204:205], v[204:205], v[210:211], v[214:215]
	v_div_fixup_f64 v[204:205], v[204:205], v[208:209], 1.0
	v_mul_f64 v[206:207], v[206:207], -v[204:205]
.LBB115_304:
	s_or_b64 exec, exec, s[2:3]
	ds_write2_b64 v201, v[204:205], v[206:207] offset1:1
.LBB115_305:
	s_or_b64 exec, exec, s[4:5]
	s_waitcnt lgkmcnt(0)
	s_barrier
	ds_read2_b64 v[192:195], v201 offset1:1
	v_cmp_lt_u32_e32 vcc, 33, v200
	s_waitcnt lgkmcnt(0)
	scratch_store_dwordx4 off, v[192:195], off offset:1120 ; 16-byte Folded Spill
	s_and_saveexec_b64 s[2:3], vcc
	s_cbranch_execz .LBB115_307
; %bb.306:
	scratch_load_dwordx4 v[192:195], off, off offset:1120 ; 16-byte Folded Reload
	s_waitcnt vmcnt(0)
	v_mul_f64 v[204:205], v[194:195], v[94:95]
	v_fma_f64 v[208:209], v[192:193], v[92:93], -v[204:205]
	ds_read2_b64 v[204:207], v202 offset0:68 offset1:69
	v_mul_f64 v[94:95], v[192:193], v[94:95]
	v_fmac_f64_e32 v[94:95], v[194:195], v[92:93]
	s_waitcnt lgkmcnt(0)
	v_mul_f64 v[92:93], v[206:207], v[94:95]
	v_fma_f64 v[92:93], v[204:205], v[208:209], -v[92:93]
	v_mul_f64 v[204:205], v[204:205], v[94:95]
	v_fmac_f64_e32 v[204:205], v[206:207], v[208:209]
	v_add_f64 v[90:91], v[90:91], -v[204:205]
	ds_read2_b64 v[204:207], v202 offset0:70 offset1:71
	v_add_f64 v[88:89], v[88:89], -v[92:93]
	s_waitcnt lgkmcnt(0)
	v_mul_f64 v[92:93], v[206:207], v[94:95]
	v_fma_f64 v[92:93], v[204:205], v[208:209], -v[92:93]
	v_mul_f64 v[204:205], v[204:205], v[94:95]
	v_fmac_f64_e32 v[204:205], v[206:207], v[208:209]
	v_add_f64 v[86:87], v[86:87], -v[204:205]
	ds_read2_b64 v[204:207], v202 offset0:72 offset1:73
	v_add_f64 v[84:85], v[84:85], -v[92:93]
	;; [unrolled: 8-line block ×23, first 2 shown]
	s_waitcnt lgkmcnt(0)
	v_mul_f64 v[92:93], v[206:207], v[94:95]
	v_fma_f64 v[92:93], v[204:205], v[208:209], -v[92:93]
	v_mul_f64 v[204:205], v[204:205], v[94:95]
	v_fmac_f64_e32 v[204:205], v[206:207], v[208:209]
	v_add_f64 v[228:229], v[228:229], -v[92:93]
	v_add_f64 v[230:231], v[230:231], -v[204:205]
	v_mov_b64_e32 v[92:93], v[208:209]
.LBB115_307:
	s_or_b64 exec, exec, s[2:3]
	v_cmp_eq_u32_e32 vcc, 34, v200
	s_waitcnt vmcnt(63) expcnt(7) lgkmcnt(15)
	s_barrier
	s_and_saveexec_b64 s[4:5], vcc
	s_cbranch_execz .LBB115_314
; %bb.308:
	ds_write2_b64 v201, v[88:89], v[90:91] offset1:1
	ds_write2_b64 v202, v[84:85], v[86:87] offset0:70 offset1:71
	ds_write2_b64 v202, v[80:81], v[82:83] offset0:72 offset1:73
	ds_write2_b64 v202, v[76:77], v[78:79] offset0:74 offset1:75
	ds_write2_b64 v202, v[72:73], v[74:75] offset0:76 offset1:77
	ds_write2_b64 v202, v[68:69], v[70:71] offset0:78 offset1:79
	ds_write2_b64 v202, v[64:65], v[66:67] offset0:80 offset1:81
	ds_write2_b64 v202, v[60:61], v[62:63] offset0:82 offset1:83
	s_waitcnt vmcnt(62)
	ds_write2_b64 v202, v[56:57], v[58:59] offset0:84 offset1:85
	s_waitcnt vmcnt(61)
	ds_write2_b64 v202, v[52:53], v[54:55] offset0:86 offset1:87
	;; [unrolled: 2-line block ×9, first 2 shown]
	ds_write2_b64 v202, v[20:21], v[22:23] offset0:102 offset1:103
	ds_write2_b64 v202, v[16:17], v[18:19] offset0:104 offset1:105
	ds_write2_b64 v202, v[12:13], v[14:15] offset0:106 offset1:107
	ds_write2_b64 v202, v[8:9], v[10:11] offset0:108 offset1:109
	ds_write2_b64 v202, v[4:5], v[6:7] offset0:110 offset1:111
	s_waitcnt vmcnt(53)
	ds_write2_b64 v202, v[0:1], v[2:3] offset0:112 offset1:113
	s_waitcnt vmcnt(50)
	ds_write2_b64 v202, v[228:229], v[230:231] offset0:114 offset1:115
	ds_read2_b64 v[208:211], v201 offset1:1
	s_waitcnt lgkmcnt(0)
	v_cmp_neq_f64_e32 vcc, 0, v[208:209]
	v_cmp_neq_f64_e64 s[2:3], 0, v[210:211]
	s_or_b64 s[2:3], vcc, s[2:3]
	s_and_b64 exec, exec, s[2:3]
	s_cbranch_execz .LBB115_314
; %bb.309:
	v_cmp_ngt_f64_e64 s[2:3], |v[208:209]|, |v[210:211]|
                                        ; implicit-def: $vgpr204_vgpr205
	s_and_saveexec_b64 s[10:11], s[2:3]
	s_xor_b64 s[2:3], exec, s[10:11]
                                        ; implicit-def: $vgpr206_vgpr207
	s_cbranch_execz .LBB115_311
; %bb.310:
	v_div_scale_f64 v[204:205], s[10:11], v[210:211], v[210:211], v[208:209]
	v_rcp_f64_e32 v[206:207], v[204:205]
	v_div_scale_f64 v[212:213], vcc, v[208:209], v[210:211], v[208:209]
	v_fma_f64 v[214:215], -v[204:205], v[206:207], 1.0
	v_fmac_f64_e32 v[206:207], v[206:207], v[214:215]
	v_fma_f64 v[214:215], -v[204:205], v[206:207], 1.0
	v_fmac_f64_e32 v[206:207], v[206:207], v[214:215]
	v_mul_f64 v[214:215], v[212:213], v[206:207]
	v_fma_f64 v[204:205], -v[204:205], v[214:215], v[212:213]
	v_div_fmas_f64 v[204:205], v[204:205], v[206:207], v[214:215]
	v_div_fixup_f64 v[204:205], v[204:205], v[210:211], v[208:209]
	v_fmac_f64_e32 v[210:211], v[208:209], v[204:205]
	v_div_scale_f64 v[206:207], s[10:11], v[210:211], v[210:211], 1.0
	v_rcp_f64_e32 v[208:209], v[206:207]
	s_nop 0
	v_fma_f64 v[212:213], -v[206:207], v[208:209], 1.0
	v_fmac_f64_e32 v[208:209], v[208:209], v[212:213]
	v_fma_f64 v[212:213], -v[206:207], v[208:209], 1.0
	v_fmac_f64_e32 v[208:209], v[208:209], v[212:213]
	v_div_scale_f64 v[212:213], vcc, 1.0, v[210:211], 1.0
	v_mul_f64 v[214:215], v[212:213], v[208:209]
	v_fma_f64 v[206:207], -v[206:207], v[214:215], v[212:213]
	s_nop 1
	v_div_fmas_f64 v[206:207], v[206:207], v[208:209], v[214:215]
	v_div_fixup_f64 v[206:207], v[206:207], v[210:211], 1.0
	v_mul_f64 v[204:205], v[204:205], v[206:207]
	v_xor_b32_e32 v207, 0x80000000, v207
                                        ; implicit-def: $vgpr208_vgpr209
.LBB115_311:
	s_andn2_saveexec_b64 s[2:3], s[2:3]
	s_cbranch_execz .LBB115_313
; %bb.312:
	v_div_scale_f64 v[204:205], s[10:11], v[208:209], v[208:209], v[210:211]
	v_rcp_f64_e32 v[206:207], v[204:205]
	v_div_scale_f64 v[212:213], vcc, v[210:211], v[208:209], v[210:211]
	v_fma_f64 v[214:215], -v[204:205], v[206:207], 1.0
	v_fmac_f64_e32 v[206:207], v[206:207], v[214:215]
	v_fma_f64 v[214:215], -v[204:205], v[206:207], 1.0
	v_fmac_f64_e32 v[206:207], v[206:207], v[214:215]
	v_mul_f64 v[214:215], v[212:213], v[206:207]
	v_fma_f64 v[204:205], -v[204:205], v[214:215], v[212:213]
	v_div_fmas_f64 v[204:205], v[204:205], v[206:207], v[214:215]
	v_div_fixup_f64 v[206:207], v[204:205], v[208:209], v[210:211]
	v_fmac_f64_e32 v[208:209], v[210:211], v[206:207]
	v_div_scale_f64 v[204:205], s[10:11], v[208:209], v[208:209], 1.0
	v_rcp_f64_e32 v[210:211], v[204:205]
	s_nop 0
	v_fma_f64 v[212:213], -v[204:205], v[210:211], 1.0
	v_fmac_f64_e32 v[210:211], v[210:211], v[212:213]
	v_fma_f64 v[212:213], -v[204:205], v[210:211], 1.0
	v_fmac_f64_e32 v[210:211], v[210:211], v[212:213]
	v_div_scale_f64 v[212:213], vcc, 1.0, v[208:209], 1.0
	v_mul_f64 v[214:215], v[212:213], v[210:211]
	v_fma_f64 v[204:205], -v[204:205], v[214:215], v[212:213]
	s_nop 1
	v_div_fmas_f64 v[204:205], v[204:205], v[210:211], v[214:215]
	v_div_fixup_f64 v[204:205], v[204:205], v[208:209], 1.0
	v_mul_f64 v[206:207], v[206:207], -v[204:205]
.LBB115_313:
	s_or_b64 exec, exec, s[2:3]
	ds_write2_b64 v201, v[204:205], v[206:207] offset1:1
.LBB115_314:
	s_or_b64 exec, exec, s[4:5]
	s_waitcnt lgkmcnt(0)
	s_barrier
	ds_read2_b64 v[192:195], v201 offset1:1
	v_cmp_lt_u32_e32 vcc, 34, v200
	s_waitcnt lgkmcnt(0)
	scratch_store_dwordx4 off, v[192:195], off offset:1136 ; 16-byte Folded Spill
	s_and_saveexec_b64 s[2:3], vcc
	s_cbranch_execz .LBB115_316
; %bb.315:
	scratch_load_dwordx4 v[192:195], off, off offset:1136 ; 16-byte Folded Reload
	s_waitcnt vmcnt(0)
	v_mul_f64 v[204:205], v[194:195], v[90:91]
	v_fma_f64 v[208:209], v[192:193], v[88:89], -v[204:205]
	ds_read2_b64 v[204:207], v202 offset0:70 offset1:71
	v_mul_f64 v[90:91], v[192:193], v[90:91]
	v_fmac_f64_e32 v[90:91], v[194:195], v[88:89]
	s_waitcnt lgkmcnt(0)
	v_mul_f64 v[88:89], v[206:207], v[90:91]
	v_fma_f64 v[88:89], v[204:205], v[208:209], -v[88:89]
	v_mul_f64 v[204:205], v[204:205], v[90:91]
	v_fmac_f64_e32 v[204:205], v[206:207], v[208:209]
	v_add_f64 v[86:87], v[86:87], -v[204:205]
	ds_read2_b64 v[204:207], v202 offset0:72 offset1:73
	v_add_f64 v[84:85], v[84:85], -v[88:89]
	s_waitcnt lgkmcnt(0)
	v_mul_f64 v[88:89], v[206:207], v[90:91]
	v_fma_f64 v[88:89], v[204:205], v[208:209], -v[88:89]
	v_mul_f64 v[204:205], v[204:205], v[90:91]
	v_fmac_f64_e32 v[204:205], v[206:207], v[208:209]
	v_add_f64 v[82:83], v[82:83], -v[204:205]
	ds_read2_b64 v[204:207], v202 offset0:74 offset1:75
	v_add_f64 v[80:81], v[80:81], -v[88:89]
	;; [unrolled: 8-line block ×22, first 2 shown]
	s_waitcnt lgkmcnt(0)
	v_mul_f64 v[88:89], v[206:207], v[90:91]
	v_fma_f64 v[88:89], v[204:205], v[208:209], -v[88:89]
	v_mul_f64 v[204:205], v[204:205], v[90:91]
	v_fmac_f64_e32 v[204:205], v[206:207], v[208:209]
	v_add_f64 v[228:229], v[228:229], -v[88:89]
	v_add_f64 v[230:231], v[230:231], -v[204:205]
	v_mov_b64_e32 v[88:89], v[208:209]
.LBB115_316:
	s_or_b64 exec, exec, s[2:3]
	v_cmp_eq_u32_e32 vcc, 35, v200
	s_waitcnt vmcnt(63) expcnt(7) lgkmcnt(15)
	s_barrier
	s_and_saveexec_b64 s[4:5], vcc
	s_cbranch_execz .LBB115_323
; %bb.317:
	ds_write2_b64 v201, v[84:85], v[86:87] offset1:1
	ds_write2_b64 v202, v[80:81], v[82:83] offset0:72 offset1:73
	ds_write2_b64 v202, v[76:77], v[78:79] offset0:74 offset1:75
	;; [unrolled: 1-line block ×7, first 2 shown]
	s_waitcnt vmcnt(62)
	ds_write2_b64 v202, v[52:53], v[54:55] offset0:86 offset1:87
	s_waitcnt vmcnt(61)
	ds_write2_b64 v202, v[48:49], v[50:51] offset0:88 offset1:89
	;; [unrolled: 2-line block ×8, first 2 shown]
	ds_write2_b64 v202, v[20:21], v[22:23] offset0:102 offset1:103
	ds_write2_b64 v202, v[16:17], v[18:19] offset0:104 offset1:105
	;; [unrolled: 1-line block ×5, first 2 shown]
	s_waitcnt vmcnt(54)
	ds_write2_b64 v202, v[0:1], v[2:3] offset0:112 offset1:113
	s_waitcnt vmcnt(51)
	ds_write2_b64 v202, v[228:229], v[230:231] offset0:114 offset1:115
	ds_read2_b64 v[208:211], v201 offset1:1
	s_waitcnt lgkmcnt(0)
	v_cmp_neq_f64_e32 vcc, 0, v[208:209]
	v_cmp_neq_f64_e64 s[2:3], 0, v[210:211]
	s_or_b64 s[2:3], vcc, s[2:3]
	s_and_b64 exec, exec, s[2:3]
	s_cbranch_execz .LBB115_323
; %bb.318:
	v_cmp_ngt_f64_e64 s[2:3], |v[208:209]|, |v[210:211]|
                                        ; implicit-def: $vgpr204_vgpr205
	s_and_saveexec_b64 s[10:11], s[2:3]
	s_xor_b64 s[2:3], exec, s[10:11]
                                        ; implicit-def: $vgpr206_vgpr207
	s_cbranch_execz .LBB115_320
; %bb.319:
	v_div_scale_f64 v[204:205], s[10:11], v[210:211], v[210:211], v[208:209]
	v_rcp_f64_e32 v[206:207], v[204:205]
	v_div_scale_f64 v[212:213], vcc, v[208:209], v[210:211], v[208:209]
	v_fma_f64 v[214:215], -v[204:205], v[206:207], 1.0
	v_fmac_f64_e32 v[206:207], v[206:207], v[214:215]
	v_fma_f64 v[214:215], -v[204:205], v[206:207], 1.0
	v_fmac_f64_e32 v[206:207], v[206:207], v[214:215]
	v_mul_f64 v[214:215], v[212:213], v[206:207]
	v_fma_f64 v[204:205], -v[204:205], v[214:215], v[212:213]
	v_div_fmas_f64 v[204:205], v[204:205], v[206:207], v[214:215]
	v_div_fixup_f64 v[204:205], v[204:205], v[210:211], v[208:209]
	v_fmac_f64_e32 v[210:211], v[208:209], v[204:205]
	v_div_scale_f64 v[206:207], s[10:11], v[210:211], v[210:211], 1.0
	v_rcp_f64_e32 v[208:209], v[206:207]
	s_nop 0
	v_fma_f64 v[212:213], -v[206:207], v[208:209], 1.0
	v_fmac_f64_e32 v[208:209], v[208:209], v[212:213]
	v_fma_f64 v[212:213], -v[206:207], v[208:209], 1.0
	v_fmac_f64_e32 v[208:209], v[208:209], v[212:213]
	v_div_scale_f64 v[212:213], vcc, 1.0, v[210:211], 1.0
	v_mul_f64 v[214:215], v[212:213], v[208:209]
	v_fma_f64 v[206:207], -v[206:207], v[214:215], v[212:213]
	s_nop 1
	v_div_fmas_f64 v[206:207], v[206:207], v[208:209], v[214:215]
	v_div_fixup_f64 v[206:207], v[206:207], v[210:211], 1.0
	v_mul_f64 v[204:205], v[204:205], v[206:207]
	v_xor_b32_e32 v207, 0x80000000, v207
                                        ; implicit-def: $vgpr208_vgpr209
.LBB115_320:
	s_andn2_saveexec_b64 s[2:3], s[2:3]
	s_cbranch_execz .LBB115_322
; %bb.321:
	v_div_scale_f64 v[204:205], s[10:11], v[208:209], v[208:209], v[210:211]
	v_rcp_f64_e32 v[206:207], v[204:205]
	v_div_scale_f64 v[212:213], vcc, v[210:211], v[208:209], v[210:211]
	v_fma_f64 v[214:215], -v[204:205], v[206:207], 1.0
	v_fmac_f64_e32 v[206:207], v[206:207], v[214:215]
	v_fma_f64 v[214:215], -v[204:205], v[206:207], 1.0
	v_fmac_f64_e32 v[206:207], v[206:207], v[214:215]
	v_mul_f64 v[214:215], v[212:213], v[206:207]
	v_fma_f64 v[204:205], -v[204:205], v[214:215], v[212:213]
	v_div_fmas_f64 v[204:205], v[204:205], v[206:207], v[214:215]
	v_div_fixup_f64 v[206:207], v[204:205], v[208:209], v[210:211]
	v_fmac_f64_e32 v[208:209], v[210:211], v[206:207]
	v_div_scale_f64 v[204:205], s[10:11], v[208:209], v[208:209], 1.0
	v_rcp_f64_e32 v[210:211], v[204:205]
	s_nop 0
	v_fma_f64 v[212:213], -v[204:205], v[210:211], 1.0
	v_fmac_f64_e32 v[210:211], v[210:211], v[212:213]
	v_fma_f64 v[212:213], -v[204:205], v[210:211], 1.0
	v_fmac_f64_e32 v[210:211], v[210:211], v[212:213]
	v_div_scale_f64 v[212:213], vcc, 1.0, v[208:209], 1.0
	v_mul_f64 v[214:215], v[212:213], v[210:211]
	v_fma_f64 v[204:205], -v[204:205], v[214:215], v[212:213]
	s_nop 1
	v_div_fmas_f64 v[204:205], v[204:205], v[210:211], v[214:215]
	v_div_fixup_f64 v[204:205], v[204:205], v[208:209], 1.0
	v_mul_f64 v[206:207], v[206:207], -v[204:205]
.LBB115_322:
	s_or_b64 exec, exec, s[2:3]
	ds_write2_b64 v201, v[204:205], v[206:207] offset1:1
.LBB115_323:
	s_or_b64 exec, exec, s[4:5]
	s_waitcnt lgkmcnt(0)
	s_barrier
	ds_read2_b64 v[192:195], v201 offset1:1
	v_cmp_lt_u32_e32 vcc, 35, v200
	s_waitcnt lgkmcnt(0)
	scratch_store_dwordx4 off, v[192:195], off offset:1152 ; 16-byte Folded Spill
	s_and_saveexec_b64 s[2:3], vcc
	s_cbranch_execz .LBB115_325
; %bb.324:
	scratch_load_dwordx4 v[192:195], off, off offset:1152 ; 16-byte Folded Reload
	s_waitcnt vmcnt(0)
	v_mul_f64 v[204:205], v[194:195], v[86:87]
	v_fma_f64 v[208:209], v[192:193], v[84:85], -v[204:205]
	ds_read2_b64 v[204:207], v202 offset0:72 offset1:73
	v_mul_f64 v[86:87], v[192:193], v[86:87]
	v_fmac_f64_e32 v[86:87], v[194:195], v[84:85]
	s_waitcnt lgkmcnt(0)
	v_mul_f64 v[84:85], v[206:207], v[86:87]
	v_fma_f64 v[84:85], v[204:205], v[208:209], -v[84:85]
	v_mul_f64 v[204:205], v[204:205], v[86:87]
	v_fmac_f64_e32 v[204:205], v[206:207], v[208:209]
	v_add_f64 v[82:83], v[82:83], -v[204:205]
	ds_read2_b64 v[204:207], v202 offset0:74 offset1:75
	v_add_f64 v[80:81], v[80:81], -v[84:85]
	s_waitcnt lgkmcnt(0)
	v_mul_f64 v[84:85], v[206:207], v[86:87]
	v_fma_f64 v[84:85], v[204:205], v[208:209], -v[84:85]
	v_mul_f64 v[204:205], v[204:205], v[86:87]
	v_fmac_f64_e32 v[204:205], v[206:207], v[208:209]
	v_add_f64 v[78:79], v[78:79], -v[204:205]
	ds_read2_b64 v[204:207], v202 offset0:76 offset1:77
	v_add_f64 v[76:77], v[76:77], -v[84:85]
	s_waitcnt lgkmcnt(0)
	v_mul_f64 v[84:85], v[206:207], v[86:87]
	v_fma_f64 v[84:85], v[204:205], v[208:209], -v[84:85]
	v_mul_f64 v[204:205], v[204:205], v[86:87]
	v_fmac_f64_e32 v[204:205], v[206:207], v[208:209]
	v_add_f64 v[74:75], v[74:75], -v[204:205]
	ds_read2_b64 v[204:207], v202 offset0:78 offset1:79
	v_add_f64 v[72:73], v[72:73], -v[84:85]
	s_waitcnt lgkmcnt(0)
	v_mul_f64 v[84:85], v[206:207], v[86:87]
	v_fma_f64 v[84:85], v[204:205], v[208:209], -v[84:85]
	v_mul_f64 v[204:205], v[204:205], v[86:87]
	v_fmac_f64_e32 v[204:205], v[206:207], v[208:209]
	v_add_f64 v[70:71], v[70:71], -v[204:205]
	ds_read2_b64 v[204:207], v202 offset0:80 offset1:81
	v_add_f64 v[68:69], v[68:69], -v[84:85]
	s_waitcnt lgkmcnt(0)
	v_mul_f64 v[84:85], v[206:207], v[86:87]
	v_fma_f64 v[84:85], v[204:205], v[208:209], -v[84:85]
	v_mul_f64 v[204:205], v[204:205], v[86:87]
	v_fmac_f64_e32 v[204:205], v[206:207], v[208:209]
	v_add_f64 v[66:67], v[66:67], -v[204:205]
	ds_read2_b64 v[204:207], v202 offset0:82 offset1:83
	v_add_f64 v[64:65], v[64:65], -v[84:85]
	s_waitcnt lgkmcnt(0)
	v_mul_f64 v[84:85], v[206:207], v[86:87]
	v_fma_f64 v[84:85], v[204:205], v[208:209], -v[84:85]
	v_mul_f64 v[204:205], v[204:205], v[86:87]
	v_fmac_f64_e32 v[204:205], v[206:207], v[208:209]
	v_add_f64 v[62:63], v[62:63], -v[204:205]
	ds_read2_b64 v[204:207], v202 offset0:84 offset1:85
	v_add_f64 v[60:61], v[60:61], -v[84:85]
	s_waitcnt lgkmcnt(0)
	v_mul_f64 v[84:85], v[206:207], v[86:87]
	v_fma_f64 v[84:85], v[204:205], v[208:209], -v[84:85]
	v_mul_f64 v[204:205], v[204:205], v[86:87]
	v_fmac_f64_e32 v[204:205], v[206:207], v[208:209]
	v_add_f64 v[58:59], v[58:59], -v[204:205]
	ds_read2_b64 v[204:207], v202 offset0:86 offset1:87
	v_add_f64 v[56:57], v[56:57], -v[84:85]
	s_waitcnt lgkmcnt(0)
	v_mul_f64 v[84:85], v[206:207], v[86:87]
	v_fma_f64 v[84:85], v[204:205], v[208:209], -v[84:85]
	v_mul_f64 v[204:205], v[204:205], v[86:87]
	v_fmac_f64_e32 v[204:205], v[206:207], v[208:209]
	v_add_f64 v[54:55], v[54:55], -v[204:205]
	ds_read2_b64 v[204:207], v202 offset0:88 offset1:89
	v_add_f64 v[52:53], v[52:53], -v[84:85]
	s_waitcnt lgkmcnt(0)
	v_mul_f64 v[84:85], v[206:207], v[86:87]
	v_fma_f64 v[84:85], v[204:205], v[208:209], -v[84:85]
	v_mul_f64 v[204:205], v[204:205], v[86:87]
	v_fmac_f64_e32 v[204:205], v[206:207], v[208:209]
	v_add_f64 v[50:51], v[50:51], -v[204:205]
	ds_read2_b64 v[204:207], v202 offset0:90 offset1:91
	v_add_f64 v[48:49], v[48:49], -v[84:85]
	s_waitcnt lgkmcnt(0)
	v_mul_f64 v[84:85], v[206:207], v[86:87]
	v_fma_f64 v[84:85], v[204:205], v[208:209], -v[84:85]
	v_mul_f64 v[204:205], v[204:205], v[86:87]
	v_fmac_f64_e32 v[204:205], v[206:207], v[208:209]
	v_add_f64 v[46:47], v[46:47], -v[204:205]
	ds_read2_b64 v[204:207], v202 offset0:92 offset1:93
	v_add_f64 v[44:45], v[44:45], -v[84:85]
	s_waitcnt lgkmcnt(0)
	v_mul_f64 v[84:85], v[206:207], v[86:87]
	v_fma_f64 v[84:85], v[204:205], v[208:209], -v[84:85]
	v_mul_f64 v[204:205], v[204:205], v[86:87]
	v_fmac_f64_e32 v[204:205], v[206:207], v[208:209]
	v_add_f64 v[42:43], v[42:43], -v[204:205]
	ds_read2_b64 v[204:207], v202 offset0:94 offset1:95
	v_add_f64 v[40:41], v[40:41], -v[84:85]
	s_waitcnt lgkmcnt(0)
	v_mul_f64 v[84:85], v[206:207], v[86:87]
	v_fma_f64 v[84:85], v[204:205], v[208:209], -v[84:85]
	v_mul_f64 v[204:205], v[204:205], v[86:87]
	v_fmac_f64_e32 v[204:205], v[206:207], v[208:209]
	v_add_f64 v[38:39], v[38:39], -v[204:205]
	ds_read2_b64 v[204:207], v202 offset0:96 offset1:97
	v_add_f64 v[36:37], v[36:37], -v[84:85]
	s_waitcnt lgkmcnt(0)
	v_mul_f64 v[84:85], v[206:207], v[86:87]
	v_fma_f64 v[84:85], v[204:205], v[208:209], -v[84:85]
	v_mul_f64 v[204:205], v[204:205], v[86:87]
	v_fmac_f64_e32 v[204:205], v[206:207], v[208:209]
	v_add_f64 v[34:35], v[34:35], -v[204:205]
	ds_read2_b64 v[204:207], v202 offset0:98 offset1:99
	v_add_f64 v[32:33], v[32:33], -v[84:85]
	s_waitcnt lgkmcnt(0)
	v_mul_f64 v[84:85], v[206:207], v[86:87]
	v_fma_f64 v[84:85], v[204:205], v[208:209], -v[84:85]
	v_mul_f64 v[204:205], v[204:205], v[86:87]
	v_fmac_f64_e32 v[204:205], v[206:207], v[208:209]
	v_add_f64 v[30:31], v[30:31], -v[204:205]
	ds_read2_b64 v[204:207], v202 offset0:100 offset1:101
	v_add_f64 v[28:29], v[28:29], -v[84:85]
	s_waitcnt lgkmcnt(0)
	v_mul_f64 v[84:85], v[206:207], v[86:87]
	v_fma_f64 v[84:85], v[204:205], v[208:209], -v[84:85]
	v_mul_f64 v[204:205], v[204:205], v[86:87]
	v_fmac_f64_e32 v[204:205], v[206:207], v[208:209]
	v_add_f64 v[26:27], v[26:27], -v[204:205]
	ds_read2_b64 v[204:207], v202 offset0:102 offset1:103
	v_add_f64 v[24:25], v[24:25], -v[84:85]
	s_waitcnt lgkmcnt(0)
	v_mul_f64 v[84:85], v[206:207], v[86:87]
	v_fma_f64 v[84:85], v[204:205], v[208:209], -v[84:85]
	v_mul_f64 v[204:205], v[204:205], v[86:87]
	v_fmac_f64_e32 v[204:205], v[206:207], v[208:209]
	v_add_f64 v[22:23], v[22:23], -v[204:205]
	ds_read2_b64 v[204:207], v202 offset0:104 offset1:105
	v_add_f64 v[20:21], v[20:21], -v[84:85]
	s_waitcnt lgkmcnt(0)
	v_mul_f64 v[84:85], v[206:207], v[86:87]
	v_fma_f64 v[84:85], v[204:205], v[208:209], -v[84:85]
	v_mul_f64 v[204:205], v[204:205], v[86:87]
	v_fmac_f64_e32 v[204:205], v[206:207], v[208:209]
	v_add_f64 v[18:19], v[18:19], -v[204:205]
	ds_read2_b64 v[204:207], v202 offset0:106 offset1:107
	v_add_f64 v[16:17], v[16:17], -v[84:85]
	s_waitcnt lgkmcnt(0)
	v_mul_f64 v[84:85], v[206:207], v[86:87]
	v_fma_f64 v[84:85], v[204:205], v[208:209], -v[84:85]
	v_mul_f64 v[204:205], v[204:205], v[86:87]
	v_fmac_f64_e32 v[204:205], v[206:207], v[208:209]
	v_add_f64 v[14:15], v[14:15], -v[204:205]
	ds_read2_b64 v[204:207], v202 offset0:108 offset1:109
	v_add_f64 v[12:13], v[12:13], -v[84:85]
	s_waitcnt lgkmcnt(0)
	v_mul_f64 v[84:85], v[206:207], v[86:87]
	v_fma_f64 v[84:85], v[204:205], v[208:209], -v[84:85]
	v_mul_f64 v[204:205], v[204:205], v[86:87]
	v_fmac_f64_e32 v[204:205], v[206:207], v[208:209]
	v_add_f64 v[10:11], v[10:11], -v[204:205]
	ds_read2_b64 v[204:207], v202 offset0:110 offset1:111
	v_add_f64 v[8:9], v[8:9], -v[84:85]
	s_waitcnt lgkmcnt(0)
	v_mul_f64 v[84:85], v[206:207], v[86:87]
	v_fma_f64 v[84:85], v[204:205], v[208:209], -v[84:85]
	v_mul_f64 v[204:205], v[204:205], v[86:87]
	v_fmac_f64_e32 v[204:205], v[206:207], v[208:209]
	v_add_f64 v[6:7], v[6:7], -v[204:205]
	ds_read2_b64 v[204:207], v202 offset0:112 offset1:113
	v_add_f64 v[4:5], v[4:5], -v[84:85]
	s_waitcnt lgkmcnt(0)
	v_mul_f64 v[84:85], v[206:207], v[86:87]
	v_fma_f64 v[84:85], v[204:205], v[208:209], -v[84:85]
	v_mul_f64 v[204:205], v[204:205], v[86:87]
	v_fmac_f64_e32 v[204:205], v[206:207], v[208:209]
	v_add_f64 v[2:3], v[2:3], -v[204:205]
	ds_read2_b64 v[204:207], v202 offset0:114 offset1:115
	v_add_f64 v[0:1], v[0:1], -v[84:85]
	s_waitcnt lgkmcnt(0)
	v_mul_f64 v[84:85], v[206:207], v[86:87]
	v_fma_f64 v[84:85], v[204:205], v[208:209], -v[84:85]
	v_mul_f64 v[204:205], v[204:205], v[86:87]
	v_fmac_f64_e32 v[204:205], v[206:207], v[208:209]
	v_add_f64 v[228:229], v[228:229], -v[84:85]
	v_add_f64 v[230:231], v[230:231], -v[204:205]
	v_mov_b64_e32 v[84:85], v[208:209]
.LBB115_325:
	s_or_b64 exec, exec, s[2:3]
	v_cmp_eq_u32_e32 vcc, 36, v200
	s_waitcnt vmcnt(63) expcnt(7) lgkmcnt(15)
	s_barrier
	s_and_saveexec_b64 s[4:5], vcc
	s_cbranch_execz .LBB115_332
; %bb.326:
	ds_write2_b64 v201, v[80:81], v[82:83] offset1:1
	ds_write2_b64 v202, v[76:77], v[78:79] offset0:74 offset1:75
	ds_write2_b64 v202, v[72:73], v[74:75] offset0:76 offset1:77
	;; [unrolled: 1-line block ×7, first 2 shown]
	s_waitcnt vmcnt(62)
	ds_write2_b64 v202, v[48:49], v[50:51] offset0:88 offset1:89
	s_waitcnt vmcnt(61)
	ds_write2_b64 v202, v[44:45], v[46:47] offset0:90 offset1:91
	;; [unrolled: 2-line block ×7, first 2 shown]
	ds_write2_b64 v202, v[20:21], v[22:23] offset0:102 offset1:103
	ds_write2_b64 v202, v[16:17], v[18:19] offset0:104 offset1:105
	;; [unrolled: 1-line block ×5, first 2 shown]
	s_waitcnt vmcnt(55)
	ds_write2_b64 v202, v[0:1], v[2:3] offset0:112 offset1:113
	s_waitcnt vmcnt(52)
	ds_write2_b64 v202, v[228:229], v[230:231] offset0:114 offset1:115
	ds_read2_b64 v[208:211], v201 offset1:1
	s_waitcnt lgkmcnt(0)
	v_cmp_neq_f64_e32 vcc, 0, v[208:209]
	v_cmp_neq_f64_e64 s[2:3], 0, v[210:211]
	s_or_b64 s[2:3], vcc, s[2:3]
	s_and_b64 exec, exec, s[2:3]
	s_cbranch_execz .LBB115_332
; %bb.327:
	v_cmp_ngt_f64_e64 s[2:3], |v[208:209]|, |v[210:211]|
                                        ; implicit-def: $vgpr204_vgpr205
	s_and_saveexec_b64 s[10:11], s[2:3]
	s_xor_b64 s[2:3], exec, s[10:11]
                                        ; implicit-def: $vgpr206_vgpr207
	s_cbranch_execz .LBB115_329
; %bb.328:
	v_div_scale_f64 v[204:205], s[10:11], v[210:211], v[210:211], v[208:209]
	v_rcp_f64_e32 v[206:207], v[204:205]
	v_div_scale_f64 v[212:213], vcc, v[208:209], v[210:211], v[208:209]
	v_fma_f64 v[214:215], -v[204:205], v[206:207], 1.0
	v_fmac_f64_e32 v[206:207], v[206:207], v[214:215]
	v_fma_f64 v[214:215], -v[204:205], v[206:207], 1.0
	v_fmac_f64_e32 v[206:207], v[206:207], v[214:215]
	v_mul_f64 v[214:215], v[212:213], v[206:207]
	v_fma_f64 v[204:205], -v[204:205], v[214:215], v[212:213]
	v_div_fmas_f64 v[204:205], v[204:205], v[206:207], v[214:215]
	v_div_fixup_f64 v[204:205], v[204:205], v[210:211], v[208:209]
	v_fmac_f64_e32 v[210:211], v[208:209], v[204:205]
	v_div_scale_f64 v[206:207], s[10:11], v[210:211], v[210:211], 1.0
	v_rcp_f64_e32 v[208:209], v[206:207]
	s_nop 0
	v_fma_f64 v[212:213], -v[206:207], v[208:209], 1.0
	v_fmac_f64_e32 v[208:209], v[208:209], v[212:213]
	v_fma_f64 v[212:213], -v[206:207], v[208:209], 1.0
	v_fmac_f64_e32 v[208:209], v[208:209], v[212:213]
	v_div_scale_f64 v[212:213], vcc, 1.0, v[210:211], 1.0
	v_mul_f64 v[214:215], v[212:213], v[208:209]
	v_fma_f64 v[206:207], -v[206:207], v[214:215], v[212:213]
	s_nop 1
	v_div_fmas_f64 v[206:207], v[206:207], v[208:209], v[214:215]
	v_div_fixup_f64 v[206:207], v[206:207], v[210:211], 1.0
	v_mul_f64 v[204:205], v[204:205], v[206:207]
	v_xor_b32_e32 v207, 0x80000000, v207
                                        ; implicit-def: $vgpr208_vgpr209
.LBB115_329:
	s_andn2_saveexec_b64 s[2:3], s[2:3]
	s_cbranch_execz .LBB115_331
; %bb.330:
	v_div_scale_f64 v[204:205], s[10:11], v[208:209], v[208:209], v[210:211]
	v_rcp_f64_e32 v[206:207], v[204:205]
	v_div_scale_f64 v[212:213], vcc, v[210:211], v[208:209], v[210:211]
	v_fma_f64 v[214:215], -v[204:205], v[206:207], 1.0
	v_fmac_f64_e32 v[206:207], v[206:207], v[214:215]
	v_fma_f64 v[214:215], -v[204:205], v[206:207], 1.0
	v_fmac_f64_e32 v[206:207], v[206:207], v[214:215]
	v_mul_f64 v[214:215], v[212:213], v[206:207]
	v_fma_f64 v[204:205], -v[204:205], v[214:215], v[212:213]
	v_div_fmas_f64 v[204:205], v[204:205], v[206:207], v[214:215]
	v_div_fixup_f64 v[206:207], v[204:205], v[208:209], v[210:211]
	v_fmac_f64_e32 v[208:209], v[210:211], v[206:207]
	v_div_scale_f64 v[204:205], s[10:11], v[208:209], v[208:209], 1.0
	v_rcp_f64_e32 v[210:211], v[204:205]
	s_nop 0
	v_fma_f64 v[212:213], -v[204:205], v[210:211], 1.0
	v_fmac_f64_e32 v[210:211], v[210:211], v[212:213]
	v_fma_f64 v[212:213], -v[204:205], v[210:211], 1.0
	v_fmac_f64_e32 v[210:211], v[210:211], v[212:213]
	v_div_scale_f64 v[212:213], vcc, 1.0, v[208:209], 1.0
	v_mul_f64 v[214:215], v[212:213], v[210:211]
	v_fma_f64 v[204:205], -v[204:205], v[214:215], v[212:213]
	s_nop 1
	v_div_fmas_f64 v[204:205], v[204:205], v[210:211], v[214:215]
	v_div_fixup_f64 v[204:205], v[204:205], v[208:209], 1.0
	v_mul_f64 v[206:207], v[206:207], -v[204:205]
.LBB115_331:
	s_or_b64 exec, exec, s[2:3]
	ds_write2_b64 v201, v[204:205], v[206:207] offset1:1
.LBB115_332:
	s_or_b64 exec, exec, s[4:5]
	s_waitcnt lgkmcnt(0)
	s_barrier
	ds_read2_b64 v[192:195], v201 offset1:1
	v_cmp_lt_u32_e32 vcc, 36, v200
	s_waitcnt lgkmcnt(0)
	scratch_store_dwordx4 off, v[192:195], off offset:1168 ; 16-byte Folded Spill
	s_and_saveexec_b64 s[2:3], vcc
	s_cbranch_execz .LBB115_334
; %bb.333:
	scratch_load_dwordx4 v[192:195], off, off offset:1168 ; 16-byte Folded Reload
	s_waitcnt vmcnt(0)
	v_mul_f64 v[204:205], v[194:195], v[82:83]
	v_fma_f64 v[208:209], v[192:193], v[80:81], -v[204:205]
	ds_read2_b64 v[204:207], v202 offset0:74 offset1:75
	v_mul_f64 v[82:83], v[192:193], v[82:83]
	v_fmac_f64_e32 v[82:83], v[194:195], v[80:81]
	s_waitcnt lgkmcnt(0)
	v_mul_f64 v[80:81], v[206:207], v[82:83]
	v_fma_f64 v[80:81], v[204:205], v[208:209], -v[80:81]
	v_mul_f64 v[204:205], v[204:205], v[82:83]
	v_fmac_f64_e32 v[204:205], v[206:207], v[208:209]
	v_add_f64 v[78:79], v[78:79], -v[204:205]
	ds_read2_b64 v[204:207], v202 offset0:76 offset1:77
	v_add_f64 v[76:77], v[76:77], -v[80:81]
	s_waitcnt lgkmcnt(0)
	v_mul_f64 v[80:81], v[206:207], v[82:83]
	v_fma_f64 v[80:81], v[204:205], v[208:209], -v[80:81]
	v_mul_f64 v[204:205], v[204:205], v[82:83]
	v_fmac_f64_e32 v[204:205], v[206:207], v[208:209]
	v_add_f64 v[74:75], v[74:75], -v[204:205]
	ds_read2_b64 v[204:207], v202 offset0:78 offset1:79
	v_add_f64 v[72:73], v[72:73], -v[80:81]
	;; [unrolled: 8-line block ×20, first 2 shown]
	s_waitcnt lgkmcnt(0)
	v_mul_f64 v[80:81], v[206:207], v[82:83]
	v_fma_f64 v[80:81], v[204:205], v[208:209], -v[80:81]
	v_mul_f64 v[204:205], v[204:205], v[82:83]
	v_fmac_f64_e32 v[204:205], v[206:207], v[208:209]
	v_add_f64 v[228:229], v[228:229], -v[80:81]
	v_add_f64 v[230:231], v[230:231], -v[204:205]
	v_mov_b64_e32 v[80:81], v[208:209]
.LBB115_334:
	s_or_b64 exec, exec, s[2:3]
	v_cmp_eq_u32_e32 vcc, 37, v200
	s_waitcnt vmcnt(63) expcnt(7) lgkmcnt(15)
	s_barrier
	s_and_saveexec_b64 s[4:5], vcc
	s_cbranch_execz .LBB115_341
; %bb.335:
	ds_write2_b64 v201, v[76:77], v[78:79] offset1:1
	ds_write2_b64 v202, v[72:73], v[74:75] offset0:76 offset1:77
	ds_write2_b64 v202, v[68:69], v[70:71] offset0:78 offset1:79
	;; [unrolled: 1-line block ×7, first 2 shown]
	s_waitcnt vmcnt(62)
	ds_write2_b64 v202, v[44:45], v[46:47] offset0:90 offset1:91
	s_waitcnt vmcnt(61)
	ds_write2_b64 v202, v[40:41], v[42:43] offset0:92 offset1:93
	;; [unrolled: 2-line block ×6, first 2 shown]
	ds_write2_b64 v202, v[20:21], v[22:23] offset0:102 offset1:103
	ds_write2_b64 v202, v[16:17], v[18:19] offset0:104 offset1:105
	;; [unrolled: 1-line block ×5, first 2 shown]
	s_waitcnt vmcnt(56)
	ds_write2_b64 v202, v[0:1], v[2:3] offset0:112 offset1:113
	s_waitcnt vmcnt(53)
	ds_write2_b64 v202, v[228:229], v[230:231] offset0:114 offset1:115
	ds_read2_b64 v[208:211], v201 offset1:1
	s_waitcnt lgkmcnt(0)
	v_cmp_neq_f64_e32 vcc, 0, v[208:209]
	v_cmp_neq_f64_e64 s[2:3], 0, v[210:211]
	s_or_b64 s[2:3], vcc, s[2:3]
	s_and_b64 exec, exec, s[2:3]
	s_cbranch_execz .LBB115_341
; %bb.336:
	v_cmp_ngt_f64_e64 s[2:3], |v[208:209]|, |v[210:211]|
                                        ; implicit-def: $vgpr204_vgpr205
	s_and_saveexec_b64 s[10:11], s[2:3]
	s_xor_b64 s[2:3], exec, s[10:11]
                                        ; implicit-def: $vgpr206_vgpr207
	s_cbranch_execz .LBB115_338
; %bb.337:
	v_div_scale_f64 v[204:205], s[10:11], v[210:211], v[210:211], v[208:209]
	v_rcp_f64_e32 v[206:207], v[204:205]
	v_div_scale_f64 v[212:213], vcc, v[208:209], v[210:211], v[208:209]
	v_fma_f64 v[214:215], -v[204:205], v[206:207], 1.0
	v_fmac_f64_e32 v[206:207], v[206:207], v[214:215]
	v_fma_f64 v[214:215], -v[204:205], v[206:207], 1.0
	v_fmac_f64_e32 v[206:207], v[206:207], v[214:215]
	v_mul_f64 v[214:215], v[212:213], v[206:207]
	v_fma_f64 v[204:205], -v[204:205], v[214:215], v[212:213]
	v_div_fmas_f64 v[204:205], v[204:205], v[206:207], v[214:215]
	v_div_fixup_f64 v[204:205], v[204:205], v[210:211], v[208:209]
	v_fmac_f64_e32 v[210:211], v[208:209], v[204:205]
	v_div_scale_f64 v[206:207], s[10:11], v[210:211], v[210:211], 1.0
	v_rcp_f64_e32 v[208:209], v[206:207]
	s_nop 0
	v_fma_f64 v[212:213], -v[206:207], v[208:209], 1.0
	v_fmac_f64_e32 v[208:209], v[208:209], v[212:213]
	v_fma_f64 v[212:213], -v[206:207], v[208:209], 1.0
	v_fmac_f64_e32 v[208:209], v[208:209], v[212:213]
	v_div_scale_f64 v[212:213], vcc, 1.0, v[210:211], 1.0
	v_mul_f64 v[214:215], v[212:213], v[208:209]
	v_fma_f64 v[206:207], -v[206:207], v[214:215], v[212:213]
	s_nop 1
	v_div_fmas_f64 v[206:207], v[206:207], v[208:209], v[214:215]
	v_div_fixup_f64 v[206:207], v[206:207], v[210:211], 1.0
	v_mul_f64 v[204:205], v[204:205], v[206:207]
	v_xor_b32_e32 v207, 0x80000000, v207
                                        ; implicit-def: $vgpr208_vgpr209
.LBB115_338:
	s_andn2_saveexec_b64 s[2:3], s[2:3]
	s_cbranch_execz .LBB115_340
; %bb.339:
	v_div_scale_f64 v[204:205], s[10:11], v[208:209], v[208:209], v[210:211]
	v_rcp_f64_e32 v[206:207], v[204:205]
	v_div_scale_f64 v[212:213], vcc, v[210:211], v[208:209], v[210:211]
	v_fma_f64 v[214:215], -v[204:205], v[206:207], 1.0
	v_fmac_f64_e32 v[206:207], v[206:207], v[214:215]
	v_fma_f64 v[214:215], -v[204:205], v[206:207], 1.0
	v_fmac_f64_e32 v[206:207], v[206:207], v[214:215]
	v_mul_f64 v[214:215], v[212:213], v[206:207]
	v_fma_f64 v[204:205], -v[204:205], v[214:215], v[212:213]
	v_div_fmas_f64 v[204:205], v[204:205], v[206:207], v[214:215]
	v_div_fixup_f64 v[206:207], v[204:205], v[208:209], v[210:211]
	v_fmac_f64_e32 v[208:209], v[210:211], v[206:207]
	v_div_scale_f64 v[204:205], s[10:11], v[208:209], v[208:209], 1.0
	v_rcp_f64_e32 v[210:211], v[204:205]
	s_nop 0
	v_fma_f64 v[212:213], -v[204:205], v[210:211], 1.0
	v_fmac_f64_e32 v[210:211], v[210:211], v[212:213]
	v_fma_f64 v[212:213], -v[204:205], v[210:211], 1.0
	v_fmac_f64_e32 v[210:211], v[210:211], v[212:213]
	v_div_scale_f64 v[212:213], vcc, 1.0, v[208:209], 1.0
	v_mul_f64 v[214:215], v[212:213], v[210:211]
	v_fma_f64 v[204:205], -v[204:205], v[214:215], v[212:213]
	s_nop 1
	v_div_fmas_f64 v[204:205], v[204:205], v[210:211], v[214:215]
	v_div_fixup_f64 v[204:205], v[204:205], v[208:209], 1.0
	v_mul_f64 v[206:207], v[206:207], -v[204:205]
.LBB115_340:
	s_or_b64 exec, exec, s[2:3]
	ds_write2_b64 v201, v[204:205], v[206:207] offset1:1
.LBB115_341:
	s_or_b64 exec, exec, s[4:5]
	s_waitcnt lgkmcnt(0)
	s_barrier
	ds_read2_b64 v[192:195], v201 offset1:1
	v_cmp_lt_u32_e32 vcc, 37, v200
	s_waitcnt lgkmcnt(0)
	scratch_store_dwordx4 off, v[192:195], off offset:1184 ; 16-byte Folded Spill
	s_and_saveexec_b64 s[2:3], vcc
	s_cbranch_execz .LBB115_343
; %bb.342:
	scratch_load_dwordx4 v[192:195], off, off offset:1184 ; 16-byte Folded Reload
	s_waitcnt vmcnt(0)
	v_mul_f64 v[204:205], v[194:195], v[78:79]
	v_fma_f64 v[208:209], v[192:193], v[76:77], -v[204:205]
	ds_read2_b64 v[204:207], v202 offset0:76 offset1:77
	v_mul_f64 v[78:79], v[192:193], v[78:79]
	v_fmac_f64_e32 v[78:79], v[194:195], v[76:77]
	s_waitcnt lgkmcnt(0)
	v_mul_f64 v[76:77], v[206:207], v[78:79]
	v_fma_f64 v[76:77], v[204:205], v[208:209], -v[76:77]
	v_mul_f64 v[204:205], v[204:205], v[78:79]
	v_fmac_f64_e32 v[204:205], v[206:207], v[208:209]
	v_add_f64 v[74:75], v[74:75], -v[204:205]
	ds_read2_b64 v[204:207], v202 offset0:78 offset1:79
	v_add_f64 v[72:73], v[72:73], -v[76:77]
	s_waitcnt lgkmcnt(0)
	v_mul_f64 v[76:77], v[206:207], v[78:79]
	v_fma_f64 v[76:77], v[204:205], v[208:209], -v[76:77]
	v_mul_f64 v[204:205], v[204:205], v[78:79]
	v_fmac_f64_e32 v[204:205], v[206:207], v[208:209]
	v_add_f64 v[70:71], v[70:71], -v[204:205]
	ds_read2_b64 v[204:207], v202 offset0:80 offset1:81
	v_add_f64 v[68:69], v[68:69], -v[76:77]
	;; [unrolled: 8-line block ×19, first 2 shown]
	s_waitcnt lgkmcnt(0)
	v_mul_f64 v[76:77], v[206:207], v[78:79]
	v_fma_f64 v[76:77], v[204:205], v[208:209], -v[76:77]
	v_mul_f64 v[204:205], v[204:205], v[78:79]
	v_fmac_f64_e32 v[204:205], v[206:207], v[208:209]
	v_add_f64 v[228:229], v[228:229], -v[76:77]
	v_add_f64 v[230:231], v[230:231], -v[204:205]
	v_mov_b64_e32 v[76:77], v[208:209]
.LBB115_343:
	s_or_b64 exec, exec, s[2:3]
	v_cmp_eq_u32_e32 vcc, 38, v200
	s_waitcnt vmcnt(63) expcnt(7) lgkmcnt(15)
	s_barrier
	s_and_saveexec_b64 s[4:5], vcc
	s_cbranch_execz .LBB115_350
; %bb.344:
	ds_write2_b64 v201, v[72:73], v[74:75] offset1:1
	ds_write2_b64 v202, v[68:69], v[70:71] offset0:78 offset1:79
	ds_write2_b64 v202, v[64:65], v[66:67] offset0:80 offset1:81
	;; [unrolled: 1-line block ×7, first 2 shown]
	s_waitcnt vmcnt(62)
	ds_write2_b64 v202, v[40:41], v[42:43] offset0:92 offset1:93
	s_waitcnt vmcnt(61)
	ds_write2_b64 v202, v[36:37], v[38:39] offset0:94 offset1:95
	;; [unrolled: 2-line block ×5, first 2 shown]
	ds_write2_b64 v202, v[20:21], v[22:23] offset0:102 offset1:103
	ds_write2_b64 v202, v[16:17], v[18:19] offset0:104 offset1:105
	;; [unrolled: 1-line block ×5, first 2 shown]
	s_waitcnt vmcnt(57)
	ds_write2_b64 v202, v[0:1], v[2:3] offset0:112 offset1:113
	s_waitcnt vmcnt(54)
	ds_write2_b64 v202, v[228:229], v[230:231] offset0:114 offset1:115
	ds_read2_b64 v[208:211], v201 offset1:1
	s_waitcnt lgkmcnt(0)
	v_cmp_neq_f64_e32 vcc, 0, v[208:209]
	v_cmp_neq_f64_e64 s[2:3], 0, v[210:211]
	s_or_b64 s[2:3], vcc, s[2:3]
	s_and_b64 exec, exec, s[2:3]
	s_cbranch_execz .LBB115_350
; %bb.345:
	v_cmp_ngt_f64_e64 s[2:3], |v[208:209]|, |v[210:211]|
                                        ; implicit-def: $vgpr204_vgpr205
	s_and_saveexec_b64 s[10:11], s[2:3]
	s_xor_b64 s[2:3], exec, s[10:11]
                                        ; implicit-def: $vgpr206_vgpr207
	s_cbranch_execz .LBB115_347
; %bb.346:
	v_div_scale_f64 v[204:205], s[10:11], v[210:211], v[210:211], v[208:209]
	v_rcp_f64_e32 v[206:207], v[204:205]
	v_div_scale_f64 v[212:213], vcc, v[208:209], v[210:211], v[208:209]
	v_fma_f64 v[214:215], -v[204:205], v[206:207], 1.0
	v_fmac_f64_e32 v[206:207], v[206:207], v[214:215]
	v_fma_f64 v[214:215], -v[204:205], v[206:207], 1.0
	v_fmac_f64_e32 v[206:207], v[206:207], v[214:215]
	v_mul_f64 v[214:215], v[212:213], v[206:207]
	v_fma_f64 v[204:205], -v[204:205], v[214:215], v[212:213]
	v_div_fmas_f64 v[204:205], v[204:205], v[206:207], v[214:215]
	v_div_fixup_f64 v[204:205], v[204:205], v[210:211], v[208:209]
	v_fmac_f64_e32 v[210:211], v[208:209], v[204:205]
	v_div_scale_f64 v[206:207], s[10:11], v[210:211], v[210:211], 1.0
	v_rcp_f64_e32 v[208:209], v[206:207]
	s_nop 0
	v_fma_f64 v[212:213], -v[206:207], v[208:209], 1.0
	v_fmac_f64_e32 v[208:209], v[208:209], v[212:213]
	v_fma_f64 v[212:213], -v[206:207], v[208:209], 1.0
	v_fmac_f64_e32 v[208:209], v[208:209], v[212:213]
	v_div_scale_f64 v[212:213], vcc, 1.0, v[210:211], 1.0
	v_mul_f64 v[214:215], v[212:213], v[208:209]
	v_fma_f64 v[206:207], -v[206:207], v[214:215], v[212:213]
	s_nop 1
	v_div_fmas_f64 v[206:207], v[206:207], v[208:209], v[214:215]
	v_div_fixup_f64 v[206:207], v[206:207], v[210:211], 1.0
	v_mul_f64 v[204:205], v[204:205], v[206:207]
	v_xor_b32_e32 v207, 0x80000000, v207
                                        ; implicit-def: $vgpr208_vgpr209
.LBB115_347:
	s_andn2_saveexec_b64 s[2:3], s[2:3]
	s_cbranch_execz .LBB115_349
; %bb.348:
	v_div_scale_f64 v[204:205], s[10:11], v[208:209], v[208:209], v[210:211]
	v_rcp_f64_e32 v[206:207], v[204:205]
	v_div_scale_f64 v[212:213], vcc, v[210:211], v[208:209], v[210:211]
	v_fma_f64 v[214:215], -v[204:205], v[206:207], 1.0
	v_fmac_f64_e32 v[206:207], v[206:207], v[214:215]
	v_fma_f64 v[214:215], -v[204:205], v[206:207], 1.0
	v_fmac_f64_e32 v[206:207], v[206:207], v[214:215]
	v_mul_f64 v[214:215], v[212:213], v[206:207]
	v_fma_f64 v[204:205], -v[204:205], v[214:215], v[212:213]
	v_div_fmas_f64 v[204:205], v[204:205], v[206:207], v[214:215]
	v_div_fixup_f64 v[206:207], v[204:205], v[208:209], v[210:211]
	v_fmac_f64_e32 v[208:209], v[210:211], v[206:207]
	v_div_scale_f64 v[204:205], s[10:11], v[208:209], v[208:209], 1.0
	v_rcp_f64_e32 v[210:211], v[204:205]
	s_nop 0
	v_fma_f64 v[212:213], -v[204:205], v[210:211], 1.0
	v_fmac_f64_e32 v[210:211], v[210:211], v[212:213]
	v_fma_f64 v[212:213], -v[204:205], v[210:211], 1.0
	v_fmac_f64_e32 v[210:211], v[210:211], v[212:213]
	v_div_scale_f64 v[212:213], vcc, 1.0, v[208:209], 1.0
	v_mul_f64 v[214:215], v[212:213], v[210:211]
	v_fma_f64 v[204:205], -v[204:205], v[214:215], v[212:213]
	s_nop 1
	v_div_fmas_f64 v[204:205], v[204:205], v[210:211], v[214:215]
	v_div_fixup_f64 v[204:205], v[204:205], v[208:209], 1.0
	v_mul_f64 v[206:207], v[206:207], -v[204:205]
.LBB115_349:
	s_or_b64 exec, exec, s[2:3]
	ds_write2_b64 v201, v[204:205], v[206:207] offset1:1
.LBB115_350:
	s_or_b64 exec, exec, s[4:5]
	s_waitcnt lgkmcnt(0)
	s_barrier
	ds_read2_b64 v[192:195], v201 offset1:1
	v_cmp_lt_u32_e32 vcc, 38, v200
	s_waitcnt lgkmcnt(0)
	scratch_store_dwordx4 off, v[192:195], off offset:1200 ; 16-byte Folded Spill
	s_and_saveexec_b64 s[2:3], vcc
	s_cbranch_execz .LBB115_352
; %bb.351:
	scratch_load_dwordx4 v[192:195], off, off offset:1200 ; 16-byte Folded Reload
	s_waitcnt vmcnt(0)
	v_mul_f64 v[204:205], v[194:195], v[74:75]
	v_fma_f64 v[208:209], v[192:193], v[72:73], -v[204:205]
	ds_read2_b64 v[204:207], v202 offset0:78 offset1:79
	v_mul_f64 v[74:75], v[192:193], v[74:75]
	v_fmac_f64_e32 v[74:75], v[194:195], v[72:73]
	s_waitcnt lgkmcnt(0)
	v_mul_f64 v[72:73], v[206:207], v[74:75]
	v_fma_f64 v[72:73], v[204:205], v[208:209], -v[72:73]
	v_mul_f64 v[204:205], v[204:205], v[74:75]
	v_fmac_f64_e32 v[204:205], v[206:207], v[208:209]
	v_add_f64 v[70:71], v[70:71], -v[204:205]
	ds_read2_b64 v[204:207], v202 offset0:80 offset1:81
	v_add_f64 v[68:69], v[68:69], -v[72:73]
	s_waitcnt lgkmcnt(0)
	v_mul_f64 v[72:73], v[206:207], v[74:75]
	v_fma_f64 v[72:73], v[204:205], v[208:209], -v[72:73]
	v_mul_f64 v[204:205], v[204:205], v[74:75]
	v_fmac_f64_e32 v[204:205], v[206:207], v[208:209]
	v_add_f64 v[66:67], v[66:67], -v[204:205]
	ds_read2_b64 v[204:207], v202 offset0:82 offset1:83
	v_add_f64 v[64:65], v[64:65], -v[72:73]
	;; [unrolled: 8-line block ×18, first 2 shown]
	s_waitcnt lgkmcnt(0)
	v_mul_f64 v[72:73], v[206:207], v[74:75]
	v_fma_f64 v[72:73], v[204:205], v[208:209], -v[72:73]
	v_mul_f64 v[204:205], v[204:205], v[74:75]
	v_fmac_f64_e32 v[204:205], v[206:207], v[208:209]
	v_add_f64 v[228:229], v[228:229], -v[72:73]
	v_add_f64 v[230:231], v[230:231], -v[204:205]
	v_mov_b64_e32 v[72:73], v[208:209]
.LBB115_352:
	s_or_b64 exec, exec, s[2:3]
	v_cmp_eq_u32_e32 vcc, 39, v200
	s_waitcnt vmcnt(63) expcnt(7) lgkmcnt(15)
	s_barrier
	s_and_saveexec_b64 s[4:5], vcc
	s_cbranch_execz .LBB115_359
; %bb.353:
	ds_write2_b64 v201, v[68:69], v[70:71] offset1:1
	ds_write2_b64 v202, v[64:65], v[66:67] offset0:80 offset1:81
	ds_write2_b64 v202, v[60:61], v[62:63] offset0:82 offset1:83
	;; [unrolled: 1-line block ×7, first 2 shown]
	s_waitcnt vmcnt(62)
	ds_write2_b64 v202, v[36:37], v[38:39] offset0:94 offset1:95
	s_waitcnt vmcnt(61)
	ds_write2_b64 v202, v[32:33], v[34:35] offset0:96 offset1:97
	;; [unrolled: 2-line block ×4, first 2 shown]
	ds_write2_b64 v202, v[20:21], v[22:23] offset0:102 offset1:103
	ds_write2_b64 v202, v[16:17], v[18:19] offset0:104 offset1:105
	;; [unrolled: 1-line block ×5, first 2 shown]
	s_waitcnt vmcnt(58)
	ds_write2_b64 v202, v[0:1], v[2:3] offset0:112 offset1:113
	s_waitcnt vmcnt(55)
	ds_write2_b64 v202, v[228:229], v[230:231] offset0:114 offset1:115
	ds_read2_b64 v[208:211], v201 offset1:1
	s_waitcnt lgkmcnt(0)
	v_cmp_neq_f64_e32 vcc, 0, v[208:209]
	v_cmp_neq_f64_e64 s[2:3], 0, v[210:211]
	s_or_b64 s[2:3], vcc, s[2:3]
	s_and_b64 exec, exec, s[2:3]
	s_cbranch_execz .LBB115_359
; %bb.354:
	v_cmp_ngt_f64_e64 s[2:3], |v[208:209]|, |v[210:211]|
                                        ; implicit-def: $vgpr204_vgpr205
	s_and_saveexec_b64 s[10:11], s[2:3]
	s_xor_b64 s[2:3], exec, s[10:11]
                                        ; implicit-def: $vgpr206_vgpr207
	s_cbranch_execz .LBB115_356
; %bb.355:
	v_div_scale_f64 v[204:205], s[10:11], v[210:211], v[210:211], v[208:209]
	v_rcp_f64_e32 v[206:207], v[204:205]
	v_div_scale_f64 v[212:213], vcc, v[208:209], v[210:211], v[208:209]
	v_fma_f64 v[214:215], -v[204:205], v[206:207], 1.0
	v_fmac_f64_e32 v[206:207], v[206:207], v[214:215]
	v_fma_f64 v[214:215], -v[204:205], v[206:207], 1.0
	v_fmac_f64_e32 v[206:207], v[206:207], v[214:215]
	v_mul_f64 v[214:215], v[212:213], v[206:207]
	v_fma_f64 v[204:205], -v[204:205], v[214:215], v[212:213]
	v_div_fmas_f64 v[204:205], v[204:205], v[206:207], v[214:215]
	v_div_fixup_f64 v[204:205], v[204:205], v[210:211], v[208:209]
	v_fmac_f64_e32 v[210:211], v[208:209], v[204:205]
	v_div_scale_f64 v[206:207], s[10:11], v[210:211], v[210:211], 1.0
	v_rcp_f64_e32 v[208:209], v[206:207]
	s_nop 0
	v_fma_f64 v[212:213], -v[206:207], v[208:209], 1.0
	v_fmac_f64_e32 v[208:209], v[208:209], v[212:213]
	v_fma_f64 v[212:213], -v[206:207], v[208:209], 1.0
	v_fmac_f64_e32 v[208:209], v[208:209], v[212:213]
	v_div_scale_f64 v[212:213], vcc, 1.0, v[210:211], 1.0
	v_mul_f64 v[214:215], v[212:213], v[208:209]
	v_fma_f64 v[206:207], -v[206:207], v[214:215], v[212:213]
	s_nop 1
	v_div_fmas_f64 v[206:207], v[206:207], v[208:209], v[214:215]
	v_div_fixup_f64 v[206:207], v[206:207], v[210:211], 1.0
	v_mul_f64 v[204:205], v[204:205], v[206:207]
	v_xor_b32_e32 v207, 0x80000000, v207
                                        ; implicit-def: $vgpr208_vgpr209
.LBB115_356:
	s_andn2_saveexec_b64 s[2:3], s[2:3]
	s_cbranch_execz .LBB115_358
; %bb.357:
	v_div_scale_f64 v[204:205], s[10:11], v[208:209], v[208:209], v[210:211]
	v_rcp_f64_e32 v[206:207], v[204:205]
	v_div_scale_f64 v[212:213], vcc, v[210:211], v[208:209], v[210:211]
	v_fma_f64 v[214:215], -v[204:205], v[206:207], 1.0
	v_fmac_f64_e32 v[206:207], v[206:207], v[214:215]
	v_fma_f64 v[214:215], -v[204:205], v[206:207], 1.0
	v_fmac_f64_e32 v[206:207], v[206:207], v[214:215]
	v_mul_f64 v[214:215], v[212:213], v[206:207]
	v_fma_f64 v[204:205], -v[204:205], v[214:215], v[212:213]
	v_div_fmas_f64 v[204:205], v[204:205], v[206:207], v[214:215]
	v_div_fixup_f64 v[206:207], v[204:205], v[208:209], v[210:211]
	v_fmac_f64_e32 v[208:209], v[210:211], v[206:207]
	v_div_scale_f64 v[204:205], s[10:11], v[208:209], v[208:209], 1.0
	v_rcp_f64_e32 v[210:211], v[204:205]
	s_nop 0
	v_fma_f64 v[212:213], -v[204:205], v[210:211], 1.0
	v_fmac_f64_e32 v[210:211], v[210:211], v[212:213]
	v_fma_f64 v[212:213], -v[204:205], v[210:211], 1.0
	v_fmac_f64_e32 v[210:211], v[210:211], v[212:213]
	v_div_scale_f64 v[212:213], vcc, 1.0, v[208:209], 1.0
	v_mul_f64 v[214:215], v[212:213], v[210:211]
	v_fma_f64 v[204:205], -v[204:205], v[214:215], v[212:213]
	s_nop 1
	v_div_fmas_f64 v[204:205], v[204:205], v[210:211], v[214:215]
	v_div_fixup_f64 v[204:205], v[204:205], v[208:209], 1.0
	v_mul_f64 v[206:207], v[206:207], -v[204:205]
.LBB115_358:
	s_or_b64 exec, exec, s[2:3]
	ds_write2_b64 v201, v[204:205], v[206:207] offset1:1
.LBB115_359:
	s_or_b64 exec, exec, s[4:5]
	s_waitcnt lgkmcnt(0)
	s_barrier
	ds_read2_b64 v[192:195], v201 offset1:1
	v_cmp_lt_u32_e32 vcc, 39, v200
	s_waitcnt lgkmcnt(0)
	scratch_store_dwordx4 off, v[192:195], off offset:1216 ; 16-byte Folded Spill
	s_and_saveexec_b64 s[2:3], vcc
	s_cbranch_execz .LBB115_361
; %bb.360:
	scratch_load_dwordx4 v[192:195], off, off offset:1216 ; 16-byte Folded Reload
	s_waitcnt vmcnt(0)
	v_mul_f64 v[204:205], v[194:195], v[70:71]
	v_fma_f64 v[208:209], v[192:193], v[68:69], -v[204:205]
	ds_read2_b64 v[204:207], v202 offset0:80 offset1:81
	v_mul_f64 v[70:71], v[192:193], v[70:71]
	v_fmac_f64_e32 v[70:71], v[194:195], v[68:69]
	s_waitcnt lgkmcnt(0)
	v_mul_f64 v[68:69], v[206:207], v[70:71]
	v_fma_f64 v[68:69], v[204:205], v[208:209], -v[68:69]
	v_mul_f64 v[204:205], v[204:205], v[70:71]
	v_fmac_f64_e32 v[204:205], v[206:207], v[208:209]
	v_add_f64 v[66:67], v[66:67], -v[204:205]
	ds_read2_b64 v[204:207], v202 offset0:82 offset1:83
	v_add_f64 v[64:65], v[64:65], -v[68:69]
	s_waitcnt lgkmcnt(0)
	v_mul_f64 v[68:69], v[206:207], v[70:71]
	v_fma_f64 v[68:69], v[204:205], v[208:209], -v[68:69]
	v_mul_f64 v[204:205], v[204:205], v[70:71]
	v_fmac_f64_e32 v[204:205], v[206:207], v[208:209]
	v_add_f64 v[62:63], v[62:63], -v[204:205]
	ds_read2_b64 v[204:207], v202 offset0:84 offset1:85
	v_add_f64 v[60:61], v[60:61], -v[68:69]
	;; [unrolled: 8-line block ×17, first 2 shown]
	s_waitcnt lgkmcnt(0)
	v_mul_f64 v[68:69], v[206:207], v[70:71]
	v_fma_f64 v[68:69], v[204:205], v[208:209], -v[68:69]
	v_mul_f64 v[204:205], v[204:205], v[70:71]
	v_fmac_f64_e32 v[204:205], v[206:207], v[208:209]
	v_add_f64 v[228:229], v[228:229], -v[68:69]
	v_add_f64 v[230:231], v[230:231], -v[204:205]
	v_mov_b64_e32 v[68:69], v[208:209]
.LBB115_361:
	s_or_b64 exec, exec, s[2:3]
	v_cmp_eq_u32_e32 vcc, 40, v200
	s_waitcnt vmcnt(63) expcnt(7) lgkmcnt(15)
	s_barrier
	s_and_saveexec_b64 s[4:5], vcc
	s_cbranch_execz .LBB115_368
; %bb.362:
	ds_write2_b64 v201, v[64:65], v[66:67] offset1:1
	ds_write2_b64 v202, v[60:61], v[62:63] offset0:82 offset1:83
	ds_write2_b64 v202, v[56:57], v[58:59] offset0:84 offset1:85
	;; [unrolled: 1-line block ×7, first 2 shown]
	s_waitcnt vmcnt(62)
	ds_write2_b64 v202, v[32:33], v[34:35] offset0:96 offset1:97
	s_waitcnt vmcnt(61)
	ds_write2_b64 v202, v[28:29], v[30:31] offset0:98 offset1:99
	;; [unrolled: 2-line block ×3, first 2 shown]
	ds_write2_b64 v202, v[20:21], v[22:23] offset0:102 offset1:103
	ds_write2_b64 v202, v[16:17], v[18:19] offset0:104 offset1:105
	;; [unrolled: 1-line block ×5, first 2 shown]
	s_waitcnt vmcnt(59)
	ds_write2_b64 v202, v[0:1], v[2:3] offset0:112 offset1:113
	s_waitcnt vmcnt(56)
	ds_write2_b64 v202, v[228:229], v[230:231] offset0:114 offset1:115
	ds_read2_b64 v[208:211], v201 offset1:1
	s_waitcnt lgkmcnt(0)
	v_cmp_neq_f64_e32 vcc, 0, v[208:209]
	v_cmp_neq_f64_e64 s[2:3], 0, v[210:211]
	s_or_b64 s[2:3], vcc, s[2:3]
	s_and_b64 exec, exec, s[2:3]
	s_cbranch_execz .LBB115_368
; %bb.363:
	v_cmp_ngt_f64_e64 s[2:3], |v[208:209]|, |v[210:211]|
                                        ; implicit-def: $vgpr204_vgpr205
	s_and_saveexec_b64 s[10:11], s[2:3]
	s_xor_b64 s[2:3], exec, s[10:11]
                                        ; implicit-def: $vgpr206_vgpr207
	s_cbranch_execz .LBB115_365
; %bb.364:
	v_div_scale_f64 v[204:205], s[10:11], v[210:211], v[210:211], v[208:209]
	v_rcp_f64_e32 v[206:207], v[204:205]
	v_div_scale_f64 v[212:213], vcc, v[208:209], v[210:211], v[208:209]
	v_fma_f64 v[214:215], -v[204:205], v[206:207], 1.0
	v_fmac_f64_e32 v[206:207], v[206:207], v[214:215]
	v_fma_f64 v[214:215], -v[204:205], v[206:207], 1.0
	v_fmac_f64_e32 v[206:207], v[206:207], v[214:215]
	v_mul_f64 v[214:215], v[212:213], v[206:207]
	v_fma_f64 v[204:205], -v[204:205], v[214:215], v[212:213]
	v_div_fmas_f64 v[204:205], v[204:205], v[206:207], v[214:215]
	v_div_fixup_f64 v[204:205], v[204:205], v[210:211], v[208:209]
	v_fmac_f64_e32 v[210:211], v[208:209], v[204:205]
	v_div_scale_f64 v[206:207], s[10:11], v[210:211], v[210:211], 1.0
	v_rcp_f64_e32 v[208:209], v[206:207]
	s_nop 0
	v_fma_f64 v[212:213], -v[206:207], v[208:209], 1.0
	v_fmac_f64_e32 v[208:209], v[208:209], v[212:213]
	v_fma_f64 v[212:213], -v[206:207], v[208:209], 1.0
	v_fmac_f64_e32 v[208:209], v[208:209], v[212:213]
	v_div_scale_f64 v[212:213], vcc, 1.0, v[210:211], 1.0
	v_mul_f64 v[214:215], v[212:213], v[208:209]
	v_fma_f64 v[206:207], -v[206:207], v[214:215], v[212:213]
	s_nop 1
	v_div_fmas_f64 v[206:207], v[206:207], v[208:209], v[214:215]
	v_div_fixup_f64 v[206:207], v[206:207], v[210:211], 1.0
	v_mul_f64 v[204:205], v[204:205], v[206:207]
	v_xor_b32_e32 v207, 0x80000000, v207
                                        ; implicit-def: $vgpr208_vgpr209
.LBB115_365:
	s_andn2_saveexec_b64 s[2:3], s[2:3]
	s_cbranch_execz .LBB115_367
; %bb.366:
	v_div_scale_f64 v[204:205], s[10:11], v[208:209], v[208:209], v[210:211]
	v_rcp_f64_e32 v[206:207], v[204:205]
	v_div_scale_f64 v[212:213], vcc, v[210:211], v[208:209], v[210:211]
	v_fma_f64 v[214:215], -v[204:205], v[206:207], 1.0
	v_fmac_f64_e32 v[206:207], v[206:207], v[214:215]
	v_fma_f64 v[214:215], -v[204:205], v[206:207], 1.0
	v_fmac_f64_e32 v[206:207], v[206:207], v[214:215]
	v_mul_f64 v[214:215], v[212:213], v[206:207]
	v_fma_f64 v[204:205], -v[204:205], v[214:215], v[212:213]
	v_div_fmas_f64 v[204:205], v[204:205], v[206:207], v[214:215]
	v_div_fixup_f64 v[206:207], v[204:205], v[208:209], v[210:211]
	v_fmac_f64_e32 v[208:209], v[210:211], v[206:207]
	v_div_scale_f64 v[204:205], s[10:11], v[208:209], v[208:209], 1.0
	v_rcp_f64_e32 v[210:211], v[204:205]
	s_nop 0
	v_fma_f64 v[212:213], -v[204:205], v[210:211], 1.0
	v_fmac_f64_e32 v[210:211], v[210:211], v[212:213]
	v_fma_f64 v[212:213], -v[204:205], v[210:211], 1.0
	v_fmac_f64_e32 v[210:211], v[210:211], v[212:213]
	v_div_scale_f64 v[212:213], vcc, 1.0, v[208:209], 1.0
	v_mul_f64 v[214:215], v[212:213], v[210:211]
	v_fma_f64 v[204:205], -v[204:205], v[214:215], v[212:213]
	s_nop 1
	v_div_fmas_f64 v[204:205], v[204:205], v[210:211], v[214:215]
	v_div_fixup_f64 v[204:205], v[204:205], v[208:209], 1.0
	v_mul_f64 v[206:207], v[206:207], -v[204:205]
.LBB115_367:
	s_or_b64 exec, exec, s[2:3]
	ds_write2_b64 v201, v[204:205], v[206:207] offset1:1
.LBB115_368:
	s_or_b64 exec, exec, s[4:5]
	s_waitcnt lgkmcnt(0)
	s_barrier
	ds_read2_b64 v[192:195], v201 offset1:1
	v_cmp_lt_u32_e32 vcc, 40, v200
	s_waitcnt lgkmcnt(0)
	scratch_store_dwordx4 off, v[192:195], off offset:1232 ; 16-byte Folded Spill
	s_and_saveexec_b64 s[2:3], vcc
	s_cbranch_execz .LBB115_370
; %bb.369:
	scratch_load_dwordx4 v[192:195], off, off offset:1232 ; 16-byte Folded Reload
	s_waitcnt vmcnt(0)
	v_mul_f64 v[204:205], v[194:195], v[66:67]
	v_fma_f64 v[208:209], v[192:193], v[64:65], -v[204:205]
	ds_read2_b64 v[204:207], v202 offset0:82 offset1:83
	v_mul_f64 v[66:67], v[192:193], v[66:67]
	v_fmac_f64_e32 v[66:67], v[194:195], v[64:65]
	s_waitcnt lgkmcnt(0)
	v_mul_f64 v[64:65], v[206:207], v[66:67]
	v_fma_f64 v[64:65], v[204:205], v[208:209], -v[64:65]
	v_mul_f64 v[204:205], v[204:205], v[66:67]
	v_fmac_f64_e32 v[204:205], v[206:207], v[208:209]
	v_add_f64 v[62:63], v[62:63], -v[204:205]
	ds_read2_b64 v[204:207], v202 offset0:84 offset1:85
	v_add_f64 v[60:61], v[60:61], -v[64:65]
	s_waitcnt lgkmcnt(0)
	v_mul_f64 v[64:65], v[206:207], v[66:67]
	v_fma_f64 v[64:65], v[204:205], v[208:209], -v[64:65]
	v_mul_f64 v[204:205], v[204:205], v[66:67]
	v_fmac_f64_e32 v[204:205], v[206:207], v[208:209]
	v_add_f64 v[58:59], v[58:59], -v[204:205]
	ds_read2_b64 v[204:207], v202 offset0:86 offset1:87
	v_add_f64 v[56:57], v[56:57], -v[64:65]
	;; [unrolled: 8-line block ×16, first 2 shown]
	s_waitcnt lgkmcnt(0)
	v_mul_f64 v[64:65], v[206:207], v[66:67]
	v_fma_f64 v[64:65], v[204:205], v[208:209], -v[64:65]
	v_mul_f64 v[204:205], v[204:205], v[66:67]
	v_fmac_f64_e32 v[204:205], v[206:207], v[208:209]
	v_add_f64 v[228:229], v[228:229], -v[64:65]
	v_add_f64 v[230:231], v[230:231], -v[204:205]
	v_mov_b64_e32 v[64:65], v[208:209]
.LBB115_370:
	s_or_b64 exec, exec, s[2:3]
	v_cmp_eq_u32_e32 vcc, 41, v200
	s_waitcnt vmcnt(63) expcnt(7) lgkmcnt(15)
	s_barrier
	s_and_saveexec_b64 s[4:5], vcc
	s_cbranch_execz .LBB115_377
; %bb.371:
	ds_write2_b64 v201, v[60:61], v[62:63] offset1:1
	ds_write2_b64 v202, v[56:57], v[58:59] offset0:84 offset1:85
	ds_write2_b64 v202, v[52:53], v[54:55] offset0:86 offset1:87
	;; [unrolled: 1-line block ×7, first 2 shown]
	s_waitcnt vmcnt(62)
	ds_write2_b64 v202, v[28:29], v[30:31] offset0:98 offset1:99
	s_waitcnt vmcnt(61)
	ds_write2_b64 v202, v[24:25], v[26:27] offset0:100 offset1:101
	ds_write2_b64 v202, v[20:21], v[22:23] offset0:102 offset1:103
	;; [unrolled: 1-line block ×6, first 2 shown]
	s_waitcnt vmcnt(60)
	ds_write2_b64 v202, v[0:1], v[2:3] offset0:112 offset1:113
	s_waitcnt vmcnt(57)
	ds_write2_b64 v202, v[228:229], v[230:231] offset0:114 offset1:115
	ds_read2_b64 v[208:211], v201 offset1:1
	s_waitcnt lgkmcnt(0)
	v_cmp_neq_f64_e32 vcc, 0, v[208:209]
	v_cmp_neq_f64_e64 s[2:3], 0, v[210:211]
	s_or_b64 s[2:3], vcc, s[2:3]
	s_and_b64 exec, exec, s[2:3]
	s_cbranch_execz .LBB115_377
; %bb.372:
	v_cmp_ngt_f64_e64 s[2:3], |v[208:209]|, |v[210:211]|
                                        ; implicit-def: $vgpr204_vgpr205
	s_and_saveexec_b64 s[10:11], s[2:3]
	s_xor_b64 s[2:3], exec, s[10:11]
                                        ; implicit-def: $vgpr206_vgpr207
	s_cbranch_execz .LBB115_374
; %bb.373:
	v_div_scale_f64 v[204:205], s[10:11], v[210:211], v[210:211], v[208:209]
	v_rcp_f64_e32 v[206:207], v[204:205]
	v_div_scale_f64 v[212:213], vcc, v[208:209], v[210:211], v[208:209]
	v_fma_f64 v[214:215], -v[204:205], v[206:207], 1.0
	v_fmac_f64_e32 v[206:207], v[206:207], v[214:215]
	v_fma_f64 v[214:215], -v[204:205], v[206:207], 1.0
	v_fmac_f64_e32 v[206:207], v[206:207], v[214:215]
	v_mul_f64 v[214:215], v[212:213], v[206:207]
	v_fma_f64 v[204:205], -v[204:205], v[214:215], v[212:213]
	v_div_fmas_f64 v[204:205], v[204:205], v[206:207], v[214:215]
	v_div_fixup_f64 v[204:205], v[204:205], v[210:211], v[208:209]
	v_fmac_f64_e32 v[210:211], v[208:209], v[204:205]
	v_div_scale_f64 v[206:207], s[10:11], v[210:211], v[210:211], 1.0
	v_rcp_f64_e32 v[208:209], v[206:207]
	s_nop 0
	v_fma_f64 v[212:213], -v[206:207], v[208:209], 1.0
	v_fmac_f64_e32 v[208:209], v[208:209], v[212:213]
	v_fma_f64 v[212:213], -v[206:207], v[208:209], 1.0
	v_fmac_f64_e32 v[208:209], v[208:209], v[212:213]
	v_div_scale_f64 v[212:213], vcc, 1.0, v[210:211], 1.0
	v_mul_f64 v[214:215], v[212:213], v[208:209]
	v_fma_f64 v[206:207], -v[206:207], v[214:215], v[212:213]
	s_nop 1
	v_div_fmas_f64 v[206:207], v[206:207], v[208:209], v[214:215]
	v_div_fixup_f64 v[206:207], v[206:207], v[210:211], 1.0
	v_mul_f64 v[204:205], v[204:205], v[206:207]
	v_xor_b32_e32 v207, 0x80000000, v207
                                        ; implicit-def: $vgpr208_vgpr209
.LBB115_374:
	s_andn2_saveexec_b64 s[2:3], s[2:3]
	s_cbranch_execz .LBB115_376
; %bb.375:
	v_div_scale_f64 v[204:205], s[10:11], v[208:209], v[208:209], v[210:211]
	v_rcp_f64_e32 v[206:207], v[204:205]
	v_div_scale_f64 v[212:213], vcc, v[210:211], v[208:209], v[210:211]
	v_fma_f64 v[214:215], -v[204:205], v[206:207], 1.0
	v_fmac_f64_e32 v[206:207], v[206:207], v[214:215]
	v_fma_f64 v[214:215], -v[204:205], v[206:207], 1.0
	v_fmac_f64_e32 v[206:207], v[206:207], v[214:215]
	v_mul_f64 v[214:215], v[212:213], v[206:207]
	v_fma_f64 v[204:205], -v[204:205], v[214:215], v[212:213]
	v_div_fmas_f64 v[204:205], v[204:205], v[206:207], v[214:215]
	v_div_fixup_f64 v[206:207], v[204:205], v[208:209], v[210:211]
	v_fmac_f64_e32 v[208:209], v[210:211], v[206:207]
	v_div_scale_f64 v[204:205], s[10:11], v[208:209], v[208:209], 1.0
	v_rcp_f64_e32 v[210:211], v[204:205]
	s_nop 0
	v_fma_f64 v[212:213], -v[204:205], v[210:211], 1.0
	v_fmac_f64_e32 v[210:211], v[210:211], v[212:213]
	v_fma_f64 v[212:213], -v[204:205], v[210:211], 1.0
	v_fmac_f64_e32 v[210:211], v[210:211], v[212:213]
	v_div_scale_f64 v[212:213], vcc, 1.0, v[208:209], 1.0
	v_mul_f64 v[214:215], v[212:213], v[210:211]
	v_fma_f64 v[204:205], -v[204:205], v[214:215], v[212:213]
	s_nop 1
	v_div_fmas_f64 v[204:205], v[204:205], v[210:211], v[214:215]
	v_div_fixup_f64 v[204:205], v[204:205], v[208:209], 1.0
	v_mul_f64 v[206:207], v[206:207], -v[204:205]
.LBB115_376:
	s_or_b64 exec, exec, s[2:3]
	ds_write2_b64 v201, v[204:205], v[206:207] offset1:1
.LBB115_377:
	s_or_b64 exec, exec, s[4:5]
	s_waitcnt lgkmcnt(0)
	s_barrier
	ds_read2_b64 v[192:195], v201 offset1:1
	v_cmp_lt_u32_e32 vcc, 41, v200
	s_waitcnt lgkmcnt(0)
	scratch_store_dwordx4 off, v[192:195], off offset:1248 ; 16-byte Folded Spill
	s_and_saveexec_b64 s[2:3], vcc
	s_cbranch_execz .LBB115_379
; %bb.378:
	scratch_load_dwordx4 v[192:195], off, off offset:1248 ; 16-byte Folded Reload
	ds_read2_b64 v[204:207], v202 offset0:84 offset1:85
	s_waitcnt vmcnt(0)
	v_mul_f64 v[208:209], v[192:193], v[62:63]
	v_fmac_f64_e32 v[208:209], v[194:195], v[60:61]
	v_mul_f64 v[62:63], v[194:195], v[62:63]
	v_fma_f64 v[60:61], v[192:193], v[60:61], -v[62:63]
	s_waitcnt lgkmcnt(0)
	v_mul_f64 v[62:63], v[206:207], v[208:209]
	v_fma_f64 v[62:63], v[204:205], v[60:61], -v[62:63]
	v_mul_f64 v[204:205], v[204:205], v[208:209]
	v_fmac_f64_e32 v[204:205], v[206:207], v[60:61]
	v_add_f64 v[58:59], v[58:59], -v[204:205]
	ds_read2_b64 v[204:207], v202 offset0:86 offset1:87
	v_add_f64 v[56:57], v[56:57], -v[62:63]
	s_waitcnt lgkmcnt(0)
	v_mul_f64 v[62:63], v[206:207], v[208:209]
	v_fma_f64 v[62:63], v[204:205], v[60:61], -v[62:63]
	v_mul_f64 v[204:205], v[204:205], v[208:209]
	v_fmac_f64_e32 v[204:205], v[206:207], v[60:61]
	v_add_f64 v[54:55], v[54:55], -v[204:205]
	ds_read2_b64 v[204:207], v202 offset0:88 offset1:89
	v_add_f64 v[52:53], v[52:53], -v[62:63]
	;; [unrolled: 8-line block ×15, first 2 shown]
	s_waitcnt lgkmcnt(0)
	v_mul_f64 v[62:63], v[206:207], v[208:209]
	v_fma_f64 v[62:63], v[204:205], v[60:61], -v[62:63]
	v_mul_f64 v[204:205], v[204:205], v[208:209]
	v_fmac_f64_e32 v[204:205], v[206:207], v[60:61]
	v_add_f64 v[228:229], v[228:229], -v[62:63]
	v_add_f64 v[230:231], v[230:231], -v[204:205]
	v_mov_b64_e32 v[62:63], v[208:209]
.LBB115_379:
	s_or_b64 exec, exec, s[2:3]
	v_cmp_eq_u32_e32 vcc, 42, v200
	s_waitcnt vmcnt(63) expcnt(7) lgkmcnt(15)
	s_barrier
	s_and_saveexec_b64 s[4:5], vcc
	s_cbranch_execz .LBB115_386
; %bb.380:
	ds_write2_b64 v201, v[56:57], v[58:59] offset1:1
	ds_write2_b64 v202, v[52:53], v[54:55] offset0:86 offset1:87
	ds_write2_b64 v202, v[48:49], v[50:51] offset0:88 offset1:89
	ds_write2_b64 v202, v[44:45], v[46:47] offset0:90 offset1:91
	ds_write2_b64 v202, v[40:41], v[42:43] offset0:92 offset1:93
	ds_write2_b64 v202, v[36:37], v[38:39] offset0:94 offset1:95
	ds_write2_b64 v202, v[32:33], v[34:35] offset0:96 offset1:97
	ds_write2_b64 v202, v[28:29], v[30:31] offset0:98 offset1:99
	s_waitcnt vmcnt(62)
	ds_write2_b64 v202, v[24:25], v[26:27] offset0:100 offset1:101
	ds_write2_b64 v202, v[20:21], v[22:23] offset0:102 offset1:103
	;; [unrolled: 1-line block ×6, first 2 shown]
	s_waitcnt vmcnt(61)
	ds_write2_b64 v202, v[0:1], v[2:3] offset0:112 offset1:113
	s_waitcnt vmcnt(58)
	ds_write2_b64 v202, v[228:229], v[230:231] offset0:114 offset1:115
	ds_read2_b64 v[208:211], v201 offset1:1
	s_waitcnt lgkmcnt(0)
	v_cmp_neq_f64_e32 vcc, 0, v[208:209]
	v_cmp_neq_f64_e64 s[2:3], 0, v[210:211]
	s_or_b64 s[2:3], vcc, s[2:3]
	s_and_b64 exec, exec, s[2:3]
	s_cbranch_execz .LBB115_386
; %bb.381:
	v_cmp_ngt_f64_e64 s[2:3], |v[208:209]|, |v[210:211]|
                                        ; implicit-def: $vgpr204_vgpr205
	s_and_saveexec_b64 s[10:11], s[2:3]
	s_xor_b64 s[2:3], exec, s[10:11]
                                        ; implicit-def: $vgpr206_vgpr207
	s_cbranch_execz .LBB115_383
; %bb.382:
	v_div_scale_f64 v[204:205], s[10:11], v[210:211], v[210:211], v[208:209]
	v_rcp_f64_e32 v[206:207], v[204:205]
	v_div_scale_f64 v[212:213], vcc, v[208:209], v[210:211], v[208:209]
	v_fma_f64 v[214:215], -v[204:205], v[206:207], 1.0
	v_fmac_f64_e32 v[206:207], v[206:207], v[214:215]
	v_fma_f64 v[214:215], -v[204:205], v[206:207], 1.0
	v_fmac_f64_e32 v[206:207], v[206:207], v[214:215]
	v_mul_f64 v[214:215], v[212:213], v[206:207]
	v_fma_f64 v[204:205], -v[204:205], v[214:215], v[212:213]
	v_div_fmas_f64 v[204:205], v[204:205], v[206:207], v[214:215]
	v_div_fixup_f64 v[204:205], v[204:205], v[210:211], v[208:209]
	v_fmac_f64_e32 v[210:211], v[208:209], v[204:205]
	v_div_scale_f64 v[206:207], s[10:11], v[210:211], v[210:211], 1.0
	v_rcp_f64_e32 v[208:209], v[206:207]
	s_nop 0
	v_fma_f64 v[212:213], -v[206:207], v[208:209], 1.0
	v_fmac_f64_e32 v[208:209], v[208:209], v[212:213]
	v_fma_f64 v[212:213], -v[206:207], v[208:209], 1.0
	v_fmac_f64_e32 v[208:209], v[208:209], v[212:213]
	v_div_scale_f64 v[212:213], vcc, 1.0, v[210:211], 1.0
	v_mul_f64 v[214:215], v[212:213], v[208:209]
	v_fma_f64 v[206:207], -v[206:207], v[214:215], v[212:213]
	s_nop 1
	v_div_fmas_f64 v[206:207], v[206:207], v[208:209], v[214:215]
	v_div_fixup_f64 v[206:207], v[206:207], v[210:211], 1.0
	v_mul_f64 v[204:205], v[204:205], v[206:207]
	v_xor_b32_e32 v207, 0x80000000, v207
                                        ; implicit-def: $vgpr208_vgpr209
.LBB115_383:
	s_andn2_saveexec_b64 s[2:3], s[2:3]
	s_cbranch_execz .LBB115_385
; %bb.384:
	v_div_scale_f64 v[204:205], s[10:11], v[208:209], v[208:209], v[210:211]
	v_rcp_f64_e32 v[206:207], v[204:205]
	v_div_scale_f64 v[212:213], vcc, v[210:211], v[208:209], v[210:211]
	v_fma_f64 v[214:215], -v[204:205], v[206:207], 1.0
	v_fmac_f64_e32 v[206:207], v[206:207], v[214:215]
	v_fma_f64 v[214:215], -v[204:205], v[206:207], 1.0
	v_fmac_f64_e32 v[206:207], v[206:207], v[214:215]
	v_mul_f64 v[214:215], v[212:213], v[206:207]
	v_fma_f64 v[204:205], -v[204:205], v[214:215], v[212:213]
	v_div_fmas_f64 v[204:205], v[204:205], v[206:207], v[214:215]
	v_div_fixup_f64 v[206:207], v[204:205], v[208:209], v[210:211]
	v_fmac_f64_e32 v[208:209], v[210:211], v[206:207]
	v_div_scale_f64 v[204:205], s[10:11], v[208:209], v[208:209], 1.0
	v_rcp_f64_e32 v[210:211], v[204:205]
	s_nop 0
	v_fma_f64 v[212:213], -v[204:205], v[210:211], 1.0
	v_fmac_f64_e32 v[210:211], v[210:211], v[212:213]
	v_fma_f64 v[212:213], -v[204:205], v[210:211], 1.0
	v_fmac_f64_e32 v[210:211], v[210:211], v[212:213]
	v_div_scale_f64 v[212:213], vcc, 1.0, v[208:209], 1.0
	v_mul_f64 v[214:215], v[212:213], v[210:211]
	v_fma_f64 v[204:205], -v[204:205], v[214:215], v[212:213]
	s_nop 1
	v_div_fmas_f64 v[204:205], v[204:205], v[210:211], v[214:215]
	v_div_fixup_f64 v[204:205], v[204:205], v[208:209], 1.0
	v_mul_f64 v[206:207], v[206:207], -v[204:205]
.LBB115_385:
	s_or_b64 exec, exec, s[2:3]
	ds_write2_b64 v201, v[204:205], v[206:207] offset1:1
.LBB115_386:
	s_or_b64 exec, exec, s[4:5]
	s_waitcnt lgkmcnt(0)
	s_barrier
	ds_read2_b64 v[192:195], v201 offset1:1
	v_cmp_lt_u32_e32 vcc, 42, v200
	s_waitcnt lgkmcnt(0)
	scratch_store_dwordx4 off, v[192:195], off offset:1264 ; 16-byte Folded Spill
	s_and_saveexec_b64 s[2:3], vcc
	s_cbranch_execz .LBB115_388
; %bb.387:
	scratch_load_dwordx4 v[192:195], off, off offset:1264 ; 16-byte Folded Reload
	ds_read2_b64 v[204:207], v202 offset0:86 offset1:87
	s_waitcnt vmcnt(0)
	v_mul_f64 v[208:209], v[192:193], v[58:59]
	v_fmac_f64_e32 v[208:209], v[194:195], v[56:57]
	v_mul_f64 v[58:59], v[194:195], v[58:59]
	v_fma_f64 v[56:57], v[192:193], v[56:57], -v[58:59]
	s_waitcnt lgkmcnt(0)
	v_mul_f64 v[58:59], v[206:207], v[208:209]
	v_fma_f64 v[58:59], v[204:205], v[56:57], -v[58:59]
	v_mul_f64 v[204:205], v[204:205], v[208:209]
	v_fmac_f64_e32 v[204:205], v[206:207], v[56:57]
	v_add_f64 v[54:55], v[54:55], -v[204:205]
	ds_read2_b64 v[204:207], v202 offset0:88 offset1:89
	v_add_f64 v[52:53], v[52:53], -v[58:59]
	s_waitcnt lgkmcnt(0)
	v_mul_f64 v[58:59], v[206:207], v[208:209]
	v_fma_f64 v[58:59], v[204:205], v[56:57], -v[58:59]
	v_mul_f64 v[204:205], v[204:205], v[208:209]
	v_fmac_f64_e32 v[204:205], v[206:207], v[56:57]
	v_add_f64 v[50:51], v[50:51], -v[204:205]
	ds_read2_b64 v[204:207], v202 offset0:90 offset1:91
	v_add_f64 v[48:49], v[48:49], -v[58:59]
	;; [unrolled: 8-line block ×14, first 2 shown]
	s_waitcnt lgkmcnt(0)
	v_mul_f64 v[58:59], v[206:207], v[208:209]
	v_fma_f64 v[58:59], v[204:205], v[56:57], -v[58:59]
	v_mul_f64 v[204:205], v[204:205], v[208:209]
	v_fmac_f64_e32 v[204:205], v[206:207], v[56:57]
	v_add_f64 v[228:229], v[228:229], -v[58:59]
	v_add_f64 v[230:231], v[230:231], -v[204:205]
	v_mov_b64_e32 v[58:59], v[208:209]
.LBB115_388:
	s_or_b64 exec, exec, s[2:3]
	v_cmp_eq_u32_e32 vcc, 43, v200
	s_waitcnt vmcnt(63) expcnt(7) lgkmcnt(15)
	s_barrier
	s_and_saveexec_b64 s[4:5], vcc
	s_cbranch_execz .LBB115_395
; %bb.389:
	ds_write2_b64 v201, v[52:53], v[54:55] offset1:1
	ds_write2_b64 v202, v[48:49], v[50:51] offset0:88 offset1:89
	ds_write2_b64 v202, v[44:45], v[46:47] offset0:90 offset1:91
	ds_write2_b64 v202, v[40:41], v[42:43] offset0:92 offset1:93
	ds_write2_b64 v202, v[36:37], v[38:39] offset0:94 offset1:95
	ds_write2_b64 v202, v[32:33], v[34:35] offset0:96 offset1:97
	ds_write2_b64 v202, v[28:29], v[30:31] offset0:98 offset1:99
	ds_write2_b64 v202, v[24:25], v[26:27] offset0:100 offset1:101
	ds_write2_b64 v202, v[20:21], v[22:23] offset0:102 offset1:103
	ds_write2_b64 v202, v[16:17], v[18:19] offset0:104 offset1:105
	ds_write2_b64 v202, v[12:13], v[14:15] offset0:106 offset1:107
	ds_write2_b64 v202, v[8:9], v[10:11] offset0:108 offset1:109
	ds_write2_b64 v202, v[4:5], v[6:7] offset0:110 offset1:111
	s_waitcnt vmcnt(62)
	ds_write2_b64 v202, v[0:1], v[2:3] offset0:112 offset1:113
	s_waitcnt vmcnt(59)
	ds_write2_b64 v202, v[228:229], v[230:231] offset0:114 offset1:115
	ds_read2_b64 v[208:211], v201 offset1:1
	s_waitcnt lgkmcnt(0)
	v_cmp_neq_f64_e32 vcc, 0, v[208:209]
	v_cmp_neq_f64_e64 s[2:3], 0, v[210:211]
	s_or_b64 s[2:3], vcc, s[2:3]
	s_and_b64 exec, exec, s[2:3]
	s_cbranch_execz .LBB115_395
; %bb.390:
	v_cmp_ngt_f64_e64 s[2:3], |v[208:209]|, |v[210:211]|
                                        ; implicit-def: $vgpr204_vgpr205
	s_and_saveexec_b64 s[10:11], s[2:3]
	s_xor_b64 s[2:3], exec, s[10:11]
                                        ; implicit-def: $vgpr206_vgpr207
	s_cbranch_execz .LBB115_392
; %bb.391:
	v_div_scale_f64 v[204:205], s[10:11], v[210:211], v[210:211], v[208:209]
	v_rcp_f64_e32 v[206:207], v[204:205]
	v_div_scale_f64 v[212:213], vcc, v[208:209], v[210:211], v[208:209]
	v_fma_f64 v[214:215], -v[204:205], v[206:207], 1.0
	v_fmac_f64_e32 v[206:207], v[206:207], v[214:215]
	v_fma_f64 v[214:215], -v[204:205], v[206:207], 1.0
	v_fmac_f64_e32 v[206:207], v[206:207], v[214:215]
	v_mul_f64 v[214:215], v[212:213], v[206:207]
	v_fma_f64 v[204:205], -v[204:205], v[214:215], v[212:213]
	v_div_fmas_f64 v[204:205], v[204:205], v[206:207], v[214:215]
	v_div_fixup_f64 v[204:205], v[204:205], v[210:211], v[208:209]
	v_fmac_f64_e32 v[210:211], v[208:209], v[204:205]
	v_div_scale_f64 v[206:207], s[10:11], v[210:211], v[210:211], 1.0
	v_rcp_f64_e32 v[208:209], v[206:207]
	s_nop 0
	v_fma_f64 v[212:213], -v[206:207], v[208:209], 1.0
	v_fmac_f64_e32 v[208:209], v[208:209], v[212:213]
	v_fma_f64 v[212:213], -v[206:207], v[208:209], 1.0
	v_fmac_f64_e32 v[208:209], v[208:209], v[212:213]
	v_div_scale_f64 v[212:213], vcc, 1.0, v[210:211], 1.0
	v_mul_f64 v[214:215], v[212:213], v[208:209]
	v_fma_f64 v[206:207], -v[206:207], v[214:215], v[212:213]
	s_nop 1
	v_div_fmas_f64 v[206:207], v[206:207], v[208:209], v[214:215]
	v_div_fixup_f64 v[206:207], v[206:207], v[210:211], 1.0
	v_mul_f64 v[204:205], v[204:205], v[206:207]
	v_xor_b32_e32 v207, 0x80000000, v207
                                        ; implicit-def: $vgpr208_vgpr209
.LBB115_392:
	s_andn2_saveexec_b64 s[2:3], s[2:3]
	s_cbranch_execz .LBB115_394
; %bb.393:
	v_div_scale_f64 v[204:205], s[10:11], v[208:209], v[208:209], v[210:211]
	v_rcp_f64_e32 v[206:207], v[204:205]
	v_div_scale_f64 v[212:213], vcc, v[210:211], v[208:209], v[210:211]
	v_fma_f64 v[214:215], -v[204:205], v[206:207], 1.0
	v_fmac_f64_e32 v[206:207], v[206:207], v[214:215]
	v_fma_f64 v[214:215], -v[204:205], v[206:207], 1.0
	v_fmac_f64_e32 v[206:207], v[206:207], v[214:215]
	v_mul_f64 v[214:215], v[212:213], v[206:207]
	v_fma_f64 v[204:205], -v[204:205], v[214:215], v[212:213]
	v_div_fmas_f64 v[204:205], v[204:205], v[206:207], v[214:215]
	v_div_fixup_f64 v[206:207], v[204:205], v[208:209], v[210:211]
	v_fmac_f64_e32 v[208:209], v[210:211], v[206:207]
	v_div_scale_f64 v[204:205], s[10:11], v[208:209], v[208:209], 1.0
	v_rcp_f64_e32 v[210:211], v[204:205]
	s_nop 0
	v_fma_f64 v[212:213], -v[204:205], v[210:211], 1.0
	v_fmac_f64_e32 v[210:211], v[210:211], v[212:213]
	v_fma_f64 v[212:213], -v[204:205], v[210:211], 1.0
	v_fmac_f64_e32 v[210:211], v[210:211], v[212:213]
	v_div_scale_f64 v[212:213], vcc, 1.0, v[208:209], 1.0
	v_mul_f64 v[214:215], v[212:213], v[210:211]
	v_fma_f64 v[204:205], -v[204:205], v[214:215], v[212:213]
	s_nop 1
	v_div_fmas_f64 v[204:205], v[204:205], v[210:211], v[214:215]
	v_div_fixup_f64 v[204:205], v[204:205], v[208:209], 1.0
	v_mul_f64 v[206:207], v[206:207], -v[204:205]
.LBB115_394:
	s_or_b64 exec, exec, s[2:3]
	ds_write2_b64 v201, v[204:205], v[206:207] offset1:1
.LBB115_395:
	s_or_b64 exec, exec, s[4:5]
	s_waitcnt lgkmcnt(0)
	s_barrier
	ds_read2_b64 v[192:195], v201 offset1:1
	v_cmp_lt_u32_e32 vcc, 43, v200
	s_waitcnt lgkmcnt(0)
	scratch_store_dwordx4 off, v[192:195], off offset:1280 ; 16-byte Folded Spill
	s_and_saveexec_b64 s[2:3], vcc
	s_cbranch_execz .LBB115_397
; %bb.396:
	scratch_load_dwordx4 v[192:195], off, off offset:1280 ; 16-byte Folded Reload
	ds_read2_b64 v[204:207], v202 offset0:88 offset1:89
	s_waitcnt vmcnt(0)
	v_mul_f64 v[208:209], v[192:193], v[54:55]
	v_fmac_f64_e32 v[208:209], v[194:195], v[52:53]
	v_mul_f64 v[54:55], v[194:195], v[54:55]
	v_fma_f64 v[52:53], v[192:193], v[52:53], -v[54:55]
	s_waitcnt lgkmcnt(0)
	v_mul_f64 v[54:55], v[206:207], v[208:209]
	v_fma_f64 v[54:55], v[204:205], v[52:53], -v[54:55]
	v_mul_f64 v[204:205], v[204:205], v[208:209]
	v_fmac_f64_e32 v[204:205], v[206:207], v[52:53]
	v_add_f64 v[50:51], v[50:51], -v[204:205]
	ds_read2_b64 v[204:207], v202 offset0:90 offset1:91
	v_add_f64 v[48:49], v[48:49], -v[54:55]
	s_waitcnt lgkmcnt(0)
	v_mul_f64 v[54:55], v[206:207], v[208:209]
	v_fma_f64 v[54:55], v[204:205], v[52:53], -v[54:55]
	v_mul_f64 v[204:205], v[204:205], v[208:209]
	v_fmac_f64_e32 v[204:205], v[206:207], v[52:53]
	v_add_f64 v[46:47], v[46:47], -v[204:205]
	ds_read2_b64 v[204:207], v202 offset0:92 offset1:93
	v_add_f64 v[44:45], v[44:45], -v[54:55]
	;; [unrolled: 8-line block ×13, first 2 shown]
	s_waitcnt lgkmcnt(0)
	v_mul_f64 v[54:55], v[206:207], v[208:209]
	v_fma_f64 v[54:55], v[204:205], v[52:53], -v[54:55]
	v_mul_f64 v[204:205], v[204:205], v[208:209]
	v_fmac_f64_e32 v[204:205], v[206:207], v[52:53]
	v_add_f64 v[228:229], v[228:229], -v[54:55]
	v_add_f64 v[230:231], v[230:231], -v[204:205]
	v_mov_b64_e32 v[54:55], v[208:209]
.LBB115_397:
	s_or_b64 exec, exec, s[2:3]
	v_cmp_eq_u32_e32 vcc, 44, v200
	s_waitcnt vmcnt(63) expcnt(7) lgkmcnt(15)
	s_barrier
	s_and_saveexec_b64 s[4:5], vcc
	s_cbranch_execz .LBB115_404
; %bb.398:
	ds_write2_b64 v201, v[48:49], v[50:51] offset1:1
	ds_write2_b64 v202, v[44:45], v[46:47] offset0:90 offset1:91
	ds_write2_b64 v202, v[40:41], v[42:43] offset0:92 offset1:93
	ds_write2_b64 v202, v[36:37], v[38:39] offset0:94 offset1:95
	ds_write2_b64 v202, v[32:33], v[34:35] offset0:96 offset1:97
	ds_write2_b64 v202, v[28:29], v[30:31] offset0:98 offset1:99
	ds_write2_b64 v202, v[24:25], v[26:27] offset0:100 offset1:101
	ds_write2_b64 v202, v[20:21], v[22:23] offset0:102 offset1:103
	ds_write2_b64 v202, v[16:17], v[18:19] offset0:104 offset1:105
	ds_write2_b64 v202, v[12:13], v[14:15] offset0:106 offset1:107
	ds_write2_b64 v202, v[8:9], v[10:11] offset0:108 offset1:109
	ds_write2_b64 v202, v[4:5], v[6:7] offset0:110 offset1:111
	ds_write2_b64 v202, v[0:1], v[2:3] offset0:112 offset1:113
	s_waitcnt vmcnt(60)
	ds_write2_b64 v202, v[228:229], v[230:231] offset0:114 offset1:115
	ds_read2_b64 v[208:211], v201 offset1:1
	s_waitcnt lgkmcnt(0)
	v_cmp_neq_f64_e32 vcc, 0, v[208:209]
	v_cmp_neq_f64_e64 s[2:3], 0, v[210:211]
	s_or_b64 s[2:3], vcc, s[2:3]
	s_and_b64 exec, exec, s[2:3]
	s_cbranch_execz .LBB115_404
; %bb.399:
	v_cmp_ngt_f64_e64 s[2:3], |v[208:209]|, |v[210:211]|
                                        ; implicit-def: $vgpr204_vgpr205
	s_and_saveexec_b64 s[10:11], s[2:3]
	s_xor_b64 s[2:3], exec, s[10:11]
                                        ; implicit-def: $vgpr206_vgpr207
	s_cbranch_execz .LBB115_401
; %bb.400:
	v_div_scale_f64 v[204:205], s[10:11], v[210:211], v[210:211], v[208:209]
	v_rcp_f64_e32 v[206:207], v[204:205]
	v_div_scale_f64 v[212:213], vcc, v[208:209], v[210:211], v[208:209]
	v_fma_f64 v[214:215], -v[204:205], v[206:207], 1.0
	v_fmac_f64_e32 v[206:207], v[206:207], v[214:215]
	v_fma_f64 v[214:215], -v[204:205], v[206:207], 1.0
	v_fmac_f64_e32 v[206:207], v[206:207], v[214:215]
	v_mul_f64 v[214:215], v[212:213], v[206:207]
	v_fma_f64 v[204:205], -v[204:205], v[214:215], v[212:213]
	v_div_fmas_f64 v[204:205], v[204:205], v[206:207], v[214:215]
	v_div_fixup_f64 v[204:205], v[204:205], v[210:211], v[208:209]
	v_fmac_f64_e32 v[210:211], v[208:209], v[204:205]
	v_div_scale_f64 v[206:207], s[10:11], v[210:211], v[210:211], 1.0
	v_rcp_f64_e32 v[208:209], v[206:207]
	s_nop 0
	v_fma_f64 v[212:213], -v[206:207], v[208:209], 1.0
	v_fmac_f64_e32 v[208:209], v[208:209], v[212:213]
	v_fma_f64 v[212:213], -v[206:207], v[208:209], 1.0
	v_fmac_f64_e32 v[208:209], v[208:209], v[212:213]
	v_div_scale_f64 v[212:213], vcc, 1.0, v[210:211], 1.0
	v_mul_f64 v[214:215], v[212:213], v[208:209]
	v_fma_f64 v[206:207], -v[206:207], v[214:215], v[212:213]
	s_nop 1
	v_div_fmas_f64 v[206:207], v[206:207], v[208:209], v[214:215]
	v_div_fixup_f64 v[206:207], v[206:207], v[210:211], 1.0
	v_mul_f64 v[204:205], v[204:205], v[206:207]
	v_xor_b32_e32 v207, 0x80000000, v207
                                        ; implicit-def: $vgpr208_vgpr209
.LBB115_401:
	s_andn2_saveexec_b64 s[2:3], s[2:3]
	s_cbranch_execz .LBB115_403
; %bb.402:
	v_div_scale_f64 v[204:205], s[10:11], v[208:209], v[208:209], v[210:211]
	v_rcp_f64_e32 v[206:207], v[204:205]
	v_div_scale_f64 v[212:213], vcc, v[210:211], v[208:209], v[210:211]
	v_fma_f64 v[214:215], -v[204:205], v[206:207], 1.0
	v_fmac_f64_e32 v[206:207], v[206:207], v[214:215]
	v_fma_f64 v[214:215], -v[204:205], v[206:207], 1.0
	v_fmac_f64_e32 v[206:207], v[206:207], v[214:215]
	v_mul_f64 v[214:215], v[212:213], v[206:207]
	v_fma_f64 v[204:205], -v[204:205], v[214:215], v[212:213]
	v_div_fmas_f64 v[204:205], v[204:205], v[206:207], v[214:215]
	v_div_fixup_f64 v[206:207], v[204:205], v[208:209], v[210:211]
	v_fmac_f64_e32 v[208:209], v[210:211], v[206:207]
	v_div_scale_f64 v[204:205], s[10:11], v[208:209], v[208:209], 1.0
	v_rcp_f64_e32 v[210:211], v[204:205]
	s_nop 0
	v_fma_f64 v[212:213], -v[204:205], v[210:211], 1.0
	v_fmac_f64_e32 v[210:211], v[210:211], v[212:213]
	v_fma_f64 v[212:213], -v[204:205], v[210:211], 1.0
	v_fmac_f64_e32 v[210:211], v[210:211], v[212:213]
	v_div_scale_f64 v[212:213], vcc, 1.0, v[208:209], 1.0
	v_mul_f64 v[214:215], v[212:213], v[210:211]
	v_fma_f64 v[204:205], -v[204:205], v[214:215], v[212:213]
	s_nop 1
	v_div_fmas_f64 v[204:205], v[204:205], v[210:211], v[214:215]
	v_div_fixup_f64 v[204:205], v[204:205], v[208:209], 1.0
	v_mul_f64 v[206:207], v[206:207], -v[204:205]
.LBB115_403:
	s_or_b64 exec, exec, s[2:3]
	ds_write2_b64 v201, v[204:205], v[206:207] offset1:1
.LBB115_404:
	s_or_b64 exec, exec, s[4:5]
	s_waitcnt lgkmcnt(0)
	s_barrier
	ds_read2_b64 v[192:195], v201 offset1:1
	v_cmp_lt_u32_e32 vcc, 44, v200
	s_waitcnt lgkmcnt(0)
	scratch_store_dwordx4 off, v[192:195], off offset:1296 ; 16-byte Folded Spill
	s_and_saveexec_b64 s[2:3], vcc
	s_cbranch_execz .LBB115_406
; %bb.405:
	scratch_load_dwordx4 v[192:195], off, off offset:1296 ; 16-byte Folded Reload
	ds_read2_b64 v[204:207], v202 offset0:90 offset1:91
	s_waitcnt vmcnt(0)
	v_mul_f64 v[208:209], v[192:193], v[50:51]
	v_fmac_f64_e32 v[208:209], v[194:195], v[48:49]
	v_mul_f64 v[50:51], v[194:195], v[50:51]
	v_fma_f64 v[48:49], v[192:193], v[48:49], -v[50:51]
	s_waitcnt lgkmcnt(0)
	v_mul_f64 v[50:51], v[206:207], v[208:209]
	v_fma_f64 v[50:51], v[204:205], v[48:49], -v[50:51]
	v_mul_f64 v[204:205], v[204:205], v[208:209]
	v_fmac_f64_e32 v[204:205], v[206:207], v[48:49]
	v_add_f64 v[46:47], v[46:47], -v[204:205]
	ds_read2_b64 v[204:207], v202 offset0:92 offset1:93
	v_add_f64 v[44:45], v[44:45], -v[50:51]
	s_waitcnt lgkmcnt(0)
	v_mul_f64 v[50:51], v[206:207], v[208:209]
	v_fma_f64 v[50:51], v[204:205], v[48:49], -v[50:51]
	v_mul_f64 v[204:205], v[204:205], v[208:209]
	v_fmac_f64_e32 v[204:205], v[206:207], v[48:49]
	v_add_f64 v[42:43], v[42:43], -v[204:205]
	ds_read2_b64 v[204:207], v202 offset0:94 offset1:95
	v_add_f64 v[40:41], v[40:41], -v[50:51]
	;; [unrolled: 8-line block ×12, first 2 shown]
	s_waitcnt lgkmcnt(0)
	v_mul_f64 v[50:51], v[206:207], v[208:209]
	v_fma_f64 v[50:51], v[204:205], v[48:49], -v[50:51]
	v_mul_f64 v[204:205], v[204:205], v[208:209]
	v_fmac_f64_e32 v[204:205], v[206:207], v[48:49]
	v_add_f64 v[228:229], v[228:229], -v[50:51]
	v_add_f64 v[230:231], v[230:231], -v[204:205]
	v_mov_b64_e32 v[50:51], v[208:209]
.LBB115_406:
	s_or_b64 exec, exec, s[2:3]
	v_cmp_eq_u32_e32 vcc, 45, v200
	s_waitcnt vmcnt(63) expcnt(7) lgkmcnt(15)
	s_barrier
	s_and_saveexec_b64 s[4:5], vcc
	s_cbranch_execz .LBB115_413
; %bb.407:
	ds_write2_b64 v201, v[44:45], v[46:47] offset1:1
	ds_write2_b64 v202, v[40:41], v[42:43] offset0:92 offset1:93
	ds_write2_b64 v202, v[36:37], v[38:39] offset0:94 offset1:95
	;; [unrolled: 1-line block ×11, first 2 shown]
	s_waitcnt vmcnt(61)
	ds_write2_b64 v202, v[228:229], v[230:231] offset0:114 offset1:115
	ds_read2_b64 v[208:211], v201 offset1:1
	s_waitcnt lgkmcnt(0)
	v_cmp_neq_f64_e32 vcc, 0, v[208:209]
	v_cmp_neq_f64_e64 s[2:3], 0, v[210:211]
	s_or_b64 s[2:3], vcc, s[2:3]
	s_and_b64 exec, exec, s[2:3]
	s_cbranch_execz .LBB115_413
; %bb.408:
	v_cmp_ngt_f64_e64 s[2:3], |v[208:209]|, |v[210:211]|
                                        ; implicit-def: $vgpr204_vgpr205
	s_and_saveexec_b64 s[10:11], s[2:3]
	s_xor_b64 s[2:3], exec, s[10:11]
                                        ; implicit-def: $vgpr206_vgpr207
	s_cbranch_execz .LBB115_410
; %bb.409:
	v_div_scale_f64 v[204:205], s[10:11], v[210:211], v[210:211], v[208:209]
	v_rcp_f64_e32 v[206:207], v[204:205]
	v_div_scale_f64 v[212:213], vcc, v[208:209], v[210:211], v[208:209]
	v_fma_f64 v[214:215], -v[204:205], v[206:207], 1.0
	v_fmac_f64_e32 v[206:207], v[206:207], v[214:215]
	v_fma_f64 v[214:215], -v[204:205], v[206:207], 1.0
	v_fmac_f64_e32 v[206:207], v[206:207], v[214:215]
	v_mul_f64 v[214:215], v[212:213], v[206:207]
	v_fma_f64 v[204:205], -v[204:205], v[214:215], v[212:213]
	v_div_fmas_f64 v[204:205], v[204:205], v[206:207], v[214:215]
	v_div_fixup_f64 v[204:205], v[204:205], v[210:211], v[208:209]
	v_fmac_f64_e32 v[210:211], v[208:209], v[204:205]
	v_div_scale_f64 v[206:207], s[10:11], v[210:211], v[210:211], 1.0
	v_rcp_f64_e32 v[208:209], v[206:207]
	s_nop 0
	v_fma_f64 v[212:213], -v[206:207], v[208:209], 1.0
	v_fmac_f64_e32 v[208:209], v[208:209], v[212:213]
	v_fma_f64 v[212:213], -v[206:207], v[208:209], 1.0
	v_fmac_f64_e32 v[208:209], v[208:209], v[212:213]
	v_div_scale_f64 v[212:213], vcc, 1.0, v[210:211], 1.0
	v_mul_f64 v[214:215], v[212:213], v[208:209]
	v_fma_f64 v[206:207], -v[206:207], v[214:215], v[212:213]
	s_nop 1
	v_div_fmas_f64 v[206:207], v[206:207], v[208:209], v[214:215]
	v_div_fixup_f64 v[206:207], v[206:207], v[210:211], 1.0
	v_mul_f64 v[204:205], v[204:205], v[206:207]
	v_xor_b32_e32 v207, 0x80000000, v207
                                        ; implicit-def: $vgpr208_vgpr209
.LBB115_410:
	s_andn2_saveexec_b64 s[2:3], s[2:3]
	s_cbranch_execz .LBB115_412
; %bb.411:
	v_div_scale_f64 v[204:205], s[10:11], v[208:209], v[208:209], v[210:211]
	v_rcp_f64_e32 v[206:207], v[204:205]
	v_div_scale_f64 v[212:213], vcc, v[210:211], v[208:209], v[210:211]
	v_fma_f64 v[214:215], -v[204:205], v[206:207], 1.0
	v_fmac_f64_e32 v[206:207], v[206:207], v[214:215]
	v_fma_f64 v[214:215], -v[204:205], v[206:207], 1.0
	v_fmac_f64_e32 v[206:207], v[206:207], v[214:215]
	v_mul_f64 v[214:215], v[212:213], v[206:207]
	v_fma_f64 v[204:205], -v[204:205], v[214:215], v[212:213]
	v_div_fmas_f64 v[204:205], v[204:205], v[206:207], v[214:215]
	v_div_fixup_f64 v[206:207], v[204:205], v[208:209], v[210:211]
	v_fmac_f64_e32 v[208:209], v[210:211], v[206:207]
	v_div_scale_f64 v[204:205], s[10:11], v[208:209], v[208:209], 1.0
	v_rcp_f64_e32 v[210:211], v[204:205]
	s_nop 0
	v_fma_f64 v[212:213], -v[204:205], v[210:211], 1.0
	v_fmac_f64_e32 v[210:211], v[210:211], v[212:213]
	v_fma_f64 v[212:213], -v[204:205], v[210:211], 1.0
	v_fmac_f64_e32 v[210:211], v[210:211], v[212:213]
	v_div_scale_f64 v[212:213], vcc, 1.0, v[208:209], 1.0
	v_mul_f64 v[214:215], v[212:213], v[210:211]
	v_fma_f64 v[204:205], -v[204:205], v[214:215], v[212:213]
	s_nop 1
	v_div_fmas_f64 v[204:205], v[204:205], v[210:211], v[214:215]
	v_div_fixup_f64 v[204:205], v[204:205], v[208:209], 1.0
	v_mul_f64 v[206:207], v[206:207], -v[204:205]
.LBB115_412:
	s_or_b64 exec, exec, s[2:3]
	ds_write2_b64 v201, v[204:205], v[206:207] offset1:1
.LBB115_413:
	s_or_b64 exec, exec, s[4:5]
	s_waitcnt lgkmcnt(0)
	s_barrier
	ds_read2_b64 v[192:195], v201 offset1:1
	v_cmp_lt_u32_e32 vcc, 45, v200
	s_waitcnt lgkmcnt(0)
	scratch_store_dwordx4 off, v[192:195], off offset:1312 ; 16-byte Folded Spill
	s_and_saveexec_b64 s[2:3], vcc
	s_cbranch_execz .LBB115_415
; %bb.414:
	scratch_load_dwordx4 v[192:195], off, off offset:1312 ; 16-byte Folded Reload
	ds_read2_b64 v[204:207], v202 offset0:92 offset1:93
	s_waitcnt vmcnt(0)
	v_mul_f64 v[208:209], v[192:193], v[46:47]
	v_fmac_f64_e32 v[208:209], v[194:195], v[44:45]
	v_mul_f64 v[46:47], v[194:195], v[46:47]
	v_fma_f64 v[44:45], v[192:193], v[44:45], -v[46:47]
	s_waitcnt lgkmcnt(0)
	v_mul_f64 v[46:47], v[206:207], v[208:209]
	v_fma_f64 v[46:47], v[204:205], v[44:45], -v[46:47]
	v_mul_f64 v[204:205], v[204:205], v[208:209]
	v_fmac_f64_e32 v[204:205], v[206:207], v[44:45]
	v_add_f64 v[42:43], v[42:43], -v[204:205]
	ds_read2_b64 v[204:207], v202 offset0:94 offset1:95
	v_add_f64 v[40:41], v[40:41], -v[46:47]
	s_waitcnt lgkmcnt(0)
	v_mul_f64 v[46:47], v[206:207], v[208:209]
	v_fma_f64 v[46:47], v[204:205], v[44:45], -v[46:47]
	v_mul_f64 v[204:205], v[204:205], v[208:209]
	v_fmac_f64_e32 v[204:205], v[206:207], v[44:45]
	v_add_f64 v[38:39], v[38:39], -v[204:205]
	ds_read2_b64 v[204:207], v202 offset0:96 offset1:97
	v_add_f64 v[36:37], v[36:37], -v[46:47]
	;; [unrolled: 8-line block ×11, first 2 shown]
	s_waitcnt lgkmcnt(0)
	v_mul_f64 v[46:47], v[206:207], v[208:209]
	v_fma_f64 v[46:47], v[204:205], v[44:45], -v[46:47]
	v_mul_f64 v[204:205], v[204:205], v[208:209]
	v_fmac_f64_e32 v[204:205], v[206:207], v[44:45]
	v_add_f64 v[228:229], v[228:229], -v[46:47]
	v_add_f64 v[230:231], v[230:231], -v[204:205]
	v_mov_b64_e32 v[46:47], v[208:209]
.LBB115_415:
	s_or_b64 exec, exec, s[2:3]
	v_cmp_eq_u32_e32 vcc, 46, v200
	s_waitcnt vmcnt(63) expcnt(7) lgkmcnt(15)
	s_barrier
	s_and_saveexec_b64 s[4:5], vcc
	s_cbranch_execz .LBB115_422
; %bb.416:
	ds_write2_b64 v201, v[40:41], v[42:43] offset1:1
	ds_write2_b64 v202, v[36:37], v[38:39] offset0:94 offset1:95
	ds_write2_b64 v202, v[32:33], v[34:35] offset0:96 offset1:97
	;; [unrolled: 1-line block ×10, first 2 shown]
	s_waitcnt vmcnt(62)
	ds_write2_b64 v202, v[228:229], v[230:231] offset0:114 offset1:115
	ds_read2_b64 v[208:211], v201 offset1:1
	s_waitcnt lgkmcnt(0)
	v_cmp_neq_f64_e32 vcc, 0, v[208:209]
	v_cmp_neq_f64_e64 s[2:3], 0, v[210:211]
	s_or_b64 s[2:3], vcc, s[2:3]
	s_and_b64 exec, exec, s[2:3]
	s_cbranch_execz .LBB115_422
; %bb.417:
	v_cmp_ngt_f64_e64 s[2:3], |v[208:209]|, |v[210:211]|
                                        ; implicit-def: $vgpr204_vgpr205
	s_and_saveexec_b64 s[10:11], s[2:3]
	s_xor_b64 s[2:3], exec, s[10:11]
                                        ; implicit-def: $vgpr206_vgpr207
	s_cbranch_execz .LBB115_419
; %bb.418:
	v_div_scale_f64 v[204:205], s[10:11], v[210:211], v[210:211], v[208:209]
	v_rcp_f64_e32 v[206:207], v[204:205]
	v_div_scale_f64 v[212:213], vcc, v[208:209], v[210:211], v[208:209]
	v_fma_f64 v[214:215], -v[204:205], v[206:207], 1.0
	v_fmac_f64_e32 v[206:207], v[206:207], v[214:215]
	v_fma_f64 v[214:215], -v[204:205], v[206:207], 1.0
	v_fmac_f64_e32 v[206:207], v[206:207], v[214:215]
	v_mul_f64 v[214:215], v[212:213], v[206:207]
	v_fma_f64 v[204:205], -v[204:205], v[214:215], v[212:213]
	v_div_fmas_f64 v[204:205], v[204:205], v[206:207], v[214:215]
	v_div_fixup_f64 v[204:205], v[204:205], v[210:211], v[208:209]
	v_fmac_f64_e32 v[210:211], v[208:209], v[204:205]
	v_div_scale_f64 v[206:207], s[10:11], v[210:211], v[210:211], 1.0
	v_rcp_f64_e32 v[208:209], v[206:207]
	s_nop 0
	v_fma_f64 v[212:213], -v[206:207], v[208:209], 1.0
	v_fmac_f64_e32 v[208:209], v[208:209], v[212:213]
	v_fma_f64 v[212:213], -v[206:207], v[208:209], 1.0
	v_fmac_f64_e32 v[208:209], v[208:209], v[212:213]
	v_div_scale_f64 v[212:213], vcc, 1.0, v[210:211], 1.0
	v_mul_f64 v[214:215], v[212:213], v[208:209]
	v_fma_f64 v[206:207], -v[206:207], v[214:215], v[212:213]
	s_nop 1
	v_div_fmas_f64 v[206:207], v[206:207], v[208:209], v[214:215]
	v_div_fixup_f64 v[206:207], v[206:207], v[210:211], 1.0
	v_mul_f64 v[204:205], v[204:205], v[206:207]
	v_xor_b32_e32 v207, 0x80000000, v207
                                        ; implicit-def: $vgpr208_vgpr209
.LBB115_419:
	s_andn2_saveexec_b64 s[2:3], s[2:3]
	s_cbranch_execz .LBB115_421
; %bb.420:
	v_div_scale_f64 v[204:205], s[10:11], v[208:209], v[208:209], v[210:211]
	v_rcp_f64_e32 v[206:207], v[204:205]
	v_div_scale_f64 v[212:213], vcc, v[210:211], v[208:209], v[210:211]
	v_fma_f64 v[214:215], -v[204:205], v[206:207], 1.0
	v_fmac_f64_e32 v[206:207], v[206:207], v[214:215]
	v_fma_f64 v[214:215], -v[204:205], v[206:207], 1.0
	v_fmac_f64_e32 v[206:207], v[206:207], v[214:215]
	v_mul_f64 v[214:215], v[212:213], v[206:207]
	v_fma_f64 v[204:205], -v[204:205], v[214:215], v[212:213]
	v_div_fmas_f64 v[204:205], v[204:205], v[206:207], v[214:215]
	v_div_fixup_f64 v[206:207], v[204:205], v[208:209], v[210:211]
	v_fmac_f64_e32 v[208:209], v[210:211], v[206:207]
	v_div_scale_f64 v[204:205], s[10:11], v[208:209], v[208:209], 1.0
	v_rcp_f64_e32 v[210:211], v[204:205]
	s_nop 0
	v_fma_f64 v[212:213], -v[204:205], v[210:211], 1.0
	v_fmac_f64_e32 v[210:211], v[210:211], v[212:213]
	v_fma_f64 v[212:213], -v[204:205], v[210:211], 1.0
	v_fmac_f64_e32 v[210:211], v[210:211], v[212:213]
	v_div_scale_f64 v[212:213], vcc, 1.0, v[208:209], 1.0
	v_mul_f64 v[214:215], v[212:213], v[210:211]
	v_fma_f64 v[204:205], -v[204:205], v[214:215], v[212:213]
	s_nop 1
	v_div_fmas_f64 v[204:205], v[204:205], v[210:211], v[214:215]
	v_div_fixup_f64 v[204:205], v[204:205], v[208:209], 1.0
	v_mul_f64 v[206:207], v[206:207], -v[204:205]
.LBB115_421:
	s_or_b64 exec, exec, s[2:3]
	ds_write2_b64 v201, v[204:205], v[206:207] offset1:1
.LBB115_422:
	s_or_b64 exec, exec, s[4:5]
	s_waitcnt lgkmcnt(0)
	s_barrier
	ds_read2_b64 v[252:255], v201 offset1:1
	v_cmp_lt_u32_e32 vcc, 46, v200
	s_and_saveexec_b64 s[2:3], vcc
	s_cbranch_execz .LBB115_424
; %bb.423:
	ds_read2_b64 v[204:207], v202 offset0:94 offset1:95
	s_waitcnt lgkmcnt(1)
	v_mul_f64 v[208:209], v[252:253], v[42:43]
	v_fmac_f64_e32 v[208:209], v[254:255], v[40:41]
	v_mul_f64 v[42:43], v[254:255], v[42:43]
	v_fma_f64 v[40:41], v[252:253], v[40:41], -v[42:43]
	s_waitcnt lgkmcnt(0)
	v_mul_f64 v[42:43], v[206:207], v[208:209]
	v_fma_f64 v[42:43], v[204:205], v[40:41], -v[42:43]
	v_mul_f64 v[204:205], v[204:205], v[208:209]
	v_fmac_f64_e32 v[204:205], v[206:207], v[40:41]
	v_add_f64 v[38:39], v[38:39], -v[204:205]
	ds_read2_b64 v[204:207], v202 offset0:96 offset1:97
	v_add_f64 v[36:37], v[36:37], -v[42:43]
	s_waitcnt lgkmcnt(0)
	v_mul_f64 v[42:43], v[206:207], v[208:209]
	v_fma_f64 v[42:43], v[204:205], v[40:41], -v[42:43]
	v_mul_f64 v[204:205], v[204:205], v[208:209]
	v_fmac_f64_e32 v[204:205], v[206:207], v[40:41]
	v_add_f64 v[34:35], v[34:35], -v[204:205]
	ds_read2_b64 v[204:207], v202 offset0:98 offset1:99
	v_add_f64 v[32:33], v[32:33], -v[42:43]
	;; [unrolled: 8-line block ×10, first 2 shown]
	s_waitcnt lgkmcnt(0)
	v_mul_f64 v[42:43], v[206:207], v[208:209]
	v_fma_f64 v[42:43], v[204:205], v[40:41], -v[42:43]
	v_mul_f64 v[204:205], v[204:205], v[208:209]
	v_fmac_f64_e32 v[204:205], v[206:207], v[40:41]
	s_waitcnt vmcnt(62)
	v_add_f64 v[228:229], v[228:229], -v[42:43]
	v_add_f64 v[230:231], v[230:231], -v[204:205]
	v_mov_b64_e32 v[42:43], v[208:209]
.LBB115_424:
	s_or_b64 exec, exec, s[2:3]
	v_cmp_eq_u32_e32 vcc, 47, v200
	s_waitcnt lgkmcnt(0)
	s_barrier
	s_and_saveexec_b64 s[4:5], vcc
	s_cbranch_execz .LBB115_431
; %bb.425:
	ds_write2_b64 v201, v[36:37], v[38:39] offset1:1
	ds_write2_b64 v202, v[32:33], v[34:35] offset0:96 offset1:97
	ds_write2_b64 v202, v[28:29], v[30:31] offset0:98 offset1:99
	;; [unrolled: 1-line block ×9, first 2 shown]
	s_waitcnt vmcnt(62)
	ds_write2_b64 v202, v[228:229], v[230:231] offset0:114 offset1:115
	ds_read2_b64 v[208:211], v201 offset1:1
	s_waitcnt lgkmcnt(0)
	v_cmp_neq_f64_e32 vcc, 0, v[208:209]
	v_cmp_neq_f64_e64 s[2:3], 0, v[210:211]
	s_or_b64 s[2:3], vcc, s[2:3]
	s_and_b64 exec, exec, s[2:3]
	s_cbranch_execz .LBB115_431
; %bb.426:
	v_cmp_ngt_f64_e64 s[2:3], |v[208:209]|, |v[210:211]|
                                        ; implicit-def: $vgpr204_vgpr205
	s_and_saveexec_b64 s[10:11], s[2:3]
	s_xor_b64 s[2:3], exec, s[10:11]
                                        ; implicit-def: $vgpr206_vgpr207
	s_cbranch_execz .LBB115_428
; %bb.427:
	v_div_scale_f64 v[204:205], s[10:11], v[210:211], v[210:211], v[208:209]
	v_rcp_f64_e32 v[206:207], v[204:205]
	v_div_scale_f64 v[212:213], vcc, v[208:209], v[210:211], v[208:209]
	v_fma_f64 v[214:215], -v[204:205], v[206:207], 1.0
	v_fmac_f64_e32 v[206:207], v[206:207], v[214:215]
	v_fma_f64 v[214:215], -v[204:205], v[206:207], 1.0
	v_fmac_f64_e32 v[206:207], v[206:207], v[214:215]
	v_mul_f64 v[214:215], v[212:213], v[206:207]
	v_fma_f64 v[204:205], -v[204:205], v[214:215], v[212:213]
	v_div_fmas_f64 v[204:205], v[204:205], v[206:207], v[214:215]
	v_div_fixup_f64 v[204:205], v[204:205], v[210:211], v[208:209]
	v_fmac_f64_e32 v[210:211], v[208:209], v[204:205]
	v_div_scale_f64 v[206:207], s[10:11], v[210:211], v[210:211], 1.0
	v_rcp_f64_e32 v[208:209], v[206:207]
	s_nop 0
	v_fma_f64 v[212:213], -v[206:207], v[208:209], 1.0
	v_fmac_f64_e32 v[208:209], v[208:209], v[212:213]
	v_fma_f64 v[212:213], -v[206:207], v[208:209], 1.0
	v_fmac_f64_e32 v[208:209], v[208:209], v[212:213]
	v_div_scale_f64 v[212:213], vcc, 1.0, v[210:211], 1.0
	v_mul_f64 v[214:215], v[212:213], v[208:209]
	v_fma_f64 v[206:207], -v[206:207], v[214:215], v[212:213]
	s_nop 1
	v_div_fmas_f64 v[206:207], v[206:207], v[208:209], v[214:215]
	v_div_fixup_f64 v[206:207], v[206:207], v[210:211], 1.0
	v_mul_f64 v[204:205], v[204:205], v[206:207]
	v_xor_b32_e32 v207, 0x80000000, v207
                                        ; implicit-def: $vgpr208_vgpr209
.LBB115_428:
	s_andn2_saveexec_b64 s[2:3], s[2:3]
	s_cbranch_execz .LBB115_430
; %bb.429:
	v_div_scale_f64 v[204:205], s[10:11], v[208:209], v[208:209], v[210:211]
	v_rcp_f64_e32 v[206:207], v[204:205]
	v_div_scale_f64 v[212:213], vcc, v[210:211], v[208:209], v[210:211]
	v_fma_f64 v[214:215], -v[204:205], v[206:207], 1.0
	v_fmac_f64_e32 v[206:207], v[206:207], v[214:215]
	v_fma_f64 v[214:215], -v[204:205], v[206:207], 1.0
	v_fmac_f64_e32 v[206:207], v[206:207], v[214:215]
	v_mul_f64 v[214:215], v[212:213], v[206:207]
	v_fma_f64 v[204:205], -v[204:205], v[214:215], v[212:213]
	v_div_fmas_f64 v[204:205], v[204:205], v[206:207], v[214:215]
	v_div_fixup_f64 v[206:207], v[204:205], v[208:209], v[210:211]
	v_fmac_f64_e32 v[208:209], v[210:211], v[206:207]
	v_div_scale_f64 v[204:205], s[10:11], v[208:209], v[208:209], 1.0
	v_rcp_f64_e32 v[210:211], v[204:205]
	s_nop 0
	v_fma_f64 v[212:213], -v[204:205], v[210:211], 1.0
	v_fmac_f64_e32 v[210:211], v[210:211], v[212:213]
	v_fma_f64 v[212:213], -v[204:205], v[210:211], 1.0
	v_fmac_f64_e32 v[210:211], v[210:211], v[212:213]
	v_div_scale_f64 v[212:213], vcc, 1.0, v[208:209], 1.0
	v_mul_f64 v[214:215], v[212:213], v[210:211]
	v_fma_f64 v[204:205], -v[204:205], v[214:215], v[212:213]
	s_nop 1
	v_div_fmas_f64 v[204:205], v[204:205], v[210:211], v[214:215]
	v_div_fixup_f64 v[204:205], v[204:205], v[208:209], 1.0
	v_mul_f64 v[206:207], v[206:207], -v[204:205]
.LBB115_430:
	s_or_b64 exec, exec, s[2:3]
	ds_write2_b64 v201, v[204:205], v[206:207] offset1:1
.LBB115_431:
	s_or_b64 exec, exec, s[4:5]
	s_waitcnt lgkmcnt(0)
	s_barrier
	ds_read2_b64 v[232:235], v201 offset1:1
	v_cmp_lt_u32_e32 vcc, 47, v200
	s_and_saveexec_b64 s[2:3], vcc
	s_cbranch_execz .LBB115_433
; %bb.432:
	ds_read2_b64 v[204:207], v202 offset0:96 offset1:97
	s_waitcnt lgkmcnt(1)
	v_mul_f64 v[208:209], v[232:233], v[38:39]
	v_fmac_f64_e32 v[208:209], v[234:235], v[36:37]
	v_mul_f64 v[38:39], v[234:235], v[38:39]
	v_fma_f64 v[36:37], v[232:233], v[36:37], -v[38:39]
	s_waitcnt lgkmcnt(0)
	v_mul_f64 v[38:39], v[206:207], v[208:209]
	v_fma_f64 v[38:39], v[204:205], v[36:37], -v[38:39]
	v_mul_f64 v[204:205], v[204:205], v[208:209]
	v_fmac_f64_e32 v[204:205], v[206:207], v[36:37]
	v_add_f64 v[34:35], v[34:35], -v[204:205]
	ds_read2_b64 v[204:207], v202 offset0:98 offset1:99
	v_add_f64 v[32:33], v[32:33], -v[38:39]
	s_waitcnt lgkmcnt(0)
	v_mul_f64 v[38:39], v[206:207], v[208:209]
	v_fma_f64 v[38:39], v[204:205], v[36:37], -v[38:39]
	v_mul_f64 v[204:205], v[204:205], v[208:209]
	v_fmac_f64_e32 v[204:205], v[206:207], v[36:37]
	v_add_f64 v[30:31], v[30:31], -v[204:205]
	ds_read2_b64 v[204:207], v202 offset0:100 offset1:101
	v_add_f64 v[28:29], v[28:29], -v[38:39]
	;; [unrolled: 8-line block ×9, first 2 shown]
	s_waitcnt lgkmcnt(0)
	v_mul_f64 v[38:39], v[206:207], v[208:209]
	v_fma_f64 v[38:39], v[204:205], v[36:37], -v[38:39]
	v_mul_f64 v[204:205], v[204:205], v[208:209]
	v_fmac_f64_e32 v[204:205], v[206:207], v[36:37]
	s_waitcnt vmcnt(62)
	v_add_f64 v[228:229], v[228:229], -v[38:39]
	v_add_f64 v[230:231], v[230:231], -v[204:205]
	v_mov_b64_e32 v[38:39], v[208:209]
.LBB115_433:
	s_or_b64 exec, exec, s[2:3]
	v_cmp_eq_u32_e32 vcc, 48, v200
	s_waitcnt lgkmcnt(0)
	s_barrier
	s_and_saveexec_b64 s[4:5], vcc
	s_cbranch_execz .LBB115_440
; %bb.434:
	ds_write2_b64 v201, v[32:33], v[34:35] offset1:1
	ds_write2_b64 v202, v[28:29], v[30:31] offset0:98 offset1:99
	ds_write2_b64 v202, v[24:25], v[26:27] offset0:100 offset1:101
	;; [unrolled: 1-line block ×8, first 2 shown]
	s_waitcnt vmcnt(62)
	ds_write2_b64 v202, v[228:229], v[230:231] offset0:114 offset1:115
	ds_read2_b64 v[208:211], v201 offset1:1
	s_waitcnt lgkmcnt(0)
	v_cmp_neq_f64_e32 vcc, 0, v[208:209]
	v_cmp_neq_f64_e64 s[2:3], 0, v[210:211]
	s_or_b64 s[2:3], vcc, s[2:3]
	s_and_b64 exec, exec, s[2:3]
	s_cbranch_execz .LBB115_440
; %bb.435:
	v_cmp_ngt_f64_e64 s[2:3], |v[208:209]|, |v[210:211]|
                                        ; implicit-def: $vgpr204_vgpr205
	s_and_saveexec_b64 s[10:11], s[2:3]
	s_xor_b64 s[2:3], exec, s[10:11]
                                        ; implicit-def: $vgpr206_vgpr207
	s_cbranch_execz .LBB115_437
; %bb.436:
	v_div_scale_f64 v[204:205], s[10:11], v[210:211], v[210:211], v[208:209]
	v_rcp_f64_e32 v[206:207], v[204:205]
	v_div_scale_f64 v[212:213], vcc, v[208:209], v[210:211], v[208:209]
	v_fma_f64 v[214:215], -v[204:205], v[206:207], 1.0
	v_fmac_f64_e32 v[206:207], v[206:207], v[214:215]
	v_fma_f64 v[214:215], -v[204:205], v[206:207], 1.0
	v_fmac_f64_e32 v[206:207], v[206:207], v[214:215]
	v_mul_f64 v[214:215], v[212:213], v[206:207]
	v_fma_f64 v[204:205], -v[204:205], v[214:215], v[212:213]
	v_div_fmas_f64 v[204:205], v[204:205], v[206:207], v[214:215]
	v_div_fixup_f64 v[204:205], v[204:205], v[210:211], v[208:209]
	v_fmac_f64_e32 v[210:211], v[208:209], v[204:205]
	v_div_scale_f64 v[206:207], s[10:11], v[210:211], v[210:211], 1.0
	v_rcp_f64_e32 v[208:209], v[206:207]
	s_nop 0
	v_fma_f64 v[212:213], -v[206:207], v[208:209], 1.0
	v_fmac_f64_e32 v[208:209], v[208:209], v[212:213]
	v_fma_f64 v[212:213], -v[206:207], v[208:209], 1.0
	v_fmac_f64_e32 v[208:209], v[208:209], v[212:213]
	v_div_scale_f64 v[212:213], vcc, 1.0, v[210:211], 1.0
	v_mul_f64 v[214:215], v[212:213], v[208:209]
	v_fma_f64 v[206:207], -v[206:207], v[214:215], v[212:213]
	s_nop 1
	v_div_fmas_f64 v[206:207], v[206:207], v[208:209], v[214:215]
	v_div_fixup_f64 v[206:207], v[206:207], v[210:211], 1.0
	v_mul_f64 v[204:205], v[204:205], v[206:207]
	v_xor_b32_e32 v207, 0x80000000, v207
                                        ; implicit-def: $vgpr208_vgpr209
.LBB115_437:
	s_andn2_saveexec_b64 s[2:3], s[2:3]
	s_cbranch_execz .LBB115_439
; %bb.438:
	v_div_scale_f64 v[204:205], s[10:11], v[208:209], v[208:209], v[210:211]
	v_rcp_f64_e32 v[206:207], v[204:205]
	v_div_scale_f64 v[212:213], vcc, v[210:211], v[208:209], v[210:211]
	v_fma_f64 v[214:215], -v[204:205], v[206:207], 1.0
	v_fmac_f64_e32 v[206:207], v[206:207], v[214:215]
	v_fma_f64 v[214:215], -v[204:205], v[206:207], 1.0
	v_fmac_f64_e32 v[206:207], v[206:207], v[214:215]
	v_mul_f64 v[214:215], v[212:213], v[206:207]
	v_fma_f64 v[204:205], -v[204:205], v[214:215], v[212:213]
	v_div_fmas_f64 v[204:205], v[204:205], v[206:207], v[214:215]
	v_div_fixup_f64 v[206:207], v[204:205], v[208:209], v[210:211]
	v_fmac_f64_e32 v[208:209], v[210:211], v[206:207]
	v_div_scale_f64 v[204:205], s[10:11], v[208:209], v[208:209], 1.0
	v_rcp_f64_e32 v[210:211], v[204:205]
	s_nop 0
	v_fma_f64 v[212:213], -v[204:205], v[210:211], 1.0
	v_fmac_f64_e32 v[210:211], v[210:211], v[212:213]
	v_fma_f64 v[212:213], -v[204:205], v[210:211], 1.0
	v_fmac_f64_e32 v[210:211], v[210:211], v[212:213]
	v_div_scale_f64 v[212:213], vcc, 1.0, v[208:209], 1.0
	v_mul_f64 v[214:215], v[212:213], v[210:211]
	v_fma_f64 v[204:205], -v[204:205], v[214:215], v[212:213]
	s_nop 1
	v_div_fmas_f64 v[204:205], v[204:205], v[210:211], v[214:215]
	v_div_fixup_f64 v[204:205], v[204:205], v[208:209], 1.0
	v_mul_f64 v[206:207], v[206:207], -v[204:205]
.LBB115_439:
	s_or_b64 exec, exec, s[2:3]
	ds_write2_b64 v201, v[204:205], v[206:207] offset1:1
.LBB115_440:
	s_or_b64 exec, exec, s[4:5]
	s_waitcnt lgkmcnt(0)
	s_barrier
	ds_read2_b64 v[236:239], v201 offset1:1
	v_cmp_lt_u32_e32 vcc, 48, v200
	s_and_saveexec_b64 s[2:3], vcc
	s_cbranch_execz .LBB115_442
; %bb.441:
	ds_read2_b64 v[204:207], v202 offset0:98 offset1:99
	s_waitcnt lgkmcnt(1)
	v_mul_f64 v[208:209], v[236:237], v[34:35]
	v_fmac_f64_e32 v[208:209], v[238:239], v[32:33]
	v_mul_f64 v[34:35], v[238:239], v[34:35]
	v_fma_f64 v[32:33], v[236:237], v[32:33], -v[34:35]
	s_waitcnt lgkmcnt(0)
	v_mul_f64 v[34:35], v[206:207], v[208:209]
	v_fma_f64 v[34:35], v[204:205], v[32:33], -v[34:35]
	v_mul_f64 v[204:205], v[204:205], v[208:209]
	v_fmac_f64_e32 v[204:205], v[206:207], v[32:33]
	v_add_f64 v[30:31], v[30:31], -v[204:205]
	ds_read2_b64 v[204:207], v202 offset0:100 offset1:101
	v_add_f64 v[28:29], v[28:29], -v[34:35]
	s_waitcnt lgkmcnt(0)
	v_mul_f64 v[34:35], v[206:207], v[208:209]
	v_fma_f64 v[34:35], v[204:205], v[32:33], -v[34:35]
	v_mul_f64 v[204:205], v[204:205], v[208:209]
	v_fmac_f64_e32 v[204:205], v[206:207], v[32:33]
	v_add_f64 v[26:27], v[26:27], -v[204:205]
	ds_read2_b64 v[204:207], v202 offset0:102 offset1:103
	v_add_f64 v[24:25], v[24:25], -v[34:35]
	;; [unrolled: 8-line block ×8, first 2 shown]
	s_waitcnt lgkmcnt(0)
	v_mul_f64 v[34:35], v[206:207], v[208:209]
	v_fma_f64 v[34:35], v[204:205], v[32:33], -v[34:35]
	v_mul_f64 v[204:205], v[204:205], v[208:209]
	v_fmac_f64_e32 v[204:205], v[206:207], v[32:33]
	s_waitcnt vmcnt(62)
	v_add_f64 v[228:229], v[228:229], -v[34:35]
	v_add_f64 v[230:231], v[230:231], -v[204:205]
	v_mov_b64_e32 v[34:35], v[208:209]
.LBB115_442:
	s_or_b64 exec, exec, s[2:3]
	v_cmp_eq_u32_e32 vcc, 49, v200
	s_waitcnt lgkmcnt(0)
	s_barrier
	s_and_saveexec_b64 s[4:5], vcc
	s_cbranch_execz .LBB115_449
; %bb.443:
	ds_write2_b64 v201, v[28:29], v[30:31] offset1:1
	ds_write2_b64 v202, v[24:25], v[26:27] offset0:100 offset1:101
	ds_write2_b64 v202, v[20:21], v[22:23] offset0:102 offset1:103
	;; [unrolled: 1-line block ×7, first 2 shown]
	s_waitcnt vmcnt(62)
	ds_write2_b64 v202, v[228:229], v[230:231] offset0:114 offset1:115
	ds_read2_b64 v[208:211], v201 offset1:1
	s_waitcnt lgkmcnt(0)
	v_cmp_neq_f64_e32 vcc, 0, v[208:209]
	v_cmp_neq_f64_e64 s[2:3], 0, v[210:211]
	s_or_b64 s[2:3], vcc, s[2:3]
	s_and_b64 exec, exec, s[2:3]
	s_cbranch_execz .LBB115_449
; %bb.444:
	v_cmp_ngt_f64_e64 s[2:3], |v[208:209]|, |v[210:211]|
                                        ; implicit-def: $vgpr204_vgpr205
	s_and_saveexec_b64 s[10:11], s[2:3]
	s_xor_b64 s[2:3], exec, s[10:11]
                                        ; implicit-def: $vgpr206_vgpr207
	s_cbranch_execz .LBB115_446
; %bb.445:
	v_div_scale_f64 v[204:205], s[10:11], v[210:211], v[210:211], v[208:209]
	v_rcp_f64_e32 v[206:207], v[204:205]
	v_div_scale_f64 v[212:213], vcc, v[208:209], v[210:211], v[208:209]
	v_fma_f64 v[214:215], -v[204:205], v[206:207], 1.0
	v_fmac_f64_e32 v[206:207], v[206:207], v[214:215]
	v_fma_f64 v[214:215], -v[204:205], v[206:207], 1.0
	v_fmac_f64_e32 v[206:207], v[206:207], v[214:215]
	v_mul_f64 v[214:215], v[212:213], v[206:207]
	v_fma_f64 v[204:205], -v[204:205], v[214:215], v[212:213]
	v_div_fmas_f64 v[204:205], v[204:205], v[206:207], v[214:215]
	v_div_fixup_f64 v[204:205], v[204:205], v[210:211], v[208:209]
	v_fmac_f64_e32 v[210:211], v[208:209], v[204:205]
	v_div_scale_f64 v[206:207], s[10:11], v[210:211], v[210:211], 1.0
	v_rcp_f64_e32 v[208:209], v[206:207]
	s_nop 0
	v_fma_f64 v[212:213], -v[206:207], v[208:209], 1.0
	v_fmac_f64_e32 v[208:209], v[208:209], v[212:213]
	v_fma_f64 v[212:213], -v[206:207], v[208:209], 1.0
	v_fmac_f64_e32 v[208:209], v[208:209], v[212:213]
	v_div_scale_f64 v[212:213], vcc, 1.0, v[210:211], 1.0
	v_mul_f64 v[214:215], v[212:213], v[208:209]
	v_fma_f64 v[206:207], -v[206:207], v[214:215], v[212:213]
	s_nop 1
	v_div_fmas_f64 v[206:207], v[206:207], v[208:209], v[214:215]
	v_div_fixup_f64 v[206:207], v[206:207], v[210:211], 1.0
	v_mul_f64 v[204:205], v[204:205], v[206:207]
	v_xor_b32_e32 v207, 0x80000000, v207
                                        ; implicit-def: $vgpr208_vgpr209
.LBB115_446:
	s_andn2_saveexec_b64 s[2:3], s[2:3]
	s_cbranch_execz .LBB115_448
; %bb.447:
	v_div_scale_f64 v[204:205], s[10:11], v[208:209], v[208:209], v[210:211]
	v_rcp_f64_e32 v[206:207], v[204:205]
	v_div_scale_f64 v[212:213], vcc, v[210:211], v[208:209], v[210:211]
	v_fma_f64 v[214:215], -v[204:205], v[206:207], 1.0
	v_fmac_f64_e32 v[206:207], v[206:207], v[214:215]
	v_fma_f64 v[214:215], -v[204:205], v[206:207], 1.0
	v_fmac_f64_e32 v[206:207], v[206:207], v[214:215]
	v_mul_f64 v[214:215], v[212:213], v[206:207]
	v_fma_f64 v[204:205], -v[204:205], v[214:215], v[212:213]
	v_div_fmas_f64 v[204:205], v[204:205], v[206:207], v[214:215]
	v_div_fixup_f64 v[206:207], v[204:205], v[208:209], v[210:211]
	v_fmac_f64_e32 v[208:209], v[210:211], v[206:207]
	v_div_scale_f64 v[204:205], s[10:11], v[208:209], v[208:209], 1.0
	v_rcp_f64_e32 v[210:211], v[204:205]
	s_nop 0
	v_fma_f64 v[212:213], -v[204:205], v[210:211], 1.0
	v_fmac_f64_e32 v[210:211], v[210:211], v[212:213]
	v_fma_f64 v[212:213], -v[204:205], v[210:211], 1.0
	v_fmac_f64_e32 v[210:211], v[210:211], v[212:213]
	v_div_scale_f64 v[212:213], vcc, 1.0, v[208:209], 1.0
	v_mul_f64 v[214:215], v[212:213], v[210:211]
	v_fma_f64 v[204:205], -v[204:205], v[214:215], v[212:213]
	s_nop 1
	v_div_fmas_f64 v[204:205], v[204:205], v[210:211], v[214:215]
	v_div_fixup_f64 v[204:205], v[204:205], v[208:209], 1.0
	v_mul_f64 v[206:207], v[206:207], -v[204:205]
.LBB115_448:
	s_or_b64 exec, exec, s[2:3]
	ds_write2_b64 v201, v[204:205], v[206:207] offset1:1
.LBB115_449:
	s_or_b64 exec, exec, s[4:5]
	s_waitcnt lgkmcnt(0)
	s_barrier
	ds_read2_b64 v[192:195], v201 offset1:1
	v_cmp_lt_u32_e32 vcc, 49, v200
	s_waitcnt lgkmcnt(0)
	scratch_store_dwordx4 off, v[192:195], off offset:1328 ; 16-byte Folded Spill
	s_and_saveexec_b64 s[2:3], vcc
	s_cbranch_execz .LBB115_451
; %bb.450:
	scratch_load_dwordx4 v[192:195], off, off offset:1328 ; 16-byte Folded Reload
	ds_read2_b64 v[204:207], v202 offset0:100 offset1:101
	s_waitcnt vmcnt(0)
	v_mul_f64 v[208:209], v[192:193], v[30:31]
	v_fmac_f64_e32 v[208:209], v[194:195], v[28:29]
	v_mul_f64 v[30:31], v[194:195], v[30:31]
	v_fma_f64 v[28:29], v[192:193], v[28:29], -v[30:31]
	s_waitcnt lgkmcnt(0)
	v_mul_f64 v[30:31], v[206:207], v[208:209]
	v_fma_f64 v[30:31], v[204:205], v[28:29], -v[30:31]
	v_mul_f64 v[204:205], v[204:205], v[208:209]
	v_fmac_f64_e32 v[204:205], v[206:207], v[28:29]
	v_add_f64 v[26:27], v[26:27], -v[204:205]
	ds_read2_b64 v[204:207], v202 offset0:102 offset1:103
	v_add_f64 v[24:25], v[24:25], -v[30:31]
	s_waitcnt lgkmcnt(0)
	v_mul_f64 v[30:31], v[206:207], v[208:209]
	v_fma_f64 v[30:31], v[204:205], v[28:29], -v[30:31]
	v_mul_f64 v[204:205], v[204:205], v[208:209]
	v_fmac_f64_e32 v[204:205], v[206:207], v[28:29]
	v_add_f64 v[22:23], v[22:23], -v[204:205]
	ds_read2_b64 v[204:207], v202 offset0:104 offset1:105
	v_add_f64 v[20:21], v[20:21], -v[30:31]
	;; [unrolled: 8-line block ×7, first 2 shown]
	s_waitcnt lgkmcnt(0)
	v_mul_f64 v[30:31], v[206:207], v[208:209]
	v_fma_f64 v[30:31], v[204:205], v[28:29], -v[30:31]
	v_mul_f64 v[204:205], v[204:205], v[208:209]
	v_fmac_f64_e32 v[204:205], v[206:207], v[28:29]
	v_add_f64 v[228:229], v[228:229], -v[30:31]
	v_add_f64 v[230:231], v[230:231], -v[204:205]
	v_mov_b64_e32 v[30:31], v[208:209]
.LBB115_451:
	s_or_b64 exec, exec, s[2:3]
	v_cmp_eq_u32_e32 vcc, 50, v200
	s_waitcnt vmcnt(63) expcnt(7) lgkmcnt(15)
	s_barrier
	s_and_saveexec_b64 s[4:5], vcc
	s_cbranch_execz .LBB115_458
; %bb.452:
	ds_write2_b64 v201, v[24:25], v[26:27] offset1:1
	ds_write2_b64 v202, v[20:21], v[22:23] offset0:102 offset1:103
	ds_write2_b64 v202, v[16:17], v[18:19] offset0:104 offset1:105
	;; [unrolled: 1-line block ×7, first 2 shown]
	ds_read2_b64 v[208:211], v201 offset1:1
	s_waitcnt lgkmcnt(0)
	v_cmp_neq_f64_e32 vcc, 0, v[208:209]
	v_cmp_neq_f64_e64 s[2:3], 0, v[210:211]
	s_or_b64 s[2:3], vcc, s[2:3]
	s_and_b64 exec, exec, s[2:3]
	s_cbranch_execz .LBB115_458
; %bb.453:
	v_cmp_ngt_f64_e64 s[2:3], |v[208:209]|, |v[210:211]|
                                        ; implicit-def: $vgpr204_vgpr205
	s_and_saveexec_b64 s[10:11], s[2:3]
	s_xor_b64 s[2:3], exec, s[10:11]
                                        ; implicit-def: $vgpr206_vgpr207
	s_cbranch_execz .LBB115_455
; %bb.454:
	v_div_scale_f64 v[204:205], s[10:11], v[210:211], v[210:211], v[208:209]
	v_rcp_f64_e32 v[206:207], v[204:205]
	v_div_scale_f64 v[212:213], vcc, v[208:209], v[210:211], v[208:209]
	v_fma_f64 v[214:215], -v[204:205], v[206:207], 1.0
	v_fmac_f64_e32 v[206:207], v[206:207], v[214:215]
	v_fma_f64 v[214:215], -v[204:205], v[206:207], 1.0
	v_fmac_f64_e32 v[206:207], v[206:207], v[214:215]
	v_mul_f64 v[214:215], v[212:213], v[206:207]
	v_fma_f64 v[204:205], -v[204:205], v[214:215], v[212:213]
	v_div_fmas_f64 v[204:205], v[204:205], v[206:207], v[214:215]
	v_div_fixup_f64 v[204:205], v[204:205], v[210:211], v[208:209]
	v_fmac_f64_e32 v[210:211], v[208:209], v[204:205]
	v_div_scale_f64 v[206:207], s[10:11], v[210:211], v[210:211], 1.0
	v_rcp_f64_e32 v[208:209], v[206:207]
	s_nop 0
	v_fma_f64 v[212:213], -v[206:207], v[208:209], 1.0
	v_fmac_f64_e32 v[208:209], v[208:209], v[212:213]
	v_fma_f64 v[212:213], -v[206:207], v[208:209], 1.0
	v_fmac_f64_e32 v[208:209], v[208:209], v[212:213]
	v_div_scale_f64 v[212:213], vcc, 1.0, v[210:211], 1.0
	v_mul_f64 v[214:215], v[212:213], v[208:209]
	v_fma_f64 v[206:207], -v[206:207], v[214:215], v[212:213]
	s_nop 1
	v_div_fmas_f64 v[206:207], v[206:207], v[208:209], v[214:215]
	v_div_fixup_f64 v[206:207], v[206:207], v[210:211], 1.0
	v_mul_f64 v[204:205], v[204:205], v[206:207]
	v_xor_b32_e32 v207, 0x80000000, v207
                                        ; implicit-def: $vgpr208_vgpr209
.LBB115_455:
	s_andn2_saveexec_b64 s[2:3], s[2:3]
	s_cbranch_execz .LBB115_457
; %bb.456:
	v_div_scale_f64 v[204:205], s[10:11], v[208:209], v[208:209], v[210:211]
	v_rcp_f64_e32 v[206:207], v[204:205]
	v_div_scale_f64 v[212:213], vcc, v[210:211], v[208:209], v[210:211]
	v_fma_f64 v[214:215], -v[204:205], v[206:207], 1.0
	v_fmac_f64_e32 v[206:207], v[206:207], v[214:215]
	v_fma_f64 v[214:215], -v[204:205], v[206:207], 1.0
	v_fmac_f64_e32 v[206:207], v[206:207], v[214:215]
	v_mul_f64 v[214:215], v[212:213], v[206:207]
	v_fma_f64 v[204:205], -v[204:205], v[214:215], v[212:213]
	v_div_fmas_f64 v[204:205], v[204:205], v[206:207], v[214:215]
	v_div_fixup_f64 v[206:207], v[204:205], v[208:209], v[210:211]
	v_fmac_f64_e32 v[208:209], v[210:211], v[206:207]
	v_div_scale_f64 v[204:205], s[10:11], v[208:209], v[208:209], 1.0
	v_rcp_f64_e32 v[210:211], v[204:205]
	s_nop 0
	v_fma_f64 v[212:213], -v[204:205], v[210:211], 1.0
	v_fmac_f64_e32 v[210:211], v[210:211], v[212:213]
	v_fma_f64 v[212:213], -v[204:205], v[210:211], 1.0
	v_fmac_f64_e32 v[210:211], v[210:211], v[212:213]
	v_div_scale_f64 v[212:213], vcc, 1.0, v[208:209], 1.0
	v_mul_f64 v[214:215], v[212:213], v[210:211]
	v_fma_f64 v[204:205], -v[204:205], v[214:215], v[212:213]
	s_nop 1
	v_div_fmas_f64 v[204:205], v[204:205], v[210:211], v[214:215]
	v_div_fixup_f64 v[204:205], v[204:205], v[208:209], 1.0
	v_mul_f64 v[206:207], v[206:207], -v[204:205]
.LBB115_457:
	s_or_b64 exec, exec, s[2:3]
	ds_write2_b64 v201, v[204:205], v[206:207] offset1:1
.LBB115_458:
	s_or_b64 exec, exec, s[4:5]
	s_waitcnt lgkmcnt(0)
	s_barrier
	ds_read2_b64 v[240:243], v201 offset1:1
	v_cmp_lt_u32_e32 vcc, 50, v200
	s_and_saveexec_b64 s[2:3], vcc
	s_cbranch_execz .LBB115_460
; %bb.459:
	ds_read2_b64 v[204:207], v202 offset0:102 offset1:103
	s_waitcnt lgkmcnt(1)
	v_mul_f64 v[208:209], v[240:241], v[26:27]
	v_fmac_f64_e32 v[208:209], v[242:243], v[24:25]
	v_mul_f64 v[26:27], v[242:243], v[26:27]
	v_fma_f64 v[24:25], v[240:241], v[24:25], -v[26:27]
	s_waitcnt lgkmcnt(0)
	v_mul_f64 v[26:27], v[206:207], v[208:209]
	v_fma_f64 v[26:27], v[204:205], v[24:25], -v[26:27]
	v_mul_f64 v[204:205], v[204:205], v[208:209]
	v_fmac_f64_e32 v[204:205], v[206:207], v[24:25]
	v_add_f64 v[22:23], v[22:23], -v[204:205]
	ds_read2_b64 v[204:207], v202 offset0:104 offset1:105
	v_add_f64 v[20:21], v[20:21], -v[26:27]
	s_waitcnt lgkmcnt(0)
	v_mul_f64 v[26:27], v[206:207], v[208:209]
	v_fma_f64 v[26:27], v[204:205], v[24:25], -v[26:27]
	v_mul_f64 v[204:205], v[204:205], v[208:209]
	v_fmac_f64_e32 v[204:205], v[206:207], v[24:25]
	v_add_f64 v[18:19], v[18:19], -v[204:205]
	ds_read2_b64 v[204:207], v202 offset0:106 offset1:107
	v_add_f64 v[16:17], v[16:17], -v[26:27]
	;; [unrolled: 8-line block ×6, first 2 shown]
	s_waitcnt lgkmcnt(0)
	v_mul_f64 v[26:27], v[206:207], v[208:209]
	v_fma_f64 v[26:27], v[204:205], v[24:25], -v[26:27]
	v_mul_f64 v[204:205], v[204:205], v[208:209]
	v_fmac_f64_e32 v[204:205], v[206:207], v[24:25]
	v_add_f64 v[228:229], v[228:229], -v[26:27]
	v_add_f64 v[230:231], v[230:231], -v[204:205]
	v_mov_b64_e32 v[26:27], v[208:209]
.LBB115_460:
	s_or_b64 exec, exec, s[2:3]
	v_cmp_eq_u32_e32 vcc, 51, v200
	s_waitcnt lgkmcnt(0)
	s_barrier
	s_and_saveexec_b64 s[4:5], vcc
	s_cbranch_execz .LBB115_467
; %bb.461:
	ds_write2_b64 v201, v[20:21], v[22:23] offset1:1
	ds_write2_b64 v202, v[16:17], v[18:19] offset0:104 offset1:105
	ds_write2_b64 v202, v[12:13], v[14:15] offset0:106 offset1:107
	;; [unrolled: 1-line block ×6, first 2 shown]
	ds_read2_b64 v[208:211], v201 offset1:1
	s_waitcnt lgkmcnt(0)
	v_cmp_neq_f64_e32 vcc, 0, v[208:209]
	v_cmp_neq_f64_e64 s[2:3], 0, v[210:211]
	s_or_b64 s[2:3], vcc, s[2:3]
	s_and_b64 exec, exec, s[2:3]
	s_cbranch_execz .LBB115_467
; %bb.462:
	v_cmp_ngt_f64_e64 s[2:3], |v[208:209]|, |v[210:211]|
                                        ; implicit-def: $vgpr204_vgpr205
	s_and_saveexec_b64 s[10:11], s[2:3]
	s_xor_b64 s[2:3], exec, s[10:11]
                                        ; implicit-def: $vgpr206_vgpr207
	s_cbranch_execz .LBB115_464
; %bb.463:
	v_div_scale_f64 v[204:205], s[10:11], v[210:211], v[210:211], v[208:209]
	v_rcp_f64_e32 v[206:207], v[204:205]
	v_div_scale_f64 v[212:213], vcc, v[208:209], v[210:211], v[208:209]
	v_fma_f64 v[214:215], -v[204:205], v[206:207], 1.0
	v_fmac_f64_e32 v[206:207], v[206:207], v[214:215]
	v_fma_f64 v[214:215], -v[204:205], v[206:207], 1.0
	v_fmac_f64_e32 v[206:207], v[206:207], v[214:215]
	v_mul_f64 v[214:215], v[212:213], v[206:207]
	v_fma_f64 v[204:205], -v[204:205], v[214:215], v[212:213]
	v_div_fmas_f64 v[204:205], v[204:205], v[206:207], v[214:215]
	v_div_fixup_f64 v[204:205], v[204:205], v[210:211], v[208:209]
	v_fmac_f64_e32 v[210:211], v[208:209], v[204:205]
	v_div_scale_f64 v[206:207], s[10:11], v[210:211], v[210:211], 1.0
	v_rcp_f64_e32 v[208:209], v[206:207]
	s_nop 0
	v_fma_f64 v[212:213], -v[206:207], v[208:209], 1.0
	v_fmac_f64_e32 v[208:209], v[208:209], v[212:213]
	v_fma_f64 v[212:213], -v[206:207], v[208:209], 1.0
	v_fmac_f64_e32 v[208:209], v[208:209], v[212:213]
	v_div_scale_f64 v[212:213], vcc, 1.0, v[210:211], 1.0
	v_mul_f64 v[214:215], v[212:213], v[208:209]
	v_fma_f64 v[206:207], -v[206:207], v[214:215], v[212:213]
	s_nop 1
	v_div_fmas_f64 v[206:207], v[206:207], v[208:209], v[214:215]
	v_div_fixup_f64 v[206:207], v[206:207], v[210:211], 1.0
	v_mul_f64 v[204:205], v[204:205], v[206:207]
	v_xor_b32_e32 v207, 0x80000000, v207
                                        ; implicit-def: $vgpr208_vgpr209
.LBB115_464:
	s_andn2_saveexec_b64 s[2:3], s[2:3]
	s_cbranch_execz .LBB115_466
; %bb.465:
	v_div_scale_f64 v[204:205], s[10:11], v[208:209], v[208:209], v[210:211]
	v_rcp_f64_e32 v[206:207], v[204:205]
	v_div_scale_f64 v[212:213], vcc, v[210:211], v[208:209], v[210:211]
	v_fma_f64 v[214:215], -v[204:205], v[206:207], 1.0
	v_fmac_f64_e32 v[206:207], v[206:207], v[214:215]
	v_fma_f64 v[214:215], -v[204:205], v[206:207], 1.0
	v_fmac_f64_e32 v[206:207], v[206:207], v[214:215]
	v_mul_f64 v[214:215], v[212:213], v[206:207]
	v_fma_f64 v[204:205], -v[204:205], v[214:215], v[212:213]
	v_div_fmas_f64 v[204:205], v[204:205], v[206:207], v[214:215]
	v_div_fixup_f64 v[206:207], v[204:205], v[208:209], v[210:211]
	v_fmac_f64_e32 v[208:209], v[210:211], v[206:207]
	v_div_scale_f64 v[204:205], s[10:11], v[208:209], v[208:209], 1.0
	v_rcp_f64_e32 v[210:211], v[204:205]
	s_nop 0
	v_fma_f64 v[212:213], -v[204:205], v[210:211], 1.0
	v_fmac_f64_e32 v[210:211], v[210:211], v[212:213]
	v_fma_f64 v[212:213], -v[204:205], v[210:211], 1.0
	v_fmac_f64_e32 v[210:211], v[210:211], v[212:213]
	v_div_scale_f64 v[212:213], vcc, 1.0, v[208:209], 1.0
	v_mul_f64 v[214:215], v[212:213], v[210:211]
	v_fma_f64 v[204:205], -v[204:205], v[214:215], v[212:213]
	s_nop 1
	v_div_fmas_f64 v[204:205], v[204:205], v[210:211], v[214:215]
	v_div_fixup_f64 v[204:205], v[204:205], v[208:209], 1.0
	v_mul_f64 v[206:207], v[206:207], -v[204:205]
.LBB115_466:
	s_or_b64 exec, exec, s[2:3]
	ds_write2_b64 v201, v[204:205], v[206:207] offset1:1
.LBB115_467:
	s_or_b64 exec, exec, s[4:5]
	s_waitcnt lgkmcnt(0)
	s_barrier
	ds_read2_b64 v[244:247], v201 offset1:1
	v_cmp_lt_u32_e32 vcc, 51, v200
	s_and_saveexec_b64 s[2:3], vcc
	s_cbranch_execz .LBB115_469
; %bb.468:
	ds_read2_b64 v[204:207], v202 offset0:104 offset1:105
	s_waitcnt lgkmcnt(1)
	v_mul_f64 v[208:209], v[244:245], v[22:23]
	v_fmac_f64_e32 v[208:209], v[246:247], v[20:21]
	v_mul_f64 v[22:23], v[246:247], v[22:23]
	v_fma_f64 v[20:21], v[244:245], v[20:21], -v[22:23]
	s_waitcnt lgkmcnt(0)
	v_mul_f64 v[22:23], v[206:207], v[208:209]
	v_fma_f64 v[22:23], v[204:205], v[20:21], -v[22:23]
	v_mul_f64 v[204:205], v[204:205], v[208:209]
	v_fmac_f64_e32 v[204:205], v[206:207], v[20:21]
	v_add_f64 v[18:19], v[18:19], -v[204:205]
	ds_read2_b64 v[204:207], v202 offset0:106 offset1:107
	v_add_f64 v[16:17], v[16:17], -v[22:23]
	s_waitcnt lgkmcnt(0)
	v_mul_f64 v[22:23], v[206:207], v[208:209]
	v_fma_f64 v[22:23], v[204:205], v[20:21], -v[22:23]
	v_mul_f64 v[204:205], v[204:205], v[208:209]
	v_fmac_f64_e32 v[204:205], v[206:207], v[20:21]
	v_add_f64 v[14:15], v[14:15], -v[204:205]
	ds_read2_b64 v[204:207], v202 offset0:108 offset1:109
	v_add_f64 v[12:13], v[12:13], -v[22:23]
	;; [unrolled: 8-line block ×5, first 2 shown]
	s_waitcnt lgkmcnt(0)
	v_mul_f64 v[22:23], v[206:207], v[208:209]
	v_fma_f64 v[22:23], v[204:205], v[20:21], -v[22:23]
	v_mul_f64 v[204:205], v[204:205], v[208:209]
	v_fmac_f64_e32 v[204:205], v[206:207], v[20:21]
	v_add_f64 v[228:229], v[228:229], -v[22:23]
	v_add_f64 v[230:231], v[230:231], -v[204:205]
	v_mov_b64_e32 v[22:23], v[208:209]
.LBB115_469:
	s_or_b64 exec, exec, s[2:3]
	v_cmp_eq_u32_e32 vcc, 52, v200
	s_waitcnt lgkmcnt(0)
	s_barrier
	s_and_saveexec_b64 s[4:5], vcc
	s_cbranch_execz .LBB115_476
; %bb.470:
	ds_write2_b64 v201, v[16:17], v[18:19] offset1:1
	ds_write2_b64 v202, v[12:13], v[14:15] offset0:106 offset1:107
	ds_write2_b64 v202, v[8:9], v[10:11] offset0:108 offset1:109
	;; [unrolled: 1-line block ×5, first 2 shown]
	ds_read2_b64 v[208:211], v201 offset1:1
	s_waitcnt lgkmcnt(0)
	v_cmp_neq_f64_e32 vcc, 0, v[208:209]
	v_cmp_neq_f64_e64 s[2:3], 0, v[210:211]
	s_or_b64 s[2:3], vcc, s[2:3]
	s_and_b64 exec, exec, s[2:3]
	s_cbranch_execz .LBB115_476
; %bb.471:
	v_cmp_ngt_f64_e64 s[2:3], |v[208:209]|, |v[210:211]|
                                        ; implicit-def: $vgpr204_vgpr205
	s_and_saveexec_b64 s[10:11], s[2:3]
	s_xor_b64 s[2:3], exec, s[10:11]
                                        ; implicit-def: $vgpr206_vgpr207
	s_cbranch_execz .LBB115_473
; %bb.472:
	v_div_scale_f64 v[204:205], s[10:11], v[210:211], v[210:211], v[208:209]
	v_rcp_f64_e32 v[206:207], v[204:205]
	v_div_scale_f64 v[212:213], vcc, v[208:209], v[210:211], v[208:209]
	v_fma_f64 v[214:215], -v[204:205], v[206:207], 1.0
	v_fmac_f64_e32 v[206:207], v[206:207], v[214:215]
	v_fma_f64 v[214:215], -v[204:205], v[206:207], 1.0
	v_fmac_f64_e32 v[206:207], v[206:207], v[214:215]
	v_mul_f64 v[214:215], v[212:213], v[206:207]
	v_fma_f64 v[204:205], -v[204:205], v[214:215], v[212:213]
	v_div_fmas_f64 v[204:205], v[204:205], v[206:207], v[214:215]
	v_div_fixup_f64 v[204:205], v[204:205], v[210:211], v[208:209]
	v_fmac_f64_e32 v[210:211], v[208:209], v[204:205]
	v_div_scale_f64 v[206:207], s[10:11], v[210:211], v[210:211], 1.0
	v_rcp_f64_e32 v[208:209], v[206:207]
	s_nop 0
	v_fma_f64 v[212:213], -v[206:207], v[208:209], 1.0
	v_fmac_f64_e32 v[208:209], v[208:209], v[212:213]
	v_fma_f64 v[212:213], -v[206:207], v[208:209], 1.0
	v_fmac_f64_e32 v[208:209], v[208:209], v[212:213]
	v_div_scale_f64 v[212:213], vcc, 1.0, v[210:211], 1.0
	v_mul_f64 v[214:215], v[212:213], v[208:209]
	v_fma_f64 v[206:207], -v[206:207], v[214:215], v[212:213]
	s_nop 1
	v_div_fmas_f64 v[206:207], v[206:207], v[208:209], v[214:215]
	v_div_fixup_f64 v[206:207], v[206:207], v[210:211], 1.0
	v_mul_f64 v[204:205], v[204:205], v[206:207]
	v_xor_b32_e32 v207, 0x80000000, v207
                                        ; implicit-def: $vgpr208_vgpr209
.LBB115_473:
	s_andn2_saveexec_b64 s[2:3], s[2:3]
	s_cbranch_execz .LBB115_475
; %bb.474:
	v_div_scale_f64 v[204:205], s[10:11], v[208:209], v[208:209], v[210:211]
	v_rcp_f64_e32 v[206:207], v[204:205]
	v_div_scale_f64 v[212:213], vcc, v[210:211], v[208:209], v[210:211]
	v_fma_f64 v[214:215], -v[204:205], v[206:207], 1.0
	v_fmac_f64_e32 v[206:207], v[206:207], v[214:215]
	v_fma_f64 v[214:215], -v[204:205], v[206:207], 1.0
	v_fmac_f64_e32 v[206:207], v[206:207], v[214:215]
	v_mul_f64 v[214:215], v[212:213], v[206:207]
	v_fma_f64 v[204:205], -v[204:205], v[214:215], v[212:213]
	v_div_fmas_f64 v[204:205], v[204:205], v[206:207], v[214:215]
	v_div_fixup_f64 v[206:207], v[204:205], v[208:209], v[210:211]
	v_fmac_f64_e32 v[208:209], v[210:211], v[206:207]
	v_div_scale_f64 v[204:205], s[10:11], v[208:209], v[208:209], 1.0
	v_rcp_f64_e32 v[210:211], v[204:205]
	s_nop 0
	v_fma_f64 v[212:213], -v[204:205], v[210:211], 1.0
	v_fmac_f64_e32 v[210:211], v[210:211], v[212:213]
	v_fma_f64 v[212:213], -v[204:205], v[210:211], 1.0
	v_fmac_f64_e32 v[210:211], v[210:211], v[212:213]
	v_div_scale_f64 v[212:213], vcc, 1.0, v[208:209], 1.0
	v_mul_f64 v[214:215], v[212:213], v[210:211]
	v_fma_f64 v[204:205], -v[204:205], v[214:215], v[212:213]
	s_nop 1
	v_div_fmas_f64 v[204:205], v[204:205], v[210:211], v[214:215]
	v_div_fixup_f64 v[204:205], v[204:205], v[208:209], 1.0
	v_mul_f64 v[206:207], v[206:207], -v[204:205]
.LBB115_475:
	s_or_b64 exec, exec, s[2:3]
	ds_write2_b64 v201, v[204:205], v[206:207] offset1:1
.LBB115_476:
	s_or_b64 exec, exec, s[4:5]
	s_waitcnt lgkmcnt(0)
	s_barrier
	ds_read2_b64 v[224:227], v201 offset1:1
	v_cmp_lt_u32_e32 vcc, 52, v200
	s_and_saveexec_b64 s[2:3], vcc
	s_cbranch_execz .LBB115_478
; %bb.477:
	ds_read2_b64 v[204:207], v202 offset0:106 offset1:107
	s_waitcnt lgkmcnt(1)
	v_mul_f64 v[208:209], v[224:225], v[18:19]
	v_fmac_f64_e32 v[208:209], v[226:227], v[16:17]
	v_mul_f64 v[18:19], v[226:227], v[18:19]
	v_fma_f64 v[16:17], v[224:225], v[16:17], -v[18:19]
	s_waitcnt lgkmcnt(0)
	v_mul_f64 v[18:19], v[206:207], v[208:209]
	v_fma_f64 v[18:19], v[204:205], v[16:17], -v[18:19]
	v_mul_f64 v[204:205], v[204:205], v[208:209]
	v_fmac_f64_e32 v[204:205], v[206:207], v[16:17]
	v_add_f64 v[14:15], v[14:15], -v[204:205]
	ds_read2_b64 v[204:207], v202 offset0:108 offset1:109
	v_add_f64 v[12:13], v[12:13], -v[18:19]
	s_waitcnt lgkmcnt(0)
	v_mul_f64 v[18:19], v[206:207], v[208:209]
	v_fma_f64 v[18:19], v[204:205], v[16:17], -v[18:19]
	v_mul_f64 v[204:205], v[204:205], v[208:209]
	v_fmac_f64_e32 v[204:205], v[206:207], v[16:17]
	v_add_f64 v[10:11], v[10:11], -v[204:205]
	ds_read2_b64 v[204:207], v202 offset0:110 offset1:111
	v_add_f64 v[8:9], v[8:9], -v[18:19]
	;; [unrolled: 8-line block ×4, first 2 shown]
	s_waitcnt lgkmcnt(0)
	v_mul_f64 v[18:19], v[206:207], v[208:209]
	v_fma_f64 v[18:19], v[204:205], v[16:17], -v[18:19]
	v_mul_f64 v[204:205], v[204:205], v[208:209]
	v_fmac_f64_e32 v[204:205], v[206:207], v[16:17]
	v_add_f64 v[228:229], v[228:229], -v[18:19]
	v_add_f64 v[230:231], v[230:231], -v[204:205]
	v_mov_b64_e32 v[18:19], v[208:209]
.LBB115_478:
	s_or_b64 exec, exec, s[2:3]
	v_cmp_eq_u32_e32 vcc, 53, v200
	s_waitcnt lgkmcnt(0)
	s_barrier
	s_and_saveexec_b64 s[4:5], vcc
	s_cbranch_execz .LBB115_485
; %bb.479:
	ds_write2_b64 v201, v[12:13], v[14:15] offset1:1
	ds_write2_b64 v202, v[8:9], v[10:11] offset0:108 offset1:109
	ds_write2_b64 v202, v[4:5], v[6:7] offset0:110 offset1:111
	;; [unrolled: 1-line block ×4, first 2 shown]
	ds_read2_b64 v[208:211], v201 offset1:1
	s_waitcnt lgkmcnt(0)
	v_cmp_neq_f64_e32 vcc, 0, v[208:209]
	v_cmp_neq_f64_e64 s[2:3], 0, v[210:211]
	s_or_b64 s[2:3], vcc, s[2:3]
	s_and_b64 exec, exec, s[2:3]
	s_cbranch_execz .LBB115_485
; %bb.480:
	v_cmp_ngt_f64_e64 s[2:3], |v[208:209]|, |v[210:211]|
                                        ; implicit-def: $vgpr204_vgpr205
	s_and_saveexec_b64 s[10:11], s[2:3]
	s_xor_b64 s[2:3], exec, s[10:11]
                                        ; implicit-def: $vgpr206_vgpr207
	s_cbranch_execz .LBB115_482
; %bb.481:
	v_div_scale_f64 v[204:205], s[10:11], v[210:211], v[210:211], v[208:209]
	v_rcp_f64_e32 v[206:207], v[204:205]
	v_div_scale_f64 v[212:213], vcc, v[208:209], v[210:211], v[208:209]
	v_fma_f64 v[214:215], -v[204:205], v[206:207], 1.0
	v_fmac_f64_e32 v[206:207], v[206:207], v[214:215]
	v_fma_f64 v[214:215], -v[204:205], v[206:207], 1.0
	v_fmac_f64_e32 v[206:207], v[206:207], v[214:215]
	v_mul_f64 v[214:215], v[212:213], v[206:207]
	v_fma_f64 v[204:205], -v[204:205], v[214:215], v[212:213]
	v_div_fmas_f64 v[204:205], v[204:205], v[206:207], v[214:215]
	v_div_fixup_f64 v[204:205], v[204:205], v[210:211], v[208:209]
	v_fmac_f64_e32 v[210:211], v[208:209], v[204:205]
	v_div_scale_f64 v[206:207], s[10:11], v[210:211], v[210:211], 1.0
	v_rcp_f64_e32 v[208:209], v[206:207]
	s_nop 0
	v_fma_f64 v[212:213], -v[206:207], v[208:209], 1.0
	v_fmac_f64_e32 v[208:209], v[208:209], v[212:213]
	v_fma_f64 v[212:213], -v[206:207], v[208:209], 1.0
	v_fmac_f64_e32 v[208:209], v[208:209], v[212:213]
	v_div_scale_f64 v[212:213], vcc, 1.0, v[210:211], 1.0
	v_mul_f64 v[214:215], v[212:213], v[208:209]
	v_fma_f64 v[206:207], -v[206:207], v[214:215], v[212:213]
	s_nop 1
	v_div_fmas_f64 v[206:207], v[206:207], v[208:209], v[214:215]
	v_div_fixup_f64 v[206:207], v[206:207], v[210:211], 1.0
	v_mul_f64 v[204:205], v[204:205], v[206:207]
	v_xor_b32_e32 v207, 0x80000000, v207
                                        ; implicit-def: $vgpr208_vgpr209
.LBB115_482:
	s_andn2_saveexec_b64 s[2:3], s[2:3]
	s_cbranch_execz .LBB115_484
; %bb.483:
	v_div_scale_f64 v[204:205], s[10:11], v[208:209], v[208:209], v[210:211]
	v_rcp_f64_e32 v[206:207], v[204:205]
	v_div_scale_f64 v[212:213], vcc, v[210:211], v[208:209], v[210:211]
	v_fma_f64 v[214:215], -v[204:205], v[206:207], 1.0
	v_fmac_f64_e32 v[206:207], v[206:207], v[214:215]
	v_fma_f64 v[214:215], -v[204:205], v[206:207], 1.0
	v_fmac_f64_e32 v[206:207], v[206:207], v[214:215]
	v_mul_f64 v[214:215], v[212:213], v[206:207]
	v_fma_f64 v[204:205], -v[204:205], v[214:215], v[212:213]
	v_div_fmas_f64 v[204:205], v[204:205], v[206:207], v[214:215]
	v_div_fixup_f64 v[206:207], v[204:205], v[208:209], v[210:211]
	v_fmac_f64_e32 v[208:209], v[210:211], v[206:207]
	v_div_scale_f64 v[204:205], s[10:11], v[208:209], v[208:209], 1.0
	v_rcp_f64_e32 v[210:211], v[204:205]
	s_nop 0
	v_fma_f64 v[212:213], -v[204:205], v[210:211], 1.0
	v_fmac_f64_e32 v[210:211], v[210:211], v[212:213]
	v_fma_f64 v[212:213], -v[204:205], v[210:211], 1.0
	v_fmac_f64_e32 v[210:211], v[210:211], v[212:213]
	v_div_scale_f64 v[212:213], vcc, 1.0, v[208:209], 1.0
	v_mul_f64 v[214:215], v[212:213], v[210:211]
	v_fma_f64 v[204:205], -v[204:205], v[214:215], v[212:213]
	s_nop 1
	v_div_fmas_f64 v[204:205], v[204:205], v[210:211], v[214:215]
	v_div_fixup_f64 v[204:205], v[204:205], v[208:209], 1.0
	v_mul_f64 v[206:207], v[206:207], -v[204:205]
.LBB115_484:
	s_or_b64 exec, exec, s[2:3]
	ds_write2_b64 v201, v[204:205], v[206:207] offset1:1
.LBB115_485:
	s_or_b64 exec, exec, s[4:5]
	s_waitcnt lgkmcnt(0)
	s_barrier
	ds_read2_b64 v[220:223], v201 offset1:1
	v_cmp_lt_u32_e32 vcc, 53, v200
	s_and_saveexec_b64 s[2:3], vcc
	s_cbranch_execz .LBB115_487
; %bb.486:
	ds_read2_b64 v[204:207], v202 offset0:108 offset1:109
	s_waitcnt lgkmcnt(1)
	v_mul_f64 v[208:209], v[220:221], v[14:15]
	v_fmac_f64_e32 v[208:209], v[222:223], v[12:13]
	v_mul_f64 v[14:15], v[222:223], v[14:15]
	v_fma_f64 v[12:13], v[220:221], v[12:13], -v[14:15]
	s_waitcnt lgkmcnt(0)
	v_mul_f64 v[14:15], v[206:207], v[208:209]
	v_fma_f64 v[14:15], v[204:205], v[12:13], -v[14:15]
	v_mul_f64 v[204:205], v[204:205], v[208:209]
	v_fmac_f64_e32 v[204:205], v[206:207], v[12:13]
	v_add_f64 v[10:11], v[10:11], -v[204:205]
	ds_read2_b64 v[204:207], v202 offset0:110 offset1:111
	v_add_f64 v[8:9], v[8:9], -v[14:15]
	s_waitcnt lgkmcnt(0)
	v_mul_f64 v[14:15], v[206:207], v[208:209]
	v_fma_f64 v[14:15], v[204:205], v[12:13], -v[14:15]
	v_mul_f64 v[204:205], v[204:205], v[208:209]
	v_fmac_f64_e32 v[204:205], v[206:207], v[12:13]
	v_add_f64 v[6:7], v[6:7], -v[204:205]
	ds_read2_b64 v[204:207], v202 offset0:112 offset1:113
	v_add_f64 v[4:5], v[4:5], -v[14:15]
	;; [unrolled: 8-line block ×3, first 2 shown]
	s_waitcnt lgkmcnt(0)
	v_mul_f64 v[14:15], v[206:207], v[208:209]
	v_fma_f64 v[14:15], v[204:205], v[12:13], -v[14:15]
	v_mul_f64 v[204:205], v[204:205], v[208:209]
	v_fmac_f64_e32 v[204:205], v[206:207], v[12:13]
	v_add_f64 v[228:229], v[228:229], -v[14:15]
	v_add_f64 v[230:231], v[230:231], -v[204:205]
	v_mov_b64_e32 v[14:15], v[208:209]
.LBB115_487:
	s_or_b64 exec, exec, s[2:3]
	v_cmp_eq_u32_e32 vcc, 54, v200
	s_waitcnt lgkmcnt(0)
	s_barrier
	s_and_saveexec_b64 s[4:5], vcc
	s_cbranch_execz .LBB115_494
; %bb.488:
	ds_write2_b64 v201, v[8:9], v[10:11] offset1:1
	ds_write2_b64 v202, v[4:5], v[6:7] offset0:110 offset1:111
	ds_write2_b64 v202, v[0:1], v[2:3] offset0:112 offset1:113
	;; [unrolled: 1-line block ×3, first 2 shown]
	ds_read2_b64 v[208:211], v201 offset1:1
	s_waitcnt lgkmcnt(0)
	v_cmp_neq_f64_e32 vcc, 0, v[208:209]
	v_cmp_neq_f64_e64 s[2:3], 0, v[210:211]
	s_or_b64 s[2:3], vcc, s[2:3]
	s_and_b64 exec, exec, s[2:3]
	s_cbranch_execz .LBB115_494
; %bb.489:
	v_cmp_ngt_f64_e64 s[2:3], |v[208:209]|, |v[210:211]|
                                        ; implicit-def: $vgpr204_vgpr205
	s_and_saveexec_b64 s[10:11], s[2:3]
	s_xor_b64 s[2:3], exec, s[10:11]
                                        ; implicit-def: $vgpr206_vgpr207
	s_cbranch_execz .LBB115_491
; %bb.490:
	v_div_scale_f64 v[204:205], s[10:11], v[210:211], v[210:211], v[208:209]
	v_rcp_f64_e32 v[206:207], v[204:205]
	v_div_scale_f64 v[212:213], vcc, v[208:209], v[210:211], v[208:209]
	v_fma_f64 v[214:215], -v[204:205], v[206:207], 1.0
	v_fmac_f64_e32 v[206:207], v[206:207], v[214:215]
	v_fma_f64 v[214:215], -v[204:205], v[206:207], 1.0
	v_fmac_f64_e32 v[206:207], v[206:207], v[214:215]
	v_mul_f64 v[214:215], v[212:213], v[206:207]
	v_fma_f64 v[204:205], -v[204:205], v[214:215], v[212:213]
	v_div_fmas_f64 v[204:205], v[204:205], v[206:207], v[214:215]
	v_div_fixup_f64 v[204:205], v[204:205], v[210:211], v[208:209]
	v_fmac_f64_e32 v[210:211], v[208:209], v[204:205]
	v_div_scale_f64 v[206:207], s[10:11], v[210:211], v[210:211], 1.0
	v_rcp_f64_e32 v[208:209], v[206:207]
	s_nop 0
	v_fma_f64 v[212:213], -v[206:207], v[208:209], 1.0
	v_fmac_f64_e32 v[208:209], v[208:209], v[212:213]
	v_fma_f64 v[212:213], -v[206:207], v[208:209], 1.0
	v_fmac_f64_e32 v[208:209], v[208:209], v[212:213]
	v_div_scale_f64 v[212:213], vcc, 1.0, v[210:211], 1.0
	v_mul_f64 v[214:215], v[212:213], v[208:209]
	v_fma_f64 v[206:207], -v[206:207], v[214:215], v[212:213]
	s_nop 1
	v_div_fmas_f64 v[206:207], v[206:207], v[208:209], v[214:215]
	v_div_fixup_f64 v[206:207], v[206:207], v[210:211], 1.0
	v_mul_f64 v[204:205], v[204:205], v[206:207]
	v_xor_b32_e32 v207, 0x80000000, v207
                                        ; implicit-def: $vgpr208_vgpr209
.LBB115_491:
	s_andn2_saveexec_b64 s[2:3], s[2:3]
	s_cbranch_execz .LBB115_493
; %bb.492:
	v_div_scale_f64 v[204:205], s[10:11], v[208:209], v[208:209], v[210:211]
	v_rcp_f64_e32 v[206:207], v[204:205]
	v_div_scale_f64 v[212:213], vcc, v[210:211], v[208:209], v[210:211]
	v_fma_f64 v[214:215], -v[204:205], v[206:207], 1.0
	v_fmac_f64_e32 v[206:207], v[206:207], v[214:215]
	v_fma_f64 v[214:215], -v[204:205], v[206:207], 1.0
	v_fmac_f64_e32 v[206:207], v[206:207], v[214:215]
	v_mul_f64 v[214:215], v[212:213], v[206:207]
	v_fma_f64 v[204:205], -v[204:205], v[214:215], v[212:213]
	v_div_fmas_f64 v[204:205], v[204:205], v[206:207], v[214:215]
	v_div_fixup_f64 v[206:207], v[204:205], v[208:209], v[210:211]
	v_fmac_f64_e32 v[208:209], v[210:211], v[206:207]
	v_div_scale_f64 v[204:205], s[10:11], v[208:209], v[208:209], 1.0
	v_rcp_f64_e32 v[210:211], v[204:205]
	s_nop 0
	v_fma_f64 v[212:213], -v[204:205], v[210:211], 1.0
	v_fmac_f64_e32 v[210:211], v[210:211], v[212:213]
	v_fma_f64 v[212:213], -v[204:205], v[210:211], 1.0
	v_fmac_f64_e32 v[210:211], v[210:211], v[212:213]
	v_div_scale_f64 v[212:213], vcc, 1.0, v[208:209], 1.0
	v_mul_f64 v[214:215], v[212:213], v[210:211]
	v_fma_f64 v[204:205], -v[204:205], v[214:215], v[212:213]
	s_nop 1
	v_div_fmas_f64 v[204:205], v[204:205], v[210:211], v[214:215]
	v_div_fixup_f64 v[204:205], v[204:205], v[208:209], 1.0
	v_mul_f64 v[206:207], v[206:207], -v[204:205]
.LBB115_493:
	s_or_b64 exec, exec, s[2:3]
	ds_write2_b64 v201, v[204:205], v[206:207] offset1:1
.LBB115_494:
	s_or_b64 exec, exec, s[4:5]
	s_waitcnt lgkmcnt(0)
	s_barrier
	ds_read2_b64 v[216:219], v201 offset1:1
	v_cmp_lt_u32_e32 vcc, 54, v200
	s_and_saveexec_b64 s[2:3], vcc
	s_cbranch_execz .LBB115_496
; %bb.495:
	ds_read2_b64 v[204:207], v202 offset0:110 offset1:111
	s_waitcnt lgkmcnt(1)
	v_mul_f64 v[208:209], v[216:217], v[10:11]
	v_fmac_f64_e32 v[208:209], v[218:219], v[8:9]
	v_mul_f64 v[10:11], v[218:219], v[10:11]
	v_fma_f64 v[8:9], v[216:217], v[8:9], -v[10:11]
	s_waitcnt lgkmcnt(0)
	v_mul_f64 v[10:11], v[206:207], v[208:209]
	v_fma_f64 v[10:11], v[204:205], v[8:9], -v[10:11]
	v_mul_f64 v[204:205], v[204:205], v[208:209]
	v_fmac_f64_e32 v[204:205], v[206:207], v[8:9]
	v_add_f64 v[6:7], v[6:7], -v[204:205]
	ds_read2_b64 v[204:207], v202 offset0:112 offset1:113
	v_add_f64 v[4:5], v[4:5], -v[10:11]
	s_waitcnt lgkmcnt(0)
	v_mul_f64 v[10:11], v[206:207], v[208:209]
	v_fma_f64 v[10:11], v[204:205], v[8:9], -v[10:11]
	v_mul_f64 v[204:205], v[204:205], v[208:209]
	v_fmac_f64_e32 v[204:205], v[206:207], v[8:9]
	v_add_f64 v[2:3], v[2:3], -v[204:205]
	ds_read2_b64 v[204:207], v202 offset0:114 offset1:115
	v_add_f64 v[0:1], v[0:1], -v[10:11]
	s_waitcnt lgkmcnt(0)
	v_mul_f64 v[10:11], v[206:207], v[208:209]
	v_fma_f64 v[10:11], v[204:205], v[8:9], -v[10:11]
	v_mul_f64 v[204:205], v[204:205], v[208:209]
	v_fmac_f64_e32 v[204:205], v[206:207], v[8:9]
	v_add_f64 v[228:229], v[228:229], -v[10:11]
	v_add_f64 v[230:231], v[230:231], -v[204:205]
	v_mov_b64_e32 v[10:11], v[208:209]
.LBB115_496:
	s_or_b64 exec, exec, s[2:3]
	v_cmp_eq_u32_e32 vcc, 55, v200
	s_waitcnt lgkmcnt(0)
	s_barrier
	s_and_saveexec_b64 s[4:5], vcc
	s_cbranch_execz .LBB115_503
; %bb.497:
	ds_write2_b64 v201, v[4:5], v[6:7] offset1:1
	ds_write2_b64 v202, v[0:1], v[2:3] offset0:112 offset1:113
	ds_write2_b64 v202, v[228:229], v[230:231] offset0:114 offset1:115
	ds_read2_b64 v[208:211], v201 offset1:1
	s_waitcnt lgkmcnt(0)
	v_cmp_neq_f64_e32 vcc, 0, v[208:209]
	v_cmp_neq_f64_e64 s[2:3], 0, v[210:211]
	s_or_b64 s[2:3], vcc, s[2:3]
	s_and_b64 exec, exec, s[2:3]
	s_cbranch_execz .LBB115_503
; %bb.498:
	v_cmp_ngt_f64_e64 s[2:3], |v[208:209]|, |v[210:211]|
                                        ; implicit-def: $vgpr204_vgpr205
	s_and_saveexec_b64 s[10:11], s[2:3]
	s_xor_b64 s[2:3], exec, s[10:11]
                                        ; implicit-def: $vgpr206_vgpr207
	s_cbranch_execz .LBB115_500
; %bb.499:
	v_div_scale_f64 v[204:205], s[10:11], v[210:211], v[210:211], v[208:209]
	v_rcp_f64_e32 v[206:207], v[204:205]
	v_div_scale_f64 v[212:213], vcc, v[208:209], v[210:211], v[208:209]
	v_fma_f64 v[214:215], -v[204:205], v[206:207], 1.0
	v_fmac_f64_e32 v[206:207], v[206:207], v[214:215]
	v_fma_f64 v[214:215], -v[204:205], v[206:207], 1.0
	v_fmac_f64_e32 v[206:207], v[206:207], v[214:215]
	v_mul_f64 v[214:215], v[212:213], v[206:207]
	v_fma_f64 v[204:205], -v[204:205], v[214:215], v[212:213]
	v_div_fmas_f64 v[204:205], v[204:205], v[206:207], v[214:215]
	v_div_fixup_f64 v[204:205], v[204:205], v[210:211], v[208:209]
	v_fmac_f64_e32 v[210:211], v[208:209], v[204:205]
	v_div_scale_f64 v[206:207], s[10:11], v[210:211], v[210:211], 1.0
	v_rcp_f64_e32 v[208:209], v[206:207]
	s_nop 0
	v_fma_f64 v[212:213], -v[206:207], v[208:209], 1.0
	v_fmac_f64_e32 v[208:209], v[208:209], v[212:213]
	v_fma_f64 v[212:213], -v[206:207], v[208:209], 1.0
	v_fmac_f64_e32 v[208:209], v[208:209], v[212:213]
	v_div_scale_f64 v[212:213], vcc, 1.0, v[210:211], 1.0
	v_mul_f64 v[214:215], v[212:213], v[208:209]
	v_fma_f64 v[206:207], -v[206:207], v[214:215], v[212:213]
	s_nop 1
	v_div_fmas_f64 v[206:207], v[206:207], v[208:209], v[214:215]
	v_div_fixup_f64 v[206:207], v[206:207], v[210:211], 1.0
	v_mul_f64 v[204:205], v[204:205], v[206:207]
	v_xor_b32_e32 v207, 0x80000000, v207
                                        ; implicit-def: $vgpr208_vgpr209
.LBB115_500:
	s_andn2_saveexec_b64 s[2:3], s[2:3]
	s_cbranch_execz .LBB115_502
; %bb.501:
	v_div_scale_f64 v[204:205], s[10:11], v[208:209], v[208:209], v[210:211]
	v_rcp_f64_e32 v[206:207], v[204:205]
	v_div_scale_f64 v[212:213], vcc, v[210:211], v[208:209], v[210:211]
	v_fma_f64 v[214:215], -v[204:205], v[206:207], 1.0
	v_fmac_f64_e32 v[206:207], v[206:207], v[214:215]
	v_fma_f64 v[214:215], -v[204:205], v[206:207], 1.0
	v_fmac_f64_e32 v[206:207], v[206:207], v[214:215]
	v_mul_f64 v[214:215], v[212:213], v[206:207]
	v_fma_f64 v[204:205], -v[204:205], v[214:215], v[212:213]
	v_div_fmas_f64 v[204:205], v[204:205], v[206:207], v[214:215]
	v_div_fixup_f64 v[206:207], v[204:205], v[208:209], v[210:211]
	v_fmac_f64_e32 v[208:209], v[210:211], v[206:207]
	v_div_scale_f64 v[204:205], s[10:11], v[208:209], v[208:209], 1.0
	v_rcp_f64_e32 v[210:211], v[204:205]
	s_nop 0
	v_fma_f64 v[212:213], -v[204:205], v[210:211], 1.0
	v_fmac_f64_e32 v[210:211], v[210:211], v[212:213]
	v_fma_f64 v[212:213], -v[204:205], v[210:211], 1.0
	v_fmac_f64_e32 v[210:211], v[210:211], v[212:213]
	v_div_scale_f64 v[212:213], vcc, 1.0, v[208:209], 1.0
	v_mul_f64 v[214:215], v[212:213], v[210:211]
	v_fma_f64 v[204:205], -v[204:205], v[214:215], v[212:213]
	s_nop 1
	v_div_fmas_f64 v[204:205], v[204:205], v[210:211], v[214:215]
	v_div_fixup_f64 v[204:205], v[204:205], v[208:209], 1.0
	v_mul_f64 v[206:207], v[206:207], -v[204:205]
.LBB115_502:
	s_or_b64 exec, exec, s[2:3]
	ds_write2_b64 v201, v[204:205], v[206:207] offset1:1
.LBB115_503:
	s_or_b64 exec, exec, s[4:5]
	s_waitcnt lgkmcnt(0)
	s_barrier
	ds_read2_b64 v[248:251], v201 offset1:1
	v_cmp_lt_u32_e32 vcc, 55, v200
	s_and_saveexec_b64 s[2:3], vcc
	s_cbranch_execz .LBB115_505
; %bb.504:
	ds_read2_b64 v[204:207], v202 offset0:112 offset1:113
	s_waitcnt lgkmcnt(1)
	v_mul_f64 v[208:209], v[248:249], v[6:7]
	v_fmac_f64_e32 v[208:209], v[250:251], v[4:5]
	v_mul_f64 v[6:7], v[250:251], v[6:7]
	v_fma_f64 v[4:5], v[248:249], v[4:5], -v[6:7]
	s_waitcnt lgkmcnt(0)
	v_mul_f64 v[6:7], v[206:207], v[208:209]
	v_fma_f64 v[6:7], v[204:205], v[4:5], -v[6:7]
	v_mul_f64 v[204:205], v[204:205], v[208:209]
	v_fmac_f64_e32 v[204:205], v[206:207], v[4:5]
	v_add_f64 v[2:3], v[2:3], -v[204:205]
	ds_read2_b64 v[204:207], v202 offset0:114 offset1:115
	v_add_f64 v[0:1], v[0:1], -v[6:7]
	s_waitcnt lgkmcnt(0)
	v_mul_f64 v[6:7], v[206:207], v[208:209]
	v_fma_f64 v[6:7], v[204:205], v[4:5], -v[6:7]
	v_mul_f64 v[204:205], v[204:205], v[208:209]
	v_fmac_f64_e32 v[204:205], v[206:207], v[4:5]
	v_add_f64 v[228:229], v[228:229], -v[6:7]
	v_add_f64 v[230:231], v[230:231], -v[204:205]
	v_mov_b64_e32 v[6:7], v[208:209]
.LBB115_505:
	s_or_b64 exec, exec, s[2:3]
	v_cmp_eq_u32_e32 vcc, 56, v200
	s_waitcnt lgkmcnt(0)
	s_barrier
	s_and_saveexec_b64 s[4:5], vcc
	s_cbranch_execz .LBB115_512
; %bb.506:
	ds_write2_b64 v201, v[0:1], v[2:3] offset1:1
	ds_write2_b64 v202, v[228:229], v[230:231] offset0:114 offset1:115
	ds_read2_b64 v[208:211], v201 offset1:1
	s_waitcnt lgkmcnt(0)
	v_cmp_neq_f64_e32 vcc, 0, v[208:209]
	v_cmp_neq_f64_e64 s[2:3], 0, v[210:211]
	s_or_b64 s[2:3], vcc, s[2:3]
	s_and_b64 exec, exec, s[2:3]
	s_cbranch_execz .LBB115_512
; %bb.507:
	v_cmp_ngt_f64_e64 s[2:3], |v[208:209]|, |v[210:211]|
                                        ; implicit-def: $vgpr204_vgpr205
	s_and_saveexec_b64 s[10:11], s[2:3]
	s_xor_b64 s[2:3], exec, s[10:11]
                                        ; implicit-def: $vgpr206_vgpr207
	s_cbranch_execz .LBB115_509
; %bb.508:
	v_div_scale_f64 v[204:205], s[10:11], v[210:211], v[210:211], v[208:209]
	v_rcp_f64_e32 v[206:207], v[204:205]
	v_div_scale_f64 v[212:213], vcc, v[208:209], v[210:211], v[208:209]
	v_fma_f64 v[214:215], -v[204:205], v[206:207], 1.0
	v_fmac_f64_e32 v[206:207], v[206:207], v[214:215]
	v_fma_f64 v[214:215], -v[204:205], v[206:207], 1.0
	v_fmac_f64_e32 v[206:207], v[206:207], v[214:215]
	v_mul_f64 v[214:215], v[212:213], v[206:207]
	v_fma_f64 v[204:205], -v[204:205], v[214:215], v[212:213]
	v_div_fmas_f64 v[204:205], v[204:205], v[206:207], v[214:215]
	v_div_fixup_f64 v[204:205], v[204:205], v[210:211], v[208:209]
	v_fmac_f64_e32 v[210:211], v[208:209], v[204:205]
	v_div_scale_f64 v[206:207], s[10:11], v[210:211], v[210:211], 1.0
	v_rcp_f64_e32 v[208:209], v[206:207]
	s_nop 0
	v_fma_f64 v[212:213], -v[206:207], v[208:209], 1.0
	v_fmac_f64_e32 v[208:209], v[208:209], v[212:213]
	v_fma_f64 v[212:213], -v[206:207], v[208:209], 1.0
	v_fmac_f64_e32 v[208:209], v[208:209], v[212:213]
	v_div_scale_f64 v[212:213], vcc, 1.0, v[210:211], 1.0
	v_mul_f64 v[214:215], v[212:213], v[208:209]
	v_fma_f64 v[206:207], -v[206:207], v[214:215], v[212:213]
	s_nop 1
	v_div_fmas_f64 v[206:207], v[206:207], v[208:209], v[214:215]
	v_div_fixup_f64 v[206:207], v[206:207], v[210:211], 1.0
	v_mul_f64 v[204:205], v[204:205], v[206:207]
	v_xor_b32_e32 v207, 0x80000000, v207
                                        ; implicit-def: $vgpr208_vgpr209
.LBB115_509:
	s_andn2_saveexec_b64 s[2:3], s[2:3]
	s_cbranch_execz .LBB115_511
; %bb.510:
	v_div_scale_f64 v[204:205], s[10:11], v[208:209], v[208:209], v[210:211]
	v_rcp_f64_e32 v[206:207], v[204:205]
	v_div_scale_f64 v[212:213], vcc, v[210:211], v[208:209], v[210:211]
	v_fma_f64 v[214:215], -v[204:205], v[206:207], 1.0
	v_fmac_f64_e32 v[206:207], v[206:207], v[214:215]
	v_fma_f64 v[214:215], -v[204:205], v[206:207], 1.0
	v_fmac_f64_e32 v[206:207], v[206:207], v[214:215]
	v_mul_f64 v[214:215], v[212:213], v[206:207]
	v_fma_f64 v[204:205], -v[204:205], v[214:215], v[212:213]
	v_div_fmas_f64 v[204:205], v[204:205], v[206:207], v[214:215]
	v_div_fixup_f64 v[206:207], v[204:205], v[208:209], v[210:211]
	v_fmac_f64_e32 v[208:209], v[210:211], v[206:207]
	v_div_scale_f64 v[204:205], s[10:11], v[208:209], v[208:209], 1.0
	v_rcp_f64_e32 v[210:211], v[204:205]
	s_nop 0
	v_fma_f64 v[212:213], -v[204:205], v[210:211], 1.0
	v_fmac_f64_e32 v[210:211], v[210:211], v[212:213]
	v_fma_f64 v[212:213], -v[204:205], v[210:211], 1.0
	v_fmac_f64_e32 v[210:211], v[210:211], v[212:213]
	v_div_scale_f64 v[212:213], vcc, 1.0, v[208:209], 1.0
	v_mul_f64 v[214:215], v[212:213], v[210:211]
	v_fma_f64 v[204:205], -v[204:205], v[214:215], v[212:213]
	s_nop 1
	v_div_fmas_f64 v[204:205], v[204:205], v[210:211], v[214:215]
	v_div_fixup_f64 v[204:205], v[204:205], v[208:209], 1.0
	v_mul_f64 v[206:207], v[206:207], -v[204:205]
.LBB115_511:
	s_or_b64 exec, exec, s[2:3]
	ds_write2_b64 v201, v[204:205], v[206:207] offset1:1
.LBB115_512:
	s_or_b64 exec, exec, s[4:5]
	s_waitcnt lgkmcnt(0)
	s_barrier
	ds_read2_b64 v[212:215], v201 offset1:1
	v_cmp_lt_u32_e32 vcc, 56, v200
	s_and_saveexec_b64 s[2:3], vcc
	s_cbranch_execz .LBB115_514
; %bb.513:
	ds_read2_b64 v[202:205], v202 offset0:114 offset1:115
	s_waitcnt lgkmcnt(1)
	v_mul_f64 v[206:207], v[212:213], v[2:3]
	v_mul_f64 v[2:3], v[214:215], v[2:3]
	v_fmac_f64_e32 v[206:207], v[214:215], v[0:1]
	v_fma_f64 v[0:1], v[212:213], v[0:1], -v[2:3]
	s_waitcnt lgkmcnt(0)
	v_mul_f64 v[2:3], v[204:205], v[206:207]
	v_fma_f64 v[2:3], v[202:203], v[0:1], -v[2:3]
	v_mul_f64 v[202:203], v[202:203], v[206:207]
	v_fmac_f64_e32 v[202:203], v[204:205], v[0:1]
	v_add_f64 v[228:229], v[228:229], -v[2:3]
	v_add_f64 v[230:231], v[230:231], -v[202:203]
	v_mov_b64_e32 v[2:3], v[206:207]
.LBB115_514:
	s_or_b64 exec, exec, s[2:3]
	v_cmp_eq_u32_e32 vcc, 57, v200
	s_waitcnt lgkmcnt(0)
	s_barrier
	s_and_saveexec_b64 s[4:5], vcc
	s_cbranch_execz .LBB115_521
; %bb.515:
	v_cmp_neq_f64_e32 vcc, 0, v[228:229]
	v_cmp_neq_f64_e64 s[2:3], 0, v[230:231]
	s_or_b64 s[2:3], vcc, s[2:3]
	ds_write2_b64 v201, v[228:229], v[230:231] offset1:1
	s_and_b64 exec, exec, s[2:3]
	s_cbranch_execz .LBB115_521
; %bb.516:
	v_cmp_ngt_f64_e64 s[2:3], |v[228:229]|, |v[230:231]|
                                        ; implicit-def: $vgpr204_vgpr205
	s_and_saveexec_b64 s[10:11], s[2:3]
	s_xor_b64 s[2:3], exec, s[10:11]
                                        ; implicit-def: $vgpr206_vgpr207
	s_cbranch_execz .LBB115_518
; %bb.517:
	v_div_scale_f64 v[202:203], s[10:11], v[230:231], v[230:231], v[228:229]
	v_rcp_f64_e32 v[204:205], v[202:203]
	v_div_scale_f64 v[206:207], vcc, v[228:229], v[230:231], v[228:229]
	v_mov_b64_e32 v[192:193], v[196:197]
	v_fma_f64 v[208:209], -v[202:203], v[204:205], 1.0
	v_fmac_f64_e32 v[204:205], v[204:205], v[208:209]
	v_fma_f64 v[208:209], -v[202:203], v[204:205], 1.0
	v_fmac_f64_e32 v[204:205], v[204:205], v[208:209]
	v_mul_f64 v[208:209], v[206:207], v[204:205]
	v_fma_f64 v[202:203], -v[202:203], v[208:209], v[206:207]
	v_div_fmas_f64 v[202:203], v[202:203], v[204:205], v[208:209]
	v_div_fixup_f64 v[202:203], v[202:203], v[230:231], v[228:229]
	v_fma_f64 v[204:205], v[228:229], v[202:203], v[230:231]
	v_div_scale_f64 v[206:207], s[10:11], v[204:205], v[204:205], 1.0
	v_rcp_f64_e32 v[208:209], v[206:207]
	v_mov_b64_e32 v[194:195], v[198:199]
	v_fma_f64 v[210:211], -v[206:207], v[208:209], 1.0
	v_fmac_f64_e32 v[208:209], v[208:209], v[210:211]
	v_fma_f64 v[210:211], -v[206:207], v[208:209], 1.0
	v_fmac_f64_e32 v[208:209], v[208:209], v[210:211]
	v_div_scale_f64 v[210:211], vcc, 1.0, v[204:205], 1.0
	v_mul_f64 v[196:197], v[210:211], v[208:209]
	v_fma_f64 v[198:199], -v[206:207], v[196:197], v[210:211]
	s_nop 1
	v_div_fmas_f64 v[196:197], v[198:199], v[208:209], v[196:197]
	v_div_fixup_f64 v[206:207], v[196:197], v[204:205], 1.0
	v_mov_b64_e32 v[198:199], v[194:195]
	v_mov_b64_e32 v[196:197], v[192:193]
	v_mul_f64 v[204:205], v[202:203], v[206:207]
	v_xor_b32_e32 v207, 0x80000000, v207
.LBB115_518:
	s_andn2_saveexec_b64 s[2:3], s[2:3]
	s_cbranch_execz .LBB115_520
; %bb.519:
	v_mov_b64_e32 v[192:193], v[196:197]
	v_mov_b64_e32 v[194:195], v[198:199]
	v_div_scale_f64 v[196:197], s[10:11], v[228:229], v[228:229], v[230:231]
	v_rcp_f64_e32 v[198:199], v[196:197]
	v_div_scale_f64 v[202:203], vcc, v[230:231], v[228:229], v[230:231]
	v_fma_f64 v[204:205], -v[196:197], v[198:199], 1.0
	v_fmac_f64_e32 v[198:199], v[198:199], v[204:205]
	v_fma_f64 v[204:205], -v[196:197], v[198:199], 1.0
	v_fmac_f64_e32 v[198:199], v[198:199], v[204:205]
	v_mul_f64 v[204:205], v[202:203], v[198:199]
	v_fma_f64 v[196:197], -v[196:197], v[204:205], v[202:203]
	v_div_fmas_f64 v[196:197], v[196:197], v[198:199], v[204:205]
	v_div_fixup_f64 v[196:197], v[196:197], v[228:229], v[230:231]
	v_fma_f64 v[198:199], v[230:231], v[196:197], v[228:229]
	v_div_scale_f64 v[202:203], s[10:11], v[198:199], v[198:199], 1.0
	v_rcp_f64_e32 v[204:205], v[202:203]
	s_nop 0
	v_fma_f64 v[206:207], -v[202:203], v[204:205], 1.0
	v_fmac_f64_e32 v[204:205], v[204:205], v[206:207]
	v_fma_f64 v[206:207], -v[202:203], v[204:205], 1.0
	v_fmac_f64_e32 v[204:205], v[204:205], v[206:207]
	v_div_scale_f64 v[206:207], vcc, 1.0, v[198:199], 1.0
	v_mul_f64 v[208:209], v[206:207], v[204:205]
	v_fma_f64 v[202:203], -v[202:203], v[208:209], v[206:207]
	s_nop 1
	v_div_fmas_f64 v[202:203], v[202:203], v[204:205], v[208:209]
	v_div_fixup_f64 v[204:205], v[202:203], v[198:199], 1.0
	v_mul_f64 v[206:207], v[196:197], -v[204:205]
	v_mov_b64_e32 v[198:199], v[194:195]
	v_mov_b64_e32 v[196:197], v[192:193]
.LBB115_520:
	s_or_b64 exec, exec, s[2:3]
	ds_write2_b64 v201, v[204:205], v[206:207] offset1:1
.LBB115_521:
	s_or_b64 exec, exec, s[4:5]
	s_waitcnt lgkmcnt(0)
	s_barrier
	ds_read2_b64 v[208:211], v201 offset1:1
	v_mov_b64_e32 v[192:193], v[196:197]
	v_mov_b64_e32 v[194:195], v[198:199]
	s_waitcnt lgkmcnt(0)
	s_barrier
	s_and_saveexec_b64 s[2:3], s[0:1]
	s_cbranch_execz .LBB115_524
; %bb.522:
	scratch_load_dwordx4 v[196:199], off, off offset:592 ; 16-byte Folded Reload
	scratch_load_dwordx4 v[202:205], off, off offset:608 ; 16-byte Folded Reload
	s_waitcnt vmcnt(1)
	v_cmp_eq_f64_e32 vcc, 0, v[196:197]
	v_cmp_eq_f64_e64 s[0:1], 0, v[198:199]
	s_and_b64 s[4:5], vcc, s[0:1]
	s_waitcnt vmcnt(0)
	v_cmp_neq_f64_e32 vcc, 0, v[202:203]
	v_cmp_neq_f64_e64 s[0:1], 0, v[204:205]
	scratch_load_dwordx4 v[202:205], off, off offset:624 ; 16-byte Folded Reload
	s_or_b64 s[0:1], vcc, s[0:1]
	v_cndmask_b32_e64 v196, 0, 1, s[4:5]
	s_or_b64 vcc, s[0:1], s[4:5]
	v_cndmask_b32_e32 v196, 2, v196, vcc
	v_mov_b32_e32 v197, s7
	s_waitcnt vmcnt(0)
	v_cmp_eq_f64_e32 vcc, 0, v[202:203]
	v_cmp_eq_f64_e64 s[0:1], 0, v[204:205]
	scratch_load_dwordx4 v[202:205], off, off offset:640 ; 16-byte Folded Reload
	s_and_b64 s[0:1], vcc, s[0:1]
	v_cmp_eq_u32_e32 vcc, 0, v196
	s_and_b64 s[0:1], s[0:1], vcc
	v_cndmask_b32_e64 v196, v196, 3, s[0:1]
	s_waitcnt vmcnt(0)
	v_cmp_eq_f64_e32 vcc, 0, v[202:203]
	v_cmp_eq_f64_e64 s[0:1], 0, v[204:205]
	scratch_load_dwordx4 v[202:205], off, off offset:656 ; 16-byte Folded Reload
	s_and_b64 s[0:1], vcc, s[0:1]
	v_cmp_eq_u32_e32 vcc, 0, v196
	s_and_b64 s[0:1], s[0:1], vcc
	v_cndmask_b32_e64 v196, v196, 4, s[0:1]
	;; [unrolled: 8-line block ×42, first 2 shown]
	v_mov_b32_e32 v196, s6
	s_waitcnt vmcnt(0)
	v_cmp_eq_f64_e32 vcc, 0, v[202:203]
	scratch_load_dwordx2 v[202:203], off, off offset:1344 ; 8-byte Folded Reload
	v_cmp_eq_f64_e64 s[0:1], 0, v[204:205]
	s_and_b64 s[0:1], vcc, s[0:1]
	v_cmp_eq_u32_e32 vcc, 0, v198
	s_and_b64 s[0:1], s[0:1], vcc
	s_waitcnt vmcnt(0)
	v_lshl_add_u64 v[204:205], v[202:203], 2, v[196:197]
	v_cndmask_b32_e64 v197, v198, 45, s[0:1]
	v_mov_b32_e32 v202, v200
	v_mov_b64_e32 v[200:201], v[82:83]
	v_mov_b64_e32 v[198:199], v[80:81]
	;; [unrolled: 1-line block ×58, first 2 shown]
	scratch_load_dwordx4 v[252:255], off, off offset:1312 ; 16-byte Folded Reload
	global_load_dword v196, v[204:205], off
	s_waitcnt vmcnt(1)
	v_cmp_eq_f64_e32 vcc, 0, v[252:253]
	v_cmp_eq_f64_e64 s[0:1], 0, v[254:255]
	s_and_b64 s[0:1], vcc, s[0:1]
	v_cmp_eq_u32_e32 vcc, 0, v197
	s_and_b64 s[0:1], s[0:1], vcc
	v_cndmask_b32_e64 v197, v197, 46, s[0:1]
	v_cmp_eq_f64_e32 vcc, 0, v[188:189]
	v_cmp_eq_f64_e64 s[0:1], 0, v[190:191]
	s_and_b64 s[0:1], vcc, s[0:1]
	v_cmp_eq_u32_e32 vcc, 0, v197
	s_and_b64 s[0:1], s[0:1], vcc
	v_cndmask_b32_e64 v197, v197, 47, s[0:1]
	v_cmp_eq_f64_e32 vcc, 0, v[232:233]
	v_cmp_eq_f64_e64 s[0:1], 0, v[234:235]
	scratch_load_dwordx4 v[232:235], off, off offset:1328 ; 16-byte Folded Reload
	s_and_b64 s[0:1], vcc, s[0:1]
	v_cmp_eq_u32_e32 vcc, 0, v197
	s_and_b64 s[0:1], s[0:1], vcc
	v_cndmask_b32_e64 v197, v197, 48, s[0:1]
	v_cmp_eq_f64_e32 vcc, 0, v[236:237]
	v_cmp_eq_f64_e64 s[0:1], 0, v[238:239]
	s_and_b64 s[0:1], vcc, s[0:1]
	v_cmp_eq_u32_e32 vcc, 0, v197
	v_mov_b64_e32 v[190:191], v[186:187]
	s_and_b64 s[0:1], s[0:1], vcc
	v_mov_b64_e32 v[188:189], v[184:185]
	v_mov_b64_e32 v[186:187], v[182:183]
	v_cndmask_b32_e64 v197, v197, 49, s[0:1]
	v_mov_b64_e32 v[184:185], v[180:181]
	v_mov_b64_e32 v[182:183], v[178:179]
	;; [unrolled: 1-line block ×53, first 2 shown]
	v_mov_b32_e32 v200, v202
	s_waitcnt vmcnt(0)
	v_cmp_eq_f64_e32 vcc, 0, v[232:233]
	v_cmp_eq_f64_e64 s[0:1], 0, v[234:235]
	s_and_b64 s[0:1], vcc, s[0:1]
	v_cmp_eq_u32_e32 vcc, 0, v197
	s_and_b64 s[0:1], s[0:1], vcc
	v_cndmask_b32_e64 v197, v197, 50, s[0:1]
	v_cmp_eq_f64_e32 vcc, 0, v[240:241]
	v_cmp_eq_f64_e64 s[0:1], 0, v[242:243]
	s_and_b64 s[0:1], vcc, s[0:1]
	v_cmp_eq_u32_e32 vcc, 0, v197
	s_and_b64 s[0:1], s[0:1], vcc
	v_cndmask_b32_e64 v197, v197, 51, s[0:1]
	;; [unrolled: 6-line block ×9, first 2 shown]
	v_cmp_eq_u32_e32 vcc, 0, v196
	v_cmp_ne_u32_e64 s[0:1], 0, v201
	s_and_b64 s[0:1], vcc, s[0:1]
	s_and_b64 exec, exec, s[0:1]
	s_cbranch_execz .LBB115_524
; %bb.523:
	v_add_u32_e32 v196, s9, v201
	global_store_dword v[204:205], v196, off
.LBB115_524:
	s_or_b64 exec, exec, s[2:3]
	v_mul_f64 v[196:197], v[210:211], v[230:231]
	v_mul_f64 v[198:199], v[208:209], v[230:231]
	v_cmp_lt_u32_e32 vcc, 57, v200
	v_fma_f64 v[196:197], v[208:209], v[228:229], -v[196:197]
	v_fmac_f64_e32 v[198:199], v[210:211], v[228:229]
	v_cndmask_b32_e32 v211, v231, v199, vcc
	v_cndmask_b32_e32 v210, v230, v198, vcc
	;; [unrolled: 1-line block ×4, first 2 shown]
	scratch_load_dwordx2 v[196:197], off, off offset:128 ; 8-byte Folded Reload
	scratch_load_dwordx4 v[198:201], off, off offset:112 ; 16-byte Folded Reload
	s_waitcnt vmcnt(0)
	global_store_dwordx4 v[196:197], v[198:201], off
	scratch_load_dwordx2 v[196:197], off, off offset:584 ; 8-byte Folded Reload
	s_nop 0
	scratch_load_dwordx4 v[198:201], off, off offset:96 ; 16-byte Folded Reload
	s_waitcnt vmcnt(0)
	global_store_dwordx4 v[196:197], v[198:201], off
	scratch_load_dwordx2 v[196:197], off, off offset:136 ; 8-byte Folded Reload
	s_nop 0
	;; [unrolled: 5-line block ×6, first 2 shown]
	scratch_load_dwordx4 v[198:201], off, off offset:16 ; 16-byte Folded Reload
	s_waitcnt vmcnt(0)
	global_store_dwordx4 v[196:197], v[198:201], off
	scratch_load_dwordx2 v[196:197], off, off offset:176 ; 8-byte Folded Reload
	s_waitcnt vmcnt(0)
	global_store_dwordx4 v[196:197], v[192:195], off
	scratch_load_dwordx2 v[196:197], off, off offset:184 ; 8-byte Folded Reload
	s_nop 0
	scratch_load_dwordx4 v[192:195], off, off ; 16-byte Folded Reload
	s_waitcnt vmcnt(0)
	global_store_dwordx4 v[196:197], v[192:195], off
	scratch_load_dwordx2 v[192:193], off, off offset:192 ; 8-byte Folded Reload
	s_waitcnt vmcnt(0)
	global_store_dwordx4 v[192:193], v[188:191], off
	scratch_load_dwordx2 v[188:189], off, off offset:200 ; 8-byte Folded Reload
	;; [unrolled: 3-line block ×49, first 2 shown]
	s_waitcnt vmcnt(0)
	global_store_dwordx4 v[0:1], v[208:211], off
.LBB115_525:
	s_endpgm
	.section	.rodata,"a",@progbits
	.p2align	6, 0x0
	.amdhsa_kernel _ZN9rocsolver6v33100L23getf2_npvt_small_kernelILi58E19rocblas_complex_numIdEiiPS3_EEvT1_T3_lS5_lPT2_S5_S5_
		.amdhsa_group_segment_fixed_size 0
		.amdhsa_private_segment_fixed_size 1356
		.amdhsa_kernarg_size 312
		.amdhsa_user_sgpr_count 2
		.amdhsa_user_sgpr_dispatch_ptr 0
		.amdhsa_user_sgpr_queue_ptr 0
		.amdhsa_user_sgpr_kernarg_segment_ptr 1
		.amdhsa_user_sgpr_dispatch_id 0
		.amdhsa_user_sgpr_kernarg_preload_length 0
		.amdhsa_user_sgpr_kernarg_preload_offset 0
		.amdhsa_user_sgpr_private_segment_size 0
		.amdhsa_uses_dynamic_stack 0
		.amdhsa_enable_private_segment 1
		.amdhsa_system_sgpr_workgroup_id_x 1
		.amdhsa_system_sgpr_workgroup_id_y 1
		.amdhsa_system_sgpr_workgroup_id_z 0
		.amdhsa_system_sgpr_workgroup_info 0
		.amdhsa_system_vgpr_workitem_id 1
		.amdhsa_next_free_vgpr 256
		.amdhsa_next_free_sgpr 18
		.amdhsa_accum_offset 256
		.amdhsa_reserve_vcc 1
		.amdhsa_float_round_mode_32 0
		.amdhsa_float_round_mode_16_64 0
		.amdhsa_float_denorm_mode_32 3
		.amdhsa_float_denorm_mode_16_64 3
		.amdhsa_dx10_clamp 1
		.amdhsa_ieee_mode 1
		.amdhsa_fp16_overflow 0
		.amdhsa_tg_split 0
		.amdhsa_exception_fp_ieee_invalid_op 0
		.amdhsa_exception_fp_denorm_src 0
		.amdhsa_exception_fp_ieee_div_zero 0
		.amdhsa_exception_fp_ieee_overflow 0
		.amdhsa_exception_fp_ieee_underflow 0
		.amdhsa_exception_fp_ieee_inexact 0
		.amdhsa_exception_int_div_zero 0
	.end_amdhsa_kernel
	.section	.text._ZN9rocsolver6v33100L23getf2_npvt_small_kernelILi58E19rocblas_complex_numIdEiiPS3_EEvT1_T3_lS5_lPT2_S5_S5_,"axG",@progbits,_ZN9rocsolver6v33100L23getf2_npvt_small_kernelILi58E19rocblas_complex_numIdEiiPS3_EEvT1_T3_lS5_lPT2_S5_S5_,comdat
.Lfunc_end115:
	.size	_ZN9rocsolver6v33100L23getf2_npvt_small_kernelILi58E19rocblas_complex_numIdEiiPS3_EEvT1_T3_lS5_lPT2_S5_S5_, .Lfunc_end115-_ZN9rocsolver6v33100L23getf2_npvt_small_kernelILi58E19rocblas_complex_numIdEiiPS3_EEvT1_T3_lS5_lPT2_S5_S5_
                                        ; -- End function
	.set _ZN9rocsolver6v33100L23getf2_npvt_small_kernelILi58E19rocblas_complex_numIdEiiPS3_EEvT1_T3_lS5_lPT2_S5_S5_.num_vgpr, 256
	.set _ZN9rocsolver6v33100L23getf2_npvt_small_kernelILi58E19rocblas_complex_numIdEiiPS3_EEvT1_T3_lS5_lPT2_S5_S5_.num_agpr, 0
	.set _ZN9rocsolver6v33100L23getf2_npvt_small_kernelILi58E19rocblas_complex_numIdEiiPS3_EEvT1_T3_lS5_lPT2_S5_S5_.numbered_sgpr, 18
	.set _ZN9rocsolver6v33100L23getf2_npvt_small_kernelILi58E19rocblas_complex_numIdEiiPS3_EEvT1_T3_lS5_lPT2_S5_S5_.num_named_barrier, 0
	.set _ZN9rocsolver6v33100L23getf2_npvt_small_kernelILi58E19rocblas_complex_numIdEiiPS3_EEvT1_T3_lS5_lPT2_S5_S5_.private_seg_size, 1356
	.set _ZN9rocsolver6v33100L23getf2_npvt_small_kernelILi58E19rocblas_complex_numIdEiiPS3_EEvT1_T3_lS5_lPT2_S5_S5_.uses_vcc, 1
	.set _ZN9rocsolver6v33100L23getf2_npvt_small_kernelILi58E19rocblas_complex_numIdEiiPS3_EEvT1_T3_lS5_lPT2_S5_S5_.uses_flat_scratch, 0
	.set _ZN9rocsolver6v33100L23getf2_npvt_small_kernelILi58E19rocblas_complex_numIdEiiPS3_EEvT1_T3_lS5_lPT2_S5_S5_.has_dyn_sized_stack, 0
	.set _ZN9rocsolver6v33100L23getf2_npvt_small_kernelILi58E19rocblas_complex_numIdEiiPS3_EEvT1_T3_lS5_lPT2_S5_S5_.has_recursion, 0
	.set _ZN9rocsolver6v33100L23getf2_npvt_small_kernelILi58E19rocblas_complex_numIdEiiPS3_EEvT1_T3_lS5_lPT2_S5_S5_.has_indirect_call, 0
	.section	.AMDGPU.csdata,"",@progbits
; Kernel info:
; codeLenInByte = 146456
; TotalNumSgprs: 24
; NumVgprs: 256
; NumAgprs: 0
; TotalNumVgprs: 256
; ScratchSize: 1356
; MemoryBound: 1
; FloatMode: 240
; IeeeMode: 1
; LDSByteSize: 0 bytes/workgroup (compile time only)
; SGPRBlocks: 2
; VGPRBlocks: 31
; NumSGPRsForWavesPerEU: 24
; NumVGPRsForWavesPerEU: 256
; AccumOffset: 256
; Occupancy: 2
; WaveLimiterHint : 0
; COMPUTE_PGM_RSRC2:SCRATCH_EN: 1
; COMPUTE_PGM_RSRC2:USER_SGPR: 2
; COMPUTE_PGM_RSRC2:TRAP_HANDLER: 0
; COMPUTE_PGM_RSRC2:TGID_X_EN: 1
; COMPUTE_PGM_RSRC2:TGID_Y_EN: 1
; COMPUTE_PGM_RSRC2:TGID_Z_EN: 0
; COMPUTE_PGM_RSRC2:TIDIG_COMP_CNT: 1
; COMPUTE_PGM_RSRC3_GFX90A:ACCUM_OFFSET: 63
; COMPUTE_PGM_RSRC3_GFX90A:TG_SPLIT: 0
	.section	.text._ZN9rocsolver6v33100L18getf2_small_kernelILi59E19rocblas_complex_numIdEiiPS3_EEvT1_T3_lS5_lPS5_llPT2_S5_S5_S7_l,"axG",@progbits,_ZN9rocsolver6v33100L18getf2_small_kernelILi59E19rocblas_complex_numIdEiiPS3_EEvT1_T3_lS5_lPS5_llPT2_S5_S5_S7_l,comdat
	.globl	_ZN9rocsolver6v33100L18getf2_small_kernelILi59E19rocblas_complex_numIdEiiPS3_EEvT1_T3_lS5_lPS5_llPT2_S5_S5_S7_l ; -- Begin function _ZN9rocsolver6v33100L18getf2_small_kernelILi59E19rocblas_complex_numIdEiiPS3_EEvT1_T3_lS5_lPS5_llPT2_S5_S5_S7_l
	.p2align	8
	.type	_ZN9rocsolver6v33100L18getf2_small_kernelILi59E19rocblas_complex_numIdEiiPS3_EEvT1_T3_lS5_lPS5_llPT2_S5_S5_S7_l,@function
_ZN9rocsolver6v33100L18getf2_small_kernelILi59E19rocblas_complex_numIdEiiPS3_EEvT1_T3_lS5_lPS5_llPT2_S5_S5_S7_l: ; @_ZN9rocsolver6v33100L18getf2_small_kernelILi59E19rocblas_complex_numIdEiiPS3_EEvT1_T3_lS5_lPS5_llPT2_S5_S5_S7_l
; %bb.0:
	s_load_dword s2, s[0:1], 0x6c
	s_load_dwordx2 s[12:13], s[0:1], 0x48
	v_bfe_u32 v236, v0, 10, 10
	s_waitcnt lgkmcnt(0)
	s_lshr_b32 s2, s2, 16
	s_mul_i32 s3, s3, s2
	v_add_u32_e32 v8, s3, v236
	v_cmp_gt_i32_e32 vcc, s12, v8
	s_and_saveexec_b64 s[2:3], vcc
	s_cbranch_execnz .LBB116_1
; %bb.1241:
	s_getpc_b64 s[24:25]
.Lpost_getpc13:
	s_add_u32 s24, s24, (.LBB116_1240-.Lpost_getpc13)&4294967295
	s_addc_u32 s25, s25, (.LBB116_1240-.Lpost_getpc13)>>32
	s_setpc_b64 s[24:25]
.LBB116_1:
	s_load_dwordx4 s[4:7], s[0:1], 0x50
	v_ashrrev_i32_e32 v9, 31, v8
	v_mov_b64_e32 v[2:3], 0
	s_waitcnt lgkmcnt(0)
	s_cmp_eq_u64 s[4:5], 0
	s_cselect_b64 s[14:15], -1, 0
	s_and_b64 vcc, exec, s[14:15]
	s_cbranch_vccnz .LBB116_3
; %bb.2:
	v_mul_lo_u32 v1, s7, v8
	v_mul_lo_u32 v4, s6, v9
	v_mad_u64_u32 v[2:3], s[2:3], s6, v8, 0
	v_add3_u32 v3, v3, v4, v1
	v_lshl_add_u64 v[2:3], v[2:3], 2, s[4:5]
.LBB116_3:
	scratch_store_dwordx2 off, v[2:3], off offset:16 ; 8-byte Folded Spill
	s_load_dwordx4 s[16:19], s[0:1], 0x8
	s_load_dwordx8 s[4:11], s[0:1], 0x20
	s_load_dword s2, s[0:1], 0x18
	s_load_dword s20, s[0:1], 0x0
	v_mov_b64_e32 v[240:241], v[8:9]
	s_waitcnt lgkmcnt(0)
	v_mov_b32_e32 v2, s16
	v_mul_lo_u32 v1, s5, v8
	v_mul_lo_u32 v6, s4, v9
	v_mad_u64_u32 v[4:5], s[4:5], s4, v8, 0
	v_mov_b32_e32 v3, s17
	v_add3_u32 v5, v5, v6, v1
	v_lshl_add_u64 v[2:3], v[4:5], 4, v[2:3]
	v_lshl_add_u64 v[76:77], s[18:19], 4, v[2:3]
	v_and_b32_e32 v2, 0x3ff, v0
	s_add_i32 s12, s2, s2
	v_lshlrev_b32_e32 v246, 4, v2
	v_mov_b32_e32 v218, v2
	v_add_u32_e32 v2, s12, v2
	v_add_u32_e32 v4, s2, v2
	;; [unrolled: 1-line block ×3, first 2 shown]
	v_mov_b32_e32 v247, 0
	v_add_u32_e32 v8, s2, v6
	v_lshl_add_u64 v[0:1], v[76:77], 0, v[246:247]
	s_ashr_i32 s3, s2, 31
	v_ashrrev_i32_e32 v9, 31, v8
	v_add_u32_e32 v12, s2, v8
	v_lshl_add_u64 v[10:11], s[2:3], 4, v[0:1]
	global_load_dwordx4 v[204:207], v[0:1], off
	global_load_dwordx4 v[212:215], v[10:11], off
	v_lshl_add_u64 v[0:1], v[8:9], 4, v[76:77]
	v_ashrrev_i32_e32 v13, 31, v12
	v_add_u32_e32 v8, s2, v12
	v_lshl_add_u64 v[10:11], v[12:13], 4, v[76:77]
	v_add_u32_e32 v12, s2, v8
	v_add_u32_e32 v14, s2, v12
	;; [unrolled: 1-line block ×15, first 2 shown]
	v_ashrrev_i32_e32 v41, 31, v40
	v_lshl_add_u64 v[42:43], v[40:41], 4, v[76:77]
	v_add_u32_e32 v40, s2, v40
	v_ashrrev_i32_e32 v41, 31, v40
	v_lshl_add_u64 v[44:45], v[40:41], 4, v[76:77]
	v_add_u32_e32 v40, s2, v40
	;; [unrolled: 3-line block ×35, first 2 shown]
	v_ashrrev_i32_e32 v41, 31, v40
	v_ashrrev_i32_e32 v3, 31, v2
	;; [unrolled: 1-line block ×3, first 2 shown]
	v_lshl_add_u64 v[222:223], v[40:41], 4, v[76:77]
	v_add_u32_e32 v40, s2, v40
	v_lshl_add_u64 v[2:3], v[2:3], 4, v[76:77]
	v_lshl_add_u64 v[4:5], v[4:5], 4, v[76:77]
	v_ashrrev_i32_e32 v7, 31, v6
	v_ashrrev_i32_e32 v9, 31, v8
	v_ashrrev_i32_e32 v13, 31, v12
	v_ashrrev_i32_e32 v15, 31, v14
	v_ashrrev_i32_e32 v17, 31, v16
	v_ashrrev_i32_e32 v19, 31, v18
	v_ashrrev_i32_e32 v21, 31, v20
	v_ashrrev_i32_e32 v23, 31, v22
	v_ashrrev_i32_e32 v25, 31, v24
	v_ashrrev_i32_e32 v27, 31, v26
	v_ashrrev_i32_e32 v29, 31, v28
	v_ashrrev_i32_e32 v31, 31, v30
	v_ashrrev_i32_e32 v33, 31, v32
	v_ashrrev_i32_e32 v35, 31, v34
	v_ashrrev_i32_e32 v37, 31, v36
	v_ashrrev_i32_e32 v39, 31, v38
	v_ashrrev_i32_e32 v41, 31, v40
	v_lshl_add_u64 v[6:7], v[6:7], 4, v[76:77]
	v_lshl_add_u64 v[8:9], v[8:9], 4, v[76:77]
	;; [unrolled: 1-line block ×16, first 2 shown]
	scratch_store_dwordx2 off, v[76:77], off offset:72 ; 8-byte Folded Spill
	v_lshl_add_u64 v[216:217], v[40:41], 4, v[76:77]
	global_load_dwordx4 v[76:79], v[2:3], off
	s_load_dwordx2 s[4:5], s[0:1], 0x40
	global_load_dwordx4 v[2:5], v[4:5], off
	s_max_i32 s0, s20, 59
	s_cmp_lt_i32 s20, 2
	s_waitcnt vmcnt(1)
	scratch_store_dwordx4 off, v[76:79], off offset:24 ; 16-byte Folded Spill
	s_waitcnt vmcnt(1)
	scratch_store_dwordx4 off, v[2:5], off  ; 16-byte Folded Spill
	global_load_dwordx4 v[2:5], v[6:7], off
	s_waitcnt vmcnt(0)
	scratch_store_dwordx4 off, v[2:5], off offset:40 ; 16-byte Folded Spill
	global_load_dwordx4 v[0:3], v[0:1], off
	s_nop 0
	global_load_dwordx4 v[4:7], v[10:11], off
	s_nop 0
	;; [unrolled: 2-line block ×3, first 2 shown]
	global_load_dwordx4 v[200:203], v[12:13], off
	global_load_dwordx4 v[196:199], v[14:15], off
	;; [unrolled: 1-line block ×31, first 2 shown]
	s_nop 0
	global_load_dwordx4 v[72:75], v[232:233], off
	global_load_dwordx4 v[68:71], v[234:235], off
	;; [unrolled: 1-line block ×17, first 2 shown]
	s_nop 0
	global_load_dwordx4 v[224:227], v[220:221], off
	s_nop 0
	global_load_dwordx4 v[220:223], v[222:223], off
	;; [unrolled: 2-line block ×3, first 2 shown]
	v_mul_lo_u32 v156, s0, v236
	v_lshl_add_u32 v248, v156, 4, 0
	v_add_u32_e32 v157, v248, v246
	scratch_store_dwordx4 off, v[204:207], off offset:56 ; 16-byte Folded Spill
	ds_write2_b64 v157, v[204:205], v[206:207] offset1:1
	s_waitcnt lgkmcnt(0)
	s_barrier
	ds_read2_b64 v[236:239], v248 offset1:1
	v_lshlrev_b32_e32 v251, 4, v156
	s_cbranch_scc1 .LBB116_6
; %bb.4:
	v_add3_u32 v246, v251, 0, 16
	s_mov_b32 s0, 1
	v_mov_b32_e32 v247, 0
.LBB116_5:                              ; =>This Inner Loop Header: Depth=1
	ds_read2_b64 v[242:245], v246 offset1:1
	s_waitcnt lgkmcnt(1)
	v_cmp_gt_f64_e32 vcc, 0, v[236:237]
	v_xor_b32_e32 v156, 0x80000000, v237
	v_xor_b32_e32 v158, 0x80000000, v239
	v_cndmask_b32_e32 v157, v237, v156, vcc
	v_cmp_gt_f64_e32 vcc, 0, v[238:239]
	v_mov_b32_e32 v156, v236
	s_waitcnt lgkmcnt(0)
	v_xor_b32_e32 v160, 0x80000000, v245
	v_cndmask_b32_e32 v159, v239, v158, vcc
	v_mov_b32_e32 v158, v238
	v_add_f64 v[156:157], v[156:157], v[158:159]
	v_cmp_gt_f64_e32 vcc, 0, v[242:243]
	v_xor_b32_e32 v158, 0x80000000, v243
	v_add_u32_e32 v246, 16, v246
	v_cndmask_b32_e32 v159, v243, v158, vcc
	v_cmp_gt_f64_e32 vcc, 0, v[244:245]
	v_mov_b32_e32 v158, v242
	s_nop 0
	v_cndmask_b32_e32 v161, v245, v160, vcc
	v_mov_b32_e32 v160, v244
	v_add_f64 v[158:159], v[158:159], v[160:161]
	v_cmp_lt_f64_e32 vcc, v[156:157], v[158:159]
	v_mov_b32_e32 v156, s0
	s_add_i32 s0, s0, 1
	v_cndmask_b32_e32 v237, v237, v243, vcc
	v_cndmask_b32_e32 v236, v236, v242, vcc
	;; [unrolled: 1-line block ×5, first 2 shown]
	s_cmp_eq_u32 s20, s0
	s_cbranch_scc0 .LBB116_5
.LBB116_6:
	s_waitcnt vmcnt(51)
	v_mov_b64_e32 v[206:207], v[202:203]
	v_mov_b64_e32 v[204:205], v[200:201]
	;; [unrolled: 1-line block ×3, first 2 shown]
	s_waitcnt vmcnt(50)
	v_mov_b64_e32 v[202:203], v[198:199]
	v_mov_b64_e32 v[228:229], v[8:9]
	v_mov_b32_e32 v249, v218
	v_mov_b64_e32 v[200:201], v[196:197]
	s_waitcnt lgkmcnt(0)
	v_cmp_neq_f64_e32 vcc, 0, v[236:237]
	v_cmp_neq_f64_e64 s[0:1], 0, v[238:239]
	v_mov_b32_e32 v250, 1
	v_mov_b32_e32 v8, 1
	s_or_b64 s[16:17], vcc, s[0:1]
	s_mov_b64 s[0:1], exec
	s_waitcnt vmcnt(49)
	v_mov_b64_e32 v[198:199], v[154:155]
	v_mov_b64_e32 v[196:197], v[152:153]
	;; [unrolled: 1-line block ×6, first 2 shown]
	scratch_load_dwordx4 v[0:3], off, off offset:40 ; 16-byte Folded Reload
	s_and_b64 s[16:17], s[0:1], s[16:17]
	s_mov_b64 exec, s[16:17]
	s_cbranch_execz .LBB116_12
; %bb.7:
	v_cmp_ngt_f64_e64 s[16:17], |v[236:237]|, |v[238:239]|
	s_and_saveexec_b64 s[18:19], s[16:17]
	s_xor_b64 s[16:17], exec, s[18:19]
	s_cbranch_execz .LBB116_9
; %bb.8:
	v_div_scale_f64 v[156:157], s[18:19], v[238:239], v[238:239], v[236:237]
	v_rcp_f64_e32 v[158:159], v[156:157]
	v_div_scale_f64 v[160:161], vcc, v[236:237], v[238:239], v[236:237]
	v_fma_f64 v[162:163], -v[156:157], v[158:159], 1.0
	v_fmac_f64_e32 v[158:159], v[158:159], v[162:163]
	v_fma_f64 v[162:163], -v[156:157], v[158:159], 1.0
	v_fmac_f64_e32 v[158:159], v[158:159], v[162:163]
	v_mul_f64 v[162:163], v[160:161], v[158:159]
	v_fma_f64 v[156:157], -v[156:157], v[162:163], v[160:161]
	v_div_fmas_f64 v[156:157], v[156:157], v[158:159], v[162:163]
	v_div_fixup_f64 v[156:157], v[156:157], v[238:239], v[236:237]
	v_fmac_f64_e32 v[238:239], v[236:237], v[156:157]
	v_div_scale_f64 v[158:159], s[18:19], v[238:239], v[238:239], 1.0
	v_rcp_f64_e32 v[160:161], v[158:159]
	s_nop 0
	v_fma_f64 v[162:163], -v[158:159], v[160:161], 1.0
	v_fmac_f64_e32 v[160:161], v[160:161], v[162:163]
	v_fma_f64 v[162:163], -v[158:159], v[160:161], 1.0
	v_fmac_f64_e32 v[160:161], v[160:161], v[162:163]
	v_div_scale_f64 v[162:163], vcc, 1.0, v[238:239], 1.0
	v_mul_f64 v[216:217], v[162:163], v[160:161]
	v_fma_f64 v[158:159], -v[158:159], v[216:217], v[162:163]
	s_nop 1
	v_div_fmas_f64 v[158:159], v[158:159], v[160:161], v[216:217]
	v_div_fixup_f64 v[238:239], v[158:159], v[238:239], 1.0
	v_mul_f64 v[236:237], v[156:157], v[238:239]
	v_xor_b32_e32 v239, 0x80000000, v239
.LBB116_9:
	s_andn2_saveexec_b64 s[16:17], s[16:17]
	s_cbranch_execz .LBB116_11
; %bb.10:
	v_div_scale_f64 v[156:157], s[18:19], v[236:237], v[236:237], v[238:239]
	v_rcp_f64_e32 v[158:159], v[156:157]
	v_div_scale_f64 v[160:161], vcc, v[238:239], v[236:237], v[238:239]
	v_fma_f64 v[162:163], -v[156:157], v[158:159], 1.0
	v_fmac_f64_e32 v[158:159], v[158:159], v[162:163]
	v_fma_f64 v[162:163], -v[156:157], v[158:159], 1.0
	v_fmac_f64_e32 v[158:159], v[158:159], v[162:163]
	v_mul_f64 v[162:163], v[160:161], v[158:159]
	v_fma_f64 v[156:157], -v[156:157], v[162:163], v[160:161]
	v_div_fmas_f64 v[156:157], v[156:157], v[158:159], v[162:163]
	v_div_fixup_f64 v[156:157], v[156:157], v[236:237], v[238:239]
	v_fmac_f64_e32 v[236:237], v[238:239], v[156:157]
	v_div_scale_f64 v[158:159], s[18:19], v[236:237], v[236:237], 1.0
	v_rcp_f64_e32 v[160:161], v[158:159]
	s_nop 0
	v_fma_f64 v[162:163], -v[158:159], v[160:161], 1.0
	v_fmac_f64_e32 v[160:161], v[160:161], v[162:163]
	v_fma_f64 v[162:163], -v[158:159], v[160:161], 1.0
	v_fmac_f64_e32 v[160:161], v[160:161], v[162:163]
	v_div_scale_f64 v[162:163], vcc, 1.0, v[236:237], 1.0
	v_mul_f64 v[216:217], v[162:163], v[160:161]
	v_fma_f64 v[158:159], -v[158:159], v[216:217], v[162:163]
	s_nop 1
	v_div_fmas_f64 v[158:159], v[158:159], v[160:161], v[216:217]
	v_div_fixup_f64 v[236:237], v[158:159], v[236:237], 1.0
	v_mul_f64 v[238:239], v[156:157], -v[236:237]
.LBB116_11:
	s_or_b64 exec, exec, s[16:17]
	v_mov_b32_e32 v8, 0
	v_mov_b32_e32 v250, 2
.LBB116_12:
	s_or_b64 exec, exec, s[0:1]
	v_cmp_ne_u32_e32 vcc, v249, v247
	s_and_saveexec_b64 s[0:1], vcc
	s_xor_b64 s[0:1], exec, s[0:1]
	s_cbranch_execz .LBB116_18
; %bb.13:
	v_cmp_eq_u32_e32 vcc, 0, v249
	s_and_saveexec_b64 s[16:17], vcc
	s_cbranch_execz .LBB116_17
; %bb.14:
	v_cmp_ne_u32_e32 vcc, 0, v247
	s_xor_b64 s[18:19], s[14:15], -1
	s_and_b64 s[22:23], s[18:19], vcc
	s_and_saveexec_b64 s[18:19], s[22:23]
	s_cbranch_execz .LBB116_16
; %bb.15:
	scratch_load_dwordx2 v[10:11], off, off offset:16 ; 8-byte Folded Reload
	v_ashrrev_i32_e32 v157, 31, v247
	v_mov_b32_e32 v156, v247
	s_waitcnt vmcnt(0)
	v_lshl_add_u64 v[156:157], v[156:157], 2, v[10:11]
	global_load_dword v158, v[156:157], off
	global_load_dword v159, v[10:11], off
	s_waitcnt vmcnt(1)
	global_store_dword v[10:11], v158, off
	s_waitcnt vmcnt(1)
	global_store_dword v[156:157], v159, off
.LBB116_16:
	s_or_b64 exec, exec, s[18:19]
	v_mov_b32_e32 v249, v247
.LBB116_17:
	s_or_b64 exec, exec, s[16:17]
.LBB116_18:
	s_or_saveexec_b64 s[0:1], s[0:1]
	v_mov_b32_e32 v218, v249
	s_xor_b64 exec, exec, s[0:1]
	s_cbranch_execz .LBB116_20
; %bb.19:
	scratch_load_dwordx4 v[156:159], off, off offset:24 ; 16-byte Folded Reload
	v_mov_b32_e32 v249, 0
	ds_write2_b64 v248, v[212:213], v[214:215] offset0:2 offset1:3
	s_waitcnt vmcnt(0)
	ds_write2_b64 v248, v[156:157], v[158:159] offset0:4 offset1:5
	scratch_load_dwordx4 v[156:159], off, off ; 16-byte Folded Reload
	s_waitcnt vmcnt(0)
	ds_write2_b64 v248, v[156:157], v[158:159] offset0:6 offset1:7
	ds_write2_b64 v248, v[0:1], v[2:3] offset0:8 offset1:9
	;; [unrolled: 1-line block ×56, first 2 shown]
.LBB116_20:
	s_or_b64 exec, exec, s[0:1]
	v_cmp_lt_i32_e32 vcc, 0, v249
	s_waitcnt lgkmcnt(0)
	s_barrier
	s_and_saveexec_b64 s[0:1], vcc
	s_cbranch_execz .LBB116_22
; %bb.21:
	scratch_load_dwordx4 v[0:3], off, off offset:56 ; 16-byte Folded Reload
	scratch_load_dwordx4 v[160:163], off, off offset:24 ; 16-byte Folded Reload
	s_waitcnt vmcnt(1)
	v_mul_f64 v[156:157], v[238:239], v[2:3]
	v_mul_f64 v[2:3], v[236:237], v[2:3]
	v_fma_f64 v[246:247], v[236:237], v[0:1], -v[156:157]
	v_fmac_f64_e32 v[2:3], v[238:239], v[0:1]
	ds_read2_b64 v[236:239], v248 offset0:2 offset1:3
	v_mov_b64_e32 v[0:1], v[246:247]
	scratch_store_dwordx4 off, v[0:3], off offset:56 ; 16-byte Folded Spill
	s_waitcnt lgkmcnt(0)
	v_mul_f64 v[156:157], v[238:239], v[2:3]
	v_mul_f64 v[158:159], v[236:237], v[2:3]
	v_fma_f64 v[156:157], v[236:237], v[246:247], -v[156:157]
	v_fmac_f64_e32 v[158:159], v[238:239], v[246:247]
	ds_read2_b64 v[236:239], v248 offset0:4 offset1:5
	v_add_f64 v[212:213], v[212:213], -v[156:157]
	v_add_f64 v[214:215], v[214:215], -v[158:159]
	s_waitcnt lgkmcnt(0)
	v_mul_f64 v[156:157], v[238:239], v[2:3]
	v_mul_f64 v[158:159], v[236:237], v[2:3]
	v_fma_f64 v[156:157], v[236:237], v[246:247], -v[156:157]
	v_fmac_f64_e32 v[158:159], v[238:239], v[246:247]
	s_waitcnt vmcnt(1)
	v_add_f64 v[160:161], v[160:161], -v[156:157]
	v_add_f64 v[162:163], v[162:163], -v[158:159]
	scratch_store_dwordx4 off, v[160:163], off offset:24 ; 16-byte Folded Spill
	scratch_load_dwordx4 v[160:163], off, off ; 16-byte Folded Reload
	ds_read2_b64 v[236:239], v248 offset0:6 offset1:7
	s_waitcnt lgkmcnt(0)
	v_mul_f64 v[156:157], v[238:239], v[2:3]
	v_mul_f64 v[158:159], v[236:237], v[2:3]
	v_fma_f64 v[156:157], v[236:237], v[246:247], -v[156:157]
	v_fmac_f64_e32 v[158:159], v[238:239], v[246:247]
	ds_read2_b64 v[236:239], v248 offset0:8 offset1:9
	s_waitcnt vmcnt(0)
	v_add_f64 v[160:161], v[160:161], -v[156:157]
	v_add_f64 v[162:163], v[162:163], -v[158:159]
	scratch_store_dwordx4 off, v[160:163], off ; 16-byte Folded Spill
	scratch_load_dwordx4 v[160:163], off, off offset:40 ; 16-byte Folded Reload
	s_waitcnt lgkmcnt(0)
	v_mul_f64 v[156:157], v[238:239], v[2:3]
	v_fma_f64 v[156:157], v[236:237], v[246:247], -v[156:157]
	v_mul_f64 v[158:159], v[236:237], v[2:3]
	v_fmac_f64_e32 v[158:159], v[238:239], v[246:247]
	ds_read2_b64 v[236:239], v248 offset0:10 offset1:11
	s_waitcnt vmcnt(0)
	v_add_f64 v[160:161], v[160:161], -v[156:157]
	scratch_store_dwordx4 off, v[160:163], off offset:40 ; 16-byte Folded Spill
	scratch_load_dwordx4 v[160:163], off, off offset:40 ; 16-byte Folded Reload
	s_waitcnt lgkmcnt(0)
	v_mul_f64 v[156:157], v[238:239], v[2:3]
	v_fma_f64 v[156:157], v[236:237], v[246:247], -v[156:157]
	v_add_f64 v[4:5], v[4:5], -v[156:157]
	s_waitcnt vmcnt(0)
	v_add_f64 v[162:163], v[162:163], -v[158:159]
	v_mul_f64 v[158:159], v[236:237], v[2:3]
	v_fmac_f64_e32 v[158:159], v[238:239], v[246:247]
	ds_read2_b64 v[236:239], v248 offset0:12 offset1:13
	v_add_f64 v[6:7], v[6:7], -v[158:159]
	scratch_store_dwordx4 off, v[160:163], off offset:40 ; 16-byte Folded Spill
	s_waitcnt lgkmcnt(0)
	v_mul_f64 v[156:157], v[238:239], v[2:3]
	v_mul_f64 v[158:159], v[236:237], v[2:3]
	v_fma_f64 v[156:157], v[236:237], v[246:247], -v[156:157]
	v_fmac_f64_e32 v[158:159], v[238:239], v[246:247]
	ds_read2_b64 v[236:239], v248 offset0:14 offset1:15
	v_add_f64 v[152:153], v[152:153], -v[156:157]
	v_add_f64 v[154:155], v[154:155], -v[158:159]
	s_waitcnt lgkmcnt(0)
	v_mul_f64 v[156:157], v[238:239], v[2:3]
	v_mul_f64 v[158:159], v[236:237], v[2:3]
	v_fma_f64 v[156:157], v[236:237], v[246:247], -v[156:157]
	v_fmac_f64_e32 v[158:159], v[238:239], v[246:247]
	ds_read2_b64 v[236:239], v248 offset0:16 offset1:17
	v_add_f64 v[228:229], v[228:229], -v[156:157]
	v_add_f64 v[230:231], v[230:231], -v[158:159]
	s_waitcnt lgkmcnt(0)
	v_mul_f64 v[156:157], v[238:239], v[2:3]
	v_mul_f64 v[158:159], v[236:237], v[2:3]
	v_fma_f64 v[156:157], v[236:237], v[246:247], -v[156:157]
	v_fmac_f64_e32 v[158:159], v[238:239], v[246:247]
	ds_read2_b64 v[236:239], v248 offset0:18 offset1:19
	v_add_f64 v[204:205], v[204:205], -v[156:157]
	v_add_f64 v[206:207], v[206:207], -v[158:159]
	s_waitcnt lgkmcnt(0)
	v_mul_f64 v[156:157], v[238:239], v[2:3]
	v_mul_f64 v[158:159], v[236:237], v[2:3]
	v_fma_f64 v[156:157], v[236:237], v[246:247], -v[156:157]
	v_fmac_f64_e32 v[158:159], v[238:239], v[246:247]
	ds_read2_b64 v[236:239], v248 offset0:20 offset1:21
	v_add_f64 v[200:201], v[200:201], -v[156:157]
	v_add_f64 v[202:203], v[202:203], -v[158:159]
	s_waitcnt lgkmcnt(0)
	v_mul_f64 v[156:157], v[238:239], v[2:3]
	v_mul_f64 v[158:159], v[236:237], v[2:3]
	v_fma_f64 v[156:157], v[236:237], v[246:247], -v[156:157]
	v_fmac_f64_e32 v[158:159], v[238:239], v[246:247]
	ds_read2_b64 v[236:239], v248 offset0:22 offset1:23
	v_add_f64 v[196:197], v[196:197], -v[156:157]
	v_add_f64 v[198:199], v[198:199], -v[158:159]
	s_waitcnt lgkmcnt(0)
	v_mul_f64 v[156:157], v[238:239], v[2:3]
	v_mul_f64 v[158:159], v[236:237], v[2:3]
	v_fma_f64 v[156:157], v[236:237], v[246:247], -v[156:157]
	v_fmac_f64_e32 v[158:159], v[238:239], v[246:247]
	ds_read2_b64 v[236:239], v248 offset0:24 offset1:25
	v_add_f64 v[192:193], v[192:193], -v[156:157]
	v_add_f64 v[194:195], v[194:195], -v[158:159]
	s_waitcnt lgkmcnt(0)
	v_mul_f64 v[156:157], v[238:239], v[2:3]
	v_mul_f64 v[158:159], v[236:237], v[2:3]
	v_fma_f64 v[156:157], v[236:237], v[246:247], -v[156:157]
	v_fmac_f64_e32 v[158:159], v[238:239], v[246:247]
	ds_read2_b64 v[236:239], v248 offset0:26 offset1:27
	v_add_f64 v[188:189], v[188:189], -v[156:157]
	v_add_f64 v[190:191], v[190:191], -v[158:159]
	s_waitcnt lgkmcnt(0)
	v_mul_f64 v[156:157], v[238:239], v[2:3]
	v_mul_f64 v[158:159], v[236:237], v[2:3]
	v_fma_f64 v[156:157], v[236:237], v[246:247], -v[156:157]
	v_fmac_f64_e32 v[158:159], v[238:239], v[246:247]
	ds_read2_b64 v[236:239], v248 offset0:28 offset1:29
	v_add_f64 v[184:185], v[184:185], -v[156:157]
	v_add_f64 v[186:187], v[186:187], -v[158:159]
	s_waitcnt lgkmcnt(0)
	v_mul_f64 v[156:157], v[238:239], v[2:3]
	v_mul_f64 v[158:159], v[236:237], v[2:3]
	v_fma_f64 v[156:157], v[236:237], v[246:247], -v[156:157]
	v_fmac_f64_e32 v[158:159], v[238:239], v[246:247]
	ds_read2_b64 v[236:239], v248 offset0:30 offset1:31
	v_add_f64 v[180:181], v[180:181], -v[156:157]
	v_add_f64 v[182:183], v[182:183], -v[158:159]
	s_waitcnt lgkmcnt(0)
	v_mul_f64 v[156:157], v[238:239], v[2:3]
	v_mul_f64 v[158:159], v[236:237], v[2:3]
	v_fma_f64 v[156:157], v[236:237], v[246:247], -v[156:157]
	v_fmac_f64_e32 v[158:159], v[238:239], v[246:247]
	ds_read2_b64 v[236:239], v248 offset0:32 offset1:33
	v_add_f64 v[176:177], v[176:177], -v[156:157]
	v_add_f64 v[178:179], v[178:179], -v[158:159]
	s_waitcnt lgkmcnt(0)
	v_mul_f64 v[156:157], v[238:239], v[2:3]
	v_mul_f64 v[158:159], v[236:237], v[2:3]
	v_fma_f64 v[156:157], v[236:237], v[246:247], -v[156:157]
	v_fmac_f64_e32 v[158:159], v[238:239], v[246:247]
	ds_read2_b64 v[236:239], v248 offset0:34 offset1:35
	v_add_f64 v[172:173], v[172:173], -v[156:157]
	v_add_f64 v[174:175], v[174:175], -v[158:159]
	s_waitcnt lgkmcnt(0)
	v_mul_f64 v[156:157], v[238:239], v[2:3]
	v_mul_f64 v[158:159], v[236:237], v[2:3]
	v_fma_f64 v[156:157], v[236:237], v[246:247], -v[156:157]
	v_fmac_f64_e32 v[158:159], v[238:239], v[246:247]
	ds_read2_b64 v[236:239], v248 offset0:36 offset1:37
	v_add_f64 v[168:169], v[168:169], -v[156:157]
	v_add_f64 v[170:171], v[170:171], -v[158:159]
	s_waitcnt lgkmcnt(0)
	v_mul_f64 v[156:157], v[238:239], v[2:3]
	v_mul_f64 v[158:159], v[236:237], v[2:3]
	v_fma_f64 v[156:157], v[236:237], v[246:247], -v[156:157]
	v_fmac_f64_e32 v[158:159], v[238:239], v[246:247]
	ds_read2_b64 v[236:239], v248 offset0:38 offset1:39
	v_add_f64 v[164:165], v[164:165], -v[156:157]
	v_add_f64 v[166:167], v[166:167], -v[158:159]
	s_waitcnt lgkmcnt(0)
	v_mul_f64 v[156:157], v[238:239], v[2:3]
	v_mul_f64 v[158:159], v[236:237], v[2:3]
	v_fma_f64 v[156:157], v[236:237], v[246:247], -v[156:157]
	v_fmac_f64_e32 v[158:159], v[238:239], v[246:247]
	ds_read2_b64 v[236:239], v248 offset0:40 offset1:41
	v_add_f64 v[208:209], v[208:209], -v[156:157]
	v_add_f64 v[210:211], v[210:211], -v[158:159]
	s_waitcnt lgkmcnt(0)
	v_mul_f64 v[156:157], v[238:239], v[2:3]
	v_mul_f64 v[158:159], v[236:237], v[2:3]
	v_fma_f64 v[156:157], v[236:237], v[246:247], -v[156:157]
	v_fmac_f64_e32 v[158:159], v[238:239], v[246:247]
	ds_read2_b64 v[236:239], v248 offset0:42 offset1:43
	v_add_f64 v[148:149], v[148:149], -v[156:157]
	v_add_f64 v[150:151], v[150:151], -v[158:159]
	s_waitcnt lgkmcnt(0)
	v_mul_f64 v[156:157], v[238:239], v[2:3]
	v_mul_f64 v[158:159], v[236:237], v[2:3]
	v_fma_f64 v[156:157], v[236:237], v[246:247], -v[156:157]
	v_fmac_f64_e32 v[158:159], v[238:239], v[246:247]
	ds_read2_b64 v[236:239], v248 offset0:44 offset1:45
	v_add_f64 v[144:145], v[144:145], -v[156:157]
	v_add_f64 v[146:147], v[146:147], -v[158:159]
	s_waitcnt lgkmcnt(0)
	v_mul_f64 v[156:157], v[238:239], v[2:3]
	v_mul_f64 v[158:159], v[236:237], v[2:3]
	v_fma_f64 v[156:157], v[236:237], v[246:247], -v[156:157]
	v_fmac_f64_e32 v[158:159], v[238:239], v[246:247]
	ds_read2_b64 v[236:239], v248 offset0:46 offset1:47
	v_add_f64 v[140:141], v[140:141], -v[156:157]
	v_add_f64 v[142:143], v[142:143], -v[158:159]
	s_waitcnt lgkmcnt(0)
	v_mul_f64 v[156:157], v[238:239], v[2:3]
	v_mul_f64 v[158:159], v[236:237], v[2:3]
	v_fma_f64 v[156:157], v[236:237], v[246:247], -v[156:157]
	v_fmac_f64_e32 v[158:159], v[238:239], v[246:247]
	ds_read2_b64 v[236:239], v248 offset0:48 offset1:49
	v_add_f64 v[136:137], v[136:137], -v[156:157]
	v_add_f64 v[138:139], v[138:139], -v[158:159]
	s_waitcnt lgkmcnt(0)
	v_mul_f64 v[156:157], v[238:239], v[2:3]
	v_mul_f64 v[158:159], v[236:237], v[2:3]
	v_fma_f64 v[156:157], v[236:237], v[246:247], -v[156:157]
	v_fmac_f64_e32 v[158:159], v[238:239], v[246:247]
	ds_read2_b64 v[236:239], v248 offset0:50 offset1:51
	v_add_f64 v[132:133], v[132:133], -v[156:157]
	v_add_f64 v[134:135], v[134:135], -v[158:159]
	s_waitcnt lgkmcnt(0)
	v_mul_f64 v[156:157], v[238:239], v[2:3]
	v_mul_f64 v[158:159], v[236:237], v[2:3]
	v_fma_f64 v[156:157], v[236:237], v[246:247], -v[156:157]
	v_fmac_f64_e32 v[158:159], v[238:239], v[246:247]
	ds_read2_b64 v[236:239], v248 offset0:52 offset1:53
	v_add_f64 v[128:129], v[128:129], -v[156:157]
	v_add_f64 v[130:131], v[130:131], -v[158:159]
	s_waitcnt lgkmcnt(0)
	v_mul_f64 v[156:157], v[238:239], v[2:3]
	v_mul_f64 v[158:159], v[236:237], v[2:3]
	v_fma_f64 v[156:157], v[236:237], v[246:247], -v[156:157]
	v_fmac_f64_e32 v[158:159], v[238:239], v[246:247]
	ds_read2_b64 v[236:239], v248 offset0:54 offset1:55
	v_add_f64 v[124:125], v[124:125], -v[156:157]
	v_add_f64 v[126:127], v[126:127], -v[158:159]
	s_waitcnt lgkmcnt(0)
	v_mul_f64 v[156:157], v[238:239], v[2:3]
	v_mul_f64 v[158:159], v[236:237], v[2:3]
	v_fma_f64 v[156:157], v[236:237], v[246:247], -v[156:157]
	v_fmac_f64_e32 v[158:159], v[238:239], v[246:247]
	ds_read2_b64 v[236:239], v248 offset0:56 offset1:57
	v_add_f64 v[120:121], v[120:121], -v[156:157]
	v_add_f64 v[122:123], v[122:123], -v[158:159]
	s_waitcnt lgkmcnt(0)
	v_mul_f64 v[156:157], v[238:239], v[2:3]
	v_mul_f64 v[158:159], v[236:237], v[2:3]
	v_fma_f64 v[156:157], v[236:237], v[246:247], -v[156:157]
	v_fmac_f64_e32 v[158:159], v[238:239], v[246:247]
	ds_read2_b64 v[236:239], v248 offset0:58 offset1:59
	v_add_f64 v[116:117], v[116:117], -v[156:157]
	v_add_f64 v[118:119], v[118:119], -v[158:159]
	s_waitcnt lgkmcnt(0)
	v_mul_f64 v[156:157], v[238:239], v[2:3]
	v_mul_f64 v[158:159], v[236:237], v[2:3]
	v_fma_f64 v[156:157], v[236:237], v[246:247], -v[156:157]
	v_fmac_f64_e32 v[158:159], v[238:239], v[246:247]
	ds_read2_b64 v[236:239], v248 offset0:60 offset1:61
	v_add_f64 v[112:113], v[112:113], -v[156:157]
	v_add_f64 v[114:115], v[114:115], -v[158:159]
	s_waitcnt lgkmcnt(0)
	v_mul_f64 v[156:157], v[238:239], v[2:3]
	v_mul_f64 v[158:159], v[236:237], v[2:3]
	v_fma_f64 v[156:157], v[236:237], v[246:247], -v[156:157]
	v_fmac_f64_e32 v[158:159], v[238:239], v[246:247]
	ds_read2_b64 v[236:239], v248 offset0:62 offset1:63
	v_add_f64 v[108:109], v[108:109], -v[156:157]
	v_add_f64 v[110:111], v[110:111], -v[158:159]
	s_waitcnt lgkmcnt(0)
	v_mul_f64 v[156:157], v[238:239], v[2:3]
	v_mul_f64 v[158:159], v[236:237], v[2:3]
	v_fma_f64 v[156:157], v[236:237], v[246:247], -v[156:157]
	v_fmac_f64_e32 v[158:159], v[238:239], v[246:247]
	ds_read2_b64 v[236:239], v248 offset0:64 offset1:65
	v_add_f64 v[104:105], v[104:105], -v[156:157]
	v_add_f64 v[106:107], v[106:107], -v[158:159]
	s_waitcnt lgkmcnt(0)
	v_mul_f64 v[156:157], v[238:239], v[2:3]
	v_mul_f64 v[158:159], v[236:237], v[2:3]
	v_fma_f64 v[156:157], v[236:237], v[246:247], -v[156:157]
	v_fmac_f64_e32 v[158:159], v[238:239], v[246:247]
	ds_read2_b64 v[236:239], v248 offset0:66 offset1:67
	v_add_f64 v[100:101], v[100:101], -v[156:157]
	v_add_f64 v[102:103], v[102:103], -v[158:159]
	s_waitcnt lgkmcnt(0)
	v_mul_f64 v[156:157], v[238:239], v[2:3]
	v_mul_f64 v[158:159], v[236:237], v[2:3]
	v_fma_f64 v[156:157], v[236:237], v[246:247], -v[156:157]
	v_fmac_f64_e32 v[158:159], v[238:239], v[246:247]
	ds_read2_b64 v[236:239], v248 offset0:68 offset1:69
	v_add_f64 v[96:97], v[96:97], -v[156:157]
	v_add_f64 v[98:99], v[98:99], -v[158:159]
	s_waitcnt lgkmcnt(0)
	v_mul_f64 v[156:157], v[238:239], v[2:3]
	v_mul_f64 v[158:159], v[236:237], v[2:3]
	v_fma_f64 v[156:157], v[236:237], v[246:247], -v[156:157]
	v_fmac_f64_e32 v[158:159], v[238:239], v[246:247]
	ds_read2_b64 v[236:239], v248 offset0:70 offset1:71
	v_add_f64 v[92:93], v[92:93], -v[156:157]
	v_add_f64 v[94:95], v[94:95], -v[158:159]
	s_waitcnt lgkmcnt(0)
	v_mul_f64 v[156:157], v[238:239], v[2:3]
	v_mul_f64 v[158:159], v[236:237], v[2:3]
	v_fma_f64 v[156:157], v[236:237], v[246:247], -v[156:157]
	v_fmac_f64_e32 v[158:159], v[238:239], v[246:247]
	ds_read2_b64 v[236:239], v248 offset0:72 offset1:73
	v_add_f64 v[88:89], v[88:89], -v[156:157]
	v_add_f64 v[90:91], v[90:91], -v[158:159]
	s_waitcnt lgkmcnt(0)
	v_mul_f64 v[156:157], v[238:239], v[2:3]
	v_mul_f64 v[158:159], v[236:237], v[2:3]
	v_fma_f64 v[156:157], v[236:237], v[246:247], -v[156:157]
	v_fmac_f64_e32 v[158:159], v[238:239], v[246:247]
	ds_read2_b64 v[236:239], v248 offset0:74 offset1:75
	v_add_f64 v[84:85], v[84:85], -v[156:157]
	v_add_f64 v[86:87], v[86:87], -v[158:159]
	s_waitcnt lgkmcnt(0)
	v_mul_f64 v[156:157], v[238:239], v[2:3]
	v_mul_f64 v[158:159], v[236:237], v[2:3]
	v_fma_f64 v[156:157], v[236:237], v[246:247], -v[156:157]
	v_fmac_f64_e32 v[158:159], v[238:239], v[246:247]
	ds_read2_b64 v[236:239], v248 offset0:76 offset1:77
	v_add_f64 v[80:81], v[80:81], -v[156:157]
	v_add_f64 v[82:83], v[82:83], -v[158:159]
	s_waitcnt lgkmcnt(0)
	v_mul_f64 v[156:157], v[238:239], v[2:3]
	v_mul_f64 v[158:159], v[236:237], v[2:3]
	v_fma_f64 v[156:157], v[236:237], v[246:247], -v[156:157]
	v_fmac_f64_e32 v[158:159], v[238:239], v[246:247]
	ds_read2_b64 v[236:239], v248 offset0:78 offset1:79
	v_add_f64 v[76:77], v[76:77], -v[156:157]
	v_add_f64 v[78:79], v[78:79], -v[158:159]
	s_waitcnt lgkmcnt(0)
	v_mul_f64 v[156:157], v[238:239], v[2:3]
	v_mul_f64 v[158:159], v[236:237], v[2:3]
	v_fma_f64 v[156:157], v[236:237], v[246:247], -v[156:157]
	v_fmac_f64_e32 v[158:159], v[238:239], v[246:247]
	ds_read2_b64 v[236:239], v248 offset0:80 offset1:81
	v_add_f64 v[72:73], v[72:73], -v[156:157]
	v_add_f64 v[74:75], v[74:75], -v[158:159]
	s_waitcnt lgkmcnt(0)
	v_mul_f64 v[156:157], v[238:239], v[2:3]
	v_mul_f64 v[158:159], v[236:237], v[2:3]
	v_fma_f64 v[156:157], v[236:237], v[246:247], -v[156:157]
	v_fmac_f64_e32 v[158:159], v[238:239], v[246:247]
	ds_read2_b64 v[236:239], v248 offset0:82 offset1:83
	v_add_f64 v[68:69], v[68:69], -v[156:157]
	v_add_f64 v[70:71], v[70:71], -v[158:159]
	s_waitcnt lgkmcnt(0)
	v_mul_f64 v[156:157], v[238:239], v[2:3]
	v_mul_f64 v[158:159], v[236:237], v[2:3]
	v_fma_f64 v[156:157], v[236:237], v[246:247], -v[156:157]
	v_fmac_f64_e32 v[158:159], v[238:239], v[246:247]
	ds_read2_b64 v[236:239], v248 offset0:84 offset1:85
	v_add_f64 v[64:65], v[64:65], -v[156:157]
	v_add_f64 v[66:67], v[66:67], -v[158:159]
	s_waitcnt lgkmcnt(0)
	v_mul_f64 v[156:157], v[238:239], v[2:3]
	v_mul_f64 v[158:159], v[236:237], v[2:3]
	v_fma_f64 v[156:157], v[236:237], v[246:247], -v[156:157]
	v_fmac_f64_e32 v[158:159], v[238:239], v[246:247]
	ds_read2_b64 v[236:239], v248 offset0:86 offset1:87
	v_add_f64 v[60:61], v[60:61], -v[156:157]
	v_add_f64 v[62:63], v[62:63], -v[158:159]
	s_waitcnt lgkmcnt(0)
	v_mul_f64 v[156:157], v[238:239], v[2:3]
	v_mul_f64 v[158:159], v[236:237], v[2:3]
	v_fma_f64 v[156:157], v[236:237], v[246:247], -v[156:157]
	v_fmac_f64_e32 v[158:159], v[238:239], v[246:247]
	ds_read2_b64 v[236:239], v248 offset0:88 offset1:89
	v_add_f64 v[56:57], v[56:57], -v[156:157]
	v_add_f64 v[58:59], v[58:59], -v[158:159]
	s_waitcnt lgkmcnt(0)
	v_mul_f64 v[156:157], v[238:239], v[2:3]
	v_mul_f64 v[158:159], v[236:237], v[2:3]
	v_fma_f64 v[156:157], v[236:237], v[246:247], -v[156:157]
	v_fmac_f64_e32 v[158:159], v[238:239], v[246:247]
	ds_read2_b64 v[236:239], v248 offset0:90 offset1:91
	v_add_f64 v[52:53], v[52:53], -v[156:157]
	v_add_f64 v[54:55], v[54:55], -v[158:159]
	s_waitcnt lgkmcnt(0)
	v_mul_f64 v[156:157], v[238:239], v[2:3]
	v_mul_f64 v[158:159], v[236:237], v[2:3]
	v_fma_f64 v[156:157], v[236:237], v[246:247], -v[156:157]
	v_fmac_f64_e32 v[158:159], v[238:239], v[246:247]
	ds_read2_b64 v[236:239], v248 offset0:92 offset1:93
	v_add_f64 v[48:49], v[48:49], -v[156:157]
	v_add_f64 v[50:51], v[50:51], -v[158:159]
	s_waitcnt lgkmcnt(0)
	v_mul_f64 v[156:157], v[238:239], v[2:3]
	v_mul_f64 v[158:159], v[236:237], v[2:3]
	v_fma_f64 v[156:157], v[236:237], v[246:247], -v[156:157]
	v_fmac_f64_e32 v[158:159], v[238:239], v[246:247]
	ds_read2_b64 v[236:239], v248 offset0:94 offset1:95
	v_add_f64 v[44:45], v[44:45], -v[156:157]
	v_add_f64 v[46:47], v[46:47], -v[158:159]
	s_waitcnt lgkmcnt(0)
	v_mul_f64 v[156:157], v[238:239], v[2:3]
	v_mul_f64 v[158:159], v[236:237], v[2:3]
	v_fma_f64 v[156:157], v[236:237], v[246:247], -v[156:157]
	v_fmac_f64_e32 v[158:159], v[238:239], v[246:247]
	ds_read2_b64 v[236:239], v248 offset0:96 offset1:97
	v_add_f64 v[40:41], v[40:41], -v[156:157]
	v_add_f64 v[42:43], v[42:43], -v[158:159]
	s_waitcnt lgkmcnt(0)
	v_mul_f64 v[156:157], v[238:239], v[2:3]
	v_mul_f64 v[158:159], v[236:237], v[2:3]
	v_fma_f64 v[156:157], v[236:237], v[246:247], -v[156:157]
	v_fmac_f64_e32 v[158:159], v[238:239], v[246:247]
	ds_read2_b64 v[236:239], v248 offset0:98 offset1:99
	v_add_f64 v[36:37], v[36:37], -v[156:157]
	v_add_f64 v[38:39], v[38:39], -v[158:159]
	s_waitcnt lgkmcnt(0)
	v_mul_f64 v[156:157], v[238:239], v[2:3]
	v_mul_f64 v[158:159], v[236:237], v[2:3]
	v_fma_f64 v[156:157], v[236:237], v[246:247], -v[156:157]
	v_fmac_f64_e32 v[158:159], v[238:239], v[246:247]
	ds_read2_b64 v[236:239], v248 offset0:100 offset1:101
	v_add_f64 v[32:33], v[32:33], -v[156:157]
	v_add_f64 v[34:35], v[34:35], -v[158:159]
	s_waitcnt lgkmcnt(0)
	v_mul_f64 v[156:157], v[238:239], v[2:3]
	v_mul_f64 v[158:159], v[236:237], v[2:3]
	v_fma_f64 v[156:157], v[236:237], v[246:247], -v[156:157]
	v_fmac_f64_e32 v[158:159], v[238:239], v[246:247]
	ds_read2_b64 v[236:239], v248 offset0:102 offset1:103
	v_add_f64 v[28:29], v[28:29], -v[156:157]
	v_add_f64 v[30:31], v[30:31], -v[158:159]
	s_waitcnt lgkmcnt(0)
	v_mul_f64 v[156:157], v[238:239], v[2:3]
	v_mul_f64 v[158:159], v[236:237], v[2:3]
	v_fma_f64 v[156:157], v[236:237], v[246:247], -v[156:157]
	v_fmac_f64_e32 v[158:159], v[238:239], v[246:247]
	ds_read2_b64 v[236:239], v248 offset0:104 offset1:105
	v_add_f64 v[24:25], v[24:25], -v[156:157]
	v_add_f64 v[26:27], v[26:27], -v[158:159]
	s_waitcnt lgkmcnt(0)
	v_mul_f64 v[156:157], v[238:239], v[2:3]
	v_mul_f64 v[158:159], v[236:237], v[2:3]
	v_fma_f64 v[156:157], v[236:237], v[246:247], -v[156:157]
	v_fmac_f64_e32 v[158:159], v[238:239], v[246:247]
	ds_read2_b64 v[236:239], v248 offset0:106 offset1:107
	v_add_f64 v[20:21], v[20:21], -v[156:157]
	v_add_f64 v[22:23], v[22:23], -v[158:159]
	s_waitcnt lgkmcnt(0)
	v_mul_f64 v[156:157], v[238:239], v[2:3]
	v_mul_f64 v[158:159], v[236:237], v[2:3]
	v_fma_f64 v[156:157], v[236:237], v[246:247], -v[156:157]
	v_fmac_f64_e32 v[158:159], v[238:239], v[246:247]
	ds_read2_b64 v[236:239], v248 offset0:108 offset1:109
	v_add_f64 v[16:17], v[16:17], -v[156:157]
	v_add_f64 v[18:19], v[18:19], -v[158:159]
	s_waitcnt lgkmcnt(0)
	v_mul_f64 v[156:157], v[238:239], v[2:3]
	v_mul_f64 v[158:159], v[236:237], v[2:3]
	v_fma_f64 v[156:157], v[236:237], v[246:247], -v[156:157]
	v_fmac_f64_e32 v[158:159], v[238:239], v[246:247]
	ds_read2_b64 v[236:239], v248 offset0:110 offset1:111
	v_add_f64 v[12:13], v[12:13], -v[156:157]
	v_add_f64 v[14:15], v[14:15], -v[158:159]
	s_waitcnt lgkmcnt(0)
	v_mul_f64 v[156:157], v[238:239], v[2:3]
	v_mul_f64 v[158:159], v[236:237], v[2:3]
	v_fma_f64 v[156:157], v[236:237], v[246:247], -v[156:157]
	v_fmac_f64_e32 v[158:159], v[238:239], v[246:247]
	ds_read2_b64 v[236:239], v248 offset0:112 offset1:113
	v_add_f64 v[252:253], v[252:253], -v[156:157]
	v_add_f64 v[254:255], v[254:255], -v[158:159]
	s_waitcnt lgkmcnt(0)
	v_mul_f64 v[156:157], v[238:239], v[2:3]
	v_mul_f64 v[158:159], v[236:237], v[2:3]
	v_fma_f64 v[156:157], v[236:237], v[246:247], -v[156:157]
	v_fmac_f64_e32 v[158:159], v[238:239], v[246:247]
	ds_read2_b64 v[236:239], v248 offset0:114 offset1:115
	v_add_f64 v[224:225], v[224:225], -v[156:157]
	v_add_f64 v[226:227], v[226:227], -v[158:159]
	s_waitcnt lgkmcnt(0)
	v_mul_f64 v[156:157], v[238:239], v[2:3]
	v_mul_f64 v[158:159], v[236:237], v[2:3]
	v_fma_f64 v[156:157], v[236:237], v[246:247], -v[156:157]
	v_fmac_f64_e32 v[158:159], v[238:239], v[246:247]
	ds_read2_b64 v[236:239], v248 offset0:116 offset1:117
	v_add_f64 v[220:221], v[220:221], -v[156:157]
	v_add_f64 v[222:223], v[222:223], -v[158:159]
	s_waitcnt lgkmcnt(0)
	v_mul_f64 v[156:157], v[238:239], v[2:3]
	v_mul_f64 v[158:159], v[236:237], v[2:3]
	scratch_load_dwordx4 v[0:3], off, off offset:40 ; 16-byte Folded Reload
	v_fma_f64 v[156:157], v[236:237], v[246:247], -v[156:157]
	v_fmac_f64_e32 v[158:159], v[238:239], v[246:247]
	v_add_f64 v[232:233], v[232:233], -v[156:157]
	v_add_f64 v[234:235], v[234:235], -v[158:159]
.LBB116_22:
	s_or_b64 exec, exec, s[0:1]
	v_lshl_add_u32 v156, v249, 4, v248
	s_barrier
	ds_write2_b64 v156, v[212:213], v[214:215] offset1:1
	s_waitcnt lgkmcnt(0)
	s_barrier
	ds_read2_b64 v[236:239], v248 offset0:2 offset1:3
	s_cmp_lt_i32 s20, 3
	v_mov_b32_e32 v246, 1
	s_cbranch_scc1 .LBB116_25
; %bb.23:
	v_add3_u32 v247, v251, 0, 32
	s_mov_b32 s0, 2
	v_mov_b32_e32 v246, 1
.LBB116_24:                             ; =>This Inner Loop Header: Depth=1
	ds_read2_b64 v[242:245], v247 offset1:1
	s_waitcnt lgkmcnt(1)
	v_cmp_gt_f64_e32 vcc, 0, v[236:237]
	v_xor_b32_e32 v156, 0x80000000, v237
	v_xor_b32_e32 v158, 0x80000000, v239
	v_cndmask_b32_e32 v157, v237, v156, vcc
	v_cmp_gt_f64_e32 vcc, 0, v[238:239]
	v_mov_b32_e32 v156, v236
	s_waitcnt lgkmcnt(0)
	v_xor_b32_e32 v160, 0x80000000, v245
	v_cndmask_b32_e32 v159, v239, v158, vcc
	v_mov_b32_e32 v158, v238
	v_add_f64 v[156:157], v[156:157], v[158:159]
	v_cmp_gt_f64_e32 vcc, 0, v[242:243]
	v_xor_b32_e32 v158, 0x80000000, v243
	v_add_u32_e32 v247, 16, v247
	v_cndmask_b32_e32 v159, v243, v158, vcc
	v_cmp_gt_f64_e32 vcc, 0, v[244:245]
	v_mov_b32_e32 v158, v242
	s_nop 0
	v_cndmask_b32_e32 v161, v245, v160, vcc
	v_mov_b32_e32 v160, v244
	v_add_f64 v[158:159], v[158:159], v[160:161]
	v_cmp_lt_f64_e32 vcc, v[156:157], v[158:159]
	v_mov_b32_e32 v156, s0
	s_add_i32 s0, s0, 1
	v_cndmask_b32_e32 v237, v237, v243, vcc
	v_cndmask_b32_e32 v236, v236, v242, vcc
	;; [unrolled: 1-line block ×5, first 2 shown]
	s_cmp_lg_u32 s20, s0
	s_cbranch_scc1 .LBB116_24
.LBB116_25:
	s_waitcnt lgkmcnt(0)
	v_cmp_neq_f64_e32 vcc, 0, v[236:237]
	v_cmp_neq_f64_e64 s[0:1], 0, v[238:239]
	s_or_b64 s[16:17], vcc, s[0:1]
	s_and_saveexec_b64 s[0:1], s[16:17]
	s_cbranch_execz .LBB116_31
; %bb.26:
	v_cmp_ngt_f64_e64 s[16:17], |v[236:237]|, |v[238:239]|
	s_and_saveexec_b64 s[18:19], s[16:17]
	s_xor_b64 s[16:17], exec, s[18:19]
	s_cbranch_execz .LBB116_28
; %bb.27:
	v_div_scale_f64 v[156:157], s[18:19], v[238:239], v[238:239], v[236:237]
	v_rcp_f64_e32 v[158:159], v[156:157]
	v_div_scale_f64 v[160:161], vcc, v[236:237], v[238:239], v[236:237]
	v_fma_f64 v[162:163], -v[156:157], v[158:159], 1.0
	v_fmac_f64_e32 v[158:159], v[158:159], v[162:163]
	v_fma_f64 v[162:163], -v[156:157], v[158:159], 1.0
	v_fmac_f64_e32 v[158:159], v[158:159], v[162:163]
	v_mul_f64 v[162:163], v[160:161], v[158:159]
	v_fma_f64 v[156:157], -v[156:157], v[162:163], v[160:161]
	v_div_fmas_f64 v[156:157], v[156:157], v[158:159], v[162:163]
	v_div_fixup_f64 v[156:157], v[156:157], v[238:239], v[236:237]
	v_fmac_f64_e32 v[238:239], v[236:237], v[156:157]
	v_div_scale_f64 v[158:159], s[18:19], v[238:239], v[238:239], 1.0
	v_rcp_f64_e32 v[160:161], v[158:159]
	s_nop 0
	v_fma_f64 v[162:163], -v[158:159], v[160:161], 1.0
	v_fmac_f64_e32 v[160:161], v[160:161], v[162:163]
	v_fma_f64 v[162:163], -v[158:159], v[160:161], 1.0
	v_fmac_f64_e32 v[160:161], v[160:161], v[162:163]
	v_div_scale_f64 v[162:163], vcc, 1.0, v[238:239], 1.0
	v_mul_f64 v[216:217], v[162:163], v[160:161]
	v_fma_f64 v[158:159], -v[158:159], v[216:217], v[162:163]
	s_nop 1
	v_div_fmas_f64 v[158:159], v[158:159], v[160:161], v[216:217]
	v_div_fixup_f64 v[238:239], v[158:159], v[238:239], 1.0
	v_mul_f64 v[236:237], v[156:157], v[238:239]
	v_xor_b32_e32 v239, 0x80000000, v239
.LBB116_28:
	s_andn2_saveexec_b64 s[16:17], s[16:17]
	s_cbranch_execz .LBB116_30
; %bb.29:
	v_div_scale_f64 v[156:157], s[18:19], v[236:237], v[236:237], v[238:239]
	v_rcp_f64_e32 v[158:159], v[156:157]
	v_div_scale_f64 v[160:161], vcc, v[238:239], v[236:237], v[238:239]
	v_fma_f64 v[162:163], -v[156:157], v[158:159], 1.0
	v_fmac_f64_e32 v[158:159], v[158:159], v[162:163]
	v_fma_f64 v[162:163], -v[156:157], v[158:159], 1.0
	v_fmac_f64_e32 v[158:159], v[158:159], v[162:163]
	v_mul_f64 v[162:163], v[160:161], v[158:159]
	v_fma_f64 v[156:157], -v[156:157], v[162:163], v[160:161]
	v_div_fmas_f64 v[156:157], v[156:157], v[158:159], v[162:163]
	v_div_fixup_f64 v[156:157], v[156:157], v[236:237], v[238:239]
	v_fmac_f64_e32 v[236:237], v[238:239], v[156:157]
	v_div_scale_f64 v[158:159], s[18:19], v[236:237], v[236:237], 1.0
	v_rcp_f64_e32 v[160:161], v[158:159]
	s_nop 0
	v_fma_f64 v[162:163], -v[158:159], v[160:161], 1.0
	v_fmac_f64_e32 v[160:161], v[160:161], v[162:163]
	v_fma_f64 v[162:163], -v[158:159], v[160:161], 1.0
	v_fmac_f64_e32 v[160:161], v[160:161], v[162:163]
	v_div_scale_f64 v[162:163], vcc, 1.0, v[236:237], 1.0
	v_mul_f64 v[216:217], v[162:163], v[160:161]
	v_fma_f64 v[158:159], -v[158:159], v[216:217], v[162:163]
	s_nop 1
	v_div_fmas_f64 v[158:159], v[158:159], v[160:161], v[216:217]
	v_div_fixup_f64 v[236:237], v[158:159], v[236:237], 1.0
	v_mul_f64 v[238:239], v[156:157], -v[236:237]
.LBB116_30:
	s_or_b64 exec, exec, s[16:17]
	v_mov_b32_e32 v250, v8
.LBB116_31:
	s_or_b64 exec, exec, s[0:1]
	v_cmp_ne_u32_e32 vcc, v249, v246
	s_and_saveexec_b64 s[0:1], vcc
	s_xor_b64 s[0:1], exec, s[0:1]
	s_cbranch_execz .LBB116_37
; %bb.32:
	v_cmp_eq_u32_e32 vcc, 1, v249
	s_and_saveexec_b64 s[16:17], vcc
	s_cbranch_execz .LBB116_36
; %bb.33:
	v_cmp_ne_u32_e32 vcc, 1, v246
	s_xor_b64 s[18:19], s[14:15], -1
	s_and_b64 s[22:23], s[18:19], vcc
	s_and_saveexec_b64 s[18:19], s[22:23]
	s_cbranch_execz .LBB116_35
; %bb.34:
	scratch_load_dwordx2 v[8:9], off, off offset:16 ; 8-byte Folded Reload
	v_ashrrev_i32_e32 v247, 31, v246
	s_waitcnt vmcnt(0)
	v_lshl_add_u64 v[156:157], v[246:247], 2, v[8:9]
	global_load_dword v158, v[156:157], off
	global_load_dword v159, v[8:9], off offset:4
	s_waitcnt vmcnt(1)
	global_store_dword v[8:9], v158, off offset:4
	s_waitcnt vmcnt(1)
	global_store_dword v[156:157], v159, off
.LBB116_35:
	s_or_b64 exec, exec, s[18:19]
	v_mov_b32_e32 v249, v246
	v_mov_b32_e32 v218, v246
.LBB116_36:
	s_or_b64 exec, exec, s[16:17]
.LBB116_37:
	s_andn2_saveexec_b64 s[0:1], s[0:1]
	s_cbranch_execz .LBB116_39
; %bb.38:
	scratch_load_dwordx4 v[8:11], off, off offset:24 ; 16-byte Folded Reload
	v_mov_b32_e32 v249, 1
	s_waitcnt vmcnt(0)
	ds_write2_b64 v248, v[8:9], v[10:11] offset0:4 offset1:5
	scratch_load_dwordx4 v[8:11], off, off  ; 16-byte Folded Reload
	s_waitcnt vmcnt(0)
	ds_write2_b64 v248, v[8:9], v[10:11] offset0:6 offset1:7
	ds_write2_b64 v248, v[0:1], v[2:3] offset0:8 offset1:9
	;; [unrolled: 1-line block ×56, first 2 shown]
.LBB116_39:
	s_or_b64 exec, exec, s[0:1]
	v_cmp_lt_i32_e32 vcc, 1, v249
	s_waitcnt lgkmcnt(0)
	s_barrier
	s_and_saveexec_b64 s[0:1], vcc
	s_cbranch_execz .LBB116_41
; %bb.40:
	scratch_load_dwordx4 v[8:11], off, off offset:24 ; 16-byte Folded Reload
	v_mul_f64 v[156:157], v[238:239], v[214:215]
	v_mul_f64 v[214:215], v[236:237], v[214:215]
	v_fma_f64 v[246:247], v[236:237], v[212:213], -v[156:157]
	v_fmac_f64_e32 v[214:215], v[238:239], v[212:213]
	ds_read2_b64 v[236:239], v248 offset0:4 offset1:5
	v_mov_b64_e32 v[212:213], v[246:247]
	s_waitcnt lgkmcnt(0)
	v_mul_f64 v[156:157], v[238:239], v[214:215]
	v_mul_f64 v[158:159], v[236:237], v[214:215]
	v_fma_f64 v[156:157], v[236:237], v[246:247], -v[156:157]
	v_fmac_f64_e32 v[158:159], v[238:239], v[246:247]
	ds_read2_b64 v[236:239], v248 offset0:6 offset1:7
	s_waitcnt vmcnt(0)
	v_add_f64 v[8:9], v[8:9], -v[156:157]
	v_add_f64 v[10:11], v[10:11], -v[158:159]
	scratch_store_dwordx4 off, v[8:11], off offset:24 ; 16-byte Folded Spill
	scratch_load_dwordx4 v[8:11], off, off  ; 16-byte Folded Reload
	s_waitcnt lgkmcnt(0)
	v_mul_f64 v[156:157], v[238:239], v[214:215]
	v_mul_f64 v[158:159], v[236:237], v[214:215]
	v_fma_f64 v[156:157], v[236:237], v[246:247], -v[156:157]
	v_fmac_f64_e32 v[158:159], v[238:239], v[246:247]
	ds_read2_b64 v[236:239], v248 offset0:8 offset1:9
	s_waitcnt vmcnt(0)
	v_add_f64 v[8:9], v[8:9], -v[156:157]
	v_add_f64 v[10:11], v[10:11], -v[158:159]
	s_waitcnt lgkmcnt(0)
	v_mul_f64 v[156:157], v[238:239], v[214:215]
	v_mul_f64 v[158:159], v[236:237], v[214:215]
	v_fma_f64 v[156:157], v[236:237], v[246:247], -v[156:157]
	v_fmac_f64_e32 v[158:159], v[238:239], v[246:247]
	ds_read2_b64 v[236:239], v248 offset0:10 offset1:11
	v_add_f64 v[0:1], v[0:1], -v[156:157]
	v_add_f64 v[2:3], v[2:3], -v[158:159]
	scratch_store_dwordx4 off, v[8:11], off ; 16-byte Folded Spill
	s_waitcnt lgkmcnt(0)
	v_mul_f64 v[156:157], v[238:239], v[214:215]
	v_mul_f64 v[158:159], v[236:237], v[214:215]
	v_fma_f64 v[156:157], v[236:237], v[246:247], -v[156:157]
	v_fmac_f64_e32 v[158:159], v[238:239], v[246:247]
	ds_read2_b64 v[236:239], v248 offset0:12 offset1:13
	v_add_f64 v[4:5], v[4:5], -v[156:157]
	v_add_f64 v[6:7], v[6:7], -v[158:159]
	s_waitcnt lgkmcnt(0)
	v_mul_f64 v[156:157], v[238:239], v[214:215]
	v_mul_f64 v[158:159], v[236:237], v[214:215]
	v_fma_f64 v[156:157], v[236:237], v[246:247], -v[156:157]
	v_fmac_f64_e32 v[158:159], v[238:239], v[246:247]
	ds_read2_b64 v[236:239], v248 offset0:14 offset1:15
	v_add_f64 v[152:153], v[152:153], -v[156:157]
	v_add_f64 v[154:155], v[154:155], -v[158:159]
	;; [unrolled: 8-line block ×53, first 2 shown]
	s_waitcnt lgkmcnt(0)
	v_mul_f64 v[156:157], v[238:239], v[214:215]
	v_mul_f64 v[158:159], v[236:237], v[214:215]
	v_fma_f64 v[156:157], v[236:237], v[246:247], -v[156:157]
	v_fmac_f64_e32 v[158:159], v[238:239], v[246:247]
	v_add_f64 v[232:233], v[232:233], -v[156:157]
	v_add_f64 v[234:235], v[234:235], -v[158:159]
.LBB116_41:
	s_or_b64 exec, exec, s[0:1]
	s_barrier
	scratch_load_dwordx4 v[8:11], off, off offset:24 ; 16-byte Folded Reload
	v_lshl_add_u32 v156, v249, 4, v248
	s_cmp_lt_i32 s20, 4
	v_mov_b32_e32 v246, 2
	s_waitcnt vmcnt(0)
	ds_write2_b64 v156, v[8:9], v[10:11] offset1:1
	s_waitcnt lgkmcnt(0)
	s_barrier
	ds_read2_b64 v[236:239], v248 offset0:4 offset1:5
	s_cbranch_scc1 .LBB116_44
; %bb.42:
	v_add3_u32 v247, v251, 0, 48
	s_mov_b32 s0, 3
	v_mov_b32_e32 v246, 2
.LBB116_43:                             ; =>This Inner Loop Header: Depth=1
	ds_read2_b64 v[242:245], v247 offset1:1
	s_waitcnt lgkmcnt(1)
	v_cmp_gt_f64_e32 vcc, 0, v[236:237]
	v_xor_b32_e32 v156, 0x80000000, v237
	v_xor_b32_e32 v158, 0x80000000, v239
	v_cndmask_b32_e32 v157, v237, v156, vcc
	v_cmp_gt_f64_e32 vcc, 0, v[238:239]
	v_mov_b32_e32 v156, v236
	s_waitcnt lgkmcnt(0)
	v_xor_b32_e32 v160, 0x80000000, v245
	v_cndmask_b32_e32 v159, v239, v158, vcc
	v_mov_b32_e32 v158, v238
	v_add_f64 v[156:157], v[156:157], v[158:159]
	v_cmp_gt_f64_e32 vcc, 0, v[242:243]
	v_xor_b32_e32 v158, 0x80000000, v243
	v_add_u32_e32 v247, 16, v247
	v_cndmask_b32_e32 v159, v243, v158, vcc
	v_cmp_gt_f64_e32 vcc, 0, v[244:245]
	v_mov_b32_e32 v158, v242
	s_nop 0
	v_cndmask_b32_e32 v161, v245, v160, vcc
	v_mov_b32_e32 v160, v244
	v_add_f64 v[158:159], v[158:159], v[160:161]
	v_cmp_lt_f64_e32 vcc, v[156:157], v[158:159]
	v_mov_b32_e32 v156, s0
	s_add_i32 s0, s0, 1
	v_cndmask_b32_e32 v237, v237, v243, vcc
	v_cndmask_b32_e32 v236, v236, v242, vcc
	v_cndmask_b32_e32 v239, v239, v245, vcc
	v_cndmask_b32_e32 v238, v238, v244, vcc
	v_cndmask_b32_e32 v246, v246, v156, vcc
	s_cmp_lg_u32 s20, s0
	s_cbranch_scc1 .LBB116_43
.LBB116_44:
	s_waitcnt lgkmcnt(0)
	v_cmp_eq_f64_e32 vcc, 0, v[236:237]
	v_cmp_eq_f64_e64 s[0:1], 0, v[238:239]
	s_and_b64 s[0:1], vcc, s[0:1]
	s_and_saveexec_b64 s[16:17], s[0:1]
	s_xor_b64 s[0:1], exec, s[16:17]
; %bb.45:
	v_cmp_ne_u32_e32 vcc, 0, v250
	s_nop 1
	v_cndmask_b32_e32 v250, 3, v250, vcc
; %bb.46:
	s_andn2_saveexec_b64 s[0:1], s[0:1]
	s_cbranch_execz .LBB116_52
; %bb.47:
	v_cmp_ngt_f64_e64 s[16:17], |v[236:237]|, |v[238:239]|
	s_and_saveexec_b64 s[18:19], s[16:17]
	s_xor_b64 s[16:17], exec, s[18:19]
	s_cbranch_execz .LBB116_49
; %bb.48:
	v_div_scale_f64 v[156:157], s[18:19], v[238:239], v[238:239], v[236:237]
	v_rcp_f64_e32 v[158:159], v[156:157]
	v_div_scale_f64 v[160:161], vcc, v[236:237], v[238:239], v[236:237]
	v_fma_f64 v[162:163], -v[156:157], v[158:159], 1.0
	v_fmac_f64_e32 v[158:159], v[158:159], v[162:163]
	v_fma_f64 v[162:163], -v[156:157], v[158:159], 1.0
	v_fmac_f64_e32 v[158:159], v[158:159], v[162:163]
	v_mul_f64 v[162:163], v[160:161], v[158:159]
	v_fma_f64 v[156:157], -v[156:157], v[162:163], v[160:161]
	v_div_fmas_f64 v[156:157], v[156:157], v[158:159], v[162:163]
	v_div_fixup_f64 v[156:157], v[156:157], v[238:239], v[236:237]
	v_fmac_f64_e32 v[238:239], v[236:237], v[156:157]
	v_div_scale_f64 v[158:159], s[18:19], v[238:239], v[238:239], 1.0
	v_rcp_f64_e32 v[160:161], v[158:159]
	s_nop 0
	v_fma_f64 v[162:163], -v[158:159], v[160:161], 1.0
	v_fmac_f64_e32 v[160:161], v[160:161], v[162:163]
	v_fma_f64 v[162:163], -v[158:159], v[160:161], 1.0
	v_fmac_f64_e32 v[160:161], v[160:161], v[162:163]
	v_div_scale_f64 v[162:163], vcc, 1.0, v[238:239], 1.0
	v_mul_f64 v[216:217], v[162:163], v[160:161]
	v_fma_f64 v[158:159], -v[158:159], v[216:217], v[162:163]
	s_nop 1
	v_div_fmas_f64 v[158:159], v[158:159], v[160:161], v[216:217]
	v_div_fixup_f64 v[238:239], v[158:159], v[238:239], 1.0
	v_mul_f64 v[236:237], v[156:157], v[238:239]
	v_xor_b32_e32 v239, 0x80000000, v239
.LBB116_49:
	s_andn2_saveexec_b64 s[16:17], s[16:17]
	s_cbranch_execz .LBB116_51
; %bb.50:
	v_div_scale_f64 v[156:157], s[18:19], v[236:237], v[236:237], v[238:239]
	v_rcp_f64_e32 v[158:159], v[156:157]
	v_div_scale_f64 v[160:161], vcc, v[238:239], v[236:237], v[238:239]
	v_fma_f64 v[162:163], -v[156:157], v[158:159], 1.0
	v_fmac_f64_e32 v[158:159], v[158:159], v[162:163]
	v_fma_f64 v[162:163], -v[156:157], v[158:159], 1.0
	v_fmac_f64_e32 v[158:159], v[158:159], v[162:163]
	v_mul_f64 v[162:163], v[160:161], v[158:159]
	v_fma_f64 v[156:157], -v[156:157], v[162:163], v[160:161]
	v_div_fmas_f64 v[156:157], v[156:157], v[158:159], v[162:163]
	v_div_fixup_f64 v[156:157], v[156:157], v[236:237], v[238:239]
	v_fmac_f64_e32 v[236:237], v[238:239], v[156:157]
	v_div_scale_f64 v[158:159], s[18:19], v[236:237], v[236:237], 1.0
	v_rcp_f64_e32 v[160:161], v[158:159]
	s_nop 0
	v_fma_f64 v[162:163], -v[158:159], v[160:161], 1.0
	v_fmac_f64_e32 v[160:161], v[160:161], v[162:163]
	v_fma_f64 v[162:163], -v[158:159], v[160:161], 1.0
	v_fmac_f64_e32 v[160:161], v[160:161], v[162:163]
	v_div_scale_f64 v[162:163], vcc, 1.0, v[236:237], 1.0
	v_mul_f64 v[216:217], v[162:163], v[160:161]
	v_fma_f64 v[158:159], -v[158:159], v[216:217], v[162:163]
	s_nop 1
	v_div_fmas_f64 v[158:159], v[158:159], v[160:161], v[216:217]
	v_div_fixup_f64 v[236:237], v[158:159], v[236:237], 1.0
	v_mul_f64 v[238:239], v[156:157], -v[236:237]
.LBB116_51:
	s_or_b64 exec, exec, s[16:17]
.LBB116_52:
	s_or_b64 exec, exec, s[0:1]
	v_cmp_ne_u32_e32 vcc, v249, v246
	s_and_saveexec_b64 s[0:1], vcc
	s_xor_b64 s[0:1], exec, s[0:1]
	s_cbranch_execz .LBB116_58
; %bb.53:
	v_cmp_eq_u32_e32 vcc, 2, v249
	s_and_saveexec_b64 s[16:17], vcc
	s_cbranch_execz .LBB116_57
; %bb.54:
	v_cmp_ne_u32_e32 vcc, 2, v246
	s_xor_b64 s[18:19], s[14:15], -1
	s_and_b64 s[22:23], s[18:19], vcc
	s_and_saveexec_b64 s[18:19], s[22:23]
	s_cbranch_execz .LBB116_56
; %bb.55:
	scratch_load_dwordx2 v[8:9], off, off offset:16 ; 8-byte Folded Reload
	v_ashrrev_i32_e32 v247, 31, v246
	s_waitcnt vmcnt(0)
	v_lshl_add_u64 v[156:157], v[246:247], 2, v[8:9]
	global_load_dword v158, v[156:157], off
	global_load_dword v159, v[8:9], off offset:8
	s_waitcnt vmcnt(1)
	global_store_dword v[8:9], v158, off offset:8
	s_waitcnt vmcnt(1)
	global_store_dword v[156:157], v159, off
.LBB116_56:
	s_or_b64 exec, exec, s[18:19]
	v_mov_b32_e32 v249, v246
	v_mov_b32_e32 v218, v246
.LBB116_57:
	s_or_b64 exec, exec, s[16:17]
.LBB116_58:
	s_andn2_saveexec_b64 s[0:1], s[0:1]
	s_cbranch_execz .LBB116_60
; %bb.59:
	scratch_load_dwordx4 v[8:11], off, off  ; 16-byte Folded Reload
	v_mov_b32_e32 v249, 2
	s_waitcnt vmcnt(0)
	ds_write2_b64 v248, v[8:9], v[10:11] offset0:6 offset1:7
	ds_write2_b64 v248, v[0:1], v[2:3] offset0:8 offset1:9
	;; [unrolled: 1-line block ×56, first 2 shown]
.LBB116_60:
	s_or_b64 exec, exec, s[0:1]
	v_cmp_lt_i32_e32 vcc, 2, v249
	s_waitcnt lgkmcnt(0)
	s_barrier
	s_and_saveexec_b64 s[0:1], vcc
	s_cbranch_execz .LBB116_62
; %bb.61:
	scratch_load_dwordx4 v[158:161], off, off offset:24 ; 16-byte Folded Reload
	scratch_load_dwordx4 v[8:11], off, off  ; 16-byte Folded Reload
	s_waitcnt vmcnt(1)
	v_mul_f64 v[156:157], v[238:239], v[160:161]
	v_mul_f64 v[160:161], v[236:237], v[160:161]
	v_fma_f64 v[246:247], v[236:237], v[158:159], -v[156:157]
	v_fmac_f64_e32 v[160:161], v[238:239], v[158:159]
	ds_read2_b64 v[236:239], v248 offset0:6 offset1:7
	s_waitcnt lgkmcnt(0)
	v_mul_f64 v[156:157], v[238:239], v[160:161]
	v_mul_f64 v[158:159], v[236:237], v[160:161]
	v_fma_f64 v[156:157], v[236:237], v[246:247], -v[156:157]
	v_fmac_f64_e32 v[158:159], v[238:239], v[246:247]
	ds_read2_b64 v[236:239], v248 offset0:8 offset1:9
	s_waitcnt vmcnt(0)
	v_add_f64 v[8:9], v[8:9], -v[156:157]
	v_add_f64 v[10:11], v[10:11], -v[158:159]
	scratch_store_dwordx4 off, v[8:11], off ; 16-byte Folded Spill
	s_waitcnt lgkmcnt(0)
	v_mul_f64 v[156:157], v[238:239], v[160:161]
	v_mul_f64 v[158:159], v[236:237], v[160:161]
	v_fma_f64 v[156:157], v[236:237], v[246:247], -v[156:157]
	v_fmac_f64_e32 v[158:159], v[238:239], v[246:247]
	ds_read2_b64 v[236:239], v248 offset0:10 offset1:11
	v_add_f64 v[0:1], v[0:1], -v[156:157]
	v_add_f64 v[2:3], v[2:3], -v[158:159]
	s_waitcnt lgkmcnt(0)
	v_mul_f64 v[156:157], v[238:239], v[160:161]
	v_mul_f64 v[158:159], v[236:237], v[160:161]
	v_fma_f64 v[156:157], v[236:237], v[246:247], -v[156:157]
	v_fmac_f64_e32 v[158:159], v[238:239], v[246:247]
	ds_read2_b64 v[236:239], v248 offset0:12 offset1:13
	v_add_f64 v[4:5], v[4:5], -v[156:157]
	v_add_f64 v[6:7], v[6:7], -v[158:159]
	;; [unrolled: 8-line block ×54, first 2 shown]
	s_waitcnt lgkmcnt(0)
	v_mul_f64 v[156:157], v[238:239], v[160:161]
	v_mul_f64 v[158:159], v[236:237], v[160:161]
	v_fma_f64 v[156:157], v[236:237], v[246:247], -v[156:157]
	v_fmac_f64_e32 v[158:159], v[238:239], v[246:247]
	v_add_f64 v[232:233], v[232:233], -v[156:157]
	v_add_f64 v[234:235], v[234:235], -v[158:159]
	v_mov_b64_e32 v[158:159], v[246:247]
	scratch_store_dwordx4 off, v[158:161], off offset:24 ; 16-byte Folded Spill
.LBB116_62:
	s_or_b64 exec, exec, s[0:1]
	s_barrier
	scratch_load_dwordx4 v[8:11], off, off  ; 16-byte Folded Reload
	v_lshl_add_u32 v156, v249, 4, v248
	s_mov_b32 s0, 4
	s_cmp_lt_i32 s20, 5
	v_mov_b32_e32 v246, 3
	s_waitcnt vmcnt(0)
	ds_write2_b64 v156, v[8:9], v[10:11] offset1:1
	s_waitcnt lgkmcnt(0)
	s_barrier
	ds_read2_b64 v[236:239], v248 offset0:6 offset1:7
	s_cbranch_scc1 .LBB116_65
; %bb.63:
	v_add3_u32 v247, v251, 0, 64
	v_mov_b32_e32 v246, 3
.LBB116_64:                             ; =>This Inner Loop Header: Depth=1
	ds_read2_b64 v[242:245], v247 offset1:1
	s_waitcnt lgkmcnt(1)
	v_cmp_gt_f64_e32 vcc, 0, v[236:237]
	v_xor_b32_e32 v156, 0x80000000, v237
	v_xor_b32_e32 v158, 0x80000000, v239
	v_cndmask_b32_e32 v157, v237, v156, vcc
	v_cmp_gt_f64_e32 vcc, 0, v[238:239]
	v_mov_b32_e32 v156, v236
	s_waitcnt lgkmcnt(0)
	v_xor_b32_e32 v160, 0x80000000, v245
	v_cndmask_b32_e32 v159, v239, v158, vcc
	v_mov_b32_e32 v158, v238
	v_add_f64 v[156:157], v[156:157], v[158:159]
	v_cmp_gt_f64_e32 vcc, 0, v[242:243]
	v_xor_b32_e32 v158, 0x80000000, v243
	v_add_u32_e32 v247, 16, v247
	v_cndmask_b32_e32 v159, v243, v158, vcc
	v_cmp_gt_f64_e32 vcc, 0, v[244:245]
	v_mov_b32_e32 v158, v242
	s_nop 0
	v_cndmask_b32_e32 v161, v245, v160, vcc
	v_mov_b32_e32 v160, v244
	v_add_f64 v[158:159], v[158:159], v[160:161]
	v_cmp_lt_f64_e32 vcc, v[156:157], v[158:159]
	v_mov_b32_e32 v156, s0
	s_add_i32 s0, s0, 1
	v_cndmask_b32_e32 v237, v237, v243, vcc
	v_cndmask_b32_e32 v236, v236, v242, vcc
	;; [unrolled: 1-line block ×5, first 2 shown]
	s_cmp_lg_u32 s20, s0
	s_cbranch_scc1 .LBB116_64
.LBB116_65:
	s_waitcnt lgkmcnt(0)
	v_cmp_eq_f64_e32 vcc, 0, v[236:237]
	v_cmp_eq_f64_e64 s[0:1], 0, v[238:239]
	s_and_b64 s[0:1], vcc, s[0:1]
	s_and_saveexec_b64 s[16:17], s[0:1]
	s_xor_b64 s[0:1], exec, s[16:17]
; %bb.66:
	v_cmp_ne_u32_e32 vcc, 0, v250
	s_nop 1
	v_cndmask_b32_e32 v250, 4, v250, vcc
; %bb.67:
	s_andn2_saveexec_b64 s[0:1], s[0:1]
	s_cbranch_execz .LBB116_73
; %bb.68:
	v_cmp_ngt_f64_e64 s[16:17], |v[236:237]|, |v[238:239]|
	s_and_saveexec_b64 s[18:19], s[16:17]
	s_xor_b64 s[16:17], exec, s[18:19]
	s_cbranch_execz .LBB116_70
; %bb.69:
	v_div_scale_f64 v[156:157], s[18:19], v[238:239], v[238:239], v[236:237]
	v_rcp_f64_e32 v[158:159], v[156:157]
	v_div_scale_f64 v[160:161], vcc, v[236:237], v[238:239], v[236:237]
	v_fma_f64 v[162:163], -v[156:157], v[158:159], 1.0
	v_fmac_f64_e32 v[158:159], v[158:159], v[162:163]
	v_fma_f64 v[162:163], -v[156:157], v[158:159], 1.0
	v_fmac_f64_e32 v[158:159], v[158:159], v[162:163]
	v_mul_f64 v[162:163], v[160:161], v[158:159]
	v_fma_f64 v[156:157], -v[156:157], v[162:163], v[160:161]
	v_div_fmas_f64 v[156:157], v[156:157], v[158:159], v[162:163]
	v_div_fixup_f64 v[156:157], v[156:157], v[238:239], v[236:237]
	v_fmac_f64_e32 v[238:239], v[236:237], v[156:157]
	v_div_scale_f64 v[158:159], s[18:19], v[238:239], v[238:239], 1.0
	v_rcp_f64_e32 v[160:161], v[158:159]
	s_nop 0
	v_fma_f64 v[162:163], -v[158:159], v[160:161], 1.0
	v_fmac_f64_e32 v[160:161], v[160:161], v[162:163]
	v_fma_f64 v[162:163], -v[158:159], v[160:161], 1.0
	v_fmac_f64_e32 v[160:161], v[160:161], v[162:163]
	v_div_scale_f64 v[162:163], vcc, 1.0, v[238:239], 1.0
	v_mul_f64 v[216:217], v[162:163], v[160:161]
	v_fma_f64 v[158:159], -v[158:159], v[216:217], v[162:163]
	s_nop 1
	v_div_fmas_f64 v[158:159], v[158:159], v[160:161], v[216:217]
	v_div_fixup_f64 v[238:239], v[158:159], v[238:239], 1.0
	v_mul_f64 v[236:237], v[156:157], v[238:239]
	v_xor_b32_e32 v239, 0x80000000, v239
.LBB116_70:
	s_andn2_saveexec_b64 s[16:17], s[16:17]
	s_cbranch_execz .LBB116_72
; %bb.71:
	v_div_scale_f64 v[156:157], s[18:19], v[236:237], v[236:237], v[238:239]
	v_rcp_f64_e32 v[158:159], v[156:157]
	v_div_scale_f64 v[160:161], vcc, v[238:239], v[236:237], v[238:239]
	v_fma_f64 v[162:163], -v[156:157], v[158:159], 1.0
	v_fmac_f64_e32 v[158:159], v[158:159], v[162:163]
	v_fma_f64 v[162:163], -v[156:157], v[158:159], 1.0
	v_fmac_f64_e32 v[158:159], v[158:159], v[162:163]
	v_mul_f64 v[162:163], v[160:161], v[158:159]
	v_fma_f64 v[156:157], -v[156:157], v[162:163], v[160:161]
	v_div_fmas_f64 v[156:157], v[156:157], v[158:159], v[162:163]
	v_div_fixup_f64 v[156:157], v[156:157], v[236:237], v[238:239]
	v_fmac_f64_e32 v[236:237], v[238:239], v[156:157]
	v_div_scale_f64 v[158:159], s[18:19], v[236:237], v[236:237], 1.0
	v_rcp_f64_e32 v[160:161], v[158:159]
	s_nop 0
	v_fma_f64 v[162:163], -v[158:159], v[160:161], 1.0
	v_fmac_f64_e32 v[160:161], v[160:161], v[162:163]
	v_fma_f64 v[162:163], -v[158:159], v[160:161], 1.0
	v_fmac_f64_e32 v[160:161], v[160:161], v[162:163]
	v_div_scale_f64 v[162:163], vcc, 1.0, v[236:237], 1.0
	v_mul_f64 v[216:217], v[162:163], v[160:161]
	v_fma_f64 v[158:159], -v[158:159], v[216:217], v[162:163]
	s_nop 1
	v_div_fmas_f64 v[158:159], v[158:159], v[160:161], v[216:217]
	v_div_fixup_f64 v[236:237], v[158:159], v[236:237], 1.0
	v_mul_f64 v[238:239], v[156:157], -v[236:237]
.LBB116_72:
	s_or_b64 exec, exec, s[16:17]
.LBB116_73:
	s_or_b64 exec, exec, s[0:1]
	v_cmp_ne_u32_e32 vcc, v249, v246
	s_and_saveexec_b64 s[0:1], vcc
	s_xor_b64 s[0:1], exec, s[0:1]
	s_cbranch_execz .LBB116_79
; %bb.74:
	v_cmp_eq_u32_e32 vcc, 3, v249
	s_and_saveexec_b64 s[16:17], vcc
	s_cbranch_execz .LBB116_78
; %bb.75:
	v_cmp_ne_u32_e32 vcc, 3, v246
	s_xor_b64 s[18:19], s[14:15], -1
	s_and_b64 s[22:23], s[18:19], vcc
	s_and_saveexec_b64 s[18:19], s[22:23]
	s_cbranch_execz .LBB116_77
; %bb.76:
	scratch_load_dwordx2 v[8:9], off, off offset:16 ; 8-byte Folded Reload
	v_ashrrev_i32_e32 v247, 31, v246
	s_waitcnt vmcnt(0)
	v_lshl_add_u64 v[156:157], v[246:247], 2, v[8:9]
	global_load_dword v158, v[156:157], off
	global_load_dword v159, v[8:9], off offset:12
	s_waitcnt vmcnt(1)
	global_store_dword v[8:9], v158, off offset:12
	s_waitcnt vmcnt(1)
	global_store_dword v[156:157], v159, off
.LBB116_77:
	s_or_b64 exec, exec, s[18:19]
	v_mov_b32_e32 v249, v246
	v_mov_b32_e32 v218, v246
.LBB116_78:
	s_or_b64 exec, exec, s[16:17]
.LBB116_79:
	s_andn2_saveexec_b64 s[0:1], s[0:1]
	s_cbranch_execz .LBB116_81
; %bb.80:
	v_mov_b32_e32 v249, 3
	ds_write2_b64 v248, v[0:1], v[2:3] offset0:8 offset1:9
	ds_write2_b64 v248, v[4:5], v[6:7] offset0:10 offset1:11
	;; [unrolled: 1-line block ×55, first 2 shown]
.LBB116_81:
	s_or_b64 exec, exec, s[0:1]
	v_cmp_lt_i32_e32 vcc, 3, v249
	s_waitcnt lgkmcnt(0)
	s_barrier
	s_and_saveexec_b64 s[0:1], vcc
	s_cbranch_execz .LBB116_83
; %bb.82:
	scratch_load_dwordx4 v[8:11], off, off  ; 16-byte Folded Reload
	s_waitcnt vmcnt(0)
	v_mul_f64 v[156:157], v[238:239], v[10:11]
	v_mul_f64 v[10:11], v[236:237], v[10:11]
	v_fma_f64 v[246:247], v[236:237], v[8:9], -v[156:157]
	v_fmac_f64_e32 v[10:11], v[238:239], v[8:9]
	ds_read2_b64 v[236:239], v248 offset0:8 offset1:9
	v_mov_b64_e32 v[8:9], v[246:247]
	scratch_store_dwordx4 off, v[8:11], off ; 16-byte Folded Spill
	s_waitcnt lgkmcnt(0)
	v_mul_f64 v[156:157], v[238:239], v[10:11]
	v_mul_f64 v[158:159], v[236:237], v[10:11]
	v_fma_f64 v[156:157], v[236:237], v[246:247], -v[156:157]
	v_fmac_f64_e32 v[158:159], v[238:239], v[246:247]
	ds_read2_b64 v[236:239], v248 offset0:10 offset1:11
	v_add_f64 v[0:1], v[0:1], -v[156:157]
	v_add_f64 v[2:3], v[2:3], -v[158:159]
	s_waitcnt lgkmcnt(0)
	v_mul_f64 v[156:157], v[238:239], v[10:11]
	v_mul_f64 v[158:159], v[236:237], v[10:11]
	v_fma_f64 v[156:157], v[236:237], v[246:247], -v[156:157]
	v_fmac_f64_e32 v[158:159], v[238:239], v[246:247]
	ds_read2_b64 v[236:239], v248 offset0:12 offset1:13
	v_add_f64 v[4:5], v[4:5], -v[156:157]
	v_add_f64 v[6:7], v[6:7], -v[158:159]
	;; [unrolled: 8-line block ×54, first 2 shown]
	s_waitcnt lgkmcnt(0)
	v_mul_f64 v[156:157], v[238:239], v[10:11]
	v_mul_f64 v[158:159], v[236:237], v[10:11]
	v_fma_f64 v[156:157], v[236:237], v[246:247], -v[156:157]
	v_fmac_f64_e32 v[158:159], v[238:239], v[246:247]
	v_add_f64 v[232:233], v[232:233], -v[156:157]
	v_add_f64 v[234:235], v[234:235], -v[158:159]
.LBB116_83:
	s_or_b64 exec, exec, s[0:1]
	v_lshl_add_u32 v156, v249, 4, v248
	s_barrier
	ds_write2_b64 v156, v[0:1], v[2:3] offset1:1
	s_waitcnt lgkmcnt(0)
	s_barrier
	ds_read2_b64 v[236:239], v248 offset0:8 offset1:9
	s_cmp_lt_i32 s20, 6
	v_mov_b32_e32 v246, 4
	s_cbranch_scc1 .LBB116_86
; %bb.84:
	v_mov_b32_e32 v246, 4
	v_add_u32_e32 v247, 0x50, v248
	s_mov_b32 s0, 5
.LBB116_85:                             ; =>This Inner Loop Header: Depth=1
	ds_read2_b64 v[242:245], v247 offset1:1
	s_waitcnt lgkmcnt(1)
	v_cmp_gt_f64_e32 vcc, 0, v[236:237]
	v_xor_b32_e32 v156, 0x80000000, v237
	v_xor_b32_e32 v158, 0x80000000, v239
	v_cndmask_b32_e32 v157, v237, v156, vcc
	v_cmp_gt_f64_e32 vcc, 0, v[238:239]
	v_mov_b32_e32 v156, v236
	s_waitcnt lgkmcnt(0)
	v_xor_b32_e32 v160, 0x80000000, v245
	v_cndmask_b32_e32 v159, v239, v158, vcc
	v_mov_b32_e32 v158, v238
	v_add_f64 v[156:157], v[156:157], v[158:159]
	v_cmp_gt_f64_e32 vcc, 0, v[242:243]
	v_xor_b32_e32 v158, 0x80000000, v243
	v_add_u32_e32 v247, 16, v247
	v_cndmask_b32_e32 v159, v243, v158, vcc
	v_cmp_gt_f64_e32 vcc, 0, v[244:245]
	v_mov_b32_e32 v158, v242
	s_nop 0
	v_cndmask_b32_e32 v161, v245, v160, vcc
	v_mov_b32_e32 v160, v244
	v_add_f64 v[158:159], v[158:159], v[160:161]
	v_cmp_lt_f64_e32 vcc, v[156:157], v[158:159]
	v_mov_b32_e32 v156, s0
	s_add_i32 s0, s0, 1
	v_cndmask_b32_e32 v237, v237, v243, vcc
	v_cndmask_b32_e32 v236, v236, v242, vcc
	;; [unrolled: 1-line block ×5, first 2 shown]
	s_cmp_lg_u32 s20, s0
	s_cbranch_scc1 .LBB116_85
.LBB116_86:
	s_waitcnt lgkmcnt(0)
	v_cmp_eq_f64_e32 vcc, 0, v[236:237]
	v_cmp_eq_f64_e64 s[0:1], 0, v[238:239]
	s_and_b64 s[0:1], vcc, s[0:1]
	s_and_saveexec_b64 s[16:17], s[0:1]
	s_xor_b64 s[0:1], exec, s[16:17]
; %bb.87:
	v_cmp_ne_u32_e32 vcc, 0, v250
	s_nop 1
	v_cndmask_b32_e32 v250, 5, v250, vcc
; %bb.88:
	s_andn2_saveexec_b64 s[0:1], s[0:1]
	s_cbranch_execz .LBB116_94
; %bb.89:
	v_cmp_ngt_f64_e64 s[16:17], |v[236:237]|, |v[238:239]|
	s_and_saveexec_b64 s[18:19], s[16:17]
	s_xor_b64 s[16:17], exec, s[18:19]
	s_cbranch_execz .LBB116_91
; %bb.90:
	v_div_scale_f64 v[156:157], s[18:19], v[238:239], v[238:239], v[236:237]
	v_rcp_f64_e32 v[158:159], v[156:157]
	v_div_scale_f64 v[160:161], vcc, v[236:237], v[238:239], v[236:237]
	v_fma_f64 v[162:163], -v[156:157], v[158:159], 1.0
	v_fmac_f64_e32 v[158:159], v[158:159], v[162:163]
	v_fma_f64 v[162:163], -v[156:157], v[158:159], 1.0
	v_fmac_f64_e32 v[158:159], v[158:159], v[162:163]
	v_mul_f64 v[162:163], v[160:161], v[158:159]
	v_fma_f64 v[156:157], -v[156:157], v[162:163], v[160:161]
	v_div_fmas_f64 v[156:157], v[156:157], v[158:159], v[162:163]
	v_div_fixup_f64 v[156:157], v[156:157], v[238:239], v[236:237]
	v_fmac_f64_e32 v[238:239], v[236:237], v[156:157]
	v_div_scale_f64 v[158:159], s[18:19], v[238:239], v[238:239], 1.0
	v_rcp_f64_e32 v[160:161], v[158:159]
	s_nop 0
	v_fma_f64 v[162:163], -v[158:159], v[160:161], 1.0
	v_fmac_f64_e32 v[160:161], v[160:161], v[162:163]
	v_fma_f64 v[162:163], -v[158:159], v[160:161], 1.0
	v_fmac_f64_e32 v[160:161], v[160:161], v[162:163]
	v_div_scale_f64 v[162:163], vcc, 1.0, v[238:239], 1.0
	v_mul_f64 v[216:217], v[162:163], v[160:161]
	v_fma_f64 v[158:159], -v[158:159], v[216:217], v[162:163]
	s_nop 1
	v_div_fmas_f64 v[158:159], v[158:159], v[160:161], v[216:217]
	v_div_fixup_f64 v[238:239], v[158:159], v[238:239], 1.0
	v_mul_f64 v[236:237], v[156:157], v[238:239]
	v_xor_b32_e32 v239, 0x80000000, v239
.LBB116_91:
	s_andn2_saveexec_b64 s[16:17], s[16:17]
	s_cbranch_execz .LBB116_93
; %bb.92:
	v_div_scale_f64 v[156:157], s[18:19], v[236:237], v[236:237], v[238:239]
	v_rcp_f64_e32 v[158:159], v[156:157]
	v_div_scale_f64 v[160:161], vcc, v[238:239], v[236:237], v[238:239]
	v_fma_f64 v[162:163], -v[156:157], v[158:159], 1.0
	v_fmac_f64_e32 v[158:159], v[158:159], v[162:163]
	v_fma_f64 v[162:163], -v[156:157], v[158:159], 1.0
	v_fmac_f64_e32 v[158:159], v[158:159], v[162:163]
	v_mul_f64 v[162:163], v[160:161], v[158:159]
	v_fma_f64 v[156:157], -v[156:157], v[162:163], v[160:161]
	v_div_fmas_f64 v[156:157], v[156:157], v[158:159], v[162:163]
	v_div_fixup_f64 v[156:157], v[156:157], v[236:237], v[238:239]
	v_fmac_f64_e32 v[236:237], v[238:239], v[156:157]
	v_div_scale_f64 v[158:159], s[18:19], v[236:237], v[236:237], 1.0
	v_rcp_f64_e32 v[160:161], v[158:159]
	s_nop 0
	v_fma_f64 v[162:163], -v[158:159], v[160:161], 1.0
	v_fmac_f64_e32 v[160:161], v[160:161], v[162:163]
	v_fma_f64 v[162:163], -v[158:159], v[160:161], 1.0
	v_fmac_f64_e32 v[160:161], v[160:161], v[162:163]
	v_div_scale_f64 v[162:163], vcc, 1.0, v[236:237], 1.0
	v_mul_f64 v[216:217], v[162:163], v[160:161]
	v_fma_f64 v[158:159], -v[158:159], v[216:217], v[162:163]
	s_nop 1
	v_div_fmas_f64 v[158:159], v[158:159], v[160:161], v[216:217]
	v_div_fixup_f64 v[236:237], v[158:159], v[236:237], 1.0
	v_mul_f64 v[238:239], v[156:157], -v[236:237]
.LBB116_93:
	s_or_b64 exec, exec, s[16:17]
.LBB116_94:
	s_or_b64 exec, exec, s[0:1]
	v_cmp_ne_u32_e32 vcc, v249, v246
	s_and_saveexec_b64 s[0:1], vcc
	s_xor_b64 s[0:1], exec, s[0:1]
	s_cbranch_execz .LBB116_100
; %bb.95:
	v_cmp_eq_u32_e32 vcc, 4, v249
	s_and_saveexec_b64 s[16:17], vcc
	s_cbranch_execz .LBB116_99
; %bb.96:
	v_cmp_ne_u32_e32 vcc, 4, v246
	s_xor_b64 s[18:19], s[14:15], -1
	s_and_b64 s[22:23], s[18:19], vcc
	s_and_saveexec_b64 s[18:19], s[22:23]
	s_cbranch_execz .LBB116_98
; %bb.97:
	scratch_load_dwordx2 v[8:9], off, off offset:16 ; 8-byte Folded Reload
	v_ashrrev_i32_e32 v247, 31, v246
	s_waitcnt vmcnt(0)
	v_lshl_add_u64 v[156:157], v[246:247], 2, v[8:9]
	global_load_dword v158, v[156:157], off
	global_load_dword v159, v[8:9], off offset:16
	s_waitcnt vmcnt(1)
	global_store_dword v[8:9], v158, off offset:16
	s_waitcnt vmcnt(1)
	global_store_dword v[156:157], v159, off
.LBB116_98:
	s_or_b64 exec, exec, s[18:19]
	v_mov_b32_e32 v249, v246
	v_mov_b32_e32 v218, v246
.LBB116_99:
	s_or_b64 exec, exec, s[16:17]
.LBB116_100:
	s_andn2_saveexec_b64 s[0:1], s[0:1]
	s_cbranch_execz .LBB116_102
; %bb.101:
	v_mov_b32_e32 v249, 4
	ds_write2_b64 v248, v[4:5], v[6:7] offset0:10 offset1:11
	ds_write2_b64 v248, v[152:153], v[154:155] offset0:12 offset1:13
	;; [unrolled: 1-line block ×54, first 2 shown]
.LBB116_102:
	s_or_b64 exec, exec, s[0:1]
	v_cmp_lt_i32_e32 vcc, 4, v249
	s_waitcnt lgkmcnt(0)
	s_barrier
	s_and_saveexec_b64 s[0:1], vcc
	s_cbranch_execz .LBB116_104
; %bb.103:
	v_mul_f64 v[156:157], v[238:239], v[2:3]
	v_mul_f64 v[2:3], v[236:237], v[2:3]
	v_fma_f64 v[246:247], v[236:237], v[0:1], -v[156:157]
	v_fmac_f64_e32 v[2:3], v[238:239], v[0:1]
	ds_read2_b64 v[236:239], v248 offset0:10 offset1:11
	v_mov_b64_e32 v[0:1], v[246:247]
	s_waitcnt lgkmcnt(0)
	v_mul_f64 v[156:157], v[238:239], v[2:3]
	v_mul_f64 v[158:159], v[236:237], v[2:3]
	v_fma_f64 v[156:157], v[236:237], v[246:247], -v[156:157]
	v_fmac_f64_e32 v[158:159], v[238:239], v[246:247]
	ds_read2_b64 v[236:239], v248 offset0:12 offset1:13
	v_add_f64 v[4:5], v[4:5], -v[156:157]
	v_add_f64 v[6:7], v[6:7], -v[158:159]
	s_waitcnt lgkmcnt(0)
	v_mul_f64 v[156:157], v[238:239], v[2:3]
	v_mul_f64 v[158:159], v[236:237], v[2:3]
	v_fma_f64 v[156:157], v[236:237], v[246:247], -v[156:157]
	v_fmac_f64_e32 v[158:159], v[238:239], v[246:247]
	ds_read2_b64 v[236:239], v248 offset0:14 offset1:15
	v_add_f64 v[152:153], v[152:153], -v[156:157]
	v_add_f64 v[154:155], v[154:155], -v[158:159]
	;; [unrolled: 8-line block ×53, first 2 shown]
	s_waitcnt lgkmcnt(0)
	v_mul_f64 v[156:157], v[238:239], v[2:3]
	v_mul_f64 v[158:159], v[236:237], v[2:3]
	v_fma_f64 v[156:157], v[236:237], v[246:247], -v[156:157]
	v_fmac_f64_e32 v[158:159], v[238:239], v[246:247]
	v_add_f64 v[232:233], v[232:233], -v[156:157]
	v_add_f64 v[234:235], v[234:235], -v[158:159]
.LBB116_104:
	s_or_b64 exec, exec, s[0:1]
	v_lshl_add_u32 v156, v249, 4, v248
	s_barrier
	ds_write2_b64 v156, v[4:5], v[6:7] offset1:1
	s_waitcnt lgkmcnt(0)
	s_barrier
	ds_read2_b64 v[236:239], v248 offset0:10 offset1:11
	s_cmp_lt_i32 s20, 7
	v_mov_b32_e32 v246, 5
	s_cbranch_scc1 .LBB116_107
; %bb.105:
	v_add_u32_e32 v247, 0x60, v248
	s_mov_b32 s0, 6
	v_mov_b32_e32 v246, 5
.LBB116_106:                            ; =>This Inner Loop Header: Depth=1
	ds_read2_b64 v[242:245], v247 offset1:1
	s_waitcnt lgkmcnt(1)
	v_cmp_gt_f64_e32 vcc, 0, v[236:237]
	v_xor_b32_e32 v156, 0x80000000, v237
	v_xor_b32_e32 v158, 0x80000000, v239
	v_cndmask_b32_e32 v157, v237, v156, vcc
	v_cmp_gt_f64_e32 vcc, 0, v[238:239]
	v_mov_b32_e32 v156, v236
	s_waitcnt lgkmcnt(0)
	v_xor_b32_e32 v160, 0x80000000, v245
	v_cndmask_b32_e32 v159, v239, v158, vcc
	v_mov_b32_e32 v158, v238
	v_add_f64 v[156:157], v[156:157], v[158:159]
	v_cmp_gt_f64_e32 vcc, 0, v[242:243]
	v_xor_b32_e32 v158, 0x80000000, v243
	v_add_u32_e32 v247, 16, v247
	v_cndmask_b32_e32 v159, v243, v158, vcc
	v_cmp_gt_f64_e32 vcc, 0, v[244:245]
	v_mov_b32_e32 v158, v242
	s_nop 0
	v_cndmask_b32_e32 v161, v245, v160, vcc
	v_mov_b32_e32 v160, v244
	v_add_f64 v[158:159], v[158:159], v[160:161]
	v_cmp_lt_f64_e32 vcc, v[156:157], v[158:159]
	v_mov_b32_e32 v156, s0
	s_add_i32 s0, s0, 1
	v_cndmask_b32_e32 v237, v237, v243, vcc
	v_cndmask_b32_e32 v236, v236, v242, vcc
	;; [unrolled: 1-line block ×5, first 2 shown]
	s_cmp_lg_u32 s20, s0
	s_cbranch_scc1 .LBB116_106
.LBB116_107:
	s_waitcnt lgkmcnt(0)
	v_cmp_eq_f64_e32 vcc, 0, v[236:237]
	v_cmp_eq_f64_e64 s[0:1], 0, v[238:239]
	s_and_b64 s[0:1], vcc, s[0:1]
	s_and_saveexec_b64 s[16:17], s[0:1]
	s_xor_b64 s[0:1], exec, s[16:17]
; %bb.108:
	v_cmp_ne_u32_e32 vcc, 0, v250
	s_nop 1
	v_cndmask_b32_e32 v250, 6, v250, vcc
; %bb.109:
	s_andn2_saveexec_b64 s[0:1], s[0:1]
	s_cbranch_execz .LBB116_115
; %bb.110:
	v_cmp_ngt_f64_e64 s[16:17], |v[236:237]|, |v[238:239]|
	s_and_saveexec_b64 s[18:19], s[16:17]
	s_xor_b64 s[16:17], exec, s[18:19]
	s_cbranch_execz .LBB116_112
; %bb.111:
	v_div_scale_f64 v[156:157], s[18:19], v[238:239], v[238:239], v[236:237]
	v_rcp_f64_e32 v[158:159], v[156:157]
	v_div_scale_f64 v[160:161], vcc, v[236:237], v[238:239], v[236:237]
	v_fma_f64 v[162:163], -v[156:157], v[158:159], 1.0
	v_fmac_f64_e32 v[158:159], v[158:159], v[162:163]
	v_fma_f64 v[162:163], -v[156:157], v[158:159], 1.0
	v_fmac_f64_e32 v[158:159], v[158:159], v[162:163]
	v_mul_f64 v[162:163], v[160:161], v[158:159]
	v_fma_f64 v[156:157], -v[156:157], v[162:163], v[160:161]
	v_div_fmas_f64 v[156:157], v[156:157], v[158:159], v[162:163]
	v_div_fixup_f64 v[156:157], v[156:157], v[238:239], v[236:237]
	v_fmac_f64_e32 v[238:239], v[236:237], v[156:157]
	v_div_scale_f64 v[158:159], s[18:19], v[238:239], v[238:239], 1.0
	v_rcp_f64_e32 v[160:161], v[158:159]
	s_nop 0
	v_fma_f64 v[162:163], -v[158:159], v[160:161], 1.0
	v_fmac_f64_e32 v[160:161], v[160:161], v[162:163]
	v_fma_f64 v[162:163], -v[158:159], v[160:161], 1.0
	v_fmac_f64_e32 v[160:161], v[160:161], v[162:163]
	v_div_scale_f64 v[162:163], vcc, 1.0, v[238:239], 1.0
	v_mul_f64 v[216:217], v[162:163], v[160:161]
	v_fma_f64 v[158:159], -v[158:159], v[216:217], v[162:163]
	s_nop 1
	v_div_fmas_f64 v[158:159], v[158:159], v[160:161], v[216:217]
	v_div_fixup_f64 v[238:239], v[158:159], v[238:239], 1.0
	v_mul_f64 v[236:237], v[156:157], v[238:239]
	v_xor_b32_e32 v239, 0x80000000, v239
.LBB116_112:
	s_andn2_saveexec_b64 s[16:17], s[16:17]
	s_cbranch_execz .LBB116_114
; %bb.113:
	v_div_scale_f64 v[156:157], s[18:19], v[236:237], v[236:237], v[238:239]
	v_rcp_f64_e32 v[158:159], v[156:157]
	v_div_scale_f64 v[160:161], vcc, v[238:239], v[236:237], v[238:239]
	v_fma_f64 v[162:163], -v[156:157], v[158:159], 1.0
	v_fmac_f64_e32 v[158:159], v[158:159], v[162:163]
	v_fma_f64 v[162:163], -v[156:157], v[158:159], 1.0
	v_fmac_f64_e32 v[158:159], v[158:159], v[162:163]
	v_mul_f64 v[162:163], v[160:161], v[158:159]
	v_fma_f64 v[156:157], -v[156:157], v[162:163], v[160:161]
	v_div_fmas_f64 v[156:157], v[156:157], v[158:159], v[162:163]
	v_div_fixup_f64 v[156:157], v[156:157], v[236:237], v[238:239]
	v_fmac_f64_e32 v[236:237], v[238:239], v[156:157]
	v_div_scale_f64 v[158:159], s[18:19], v[236:237], v[236:237], 1.0
	v_rcp_f64_e32 v[160:161], v[158:159]
	s_nop 0
	v_fma_f64 v[162:163], -v[158:159], v[160:161], 1.0
	v_fmac_f64_e32 v[160:161], v[160:161], v[162:163]
	v_fma_f64 v[162:163], -v[158:159], v[160:161], 1.0
	v_fmac_f64_e32 v[160:161], v[160:161], v[162:163]
	v_div_scale_f64 v[162:163], vcc, 1.0, v[236:237], 1.0
	v_mul_f64 v[216:217], v[162:163], v[160:161]
	v_fma_f64 v[158:159], -v[158:159], v[216:217], v[162:163]
	s_nop 1
	v_div_fmas_f64 v[158:159], v[158:159], v[160:161], v[216:217]
	v_div_fixup_f64 v[236:237], v[158:159], v[236:237], 1.0
	v_mul_f64 v[238:239], v[156:157], -v[236:237]
.LBB116_114:
	s_or_b64 exec, exec, s[16:17]
.LBB116_115:
	s_or_b64 exec, exec, s[0:1]
	v_cmp_ne_u32_e32 vcc, v249, v246
	s_and_saveexec_b64 s[0:1], vcc
	s_xor_b64 s[0:1], exec, s[0:1]
	s_cbranch_execz .LBB116_121
; %bb.116:
	v_cmp_eq_u32_e32 vcc, 5, v249
	s_and_saveexec_b64 s[16:17], vcc
	s_cbranch_execz .LBB116_120
; %bb.117:
	v_cmp_ne_u32_e32 vcc, 5, v246
	s_xor_b64 s[18:19], s[14:15], -1
	s_and_b64 s[22:23], s[18:19], vcc
	s_and_saveexec_b64 s[18:19], s[22:23]
	s_cbranch_execz .LBB116_119
; %bb.118:
	scratch_load_dwordx2 v[8:9], off, off offset:16 ; 8-byte Folded Reload
	v_ashrrev_i32_e32 v247, 31, v246
	s_waitcnt vmcnt(0)
	v_lshl_add_u64 v[156:157], v[246:247], 2, v[8:9]
	global_load_dword v158, v[156:157], off
	global_load_dword v159, v[8:9], off offset:20
	s_waitcnt vmcnt(1)
	global_store_dword v[8:9], v158, off offset:20
	s_waitcnt vmcnt(1)
	global_store_dword v[156:157], v159, off
.LBB116_119:
	s_or_b64 exec, exec, s[18:19]
	v_mov_b32_e32 v249, v246
	v_mov_b32_e32 v218, v246
.LBB116_120:
	s_or_b64 exec, exec, s[16:17]
.LBB116_121:
	s_andn2_saveexec_b64 s[0:1], s[0:1]
	s_cbranch_execz .LBB116_123
; %bb.122:
	v_mov_b32_e32 v249, 5
	ds_write2_b64 v248, v[152:153], v[154:155] offset0:12 offset1:13
	ds_write2_b64 v248, v[228:229], v[230:231] offset0:14 offset1:15
	;; [unrolled: 1-line block ×53, first 2 shown]
.LBB116_123:
	s_or_b64 exec, exec, s[0:1]
	v_cmp_lt_i32_e32 vcc, 5, v249
	s_waitcnt lgkmcnt(0)
	s_barrier
	s_and_saveexec_b64 s[0:1], vcc
	s_cbranch_execz .LBB116_125
; %bb.124:
	v_mul_f64 v[156:157], v[238:239], v[6:7]
	v_mul_f64 v[6:7], v[236:237], v[6:7]
	v_fma_f64 v[246:247], v[236:237], v[4:5], -v[156:157]
	v_fmac_f64_e32 v[6:7], v[238:239], v[4:5]
	ds_read2_b64 v[236:239], v248 offset0:12 offset1:13
	v_mov_b64_e32 v[4:5], v[246:247]
	s_waitcnt lgkmcnt(0)
	v_mul_f64 v[156:157], v[238:239], v[6:7]
	v_mul_f64 v[158:159], v[236:237], v[6:7]
	v_fma_f64 v[156:157], v[236:237], v[246:247], -v[156:157]
	v_fmac_f64_e32 v[158:159], v[238:239], v[246:247]
	ds_read2_b64 v[236:239], v248 offset0:14 offset1:15
	v_add_f64 v[152:153], v[152:153], -v[156:157]
	v_add_f64 v[154:155], v[154:155], -v[158:159]
	s_waitcnt lgkmcnt(0)
	v_mul_f64 v[156:157], v[238:239], v[6:7]
	v_mul_f64 v[158:159], v[236:237], v[6:7]
	v_fma_f64 v[156:157], v[236:237], v[246:247], -v[156:157]
	v_fmac_f64_e32 v[158:159], v[238:239], v[246:247]
	ds_read2_b64 v[236:239], v248 offset0:16 offset1:17
	v_add_f64 v[228:229], v[228:229], -v[156:157]
	v_add_f64 v[230:231], v[230:231], -v[158:159]
	;; [unrolled: 8-line block ×52, first 2 shown]
	s_waitcnt lgkmcnt(0)
	v_mul_f64 v[156:157], v[238:239], v[6:7]
	v_mul_f64 v[158:159], v[236:237], v[6:7]
	v_fma_f64 v[156:157], v[236:237], v[246:247], -v[156:157]
	v_fmac_f64_e32 v[158:159], v[238:239], v[246:247]
	v_add_f64 v[232:233], v[232:233], -v[156:157]
	v_add_f64 v[234:235], v[234:235], -v[158:159]
.LBB116_125:
	s_or_b64 exec, exec, s[0:1]
	v_lshl_add_u32 v156, v249, 4, v248
	s_barrier
	ds_write2_b64 v156, v[152:153], v[154:155] offset1:1
	s_waitcnt lgkmcnt(0)
	s_barrier
	ds_read2_b64 v[236:239], v248 offset0:12 offset1:13
	s_cmp_lt_i32 s20, 8
	v_mov_b32_e32 v246, 6
	s_cbranch_scc1 .LBB116_128
; %bb.126:
	v_add_u32_e32 v247, 0x70, v248
	s_mov_b32 s0, 7
	v_mov_b32_e32 v246, 6
.LBB116_127:                            ; =>This Inner Loop Header: Depth=1
	ds_read2_b64 v[242:245], v247 offset1:1
	s_waitcnt lgkmcnt(1)
	v_cmp_gt_f64_e32 vcc, 0, v[236:237]
	v_xor_b32_e32 v156, 0x80000000, v237
	v_xor_b32_e32 v158, 0x80000000, v239
	v_cndmask_b32_e32 v157, v237, v156, vcc
	v_cmp_gt_f64_e32 vcc, 0, v[238:239]
	v_mov_b32_e32 v156, v236
	s_waitcnt lgkmcnt(0)
	v_xor_b32_e32 v160, 0x80000000, v245
	v_cndmask_b32_e32 v159, v239, v158, vcc
	v_mov_b32_e32 v158, v238
	v_add_f64 v[156:157], v[156:157], v[158:159]
	v_cmp_gt_f64_e32 vcc, 0, v[242:243]
	v_xor_b32_e32 v158, 0x80000000, v243
	v_add_u32_e32 v247, 16, v247
	v_cndmask_b32_e32 v159, v243, v158, vcc
	v_cmp_gt_f64_e32 vcc, 0, v[244:245]
	v_mov_b32_e32 v158, v242
	s_nop 0
	v_cndmask_b32_e32 v161, v245, v160, vcc
	v_mov_b32_e32 v160, v244
	v_add_f64 v[158:159], v[158:159], v[160:161]
	v_cmp_lt_f64_e32 vcc, v[156:157], v[158:159]
	v_mov_b32_e32 v156, s0
	s_add_i32 s0, s0, 1
	v_cndmask_b32_e32 v237, v237, v243, vcc
	v_cndmask_b32_e32 v236, v236, v242, vcc
	;; [unrolled: 1-line block ×5, first 2 shown]
	s_cmp_lg_u32 s20, s0
	s_cbranch_scc1 .LBB116_127
.LBB116_128:
	s_waitcnt lgkmcnt(0)
	v_cmp_eq_f64_e32 vcc, 0, v[236:237]
	v_cmp_eq_f64_e64 s[0:1], 0, v[238:239]
	s_and_b64 s[0:1], vcc, s[0:1]
	s_and_saveexec_b64 s[16:17], s[0:1]
	s_xor_b64 s[0:1], exec, s[16:17]
; %bb.129:
	v_cmp_ne_u32_e32 vcc, 0, v250
	s_nop 1
	v_cndmask_b32_e32 v250, 7, v250, vcc
; %bb.130:
	s_andn2_saveexec_b64 s[0:1], s[0:1]
	s_cbranch_execz .LBB116_136
; %bb.131:
	v_cmp_ngt_f64_e64 s[16:17], |v[236:237]|, |v[238:239]|
	s_and_saveexec_b64 s[18:19], s[16:17]
	s_xor_b64 s[16:17], exec, s[18:19]
	s_cbranch_execz .LBB116_133
; %bb.132:
	v_div_scale_f64 v[156:157], s[18:19], v[238:239], v[238:239], v[236:237]
	v_rcp_f64_e32 v[158:159], v[156:157]
	v_div_scale_f64 v[160:161], vcc, v[236:237], v[238:239], v[236:237]
	v_fma_f64 v[162:163], -v[156:157], v[158:159], 1.0
	v_fmac_f64_e32 v[158:159], v[158:159], v[162:163]
	v_fma_f64 v[162:163], -v[156:157], v[158:159], 1.0
	v_fmac_f64_e32 v[158:159], v[158:159], v[162:163]
	v_mul_f64 v[162:163], v[160:161], v[158:159]
	v_fma_f64 v[156:157], -v[156:157], v[162:163], v[160:161]
	v_div_fmas_f64 v[156:157], v[156:157], v[158:159], v[162:163]
	v_div_fixup_f64 v[156:157], v[156:157], v[238:239], v[236:237]
	v_fmac_f64_e32 v[238:239], v[236:237], v[156:157]
	v_div_scale_f64 v[158:159], s[18:19], v[238:239], v[238:239], 1.0
	v_rcp_f64_e32 v[160:161], v[158:159]
	s_nop 0
	v_fma_f64 v[162:163], -v[158:159], v[160:161], 1.0
	v_fmac_f64_e32 v[160:161], v[160:161], v[162:163]
	v_fma_f64 v[162:163], -v[158:159], v[160:161], 1.0
	v_fmac_f64_e32 v[160:161], v[160:161], v[162:163]
	v_div_scale_f64 v[162:163], vcc, 1.0, v[238:239], 1.0
	v_mul_f64 v[216:217], v[162:163], v[160:161]
	v_fma_f64 v[158:159], -v[158:159], v[216:217], v[162:163]
	s_nop 1
	v_div_fmas_f64 v[158:159], v[158:159], v[160:161], v[216:217]
	v_div_fixup_f64 v[238:239], v[158:159], v[238:239], 1.0
	v_mul_f64 v[236:237], v[156:157], v[238:239]
	v_xor_b32_e32 v239, 0x80000000, v239
.LBB116_133:
	s_andn2_saveexec_b64 s[16:17], s[16:17]
	s_cbranch_execz .LBB116_135
; %bb.134:
	v_div_scale_f64 v[156:157], s[18:19], v[236:237], v[236:237], v[238:239]
	v_rcp_f64_e32 v[158:159], v[156:157]
	v_div_scale_f64 v[160:161], vcc, v[238:239], v[236:237], v[238:239]
	v_fma_f64 v[162:163], -v[156:157], v[158:159], 1.0
	v_fmac_f64_e32 v[158:159], v[158:159], v[162:163]
	v_fma_f64 v[162:163], -v[156:157], v[158:159], 1.0
	v_fmac_f64_e32 v[158:159], v[158:159], v[162:163]
	v_mul_f64 v[162:163], v[160:161], v[158:159]
	v_fma_f64 v[156:157], -v[156:157], v[162:163], v[160:161]
	v_div_fmas_f64 v[156:157], v[156:157], v[158:159], v[162:163]
	v_div_fixup_f64 v[156:157], v[156:157], v[236:237], v[238:239]
	v_fmac_f64_e32 v[236:237], v[238:239], v[156:157]
	v_div_scale_f64 v[158:159], s[18:19], v[236:237], v[236:237], 1.0
	v_rcp_f64_e32 v[160:161], v[158:159]
	s_nop 0
	v_fma_f64 v[162:163], -v[158:159], v[160:161], 1.0
	v_fmac_f64_e32 v[160:161], v[160:161], v[162:163]
	v_fma_f64 v[162:163], -v[158:159], v[160:161], 1.0
	v_fmac_f64_e32 v[160:161], v[160:161], v[162:163]
	v_div_scale_f64 v[162:163], vcc, 1.0, v[236:237], 1.0
	v_mul_f64 v[216:217], v[162:163], v[160:161]
	v_fma_f64 v[158:159], -v[158:159], v[216:217], v[162:163]
	s_nop 1
	v_div_fmas_f64 v[158:159], v[158:159], v[160:161], v[216:217]
	v_div_fixup_f64 v[236:237], v[158:159], v[236:237], 1.0
	v_mul_f64 v[238:239], v[156:157], -v[236:237]
.LBB116_135:
	s_or_b64 exec, exec, s[16:17]
.LBB116_136:
	s_or_b64 exec, exec, s[0:1]
	v_cmp_ne_u32_e32 vcc, v249, v246
	s_and_saveexec_b64 s[0:1], vcc
	s_xor_b64 s[0:1], exec, s[0:1]
	s_cbranch_execz .LBB116_142
; %bb.137:
	v_cmp_eq_u32_e32 vcc, 6, v249
	s_and_saveexec_b64 s[16:17], vcc
	s_cbranch_execz .LBB116_141
; %bb.138:
	v_cmp_ne_u32_e32 vcc, 6, v246
	s_xor_b64 s[18:19], s[14:15], -1
	s_and_b64 s[22:23], s[18:19], vcc
	s_and_saveexec_b64 s[18:19], s[22:23]
	s_cbranch_execz .LBB116_140
; %bb.139:
	scratch_load_dwordx2 v[8:9], off, off offset:16 ; 8-byte Folded Reload
	v_ashrrev_i32_e32 v247, 31, v246
	s_waitcnt vmcnt(0)
	v_lshl_add_u64 v[156:157], v[246:247], 2, v[8:9]
	global_load_dword v158, v[156:157], off
	global_load_dword v159, v[8:9], off offset:24
	s_waitcnt vmcnt(1)
	global_store_dword v[8:9], v158, off offset:24
	s_waitcnt vmcnt(1)
	global_store_dword v[156:157], v159, off
.LBB116_140:
	s_or_b64 exec, exec, s[18:19]
	v_mov_b32_e32 v249, v246
	v_mov_b32_e32 v218, v246
.LBB116_141:
	s_or_b64 exec, exec, s[16:17]
.LBB116_142:
	s_andn2_saveexec_b64 s[0:1], s[0:1]
	s_cbranch_execz .LBB116_144
; %bb.143:
	v_mov_b32_e32 v249, 6
	ds_write2_b64 v248, v[228:229], v[230:231] offset0:14 offset1:15
	ds_write2_b64 v248, v[204:205], v[206:207] offset0:16 offset1:17
	;; [unrolled: 1-line block ×52, first 2 shown]
.LBB116_144:
	s_or_b64 exec, exec, s[0:1]
	v_cmp_lt_i32_e32 vcc, 6, v249
	s_waitcnt lgkmcnt(0)
	s_barrier
	s_and_saveexec_b64 s[0:1], vcc
	s_cbranch_execz .LBB116_146
; %bb.145:
	v_mul_f64 v[156:157], v[238:239], v[154:155]
	v_mul_f64 v[154:155], v[236:237], v[154:155]
	v_fma_f64 v[246:247], v[236:237], v[152:153], -v[156:157]
	v_fmac_f64_e32 v[154:155], v[238:239], v[152:153]
	ds_read2_b64 v[236:239], v248 offset0:14 offset1:15
	v_mov_b64_e32 v[152:153], v[246:247]
	s_waitcnt lgkmcnt(0)
	v_mul_f64 v[156:157], v[238:239], v[154:155]
	v_mul_f64 v[158:159], v[236:237], v[154:155]
	v_fma_f64 v[156:157], v[236:237], v[246:247], -v[156:157]
	v_fmac_f64_e32 v[158:159], v[238:239], v[246:247]
	ds_read2_b64 v[236:239], v248 offset0:16 offset1:17
	v_add_f64 v[228:229], v[228:229], -v[156:157]
	v_add_f64 v[230:231], v[230:231], -v[158:159]
	s_waitcnt lgkmcnt(0)
	v_mul_f64 v[156:157], v[238:239], v[154:155]
	v_mul_f64 v[158:159], v[236:237], v[154:155]
	v_fma_f64 v[156:157], v[236:237], v[246:247], -v[156:157]
	v_fmac_f64_e32 v[158:159], v[238:239], v[246:247]
	ds_read2_b64 v[236:239], v248 offset0:18 offset1:19
	v_add_f64 v[204:205], v[204:205], -v[156:157]
	v_add_f64 v[206:207], v[206:207], -v[158:159]
	;; [unrolled: 8-line block ×51, first 2 shown]
	s_waitcnt lgkmcnt(0)
	v_mul_f64 v[156:157], v[238:239], v[154:155]
	v_mul_f64 v[158:159], v[236:237], v[154:155]
	v_fma_f64 v[156:157], v[236:237], v[246:247], -v[156:157]
	v_fmac_f64_e32 v[158:159], v[238:239], v[246:247]
	v_add_f64 v[232:233], v[232:233], -v[156:157]
	v_add_f64 v[234:235], v[234:235], -v[158:159]
.LBB116_146:
	s_or_b64 exec, exec, s[0:1]
	v_lshl_add_u32 v156, v249, 4, v248
	s_barrier
	ds_write2_b64 v156, v[228:229], v[230:231] offset1:1
	s_waitcnt lgkmcnt(0)
	s_barrier
	ds_read2_b64 v[236:239], v248 offset0:14 offset1:15
	s_cmp_lt_i32 s20, 9
	v_mov_b32_e32 v246, 7
	s_cbranch_scc1 .LBB116_149
; %bb.147:
	v_add_u32_e32 v247, 0x80, v248
	s_mov_b32 s0, 8
	v_mov_b32_e32 v246, 7
.LBB116_148:                            ; =>This Inner Loop Header: Depth=1
	ds_read2_b64 v[242:245], v247 offset1:1
	s_waitcnt lgkmcnt(1)
	v_cmp_gt_f64_e32 vcc, 0, v[236:237]
	v_xor_b32_e32 v156, 0x80000000, v237
	v_xor_b32_e32 v158, 0x80000000, v239
	v_cndmask_b32_e32 v157, v237, v156, vcc
	v_cmp_gt_f64_e32 vcc, 0, v[238:239]
	v_mov_b32_e32 v156, v236
	s_waitcnt lgkmcnt(0)
	v_xor_b32_e32 v160, 0x80000000, v245
	v_cndmask_b32_e32 v159, v239, v158, vcc
	v_mov_b32_e32 v158, v238
	v_add_f64 v[156:157], v[156:157], v[158:159]
	v_cmp_gt_f64_e32 vcc, 0, v[242:243]
	v_xor_b32_e32 v158, 0x80000000, v243
	v_add_u32_e32 v247, 16, v247
	v_cndmask_b32_e32 v159, v243, v158, vcc
	v_cmp_gt_f64_e32 vcc, 0, v[244:245]
	v_mov_b32_e32 v158, v242
	s_nop 0
	v_cndmask_b32_e32 v161, v245, v160, vcc
	v_mov_b32_e32 v160, v244
	v_add_f64 v[158:159], v[158:159], v[160:161]
	v_cmp_lt_f64_e32 vcc, v[156:157], v[158:159]
	v_mov_b32_e32 v156, s0
	s_add_i32 s0, s0, 1
	v_cndmask_b32_e32 v237, v237, v243, vcc
	v_cndmask_b32_e32 v236, v236, v242, vcc
	;; [unrolled: 1-line block ×5, first 2 shown]
	s_cmp_lg_u32 s20, s0
	s_cbranch_scc1 .LBB116_148
.LBB116_149:
	s_waitcnt lgkmcnt(0)
	v_cmp_eq_f64_e32 vcc, 0, v[236:237]
	v_cmp_eq_f64_e64 s[0:1], 0, v[238:239]
	s_and_b64 s[0:1], vcc, s[0:1]
	s_and_saveexec_b64 s[16:17], s[0:1]
	s_xor_b64 s[0:1], exec, s[16:17]
; %bb.150:
	v_cmp_ne_u32_e32 vcc, 0, v250
	s_nop 1
	v_cndmask_b32_e32 v250, 8, v250, vcc
; %bb.151:
	s_andn2_saveexec_b64 s[0:1], s[0:1]
	s_cbranch_execz .LBB116_157
; %bb.152:
	v_cmp_ngt_f64_e64 s[16:17], |v[236:237]|, |v[238:239]|
	s_and_saveexec_b64 s[18:19], s[16:17]
	s_xor_b64 s[16:17], exec, s[18:19]
	s_cbranch_execz .LBB116_154
; %bb.153:
	v_div_scale_f64 v[156:157], s[18:19], v[238:239], v[238:239], v[236:237]
	v_rcp_f64_e32 v[158:159], v[156:157]
	v_div_scale_f64 v[160:161], vcc, v[236:237], v[238:239], v[236:237]
	v_fma_f64 v[162:163], -v[156:157], v[158:159], 1.0
	v_fmac_f64_e32 v[158:159], v[158:159], v[162:163]
	v_fma_f64 v[162:163], -v[156:157], v[158:159], 1.0
	v_fmac_f64_e32 v[158:159], v[158:159], v[162:163]
	v_mul_f64 v[162:163], v[160:161], v[158:159]
	v_fma_f64 v[156:157], -v[156:157], v[162:163], v[160:161]
	v_div_fmas_f64 v[156:157], v[156:157], v[158:159], v[162:163]
	v_div_fixup_f64 v[156:157], v[156:157], v[238:239], v[236:237]
	v_fmac_f64_e32 v[238:239], v[236:237], v[156:157]
	v_div_scale_f64 v[158:159], s[18:19], v[238:239], v[238:239], 1.0
	v_rcp_f64_e32 v[160:161], v[158:159]
	s_nop 0
	v_fma_f64 v[162:163], -v[158:159], v[160:161], 1.0
	v_fmac_f64_e32 v[160:161], v[160:161], v[162:163]
	v_fma_f64 v[162:163], -v[158:159], v[160:161], 1.0
	v_fmac_f64_e32 v[160:161], v[160:161], v[162:163]
	v_div_scale_f64 v[162:163], vcc, 1.0, v[238:239], 1.0
	v_mul_f64 v[216:217], v[162:163], v[160:161]
	v_fma_f64 v[158:159], -v[158:159], v[216:217], v[162:163]
	s_nop 1
	v_div_fmas_f64 v[158:159], v[158:159], v[160:161], v[216:217]
	v_div_fixup_f64 v[238:239], v[158:159], v[238:239], 1.0
	v_mul_f64 v[236:237], v[156:157], v[238:239]
	v_xor_b32_e32 v239, 0x80000000, v239
.LBB116_154:
	s_andn2_saveexec_b64 s[16:17], s[16:17]
	s_cbranch_execz .LBB116_156
; %bb.155:
	v_div_scale_f64 v[156:157], s[18:19], v[236:237], v[236:237], v[238:239]
	v_rcp_f64_e32 v[158:159], v[156:157]
	v_div_scale_f64 v[160:161], vcc, v[238:239], v[236:237], v[238:239]
	v_fma_f64 v[162:163], -v[156:157], v[158:159], 1.0
	v_fmac_f64_e32 v[158:159], v[158:159], v[162:163]
	v_fma_f64 v[162:163], -v[156:157], v[158:159], 1.0
	v_fmac_f64_e32 v[158:159], v[158:159], v[162:163]
	v_mul_f64 v[162:163], v[160:161], v[158:159]
	v_fma_f64 v[156:157], -v[156:157], v[162:163], v[160:161]
	v_div_fmas_f64 v[156:157], v[156:157], v[158:159], v[162:163]
	v_div_fixup_f64 v[156:157], v[156:157], v[236:237], v[238:239]
	v_fmac_f64_e32 v[236:237], v[238:239], v[156:157]
	v_div_scale_f64 v[158:159], s[18:19], v[236:237], v[236:237], 1.0
	v_rcp_f64_e32 v[160:161], v[158:159]
	s_nop 0
	v_fma_f64 v[162:163], -v[158:159], v[160:161], 1.0
	v_fmac_f64_e32 v[160:161], v[160:161], v[162:163]
	v_fma_f64 v[162:163], -v[158:159], v[160:161], 1.0
	v_fmac_f64_e32 v[160:161], v[160:161], v[162:163]
	v_div_scale_f64 v[162:163], vcc, 1.0, v[236:237], 1.0
	v_mul_f64 v[216:217], v[162:163], v[160:161]
	v_fma_f64 v[158:159], -v[158:159], v[216:217], v[162:163]
	s_nop 1
	v_div_fmas_f64 v[158:159], v[158:159], v[160:161], v[216:217]
	v_div_fixup_f64 v[236:237], v[158:159], v[236:237], 1.0
	v_mul_f64 v[238:239], v[156:157], -v[236:237]
.LBB116_156:
	s_or_b64 exec, exec, s[16:17]
.LBB116_157:
	s_or_b64 exec, exec, s[0:1]
	v_cmp_ne_u32_e32 vcc, v249, v246
	s_and_saveexec_b64 s[0:1], vcc
	s_xor_b64 s[0:1], exec, s[0:1]
	s_cbranch_execz .LBB116_163
; %bb.158:
	v_cmp_eq_u32_e32 vcc, 7, v249
	s_and_saveexec_b64 s[16:17], vcc
	s_cbranch_execz .LBB116_162
; %bb.159:
	v_cmp_ne_u32_e32 vcc, 7, v246
	s_xor_b64 s[18:19], s[14:15], -1
	s_and_b64 s[22:23], s[18:19], vcc
	s_and_saveexec_b64 s[18:19], s[22:23]
	s_cbranch_execz .LBB116_161
; %bb.160:
	scratch_load_dwordx2 v[8:9], off, off offset:16 ; 8-byte Folded Reload
	v_ashrrev_i32_e32 v247, 31, v246
	s_waitcnt vmcnt(0)
	v_lshl_add_u64 v[156:157], v[246:247], 2, v[8:9]
	global_load_dword v158, v[156:157], off
	global_load_dword v159, v[8:9], off offset:28
	s_waitcnt vmcnt(1)
	global_store_dword v[8:9], v158, off offset:28
	s_waitcnt vmcnt(1)
	global_store_dword v[156:157], v159, off
.LBB116_161:
	s_or_b64 exec, exec, s[18:19]
	v_mov_b32_e32 v249, v246
	v_mov_b32_e32 v218, v246
.LBB116_162:
	s_or_b64 exec, exec, s[16:17]
.LBB116_163:
	s_andn2_saveexec_b64 s[0:1], s[0:1]
	s_cbranch_execz .LBB116_165
; %bb.164:
	v_mov_b32_e32 v249, 7
	ds_write2_b64 v248, v[204:205], v[206:207] offset0:16 offset1:17
	ds_write2_b64 v248, v[200:201], v[202:203] offset0:18 offset1:19
	ds_write2_b64 v248, v[196:197], v[198:199] offset0:20 offset1:21
	ds_write2_b64 v248, v[192:193], v[194:195] offset0:22 offset1:23
	ds_write2_b64 v248, v[188:189], v[190:191] offset0:24 offset1:25
	ds_write2_b64 v248, v[184:185], v[186:187] offset0:26 offset1:27
	ds_write2_b64 v248, v[180:181], v[182:183] offset0:28 offset1:29
	ds_write2_b64 v248, v[176:177], v[178:179] offset0:30 offset1:31
	ds_write2_b64 v248, v[172:173], v[174:175] offset0:32 offset1:33
	ds_write2_b64 v248, v[168:169], v[170:171] offset0:34 offset1:35
	ds_write2_b64 v248, v[164:165], v[166:167] offset0:36 offset1:37
	ds_write2_b64 v248, v[208:209], v[210:211] offset0:38 offset1:39
	ds_write2_b64 v248, v[148:149], v[150:151] offset0:40 offset1:41
	ds_write2_b64 v248, v[144:145], v[146:147] offset0:42 offset1:43
	ds_write2_b64 v248, v[140:141], v[142:143] offset0:44 offset1:45
	ds_write2_b64 v248, v[136:137], v[138:139] offset0:46 offset1:47
	ds_write2_b64 v248, v[132:133], v[134:135] offset0:48 offset1:49
	ds_write2_b64 v248, v[128:129], v[130:131] offset0:50 offset1:51
	ds_write2_b64 v248, v[124:125], v[126:127] offset0:52 offset1:53
	ds_write2_b64 v248, v[120:121], v[122:123] offset0:54 offset1:55
	ds_write2_b64 v248, v[116:117], v[118:119] offset0:56 offset1:57
	ds_write2_b64 v248, v[112:113], v[114:115] offset0:58 offset1:59
	ds_write2_b64 v248, v[108:109], v[110:111] offset0:60 offset1:61
	ds_write2_b64 v248, v[104:105], v[106:107] offset0:62 offset1:63
	ds_write2_b64 v248, v[100:101], v[102:103] offset0:64 offset1:65
	ds_write2_b64 v248, v[96:97], v[98:99] offset0:66 offset1:67
	ds_write2_b64 v248, v[92:93], v[94:95] offset0:68 offset1:69
	ds_write2_b64 v248, v[88:89], v[90:91] offset0:70 offset1:71
	ds_write2_b64 v248, v[84:85], v[86:87] offset0:72 offset1:73
	ds_write2_b64 v248, v[80:81], v[82:83] offset0:74 offset1:75
	ds_write2_b64 v248, v[76:77], v[78:79] offset0:76 offset1:77
	ds_write2_b64 v248, v[72:73], v[74:75] offset0:78 offset1:79
	ds_write2_b64 v248, v[68:69], v[70:71] offset0:80 offset1:81
	ds_write2_b64 v248, v[64:65], v[66:67] offset0:82 offset1:83
	ds_write2_b64 v248, v[60:61], v[62:63] offset0:84 offset1:85
	ds_write2_b64 v248, v[56:57], v[58:59] offset0:86 offset1:87
	ds_write2_b64 v248, v[52:53], v[54:55] offset0:88 offset1:89
	ds_write2_b64 v248, v[48:49], v[50:51] offset0:90 offset1:91
	ds_write2_b64 v248, v[44:45], v[46:47] offset0:92 offset1:93
	ds_write2_b64 v248, v[40:41], v[42:43] offset0:94 offset1:95
	ds_write2_b64 v248, v[36:37], v[38:39] offset0:96 offset1:97
	ds_write2_b64 v248, v[32:33], v[34:35] offset0:98 offset1:99
	ds_write2_b64 v248, v[28:29], v[30:31] offset0:100 offset1:101
	ds_write2_b64 v248, v[24:25], v[26:27] offset0:102 offset1:103
	ds_write2_b64 v248, v[20:21], v[22:23] offset0:104 offset1:105
	ds_write2_b64 v248, v[16:17], v[18:19] offset0:106 offset1:107
	ds_write2_b64 v248, v[12:13], v[14:15] offset0:108 offset1:109
	ds_write2_b64 v248, v[252:253], v[254:255] offset0:110 offset1:111
	ds_write2_b64 v248, v[224:225], v[226:227] offset0:112 offset1:113
	ds_write2_b64 v248, v[220:221], v[222:223] offset0:114 offset1:115
	ds_write2_b64 v248, v[232:233], v[234:235] offset0:116 offset1:117
.LBB116_165:
	s_or_b64 exec, exec, s[0:1]
	v_cmp_lt_i32_e32 vcc, 7, v249
	s_waitcnt lgkmcnt(0)
	s_barrier
	s_and_saveexec_b64 s[0:1], vcc
	s_cbranch_execz .LBB116_167
; %bb.166:
	v_mul_f64 v[156:157], v[238:239], v[230:231]
	v_mul_f64 v[230:231], v[236:237], v[230:231]
	v_fma_f64 v[246:247], v[236:237], v[228:229], -v[156:157]
	v_fmac_f64_e32 v[230:231], v[238:239], v[228:229]
	ds_read2_b64 v[236:239], v248 offset0:16 offset1:17
	v_mov_b64_e32 v[228:229], v[246:247]
	s_waitcnt lgkmcnt(0)
	v_mul_f64 v[156:157], v[238:239], v[230:231]
	v_mul_f64 v[158:159], v[236:237], v[230:231]
	v_fma_f64 v[156:157], v[236:237], v[246:247], -v[156:157]
	v_fmac_f64_e32 v[158:159], v[238:239], v[246:247]
	ds_read2_b64 v[236:239], v248 offset0:18 offset1:19
	v_add_f64 v[204:205], v[204:205], -v[156:157]
	v_add_f64 v[206:207], v[206:207], -v[158:159]
	s_waitcnt lgkmcnt(0)
	v_mul_f64 v[156:157], v[238:239], v[230:231]
	v_mul_f64 v[158:159], v[236:237], v[230:231]
	v_fma_f64 v[156:157], v[236:237], v[246:247], -v[156:157]
	v_fmac_f64_e32 v[158:159], v[238:239], v[246:247]
	ds_read2_b64 v[236:239], v248 offset0:20 offset1:21
	v_add_f64 v[200:201], v[200:201], -v[156:157]
	v_add_f64 v[202:203], v[202:203], -v[158:159]
	s_waitcnt lgkmcnt(0)
	v_mul_f64 v[156:157], v[238:239], v[230:231]
	v_mul_f64 v[158:159], v[236:237], v[230:231]
	v_fma_f64 v[156:157], v[236:237], v[246:247], -v[156:157]
	v_fmac_f64_e32 v[158:159], v[238:239], v[246:247]
	ds_read2_b64 v[236:239], v248 offset0:22 offset1:23
	v_add_f64 v[196:197], v[196:197], -v[156:157]
	v_add_f64 v[198:199], v[198:199], -v[158:159]
	s_waitcnt lgkmcnt(0)
	v_mul_f64 v[156:157], v[238:239], v[230:231]
	v_mul_f64 v[158:159], v[236:237], v[230:231]
	v_fma_f64 v[156:157], v[236:237], v[246:247], -v[156:157]
	v_fmac_f64_e32 v[158:159], v[238:239], v[246:247]
	ds_read2_b64 v[236:239], v248 offset0:24 offset1:25
	v_add_f64 v[192:193], v[192:193], -v[156:157]
	v_add_f64 v[194:195], v[194:195], -v[158:159]
	s_waitcnt lgkmcnt(0)
	v_mul_f64 v[156:157], v[238:239], v[230:231]
	v_mul_f64 v[158:159], v[236:237], v[230:231]
	v_fma_f64 v[156:157], v[236:237], v[246:247], -v[156:157]
	v_fmac_f64_e32 v[158:159], v[238:239], v[246:247]
	ds_read2_b64 v[236:239], v248 offset0:26 offset1:27
	v_add_f64 v[188:189], v[188:189], -v[156:157]
	v_add_f64 v[190:191], v[190:191], -v[158:159]
	s_waitcnt lgkmcnt(0)
	v_mul_f64 v[156:157], v[238:239], v[230:231]
	v_mul_f64 v[158:159], v[236:237], v[230:231]
	v_fma_f64 v[156:157], v[236:237], v[246:247], -v[156:157]
	v_fmac_f64_e32 v[158:159], v[238:239], v[246:247]
	ds_read2_b64 v[236:239], v248 offset0:28 offset1:29
	v_add_f64 v[184:185], v[184:185], -v[156:157]
	v_add_f64 v[186:187], v[186:187], -v[158:159]
	s_waitcnt lgkmcnt(0)
	v_mul_f64 v[156:157], v[238:239], v[230:231]
	v_mul_f64 v[158:159], v[236:237], v[230:231]
	v_fma_f64 v[156:157], v[236:237], v[246:247], -v[156:157]
	v_fmac_f64_e32 v[158:159], v[238:239], v[246:247]
	ds_read2_b64 v[236:239], v248 offset0:30 offset1:31
	v_add_f64 v[180:181], v[180:181], -v[156:157]
	v_add_f64 v[182:183], v[182:183], -v[158:159]
	s_waitcnt lgkmcnt(0)
	v_mul_f64 v[156:157], v[238:239], v[230:231]
	v_mul_f64 v[158:159], v[236:237], v[230:231]
	v_fma_f64 v[156:157], v[236:237], v[246:247], -v[156:157]
	v_fmac_f64_e32 v[158:159], v[238:239], v[246:247]
	ds_read2_b64 v[236:239], v248 offset0:32 offset1:33
	v_add_f64 v[176:177], v[176:177], -v[156:157]
	v_add_f64 v[178:179], v[178:179], -v[158:159]
	s_waitcnt lgkmcnt(0)
	v_mul_f64 v[156:157], v[238:239], v[230:231]
	v_mul_f64 v[158:159], v[236:237], v[230:231]
	v_fma_f64 v[156:157], v[236:237], v[246:247], -v[156:157]
	v_fmac_f64_e32 v[158:159], v[238:239], v[246:247]
	ds_read2_b64 v[236:239], v248 offset0:34 offset1:35
	v_add_f64 v[172:173], v[172:173], -v[156:157]
	v_add_f64 v[174:175], v[174:175], -v[158:159]
	s_waitcnt lgkmcnt(0)
	v_mul_f64 v[156:157], v[238:239], v[230:231]
	v_mul_f64 v[158:159], v[236:237], v[230:231]
	v_fma_f64 v[156:157], v[236:237], v[246:247], -v[156:157]
	v_fmac_f64_e32 v[158:159], v[238:239], v[246:247]
	ds_read2_b64 v[236:239], v248 offset0:36 offset1:37
	v_add_f64 v[168:169], v[168:169], -v[156:157]
	v_add_f64 v[170:171], v[170:171], -v[158:159]
	s_waitcnt lgkmcnt(0)
	v_mul_f64 v[156:157], v[238:239], v[230:231]
	v_mul_f64 v[158:159], v[236:237], v[230:231]
	v_fma_f64 v[156:157], v[236:237], v[246:247], -v[156:157]
	v_fmac_f64_e32 v[158:159], v[238:239], v[246:247]
	ds_read2_b64 v[236:239], v248 offset0:38 offset1:39
	v_add_f64 v[164:165], v[164:165], -v[156:157]
	v_add_f64 v[166:167], v[166:167], -v[158:159]
	s_waitcnt lgkmcnt(0)
	v_mul_f64 v[156:157], v[238:239], v[230:231]
	v_mul_f64 v[158:159], v[236:237], v[230:231]
	v_fma_f64 v[156:157], v[236:237], v[246:247], -v[156:157]
	v_fmac_f64_e32 v[158:159], v[238:239], v[246:247]
	ds_read2_b64 v[236:239], v248 offset0:40 offset1:41
	v_add_f64 v[208:209], v[208:209], -v[156:157]
	v_add_f64 v[210:211], v[210:211], -v[158:159]
	s_waitcnt lgkmcnt(0)
	v_mul_f64 v[156:157], v[238:239], v[230:231]
	v_mul_f64 v[158:159], v[236:237], v[230:231]
	v_fma_f64 v[156:157], v[236:237], v[246:247], -v[156:157]
	v_fmac_f64_e32 v[158:159], v[238:239], v[246:247]
	ds_read2_b64 v[236:239], v248 offset0:42 offset1:43
	v_add_f64 v[148:149], v[148:149], -v[156:157]
	v_add_f64 v[150:151], v[150:151], -v[158:159]
	s_waitcnt lgkmcnt(0)
	v_mul_f64 v[156:157], v[238:239], v[230:231]
	v_mul_f64 v[158:159], v[236:237], v[230:231]
	v_fma_f64 v[156:157], v[236:237], v[246:247], -v[156:157]
	v_fmac_f64_e32 v[158:159], v[238:239], v[246:247]
	ds_read2_b64 v[236:239], v248 offset0:44 offset1:45
	v_add_f64 v[144:145], v[144:145], -v[156:157]
	v_add_f64 v[146:147], v[146:147], -v[158:159]
	s_waitcnt lgkmcnt(0)
	v_mul_f64 v[156:157], v[238:239], v[230:231]
	v_mul_f64 v[158:159], v[236:237], v[230:231]
	v_fma_f64 v[156:157], v[236:237], v[246:247], -v[156:157]
	v_fmac_f64_e32 v[158:159], v[238:239], v[246:247]
	ds_read2_b64 v[236:239], v248 offset0:46 offset1:47
	v_add_f64 v[140:141], v[140:141], -v[156:157]
	v_add_f64 v[142:143], v[142:143], -v[158:159]
	s_waitcnt lgkmcnt(0)
	v_mul_f64 v[156:157], v[238:239], v[230:231]
	v_mul_f64 v[158:159], v[236:237], v[230:231]
	v_fma_f64 v[156:157], v[236:237], v[246:247], -v[156:157]
	v_fmac_f64_e32 v[158:159], v[238:239], v[246:247]
	ds_read2_b64 v[236:239], v248 offset0:48 offset1:49
	v_add_f64 v[136:137], v[136:137], -v[156:157]
	v_add_f64 v[138:139], v[138:139], -v[158:159]
	s_waitcnt lgkmcnt(0)
	v_mul_f64 v[156:157], v[238:239], v[230:231]
	v_mul_f64 v[158:159], v[236:237], v[230:231]
	v_fma_f64 v[156:157], v[236:237], v[246:247], -v[156:157]
	v_fmac_f64_e32 v[158:159], v[238:239], v[246:247]
	ds_read2_b64 v[236:239], v248 offset0:50 offset1:51
	v_add_f64 v[132:133], v[132:133], -v[156:157]
	v_add_f64 v[134:135], v[134:135], -v[158:159]
	s_waitcnt lgkmcnt(0)
	v_mul_f64 v[156:157], v[238:239], v[230:231]
	v_mul_f64 v[158:159], v[236:237], v[230:231]
	v_fma_f64 v[156:157], v[236:237], v[246:247], -v[156:157]
	v_fmac_f64_e32 v[158:159], v[238:239], v[246:247]
	ds_read2_b64 v[236:239], v248 offset0:52 offset1:53
	v_add_f64 v[128:129], v[128:129], -v[156:157]
	v_add_f64 v[130:131], v[130:131], -v[158:159]
	s_waitcnt lgkmcnt(0)
	v_mul_f64 v[156:157], v[238:239], v[230:231]
	v_mul_f64 v[158:159], v[236:237], v[230:231]
	v_fma_f64 v[156:157], v[236:237], v[246:247], -v[156:157]
	v_fmac_f64_e32 v[158:159], v[238:239], v[246:247]
	ds_read2_b64 v[236:239], v248 offset0:54 offset1:55
	v_add_f64 v[124:125], v[124:125], -v[156:157]
	v_add_f64 v[126:127], v[126:127], -v[158:159]
	s_waitcnt lgkmcnt(0)
	v_mul_f64 v[156:157], v[238:239], v[230:231]
	v_mul_f64 v[158:159], v[236:237], v[230:231]
	v_fma_f64 v[156:157], v[236:237], v[246:247], -v[156:157]
	v_fmac_f64_e32 v[158:159], v[238:239], v[246:247]
	ds_read2_b64 v[236:239], v248 offset0:56 offset1:57
	v_add_f64 v[120:121], v[120:121], -v[156:157]
	v_add_f64 v[122:123], v[122:123], -v[158:159]
	s_waitcnt lgkmcnt(0)
	v_mul_f64 v[156:157], v[238:239], v[230:231]
	v_mul_f64 v[158:159], v[236:237], v[230:231]
	v_fma_f64 v[156:157], v[236:237], v[246:247], -v[156:157]
	v_fmac_f64_e32 v[158:159], v[238:239], v[246:247]
	ds_read2_b64 v[236:239], v248 offset0:58 offset1:59
	v_add_f64 v[116:117], v[116:117], -v[156:157]
	v_add_f64 v[118:119], v[118:119], -v[158:159]
	s_waitcnt lgkmcnt(0)
	v_mul_f64 v[156:157], v[238:239], v[230:231]
	v_mul_f64 v[158:159], v[236:237], v[230:231]
	v_fma_f64 v[156:157], v[236:237], v[246:247], -v[156:157]
	v_fmac_f64_e32 v[158:159], v[238:239], v[246:247]
	ds_read2_b64 v[236:239], v248 offset0:60 offset1:61
	v_add_f64 v[112:113], v[112:113], -v[156:157]
	v_add_f64 v[114:115], v[114:115], -v[158:159]
	s_waitcnt lgkmcnt(0)
	v_mul_f64 v[156:157], v[238:239], v[230:231]
	v_mul_f64 v[158:159], v[236:237], v[230:231]
	v_fma_f64 v[156:157], v[236:237], v[246:247], -v[156:157]
	v_fmac_f64_e32 v[158:159], v[238:239], v[246:247]
	ds_read2_b64 v[236:239], v248 offset0:62 offset1:63
	v_add_f64 v[108:109], v[108:109], -v[156:157]
	v_add_f64 v[110:111], v[110:111], -v[158:159]
	s_waitcnt lgkmcnt(0)
	v_mul_f64 v[156:157], v[238:239], v[230:231]
	v_mul_f64 v[158:159], v[236:237], v[230:231]
	v_fma_f64 v[156:157], v[236:237], v[246:247], -v[156:157]
	v_fmac_f64_e32 v[158:159], v[238:239], v[246:247]
	ds_read2_b64 v[236:239], v248 offset0:64 offset1:65
	v_add_f64 v[104:105], v[104:105], -v[156:157]
	v_add_f64 v[106:107], v[106:107], -v[158:159]
	s_waitcnt lgkmcnt(0)
	v_mul_f64 v[156:157], v[238:239], v[230:231]
	v_mul_f64 v[158:159], v[236:237], v[230:231]
	v_fma_f64 v[156:157], v[236:237], v[246:247], -v[156:157]
	v_fmac_f64_e32 v[158:159], v[238:239], v[246:247]
	ds_read2_b64 v[236:239], v248 offset0:66 offset1:67
	v_add_f64 v[100:101], v[100:101], -v[156:157]
	v_add_f64 v[102:103], v[102:103], -v[158:159]
	s_waitcnt lgkmcnt(0)
	v_mul_f64 v[156:157], v[238:239], v[230:231]
	v_mul_f64 v[158:159], v[236:237], v[230:231]
	v_fma_f64 v[156:157], v[236:237], v[246:247], -v[156:157]
	v_fmac_f64_e32 v[158:159], v[238:239], v[246:247]
	ds_read2_b64 v[236:239], v248 offset0:68 offset1:69
	v_add_f64 v[96:97], v[96:97], -v[156:157]
	v_add_f64 v[98:99], v[98:99], -v[158:159]
	s_waitcnt lgkmcnt(0)
	v_mul_f64 v[156:157], v[238:239], v[230:231]
	v_mul_f64 v[158:159], v[236:237], v[230:231]
	v_fma_f64 v[156:157], v[236:237], v[246:247], -v[156:157]
	v_fmac_f64_e32 v[158:159], v[238:239], v[246:247]
	ds_read2_b64 v[236:239], v248 offset0:70 offset1:71
	v_add_f64 v[92:93], v[92:93], -v[156:157]
	v_add_f64 v[94:95], v[94:95], -v[158:159]
	s_waitcnt lgkmcnt(0)
	v_mul_f64 v[156:157], v[238:239], v[230:231]
	v_mul_f64 v[158:159], v[236:237], v[230:231]
	v_fma_f64 v[156:157], v[236:237], v[246:247], -v[156:157]
	v_fmac_f64_e32 v[158:159], v[238:239], v[246:247]
	ds_read2_b64 v[236:239], v248 offset0:72 offset1:73
	v_add_f64 v[88:89], v[88:89], -v[156:157]
	v_add_f64 v[90:91], v[90:91], -v[158:159]
	s_waitcnt lgkmcnt(0)
	v_mul_f64 v[156:157], v[238:239], v[230:231]
	v_mul_f64 v[158:159], v[236:237], v[230:231]
	v_fma_f64 v[156:157], v[236:237], v[246:247], -v[156:157]
	v_fmac_f64_e32 v[158:159], v[238:239], v[246:247]
	ds_read2_b64 v[236:239], v248 offset0:74 offset1:75
	v_add_f64 v[84:85], v[84:85], -v[156:157]
	v_add_f64 v[86:87], v[86:87], -v[158:159]
	s_waitcnt lgkmcnt(0)
	v_mul_f64 v[156:157], v[238:239], v[230:231]
	v_mul_f64 v[158:159], v[236:237], v[230:231]
	v_fma_f64 v[156:157], v[236:237], v[246:247], -v[156:157]
	v_fmac_f64_e32 v[158:159], v[238:239], v[246:247]
	ds_read2_b64 v[236:239], v248 offset0:76 offset1:77
	v_add_f64 v[80:81], v[80:81], -v[156:157]
	v_add_f64 v[82:83], v[82:83], -v[158:159]
	s_waitcnt lgkmcnt(0)
	v_mul_f64 v[156:157], v[238:239], v[230:231]
	v_mul_f64 v[158:159], v[236:237], v[230:231]
	v_fma_f64 v[156:157], v[236:237], v[246:247], -v[156:157]
	v_fmac_f64_e32 v[158:159], v[238:239], v[246:247]
	ds_read2_b64 v[236:239], v248 offset0:78 offset1:79
	v_add_f64 v[76:77], v[76:77], -v[156:157]
	v_add_f64 v[78:79], v[78:79], -v[158:159]
	s_waitcnt lgkmcnt(0)
	v_mul_f64 v[156:157], v[238:239], v[230:231]
	v_mul_f64 v[158:159], v[236:237], v[230:231]
	v_fma_f64 v[156:157], v[236:237], v[246:247], -v[156:157]
	v_fmac_f64_e32 v[158:159], v[238:239], v[246:247]
	ds_read2_b64 v[236:239], v248 offset0:80 offset1:81
	v_add_f64 v[72:73], v[72:73], -v[156:157]
	v_add_f64 v[74:75], v[74:75], -v[158:159]
	s_waitcnt lgkmcnt(0)
	v_mul_f64 v[156:157], v[238:239], v[230:231]
	v_mul_f64 v[158:159], v[236:237], v[230:231]
	v_fma_f64 v[156:157], v[236:237], v[246:247], -v[156:157]
	v_fmac_f64_e32 v[158:159], v[238:239], v[246:247]
	ds_read2_b64 v[236:239], v248 offset0:82 offset1:83
	v_add_f64 v[68:69], v[68:69], -v[156:157]
	v_add_f64 v[70:71], v[70:71], -v[158:159]
	s_waitcnt lgkmcnt(0)
	v_mul_f64 v[156:157], v[238:239], v[230:231]
	v_mul_f64 v[158:159], v[236:237], v[230:231]
	v_fma_f64 v[156:157], v[236:237], v[246:247], -v[156:157]
	v_fmac_f64_e32 v[158:159], v[238:239], v[246:247]
	ds_read2_b64 v[236:239], v248 offset0:84 offset1:85
	v_add_f64 v[64:65], v[64:65], -v[156:157]
	v_add_f64 v[66:67], v[66:67], -v[158:159]
	s_waitcnt lgkmcnt(0)
	v_mul_f64 v[156:157], v[238:239], v[230:231]
	v_mul_f64 v[158:159], v[236:237], v[230:231]
	v_fma_f64 v[156:157], v[236:237], v[246:247], -v[156:157]
	v_fmac_f64_e32 v[158:159], v[238:239], v[246:247]
	ds_read2_b64 v[236:239], v248 offset0:86 offset1:87
	v_add_f64 v[60:61], v[60:61], -v[156:157]
	v_add_f64 v[62:63], v[62:63], -v[158:159]
	s_waitcnt lgkmcnt(0)
	v_mul_f64 v[156:157], v[238:239], v[230:231]
	v_mul_f64 v[158:159], v[236:237], v[230:231]
	v_fma_f64 v[156:157], v[236:237], v[246:247], -v[156:157]
	v_fmac_f64_e32 v[158:159], v[238:239], v[246:247]
	ds_read2_b64 v[236:239], v248 offset0:88 offset1:89
	v_add_f64 v[56:57], v[56:57], -v[156:157]
	v_add_f64 v[58:59], v[58:59], -v[158:159]
	s_waitcnt lgkmcnt(0)
	v_mul_f64 v[156:157], v[238:239], v[230:231]
	v_mul_f64 v[158:159], v[236:237], v[230:231]
	v_fma_f64 v[156:157], v[236:237], v[246:247], -v[156:157]
	v_fmac_f64_e32 v[158:159], v[238:239], v[246:247]
	ds_read2_b64 v[236:239], v248 offset0:90 offset1:91
	v_add_f64 v[52:53], v[52:53], -v[156:157]
	v_add_f64 v[54:55], v[54:55], -v[158:159]
	s_waitcnt lgkmcnt(0)
	v_mul_f64 v[156:157], v[238:239], v[230:231]
	v_mul_f64 v[158:159], v[236:237], v[230:231]
	v_fma_f64 v[156:157], v[236:237], v[246:247], -v[156:157]
	v_fmac_f64_e32 v[158:159], v[238:239], v[246:247]
	ds_read2_b64 v[236:239], v248 offset0:92 offset1:93
	v_add_f64 v[48:49], v[48:49], -v[156:157]
	v_add_f64 v[50:51], v[50:51], -v[158:159]
	s_waitcnt lgkmcnt(0)
	v_mul_f64 v[156:157], v[238:239], v[230:231]
	v_mul_f64 v[158:159], v[236:237], v[230:231]
	v_fma_f64 v[156:157], v[236:237], v[246:247], -v[156:157]
	v_fmac_f64_e32 v[158:159], v[238:239], v[246:247]
	ds_read2_b64 v[236:239], v248 offset0:94 offset1:95
	v_add_f64 v[44:45], v[44:45], -v[156:157]
	v_add_f64 v[46:47], v[46:47], -v[158:159]
	s_waitcnt lgkmcnt(0)
	v_mul_f64 v[156:157], v[238:239], v[230:231]
	v_mul_f64 v[158:159], v[236:237], v[230:231]
	v_fma_f64 v[156:157], v[236:237], v[246:247], -v[156:157]
	v_fmac_f64_e32 v[158:159], v[238:239], v[246:247]
	ds_read2_b64 v[236:239], v248 offset0:96 offset1:97
	v_add_f64 v[40:41], v[40:41], -v[156:157]
	v_add_f64 v[42:43], v[42:43], -v[158:159]
	s_waitcnt lgkmcnt(0)
	v_mul_f64 v[156:157], v[238:239], v[230:231]
	v_mul_f64 v[158:159], v[236:237], v[230:231]
	v_fma_f64 v[156:157], v[236:237], v[246:247], -v[156:157]
	v_fmac_f64_e32 v[158:159], v[238:239], v[246:247]
	ds_read2_b64 v[236:239], v248 offset0:98 offset1:99
	v_add_f64 v[36:37], v[36:37], -v[156:157]
	v_add_f64 v[38:39], v[38:39], -v[158:159]
	s_waitcnt lgkmcnt(0)
	v_mul_f64 v[156:157], v[238:239], v[230:231]
	v_mul_f64 v[158:159], v[236:237], v[230:231]
	v_fma_f64 v[156:157], v[236:237], v[246:247], -v[156:157]
	v_fmac_f64_e32 v[158:159], v[238:239], v[246:247]
	ds_read2_b64 v[236:239], v248 offset0:100 offset1:101
	v_add_f64 v[32:33], v[32:33], -v[156:157]
	v_add_f64 v[34:35], v[34:35], -v[158:159]
	s_waitcnt lgkmcnt(0)
	v_mul_f64 v[156:157], v[238:239], v[230:231]
	v_mul_f64 v[158:159], v[236:237], v[230:231]
	v_fma_f64 v[156:157], v[236:237], v[246:247], -v[156:157]
	v_fmac_f64_e32 v[158:159], v[238:239], v[246:247]
	ds_read2_b64 v[236:239], v248 offset0:102 offset1:103
	v_add_f64 v[28:29], v[28:29], -v[156:157]
	v_add_f64 v[30:31], v[30:31], -v[158:159]
	s_waitcnt lgkmcnt(0)
	v_mul_f64 v[156:157], v[238:239], v[230:231]
	v_mul_f64 v[158:159], v[236:237], v[230:231]
	v_fma_f64 v[156:157], v[236:237], v[246:247], -v[156:157]
	v_fmac_f64_e32 v[158:159], v[238:239], v[246:247]
	ds_read2_b64 v[236:239], v248 offset0:104 offset1:105
	v_add_f64 v[24:25], v[24:25], -v[156:157]
	v_add_f64 v[26:27], v[26:27], -v[158:159]
	s_waitcnt lgkmcnt(0)
	v_mul_f64 v[156:157], v[238:239], v[230:231]
	v_mul_f64 v[158:159], v[236:237], v[230:231]
	v_fma_f64 v[156:157], v[236:237], v[246:247], -v[156:157]
	v_fmac_f64_e32 v[158:159], v[238:239], v[246:247]
	ds_read2_b64 v[236:239], v248 offset0:106 offset1:107
	v_add_f64 v[20:21], v[20:21], -v[156:157]
	v_add_f64 v[22:23], v[22:23], -v[158:159]
	s_waitcnt lgkmcnt(0)
	v_mul_f64 v[156:157], v[238:239], v[230:231]
	v_mul_f64 v[158:159], v[236:237], v[230:231]
	v_fma_f64 v[156:157], v[236:237], v[246:247], -v[156:157]
	v_fmac_f64_e32 v[158:159], v[238:239], v[246:247]
	ds_read2_b64 v[236:239], v248 offset0:108 offset1:109
	v_add_f64 v[16:17], v[16:17], -v[156:157]
	v_add_f64 v[18:19], v[18:19], -v[158:159]
	s_waitcnt lgkmcnt(0)
	v_mul_f64 v[156:157], v[238:239], v[230:231]
	v_mul_f64 v[158:159], v[236:237], v[230:231]
	v_fma_f64 v[156:157], v[236:237], v[246:247], -v[156:157]
	v_fmac_f64_e32 v[158:159], v[238:239], v[246:247]
	ds_read2_b64 v[236:239], v248 offset0:110 offset1:111
	v_add_f64 v[12:13], v[12:13], -v[156:157]
	v_add_f64 v[14:15], v[14:15], -v[158:159]
	s_waitcnt lgkmcnt(0)
	v_mul_f64 v[156:157], v[238:239], v[230:231]
	v_mul_f64 v[158:159], v[236:237], v[230:231]
	v_fma_f64 v[156:157], v[236:237], v[246:247], -v[156:157]
	v_fmac_f64_e32 v[158:159], v[238:239], v[246:247]
	ds_read2_b64 v[236:239], v248 offset0:112 offset1:113
	v_add_f64 v[252:253], v[252:253], -v[156:157]
	v_add_f64 v[254:255], v[254:255], -v[158:159]
	s_waitcnt lgkmcnt(0)
	v_mul_f64 v[156:157], v[238:239], v[230:231]
	v_mul_f64 v[158:159], v[236:237], v[230:231]
	v_fma_f64 v[156:157], v[236:237], v[246:247], -v[156:157]
	v_fmac_f64_e32 v[158:159], v[238:239], v[246:247]
	ds_read2_b64 v[236:239], v248 offset0:114 offset1:115
	v_add_f64 v[224:225], v[224:225], -v[156:157]
	v_add_f64 v[226:227], v[226:227], -v[158:159]
	s_waitcnt lgkmcnt(0)
	v_mul_f64 v[156:157], v[238:239], v[230:231]
	v_mul_f64 v[158:159], v[236:237], v[230:231]
	v_fma_f64 v[156:157], v[236:237], v[246:247], -v[156:157]
	v_fmac_f64_e32 v[158:159], v[238:239], v[246:247]
	ds_read2_b64 v[236:239], v248 offset0:116 offset1:117
	v_add_f64 v[220:221], v[220:221], -v[156:157]
	v_add_f64 v[222:223], v[222:223], -v[158:159]
	s_waitcnt lgkmcnt(0)
	v_mul_f64 v[156:157], v[238:239], v[230:231]
	v_mul_f64 v[158:159], v[236:237], v[230:231]
	v_fma_f64 v[156:157], v[236:237], v[246:247], -v[156:157]
	v_fmac_f64_e32 v[158:159], v[238:239], v[246:247]
	v_add_f64 v[232:233], v[232:233], -v[156:157]
	v_add_f64 v[234:235], v[234:235], -v[158:159]
.LBB116_167:
	s_or_b64 exec, exec, s[0:1]
	v_lshl_add_u32 v156, v249, 4, v248
	s_barrier
	ds_write2_b64 v156, v[204:205], v[206:207] offset1:1
	s_waitcnt lgkmcnt(0)
	s_barrier
	ds_read2_b64 v[236:239], v248 offset0:16 offset1:17
	s_cmp_lt_i32 s20, 10
	v_mov_b32_e32 v246, 8
	s_cbranch_scc1 .LBB116_170
; %bb.168:
	v_add_u32_e32 v247, 0x90, v248
	s_mov_b32 s0, 9
	v_mov_b32_e32 v246, 8
.LBB116_169:                            ; =>This Inner Loop Header: Depth=1
	ds_read2_b64 v[242:245], v247 offset1:1
	s_waitcnt lgkmcnt(1)
	v_cmp_gt_f64_e32 vcc, 0, v[236:237]
	v_xor_b32_e32 v156, 0x80000000, v237
	v_xor_b32_e32 v158, 0x80000000, v239
	v_cndmask_b32_e32 v157, v237, v156, vcc
	v_cmp_gt_f64_e32 vcc, 0, v[238:239]
	v_mov_b32_e32 v156, v236
	s_waitcnt lgkmcnt(0)
	v_xor_b32_e32 v160, 0x80000000, v245
	v_cndmask_b32_e32 v159, v239, v158, vcc
	v_mov_b32_e32 v158, v238
	v_add_f64 v[156:157], v[156:157], v[158:159]
	v_cmp_gt_f64_e32 vcc, 0, v[242:243]
	v_xor_b32_e32 v158, 0x80000000, v243
	v_add_u32_e32 v247, 16, v247
	v_cndmask_b32_e32 v159, v243, v158, vcc
	v_cmp_gt_f64_e32 vcc, 0, v[244:245]
	v_mov_b32_e32 v158, v242
	s_nop 0
	v_cndmask_b32_e32 v161, v245, v160, vcc
	v_mov_b32_e32 v160, v244
	v_add_f64 v[158:159], v[158:159], v[160:161]
	v_cmp_lt_f64_e32 vcc, v[156:157], v[158:159]
	v_mov_b32_e32 v156, s0
	s_add_i32 s0, s0, 1
	v_cndmask_b32_e32 v237, v237, v243, vcc
	v_cndmask_b32_e32 v236, v236, v242, vcc
	;; [unrolled: 1-line block ×5, first 2 shown]
	s_cmp_lg_u32 s20, s0
	s_cbranch_scc1 .LBB116_169
.LBB116_170:
	s_waitcnt lgkmcnt(0)
	v_cmp_eq_f64_e32 vcc, 0, v[236:237]
	v_cmp_eq_f64_e64 s[0:1], 0, v[238:239]
	s_and_b64 s[0:1], vcc, s[0:1]
	s_and_saveexec_b64 s[16:17], s[0:1]
	s_xor_b64 s[0:1], exec, s[16:17]
; %bb.171:
	v_cmp_ne_u32_e32 vcc, 0, v250
	s_nop 1
	v_cndmask_b32_e32 v250, 9, v250, vcc
; %bb.172:
	s_andn2_saveexec_b64 s[0:1], s[0:1]
	s_cbranch_execz .LBB116_178
; %bb.173:
	v_cmp_ngt_f64_e64 s[16:17], |v[236:237]|, |v[238:239]|
	s_and_saveexec_b64 s[18:19], s[16:17]
	s_xor_b64 s[16:17], exec, s[18:19]
	s_cbranch_execz .LBB116_175
; %bb.174:
	v_div_scale_f64 v[156:157], s[18:19], v[238:239], v[238:239], v[236:237]
	v_rcp_f64_e32 v[158:159], v[156:157]
	v_div_scale_f64 v[160:161], vcc, v[236:237], v[238:239], v[236:237]
	v_fma_f64 v[162:163], -v[156:157], v[158:159], 1.0
	v_fmac_f64_e32 v[158:159], v[158:159], v[162:163]
	v_fma_f64 v[162:163], -v[156:157], v[158:159], 1.0
	v_fmac_f64_e32 v[158:159], v[158:159], v[162:163]
	v_mul_f64 v[162:163], v[160:161], v[158:159]
	v_fma_f64 v[156:157], -v[156:157], v[162:163], v[160:161]
	v_div_fmas_f64 v[156:157], v[156:157], v[158:159], v[162:163]
	v_div_fixup_f64 v[156:157], v[156:157], v[238:239], v[236:237]
	v_fmac_f64_e32 v[238:239], v[236:237], v[156:157]
	v_div_scale_f64 v[158:159], s[18:19], v[238:239], v[238:239], 1.0
	v_rcp_f64_e32 v[160:161], v[158:159]
	s_nop 0
	v_fma_f64 v[162:163], -v[158:159], v[160:161], 1.0
	v_fmac_f64_e32 v[160:161], v[160:161], v[162:163]
	v_fma_f64 v[162:163], -v[158:159], v[160:161], 1.0
	v_fmac_f64_e32 v[160:161], v[160:161], v[162:163]
	v_div_scale_f64 v[162:163], vcc, 1.0, v[238:239], 1.0
	v_mul_f64 v[216:217], v[162:163], v[160:161]
	v_fma_f64 v[158:159], -v[158:159], v[216:217], v[162:163]
	s_nop 1
	v_div_fmas_f64 v[158:159], v[158:159], v[160:161], v[216:217]
	v_div_fixup_f64 v[238:239], v[158:159], v[238:239], 1.0
	v_mul_f64 v[236:237], v[156:157], v[238:239]
	v_xor_b32_e32 v239, 0x80000000, v239
.LBB116_175:
	s_andn2_saveexec_b64 s[16:17], s[16:17]
	s_cbranch_execz .LBB116_177
; %bb.176:
	v_div_scale_f64 v[156:157], s[18:19], v[236:237], v[236:237], v[238:239]
	v_rcp_f64_e32 v[158:159], v[156:157]
	v_div_scale_f64 v[160:161], vcc, v[238:239], v[236:237], v[238:239]
	v_fma_f64 v[162:163], -v[156:157], v[158:159], 1.0
	v_fmac_f64_e32 v[158:159], v[158:159], v[162:163]
	v_fma_f64 v[162:163], -v[156:157], v[158:159], 1.0
	v_fmac_f64_e32 v[158:159], v[158:159], v[162:163]
	v_mul_f64 v[162:163], v[160:161], v[158:159]
	v_fma_f64 v[156:157], -v[156:157], v[162:163], v[160:161]
	v_div_fmas_f64 v[156:157], v[156:157], v[158:159], v[162:163]
	v_div_fixup_f64 v[156:157], v[156:157], v[236:237], v[238:239]
	v_fmac_f64_e32 v[236:237], v[238:239], v[156:157]
	v_div_scale_f64 v[158:159], s[18:19], v[236:237], v[236:237], 1.0
	v_rcp_f64_e32 v[160:161], v[158:159]
	s_nop 0
	v_fma_f64 v[162:163], -v[158:159], v[160:161], 1.0
	v_fmac_f64_e32 v[160:161], v[160:161], v[162:163]
	v_fma_f64 v[162:163], -v[158:159], v[160:161], 1.0
	v_fmac_f64_e32 v[160:161], v[160:161], v[162:163]
	v_div_scale_f64 v[162:163], vcc, 1.0, v[236:237], 1.0
	v_mul_f64 v[216:217], v[162:163], v[160:161]
	v_fma_f64 v[158:159], -v[158:159], v[216:217], v[162:163]
	s_nop 1
	v_div_fmas_f64 v[158:159], v[158:159], v[160:161], v[216:217]
	v_div_fixup_f64 v[236:237], v[158:159], v[236:237], 1.0
	v_mul_f64 v[238:239], v[156:157], -v[236:237]
.LBB116_177:
	s_or_b64 exec, exec, s[16:17]
.LBB116_178:
	s_or_b64 exec, exec, s[0:1]
	v_cmp_ne_u32_e32 vcc, v249, v246
	s_and_saveexec_b64 s[0:1], vcc
	s_xor_b64 s[0:1], exec, s[0:1]
	s_cbranch_execz .LBB116_184
; %bb.179:
	v_cmp_eq_u32_e32 vcc, 8, v249
	s_and_saveexec_b64 s[16:17], vcc
	s_cbranch_execz .LBB116_183
; %bb.180:
	v_cmp_ne_u32_e32 vcc, 8, v246
	s_xor_b64 s[18:19], s[14:15], -1
	s_and_b64 s[22:23], s[18:19], vcc
	s_and_saveexec_b64 s[18:19], s[22:23]
	s_cbranch_execz .LBB116_182
; %bb.181:
	scratch_load_dwordx2 v[8:9], off, off offset:16 ; 8-byte Folded Reload
	v_ashrrev_i32_e32 v247, 31, v246
	s_waitcnt vmcnt(0)
	v_lshl_add_u64 v[156:157], v[246:247], 2, v[8:9]
	global_load_dword v158, v[156:157], off
	global_load_dword v159, v[8:9], off offset:32
	s_waitcnt vmcnt(1)
	global_store_dword v[8:9], v158, off offset:32
	s_waitcnt vmcnt(1)
	global_store_dword v[156:157], v159, off
.LBB116_182:
	s_or_b64 exec, exec, s[18:19]
	v_mov_b32_e32 v249, v246
	v_mov_b32_e32 v218, v246
.LBB116_183:
	s_or_b64 exec, exec, s[16:17]
.LBB116_184:
	s_andn2_saveexec_b64 s[0:1], s[0:1]
	s_cbranch_execz .LBB116_186
; %bb.185:
	v_mov_b32_e32 v249, 8
	ds_write2_b64 v248, v[200:201], v[202:203] offset0:18 offset1:19
	ds_write2_b64 v248, v[196:197], v[198:199] offset0:20 offset1:21
	;; [unrolled: 1-line block ×50, first 2 shown]
.LBB116_186:
	s_or_b64 exec, exec, s[0:1]
	v_cmp_lt_i32_e32 vcc, 8, v249
	s_waitcnt lgkmcnt(0)
	s_barrier
	s_and_saveexec_b64 s[0:1], vcc
	s_cbranch_execz .LBB116_188
; %bb.187:
	v_mul_f64 v[156:157], v[238:239], v[206:207]
	v_mul_f64 v[206:207], v[236:237], v[206:207]
	v_fma_f64 v[246:247], v[236:237], v[204:205], -v[156:157]
	v_fmac_f64_e32 v[206:207], v[238:239], v[204:205]
	ds_read2_b64 v[236:239], v248 offset0:18 offset1:19
	v_mov_b64_e32 v[204:205], v[246:247]
	s_waitcnt lgkmcnt(0)
	v_mul_f64 v[156:157], v[238:239], v[206:207]
	v_mul_f64 v[158:159], v[236:237], v[206:207]
	v_fma_f64 v[156:157], v[236:237], v[246:247], -v[156:157]
	v_fmac_f64_e32 v[158:159], v[238:239], v[246:247]
	ds_read2_b64 v[236:239], v248 offset0:20 offset1:21
	v_add_f64 v[200:201], v[200:201], -v[156:157]
	v_add_f64 v[202:203], v[202:203], -v[158:159]
	s_waitcnt lgkmcnt(0)
	v_mul_f64 v[156:157], v[238:239], v[206:207]
	v_mul_f64 v[158:159], v[236:237], v[206:207]
	v_fma_f64 v[156:157], v[236:237], v[246:247], -v[156:157]
	v_fmac_f64_e32 v[158:159], v[238:239], v[246:247]
	ds_read2_b64 v[236:239], v248 offset0:22 offset1:23
	v_add_f64 v[196:197], v[196:197], -v[156:157]
	v_add_f64 v[198:199], v[198:199], -v[158:159]
	;; [unrolled: 8-line block ×49, first 2 shown]
	s_waitcnt lgkmcnt(0)
	v_mul_f64 v[156:157], v[238:239], v[206:207]
	v_mul_f64 v[158:159], v[236:237], v[206:207]
	v_fma_f64 v[156:157], v[236:237], v[246:247], -v[156:157]
	v_fmac_f64_e32 v[158:159], v[238:239], v[246:247]
	v_add_f64 v[232:233], v[232:233], -v[156:157]
	v_add_f64 v[234:235], v[234:235], -v[158:159]
.LBB116_188:
	s_or_b64 exec, exec, s[0:1]
	v_lshl_add_u32 v156, v249, 4, v248
	s_barrier
	ds_write2_b64 v156, v[200:201], v[202:203] offset1:1
	s_waitcnt lgkmcnt(0)
	s_barrier
	ds_read2_b64 v[236:239], v248 offset0:18 offset1:19
	s_cmp_lt_i32 s20, 11
	v_mov_b32_e32 v246, 9
	s_cbranch_scc1 .LBB116_191
; %bb.189:
	v_add_u32_e32 v247, 0xa0, v248
	s_mov_b32 s0, 10
	v_mov_b32_e32 v246, 9
.LBB116_190:                            ; =>This Inner Loop Header: Depth=1
	ds_read2_b64 v[242:245], v247 offset1:1
	s_waitcnt lgkmcnt(1)
	v_cmp_gt_f64_e32 vcc, 0, v[236:237]
	v_xor_b32_e32 v156, 0x80000000, v237
	v_xor_b32_e32 v158, 0x80000000, v239
	v_cndmask_b32_e32 v157, v237, v156, vcc
	v_cmp_gt_f64_e32 vcc, 0, v[238:239]
	v_mov_b32_e32 v156, v236
	s_waitcnt lgkmcnt(0)
	v_xor_b32_e32 v160, 0x80000000, v245
	v_cndmask_b32_e32 v159, v239, v158, vcc
	v_mov_b32_e32 v158, v238
	v_add_f64 v[156:157], v[156:157], v[158:159]
	v_cmp_gt_f64_e32 vcc, 0, v[242:243]
	v_xor_b32_e32 v158, 0x80000000, v243
	v_add_u32_e32 v247, 16, v247
	v_cndmask_b32_e32 v159, v243, v158, vcc
	v_cmp_gt_f64_e32 vcc, 0, v[244:245]
	v_mov_b32_e32 v158, v242
	s_nop 0
	v_cndmask_b32_e32 v161, v245, v160, vcc
	v_mov_b32_e32 v160, v244
	v_add_f64 v[158:159], v[158:159], v[160:161]
	v_cmp_lt_f64_e32 vcc, v[156:157], v[158:159]
	v_mov_b32_e32 v156, s0
	s_add_i32 s0, s0, 1
	v_cndmask_b32_e32 v237, v237, v243, vcc
	v_cndmask_b32_e32 v236, v236, v242, vcc
	;; [unrolled: 1-line block ×5, first 2 shown]
	s_cmp_lg_u32 s20, s0
	s_cbranch_scc1 .LBB116_190
.LBB116_191:
	s_waitcnt lgkmcnt(0)
	v_cmp_eq_f64_e32 vcc, 0, v[236:237]
	v_cmp_eq_f64_e64 s[0:1], 0, v[238:239]
	s_and_b64 s[0:1], vcc, s[0:1]
	s_and_saveexec_b64 s[16:17], s[0:1]
	s_xor_b64 s[0:1], exec, s[16:17]
; %bb.192:
	v_cmp_ne_u32_e32 vcc, 0, v250
	s_nop 1
	v_cndmask_b32_e32 v250, 10, v250, vcc
; %bb.193:
	s_andn2_saveexec_b64 s[0:1], s[0:1]
	s_cbranch_execz .LBB116_199
; %bb.194:
	v_cmp_ngt_f64_e64 s[16:17], |v[236:237]|, |v[238:239]|
	s_and_saveexec_b64 s[18:19], s[16:17]
	s_xor_b64 s[16:17], exec, s[18:19]
	s_cbranch_execz .LBB116_196
; %bb.195:
	v_div_scale_f64 v[156:157], s[18:19], v[238:239], v[238:239], v[236:237]
	v_rcp_f64_e32 v[158:159], v[156:157]
	v_div_scale_f64 v[160:161], vcc, v[236:237], v[238:239], v[236:237]
	v_fma_f64 v[162:163], -v[156:157], v[158:159], 1.0
	v_fmac_f64_e32 v[158:159], v[158:159], v[162:163]
	v_fma_f64 v[162:163], -v[156:157], v[158:159], 1.0
	v_fmac_f64_e32 v[158:159], v[158:159], v[162:163]
	v_mul_f64 v[162:163], v[160:161], v[158:159]
	v_fma_f64 v[156:157], -v[156:157], v[162:163], v[160:161]
	v_div_fmas_f64 v[156:157], v[156:157], v[158:159], v[162:163]
	v_div_fixup_f64 v[156:157], v[156:157], v[238:239], v[236:237]
	v_fmac_f64_e32 v[238:239], v[236:237], v[156:157]
	v_div_scale_f64 v[158:159], s[18:19], v[238:239], v[238:239], 1.0
	v_rcp_f64_e32 v[160:161], v[158:159]
	s_nop 0
	v_fma_f64 v[162:163], -v[158:159], v[160:161], 1.0
	v_fmac_f64_e32 v[160:161], v[160:161], v[162:163]
	v_fma_f64 v[162:163], -v[158:159], v[160:161], 1.0
	v_fmac_f64_e32 v[160:161], v[160:161], v[162:163]
	v_div_scale_f64 v[162:163], vcc, 1.0, v[238:239], 1.0
	v_mul_f64 v[216:217], v[162:163], v[160:161]
	v_fma_f64 v[158:159], -v[158:159], v[216:217], v[162:163]
	s_nop 1
	v_div_fmas_f64 v[158:159], v[158:159], v[160:161], v[216:217]
	v_div_fixup_f64 v[238:239], v[158:159], v[238:239], 1.0
	v_mul_f64 v[236:237], v[156:157], v[238:239]
	v_xor_b32_e32 v239, 0x80000000, v239
.LBB116_196:
	s_andn2_saveexec_b64 s[16:17], s[16:17]
	s_cbranch_execz .LBB116_198
; %bb.197:
	v_div_scale_f64 v[156:157], s[18:19], v[236:237], v[236:237], v[238:239]
	v_rcp_f64_e32 v[158:159], v[156:157]
	v_div_scale_f64 v[160:161], vcc, v[238:239], v[236:237], v[238:239]
	v_fma_f64 v[162:163], -v[156:157], v[158:159], 1.0
	v_fmac_f64_e32 v[158:159], v[158:159], v[162:163]
	v_fma_f64 v[162:163], -v[156:157], v[158:159], 1.0
	v_fmac_f64_e32 v[158:159], v[158:159], v[162:163]
	v_mul_f64 v[162:163], v[160:161], v[158:159]
	v_fma_f64 v[156:157], -v[156:157], v[162:163], v[160:161]
	v_div_fmas_f64 v[156:157], v[156:157], v[158:159], v[162:163]
	v_div_fixup_f64 v[156:157], v[156:157], v[236:237], v[238:239]
	v_fmac_f64_e32 v[236:237], v[238:239], v[156:157]
	v_div_scale_f64 v[158:159], s[18:19], v[236:237], v[236:237], 1.0
	v_rcp_f64_e32 v[160:161], v[158:159]
	s_nop 0
	v_fma_f64 v[162:163], -v[158:159], v[160:161], 1.0
	v_fmac_f64_e32 v[160:161], v[160:161], v[162:163]
	v_fma_f64 v[162:163], -v[158:159], v[160:161], 1.0
	v_fmac_f64_e32 v[160:161], v[160:161], v[162:163]
	v_div_scale_f64 v[162:163], vcc, 1.0, v[236:237], 1.0
	v_mul_f64 v[216:217], v[162:163], v[160:161]
	v_fma_f64 v[158:159], -v[158:159], v[216:217], v[162:163]
	s_nop 1
	v_div_fmas_f64 v[158:159], v[158:159], v[160:161], v[216:217]
	v_div_fixup_f64 v[236:237], v[158:159], v[236:237], 1.0
	v_mul_f64 v[238:239], v[156:157], -v[236:237]
.LBB116_198:
	s_or_b64 exec, exec, s[16:17]
.LBB116_199:
	s_or_b64 exec, exec, s[0:1]
	v_cmp_ne_u32_e32 vcc, v249, v246
	s_and_saveexec_b64 s[0:1], vcc
	s_xor_b64 s[0:1], exec, s[0:1]
	s_cbranch_execz .LBB116_205
; %bb.200:
	v_cmp_eq_u32_e32 vcc, 9, v249
	s_and_saveexec_b64 s[16:17], vcc
	s_cbranch_execz .LBB116_204
; %bb.201:
	v_cmp_ne_u32_e32 vcc, 9, v246
	s_xor_b64 s[18:19], s[14:15], -1
	s_and_b64 s[22:23], s[18:19], vcc
	s_and_saveexec_b64 s[18:19], s[22:23]
	s_cbranch_execz .LBB116_203
; %bb.202:
	scratch_load_dwordx2 v[8:9], off, off offset:16 ; 8-byte Folded Reload
	v_ashrrev_i32_e32 v247, 31, v246
	s_waitcnt vmcnt(0)
	v_lshl_add_u64 v[156:157], v[246:247], 2, v[8:9]
	global_load_dword v158, v[156:157], off
	global_load_dword v159, v[8:9], off offset:36
	s_waitcnt vmcnt(1)
	global_store_dword v[8:9], v158, off offset:36
	s_waitcnt vmcnt(1)
	global_store_dword v[156:157], v159, off
.LBB116_203:
	s_or_b64 exec, exec, s[18:19]
	v_mov_b32_e32 v249, v246
	v_mov_b32_e32 v218, v246
.LBB116_204:
	s_or_b64 exec, exec, s[16:17]
.LBB116_205:
	s_andn2_saveexec_b64 s[0:1], s[0:1]
	s_cbranch_execz .LBB116_207
; %bb.206:
	v_mov_b32_e32 v249, 9
	ds_write2_b64 v248, v[196:197], v[198:199] offset0:20 offset1:21
	ds_write2_b64 v248, v[192:193], v[194:195] offset0:22 offset1:23
	;; [unrolled: 1-line block ×49, first 2 shown]
.LBB116_207:
	s_or_b64 exec, exec, s[0:1]
	v_cmp_lt_i32_e32 vcc, 9, v249
	s_waitcnt lgkmcnt(0)
	s_barrier
	s_and_saveexec_b64 s[0:1], vcc
	s_cbranch_execz .LBB116_209
; %bb.208:
	v_mul_f64 v[156:157], v[238:239], v[202:203]
	v_mul_f64 v[202:203], v[236:237], v[202:203]
	v_fma_f64 v[246:247], v[236:237], v[200:201], -v[156:157]
	v_fmac_f64_e32 v[202:203], v[238:239], v[200:201]
	ds_read2_b64 v[236:239], v248 offset0:20 offset1:21
	v_mov_b64_e32 v[200:201], v[246:247]
	s_waitcnt lgkmcnt(0)
	v_mul_f64 v[156:157], v[238:239], v[202:203]
	v_mul_f64 v[158:159], v[236:237], v[202:203]
	v_fma_f64 v[156:157], v[236:237], v[246:247], -v[156:157]
	v_fmac_f64_e32 v[158:159], v[238:239], v[246:247]
	ds_read2_b64 v[236:239], v248 offset0:22 offset1:23
	v_add_f64 v[196:197], v[196:197], -v[156:157]
	v_add_f64 v[198:199], v[198:199], -v[158:159]
	s_waitcnt lgkmcnt(0)
	v_mul_f64 v[156:157], v[238:239], v[202:203]
	v_mul_f64 v[158:159], v[236:237], v[202:203]
	v_fma_f64 v[156:157], v[236:237], v[246:247], -v[156:157]
	v_fmac_f64_e32 v[158:159], v[238:239], v[246:247]
	ds_read2_b64 v[236:239], v248 offset0:24 offset1:25
	v_add_f64 v[192:193], v[192:193], -v[156:157]
	v_add_f64 v[194:195], v[194:195], -v[158:159]
	;; [unrolled: 8-line block ×48, first 2 shown]
	s_waitcnt lgkmcnt(0)
	v_mul_f64 v[156:157], v[238:239], v[202:203]
	v_mul_f64 v[158:159], v[236:237], v[202:203]
	v_fma_f64 v[156:157], v[236:237], v[246:247], -v[156:157]
	v_fmac_f64_e32 v[158:159], v[238:239], v[246:247]
	v_add_f64 v[232:233], v[232:233], -v[156:157]
	v_add_f64 v[234:235], v[234:235], -v[158:159]
.LBB116_209:
	s_or_b64 exec, exec, s[0:1]
	v_lshl_add_u32 v156, v249, 4, v248
	s_barrier
	ds_write2_b64 v156, v[196:197], v[198:199] offset1:1
	s_waitcnt lgkmcnt(0)
	s_barrier
	ds_read2_b64 v[236:239], v248 offset0:20 offset1:21
	s_cmp_lt_i32 s20, 12
	v_mov_b32_e32 v246, 10
	s_cbranch_scc1 .LBB116_212
; %bb.210:
	v_add_u32_e32 v247, 0xb0, v248
	s_mov_b32 s0, 11
	v_mov_b32_e32 v246, 10
.LBB116_211:                            ; =>This Inner Loop Header: Depth=1
	ds_read2_b64 v[242:245], v247 offset1:1
	s_waitcnt lgkmcnt(1)
	v_cmp_gt_f64_e32 vcc, 0, v[236:237]
	v_xor_b32_e32 v156, 0x80000000, v237
	v_xor_b32_e32 v158, 0x80000000, v239
	v_cndmask_b32_e32 v157, v237, v156, vcc
	v_cmp_gt_f64_e32 vcc, 0, v[238:239]
	v_mov_b32_e32 v156, v236
	s_waitcnt lgkmcnt(0)
	v_xor_b32_e32 v160, 0x80000000, v245
	v_cndmask_b32_e32 v159, v239, v158, vcc
	v_mov_b32_e32 v158, v238
	v_add_f64 v[156:157], v[156:157], v[158:159]
	v_cmp_gt_f64_e32 vcc, 0, v[242:243]
	v_xor_b32_e32 v158, 0x80000000, v243
	v_add_u32_e32 v247, 16, v247
	v_cndmask_b32_e32 v159, v243, v158, vcc
	v_cmp_gt_f64_e32 vcc, 0, v[244:245]
	v_mov_b32_e32 v158, v242
	s_nop 0
	v_cndmask_b32_e32 v161, v245, v160, vcc
	v_mov_b32_e32 v160, v244
	v_add_f64 v[158:159], v[158:159], v[160:161]
	v_cmp_lt_f64_e32 vcc, v[156:157], v[158:159]
	v_mov_b32_e32 v156, s0
	s_add_i32 s0, s0, 1
	v_cndmask_b32_e32 v237, v237, v243, vcc
	v_cndmask_b32_e32 v236, v236, v242, vcc
	v_cndmask_b32_e32 v239, v239, v245, vcc
	v_cndmask_b32_e32 v238, v238, v244, vcc
	v_cndmask_b32_e32 v246, v246, v156, vcc
	s_cmp_lg_u32 s20, s0
	s_cbranch_scc1 .LBB116_211
.LBB116_212:
	s_waitcnt lgkmcnt(0)
	v_cmp_eq_f64_e32 vcc, 0, v[236:237]
	v_cmp_eq_f64_e64 s[0:1], 0, v[238:239]
	s_and_b64 s[0:1], vcc, s[0:1]
	s_and_saveexec_b64 s[16:17], s[0:1]
	s_xor_b64 s[0:1], exec, s[16:17]
; %bb.213:
	v_cmp_ne_u32_e32 vcc, 0, v250
	s_nop 1
	v_cndmask_b32_e32 v250, 11, v250, vcc
; %bb.214:
	s_andn2_saveexec_b64 s[0:1], s[0:1]
	s_cbranch_execz .LBB116_220
; %bb.215:
	v_cmp_ngt_f64_e64 s[16:17], |v[236:237]|, |v[238:239]|
	s_and_saveexec_b64 s[18:19], s[16:17]
	s_xor_b64 s[16:17], exec, s[18:19]
	s_cbranch_execz .LBB116_217
; %bb.216:
	v_div_scale_f64 v[156:157], s[18:19], v[238:239], v[238:239], v[236:237]
	v_rcp_f64_e32 v[158:159], v[156:157]
	v_div_scale_f64 v[160:161], vcc, v[236:237], v[238:239], v[236:237]
	v_fma_f64 v[162:163], -v[156:157], v[158:159], 1.0
	v_fmac_f64_e32 v[158:159], v[158:159], v[162:163]
	v_fma_f64 v[162:163], -v[156:157], v[158:159], 1.0
	v_fmac_f64_e32 v[158:159], v[158:159], v[162:163]
	v_mul_f64 v[162:163], v[160:161], v[158:159]
	v_fma_f64 v[156:157], -v[156:157], v[162:163], v[160:161]
	v_div_fmas_f64 v[156:157], v[156:157], v[158:159], v[162:163]
	v_div_fixup_f64 v[156:157], v[156:157], v[238:239], v[236:237]
	v_fmac_f64_e32 v[238:239], v[236:237], v[156:157]
	v_div_scale_f64 v[158:159], s[18:19], v[238:239], v[238:239], 1.0
	v_rcp_f64_e32 v[160:161], v[158:159]
	s_nop 0
	v_fma_f64 v[162:163], -v[158:159], v[160:161], 1.0
	v_fmac_f64_e32 v[160:161], v[160:161], v[162:163]
	v_fma_f64 v[162:163], -v[158:159], v[160:161], 1.0
	v_fmac_f64_e32 v[160:161], v[160:161], v[162:163]
	v_div_scale_f64 v[162:163], vcc, 1.0, v[238:239], 1.0
	v_mul_f64 v[216:217], v[162:163], v[160:161]
	v_fma_f64 v[158:159], -v[158:159], v[216:217], v[162:163]
	s_nop 1
	v_div_fmas_f64 v[158:159], v[158:159], v[160:161], v[216:217]
	v_div_fixup_f64 v[238:239], v[158:159], v[238:239], 1.0
	v_mul_f64 v[236:237], v[156:157], v[238:239]
	v_xor_b32_e32 v239, 0x80000000, v239
.LBB116_217:
	s_andn2_saveexec_b64 s[16:17], s[16:17]
	s_cbranch_execz .LBB116_219
; %bb.218:
	v_div_scale_f64 v[156:157], s[18:19], v[236:237], v[236:237], v[238:239]
	v_rcp_f64_e32 v[158:159], v[156:157]
	v_div_scale_f64 v[160:161], vcc, v[238:239], v[236:237], v[238:239]
	v_fma_f64 v[162:163], -v[156:157], v[158:159], 1.0
	v_fmac_f64_e32 v[158:159], v[158:159], v[162:163]
	v_fma_f64 v[162:163], -v[156:157], v[158:159], 1.0
	v_fmac_f64_e32 v[158:159], v[158:159], v[162:163]
	v_mul_f64 v[162:163], v[160:161], v[158:159]
	v_fma_f64 v[156:157], -v[156:157], v[162:163], v[160:161]
	v_div_fmas_f64 v[156:157], v[156:157], v[158:159], v[162:163]
	v_div_fixup_f64 v[156:157], v[156:157], v[236:237], v[238:239]
	v_fmac_f64_e32 v[236:237], v[238:239], v[156:157]
	v_div_scale_f64 v[158:159], s[18:19], v[236:237], v[236:237], 1.0
	v_rcp_f64_e32 v[160:161], v[158:159]
	s_nop 0
	v_fma_f64 v[162:163], -v[158:159], v[160:161], 1.0
	v_fmac_f64_e32 v[160:161], v[160:161], v[162:163]
	v_fma_f64 v[162:163], -v[158:159], v[160:161], 1.0
	v_fmac_f64_e32 v[160:161], v[160:161], v[162:163]
	v_div_scale_f64 v[162:163], vcc, 1.0, v[236:237], 1.0
	v_mul_f64 v[216:217], v[162:163], v[160:161]
	v_fma_f64 v[158:159], -v[158:159], v[216:217], v[162:163]
	s_nop 1
	v_div_fmas_f64 v[158:159], v[158:159], v[160:161], v[216:217]
	v_div_fixup_f64 v[236:237], v[158:159], v[236:237], 1.0
	v_mul_f64 v[238:239], v[156:157], -v[236:237]
.LBB116_219:
	s_or_b64 exec, exec, s[16:17]
.LBB116_220:
	s_or_b64 exec, exec, s[0:1]
	v_cmp_ne_u32_e32 vcc, v249, v246
	s_and_saveexec_b64 s[0:1], vcc
	s_xor_b64 s[0:1], exec, s[0:1]
	s_cbranch_execz .LBB116_226
; %bb.221:
	v_cmp_eq_u32_e32 vcc, 10, v249
	s_and_saveexec_b64 s[16:17], vcc
	s_cbranch_execz .LBB116_225
; %bb.222:
	v_cmp_ne_u32_e32 vcc, 10, v246
	s_xor_b64 s[18:19], s[14:15], -1
	s_and_b64 s[22:23], s[18:19], vcc
	s_and_saveexec_b64 s[18:19], s[22:23]
	s_cbranch_execz .LBB116_224
; %bb.223:
	scratch_load_dwordx2 v[8:9], off, off offset:16 ; 8-byte Folded Reload
	v_ashrrev_i32_e32 v247, 31, v246
	s_waitcnt vmcnt(0)
	v_lshl_add_u64 v[156:157], v[246:247], 2, v[8:9]
	global_load_dword v158, v[156:157], off
	global_load_dword v159, v[8:9], off offset:40
	s_waitcnt vmcnt(1)
	global_store_dword v[8:9], v158, off offset:40
	s_waitcnt vmcnt(1)
	global_store_dword v[156:157], v159, off
.LBB116_224:
	s_or_b64 exec, exec, s[18:19]
	v_mov_b32_e32 v249, v246
	v_mov_b32_e32 v218, v246
.LBB116_225:
	s_or_b64 exec, exec, s[16:17]
.LBB116_226:
	s_andn2_saveexec_b64 s[0:1], s[0:1]
	s_cbranch_execz .LBB116_228
; %bb.227:
	v_mov_b32_e32 v249, 10
	ds_write2_b64 v248, v[192:193], v[194:195] offset0:22 offset1:23
	ds_write2_b64 v248, v[188:189], v[190:191] offset0:24 offset1:25
	;; [unrolled: 1-line block ×48, first 2 shown]
.LBB116_228:
	s_or_b64 exec, exec, s[0:1]
	v_cmp_lt_i32_e32 vcc, 10, v249
	s_waitcnt lgkmcnt(0)
	s_barrier
	s_and_saveexec_b64 s[0:1], vcc
	s_cbranch_execz .LBB116_230
; %bb.229:
	v_mul_f64 v[156:157], v[238:239], v[198:199]
	v_mul_f64 v[198:199], v[236:237], v[198:199]
	v_fma_f64 v[246:247], v[236:237], v[196:197], -v[156:157]
	v_fmac_f64_e32 v[198:199], v[238:239], v[196:197]
	ds_read2_b64 v[236:239], v248 offset0:22 offset1:23
	v_mov_b64_e32 v[196:197], v[246:247]
	s_waitcnt lgkmcnt(0)
	v_mul_f64 v[156:157], v[238:239], v[198:199]
	v_mul_f64 v[158:159], v[236:237], v[198:199]
	v_fma_f64 v[156:157], v[236:237], v[246:247], -v[156:157]
	v_fmac_f64_e32 v[158:159], v[238:239], v[246:247]
	ds_read2_b64 v[236:239], v248 offset0:24 offset1:25
	v_add_f64 v[192:193], v[192:193], -v[156:157]
	v_add_f64 v[194:195], v[194:195], -v[158:159]
	s_waitcnt lgkmcnt(0)
	v_mul_f64 v[156:157], v[238:239], v[198:199]
	v_mul_f64 v[158:159], v[236:237], v[198:199]
	v_fma_f64 v[156:157], v[236:237], v[246:247], -v[156:157]
	v_fmac_f64_e32 v[158:159], v[238:239], v[246:247]
	ds_read2_b64 v[236:239], v248 offset0:26 offset1:27
	v_add_f64 v[188:189], v[188:189], -v[156:157]
	v_add_f64 v[190:191], v[190:191], -v[158:159]
	;; [unrolled: 8-line block ×47, first 2 shown]
	s_waitcnt lgkmcnt(0)
	v_mul_f64 v[156:157], v[238:239], v[198:199]
	v_mul_f64 v[158:159], v[236:237], v[198:199]
	v_fma_f64 v[156:157], v[236:237], v[246:247], -v[156:157]
	v_fmac_f64_e32 v[158:159], v[238:239], v[246:247]
	v_add_f64 v[232:233], v[232:233], -v[156:157]
	v_add_f64 v[234:235], v[234:235], -v[158:159]
.LBB116_230:
	s_or_b64 exec, exec, s[0:1]
	v_lshl_add_u32 v156, v249, 4, v248
	s_barrier
	ds_write2_b64 v156, v[192:193], v[194:195] offset1:1
	s_waitcnt lgkmcnt(0)
	s_barrier
	ds_read2_b64 v[236:239], v248 offset0:22 offset1:23
	s_cmp_lt_i32 s20, 13
	v_mov_b32_e32 v246, 11
	s_cbranch_scc1 .LBB116_233
; %bb.231:
	v_add_u32_e32 v247, 0xc0, v248
	s_mov_b32 s0, 12
	v_mov_b32_e32 v246, 11
.LBB116_232:                            ; =>This Inner Loop Header: Depth=1
	ds_read2_b64 v[242:245], v247 offset1:1
	s_waitcnt lgkmcnt(1)
	v_cmp_gt_f64_e32 vcc, 0, v[236:237]
	v_xor_b32_e32 v156, 0x80000000, v237
	v_xor_b32_e32 v158, 0x80000000, v239
	v_cndmask_b32_e32 v157, v237, v156, vcc
	v_cmp_gt_f64_e32 vcc, 0, v[238:239]
	v_mov_b32_e32 v156, v236
	s_waitcnt lgkmcnt(0)
	v_xor_b32_e32 v160, 0x80000000, v245
	v_cndmask_b32_e32 v159, v239, v158, vcc
	v_mov_b32_e32 v158, v238
	v_add_f64 v[156:157], v[156:157], v[158:159]
	v_cmp_gt_f64_e32 vcc, 0, v[242:243]
	v_xor_b32_e32 v158, 0x80000000, v243
	v_add_u32_e32 v247, 16, v247
	v_cndmask_b32_e32 v159, v243, v158, vcc
	v_cmp_gt_f64_e32 vcc, 0, v[244:245]
	v_mov_b32_e32 v158, v242
	s_nop 0
	v_cndmask_b32_e32 v161, v245, v160, vcc
	v_mov_b32_e32 v160, v244
	v_add_f64 v[158:159], v[158:159], v[160:161]
	v_cmp_lt_f64_e32 vcc, v[156:157], v[158:159]
	v_mov_b32_e32 v156, s0
	s_add_i32 s0, s0, 1
	v_cndmask_b32_e32 v237, v237, v243, vcc
	v_cndmask_b32_e32 v236, v236, v242, vcc
	;; [unrolled: 1-line block ×5, first 2 shown]
	s_cmp_lg_u32 s20, s0
	s_cbranch_scc1 .LBB116_232
.LBB116_233:
	s_waitcnt lgkmcnt(0)
	v_cmp_eq_f64_e32 vcc, 0, v[236:237]
	v_cmp_eq_f64_e64 s[0:1], 0, v[238:239]
	s_and_b64 s[0:1], vcc, s[0:1]
	s_and_saveexec_b64 s[16:17], s[0:1]
	s_xor_b64 s[0:1], exec, s[16:17]
; %bb.234:
	v_cmp_ne_u32_e32 vcc, 0, v250
	s_nop 1
	v_cndmask_b32_e32 v250, 12, v250, vcc
; %bb.235:
	s_andn2_saveexec_b64 s[0:1], s[0:1]
	s_cbranch_execz .LBB116_241
; %bb.236:
	v_cmp_ngt_f64_e64 s[16:17], |v[236:237]|, |v[238:239]|
	s_and_saveexec_b64 s[18:19], s[16:17]
	s_xor_b64 s[16:17], exec, s[18:19]
	s_cbranch_execz .LBB116_238
; %bb.237:
	v_div_scale_f64 v[156:157], s[18:19], v[238:239], v[238:239], v[236:237]
	v_rcp_f64_e32 v[158:159], v[156:157]
	v_div_scale_f64 v[160:161], vcc, v[236:237], v[238:239], v[236:237]
	v_fma_f64 v[162:163], -v[156:157], v[158:159], 1.0
	v_fmac_f64_e32 v[158:159], v[158:159], v[162:163]
	v_fma_f64 v[162:163], -v[156:157], v[158:159], 1.0
	v_fmac_f64_e32 v[158:159], v[158:159], v[162:163]
	v_mul_f64 v[162:163], v[160:161], v[158:159]
	v_fma_f64 v[156:157], -v[156:157], v[162:163], v[160:161]
	v_div_fmas_f64 v[156:157], v[156:157], v[158:159], v[162:163]
	v_div_fixup_f64 v[156:157], v[156:157], v[238:239], v[236:237]
	v_fmac_f64_e32 v[238:239], v[236:237], v[156:157]
	v_div_scale_f64 v[158:159], s[18:19], v[238:239], v[238:239], 1.0
	v_rcp_f64_e32 v[160:161], v[158:159]
	s_nop 0
	v_fma_f64 v[162:163], -v[158:159], v[160:161], 1.0
	v_fmac_f64_e32 v[160:161], v[160:161], v[162:163]
	v_fma_f64 v[162:163], -v[158:159], v[160:161], 1.0
	v_fmac_f64_e32 v[160:161], v[160:161], v[162:163]
	v_div_scale_f64 v[162:163], vcc, 1.0, v[238:239], 1.0
	v_mul_f64 v[216:217], v[162:163], v[160:161]
	v_fma_f64 v[158:159], -v[158:159], v[216:217], v[162:163]
	s_nop 1
	v_div_fmas_f64 v[158:159], v[158:159], v[160:161], v[216:217]
	v_div_fixup_f64 v[238:239], v[158:159], v[238:239], 1.0
	v_mul_f64 v[236:237], v[156:157], v[238:239]
	v_xor_b32_e32 v239, 0x80000000, v239
.LBB116_238:
	s_andn2_saveexec_b64 s[16:17], s[16:17]
	s_cbranch_execz .LBB116_240
; %bb.239:
	v_div_scale_f64 v[156:157], s[18:19], v[236:237], v[236:237], v[238:239]
	v_rcp_f64_e32 v[158:159], v[156:157]
	v_div_scale_f64 v[160:161], vcc, v[238:239], v[236:237], v[238:239]
	v_fma_f64 v[162:163], -v[156:157], v[158:159], 1.0
	v_fmac_f64_e32 v[158:159], v[158:159], v[162:163]
	v_fma_f64 v[162:163], -v[156:157], v[158:159], 1.0
	v_fmac_f64_e32 v[158:159], v[158:159], v[162:163]
	v_mul_f64 v[162:163], v[160:161], v[158:159]
	v_fma_f64 v[156:157], -v[156:157], v[162:163], v[160:161]
	v_div_fmas_f64 v[156:157], v[156:157], v[158:159], v[162:163]
	v_div_fixup_f64 v[156:157], v[156:157], v[236:237], v[238:239]
	v_fmac_f64_e32 v[236:237], v[238:239], v[156:157]
	v_div_scale_f64 v[158:159], s[18:19], v[236:237], v[236:237], 1.0
	v_rcp_f64_e32 v[160:161], v[158:159]
	s_nop 0
	v_fma_f64 v[162:163], -v[158:159], v[160:161], 1.0
	v_fmac_f64_e32 v[160:161], v[160:161], v[162:163]
	v_fma_f64 v[162:163], -v[158:159], v[160:161], 1.0
	v_fmac_f64_e32 v[160:161], v[160:161], v[162:163]
	v_div_scale_f64 v[162:163], vcc, 1.0, v[236:237], 1.0
	v_mul_f64 v[216:217], v[162:163], v[160:161]
	v_fma_f64 v[158:159], -v[158:159], v[216:217], v[162:163]
	s_nop 1
	v_div_fmas_f64 v[158:159], v[158:159], v[160:161], v[216:217]
	v_div_fixup_f64 v[236:237], v[158:159], v[236:237], 1.0
	v_mul_f64 v[238:239], v[156:157], -v[236:237]
.LBB116_240:
	s_or_b64 exec, exec, s[16:17]
.LBB116_241:
	s_or_b64 exec, exec, s[0:1]
	v_cmp_ne_u32_e32 vcc, v249, v246
	s_and_saveexec_b64 s[0:1], vcc
	s_xor_b64 s[0:1], exec, s[0:1]
	s_cbranch_execz .LBB116_247
; %bb.242:
	v_cmp_eq_u32_e32 vcc, 11, v249
	s_and_saveexec_b64 s[16:17], vcc
	s_cbranch_execz .LBB116_246
; %bb.243:
	v_cmp_ne_u32_e32 vcc, 11, v246
	s_xor_b64 s[18:19], s[14:15], -1
	s_and_b64 s[22:23], s[18:19], vcc
	s_and_saveexec_b64 s[18:19], s[22:23]
	s_cbranch_execz .LBB116_245
; %bb.244:
	scratch_load_dwordx2 v[8:9], off, off offset:16 ; 8-byte Folded Reload
	v_ashrrev_i32_e32 v247, 31, v246
	s_waitcnt vmcnt(0)
	v_lshl_add_u64 v[156:157], v[246:247], 2, v[8:9]
	global_load_dword v158, v[156:157], off
	global_load_dword v159, v[8:9], off offset:44
	s_waitcnt vmcnt(1)
	global_store_dword v[8:9], v158, off offset:44
	s_waitcnt vmcnt(1)
	global_store_dword v[156:157], v159, off
.LBB116_245:
	s_or_b64 exec, exec, s[18:19]
	v_mov_b32_e32 v249, v246
	v_mov_b32_e32 v218, v246
.LBB116_246:
	s_or_b64 exec, exec, s[16:17]
.LBB116_247:
	s_andn2_saveexec_b64 s[0:1], s[0:1]
	s_cbranch_execz .LBB116_249
; %bb.248:
	v_mov_b32_e32 v249, 11
	ds_write2_b64 v248, v[188:189], v[190:191] offset0:24 offset1:25
	ds_write2_b64 v248, v[184:185], v[186:187] offset0:26 offset1:27
	;; [unrolled: 1-line block ×47, first 2 shown]
.LBB116_249:
	s_or_b64 exec, exec, s[0:1]
	v_cmp_lt_i32_e32 vcc, 11, v249
	s_waitcnt lgkmcnt(0)
	s_barrier
	s_and_saveexec_b64 s[0:1], vcc
	s_cbranch_execz .LBB116_251
; %bb.250:
	v_mul_f64 v[156:157], v[238:239], v[194:195]
	v_mul_f64 v[194:195], v[236:237], v[194:195]
	v_fma_f64 v[246:247], v[236:237], v[192:193], -v[156:157]
	v_fmac_f64_e32 v[194:195], v[238:239], v[192:193]
	ds_read2_b64 v[236:239], v248 offset0:24 offset1:25
	v_mov_b64_e32 v[192:193], v[246:247]
	s_waitcnt lgkmcnt(0)
	v_mul_f64 v[156:157], v[238:239], v[194:195]
	v_mul_f64 v[158:159], v[236:237], v[194:195]
	v_fma_f64 v[156:157], v[236:237], v[246:247], -v[156:157]
	v_fmac_f64_e32 v[158:159], v[238:239], v[246:247]
	ds_read2_b64 v[236:239], v248 offset0:26 offset1:27
	v_add_f64 v[188:189], v[188:189], -v[156:157]
	v_add_f64 v[190:191], v[190:191], -v[158:159]
	s_waitcnt lgkmcnt(0)
	v_mul_f64 v[156:157], v[238:239], v[194:195]
	v_mul_f64 v[158:159], v[236:237], v[194:195]
	v_fma_f64 v[156:157], v[236:237], v[246:247], -v[156:157]
	v_fmac_f64_e32 v[158:159], v[238:239], v[246:247]
	ds_read2_b64 v[236:239], v248 offset0:28 offset1:29
	v_add_f64 v[184:185], v[184:185], -v[156:157]
	v_add_f64 v[186:187], v[186:187], -v[158:159]
	;; [unrolled: 8-line block ×46, first 2 shown]
	s_waitcnt lgkmcnt(0)
	v_mul_f64 v[156:157], v[238:239], v[194:195]
	v_mul_f64 v[158:159], v[236:237], v[194:195]
	v_fma_f64 v[156:157], v[236:237], v[246:247], -v[156:157]
	v_fmac_f64_e32 v[158:159], v[238:239], v[246:247]
	v_add_f64 v[232:233], v[232:233], -v[156:157]
	v_add_f64 v[234:235], v[234:235], -v[158:159]
.LBB116_251:
	s_or_b64 exec, exec, s[0:1]
	v_lshl_add_u32 v156, v249, 4, v248
	s_barrier
	ds_write2_b64 v156, v[188:189], v[190:191] offset1:1
	s_waitcnt lgkmcnt(0)
	s_barrier
	ds_read2_b64 v[236:239], v248 offset0:24 offset1:25
	s_cmp_lt_i32 s20, 14
	v_mov_b32_e32 v246, 12
	s_cbranch_scc1 .LBB116_254
; %bb.252:
	v_add_u32_e32 v247, 0xd0, v248
	s_mov_b32 s0, 13
	v_mov_b32_e32 v246, 12
.LBB116_253:                            ; =>This Inner Loop Header: Depth=1
	ds_read2_b64 v[242:245], v247 offset1:1
	s_waitcnt lgkmcnt(1)
	v_cmp_gt_f64_e32 vcc, 0, v[236:237]
	v_xor_b32_e32 v156, 0x80000000, v237
	v_xor_b32_e32 v158, 0x80000000, v239
	v_cndmask_b32_e32 v157, v237, v156, vcc
	v_cmp_gt_f64_e32 vcc, 0, v[238:239]
	v_mov_b32_e32 v156, v236
	s_waitcnt lgkmcnt(0)
	v_xor_b32_e32 v160, 0x80000000, v245
	v_cndmask_b32_e32 v159, v239, v158, vcc
	v_mov_b32_e32 v158, v238
	v_add_f64 v[156:157], v[156:157], v[158:159]
	v_cmp_gt_f64_e32 vcc, 0, v[242:243]
	v_xor_b32_e32 v158, 0x80000000, v243
	v_add_u32_e32 v247, 16, v247
	v_cndmask_b32_e32 v159, v243, v158, vcc
	v_cmp_gt_f64_e32 vcc, 0, v[244:245]
	v_mov_b32_e32 v158, v242
	s_nop 0
	v_cndmask_b32_e32 v161, v245, v160, vcc
	v_mov_b32_e32 v160, v244
	v_add_f64 v[158:159], v[158:159], v[160:161]
	v_cmp_lt_f64_e32 vcc, v[156:157], v[158:159]
	v_mov_b32_e32 v156, s0
	s_add_i32 s0, s0, 1
	v_cndmask_b32_e32 v237, v237, v243, vcc
	v_cndmask_b32_e32 v236, v236, v242, vcc
	;; [unrolled: 1-line block ×5, first 2 shown]
	s_cmp_lg_u32 s20, s0
	s_cbranch_scc1 .LBB116_253
.LBB116_254:
	s_waitcnt lgkmcnt(0)
	v_cmp_eq_f64_e32 vcc, 0, v[236:237]
	v_cmp_eq_f64_e64 s[0:1], 0, v[238:239]
	s_and_b64 s[0:1], vcc, s[0:1]
	s_and_saveexec_b64 s[16:17], s[0:1]
	s_xor_b64 s[0:1], exec, s[16:17]
; %bb.255:
	v_cmp_ne_u32_e32 vcc, 0, v250
	s_nop 1
	v_cndmask_b32_e32 v250, 13, v250, vcc
; %bb.256:
	s_andn2_saveexec_b64 s[0:1], s[0:1]
	s_cbranch_execz .LBB116_262
; %bb.257:
	v_cmp_ngt_f64_e64 s[16:17], |v[236:237]|, |v[238:239]|
	s_and_saveexec_b64 s[18:19], s[16:17]
	s_xor_b64 s[16:17], exec, s[18:19]
	s_cbranch_execz .LBB116_259
; %bb.258:
	v_div_scale_f64 v[156:157], s[18:19], v[238:239], v[238:239], v[236:237]
	v_rcp_f64_e32 v[158:159], v[156:157]
	v_div_scale_f64 v[160:161], vcc, v[236:237], v[238:239], v[236:237]
	v_fma_f64 v[162:163], -v[156:157], v[158:159], 1.0
	v_fmac_f64_e32 v[158:159], v[158:159], v[162:163]
	v_fma_f64 v[162:163], -v[156:157], v[158:159], 1.0
	v_fmac_f64_e32 v[158:159], v[158:159], v[162:163]
	v_mul_f64 v[162:163], v[160:161], v[158:159]
	v_fma_f64 v[156:157], -v[156:157], v[162:163], v[160:161]
	v_div_fmas_f64 v[156:157], v[156:157], v[158:159], v[162:163]
	v_div_fixup_f64 v[156:157], v[156:157], v[238:239], v[236:237]
	v_fmac_f64_e32 v[238:239], v[236:237], v[156:157]
	v_div_scale_f64 v[158:159], s[18:19], v[238:239], v[238:239], 1.0
	v_rcp_f64_e32 v[160:161], v[158:159]
	s_nop 0
	v_fma_f64 v[162:163], -v[158:159], v[160:161], 1.0
	v_fmac_f64_e32 v[160:161], v[160:161], v[162:163]
	v_fma_f64 v[162:163], -v[158:159], v[160:161], 1.0
	v_fmac_f64_e32 v[160:161], v[160:161], v[162:163]
	v_div_scale_f64 v[162:163], vcc, 1.0, v[238:239], 1.0
	v_mul_f64 v[216:217], v[162:163], v[160:161]
	v_fma_f64 v[158:159], -v[158:159], v[216:217], v[162:163]
	s_nop 1
	v_div_fmas_f64 v[158:159], v[158:159], v[160:161], v[216:217]
	v_div_fixup_f64 v[238:239], v[158:159], v[238:239], 1.0
	v_mul_f64 v[236:237], v[156:157], v[238:239]
	v_xor_b32_e32 v239, 0x80000000, v239
.LBB116_259:
	s_andn2_saveexec_b64 s[16:17], s[16:17]
	s_cbranch_execz .LBB116_261
; %bb.260:
	v_div_scale_f64 v[156:157], s[18:19], v[236:237], v[236:237], v[238:239]
	v_rcp_f64_e32 v[158:159], v[156:157]
	v_div_scale_f64 v[160:161], vcc, v[238:239], v[236:237], v[238:239]
	v_fma_f64 v[162:163], -v[156:157], v[158:159], 1.0
	v_fmac_f64_e32 v[158:159], v[158:159], v[162:163]
	v_fma_f64 v[162:163], -v[156:157], v[158:159], 1.0
	v_fmac_f64_e32 v[158:159], v[158:159], v[162:163]
	v_mul_f64 v[162:163], v[160:161], v[158:159]
	v_fma_f64 v[156:157], -v[156:157], v[162:163], v[160:161]
	v_div_fmas_f64 v[156:157], v[156:157], v[158:159], v[162:163]
	v_div_fixup_f64 v[156:157], v[156:157], v[236:237], v[238:239]
	v_fmac_f64_e32 v[236:237], v[238:239], v[156:157]
	v_div_scale_f64 v[158:159], s[18:19], v[236:237], v[236:237], 1.0
	v_rcp_f64_e32 v[160:161], v[158:159]
	s_nop 0
	v_fma_f64 v[162:163], -v[158:159], v[160:161], 1.0
	v_fmac_f64_e32 v[160:161], v[160:161], v[162:163]
	v_fma_f64 v[162:163], -v[158:159], v[160:161], 1.0
	v_fmac_f64_e32 v[160:161], v[160:161], v[162:163]
	v_div_scale_f64 v[162:163], vcc, 1.0, v[236:237], 1.0
	v_mul_f64 v[216:217], v[162:163], v[160:161]
	v_fma_f64 v[158:159], -v[158:159], v[216:217], v[162:163]
	s_nop 1
	v_div_fmas_f64 v[158:159], v[158:159], v[160:161], v[216:217]
	v_div_fixup_f64 v[236:237], v[158:159], v[236:237], 1.0
	v_mul_f64 v[238:239], v[156:157], -v[236:237]
.LBB116_261:
	s_or_b64 exec, exec, s[16:17]
.LBB116_262:
	s_or_b64 exec, exec, s[0:1]
	v_cmp_ne_u32_e32 vcc, v249, v246
	s_and_saveexec_b64 s[0:1], vcc
	s_xor_b64 s[0:1], exec, s[0:1]
	s_cbranch_execz .LBB116_268
; %bb.263:
	v_cmp_eq_u32_e32 vcc, 12, v249
	s_and_saveexec_b64 s[16:17], vcc
	s_cbranch_execz .LBB116_267
; %bb.264:
	v_cmp_ne_u32_e32 vcc, 12, v246
	s_xor_b64 s[18:19], s[14:15], -1
	s_and_b64 s[22:23], s[18:19], vcc
	s_and_saveexec_b64 s[18:19], s[22:23]
	s_cbranch_execz .LBB116_266
; %bb.265:
	scratch_load_dwordx2 v[8:9], off, off offset:16 ; 8-byte Folded Reload
	v_ashrrev_i32_e32 v247, 31, v246
	s_waitcnt vmcnt(0)
	v_lshl_add_u64 v[156:157], v[246:247], 2, v[8:9]
	global_load_dword v158, v[156:157], off
	global_load_dword v159, v[8:9], off offset:48
	s_waitcnt vmcnt(1)
	global_store_dword v[8:9], v158, off offset:48
	s_waitcnt vmcnt(1)
	global_store_dword v[156:157], v159, off
.LBB116_266:
	s_or_b64 exec, exec, s[18:19]
	v_mov_b32_e32 v249, v246
	v_mov_b32_e32 v218, v246
.LBB116_267:
	s_or_b64 exec, exec, s[16:17]
.LBB116_268:
	s_andn2_saveexec_b64 s[0:1], s[0:1]
	s_cbranch_execz .LBB116_270
; %bb.269:
	v_mov_b32_e32 v249, 12
	ds_write2_b64 v248, v[184:185], v[186:187] offset0:26 offset1:27
	ds_write2_b64 v248, v[180:181], v[182:183] offset0:28 offset1:29
	;; [unrolled: 1-line block ×46, first 2 shown]
.LBB116_270:
	s_or_b64 exec, exec, s[0:1]
	v_cmp_lt_i32_e32 vcc, 12, v249
	s_waitcnt lgkmcnt(0)
	s_barrier
	s_and_saveexec_b64 s[0:1], vcc
	s_cbranch_execz .LBB116_272
; %bb.271:
	v_mul_f64 v[156:157], v[238:239], v[190:191]
	v_mul_f64 v[190:191], v[236:237], v[190:191]
	v_fma_f64 v[246:247], v[236:237], v[188:189], -v[156:157]
	v_fmac_f64_e32 v[190:191], v[238:239], v[188:189]
	ds_read2_b64 v[236:239], v248 offset0:26 offset1:27
	v_mov_b64_e32 v[188:189], v[246:247]
	s_waitcnt lgkmcnt(0)
	v_mul_f64 v[156:157], v[238:239], v[190:191]
	v_mul_f64 v[158:159], v[236:237], v[190:191]
	v_fma_f64 v[156:157], v[236:237], v[246:247], -v[156:157]
	v_fmac_f64_e32 v[158:159], v[238:239], v[246:247]
	ds_read2_b64 v[236:239], v248 offset0:28 offset1:29
	v_add_f64 v[184:185], v[184:185], -v[156:157]
	v_add_f64 v[186:187], v[186:187], -v[158:159]
	s_waitcnt lgkmcnt(0)
	v_mul_f64 v[156:157], v[238:239], v[190:191]
	v_mul_f64 v[158:159], v[236:237], v[190:191]
	v_fma_f64 v[156:157], v[236:237], v[246:247], -v[156:157]
	v_fmac_f64_e32 v[158:159], v[238:239], v[246:247]
	ds_read2_b64 v[236:239], v248 offset0:30 offset1:31
	v_add_f64 v[180:181], v[180:181], -v[156:157]
	v_add_f64 v[182:183], v[182:183], -v[158:159]
	;; [unrolled: 8-line block ×45, first 2 shown]
	s_waitcnt lgkmcnt(0)
	v_mul_f64 v[156:157], v[238:239], v[190:191]
	v_mul_f64 v[158:159], v[236:237], v[190:191]
	v_fma_f64 v[156:157], v[236:237], v[246:247], -v[156:157]
	v_fmac_f64_e32 v[158:159], v[238:239], v[246:247]
	v_add_f64 v[232:233], v[232:233], -v[156:157]
	v_add_f64 v[234:235], v[234:235], -v[158:159]
.LBB116_272:
	s_or_b64 exec, exec, s[0:1]
	v_lshl_add_u32 v156, v249, 4, v248
	s_barrier
	ds_write2_b64 v156, v[184:185], v[186:187] offset1:1
	s_waitcnt lgkmcnt(0)
	s_barrier
	ds_read2_b64 v[236:239], v248 offset0:26 offset1:27
	s_cmp_lt_i32 s20, 15
	v_mov_b32_e32 v246, 13
	s_cbranch_scc1 .LBB116_275
; %bb.273:
	v_add_u32_e32 v247, 0xe0, v248
	s_mov_b32 s0, 14
	v_mov_b32_e32 v246, 13
.LBB116_274:                            ; =>This Inner Loop Header: Depth=1
	ds_read2_b64 v[242:245], v247 offset1:1
	s_waitcnt lgkmcnt(1)
	v_cmp_gt_f64_e32 vcc, 0, v[236:237]
	v_xor_b32_e32 v156, 0x80000000, v237
	v_xor_b32_e32 v158, 0x80000000, v239
	v_cndmask_b32_e32 v157, v237, v156, vcc
	v_cmp_gt_f64_e32 vcc, 0, v[238:239]
	v_mov_b32_e32 v156, v236
	s_waitcnt lgkmcnt(0)
	v_xor_b32_e32 v160, 0x80000000, v245
	v_cndmask_b32_e32 v159, v239, v158, vcc
	v_mov_b32_e32 v158, v238
	v_add_f64 v[156:157], v[156:157], v[158:159]
	v_cmp_gt_f64_e32 vcc, 0, v[242:243]
	v_xor_b32_e32 v158, 0x80000000, v243
	v_add_u32_e32 v247, 16, v247
	v_cndmask_b32_e32 v159, v243, v158, vcc
	v_cmp_gt_f64_e32 vcc, 0, v[244:245]
	v_mov_b32_e32 v158, v242
	s_nop 0
	v_cndmask_b32_e32 v161, v245, v160, vcc
	v_mov_b32_e32 v160, v244
	v_add_f64 v[158:159], v[158:159], v[160:161]
	v_cmp_lt_f64_e32 vcc, v[156:157], v[158:159]
	v_mov_b32_e32 v156, s0
	s_add_i32 s0, s0, 1
	v_cndmask_b32_e32 v237, v237, v243, vcc
	v_cndmask_b32_e32 v236, v236, v242, vcc
	;; [unrolled: 1-line block ×5, first 2 shown]
	s_cmp_lg_u32 s20, s0
	s_cbranch_scc1 .LBB116_274
.LBB116_275:
	s_waitcnt lgkmcnt(0)
	v_cmp_eq_f64_e32 vcc, 0, v[236:237]
	v_cmp_eq_f64_e64 s[0:1], 0, v[238:239]
	s_and_b64 s[0:1], vcc, s[0:1]
	s_and_saveexec_b64 s[16:17], s[0:1]
	s_xor_b64 s[0:1], exec, s[16:17]
; %bb.276:
	v_cmp_ne_u32_e32 vcc, 0, v250
	s_nop 1
	v_cndmask_b32_e32 v250, 14, v250, vcc
; %bb.277:
	s_andn2_saveexec_b64 s[0:1], s[0:1]
	s_cbranch_execz .LBB116_283
; %bb.278:
	v_cmp_ngt_f64_e64 s[16:17], |v[236:237]|, |v[238:239]|
	s_and_saveexec_b64 s[18:19], s[16:17]
	s_xor_b64 s[16:17], exec, s[18:19]
	s_cbranch_execz .LBB116_280
; %bb.279:
	v_div_scale_f64 v[156:157], s[18:19], v[238:239], v[238:239], v[236:237]
	v_rcp_f64_e32 v[158:159], v[156:157]
	v_div_scale_f64 v[160:161], vcc, v[236:237], v[238:239], v[236:237]
	v_fma_f64 v[162:163], -v[156:157], v[158:159], 1.0
	v_fmac_f64_e32 v[158:159], v[158:159], v[162:163]
	v_fma_f64 v[162:163], -v[156:157], v[158:159], 1.0
	v_fmac_f64_e32 v[158:159], v[158:159], v[162:163]
	v_mul_f64 v[162:163], v[160:161], v[158:159]
	v_fma_f64 v[156:157], -v[156:157], v[162:163], v[160:161]
	v_div_fmas_f64 v[156:157], v[156:157], v[158:159], v[162:163]
	v_div_fixup_f64 v[156:157], v[156:157], v[238:239], v[236:237]
	v_fmac_f64_e32 v[238:239], v[236:237], v[156:157]
	v_div_scale_f64 v[158:159], s[18:19], v[238:239], v[238:239], 1.0
	v_rcp_f64_e32 v[160:161], v[158:159]
	s_nop 0
	v_fma_f64 v[162:163], -v[158:159], v[160:161], 1.0
	v_fmac_f64_e32 v[160:161], v[160:161], v[162:163]
	v_fma_f64 v[162:163], -v[158:159], v[160:161], 1.0
	v_fmac_f64_e32 v[160:161], v[160:161], v[162:163]
	v_div_scale_f64 v[162:163], vcc, 1.0, v[238:239], 1.0
	v_mul_f64 v[216:217], v[162:163], v[160:161]
	v_fma_f64 v[158:159], -v[158:159], v[216:217], v[162:163]
	s_nop 1
	v_div_fmas_f64 v[158:159], v[158:159], v[160:161], v[216:217]
	v_div_fixup_f64 v[238:239], v[158:159], v[238:239], 1.0
	v_mul_f64 v[236:237], v[156:157], v[238:239]
	v_xor_b32_e32 v239, 0x80000000, v239
.LBB116_280:
	s_andn2_saveexec_b64 s[16:17], s[16:17]
	s_cbranch_execz .LBB116_282
; %bb.281:
	v_div_scale_f64 v[156:157], s[18:19], v[236:237], v[236:237], v[238:239]
	v_rcp_f64_e32 v[158:159], v[156:157]
	v_div_scale_f64 v[160:161], vcc, v[238:239], v[236:237], v[238:239]
	v_fma_f64 v[162:163], -v[156:157], v[158:159], 1.0
	v_fmac_f64_e32 v[158:159], v[158:159], v[162:163]
	v_fma_f64 v[162:163], -v[156:157], v[158:159], 1.0
	v_fmac_f64_e32 v[158:159], v[158:159], v[162:163]
	v_mul_f64 v[162:163], v[160:161], v[158:159]
	v_fma_f64 v[156:157], -v[156:157], v[162:163], v[160:161]
	v_div_fmas_f64 v[156:157], v[156:157], v[158:159], v[162:163]
	v_div_fixup_f64 v[156:157], v[156:157], v[236:237], v[238:239]
	v_fmac_f64_e32 v[236:237], v[238:239], v[156:157]
	v_div_scale_f64 v[158:159], s[18:19], v[236:237], v[236:237], 1.0
	v_rcp_f64_e32 v[160:161], v[158:159]
	s_nop 0
	v_fma_f64 v[162:163], -v[158:159], v[160:161], 1.0
	v_fmac_f64_e32 v[160:161], v[160:161], v[162:163]
	v_fma_f64 v[162:163], -v[158:159], v[160:161], 1.0
	v_fmac_f64_e32 v[160:161], v[160:161], v[162:163]
	v_div_scale_f64 v[162:163], vcc, 1.0, v[236:237], 1.0
	v_mul_f64 v[216:217], v[162:163], v[160:161]
	v_fma_f64 v[158:159], -v[158:159], v[216:217], v[162:163]
	s_nop 1
	v_div_fmas_f64 v[158:159], v[158:159], v[160:161], v[216:217]
	v_div_fixup_f64 v[236:237], v[158:159], v[236:237], 1.0
	v_mul_f64 v[238:239], v[156:157], -v[236:237]
.LBB116_282:
	s_or_b64 exec, exec, s[16:17]
.LBB116_283:
	s_or_b64 exec, exec, s[0:1]
	v_cmp_ne_u32_e32 vcc, v249, v246
	s_and_saveexec_b64 s[0:1], vcc
	s_xor_b64 s[0:1], exec, s[0:1]
	s_cbranch_execz .LBB116_289
; %bb.284:
	v_cmp_eq_u32_e32 vcc, 13, v249
	s_and_saveexec_b64 s[16:17], vcc
	s_cbranch_execz .LBB116_288
; %bb.285:
	v_cmp_ne_u32_e32 vcc, 13, v246
	s_xor_b64 s[18:19], s[14:15], -1
	s_and_b64 s[22:23], s[18:19], vcc
	s_and_saveexec_b64 s[18:19], s[22:23]
	s_cbranch_execz .LBB116_287
; %bb.286:
	scratch_load_dwordx2 v[8:9], off, off offset:16 ; 8-byte Folded Reload
	v_ashrrev_i32_e32 v247, 31, v246
	s_waitcnt vmcnt(0)
	v_lshl_add_u64 v[156:157], v[246:247], 2, v[8:9]
	global_load_dword v158, v[156:157], off
	global_load_dword v159, v[8:9], off offset:52
	s_waitcnt vmcnt(1)
	global_store_dword v[8:9], v158, off offset:52
	s_waitcnt vmcnt(1)
	global_store_dword v[156:157], v159, off
.LBB116_287:
	s_or_b64 exec, exec, s[18:19]
	v_mov_b32_e32 v249, v246
	v_mov_b32_e32 v218, v246
.LBB116_288:
	s_or_b64 exec, exec, s[16:17]
.LBB116_289:
	s_andn2_saveexec_b64 s[0:1], s[0:1]
	s_cbranch_execz .LBB116_291
; %bb.290:
	v_mov_b32_e32 v249, 13
	ds_write2_b64 v248, v[180:181], v[182:183] offset0:28 offset1:29
	ds_write2_b64 v248, v[176:177], v[178:179] offset0:30 offset1:31
	;; [unrolled: 1-line block ×45, first 2 shown]
.LBB116_291:
	s_or_b64 exec, exec, s[0:1]
	v_cmp_lt_i32_e32 vcc, 13, v249
	s_waitcnt lgkmcnt(0)
	s_barrier
	s_and_saveexec_b64 s[0:1], vcc
	s_cbranch_execz .LBB116_293
; %bb.292:
	v_mul_f64 v[156:157], v[238:239], v[186:187]
	v_mul_f64 v[186:187], v[236:237], v[186:187]
	v_fma_f64 v[246:247], v[236:237], v[184:185], -v[156:157]
	v_fmac_f64_e32 v[186:187], v[238:239], v[184:185]
	ds_read2_b64 v[236:239], v248 offset0:28 offset1:29
	v_mov_b64_e32 v[184:185], v[246:247]
	s_waitcnt lgkmcnt(0)
	v_mul_f64 v[156:157], v[238:239], v[186:187]
	v_mul_f64 v[158:159], v[236:237], v[186:187]
	v_fma_f64 v[156:157], v[236:237], v[246:247], -v[156:157]
	v_fmac_f64_e32 v[158:159], v[238:239], v[246:247]
	ds_read2_b64 v[236:239], v248 offset0:30 offset1:31
	v_add_f64 v[180:181], v[180:181], -v[156:157]
	v_add_f64 v[182:183], v[182:183], -v[158:159]
	s_waitcnt lgkmcnt(0)
	v_mul_f64 v[156:157], v[238:239], v[186:187]
	v_mul_f64 v[158:159], v[236:237], v[186:187]
	v_fma_f64 v[156:157], v[236:237], v[246:247], -v[156:157]
	v_fmac_f64_e32 v[158:159], v[238:239], v[246:247]
	ds_read2_b64 v[236:239], v248 offset0:32 offset1:33
	v_add_f64 v[176:177], v[176:177], -v[156:157]
	v_add_f64 v[178:179], v[178:179], -v[158:159]
	s_waitcnt lgkmcnt(0)
	v_mul_f64 v[156:157], v[238:239], v[186:187]
	v_mul_f64 v[158:159], v[236:237], v[186:187]
	v_fma_f64 v[156:157], v[236:237], v[246:247], -v[156:157]
	v_fmac_f64_e32 v[158:159], v[238:239], v[246:247]
	ds_read2_b64 v[236:239], v248 offset0:34 offset1:35
	v_add_f64 v[172:173], v[172:173], -v[156:157]
	v_add_f64 v[174:175], v[174:175], -v[158:159]
	s_waitcnt lgkmcnt(0)
	v_mul_f64 v[156:157], v[238:239], v[186:187]
	v_mul_f64 v[158:159], v[236:237], v[186:187]
	v_fma_f64 v[156:157], v[236:237], v[246:247], -v[156:157]
	v_fmac_f64_e32 v[158:159], v[238:239], v[246:247]
	ds_read2_b64 v[236:239], v248 offset0:36 offset1:37
	v_add_f64 v[168:169], v[168:169], -v[156:157]
	v_add_f64 v[170:171], v[170:171], -v[158:159]
	s_waitcnt lgkmcnt(0)
	v_mul_f64 v[156:157], v[238:239], v[186:187]
	v_mul_f64 v[158:159], v[236:237], v[186:187]
	v_fma_f64 v[156:157], v[236:237], v[246:247], -v[156:157]
	v_fmac_f64_e32 v[158:159], v[238:239], v[246:247]
	ds_read2_b64 v[236:239], v248 offset0:38 offset1:39
	v_add_f64 v[164:165], v[164:165], -v[156:157]
	v_add_f64 v[166:167], v[166:167], -v[158:159]
	s_waitcnt lgkmcnt(0)
	v_mul_f64 v[156:157], v[238:239], v[186:187]
	v_mul_f64 v[158:159], v[236:237], v[186:187]
	v_fma_f64 v[156:157], v[236:237], v[246:247], -v[156:157]
	v_fmac_f64_e32 v[158:159], v[238:239], v[246:247]
	ds_read2_b64 v[236:239], v248 offset0:40 offset1:41
	v_add_f64 v[208:209], v[208:209], -v[156:157]
	v_add_f64 v[210:211], v[210:211], -v[158:159]
	s_waitcnt lgkmcnt(0)
	v_mul_f64 v[156:157], v[238:239], v[186:187]
	v_mul_f64 v[158:159], v[236:237], v[186:187]
	v_fma_f64 v[156:157], v[236:237], v[246:247], -v[156:157]
	v_fmac_f64_e32 v[158:159], v[238:239], v[246:247]
	ds_read2_b64 v[236:239], v248 offset0:42 offset1:43
	v_add_f64 v[148:149], v[148:149], -v[156:157]
	v_add_f64 v[150:151], v[150:151], -v[158:159]
	s_waitcnt lgkmcnt(0)
	v_mul_f64 v[156:157], v[238:239], v[186:187]
	v_mul_f64 v[158:159], v[236:237], v[186:187]
	v_fma_f64 v[156:157], v[236:237], v[246:247], -v[156:157]
	v_fmac_f64_e32 v[158:159], v[238:239], v[246:247]
	ds_read2_b64 v[236:239], v248 offset0:44 offset1:45
	v_add_f64 v[144:145], v[144:145], -v[156:157]
	v_add_f64 v[146:147], v[146:147], -v[158:159]
	s_waitcnt lgkmcnt(0)
	v_mul_f64 v[156:157], v[238:239], v[186:187]
	v_mul_f64 v[158:159], v[236:237], v[186:187]
	v_fma_f64 v[156:157], v[236:237], v[246:247], -v[156:157]
	v_fmac_f64_e32 v[158:159], v[238:239], v[246:247]
	ds_read2_b64 v[236:239], v248 offset0:46 offset1:47
	v_add_f64 v[140:141], v[140:141], -v[156:157]
	v_add_f64 v[142:143], v[142:143], -v[158:159]
	s_waitcnt lgkmcnt(0)
	v_mul_f64 v[156:157], v[238:239], v[186:187]
	v_mul_f64 v[158:159], v[236:237], v[186:187]
	v_fma_f64 v[156:157], v[236:237], v[246:247], -v[156:157]
	v_fmac_f64_e32 v[158:159], v[238:239], v[246:247]
	ds_read2_b64 v[236:239], v248 offset0:48 offset1:49
	v_add_f64 v[136:137], v[136:137], -v[156:157]
	v_add_f64 v[138:139], v[138:139], -v[158:159]
	s_waitcnt lgkmcnt(0)
	v_mul_f64 v[156:157], v[238:239], v[186:187]
	v_mul_f64 v[158:159], v[236:237], v[186:187]
	v_fma_f64 v[156:157], v[236:237], v[246:247], -v[156:157]
	v_fmac_f64_e32 v[158:159], v[238:239], v[246:247]
	ds_read2_b64 v[236:239], v248 offset0:50 offset1:51
	v_add_f64 v[132:133], v[132:133], -v[156:157]
	v_add_f64 v[134:135], v[134:135], -v[158:159]
	s_waitcnt lgkmcnt(0)
	v_mul_f64 v[156:157], v[238:239], v[186:187]
	v_mul_f64 v[158:159], v[236:237], v[186:187]
	v_fma_f64 v[156:157], v[236:237], v[246:247], -v[156:157]
	v_fmac_f64_e32 v[158:159], v[238:239], v[246:247]
	ds_read2_b64 v[236:239], v248 offset0:52 offset1:53
	v_add_f64 v[128:129], v[128:129], -v[156:157]
	v_add_f64 v[130:131], v[130:131], -v[158:159]
	s_waitcnt lgkmcnt(0)
	v_mul_f64 v[156:157], v[238:239], v[186:187]
	v_mul_f64 v[158:159], v[236:237], v[186:187]
	v_fma_f64 v[156:157], v[236:237], v[246:247], -v[156:157]
	v_fmac_f64_e32 v[158:159], v[238:239], v[246:247]
	ds_read2_b64 v[236:239], v248 offset0:54 offset1:55
	v_add_f64 v[124:125], v[124:125], -v[156:157]
	v_add_f64 v[126:127], v[126:127], -v[158:159]
	s_waitcnt lgkmcnt(0)
	v_mul_f64 v[156:157], v[238:239], v[186:187]
	v_mul_f64 v[158:159], v[236:237], v[186:187]
	v_fma_f64 v[156:157], v[236:237], v[246:247], -v[156:157]
	v_fmac_f64_e32 v[158:159], v[238:239], v[246:247]
	ds_read2_b64 v[236:239], v248 offset0:56 offset1:57
	v_add_f64 v[120:121], v[120:121], -v[156:157]
	v_add_f64 v[122:123], v[122:123], -v[158:159]
	s_waitcnt lgkmcnt(0)
	v_mul_f64 v[156:157], v[238:239], v[186:187]
	v_mul_f64 v[158:159], v[236:237], v[186:187]
	v_fma_f64 v[156:157], v[236:237], v[246:247], -v[156:157]
	v_fmac_f64_e32 v[158:159], v[238:239], v[246:247]
	ds_read2_b64 v[236:239], v248 offset0:58 offset1:59
	v_add_f64 v[116:117], v[116:117], -v[156:157]
	v_add_f64 v[118:119], v[118:119], -v[158:159]
	s_waitcnt lgkmcnt(0)
	v_mul_f64 v[156:157], v[238:239], v[186:187]
	v_mul_f64 v[158:159], v[236:237], v[186:187]
	v_fma_f64 v[156:157], v[236:237], v[246:247], -v[156:157]
	v_fmac_f64_e32 v[158:159], v[238:239], v[246:247]
	ds_read2_b64 v[236:239], v248 offset0:60 offset1:61
	v_add_f64 v[112:113], v[112:113], -v[156:157]
	v_add_f64 v[114:115], v[114:115], -v[158:159]
	s_waitcnt lgkmcnt(0)
	v_mul_f64 v[156:157], v[238:239], v[186:187]
	v_mul_f64 v[158:159], v[236:237], v[186:187]
	v_fma_f64 v[156:157], v[236:237], v[246:247], -v[156:157]
	v_fmac_f64_e32 v[158:159], v[238:239], v[246:247]
	ds_read2_b64 v[236:239], v248 offset0:62 offset1:63
	v_add_f64 v[108:109], v[108:109], -v[156:157]
	v_add_f64 v[110:111], v[110:111], -v[158:159]
	s_waitcnt lgkmcnt(0)
	v_mul_f64 v[156:157], v[238:239], v[186:187]
	v_mul_f64 v[158:159], v[236:237], v[186:187]
	v_fma_f64 v[156:157], v[236:237], v[246:247], -v[156:157]
	v_fmac_f64_e32 v[158:159], v[238:239], v[246:247]
	ds_read2_b64 v[236:239], v248 offset0:64 offset1:65
	v_add_f64 v[104:105], v[104:105], -v[156:157]
	v_add_f64 v[106:107], v[106:107], -v[158:159]
	s_waitcnt lgkmcnt(0)
	v_mul_f64 v[156:157], v[238:239], v[186:187]
	v_mul_f64 v[158:159], v[236:237], v[186:187]
	v_fma_f64 v[156:157], v[236:237], v[246:247], -v[156:157]
	v_fmac_f64_e32 v[158:159], v[238:239], v[246:247]
	ds_read2_b64 v[236:239], v248 offset0:66 offset1:67
	v_add_f64 v[100:101], v[100:101], -v[156:157]
	v_add_f64 v[102:103], v[102:103], -v[158:159]
	s_waitcnt lgkmcnt(0)
	v_mul_f64 v[156:157], v[238:239], v[186:187]
	v_mul_f64 v[158:159], v[236:237], v[186:187]
	v_fma_f64 v[156:157], v[236:237], v[246:247], -v[156:157]
	v_fmac_f64_e32 v[158:159], v[238:239], v[246:247]
	ds_read2_b64 v[236:239], v248 offset0:68 offset1:69
	v_add_f64 v[96:97], v[96:97], -v[156:157]
	v_add_f64 v[98:99], v[98:99], -v[158:159]
	s_waitcnt lgkmcnt(0)
	v_mul_f64 v[156:157], v[238:239], v[186:187]
	v_mul_f64 v[158:159], v[236:237], v[186:187]
	v_fma_f64 v[156:157], v[236:237], v[246:247], -v[156:157]
	v_fmac_f64_e32 v[158:159], v[238:239], v[246:247]
	ds_read2_b64 v[236:239], v248 offset0:70 offset1:71
	v_add_f64 v[92:93], v[92:93], -v[156:157]
	v_add_f64 v[94:95], v[94:95], -v[158:159]
	s_waitcnt lgkmcnt(0)
	v_mul_f64 v[156:157], v[238:239], v[186:187]
	v_mul_f64 v[158:159], v[236:237], v[186:187]
	v_fma_f64 v[156:157], v[236:237], v[246:247], -v[156:157]
	v_fmac_f64_e32 v[158:159], v[238:239], v[246:247]
	ds_read2_b64 v[236:239], v248 offset0:72 offset1:73
	v_add_f64 v[88:89], v[88:89], -v[156:157]
	v_add_f64 v[90:91], v[90:91], -v[158:159]
	s_waitcnt lgkmcnt(0)
	v_mul_f64 v[156:157], v[238:239], v[186:187]
	v_mul_f64 v[158:159], v[236:237], v[186:187]
	v_fma_f64 v[156:157], v[236:237], v[246:247], -v[156:157]
	v_fmac_f64_e32 v[158:159], v[238:239], v[246:247]
	ds_read2_b64 v[236:239], v248 offset0:74 offset1:75
	v_add_f64 v[84:85], v[84:85], -v[156:157]
	v_add_f64 v[86:87], v[86:87], -v[158:159]
	s_waitcnt lgkmcnt(0)
	v_mul_f64 v[156:157], v[238:239], v[186:187]
	v_mul_f64 v[158:159], v[236:237], v[186:187]
	v_fma_f64 v[156:157], v[236:237], v[246:247], -v[156:157]
	v_fmac_f64_e32 v[158:159], v[238:239], v[246:247]
	ds_read2_b64 v[236:239], v248 offset0:76 offset1:77
	v_add_f64 v[80:81], v[80:81], -v[156:157]
	v_add_f64 v[82:83], v[82:83], -v[158:159]
	s_waitcnt lgkmcnt(0)
	v_mul_f64 v[156:157], v[238:239], v[186:187]
	v_mul_f64 v[158:159], v[236:237], v[186:187]
	v_fma_f64 v[156:157], v[236:237], v[246:247], -v[156:157]
	v_fmac_f64_e32 v[158:159], v[238:239], v[246:247]
	ds_read2_b64 v[236:239], v248 offset0:78 offset1:79
	v_add_f64 v[76:77], v[76:77], -v[156:157]
	v_add_f64 v[78:79], v[78:79], -v[158:159]
	s_waitcnt lgkmcnt(0)
	v_mul_f64 v[156:157], v[238:239], v[186:187]
	v_mul_f64 v[158:159], v[236:237], v[186:187]
	v_fma_f64 v[156:157], v[236:237], v[246:247], -v[156:157]
	v_fmac_f64_e32 v[158:159], v[238:239], v[246:247]
	ds_read2_b64 v[236:239], v248 offset0:80 offset1:81
	v_add_f64 v[72:73], v[72:73], -v[156:157]
	v_add_f64 v[74:75], v[74:75], -v[158:159]
	s_waitcnt lgkmcnt(0)
	v_mul_f64 v[156:157], v[238:239], v[186:187]
	v_mul_f64 v[158:159], v[236:237], v[186:187]
	v_fma_f64 v[156:157], v[236:237], v[246:247], -v[156:157]
	v_fmac_f64_e32 v[158:159], v[238:239], v[246:247]
	ds_read2_b64 v[236:239], v248 offset0:82 offset1:83
	v_add_f64 v[68:69], v[68:69], -v[156:157]
	v_add_f64 v[70:71], v[70:71], -v[158:159]
	s_waitcnt lgkmcnt(0)
	v_mul_f64 v[156:157], v[238:239], v[186:187]
	v_mul_f64 v[158:159], v[236:237], v[186:187]
	v_fma_f64 v[156:157], v[236:237], v[246:247], -v[156:157]
	v_fmac_f64_e32 v[158:159], v[238:239], v[246:247]
	ds_read2_b64 v[236:239], v248 offset0:84 offset1:85
	v_add_f64 v[64:65], v[64:65], -v[156:157]
	v_add_f64 v[66:67], v[66:67], -v[158:159]
	s_waitcnt lgkmcnt(0)
	v_mul_f64 v[156:157], v[238:239], v[186:187]
	v_mul_f64 v[158:159], v[236:237], v[186:187]
	v_fma_f64 v[156:157], v[236:237], v[246:247], -v[156:157]
	v_fmac_f64_e32 v[158:159], v[238:239], v[246:247]
	ds_read2_b64 v[236:239], v248 offset0:86 offset1:87
	v_add_f64 v[60:61], v[60:61], -v[156:157]
	v_add_f64 v[62:63], v[62:63], -v[158:159]
	s_waitcnt lgkmcnt(0)
	v_mul_f64 v[156:157], v[238:239], v[186:187]
	v_mul_f64 v[158:159], v[236:237], v[186:187]
	v_fma_f64 v[156:157], v[236:237], v[246:247], -v[156:157]
	v_fmac_f64_e32 v[158:159], v[238:239], v[246:247]
	ds_read2_b64 v[236:239], v248 offset0:88 offset1:89
	v_add_f64 v[56:57], v[56:57], -v[156:157]
	v_add_f64 v[58:59], v[58:59], -v[158:159]
	s_waitcnt lgkmcnt(0)
	v_mul_f64 v[156:157], v[238:239], v[186:187]
	v_mul_f64 v[158:159], v[236:237], v[186:187]
	v_fma_f64 v[156:157], v[236:237], v[246:247], -v[156:157]
	v_fmac_f64_e32 v[158:159], v[238:239], v[246:247]
	ds_read2_b64 v[236:239], v248 offset0:90 offset1:91
	v_add_f64 v[52:53], v[52:53], -v[156:157]
	v_add_f64 v[54:55], v[54:55], -v[158:159]
	s_waitcnt lgkmcnt(0)
	v_mul_f64 v[156:157], v[238:239], v[186:187]
	v_mul_f64 v[158:159], v[236:237], v[186:187]
	v_fma_f64 v[156:157], v[236:237], v[246:247], -v[156:157]
	v_fmac_f64_e32 v[158:159], v[238:239], v[246:247]
	ds_read2_b64 v[236:239], v248 offset0:92 offset1:93
	v_add_f64 v[48:49], v[48:49], -v[156:157]
	v_add_f64 v[50:51], v[50:51], -v[158:159]
	s_waitcnt lgkmcnt(0)
	v_mul_f64 v[156:157], v[238:239], v[186:187]
	v_mul_f64 v[158:159], v[236:237], v[186:187]
	v_fma_f64 v[156:157], v[236:237], v[246:247], -v[156:157]
	v_fmac_f64_e32 v[158:159], v[238:239], v[246:247]
	ds_read2_b64 v[236:239], v248 offset0:94 offset1:95
	v_add_f64 v[44:45], v[44:45], -v[156:157]
	v_add_f64 v[46:47], v[46:47], -v[158:159]
	s_waitcnt lgkmcnt(0)
	v_mul_f64 v[156:157], v[238:239], v[186:187]
	v_mul_f64 v[158:159], v[236:237], v[186:187]
	v_fma_f64 v[156:157], v[236:237], v[246:247], -v[156:157]
	v_fmac_f64_e32 v[158:159], v[238:239], v[246:247]
	ds_read2_b64 v[236:239], v248 offset0:96 offset1:97
	v_add_f64 v[40:41], v[40:41], -v[156:157]
	v_add_f64 v[42:43], v[42:43], -v[158:159]
	s_waitcnt lgkmcnt(0)
	v_mul_f64 v[156:157], v[238:239], v[186:187]
	v_mul_f64 v[158:159], v[236:237], v[186:187]
	v_fma_f64 v[156:157], v[236:237], v[246:247], -v[156:157]
	v_fmac_f64_e32 v[158:159], v[238:239], v[246:247]
	ds_read2_b64 v[236:239], v248 offset0:98 offset1:99
	v_add_f64 v[36:37], v[36:37], -v[156:157]
	v_add_f64 v[38:39], v[38:39], -v[158:159]
	s_waitcnt lgkmcnt(0)
	v_mul_f64 v[156:157], v[238:239], v[186:187]
	v_mul_f64 v[158:159], v[236:237], v[186:187]
	v_fma_f64 v[156:157], v[236:237], v[246:247], -v[156:157]
	v_fmac_f64_e32 v[158:159], v[238:239], v[246:247]
	ds_read2_b64 v[236:239], v248 offset0:100 offset1:101
	v_add_f64 v[32:33], v[32:33], -v[156:157]
	v_add_f64 v[34:35], v[34:35], -v[158:159]
	s_waitcnt lgkmcnt(0)
	v_mul_f64 v[156:157], v[238:239], v[186:187]
	v_mul_f64 v[158:159], v[236:237], v[186:187]
	v_fma_f64 v[156:157], v[236:237], v[246:247], -v[156:157]
	v_fmac_f64_e32 v[158:159], v[238:239], v[246:247]
	ds_read2_b64 v[236:239], v248 offset0:102 offset1:103
	v_add_f64 v[28:29], v[28:29], -v[156:157]
	v_add_f64 v[30:31], v[30:31], -v[158:159]
	s_waitcnt lgkmcnt(0)
	v_mul_f64 v[156:157], v[238:239], v[186:187]
	v_mul_f64 v[158:159], v[236:237], v[186:187]
	v_fma_f64 v[156:157], v[236:237], v[246:247], -v[156:157]
	v_fmac_f64_e32 v[158:159], v[238:239], v[246:247]
	ds_read2_b64 v[236:239], v248 offset0:104 offset1:105
	v_add_f64 v[24:25], v[24:25], -v[156:157]
	v_add_f64 v[26:27], v[26:27], -v[158:159]
	s_waitcnt lgkmcnt(0)
	v_mul_f64 v[156:157], v[238:239], v[186:187]
	v_mul_f64 v[158:159], v[236:237], v[186:187]
	v_fma_f64 v[156:157], v[236:237], v[246:247], -v[156:157]
	v_fmac_f64_e32 v[158:159], v[238:239], v[246:247]
	ds_read2_b64 v[236:239], v248 offset0:106 offset1:107
	v_add_f64 v[20:21], v[20:21], -v[156:157]
	v_add_f64 v[22:23], v[22:23], -v[158:159]
	s_waitcnt lgkmcnt(0)
	v_mul_f64 v[156:157], v[238:239], v[186:187]
	v_mul_f64 v[158:159], v[236:237], v[186:187]
	v_fma_f64 v[156:157], v[236:237], v[246:247], -v[156:157]
	v_fmac_f64_e32 v[158:159], v[238:239], v[246:247]
	ds_read2_b64 v[236:239], v248 offset0:108 offset1:109
	v_add_f64 v[16:17], v[16:17], -v[156:157]
	v_add_f64 v[18:19], v[18:19], -v[158:159]
	s_waitcnt lgkmcnt(0)
	v_mul_f64 v[156:157], v[238:239], v[186:187]
	v_mul_f64 v[158:159], v[236:237], v[186:187]
	v_fma_f64 v[156:157], v[236:237], v[246:247], -v[156:157]
	v_fmac_f64_e32 v[158:159], v[238:239], v[246:247]
	ds_read2_b64 v[236:239], v248 offset0:110 offset1:111
	v_add_f64 v[12:13], v[12:13], -v[156:157]
	v_add_f64 v[14:15], v[14:15], -v[158:159]
	s_waitcnt lgkmcnt(0)
	v_mul_f64 v[156:157], v[238:239], v[186:187]
	v_mul_f64 v[158:159], v[236:237], v[186:187]
	v_fma_f64 v[156:157], v[236:237], v[246:247], -v[156:157]
	v_fmac_f64_e32 v[158:159], v[238:239], v[246:247]
	ds_read2_b64 v[236:239], v248 offset0:112 offset1:113
	v_add_f64 v[252:253], v[252:253], -v[156:157]
	v_add_f64 v[254:255], v[254:255], -v[158:159]
	s_waitcnt lgkmcnt(0)
	v_mul_f64 v[156:157], v[238:239], v[186:187]
	v_mul_f64 v[158:159], v[236:237], v[186:187]
	v_fma_f64 v[156:157], v[236:237], v[246:247], -v[156:157]
	v_fmac_f64_e32 v[158:159], v[238:239], v[246:247]
	ds_read2_b64 v[236:239], v248 offset0:114 offset1:115
	v_add_f64 v[224:225], v[224:225], -v[156:157]
	v_add_f64 v[226:227], v[226:227], -v[158:159]
	s_waitcnt lgkmcnt(0)
	v_mul_f64 v[156:157], v[238:239], v[186:187]
	v_mul_f64 v[158:159], v[236:237], v[186:187]
	v_fma_f64 v[156:157], v[236:237], v[246:247], -v[156:157]
	v_fmac_f64_e32 v[158:159], v[238:239], v[246:247]
	ds_read2_b64 v[236:239], v248 offset0:116 offset1:117
	v_add_f64 v[220:221], v[220:221], -v[156:157]
	v_add_f64 v[222:223], v[222:223], -v[158:159]
	s_waitcnt lgkmcnt(0)
	v_mul_f64 v[156:157], v[238:239], v[186:187]
	v_mul_f64 v[158:159], v[236:237], v[186:187]
	v_fma_f64 v[156:157], v[236:237], v[246:247], -v[156:157]
	v_fmac_f64_e32 v[158:159], v[238:239], v[246:247]
	v_add_f64 v[232:233], v[232:233], -v[156:157]
	v_add_f64 v[234:235], v[234:235], -v[158:159]
.LBB116_293:
	s_or_b64 exec, exec, s[0:1]
	v_lshl_add_u32 v156, v249, 4, v248
	s_barrier
	ds_write2_b64 v156, v[180:181], v[182:183] offset1:1
	s_waitcnt lgkmcnt(0)
	s_barrier
	ds_read2_b64 v[236:239], v248 offset0:28 offset1:29
	s_cmp_lt_i32 s20, 16
	v_mov_b32_e32 v246, 14
	s_cbranch_scc1 .LBB116_296
; %bb.294:
	v_add_u32_e32 v247, 0xf0, v248
	s_mov_b32 s0, 15
	v_mov_b32_e32 v246, 14
.LBB116_295:                            ; =>This Inner Loop Header: Depth=1
	ds_read2_b64 v[242:245], v247 offset1:1
	s_waitcnt lgkmcnt(1)
	v_cmp_gt_f64_e32 vcc, 0, v[236:237]
	v_xor_b32_e32 v156, 0x80000000, v237
	v_xor_b32_e32 v158, 0x80000000, v239
	v_cndmask_b32_e32 v157, v237, v156, vcc
	v_cmp_gt_f64_e32 vcc, 0, v[238:239]
	v_mov_b32_e32 v156, v236
	s_waitcnt lgkmcnt(0)
	v_xor_b32_e32 v160, 0x80000000, v245
	v_cndmask_b32_e32 v159, v239, v158, vcc
	v_mov_b32_e32 v158, v238
	v_add_f64 v[156:157], v[156:157], v[158:159]
	v_cmp_gt_f64_e32 vcc, 0, v[242:243]
	v_xor_b32_e32 v158, 0x80000000, v243
	v_add_u32_e32 v247, 16, v247
	v_cndmask_b32_e32 v159, v243, v158, vcc
	v_cmp_gt_f64_e32 vcc, 0, v[244:245]
	v_mov_b32_e32 v158, v242
	s_nop 0
	v_cndmask_b32_e32 v161, v245, v160, vcc
	v_mov_b32_e32 v160, v244
	v_add_f64 v[158:159], v[158:159], v[160:161]
	v_cmp_lt_f64_e32 vcc, v[156:157], v[158:159]
	v_mov_b32_e32 v156, s0
	s_add_i32 s0, s0, 1
	v_cndmask_b32_e32 v237, v237, v243, vcc
	v_cndmask_b32_e32 v236, v236, v242, vcc
	;; [unrolled: 1-line block ×5, first 2 shown]
	s_cmp_lg_u32 s20, s0
	s_cbranch_scc1 .LBB116_295
.LBB116_296:
	s_waitcnt lgkmcnt(0)
	v_cmp_eq_f64_e32 vcc, 0, v[236:237]
	v_cmp_eq_f64_e64 s[0:1], 0, v[238:239]
	s_and_b64 s[0:1], vcc, s[0:1]
	s_and_saveexec_b64 s[16:17], s[0:1]
	s_xor_b64 s[0:1], exec, s[16:17]
; %bb.297:
	v_cmp_ne_u32_e32 vcc, 0, v250
	s_nop 1
	v_cndmask_b32_e32 v250, 15, v250, vcc
; %bb.298:
	s_andn2_saveexec_b64 s[0:1], s[0:1]
	s_cbranch_execz .LBB116_304
; %bb.299:
	v_cmp_ngt_f64_e64 s[16:17], |v[236:237]|, |v[238:239]|
	s_and_saveexec_b64 s[18:19], s[16:17]
	s_xor_b64 s[16:17], exec, s[18:19]
	s_cbranch_execz .LBB116_301
; %bb.300:
	v_div_scale_f64 v[156:157], s[18:19], v[238:239], v[238:239], v[236:237]
	v_rcp_f64_e32 v[158:159], v[156:157]
	v_div_scale_f64 v[160:161], vcc, v[236:237], v[238:239], v[236:237]
	v_fma_f64 v[162:163], -v[156:157], v[158:159], 1.0
	v_fmac_f64_e32 v[158:159], v[158:159], v[162:163]
	v_fma_f64 v[162:163], -v[156:157], v[158:159], 1.0
	v_fmac_f64_e32 v[158:159], v[158:159], v[162:163]
	v_mul_f64 v[162:163], v[160:161], v[158:159]
	v_fma_f64 v[156:157], -v[156:157], v[162:163], v[160:161]
	v_div_fmas_f64 v[156:157], v[156:157], v[158:159], v[162:163]
	v_div_fixup_f64 v[156:157], v[156:157], v[238:239], v[236:237]
	v_fmac_f64_e32 v[238:239], v[236:237], v[156:157]
	v_div_scale_f64 v[158:159], s[18:19], v[238:239], v[238:239], 1.0
	v_rcp_f64_e32 v[160:161], v[158:159]
	s_nop 0
	v_fma_f64 v[162:163], -v[158:159], v[160:161], 1.0
	v_fmac_f64_e32 v[160:161], v[160:161], v[162:163]
	v_fma_f64 v[162:163], -v[158:159], v[160:161], 1.0
	v_fmac_f64_e32 v[160:161], v[160:161], v[162:163]
	v_div_scale_f64 v[162:163], vcc, 1.0, v[238:239], 1.0
	v_mul_f64 v[216:217], v[162:163], v[160:161]
	v_fma_f64 v[158:159], -v[158:159], v[216:217], v[162:163]
	s_nop 1
	v_div_fmas_f64 v[158:159], v[158:159], v[160:161], v[216:217]
	v_div_fixup_f64 v[238:239], v[158:159], v[238:239], 1.0
	v_mul_f64 v[236:237], v[156:157], v[238:239]
	v_xor_b32_e32 v239, 0x80000000, v239
.LBB116_301:
	s_andn2_saveexec_b64 s[16:17], s[16:17]
	s_cbranch_execz .LBB116_303
; %bb.302:
	v_div_scale_f64 v[156:157], s[18:19], v[236:237], v[236:237], v[238:239]
	v_rcp_f64_e32 v[158:159], v[156:157]
	v_div_scale_f64 v[160:161], vcc, v[238:239], v[236:237], v[238:239]
	v_fma_f64 v[162:163], -v[156:157], v[158:159], 1.0
	v_fmac_f64_e32 v[158:159], v[158:159], v[162:163]
	v_fma_f64 v[162:163], -v[156:157], v[158:159], 1.0
	v_fmac_f64_e32 v[158:159], v[158:159], v[162:163]
	v_mul_f64 v[162:163], v[160:161], v[158:159]
	v_fma_f64 v[156:157], -v[156:157], v[162:163], v[160:161]
	v_div_fmas_f64 v[156:157], v[156:157], v[158:159], v[162:163]
	v_div_fixup_f64 v[156:157], v[156:157], v[236:237], v[238:239]
	v_fmac_f64_e32 v[236:237], v[238:239], v[156:157]
	v_div_scale_f64 v[158:159], s[18:19], v[236:237], v[236:237], 1.0
	v_rcp_f64_e32 v[160:161], v[158:159]
	s_nop 0
	v_fma_f64 v[162:163], -v[158:159], v[160:161], 1.0
	v_fmac_f64_e32 v[160:161], v[160:161], v[162:163]
	v_fma_f64 v[162:163], -v[158:159], v[160:161], 1.0
	v_fmac_f64_e32 v[160:161], v[160:161], v[162:163]
	v_div_scale_f64 v[162:163], vcc, 1.0, v[236:237], 1.0
	v_mul_f64 v[216:217], v[162:163], v[160:161]
	v_fma_f64 v[158:159], -v[158:159], v[216:217], v[162:163]
	s_nop 1
	v_div_fmas_f64 v[158:159], v[158:159], v[160:161], v[216:217]
	v_div_fixup_f64 v[236:237], v[158:159], v[236:237], 1.0
	v_mul_f64 v[238:239], v[156:157], -v[236:237]
.LBB116_303:
	s_or_b64 exec, exec, s[16:17]
.LBB116_304:
	s_or_b64 exec, exec, s[0:1]
	v_cmp_ne_u32_e32 vcc, v249, v246
	s_and_saveexec_b64 s[0:1], vcc
	s_xor_b64 s[0:1], exec, s[0:1]
	s_cbranch_execz .LBB116_310
; %bb.305:
	v_cmp_eq_u32_e32 vcc, 14, v249
	s_and_saveexec_b64 s[16:17], vcc
	s_cbranch_execz .LBB116_309
; %bb.306:
	v_cmp_ne_u32_e32 vcc, 14, v246
	s_xor_b64 s[18:19], s[14:15], -1
	s_and_b64 s[22:23], s[18:19], vcc
	s_and_saveexec_b64 s[18:19], s[22:23]
	s_cbranch_execz .LBB116_308
; %bb.307:
	scratch_load_dwordx2 v[8:9], off, off offset:16 ; 8-byte Folded Reload
	v_ashrrev_i32_e32 v247, 31, v246
	s_waitcnt vmcnt(0)
	v_lshl_add_u64 v[156:157], v[246:247], 2, v[8:9]
	global_load_dword v158, v[156:157], off
	global_load_dword v159, v[8:9], off offset:56
	s_waitcnt vmcnt(1)
	global_store_dword v[8:9], v158, off offset:56
	s_waitcnt vmcnt(1)
	global_store_dword v[156:157], v159, off
.LBB116_308:
	s_or_b64 exec, exec, s[18:19]
	v_mov_b32_e32 v249, v246
	v_mov_b32_e32 v218, v246
.LBB116_309:
	s_or_b64 exec, exec, s[16:17]
.LBB116_310:
	s_andn2_saveexec_b64 s[0:1], s[0:1]
	s_cbranch_execz .LBB116_312
; %bb.311:
	v_mov_b32_e32 v249, 14
	ds_write2_b64 v248, v[176:177], v[178:179] offset0:30 offset1:31
	ds_write2_b64 v248, v[172:173], v[174:175] offset0:32 offset1:33
	;; [unrolled: 1-line block ×44, first 2 shown]
.LBB116_312:
	s_or_b64 exec, exec, s[0:1]
	v_cmp_lt_i32_e32 vcc, 14, v249
	s_waitcnt lgkmcnt(0)
	s_barrier
	s_and_saveexec_b64 s[0:1], vcc
	s_cbranch_execz .LBB116_314
; %bb.313:
	v_mul_f64 v[156:157], v[238:239], v[182:183]
	v_mul_f64 v[182:183], v[236:237], v[182:183]
	v_fma_f64 v[246:247], v[236:237], v[180:181], -v[156:157]
	v_fmac_f64_e32 v[182:183], v[238:239], v[180:181]
	ds_read2_b64 v[236:239], v248 offset0:30 offset1:31
	v_mov_b64_e32 v[180:181], v[246:247]
	s_waitcnt lgkmcnt(0)
	v_mul_f64 v[156:157], v[238:239], v[182:183]
	v_mul_f64 v[158:159], v[236:237], v[182:183]
	v_fma_f64 v[156:157], v[236:237], v[246:247], -v[156:157]
	v_fmac_f64_e32 v[158:159], v[238:239], v[246:247]
	ds_read2_b64 v[236:239], v248 offset0:32 offset1:33
	v_add_f64 v[176:177], v[176:177], -v[156:157]
	v_add_f64 v[178:179], v[178:179], -v[158:159]
	s_waitcnt lgkmcnt(0)
	v_mul_f64 v[156:157], v[238:239], v[182:183]
	v_mul_f64 v[158:159], v[236:237], v[182:183]
	v_fma_f64 v[156:157], v[236:237], v[246:247], -v[156:157]
	v_fmac_f64_e32 v[158:159], v[238:239], v[246:247]
	ds_read2_b64 v[236:239], v248 offset0:34 offset1:35
	v_add_f64 v[172:173], v[172:173], -v[156:157]
	v_add_f64 v[174:175], v[174:175], -v[158:159]
	s_waitcnt lgkmcnt(0)
	v_mul_f64 v[156:157], v[238:239], v[182:183]
	v_mul_f64 v[158:159], v[236:237], v[182:183]
	v_fma_f64 v[156:157], v[236:237], v[246:247], -v[156:157]
	v_fmac_f64_e32 v[158:159], v[238:239], v[246:247]
	ds_read2_b64 v[236:239], v248 offset0:36 offset1:37
	v_add_f64 v[168:169], v[168:169], -v[156:157]
	v_add_f64 v[170:171], v[170:171], -v[158:159]
	s_waitcnt lgkmcnt(0)
	v_mul_f64 v[156:157], v[238:239], v[182:183]
	v_mul_f64 v[158:159], v[236:237], v[182:183]
	v_fma_f64 v[156:157], v[236:237], v[246:247], -v[156:157]
	v_fmac_f64_e32 v[158:159], v[238:239], v[246:247]
	ds_read2_b64 v[236:239], v248 offset0:38 offset1:39
	v_add_f64 v[164:165], v[164:165], -v[156:157]
	v_add_f64 v[166:167], v[166:167], -v[158:159]
	s_waitcnt lgkmcnt(0)
	v_mul_f64 v[156:157], v[238:239], v[182:183]
	v_mul_f64 v[158:159], v[236:237], v[182:183]
	v_fma_f64 v[156:157], v[236:237], v[246:247], -v[156:157]
	v_fmac_f64_e32 v[158:159], v[238:239], v[246:247]
	ds_read2_b64 v[236:239], v248 offset0:40 offset1:41
	v_add_f64 v[208:209], v[208:209], -v[156:157]
	v_add_f64 v[210:211], v[210:211], -v[158:159]
	s_waitcnt lgkmcnt(0)
	v_mul_f64 v[156:157], v[238:239], v[182:183]
	v_mul_f64 v[158:159], v[236:237], v[182:183]
	v_fma_f64 v[156:157], v[236:237], v[246:247], -v[156:157]
	v_fmac_f64_e32 v[158:159], v[238:239], v[246:247]
	ds_read2_b64 v[236:239], v248 offset0:42 offset1:43
	v_add_f64 v[148:149], v[148:149], -v[156:157]
	v_add_f64 v[150:151], v[150:151], -v[158:159]
	s_waitcnt lgkmcnt(0)
	v_mul_f64 v[156:157], v[238:239], v[182:183]
	v_mul_f64 v[158:159], v[236:237], v[182:183]
	v_fma_f64 v[156:157], v[236:237], v[246:247], -v[156:157]
	v_fmac_f64_e32 v[158:159], v[238:239], v[246:247]
	ds_read2_b64 v[236:239], v248 offset0:44 offset1:45
	v_add_f64 v[144:145], v[144:145], -v[156:157]
	v_add_f64 v[146:147], v[146:147], -v[158:159]
	s_waitcnt lgkmcnt(0)
	v_mul_f64 v[156:157], v[238:239], v[182:183]
	v_mul_f64 v[158:159], v[236:237], v[182:183]
	v_fma_f64 v[156:157], v[236:237], v[246:247], -v[156:157]
	v_fmac_f64_e32 v[158:159], v[238:239], v[246:247]
	ds_read2_b64 v[236:239], v248 offset0:46 offset1:47
	v_add_f64 v[140:141], v[140:141], -v[156:157]
	v_add_f64 v[142:143], v[142:143], -v[158:159]
	s_waitcnt lgkmcnt(0)
	v_mul_f64 v[156:157], v[238:239], v[182:183]
	v_mul_f64 v[158:159], v[236:237], v[182:183]
	v_fma_f64 v[156:157], v[236:237], v[246:247], -v[156:157]
	v_fmac_f64_e32 v[158:159], v[238:239], v[246:247]
	ds_read2_b64 v[236:239], v248 offset0:48 offset1:49
	v_add_f64 v[136:137], v[136:137], -v[156:157]
	v_add_f64 v[138:139], v[138:139], -v[158:159]
	s_waitcnt lgkmcnt(0)
	v_mul_f64 v[156:157], v[238:239], v[182:183]
	v_mul_f64 v[158:159], v[236:237], v[182:183]
	v_fma_f64 v[156:157], v[236:237], v[246:247], -v[156:157]
	v_fmac_f64_e32 v[158:159], v[238:239], v[246:247]
	ds_read2_b64 v[236:239], v248 offset0:50 offset1:51
	v_add_f64 v[132:133], v[132:133], -v[156:157]
	v_add_f64 v[134:135], v[134:135], -v[158:159]
	s_waitcnt lgkmcnt(0)
	v_mul_f64 v[156:157], v[238:239], v[182:183]
	v_mul_f64 v[158:159], v[236:237], v[182:183]
	v_fma_f64 v[156:157], v[236:237], v[246:247], -v[156:157]
	v_fmac_f64_e32 v[158:159], v[238:239], v[246:247]
	ds_read2_b64 v[236:239], v248 offset0:52 offset1:53
	v_add_f64 v[128:129], v[128:129], -v[156:157]
	v_add_f64 v[130:131], v[130:131], -v[158:159]
	s_waitcnt lgkmcnt(0)
	v_mul_f64 v[156:157], v[238:239], v[182:183]
	v_mul_f64 v[158:159], v[236:237], v[182:183]
	v_fma_f64 v[156:157], v[236:237], v[246:247], -v[156:157]
	v_fmac_f64_e32 v[158:159], v[238:239], v[246:247]
	ds_read2_b64 v[236:239], v248 offset0:54 offset1:55
	v_add_f64 v[124:125], v[124:125], -v[156:157]
	v_add_f64 v[126:127], v[126:127], -v[158:159]
	s_waitcnt lgkmcnt(0)
	v_mul_f64 v[156:157], v[238:239], v[182:183]
	v_mul_f64 v[158:159], v[236:237], v[182:183]
	v_fma_f64 v[156:157], v[236:237], v[246:247], -v[156:157]
	v_fmac_f64_e32 v[158:159], v[238:239], v[246:247]
	ds_read2_b64 v[236:239], v248 offset0:56 offset1:57
	v_add_f64 v[120:121], v[120:121], -v[156:157]
	v_add_f64 v[122:123], v[122:123], -v[158:159]
	s_waitcnt lgkmcnt(0)
	v_mul_f64 v[156:157], v[238:239], v[182:183]
	v_mul_f64 v[158:159], v[236:237], v[182:183]
	v_fma_f64 v[156:157], v[236:237], v[246:247], -v[156:157]
	v_fmac_f64_e32 v[158:159], v[238:239], v[246:247]
	ds_read2_b64 v[236:239], v248 offset0:58 offset1:59
	v_add_f64 v[116:117], v[116:117], -v[156:157]
	v_add_f64 v[118:119], v[118:119], -v[158:159]
	s_waitcnt lgkmcnt(0)
	v_mul_f64 v[156:157], v[238:239], v[182:183]
	v_mul_f64 v[158:159], v[236:237], v[182:183]
	v_fma_f64 v[156:157], v[236:237], v[246:247], -v[156:157]
	v_fmac_f64_e32 v[158:159], v[238:239], v[246:247]
	ds_read2_b64 v[236:239], v248 offset0:60 offset1:61
	v_add_f64 v[112:113], v[112:113], -v[156:157]
	v_add_f64 v[114:115], v[114:115], -v[158:159]
	s_waitcnt lgkmcnt(0)
	v_mul_f64 v[156:157], v[238:239], v[182:183]
	v_mul_f64 v[158:159], v[236:237], v[182:183]
	v_fma_f64 v[156:157], v[236:237], v[246:247], -v[156:157]
	v_fmac_f64_e32 v[158:159], v[238:239], v[246:247]
	ds_read2_b64 v[236:239], v248 offset0:62 offset1:63
	v_add_f64 v[108:109], v[108:109], -v[156:157]
	v_add_f64 v[110:111], v[110:111], -v[158:159]
	s_waitcnt lgkmcnt(0)
	v_mul_f64 v[156:157], v[238:239], v[182:183]
	v_mul_f64 v[158:159], v[236:237], v[182:183]
	v_fma_f64 v[156:157], v[236:237], v[246:247], -v[156:157]
	v_fmac_f64_e32 v[158:159], v[238:239], v[246:247]
	ds_read2_b64 v[236:239], v248 offset0:64 offset1:65
	v_add_f64 v[104:105], v[104:105], -v[156:157]
	v_add_f64 v[106:107], v[106:107], -v[158:159]
	s_waitcnt lgkmcnt(0)
	v_mul_f64 v[156:157], v[238:239], v[182:183]
	v_mul_f64 v[158:159], v[236:237], v[182:183]
	v_fma_f64 v[156:157], v[236:237], v[246:247], -v[156:157]
	v_fmac_f64_e32 v[158:159], v[238:239], v[246:247]
	ds_read2_b64 v[236:239], v248 offset0:66 offset1:67
	v_add_f64 v[100:101], v[100:101], -v[156:157]
	v_add_f64 v[102:103], v[102:103], -v[158:159]
	s_waitcnt lgkmcnt(0)
	v_mul_f64 v[156:157], v[238:239], v[182:183]
	v_mul_f64 v[158:159], v[236:237], v[182:183]
	v_fma_f64 v[156:157], v[236:237], v[246:247], -v[156:157]
	v_fmac_f64_e32 v[158:159], v[238:239], v[246:247]
	ds_read2_b64 v[236:239], v248 offset0:68 offset1:69
	v_add_f64 v[96:97], v[96:97], -v[156:157]
	v_add_f64 v[98:99], v[98:99], -v[158:159]
	s_waitcnt lgkmcnt(0)
	v_mul_f64 v[156:157], v[238:239], v[182:183]
	v_mul_f64 v[158:159], v[236:237], v[182:183]
	v_fma_f64 v[156:157], v[236:237], v[246:247], -v[156:157]
	v_fmac_f64_e32 v[158:159], v[238:239], v[246:247]
	ds_read2_b64 v[236:239], v248 offset0:70 offset1:71
	v_add_f64 v[92:93], v[92:93], -v[156:157]
	v_add_f64 v[94:95], v[94:95], -v[158:159]
	s_waitcnt lgkmcnt(0)
	v_mul_f64 v[156:157], v[238:239], v[182:183]
	v_mul_f64 v[158:159], v[236:237], v[182:183]
	v_fma_f64 v[156:157], v[236:237], v[246:247], -v[156:157]
	v_fmac_f64_e32 v[158:159], v[238:239], v[246:247]
	ds_read2_b64 v[236:239], v248 offset0:72 offset1:73
	v_add_f64 v[88:89], v[88:89], -v[156:157]
	v_add_f64 v[90:91], v[90:91], -v[158:159]
	s_waitcnt lgkmcnt(0)
	v_mul_f64 v[156:157], v[238:239], v[182:183]
	v_mul_f64 v[158:159], v[236:237], v[182:183]
	v_fma_f64 v[156:157], v[236:237], v[246:247], -v[156:157]
	v_fmac_f64_e32 v[158:159], v[238:239], v[246:247]
	ds_read2_b64 v[236:239], v248 offset0:74 offset1:75
	v_add_f64 v[84:85], v[84:85], -v[156:157]
	v_add_f64 v[86:87], v[86:87], -v[158:159]
	s_waitcnt lgkmcnt(0)
	v_mul_f64 v[156:157], v[238:239], v[182:183]
	v_mul_f64 v[158:159], v[236:237], v[182:183]
	v_fma_f64 v[156:157], v[236:237], v[246:247], -v[156:157]
	v_fmac_f64_e32 v[158:159], v[238:239], v[246:247]
	ds_read2_b64 v[236:239], v248 offset0:76 offset1:77
	v_add_f64 v[80:81], v[80:81], -v[156:157]
	v_add_f64 v[82:83], v[82:83], -v[158:159]
	s_waitcnt lgkmcnt(0)
	v_mul_f64 v[156:157], v[238:239], v[182:183]
	v_mul_f64 v[158:159], v[236:237], v[182:183]
	v_fma_f64 v[156:157], v[236:237], v[246:247], -v[156:157]
	v_fmac_f64_e32 v[158:159], v[238:239], v[246:247]
	ds_read2_b64 v[236:239], v248 offset0:78 offset1:79
	v_add_f64 v[76:77], v[76:77], -v[156:157]
	v_add_f64 v[78:79], v[78:79], -v[158:159]
	s_waitcnt lgkmcnt(0)
	v_mul_f64 v[156:157], v[238:239], v[182:183]
	v_mul_f64 v[158:159], v[236:237], v[182:183]
	v_fma_f64 v[156:157], v[236:237], v[246:247], -v[156:157]
	v_fmac_f64_e32 v[158:159], v[238:239], v[246:247]
	ds_read2_b64 v[236:239], v248 offset0:80 offset1:81
	v_add_f64 v[72:73], v[72:73], -v[156:157]
	v_add_f64 v[74:75], v[74:75], -v[158:159]
	s_waitcnt lgkmcnt(0)
	v_mul_f64 v[156:157], v[238:239], v[182:183]
	v_mul_f64 v[158:159], v[236:237], v[182:183]
	v_fma_f64 v[156:157], v[236:237], v[246:247], -v[156:157]
	v_fmac_f64_e32 v[158:159], v[238:239], v[246:247]
	ds_read2_b64 v[236:239], v248 offset0:82 offset1:83
	v_add_f64 v[68:69], v[68:69], -v[156:157]
	v_add_f64 v[70:71], v[70:71], -v[158:159]
	s_waitcnt lgkmcnt(0)
	v_mul_f64 v[156:157], v[238:239], v[182:183]
	v_mul_f64 v[158:159], v[236:237], v[182:183]
	v_fma_f64 v[156:157], v[236:237], v[246:247], -v[156:157]
	v_fmac_f64_e32 v[158:159], v[238:239], v[246:247]
	ds_read2_b64 v[236:239], v248 offset0:84 offset1:85
	v_add_f64 v[64:65], v[64:65], -v[156:157]
	v_add_f64 v[66:67], v[66:67], -v[158:159]
	s_waitcnt lgkmcnt(0)
	v_mul_f64 v[156:157], v[238:239], v[182:183]
	v_mul_f64 v[158:159], v[236:237], v[182:183]
	v_fma_f64 v[156:157], v[236:237], v[246:247], -v[156:157]
	v_fmac_f64_e32 v[158:159], v[238:239], v[246:247]
	ds_read2_b64 v[236:239], v248 offset0:86 offset1:87
	v_add_f64 v[60:61], v[60:61], -v[156:157]
	v_add_f64 v[62:63], v[62:63], -v[158:159]
	s_waitcnt lgkmcnt(0)
	v_mul_f64 v[156:157], v[238:239], v[182:183]
	v_mul_f64 v[158:159], v[236:237], v[182:183]
	v_fma_f64 v[156:157], v[236:237], v[246:247], -v[156:157]
	v_fmac_f64_e32 v[158:159], v[238:239], v[246:247]
	ds_read2_b64 v[236:239], v248 offset0:88 offset1:89
	v_add_f64 v[56:57], v[56:57], -v[156:157]
	v_add_f64 v[58:59], v[58:59], -v[158:159]
	s_waitcnt lgkmcnt(0)
	v_mul_f64 v[156:157], v[238:239], v[182:183]
	v_mul_f64 v[158:159], v[236:237], v[182:183]
	v_fma_f64 v[156:157], v[236:237], v[246:247], -v[156:157]
	v_fmac_f64_e32 v[158:159], v[238:239], v[246:247]
	ds_read2_b64 v[236:239], v248 offset0:90 offset1:91
	v_add_f64 v[52:53], v[52:53], -v[156:157]
	v_add_f64 v[54:55], v[54:55], -v[158:159]
	s_waitcnt lgkmcnt(0)
	v_mul_f64 v[156:157], v[238:239], v[182:183]
	v_mul_f64 v[158:159], v[236:237], v[182:183]
	v_fma_f64 v[156:157], v[236:237], v[246:247], -v[156:157]
	v_fmac_f64_e32 v[158:159], v[238:239], v[246:247]
	ds_read2_b64 v[236:239], v248 offset0:92 offset1:93
	v_add_f64 v[48:49], v[48:49], -v[156:157]
	v_add_f64 v[50:51], v[50:51], -v[158:159]
	s_waitcnt lgkmcnt(0)
	v_mul_f64 v[156:157], v[238:239], v[182:183]
	v_mul_f64 v[158:159], v[236:237], v[182:183]
	v_fma_f64 v[156:157], v[236:237], v[246:247], -v[156:157]
	v_fmac_f64_e32 v[158:159], v[238:239], v[246:247]
	ds_read2_b64 v[236:239], v248 offset0:94 offset1:95
	v_add_f64 v[44:45], v[44:45], -v[156:157]
	v_add_f64 v[46:47], v[46:47], -v[158:159]
	s_waitcnt lgkmcnt(0)
	v_mul_f64 v[156:157], v[238:239], v[182:183]
	v_mul_f64 v[158:159], v[236:237], v[182:183]
	v_fma_f64 v[156:157], v[236:237], v[246:247], -v[156:157]
	v_fmac_f64_e32 v[158:159], v[238:239], v[246:247]
	ds_read2_b64 v[236:239], v248 offset0:96 offset1:97
	v_add_f64 v[40:41], v[40:41], -v[156:157]
	v_add_f64 v[42:43], v[42:43], -v[158:159]
	s_waitcnt lgkmcnt(0)
	v_mul_f64 v[156:157], v[238:239], v[182:183]
	v_mul_f64 v[158:159], v[236:237], v[182:183]
	v_fma_f64 v[156:157], v[236:237], v[246:247], -v[156:157]
	v_fmac_f64_e32 v[158:159], v[238:239], v[246:247]
	ds_read2_b64 v[236:239], v248 offset0:98 offset1:99
	v_add_f64 v[36:37], v[36:37], -v[156:157]
	v_add_f64 v[38:39], v[38:39], -v[158:159]
	s_waitcnt lgkmcnt(0)
	v_mul_f64 v[156:157], v[238:239], v[182:183]
	v_mul_f64 v[158:159], v[236:237], v[182:183]
	v_fma_f64 v[156:157], v[236:237], v[246:247], -v[156:157]
	v_fmac_f64_e32 v[158:159], v[238:239], v[246:247]
	ds_read2_b64 v[236:239], v248 offset0:100 offset1:101
	v_add_f64 v[32:33], v[32:33], -v[156:157]
	v_add_f64 v[34:35], v[34:35], -v[158:159]
	s_waitcnt lgkmcnt(0)
	v_mul_f64 v[156:157], v[238:239], v[182:183]
	v_mul_f64 v[158:159], v[236:237], v[182:183]
	v_fma_f64 v[156:157], v[236:237], v[246:247], -v[156:157]
	v_fmac_f64_e32 v[158:159], v[238:239], v[246:247]
	ds_read2_b64 v[236:239], v248 offset0:102 offset1:103
	v_add_f64 v[28:29], v[28:29], -v[156:157]
	v_add_f64 v[30:31], v[30:31], -v[158:159]
	s_waitcnt lgkmcnt(0)
	v_mul_f64 v[156:157], v[238:239], v[182:183]
	v_mul_f64 v[158:159], v[236:237], v[182:183]
	v_fma_f64 v[156:157], v[236:237], v[246:247], -v[156:157]
	v_fmac_f64_e32 v[158:159], v[238:239], v[246:247]
	ds_read2_b64 v[236:239], v248 offset0:104 offset1:105
	v_add_f64 v[24:25], v[24:25], -v[156:157]
	v_add_f64 v[26:27], v[26:27], -v[158:159]
	s_waitcnt lgkmcnt(0)
	v_mul_f64 v[156:157], v[238:239], v[182:183]
	v_mul_f64 v[158:159], v[236:237], v[182:183]
	v_fma_f64 v[156:157], v[236:237], v[246:247], -v[156:157]
	v_fmac_f64_e32 v[158:159], v[238:239], v[246:247]
	ds_read2_b64 v[236:239], v248 offset0:106 offset1:107
	v_add_f64 v[20:21], v[20:21], -v[156:157]
	v_add_f64 v[22:23], v[22:23], -v[158:159]
	s_waitcnt lgkmcnt(0)
	v_mul_f64 v[156:157], v[238:239], v[182:183]
	v_mul_f64 v[158:159], v[236:237], v[182:183]
	v_fma_f64 v[156:157], v[236:237], v[246:247], -v[156:157]
	v_fmac_f64_e32 v[158:159], v[238:239], v[246:247]
	ds_read2_b64 v[236:239], v248 offset0:108 offset1:109
	v_add_f64 v[16:17], v[16:17], -v[156:157]
	v_add_f64 v[18:19], v[18:19], -v[158:159]
	s_waitcnt lgkmcnt(0)
	v_mul_f64 v[156:157], v[238:239], v[182:183]
	v_mul_f64 v[158:159], v[236:237], v[182:183]
	v_fma_f64 v[156:157], v[236:237], v[246:247], -v[156:157]
	v_fmac_f64_e32 v[158:159], v[238:239], v[246:247]
	ds_read2_b64 v[236:239], v248 offset0:110 offset1:111
	v_add_f64 v[12:13], v[12:13], -v[156:157]
	v_add_f64 v[14:15], v[14:15], -v[158:159]
	s_waitcnt lgkmcnt(0)
	v_mul_f64 v[156:157], v[238:239], v[182:183]
	v_mul_f64 v[158:159], v[236:237], v[182:183]
	v_fma_f64 v[156:157], v[236:237], v[246:247], -v[156:157]
	v_fmac_f64_e32 v[158:159], v[238:239], v[246:247]
	ds_read2_b64 v[236:239], v248 offset0:112 offset1:113
	v_add_f64 v[252:253], v[252:253], -v[156:157]
	v_add_f64 v[254:255], v[254:255], -v[158:159]
	s_waitcnt lgkmcnt(0)
	v_mul_f64 v[156:157], v[238:239], v[182:183]
	v_mul_f64 v[158:159], v[236:237], v[182:183]
	v_fma_f64 v[156:157], v[236:237], v[246:247], -v[156:157]
	v_fmac_f64_e32 v[158:159], v[238:239], v[246:247]
	ds_read2_b64 v[236:239], v248 offset0:114 offset1:115
	v_add_f64 v[224:225], v[224:225], -v[156:157]
	v_add_f64 v[226:227], v[226:227], -v[158:159]
	s_waitcnt lgkmcnt(0)
	v_mul_f64 v[156:157], v[238:239], v[182:183]
	v_mul_f64 v[158:159], v[236:237], v[182:183]
	v_fma_f64 v[156:157], v[236:237], v[246:247], -v[156:157]
	v_fmac_f64_e32 v[158:159], v[238:239], v[246:247]
	ds_read2_b64 v[236:239], v248 offset0:116 offset1:117
	v_add_f64 v[220:221], v[220:221], -v[156:157]
	v_add_f64 v[222:223], v[222:223], -v[158:159]
	s_waitcnt lgkmcnt(0)
	v_mul_f64 v[156:157], v[238:239], v[182:183]
	v_mul_f64 v[158:159], v[236:237], v[182:183]
	v_fma_f64 v[156:157], v[236:237], v[246:247], -v[156:157]
	v_fmac_f64_e32 v[158:159], v[238:239], v[246:247]
	v_add_f64 v[232:233], v[232:233], -v[156:157]
	v_add_f64 v[234:235], v[234:235], -v[158:159]
.LBB116_314:
	s_or_b64 exec, exec, s[0:1]
	v_lshl_add_u32 v156, v249, 4, v248
	s_barrier
	ds_write2_b64 v156, v[176:177], v[178:179] offset1:1
	s_waitcnt lgkmcnt(0)
	s_barrier
	ds_read2_b64 v[236:239], v248 offset0:30 offset1:31
	s_cmp_lt_i32 s20, 17
	v_mov_b32_e32 v246, 15
	s_cbranch_scc1 .LBB116_317
; %bb.315:
	v_add_u32_e32 v247, 0x100, v248
	s_mov_b32 s0, 16
	v_mov_b32_e32 v246, 15
.LBB116_316:                            ; =>This Inner Loop Header: Depth=1
	ds_read2_b64 v[242:245], v247 offset1:1
	s_waitcnt lgkmcnt(1)
	v_cmp_gt_f64_e32 vcc, 0, v[236:237]
	v_xor_b32_e32 v156, 0x80000000, v237
	v_xor_b32_e32 v158, 0x80000000, v239
	v_cndmask_b32_e32 v157, v237, v156, vcc
	v_cmp_gt_f64_e32 vcc, 0, v[238:239]
	v_mov_b32_e32 v156, v236
	s_waitcnt lgkmcnt(0)
	v_xor_b32_e32 v160, 0x80000000, v245
	v_cndmask_b32_e32 v159, v239, v158, vcc
	v_mov_b32_e32 v158, v238
	v_add_f64 v[156:157], v[156:157], v[158:159]
	v_cmp_gt_f64_e32 vcc, 0, v[242:243]
	v_xor_b32_e32 v158, 0x80000000, v243
	v_add_u32_e32 v247, 16, v247
	v_cndmask_b32_e32 v159, v243, v158, vcc
	v_cmp_gt_f64_e32 vcc, 0, v[244:245]
	v_mov_b32_e32 v158, v242
	s_nop 0
	v_cndmask_b32_e32 v161, v245, v160, vcc
	v_mov_b32_e32 v160, v244
	v_add_f64 v[158:159], v[158:159], v[160:161]
	v_cmp_lt_f64_e32 vcc, v[156:157], v[158:159]
	v_mov_b32_e32 v156, s0
	s_add_i32 s0, s0, 1
	v_cndmask_b32_e32 v237, v237, v243, vcc
	v_cndmask_b32_e32 v236, v236, v242, vcc
	;; [unrolled: 1-line block ×5, first 2 shown]
	s_cmp_lg_u32 s20, s0
	s_cbranch_scc1 .LBB116_316
.LBB116_317:
	s_waitcnt lgkmcnt(0)
	v_cmp_eq_f64_e32 vcc, 0, v[236:237]
	v_cmp_eq_f64_e64 s[0:1], 0, v[238:239]
	s_and_b64 s[0:1], vcc, s[0:1]
	s_and_saveexec_b64 s[16:17], s[0:1]
	s_xor_b64 s[0:1], exec, s[16:17]
; %bb.318:
	v_cmp_ne_u32_e32 vcc, 0, v250
	s_nop 1
	v_cndmask_b32_e32 v250, 16, v250, vcc
; %bb.319:
	s_andn2_saveexec_b64 s[0:1], s[0:1]
	s_cbranch_execz .LBB116_325
; %bb.320:
	v_cmp_ngt_f64_e64 s[16:17], |v[236:237]|, |v[238:239]|
	s_and_saveexec_b64 s[18:19], s[16:17]
	s_xor_b64 s[16:17], exec, s[18:19]
	s_cbranch_execz .LBB116_322
; %bb.321:
	v_div_scale_f64 v[156:157], s[18:19], v[238:239], v[238:239], v[236:237]
	v_rcp_f64_e32 v[158:159], v[156:157]
	v_div_scale_f64 v[160:161], vcc, v[236:237], v[238:239], v[236:237]
	v_fma_f64 v[162:163], -v[156:157], v[158:159], 1.0
	v_fmac_f64_e32 v[158:159], v[158:159], v[162:163]
	v_fma_f64 v[162:163], -v[156:157], v[158:159], 1.0
	v_fmac_f64_e32 v[158:159], v[158:159], v[162:163]
	v_mul_f64 v[162:163], v[160:161], v[158:159]
	v_fma_f64 v[156:157], -v[156:157], v[162:163], v[160:161]
	v_div_fmas_f64 v[156:157], v[156:157], v[158:159], v[162:163]
	v_div_fixup_f64 v[156:157], v[156:157], v[238:239], v[236:237]
	v_fmac_f64_e32 v[238:239], v[236:237], v[156:157]
	v_div_scale_f64 v[158:159], s[18:19], v[238:239], v[238:239], 1.0
	v_rcp_f64_e32 v[160:161], v[158:159]
	s_nop 0
	v_fma_f64 v[162:163], -v[158:159], v[160:161], 1.0
	v_fmac_f64_e32 v[160:161], v[160:161], v[162:163]
	v_fma_f64 v[162:163], -v[158:159], v[160:161], 1.0
	v_fmac_f64_e32 v[160:161], v[160:161], v[162:163]
	v_div_scale_f64 v[162:163], vcc, 1.0, v[238:239], 1.0
	v_mul_f64 v[216:217], v[162:163], v[160:161]
	v_fma_f64 v[158:159], -v[158:159], v[216:217], v[162:163]
	s_nop 1
	v_div_fmas_f64 v[158:159], v[158:159], v[160:161], v[216:217]
	v_div_fixup_f64 v[238:239], v[158:159], v[238:239], 1.0
	v_mul_f64 v[236:237], v[156:157], v[238:239]
	v_xor_b32_e32 v239, 0x80000000, v239
.LBB116_322:
	s_andn2_saveexec_b64 s[16:17], s[16:17]
	s_cbranch_execz .LBB116_324
; %bb.323:
	v_div_scale_f64 v[156:157], s[18:19], v[236:237], v[236:237], v[238:239]
	v_rcp_f64_e32 v[158:159], v[156:157]
	v_div_scale_f64 v[160:161], vcc, v[238:239], v[236:237], v[238:239]
	v_fma_f64 v[162:163], -v[156:157], v[158:159], 1.0
	v_fmac_f64_e32 v[158:159], v[158:159], v[162:163]
	v_fma_f64 v[162:163], -v[156:157], v[158:159], 1.0
	v_fmac_f64_e32 v[158:159], v[158:159], v[162:163]
	v_mul_f64 v[162:163], v[160:161], v[158:159]
	v_fma_f64 v[156:157], -v[156:157], v[162:163], v[160:161]
	v_div_fmas_f64 v[156:157], v[156:157], v[158:159], v[162:163]
	v_div_fixup_f64 v[156:157], v[156:157], v[236:237], v[238:239]
	v_fmac_f64_e32 v[236:237], v[238:239], v[156:157]
	v_div_scale_f64 v[158:159], s[18:19], v[236:237], v[236:237], 1.0
	v_rcp_f64_e32 v[160:161], v[158:159]
	s_nop 0
	v_fma_f64 v[162:163], -v[158:159], v[160:161], 1.0
	v_fmac_f64_e32 v[160:161], v[160:161], v[162:163]
	v_fma_f64 v[162:163], -v[158:159], v[160:161], 1.0
	v_fmac_f64_e32 v[160:161], v[160:161], v[162:163]
	v_div_scale_f64 v[162:163], vcc, 1.0, v[236:237], 1.0
	v_mul_f64 v[216:217], v[162:163], v[160:161]
	v_fma_f64 v[158:159], -v[158:159], v[216:217], v[162:163]
	s_nop 1
	v_div_fmas_f64 v[158:159], v[158:159], v[160:161], v[216:217]
	v_div_fixup_f64 v[236:237], v[158:159], v[236:237], 1.0
	v_mul_f64 v[238:239], v[156:157], -v[236:237]
.LBB116_324:
	s_or_b64 exec, exec, s[16:17]
.LBB116_325:
	s_or_b64 exec, exec, s[0:1]
	v_cmp_ne_u32_e32 vcc, v249, v246
	s_and_saveexec_b64 s[0:1], vcc
	s_xor_b64 s[0:1], exec, s[0:1]
	s_cbranch_execz .LBB116_331
; %bb.326:
	v_cmp_eq_u32_e32 vcc, 15, v249
	s_and_saveexec_b64 s[16:17], vcc
	s_cbranch_execz .LBB116_330
; %bb.327:
	v_cmp_ne_u32_e32 vcc, 15, v246
	s_xor_b64 s[18:19], s[14:15], -1
	s_and_b64 s[22:23], s[18:19], vcc
	s_and_saveexec_b64 s[18:19], s[22:23]
	s_cbranch_execz .LBB116_329
; %bb.328:
	scratch_load_dwordx2 v[8:9], off, off offset:16 ; 8-byte Folded Reload
	v_ashrrev_i32_e32 v247, 31, v246
	s_waitcnt vmcnt(0)
	v_lshl_add_u64 v[156:157], v[246:247], 2, v[8:9]
	global_load_dword v158, v[156:157], off
	global_load_dword v159, v[8:9], off offset:60
	s_waitcnt vmcnt(1)
	global_store_dword v[8:9], v158, off offset:60
	s_waitcnt vmcnt(1)
	global_store_dword v[156:157], v159, off
.LBB116_329:
	s_or_b64 exec, exec, s[18:19]
	v_mov_b32_e32 v249, v246
	v_mov_b32_e32 v218, v246
.LBB116_330:
	s_or_b64 exec, exec, s[16:17]
.LBB116_331:
	s_andn2_saveexec_b64 s[0:1], s[0:1]
	s_cbranch_execz .LBB116_333
; %bb.332:
	v_mov_b32_e32 v249, 15
	ds_write2_b64 v248, v[172:173], v[174:175] offset0:32 offset1:33
	ds_write2_b64 v248, v[168:169], v[170:171] offset0:34 offset1:35
	;; [unrolled: 1-line block ×43, first 2 shown]
.LBB116_333:
	s_or_b64 exec, exec, s[0:1]
	v_cmp_lt_i32_e32 vcc, 15, v249
	s_waitcnt lgkmcnt(0)
	s_barrier
	s_and_saveexec_b64 s[0:1], vcc
	s_cbranch_execz .LBB116_335
; %bb.334:
	v_mul_f64 v[156:157], v[238:239], v[178:179]
	v_mul_f64 v[178:179], v[236:237], v[178:179]
	v_fma_f64 v[246:247], v[236:237], v[176:177], -v[156:157]
	v_fmac_f64_e32 v[178:179], v[238:239], v[176:177]
	ds_read2_b64 v[236:239], v248 offset0:32 offset1:33
	v_mov_b64_e32 v[176:177], v[246:247]
	s_waitcnt lgkmcnt(0)
	v_mul_f64 v[156:157], v[238:239], v[178:179]
	v_mul_f64 v[158:159], v[236:237], v[178:179]
	v_fma_f64 v[156:157], v[236:237], v[246:247], -v[156:157]
	v_fmac_f64_e32 v[158:159], v[238:239], v[246:247]
	ds_read2_b64 v[236:239], v248 offset0:34 offset1:35
	v_add_f64 v[172:173], v[172:173], -v[156:157]
	v_add_f64 v[174:175], v[174:175], -v[158:159]
	s_waitcnt lgkmcnt(0)
	v_mul_f64 v[156:157], v[238:239], v[178:179]
	v_mul_f64 v[158:159], v[236:237], v[178:179]
	v_fma_f64 v[156:157], v[236:237], v[246:247], -v[156:157]
	v_fmac_f64_e32 v[158:159], v[238:239], v[246:247]
	ds_read2_b64 v[236:239], v248 offset0:36 offset1:37
	v_add_f64 v[168:169], v[168:169], -v[156:157]
	v_add_f64 v[170:171], v[170:171], -v[158:159]
	;; [unrolled: 8-line block ×42, first 2 shown]
	s_waitcnt lgkmcnt(0)
	v_mul_f64 v[156:157], v[238:239], v[178:179]
	v_mul_f64 v[158:159], v[236:237], v[178:179]
	v_fma_f64 v[156:157], v[236:237], v[246:247], -v[156:157]
	v_fmac_f64_e32 v[158:159], v[238:239], v[246:247]
	v_add_f64 v[232:233], v[232:233], -v[156:157]
	v_add_f64 v[234:235], v[234:235], -v[158:159]
.LBB116_335:
	s_or_b64 exec, exec, s[0:1]
	v_lshl_add_u32 v156, v249, 4, v248
	s_barrier
	ds_write2_b64 v156, v[172:173], v[174:175] offset1:1
	s_waitcnt lgkmcnt(0)
	s_barrier
	ds_read2_b64 v[236:239], v248 offset0:32 offset1:33
	s_cmp_lt_i32 s20, 18
	v_mov_b32_e32 v246, 16
	s_cbranch_scc1 .LBB116_338
; %bb.336:
	v_add_u32_e32 v247, 0x110, v248
	s_mov_b32 s0, 17
	v_mov_b32_e32 v246, 16
.LBB116_337:                            ; =>This Inner Loop Header: Depth=1
	ds_read2_b64 v[242:245], v247 offset1:1
	s_waitcnt lgkmcnt(1)
	v_cmp_gt_f64_e32 vcc, 0, v[236:237]
	v_xor_b32_e32 v156, 0x80000000, v237
	v_xor_b32_e32 v158, 0x80000000, v239
	v_cndmask_b32_e32 v157, v237, v156, vcc
	v_cmp_gt_f64_e32 vcc, 0, v[238:239]
	v_mov_b32_e32 v156, v236
	s_waitcnt lgkmcnt(0)
	v_xor_b32_e32 v160, 0x80000000, v245
	v_cndmask_b32_e32 v159, v239, v158, vcc
	v_mov_b32_e32 v158, v238
	v_add_f64 v[156:157], v[156:157], v[158:159]
	v_cmp_gt_f64_e32 vcc, 0, v[242:243]
	v_xor_b32_e32 v158, 0x80000000, v243
	v_add_u32_e32 v247, 16, v247
	v_cndmask_b32_e32 v159, v243, v158, vcc
	v_cmp_gt_f64_e32 vcc, 0, v[244:245]
	v_mov_b32_e32 v158, v242
	s_nop 0
	v_cndmask_b32_e32 v161, v245, v160, vcc
	v_mov_b32_e32 v160, v244
	v_add_f64 v[158:159], v[158:159], v[160:161]
	v_cmp_lt_f64_e32 vcc, v[156:157], v[158:159]
	v_mov_b32_e32 v156, s0
	s_add_i32 s0, s0, 1
	v_cndmask_b32_e32 v237, v237, v243, vcc
	v_cndmask_b32_e32 v236, v236, v242, vcc
	;; [unrolled: 1-line block ×5, first 2 shown]
	s_cmp_lg_u32 s20, s0
	s_cbranch_scc1 .LBB116_337
.LBB116_338:
	s_waitcnt lgkmcnt(0)
	v_cmp_eq_f64_e32 vcc, 0, v[236:237]
	v_cmp_eq_f64_e64 s[0:1], 0, v[238:239]
	s_and_b64 s[0:1], vcc, s[0:1]
	s_and_saveexec_b64 s[16:17], s[0:1]
	s_xor_b64 s[0:1], exec, s[16:17]
; %bb.339:
	v_cmp_ne_u32_e32 vcc, 0, v250
	s_nop 1
	v_cndmask_b32_e32 v250, 17, v250, vcc
; %bb.340:
	s_andn2_saveexec_b64 s[0:1], s[0:1]
	s_cbranch_execz .LBB116_346
; %bb.341:
	v_cmp_ngt_f64_e64 s[16:17], |v[236:237]|, |v[238:239]|
	s_and_saveexec_b64 s[18:19], s[16:17]
	s_xor_b64 s[16:17], exec, s[18:19]
	s_cbranch_execz .LBB116_343
; %bb.342:
	v_div_scale_f64 v[156:157], s[18:19], v[238:239], v[238:239], v[236:237]
	v_rcp_f64_e32 v[158:159], v[156:157]
	v_div_scale_f64 v[160:161], vcc, v[236:237], v[238:239], v[236:237]
	v_fma_f64 v[162:163], -v[156:157], v[158:159], 1.0
	v_fmac_f64_e32 v[158:159], v[158:159], v[162:163]
	v_fma_f64 v[162:163], -v[156:157], v[158:159], 1.0
	v_fmac_f64_e32 v[158:159], v[158:159], v[162:163]
	v_mul_f64 v[162:163], v[160:161], v[158:159]
	v_fma_f64 v[156:157], -v[156:157], v[162:163], v[160:161]
	v_div_fmas_f64 v[156:157], v[156:157], v[158:159], v[162:163]
	v_div_fixup_f64 v[156:157], v[156:157], v[238:239], v[236:237]
	v_fmac_f64_e32 v[238:239], v[236:237], v[156:157]
	v_div_scale_f64 v[158:159], s[18:19], v[238:239], v[238:239], 1.0
	v_rcp_f64_e32 v[160:161], v[158:159]
	s_nop 0
	v_fma_f64 v[162:163], -v[158:159], v[160:161], 1.0
	v_fmac_f64_e32 v[160:161], v[160:161], v[162:163]
	v_fma_f64 v[162:163], -v[158:159], v[160:161], 1.0
	v_fmac_f64_e32 v[160:161], v[160:161], v[162:163]
	v_div_scale_f64 v[162:163], vcc, 1.0, v[238:239], 1.0
	v_mul_f64 v[216:217], v[162:163], v[160:161]
	v_fma_f64 v[158:159], -v[158:159], v[216:217], v[162:163]
	s_nop 1
	v_div_fmas_f64 v[158:159], v[158:159], v[160:161], v[216:217]
	v_div_fixup_f64 v[238:239], v[158:159], v[238:239], 1.0
	v_mul_f64 v[236:237], v[156:157], v[238:239]
	v_xor_b32_e32 v239, 0x80000000, v239
.LBB116_343:
	s_andn2_saveexec_b64 s[16:17], s[16:17]
	s_cbranch_execz .LBB116_345
; %bb.344:
	v_div_scale_f64 v[156:157], s[18:19], v[236:237], v[236:237], v[238:239]
	v_rcp_f64_e32 v[158:159], v[156:157]
	v_div_scale_f64 v[160:161], vcc, v[238:239], v[236:237], v[238:239]
	v_fma_f64 v[162:163], -v[156:157], v[158:159], 1.0
	v_fmac_f64_e32 v[158:159], v[158:159], v[162:163]
	v_fma_f64 v[162:163], -v[156:157], v[158:159], 1.0
	v_fmac_f64_e32 v[158:159], v[158:159], v[162:163]
	v_mul_f64 v[162:163], v[160:161], v[158:159]
	v_fma_f64 v[156:157], -v[156:157], v[162:163], v[160:161]
	v_div_fmas_f64 v[156:157], v[156:157], v[158:159], v[162:163]
	v_div_fixup_f64 v[156:157], v[156:157], v[236:237], v[238:239]
	v_fmac_f64_e32 v[236:237], v[238:239], v[156:157]
	v_div_scale_f64 v[158:159], s[18:19], v[236:237], v[236:237], 1.0
	v_rcp_f64_e32 v[160:161], v[158:159]
	s_nop 0
	v_fma_f64 v[162:163], -v[158:159], v[160:161], 1.0
	v_fmac_f64_e32 v[160:161], v[160:161], v[162:163]
	v_fma_f64 v[162:163], -v[158:159], v[160:161], 1.0
	v_fmac_f64_e32 v[160:161], v[160:161], v[162:163]
	v_div_scale_f64 v[162:163], vcc, 1.0, v[236:237], 1.0
	v_mul_f64 v[216:217], v[162:163], v[160:161]
	v_fma_f64 v[158:159], -v[158:159], v[216:217], v[162:163]
	s_nop 1
	v_div_fmas_f64 v[158:159], v[158:159], v[160:161], v[216:217]
	v_div_fixup_f64 v[236:237], v[158:159], v[236:237], 1.0
	v_mul_f64 v[238:239], v[156:157], -v[236:237]
.LBB116_345:
	s_or_b64 exec, exec, s[16:17]
.LBB116_346:
	s_or_b64 exec, exec, s[0:1]
	v_cmp_ne_u32_e32 vcc, v249, v246
	s_and_saveexec_b64 s[0:1], vcc
	s_xor_b64 s[0:1], exec, s[0:1]
	s_cbranch_execz .LBB116_352
; %bb.347:
	v_cmp_eq_u32_e32 vcc, 16, v249
	s_and_saveexec_b64 s[16:17], vcc
	s_cbranch_execz .LBB116_351
; %bb.348:
	v_cmp_ne_u32_e32 vcc, 16, v246
	s_xor_b64 s[18:19], s[14:15], -1
	s_and_b64 s[22:23], s[18:19], vcc
	s_and_saveexec_b64 s[18:19], s[22:23]
	s_cbranch_execz .LBB116_350
; %bb.349:
	scratch_load_dwordx2 v[8:9], off, off offset:16 ; 8-byte Folded Reload
	v_ashrrev_i32_e32 v247, 31, v246
	s_waitcnt vmcnt(0)
	v_lshl_add_u64 v[156:157], v[246:247], 2, v[8:9]
	global_load_dword v158, v[156:157], off
	global_load_dword v159, v[8:9], off offset:64
	s_waitcnt vmcnt(1)
	global_store_dword v[8:9], v158, off offset:64
	s_waitcnt vmcnt(1)
	global_store_dword v[156:157], v159, off
.LBB116_350:
	s_or_b64 exec, exec, s[18:19]
	v_mov_b32_e32 v249, v246
	v_mov_b32_e32 v218, v246
.LBB116_351:
	s_or_b64 exec, exec, s[16:17]
.LBB116_352:
	s_andn2_saveexec_b64 s[0:1], s[0:1]
	s_cbranch_execz .LBB116_354
; %bb.353:
	v_mov_b32_e32 v249, 16
	ds_write2_b64 v248, v[168:169], v[170:171] offset0:34 offset1:35
	ds_write2_b64 v248, v[164:165], v[166:167] offset0:36 offset1:37
	;; [unrolled: 1-line block ×42, first 2 shown]
.LBB116_354:
	s_or_b64 exec, exec, s[0:1]
	v_cmp_lt_i32_e32 vcc, 16, v249
	s_waitcnt lgkmcnt(0)
	s_barrier
	s_and_saveexec_b64 s[0:1], vcc
	s_cbranch_execz .LBB116_356
; %bb.355:
	v_mul_f64 v[156:157], v[238:239], v[174:175]
	v_mul_f64 v[174:175], v[236:237], v[174:175]
	v_fma_f64 v[246:247], v[236:237], v[172:173], -v[156:157]
	v_fmac_f64_e32 v[174:175], v[238:239], v[172:173]
	ds_read2_b64 v[236:239], v248 offset0:34 offset1:35
	v_mov_b64_e32 v[172:173], v[246:247]
	s_waitcnt lgkmcnt(0)
	v_mul_f64 v[156:157], v[238:239], v[174:175]
	v_mul_f64 v[158:159], v[236:237], v[174:175]
	v_fma_f64 v[156:157], v[236:237], v[246:247], -v[156:157]
	v_fmac_f64_e32 v[158:159], v[238:239], v[246:247]
	ds_read2_b64 v[236:239], v248 offset0:36 offset1:37
	v_add_f64 v[168:169], v[168:169], -v[156:157]
	v_add_f64 v[170:171], v[170:171], -v[158:159]
	s_waitcnt lgkmcnt(0)
	v_mul_f64 v[156:157], v[238:239], v[174:175]
	v_mul_f64 v[158:159], v[236:237], v[174:175]
	v_fma_f64 v[156:157], v[236:237], v[246:247], -v[156:157]
	v_fmac_f64_e32 v[158:159], v[238:239], v[246:247]
	ds_read2_b64 v[236:239], v248 offset0:38 offset1:39
	v_add_f64 v[164:165], v[164:165], -v[156:157]
	v_add_f64 v[166:167], v[166:167], -v[158:159]
	s_waitcnt lgkmcnt(0)
	v_mul_f64 v[156:157], v[238:239], v[174:175]
	v_mul_f64 v[158:159], v[236:237], v[174:175]
	v_fma_f64 v[156:157], v[236:237], v[246:247], -v[156:157]
	v_fmac_f64_e32 v[158:159], v[238:239], v[246:247]
	ds_read2_b64 v[236:239], v248 offset0:40 offset1:41
	v_add_f64 v[208:209], v[208:209], -v[156:157]
	v_add_f64 v[210:211], v[210:211], -v[158:159]
	s_waitcnt lgkmcnt(0)
	v_mul_f64 v[156:157], v[238:239], v[174:175]
	v_mul_f64 v[158:159], v[236:237], v[174:175]
	v_fma_f64 v[156:157], v[236:237], v[246:247], -v[156:157]
	v_fmac_f64_e32 v[158:159], v[238:239], v[246:247]
	ds_read2_b64 v[236:239], v248 offset0:42 offset1:43
	v_add_f64 v[148:149], v[148:149], -v[156:157]
	v_add_f64 v[150:151], v[150:151], -v[158:159]
	s_waitcnt lgkmcnt(0)
	v_mul_f64 v[156:157], v[238:239], v[174:175]
	v_mul_f64 v[158:159], v[236:237], v[174:175]
	v_fma_f64 v[156:157], v[236:237], v[246:247], -v[156:157]
	v_fmac_f64_e32 v[158:159], v[238:239], v[246:247]
	ds_read2_b64 v[236:239], v248 offset0:44 offset1:45
	v_add_f64 v[144:145], v[144:145], -v[156:157]
	v_add_f64 v[146:147], v[146:147], -v[158:159]
	s_waitcnt lgkmcnt(0)
	v_mul_f64 v[156:157], v[238:239], v[174:175]
	v_mul_f64 v[158:159], v[236:237], v[174:175]
	v_fma_f64 v[156:157], v[236:237], v[246:247], -v[156:157]
	v_fmac_f64_e32 v[158:159], v[238:239], v[246:247]
	ds_read2_b64 v[236:239], v248 offset0:46 offset1:47
	v_add_f64 v[140:141], v[140:141], -v[156:157]
	v_add_f64 v[142:143], v[142:143], -v[158:159]
	s_waitcnt lgkmcnt(0)
	v_mul_f64 v[156:157], v[238:239], v[174:175]
	v_mul_f64 v[158:159], v[236:237], v[174:175]
	v_fma_f64 v[156:157], v[236:237], v[246:247], -v[156:157]
	v_fmac_f64_e32 v[158:159], v[238:239], v[246:247]
	ds_read2_b64 v[236:239], v248 offset0:48 offset1:49
	v_add_f64 v[136:137], v[136:137], -v[156:157]
	v_add_f64 v[138:139], v[138:139], -v[158:159]
	s_waitcnt lgkmcnt(0)
	v_mul_f64 v[156:157], v[238:239], v[174:175]
	v_mul_f64 v[158:159], v[236:237], v[174:175]
	v_fma_f64 v[156:157], v[236:237], v[246:247], -v[156:157]
	v_fmac_f64_e32 v[158:159], v[238:239], v[246:247]
	ds_read2_b64 v[236:239], v248 offset0:50 offset1:51
	v_add_f64 v[132:133], v[132:133], -v[156:157]
	v_add_f64 v[134:135], v[134:135], -v[158:159]
	s_waitcnt lgkmcnt(0)
	v_mul_f64 v[156:157], v[238:239], v[174:175]
	v_mul_f64 v[158:159], v[236:237], v[174:175]
	v_fma_f64 v[156:157], v[236:237], v[246:247], -v[156:157]
	v_fmac_f64_e32 v[158:159], v[238:239], v[246:247]
	ds_read2_b64 v[236:239], v248 offset0:52 offset1:53
	v_add_f64 v[128:129], v[128:129], -v[156:157]
	v_add_f64 v[130:131], v[130:131], -v[158:159]
	s_waitcnt lgkmcnt(0)
	v_mul_f64 v[156:157], v[238:239], v[174:175]
	v_mul_f64 v[158:159], v[236:237], v[174:175]
	v_fma_f64 v[156:157], v[236:237], v[246:247], -v[156:157]
	v_fmac_f64_e32 v[158:159], v[238:239], v[246:247]
	ds_read2_b64 v[236:239], v248 offset0:54 offset1:55
	v_add_f64 v[124:125], v[124:125], -v[156:157]
	v_add_f64 v[126:127], v[126:127], -v[158:159]
	s_waitcnt lgkmcnt(0)
	v_mul_f64 v[156:157], v[238:239], v[174:175]
	v_mul_f64 v[158:159], v[236:237], v[174:175]
	v_fma_f64 v[156:157], v[236:237], v[246:247], -v[156:157]
	v_fmac_f64_e32 v[158:159], v[238:239], v[246:247]
	ds_read2_b64 v[236:239], v248 offset0:56 offset1:57
	v_add_f64 v[120:121], v[120:121], -v[156:157]
	v_add_f64 v[122:123], v[122:123], -v[158:159]
	s_waitcnt lgkmcnt(0)
	v_mul_f64 v[156:157], v[238:239], v[174:175]
	v_mul_f64 v[158:159], v[236:237], v[174:175]
	v_fma_f64 v[156:157], v[236:237], v[246:247], -v[156:157]
	v_fmac_f64_e32 v[158:159], v[238:239], v[246:247]
	ds_read2_b64 v[236:239], v248 offset0:58 offset1:59
	v_add_f64 v[116:117], v[116:117], -v[156:157]
	v_add_f64 v[118:119], v[118:119], -v[158:159]
	s_waitcnt lgkmcnt(0)
	v_mul_f64 v[156:157], v[238:239], v[174:175]
	v_mul_f64 v[158:159], v[236:237], v[174:175]
	v_fma_f64 v[156:157], v[236:237], v[246:247], -v[156:157]
	v_fmac_f64_e32 v[158:159], v[238:239], v[246:247]
	ds_read2_b64 v[236:239], v248 offset0:60 offset1:61
	v_add_f64 v[112:113], v[112:113], -v[156:157]
	v_add_f64 v[114:115], v[114:115], -v[158:159]
	s_waitcnt lgkmcnt(0)
	v_mul_f64 v[156:157], v[238:239], v[174:175]
	v_mul_f64 v[158:159], v[236:237], v[174:175]
	v_fma_f64 v[156:157], v[236:237], v[246:247], -v[156:157]
	v_fmac_f64_e32 v[158:159], v[238:239], v[246:247]
	ds_read2_b64 v[236:239], v248 offset0:62 offset1:63
	v_add_f64 v[108:109], v[108:109], -v[156:157]
	v_add_f64 v[110:111], v[110:111], -v[158:159]
	s_waitcnt lgkmcnt(0)
	v_mul_f64 v[156:157], v[238:239], v[174:175]
	v_mul_f64 v[158:159], v[236:237], v[174:175]
	v_fma_f64 v[156:157], v[236:237], v[246:247], -v[156:157]
	v_fmac_f64_e32 v[158:159], v[238:239], v[246:247]
	ds_read2_b64 v[236:239], v248 offset0:64 offset1:65
	v_add_f64 v[104:105], v[104:105], -v[156:157]
	v_add_f64 v[106:107], v[106:107], -v[158:159]
	s_waitcnt lgkmcnt(0)
	v_mul_f64 v[156:157], v[238:239], v[174:175]
	v_mul_f64 v[158:159], v[236:237], v[174:175]
	v_fma_f64 v[156:157], v[236:237], v[246:247], -v[156:157]
	v_fmac_f64_e32 v[158:159], v[238:239], v[246:247]
	ds_read2_b64 v[236:239], v248 offset0:66 offset1:67
	v_add_f64 v[100:101], v[100:101], -v[156:157]
	v_add_f64 v[102:103], v[102:103], -v[158:159]
	s_waitcnt lgkmcnt(0)
	v_mul_f64 v[156:157], v[238:239], v[174:175]
	v_mul_f64 v[158:159], v[236:237], v[174:175]
	v_fma_f64 v[156:157], v[236:237], v[246:247], -v[156:157]
	v_fmac_f64_e32 v[158:159], v[238:239], v[246:247]
	ds_read2_b64 v[236:239], v248 offset0:68 offset1:69
	v_add_f64 v[96:97], v[96:97], -v[156:157]
	v_add_f64 v[98:99], v[98:99], -v[158:159]
	s_waitcnt lgkmcnt(0)
	v_mul_f64 v[156:157], v[238:239], v[174:175]
	v_mul_f64 v[158:159], v[236:237], v[174:175]
	v_fma_f64 v[156:157], v[236:237], v[246:247], -v[156:157]
	v_fmac_f64_e32 v[158:159], v[238:239], v[246:247]
	ds_read2_b64 v[236:239], v248 offset0:70 offset1:71
	v_add_f64 v[92:93], v[92:93], -v[156:157]
	v_add_f64 v[94:95], v[94:95], -v[158:159]
	s_waitcnt lgkmcnt(0)
	v_mul_f64 v[156:157], v[238:239], v[174:175]
	v_mul_f64 v[158:159], v[236:237], v[174:175]
	v_fma_f64 v[156:157], v[236:237], v[246:247], -v[156:157]
	v_fmac_f64_e32 v[158:159], v[238:239], v[246:247]
	ds_read2_b64 v[236:239], v248 offset0:72 offset1:73
	v_add_f64 v[88:89], v[88:89], -v[156:157]
	v_add_f64 v[90:91], v[90:91], -v[158:159]
	s_waitcnt lgkmcnt(0)
	v_mul_f64 v[156:157], v[238:239], v[174:175]
	v_mul_f64 v[158:159], v[236:237], v[174:175]
	v_fma_f64 v[156:157], v[236:237], v[246:247], -v[156:157]
	v_fmac_f64_e32 v[158:159], v[238:239], v[246:247]
	ds_read2_b64 v[236:239], v248 offset0:74 offset1:75
	v_add_f64 v[84:85], v[84:85], -v[156:157]
	v_add_f64 v[86:87], v[86:87], -v[158:159]
	s_waitcnt lgkmcnt(0)
	v_mul_f64 v[156:157], v[238:239], v[174:175]
	v_mul_f64 v[158:159], v[236:237], v[174:175]
	v_fma_f64 v[156:157], v[236:237], v[246:247], -v[156:157]
	v_fmac_f64_e32 v[158:159], v[238:239], v[246:247]
	ds_read2_b64 v[236:239], v248 offset0:76 offset1:77
	v_add_f64 v[80:81], v[80:81], -v[156:157]
	v_add_f64 v[82:83], v[82:83], -v[158:159]
	s_waitcnt lgkmcnt(0)
	v_mul_f64 v[156:157], v[238:239], v[174:175]
	v_mul_f64 v[158:159], v[236:237], v[174:175]
	v_fma_f64 v[156:157], v[236:237], v[246:247], -v[156:157]
	v_fmac_f64_e32 v[158:159], v[238:239], v[246:247]
	ds_read2_b64 v[236:239], v248 offset0:78 offset1:79
	v_add_f64 v[76:77], v[76:77], -v[156:157]
	v_add_f64 v[78:79], v[78:79], -v[158:159]
	s_waitcnt lgkmcnt(0)
	v_mul_f64 v[156:157], v[238:239], v[174:175]
	v_mul_f64 v[158:159], v[236:237], v[174:175]
	v_fma_f64 v[156:157], v[236:237], v[246:247], -v[156:157]
	v_fmac_f64_e32 v[158:159], v[238:239], v[246:247]
	ds_read2_b64 v[236:239], v248 offset0:80 offset1:81
	v_add_f64 v[72:73], v[72:73], -v[156:157]
	v_add_f64 v[74:75], v[74:75], -v[158:159]
	s_waitcnt lgkmcnt(0)
	v_mul_f64 v[156:157], v[238:239], v[174:175]
	v_mul_f64 v[158:159], v[236:237], v[174:175]
	v_fma_f64 v[156:157], v[236:237], v[246:247], -v[156:157]
	v_fmac_f64_e32 v[158:159], v[238:239], v[246:247]
	ds_read2_b64 v[236:239], v248 offset0:82 offset1:83
	v_add_f64 v[68:69], v[68:69], -v[156:157]
	v_add_f64 v[70:71], v[70:71], -v[158:159]
	s_waitcnt lgkmcnt(0)
	v_mul_f64 v[156:157], v[238:239], v[174:175]
	v_mul_f64 v[158:159], v[236:237], v[174:175]
	v_fma_f64 v[156:157], v[236:237], v[246:247], -v[156:157]
	v_fmac_f64_e32 v[158:159], v[238:239], v[246:247]
	ds_read2_b64 v[236:239], v248 offset0:84 offset1:85
	v_add_f64 v[64:65], v[64:65], -v[156:157]
	v_add_f64 v[66:67], v[66:67], -v[158:159]
	s_waitcnt lgkmcnt(0)
	v_mul_f64 v[156:157], v[238:239], v[174:175]
	v_mul_f64 v[158:159], v[236:237], v[174:175]
	v_fma_f64 v[156:157], v[236:237], v[246:247], -v[156:157]
	v_fmac_f64_e32 v[158:159], v[238:239], v[246:247]
	ds_read2_b64 v[236:239], v248 offset0:86 offset1:87
	v_add_f64 v[60:61], v[60:61], -v[156:157]
	v_add_f64 v[62:63], v[62:63], -v[158:159]
	s_waitcnt lgkmcnt(0)
	v_mul_f64 v[156:157], v[238:239], v[174:175]
	v_mul_f64 v[158:159], v[236:237], v[174:175]
	v_fma_f64 v[156:157], v[236:237], v[246:247], -v[156:157]
	v_fmac_f64_e32 v[158:159], v[238:239], v[246:247]
	ds_read2_b64 v[236:239], v248 offset0:88 offset1:89
	v_add_f64 v[56:57], v[56:57], -v[156:157]
	v_add_f64 v[58:59], v[58:59], -v[158:159]
	s_waitcnt lgkmcnt(0)
	v_mul_f64 v[156:157], v[238:239], v[174:175]
	v_mul_f64 v[158:159], v[236:237], v[174:175]
	v_fma_f64 v[156:157], v[236:237], v[246:247], -v[156:157]
	v_fmac_f64_e32 v[158:159], v[238:239], v[246:247]
	ds_read2_b64 v[236:239], v248 offset0:90 offset1:91
	v_add_f64 v[52:53], v[52:53], -v[156:157]
	v_add_f64 v[54:55], v[54:55], -v[158:159]
	s_waitcnt lgkmcnt(0)
	v_mul_f64 v[156:157], v[238:239], v[174:175]
	v_mul_f64 v[158:159], v[236:237], v[174:175]
	v_fma_f64 v[156:157], v[236:237], v[246:247], -v[156:157]
	v_fmac_f64_e32 v[158:159], v[238:239], v[246:247]
	ds_read2_b64 v[236:239], v248 offset0:92 offset1:93
	v_add_f64 v[48:49], v[48:49], -v[156:157]
	v_add_f64 v[50:51], v[50:51], -v[158:159]
	s_waitcnt lgkmcnt(0)
	v_mul_f64 v[156:157], v[238:239], v[174:175]
	v_mul_f64 v[158:159], v[236:237], v[174:175]
	v_fma_f64 v[156:157], v[236:237], v[246:247], -v[156:157]
	v_fmac_f64_e32 v[158:159], v[238:239], v[246:247]
	ds_read2_b64 v[236:239], v248 offset0:94 offset1:95
	v_add_f64 v[44:45], v[44:45], -v[156:157]
	v_add_f64 v[46:47], v[46:47], -v[158:159]
	s_waitcnt lgkmcnt(0)
	v_mul_f64 v[156:157], v[238:239], v[174:175]
	v_mul_f64 v[158:159], v[236:237], v[174:175]
	v_fma_f64 v[156:157], v[236:237], v[246:247], -v[156:157]
	v_fmac_f64_e32 v[158:159], v[238:239], v[246:247]
	ds_read2_b64 v[236:239], v248 offset0:96 offset1:97
	v_add_f64 v[40:41], v[40:41], -v[156:157]
	v_add_f64 v[42:43], v[42:43], -v[158:159]
	s_waitcnt lgkmcnt(0)
	v_mul_f64 v[156:157], v[238:239], v[174:175]
	v_mul_f64 v[158:159], v[236:237], v[174:175]
	v_fma_f64 v[156:157], v[236:237], v[246:247], -v[156:157]
	v_fmac_f64_e32 v[158:159], v[238:239], v[246:247]
	ds_read2_b64 v[236:239], v248 offset0:98 offset1:99
	v_add_f64 v[36:37], v[36:37], -v[156:157]
	v_add_f64 v[38:39], v[38:39], -v[158:159]
	s_waitcnt lgkmcnt(0)
	v_mul_f64 v[156:157], v[238:239], v[174:175]
	v_mul_f64 v[158:159], v[236:237], v[174:175]
	v_fma_f64 v[156:157], v[236:237], v[246:247], -v[156:157]
	v_fmac_f64_e32 v[158:159], v[238:239], v[246:247]
	ds_read2_b64 v[236:239], v248 offset0:100 offset1:101
	v_add_f64 v[32:33], v[32:33], -v[156:157]
	v_add_f64 v[34:35], v[34:35], -v[158:159]
	s_waitcnt lgkmcnt(0)
	v_mul_f64 v[156:157], v[238:239], v[174:175]
	v_mul_f64 v[158:159], v[236:237], v[174:175]
	v_fma_f64 v[156:157], v[236:237], v[246:247], -v[156:157]
	v_fmac_f64_e32 v[158:159], v[238:239], v[246:247]
	ds_read2_b64 v[236:239], v248 offset0:102 offset1:103
	v_add_f64 v[28:29], v[28:29], -v[156:157]
	v_add_f64 v[30:31], v[30:31], -v[158:159]
	s_waitcnt lgkmcnt(0)
	v_mul_f64 v[156:157], v[238:239], v[174:175]
	v_mul_f64 v[158:159], v[236:237], v[174:175]
	v_fma_f64 v[156:157], v[236:237], v[246:247], -v[156:157]
	v_fmac_f64_e32 v[158:159], v[238:239], v[246:247]
	ds_read2_b64 v[236:239], v248 offset0:104 offset1:105
	v_add_f64 v[24:25], v[24:25], -v[156:157]
	v_add_f64 v[26:27], v[26:27], -v[158:159]
	s_waitcnt lgkmcnt(0)
	v_mul_f64 v[156:157], v[238:239], v[174:175]
	v_mul_f64 v[158:159], v[236:237], v[174:175]
	v_fma_f64 v[156:157], v[236:237], v[246:247], -v[156:157]
	v_fmac_f64_e32 v[158:159], v[238:239], v[246:247]
	ds_read2_b64 v[236:239], v248 offset0:106 offset1:107
	v_add_f64 v[20:21], v[20:21], -v[156:157]
	v_add_f64 v[22:23], v[22:23], -v[158:159]
	s_waitcnt lgkmcnt(0)
	v_mul_f64 v[156:157], v[238:239], v[174:175]
	v_mul_f64 v[158:159], v[236:237], v[174:175]
	v_fma_f64 v[156:157], v[236:237], v[246:247], -v[156:157]
	v_fmac_f64_e32 v[158:159], v[238:239], v[246:247]
	ds_read2_b64 v[236:239], v248 offset0:108 offset1:109
	v_add_f64 v[16:17], v[16:17], -v[156:157]
	v_add_f64 v[18:19], v[18:19], -v[158:159]
	s_waitcnt lgkmcnt(0)
	v_mul_f64 v[156:157], v[238:239], v[174:175]
	v_mul_f64 v[158:159], v[236:237], v[174:175]
	v_fma_f64 v[156:157], v[236:237], v[246:247], -v[156:157]
	v_fmac_f64_e32 v[158:159], v[238:239], v[246:247]
	ds_read2_b64 v[236:239], v248 offset0:110 offset1:111
	v_add_f64 v[12:13], v[12:13], -v[156:157]
	v_add_f64 v[14:15], v[14:15], -v[158:159]
	s_waitcnt lgkmcnt(0)
	v_mul_f64 v[156:157], v[238:239], v[174:175]
	v_mul_f64 v[158:159], v[236:237], v[174:175]
	v_fma_f64 v[156:157], v[236:237], v[246:247], -v[156:157]
	v_fmac_f64_e32 v[158:159], v[238:239], v[246:247]
	ds_read2_b64 v[236:239], v248 offset0:112 offset1:113
	v_add_f64 v[252:253], v[252:253], -v[156:157]
	v_add_f64 v[254:255], v[254:255], -v[158:159]
	s_waitcnt lgkmcnt(0)
	v_mul_f64 v[156:157], v[238:239], v[174:175]
	v_mul_f64 v[158:159], v[236:237], v[174:175]
	v_fma_f64 v[156:157], v[236:237], v[246:247], -v[156:157]
	v_fmac_f64_e32 v[158:159], v[238:239], v[246:247]
	ds_read2_b64 v[236:239], v248 offset0:114 offset1:115
	v_add_f64 v[224:225], v[224:225], -v[156:157]
	v_add_f64 v[226:227], v[226:227], -v[158:159]
	s_waitcnt lgkmcnt(0)
	v_mul_f64 v[156:157], v[238:239], v[174:175]
	v_mul_f64 v[158:159], v[236:237], v[174:175]
	v_fma_f64 v[156:157], v[236:237], v[246:247], -v[156:157]
	v_fmac_f64_e32 v[158:159], v[238:239], v[246:247]
	ds_read2_b64 v[236:239], v248 offset0:116 offset1:117
	v_add_f64 v[220:221], v[220:221], -v[156:157]
	v_add_f64 v[222:223], v[222:223], -v[158:159]
	s_waitcnt lgkmcnt(0)
	v_mul_f64 v[156:157], v[238:239], v[174:175]
	v_mul_f64 v[158:159], v[236:237], v[174:175]
	v_fma_f64 v[156:157], v[236:237], v[246:247], -v[156:157]
	v_fmac_f64_e32 v[158:159], v[238:239], v[246:247]
	v_add_f64 v[232:233], v[232:233], -v[156:157]
	v_add_f64 v[234:235], v[234:235], -v[158:159]
.LBB116_356:
	s_or_b64 exec, exec, s[0:1]
	v_lshl_add_u32 v156, v249, 4, v248
	s_barrier
	ds_write2_b64 v156, v[168:169], v[170:171] offset1:1
	s_waitcnt lgkmcnt(0)
	s_barrier
	ds_read2_b64 v[236:239], v248 offset0:34 offset1:35
	s_cmp_lt_i32 s20, 19
	v_mov_b32_e32 v246, 17
	s_cbranch_scc1 .LBB116_359
; %bb.357:
	v_add_u32_e32 v247, 0x120, v248
	s_mov_b32 s0, 18
	v_mov_b32_e32 v246, 17
.LBB116_358:                            ; =>This Inner Loop Header: Depth=1
	ds_read2_b64 v[242:245], v247 offset1:1
	s_waitcnt lgkmcnt(1)
	v_cmp_gt_f64_e32 vcc, 0, v[236:237]
	v_xor_b32_e32 v156, 0x80000000, v237
	v_xor_b32_e32 v158, 0x80000000, v239
	v_cndmask_b32_e32 v157, v237, v156, vcc
	v_cmp_gt_f64_e32 vcc, 0, v[238:239]
	v_mov_b32_e32 v156, v236
	s_waitcnt lgkmcnt(0)
	v_xor_b32_e32 v160, 0x80000000, v245
	v_cndmask_b32_e32 v159, v239, v158, vcc
	v_mov_b32_e32 v158, v238
	v_add_f64 v[156:157], v[156:157], v[158:159]
	v_cmp_gt_f64_e32 vcc, 0, v[242:243]
	v_xor_b32_e32 v158, 0x80000000, v243
	v_add_u32_e32 v247, 16, v247
	v_cndmask_b32_e32 v159, v243, v158, vcc
	v_cmp_gt_f64_e32 vcc, 0, v[244:245]
	v_mov_b32_e32 v158, v242
	s_nop 0
	v_cndmask_b32_e32 v161, v245, v160, vcc
	v_mov_b32_e32 v160, v244
	v_add_f64 v[158:159], v[158:159], v[160:161]
	v_cmp_lt_f64_e32 vcc, v[156:157], v[158:159]
	v_mov_b32_e32 v156, s0
	s_add_i32 s0, s0, 1
	v_cndmask_b32_e32 v237, v237, v243, vcc
	v_cndmask_b32_e32 v236, v236, v242, vcc
	;; [unrolled: 1-line block ×5, first 2 shown]
	s_cmp_lg_u32 s20, s0
	s_cbranch_scc1 .LBB116_358
.LBB116_359:
	s_waitcnt lgkmcnt(0)
	v_cmp_eq_f64_e32 vcc, 0, v[236:237]
	v_cmp_eq_f64_e64 s[0:1], 0, v[238:239]
	s_and_b64 s[0:1], vcc, s[0:1]
	s_and_saveexec_b64 s[16:17], s[0:1]
	s_xor_b64 s[0:1], exec, s[16:17]
; %bb.360:
	v_cmp_ne_u32_e32 vcc, 0, v250
	s_nop 1
	v_cndmask_b32_e32 v250, 18, v250, vcc
; %bb.361:
	s_andn2_saveexec_b64 s[0:1], s[0:1]
	s_cbranch_execz .LBB116_367
; %bb.362:
	v_cmp_ngt_f64_e64 s[16:17], |v[236:237]|, |v[238:239]|
	s_and_saveexec_b64 s[18:19], s[16:17]
	s_xor_b64 s[16:17], exec, s[18:19]
	s_cbranch_execz .LBB116_364
; %bb.363:
	v_div_scale_f64 v[156:157], s[18:19], v[238:239], v[238:239], v[236:237]
	v_rcp_f64_e32 v[158:159], v[156:157]
	v_div_scale_f64 v[160:161], vcc, v[236:237], v[238:239], v[236:237]
	v_fma_f64 v[162:163], -v[156:157], v[158:159], 1.0
	v_fmac_f64_e32 v[158:159], v[158:159], v[162:163]
	v_fma_f64 v[162:163], -v[156:157], v[158:159], 1.0
	v_fmac_f64_e32 v[158:159], v[158:159], v[162:163]
	v_mul_f64 v[162:163], v[160:161], v[158:159]
	v_fma_f64 v[156:157], -v[156:157], v[162:163], v[160:161]
	v_div_fmas_f64 v[156:157], v[156:157], v[158:159], v[162:163]
	v_div_fixup_f64 v[156:157], v[156:157], v[238:239], v[236:237]
	v_fmac_f64_e32 v[238:239], v[236:237], v[156:157]
	v_div_scale_f64 v[158:159], s[18:19], v[238:239], v[238:239], 1.0
	v_rcp_f64_e32 v[160:161], v[158:159]
	s_nop 0
	v_fma_f64 v[162:163], -v[158:159], v[160:161], 1.0
	v_fmac_f64_e32 v[160:161], v[160:161], v[162:163]
	v_fma_f64 v[162:163], -v[158:159], v[160:161], 1.0
	v_fmac_f64_e32 v[160:161], v[160:161], v[162:163]
	v_div_scale_f64 v[162:163], vcc, 1.0, v[238:239], 1.0
	v_mul_f64 v[216:217], v[162:163], v[160:161]
	v_fma_f64 v[158:159], -v[158:159], v[216:217], v[162:163]
	s_nop 1
	v_div_fmas_f64 v[158:159], v[158:159], v[160:161], v[216:217]
	v_div_fixup_f64 v[238:239], v[158:159], v[238:239], 1.0
	v_mul_f64 v[236:237], v[156:157], v[238:239]
	v_xor_b32_e32 v239, 0x80000000, v239
.LBB116_364:
	s_andn2_saveexec_b64 s[16:17], s[16:17]
	s_cbranch_execz .LBB116_366
; %bb.365:
	v_div_scale_f64 v[156:157], s[18:19], v[236:237], v[236:237], v[238:239]
	v_rcp_f64_e32 v[158:159], v[156:157]
	v_div_scale_f64 v[160:161], vcc, v[238:239], v[236:237], v[238:239]
	v_fma_f64 v[162:163], -v[156:157], v[158:159], 1.0
	v_fmac_f64_e32 v[158:159], v[158:159], v[162:163]
	v_fma_f64 v[162:163], -v[156:157], v[158:159], 1.0
	v_fmac_f64_e32 v[158:159], v[158:159], v[162:163]
	v_mul_f64 v[162:163], v[160:161], v[158:159]
	v_fma_f64 v[156:157], -v[156:157], v[162:163], v[160:161]
	v_div_fmas_f64 v[156:157], v[156:157], v[158:159], v[162:163]
	v_div_fixup_f64 v[156:157], v[156:157], v[236:237], v[238:239]
	v_fmac_f64_e32 v[236:237], v[238:239], v[156:157]
	v_div_scale_f64 v[158:159], s[18:19], v[236:237], v[236:237], 1.0
	v_rcp_f64_e32 v[160:161], v[158:159]
	s_nop 0
	v_fma_f64 v[162:163], -v[158:159], v[160:161], 1.0
	v_fmac_f64_e32 v[160:161], v[160:161], v[162:163]
	v_fma_f64 v[162:163], -v[158:159], v[160:161], 1.0
	v_fmac_f64_e32 v[160:161], v[160:161], v[162:163]
	v_div_scale_f64 v[162:163], vcc, 1.0, v[236:237], 1.0
	v_mul_f64 v[216:217], v[162:163], v[160:161]
	v_fma_f64 v[158:159], -v[158:159], v[216:217], v[162:163]
	s_nop 1
	v_div_fmas_f64 v[158:159], v[158:159], v[160:161], v[216:217]
	v_div_fixup_f64 v[236:237], v[158:159], v[236:237], 1.0
	v_mul_f64 v[238:239], v[156:157], -v[236:237]
.LBB116_366:
	s_or_b64 exec, exec, s[16:17]
.LBB116_367:
	s_or_b64 exec, exec, s[0:1]
	v_cmp_ne_u32_e32 vcc, v249, v246
	s_and_saveexec_b64 s[0:1], vcc
	s_xor_b64 s[0:1], exec, s[0:1]
	s_cbranch_execz .LBB116_373
; %bb.368:
	v_cmp_eq_u32_e32 vcc, 17, v249
	s_and_saveexec_b64 s[16:17], vcc
	s_cbranch_execz .LBB116_372
; %bb.369:
	v_cmp_ne_u32_e32 vcc, 17, v246
	s_xor_b64 s[18:19], s[14:15], -1
	s_and_b64 s[22:23], s[18:19], vcc
	s_and_saveexec_b64 s[18:19], s[22:23]
	s_cbranch_execz .LBB116_371
; %bb.370:
	scratch_load_dwordx2 v[8:9], off, off offset:16 ; 8-byte Folded Reload
	v_ashrrev_i32_e32 v247, 31, v246
	s_waitcnt vmcnt(0)
	v_lshl_add_u64 v[156:157], v[246:247], 2, v[8:9]
	global_load_dword v158, v[156:157], off
	global_load_dword v159, v[8:9], off offset:68
	s_waitcnt vmcnt(1)
	global_store_dword v[8:9], v158, off offset:68
	s_waitcnt vmcnt(1)
	global_store_dword v[156:157], v159, off
.LBB116_371:
	s_or_b64 exec, exec, s[18:19]
	v_mov_b32_e32 v249, v246
	v_mov_b32_e32 v218, v246
.LBB116_372:
	s_or_b64 exec, exec, s[16:17]
.LBB116_373:
	s_andn2_saveexec_b64 s[0:1], s[0:1]
	s_cbranch_execz .LBB116_375
; %bb.374:
	v_mov_b32_e32 v249, 17
	ds_write2_b64 v248, v[164:165], v[166:167] offset0:36 offset1:37
	ds_write2_b64 v248, v[208:209], v[210:211] offset0:38 offset1:39
	;; [unrolled: 1-line block ×41, first 2 shown]
.LBB116_375:
	s_or_b64 exec, exec, s[0:1]
	v_cmp_lt_i32_e32 vcc, 17, v249
	s_waitcnt lgkmcnt(0)
	s_barrier
	s_and_saveexec_b64 s[0:1], vcc
	s_cbranch_execz .LBB116_377
; %bb.376:
	v_mul_f64 v[156:157], v[238:239], v[170:171]
	v_mul_f64 v[170:171], v[236:237], v[170:171]
	v_fma_f64 v[246:247], v[236:237], v[168:169], -v[156:157]
	v_fmac_f64_e32 v[170:171], v[238:239], v[168:169]
	ds_read2_b64 v[236:239], v248 offset0:36 offset1:37
	v_mov_b64_e32 v[168:169], v[246:247]
	s_waitcnt lgkmcnt(0)
	v_mul_f64 v[156:157], v[238:239], v[170:171]
	v_mul_f64 v[158:159], v[236:237], v[170:171]
	v_fma_f64 v[156:157], v[236:237], v[246:247], -v[156:157]
	v_fmac_f64_e32 v[158:159], v[238:239], v[246:247]
	ds_read2_b64 v[236:239], v248 offset0:38 offset1:39
	v_add_f64 v[164:165], v[164:165], -v[156:157]
	v_add_f64 v[166:167], v[166:167], -v[158:159]
	s_waitcnt lgkmcnt(0)
	v_mul_f64 v[156:157], v[238:239], v[170:171]
	v_mul_f64 v[158:159], v[236:237], v[170:171]
	v_fma_f64 v[156:157], v[236:237], v[246:247], -v[156:157]
	v_fmac_f64_e32 v[158:159], v[238:239], v[246:247]
	ds_read2_b64 v[236:239], v248 offset0:40 offset1:41
	v_add_f64 v[208:209], v[208:209], -v[156:157]
	v_add_f64 v[210:211], v[210:211], -v[158:159]
	;; [unrolled: 8-line block ×40, first 2 shown]
	s_waitcnt lgkmcnt(0)
	v_mul_f64 v[156:157], v[238:239], v[170:171]
	v_mul_f64 v[158:159], v[236:237], v[170:171]
	v_fma_f64 v[156:157], v[236:237], v[246:247], -v[156:157]
	v_fmac_f64_e32 v[158:159], v[238:239], v[246:247]
	v_add_f64 v[232:233], v[232:233], -v[156:157]
	v_add_f64 v[234:235], v[234:235], -v[158:159]
.LBB116_377:
	s_or_b64 exec, exec, s[0:1]
	v_lshl_add_u32 v156, v249, 4, v248
	s_barrier
	ds_write2_b64 v156, v[164:165], v[166:167] offset1:1
	s_waitcnt lgkmcnt(0)
	s_barrier
	ds_read2_b64 v[236:239], v248 offset0:36 offset1:37
	s_cmp_lt_i32 s20, 20
	v_mov_b32_e32 v246, 18
	s_cbranch_scc1 .LBB116_380
; %bb.378:
	v_add_u32_e32 v247, 0x130, v248
	s_mov_b32 s0, 19
	v_mov_b32_e32 v246, 18
.LBB116_379:                            ; =>This Inner Loop Header: Depth=1
	ds_read2_b64 v[242:245], v247 offset1:1
	s_waitcnt lgkmcnt(1)
	v_cmp_gt_f64_e32 vcc, 0, v[236:237]
	v_xor_b32_e32 v156, 0x80000000, v237
	v_xor_b32_e32 v158, 0x80000000, v239
	v_cndmask_b32_e32 v157, v237, v156, vcc
	v_cmp_gt_f64_e32 vcc, 0, v[238:239]
	v_mov_b32_e32 v156, v236
	s_waitcnt lgkmcnt(0)
	v_xor_b32_e32 v160, 0x80000000, v245
	v_cndmask_b32_e32 v159, v239, v158, vcc
	v_mov_b32_e32 v158, v238
	v_add_f64 v[156:157], v[156:157], v[158:159]
	v_cmp_gt_f64_e32 vcc, 0, v[242:243]
	v_xor_b32_e32 v158, 0x80000000, v243
	v_add_u32_e32 v247, 16, v247
	v_cndmask_b32_e32 v159, v243, v158, vcc
	v_cmp_gt_f64_e32 vcc, 0, v[244:245]
	v_mov_b32_e32 v158, v242
	s_nop 0
	v_cndmask_b32_e32 v161, v245, v160, vcc
	v_mov_b32_e32 v160, v244
	v_add_f64 v[158:159], v[158:159], v[160:161]
	v_cmp_lt_f64_e32 vcc, v[156:157], v[158:159]
	v_mov_b32_e32 v156, s0
	s_add_i32 s0, s0, 1
	v_cndmask_b32_e32 v237, v237, v243, vcc
	v_cndmask_b32_e32 v236, v236, v242, vcc
	;; [unrolled: 1-line block ×5, first 2 shown]
	s_cmp_lg_u32 s20, s0
	s_cbranch_scc1 .LBB116_379
.LBB116_380:
	s_waitcnt lgkmcnt(0)
	v_cmp_eq_f64_e32 vcc, 0, v[236:237]
	v_cmp_eq_f64_e64 s[0:1], 0, v[238:239]
	s_and_b64 s[0:1], vcc, s[0:1]
	s_and_saveexec_b64 s[16:17], s[0:1]
	s_xor_b64 s[0:1], exec, s[16:17]
; %bb.381:
	v_cmp_ne_u32_e32 vcc, 0, v250
	s_nop 1
	v_cndmask_b32_e32 v250, 19, v250, vcc
; %bb.382:
	s_andn2_saveexec_b64 s[0:1], s[0:1]
	s_cbranch_execz .LBB116_388
; %bb.383:
	v_cmp_ngt_f64_e64 s[16:17], |v[236:237]|, |v[238:239]|
	s_and_saveexec_b64 s[18:19], s[16:17]
	s_xor_b64 s[16:17], exec, s[18:19]
	s_cbranch_execz .LBB116_385
; %bb.384:
	v_div_scale_f64 v[156:157], s[18:19], v[238:239], v[238:239], v[236:237]
	v_rcp_f64_e32 v[158:159], v[156:157]
	v_div_scale_f64 v[160:161], vcc, v[236:237], v[238:239], v[236:237]
	v_fma_f64 v[162:163], -v[156:157], v[158:159], 1.0
	v_fmac_f64_e32 v[158:159], v[158:159], v[162:163]
	v_fma_f64 v[162:163], -v[156:157], v[158:159], 1.0
	v_fmac_f64_e32 v[158:159], v[158:159], v[162:163]
	v_mul_f64 v[162:163], v[160:161], v[158:159]
	v_fma_f64 v[156:157], -v[156:157], v[162:163], v[160:161]
	v_div_fmas_f64 v[156:157], v[156:157], v[158:159], v[162:163]
	v_div_fixup_f64 v[156:157], v[156:157], v[238:239], v[236:237]
	v_fmac_f64_e32 v[238:239], v[236:237], v[156:157]
	v_div_scale_f64 v[158:159], s[18:19], v[238:239], v[238:239], 1.0
	v_rcp_f64_e32 v[160:161], v[158:159]
	s_nop 0
	v_fma_f64 v[162:163], -v[158:159], v[160:161], 1.0
	v_fmac_f64_e32 v[160:161], v[160:161], v[162:163]
	v_fma_f64 v[162:163], -v[158:159], v[160:161], 1.0
	v_fmac_f64_e32 v[160:161], v[160:161], v[162:163]
	v_div_scale_f64 v[162:163], vcc, 1.0, v[238:239], 1.0
	v_mul_f64 v[216:217], v[162:163], v[160:161]
	v_fma_f64 v[158:159], -v[158:159], v[216:217], v[162:163]
	s_nop 1
	v_div_fmas_f64 v[158:159], v[158:159], v[160:161], v[216:217]
	v_div_fixup_f64 v[238:239], v[158:159], v[238:239], 1.0
	v_mul_f64 v[236:237], v[156:157], v[238:239]
	v_xor_b32_e32 v239, 0x80000000, v239
.LBB116_385:
	s_andn2_saveexec_b64 s[16:17], s[16:17]
	s_cbranch_execz .LBB116_387
; %bb.386:
	v_div_scale_f64 v[156:157], s[18:19], v[236:237], v[236:237], v[238:239]
	v_rcp_f64_e32 v[158:159], v[156:157]
	v_div_scale_f64 v[160:161], vcc, v[238:239], v[236:237], v[238:239]
	v_fma_f64 v[162:163], -v[156:157], v[158:159], 1.0
	v_fmac_f64_e32 v[158:159], v[158:159], v[162:163]
	v_fma_f64 v[162:163], -v[156:157], v[158:159], 1.0
	v_fmac_f64_e32 v[158:159], v[158:159], v[162:163]
	v_mul_f64 v[162:163], v[160:161], v[158:159]
	v_fma_f64 v[156:157], -v[156:157], v[162:163], v[160:161]
	v_div_fmas_f64 v[156:157], v[156:157], v[158:159], v[162:163]
	v_div_fixup_f64 v[156:157], v[156:157], v[236:237], v[238:239]
	v_fmac_f64_e32 v[236:237], v[238:239], v[156:157]
	v_div_scale_f64 v[158:159], s[18:19], v[236:237], v[236:237], 1.0
	v_rcp_f64_e32 v[160:161], v[158:159]
	s_nop 0
	v_fma_f64 v[162:163], -v[158:159], v[160:161], 1.0
	v_fmac_f64_e32 v[160:161], v[160:161], v[162:163]
	v_fma_f64 v[162:163], -v[158:159], v[160:161], 1.0
	v_fmac_f64_e32 v[160:161], v[160:161], v[162:163]
	v_div_scale_f64 v[162:163], vcc, 1.0, v[236:237], 1.0
	v_mul_f64 v[216:217], v[162:163], v[160:161]
	v_fma_f64 v[158:159], -v[158:159], v[216:217], v[162:163]
	s_nop 1
	v_div_fmas_f64 v[158:159], v[158:159], v[160:161], v[216:217]
	v_div_fixup_f64 v[236:237], v[158:159], v[236:237], 1.0
	v_mul_f64 v[238:239], v[156:157], -v[236:237]
.LBB116_387:
	s_or_b64 exec, exec, s[16:17]
.LBB116_388:
	s_or_b64 exec, exec, s[0:1]
	v_cmp_ne_u32_e32 vcc, v249, v246
	s_and_saveexec_b64 s[0:1], vcc
	s_xor_b64 s[0:1], exec, s[0:1]
	s_cbranch_execz .LBB116_394
; %bb.389:
	v_cmp_eq_u32_e32 vcc, 18, v249
	s_and_saveexec_b64 s[16:17], vcc
	s_cbranch_execz .LBB116_393
; %bb.390:
	v_cmp_ne_u32_e32 vcc, 18, v246
	s_xor_b64 s[18:19], s[14:15], -1
	s_and_b64 s[22:23], s[18:19], vcc
	s_and_saveexec_b64 s[18:19], s[22:23]
	s_cbranch_execz .LBB116_392
; %bb.391:
	scratch_load_dwordx2 v[8:9], off, off offset:16 ; 8-byte Folded Reload
	v_ashrrev_i32_e32 v247, 31, v246
	s_waitcnt vmcnt(0)
	v_lshl_add_u64 v[156:157], v[246:247], 2, v[8:9]
	global_load_dword v158, v[156:157], off
	global_load_dword v159, v[8:9], off offset:72
	s_waitcnt vmcnt(1)
	global_store_dword v[8:9], v158, off offset:72
	s_waitcnt vmcnt(1)
	global_store_dword v[156:157], v159, off
.LBB116_392:
	s_or_b64 exec, exec, s[18:19]
	v_mov_b32_e32 v249, v246
	v_mov_b32_e32 v218, v246
.LBB116_393:
	s_or_b64 exec, exec, s[16:17]
.LBB116_394:
	s_andn2_saveexec_b64 s[0:1], s[0:1]
	s_cbranch_execz .LBB116_396
; %bb.395:
	v_mov_b32_e32 v249, 18
	ds_write2_b64 v248, v[208:209], v[210:211] offset0:38 offset1:39
	ds_write2_b64 v248, v[148:149], v[150:151] offset0:40 offset1:41
	;; [unrolled: 1-line block ×40, first 2 shown]
.LBB116_396:
	s_or_b64 exec, exec, s[0:1]
	v_cmp_lt_i32_e32 vcc, 18, v249
	s_waitcnt lgkmcnt(0)
	s_barrier
	s_and_saveexec_b64 s[0:1], vcc
	s_cbranch_execz .LBB116_398
; %bb.397:
	v_mul_f64 v[156:157], v[238:239], v[166:167]
	v_mul_f64 v[166:167], v[236:237], v[166:167]
	v_fma_f64 v[246:247], v[236:237], v[164:165], -v[156:157]
	v_fmac_f64_e32 v[166:167], v[238:239], v[164:165]
	ds_read2_b64 v[236:239], v248 offset0:38 offset1:39
	v_mov_b64_e32 v[164:165], v[246:247]
	s_waitcnt lgkmcnt(0)
	v_mul_f64 v[156:157], v[238:239], v[166:167]
	v_mul_f64 v[158:159], v[236:237], v[166:167]
	v_fma_f64 v[156:157], v[236:237], v[246:247], -v[156:157]
	v_fmac_f64_e32 v[158:159], v[238:239], v[246:247]
	ds_read2_b64 v[236:239], v248 offset0:40 offset1:41
	v_add_f64 v[208:209], v[208:209], -v[156:157]
	v_add_f64 v[210:211], v[210:211], -v[158:159]
	s_waitcnt lgkmcnt(0)
	v_mul_f64 v[156:157], v[238:239], v[166:167]
	v_mul_f64 v[158:159], v[236:237], v[166:167]
	v_fma_f64 v[156:157], v[236:237], v[246:247], -v[156:157]
	v_fmac_f64_e32 v[158:159], v[238:239], v[246:247]
	ds_read2_b64 v[236:239], v248 offset0:42 offset1:43
	v_add_f64 v[148:149], v[148:149], -v[156:157]
	v_add_f64 v[150:151], v[150:151], -v[158:159]
	;; [unrolled: 8-line block ×39, first 2 shown]
	s_waitcnt lgkmcnt(0)
	v_mul_f64 v[156:157], v[238:239], v[166:167]
	v_mul_f64 v[158:159], v[236:237], v[166:167]
	v_fma_f64 v[156:157], v[236:237], v[246:247], -v[156:157]
	v_fmac_f64_e32 v[158:159], v[238:239], v[246:247]
	v_add_f64 v[232:233], v[232:233], -v[156:157]
	v_add_f64 v[234:235], v[234:235], -v[158:159]
.LBB116_398:
	s_or_b64 exec, exec, s[0:1]
	v_lshl_add_u32 v156, v249, 4, v248
	s_barrier
	ds_write2_b64 v156, v[208:209], v[210:211] offset1:1
	s_waitcnt lgkmcnt(0)
	s_barrier
	ds_read2_b64 v[236:239], v248 offset0:38 offset1:39
	s_cmp_lt_i32 s20, 21
	v_mov_b32_e32 v246, 19
	s_cbranch_scc1 .LBB116_401
; %bb.399:
	v_add_u32_e32 v247, 0x140, v248
	s_mov_b32 s0, 20
	v_mov_b32_e32 v246, 19
.LBB116_400:                            ; =>This Inner Loop Header: Depth=1
	ds_read2_b64 v[242:245], v247 offset1:1
	s_waitcnt lgkmcnt(1)
	v_cmp_gt_f64_e32 vcc, 0, v[236:237]
	v_xor_b32_e32 v156, 0x80000000, v237
	v_xor_b32_e32 v158, 0x80000000, v239
	v_cndmask_b32_e32 v157, v237, v156, vcc
	v_cmp_gt_f64_e32 vcc, 0, v[238:239]
	v_mov_b32_e32 v156, v236
	s_waitcnt lgkmcnt(0)
	v_xor_b32_e32 v160, 0x80000000, v245
	v_cndmask_b32_e32 v159, v239, v158, vcc
	v_mov_b32_e32 v158, v238
	v_add_f64 v[156:157], v[156:157], v[158:159]
	v_cmp_gt_f64_e32 vcc, 0, v[242:243]
	v_xor_b32_e32 v158, 0x80000000, v243
	v_add_u32_e32 v247, 16, v247
	v_cndmask_b32_e32 v159, v243, v158, vcc
	v_cmp_gt_f64_e32 vcc, 0, v[244:245]
	v_mov_b32_e32 v158, v242
	s_nop 0
	v_cndmask_b32_e32 v161, v245, v160, vcc
	v_mov_b32_e32 v160, v244
	v_add_f64 v[158:159], v[158:159], v[160:161]
	v_cmp_lt_f64_e32 vcc, v[156:157], v[158:159]
	v_mov_b32_e32 v156, s0
	s_add_i32 s0, s0, 1
	v_cndmask_b32_e32 v237, v237, v243, vcc
	v_cndmask_b32_e32 v236, v236, v242, vcc
	v_cndmask_b32_e32 v239, v239, v245, vcc
	v_cndmask_b32_e32 v238, v238, v244, vcc
	v_cndmask_b32_e32 v246, v246, v156, vcc
	s_cmp_lg_u32 s20, s0
	s_cbranch_scc1 .LBB116_400
.LBB116_401:
	s_waitcnt lgkmcnt(0)
	v_cmp_eq_f64_e32 vcc, 0, v[236:237]
	v_cmp_eq_f64_e64 s[0:1], 0, v[238:239]
	s_and_b64 s[0:1], vcc, s[0:1]
	s_and_saveexec_b64 s[16:17], s[0:1]
	s_xor_b64 s[0:1], exec, s[16:17]
; %bb.402:
	v_cmp_ne_u32_e32 vcc, 0, v250
	s_nop 1
	v_cndmask_b32_e32 v250, 20, v250, vcc
; %bb.403:
	s_andn2_saveexec_b64 s[0:1], s[0:1]
	s_cbranch_execz .LBB116_409
; %bb.404:
	v_cmp_ngt_f64_e64 s[16:17], |v[236:237]|, |v[238:239]|
	s_and_saveexec_b64 s[18:19], s[16:17]
	s_xor_b64 s[16:17], exec, s[18:19]
	s_cbranch_execz .LBB116_406
; %bb.405:
	v_div_scale_f64 v[156:157], s[18:19], v[238:239], v[238:239], v[236:237]
	v_rcp_f64_e32 v[158:159], v[156:157]
	v_div_scale_f64 v[160:161], vcc, v[236:237], v[238:239], v[236:237]
	v_fma_f64 v[162:163], -v[156:157], v[158:159], 1.0
	v_fmac_f64_e32 v[158:159], v[158:159], v[162:163]
	v_fma_f64 v[162:163], -v[156:157], v[158:159], 1.0
	v_fmac_f64_e32 v[158:159], v[158:159], v[162:163]
	v_mul_f64 v[162:163], v[160:161], v[158:159]
	v_fma_f64 v[156:157], -v[156:157], v[162:163], v[160:161]
	v_div_fmas_f64 v[156:157], v[156:157], v[158:159], v[162:163]
	v_div_fixup_f64 v[156:157], v[156:157], v[238:239], v[236:237]
	v_fmac_f64_e32 v[238:239], v[236:237], v[156:157]
	v_div_scale_f64 v[158:159], s[18:19], v[238:239], v[238:239], 1.0
	v_rcp_f64_e32 v[160:161], v[158:159]
	s_nop 0
	v_fma_f64 v[162:163], -v[158:159], v[160:161], 1.0
	v_fmac_f64_e32 v[160:161], v[160:161], v[162:163]
	v_fma_f64 v[162:163], -v[158:159], v[160:161], 1.0
	v_fmac_f64_e32 v[160:161], v[160:161], v[162:163]
	v_div_scale_f64 v[162:163], vcc, 1.0, v[238:239], 1.0
	v_mul_f64 v[216:217], v[162:163], v[160:161]
	v_fma_f64 v[158:159], -v[158:159], v[216:217], v[162:163]
	s_nop 1
	v_div_fmas_f64 v[158:159], v[158:159], v[160:161], v[216:217]
	v_div_fixup_f64 v[238:239], v[158:159], v[238:239], 1.0
	v_mul_f64 v[236:237], v[156:157], v[238:239]
	v_xor_b32_e32 v239, 0x80000000, v239
.LBB116_406:
	s_andn2_saveexec_b64 s[16:17], s[16:17]
	s_cbranch_execz .LBB116_408
; %bb.407:
	v_div_scale_f64 v[156:157], s[18:19], v[236:237], v[236:237], v[238:239]
	v_rcp_f64_e32 v[158:159], v[156:157]
	v_div_scale_f64 v[160:161], vcc, v[238:239], v[236:237], v[238:239]
	v_fma_f64 v[162:163], -v[156:157], v[158:159], 1.0
	v_fmac_f64_e32 v[158:159], v[158:159], v[162:163]
	v_fma_f64 v[162:163], -v[156:157], v[158:159], 1.0
	v_fmac_f64_e32 v[158:159], v[158:159], v[162:163]
	v_mul_f64 v[162:163], v[160:161], v[158:159]
	v_fma_f64 v[156:157], -v[156:157], v[162:163], v[160:161]
	v_div_fmas_f64 v[156:157], v[156:157], v[158:159], v[162:163]
	v_div_fixup_f64 v[156:157], v[156:157], v[236:237], v[238:239]
	v_fmac_f64_e32 v[236:237], v[238:239], v[156:157]
	v_div_scale_f64 v[158:159], s[18:19], v[236:237], v[236:237], 1.0
	v_rcp_f64_e32 v[160:161], v[158:159]
	s_nop 0
	v_fma_f64 v[162:163], -v[158:159], v[160:161], 1.0
	v_fmac_f64_e32 v[160:161], v[160:161], v[162:163]
	v_fma_f64 v[162:163], -v[158:159], v[160:161], 1.0
	v_fmac_f64_e32 v[160:161], v[160:161], v[162:163]
	v_div_scale_f64 v[162:163], vcc, 1.0, v[236:237], 1.0
	v_mul_f64 v[216:217], v[162:163], v[160:161]
	v_fma_f64 v[158:159], -v[158:159], v[216:217], v[162:163]
	s_nop 1
	v_div_fmas_f64 v[158:159], v[158:159], v[160:161], v[216:217]
	v_div_fixup_f64 v[236:237], v[158:159], v[236:237], 1.0
	v_mul_f64 v[238:239], v[156:157], -v[236:237]
.LBB116_408:
	s_or_b64 exec, exec, s[16:17]
.LBB116_409:
	s_or_b64 exec, exec, s[0:1]
	v_cmp_ne_u32_e32 vcc, v249, v246
	s_and_saveexec_b64 s[0:1], vcc
	s_xor_b64 s[0:1], exec, s[0:1]
	s_cbranch_execz .LBB116_415
; %bb.410:
	v_cmp_eq_u32_e32 vcc, 19, v249
	s_and_saveexec_b64 s[16:17], vcc
	s_cbranch_execz .LBB116_414
; %bb.411:
	v_cmp_ne_u32_e32 vcc, 19, v246
	s_xor_b64 s[18:19], s[14:15], -1
	s_and_b64 s[22:23], s[18:19], vcc
	s_and_saveexec_b64 s[18:19], s[22:23]
	s_cbranch_execz .LBB116_413
; %bb.412:
	scratch_load_dwordx2 v[8:9], off, off offset:16 ; 8-byte Folded Reload
	v_ashrrev_i32_e32 v247, 31, v246
	s_waitcnt vmcnt(0)
	v_lshl_add_u64 v[156:157], v[246:247], 2, v[8:9]
	global_load_dword v158, v[156:157], off
	global_load_dword v159, v[8:9], off offset:76
	s_waitcnt vmcnt(1)
	global_store_dword v[8:9], v158, off offset:76
	s_waitcnt vmcnt(1)
	global_store_dword v[156:157], v159, off
.LBB116_413:
	s_or_b64 exec, exec, s[18:19]
	v_mov_b32_e32 v249, v246
	v_mov_b32_e32 v218, v246
.LBB116_414:
	s_or_b64 exec, exec, s[16:17]
.LBB116_415:
	s_andn2_saveexec_b64 s[0:1], s[0:1]
	s_cbranch_execz .LBB116_417
; %bb.416:
	v_mov_b32_e32 v249, 19
	ds_write2_b64 v248, v[148:149], v[150:151] offset0:40 offset1:41
	ds_write2_b64 v248, v[144:145], v[146:147] offset0:42 offset1:43
	ds_write2_b64 v248, v[140:141], v[142:143] offset0:44 offset1:45
	ds_write2_b64 v248, v[136:137], v[138:139] offset0:46 offset1:47
	ds_write2_b64 v248, v[132:133], v[134:135] offset0:48 offset1:49
	ds_write2_b64 v248, v[128:129], v[130:131] offset0:50 offset1:51
	ds_write2_b64 v248, v[124:125], v[126:127] offset0:52 offset1:53
	ds_write2_b64 v248, v[120:121], v[122:123] offset0:54 offset1:55
	ds_write2_b64 v248, v[116:117], v[118:119] offset0:56 offset1:57
	ds_write2_b64 v248, v[112:113], v[114:115] offset0:58 offset1:59
	ds_write2_b64 v248, v[108:109], v[110:111] offset0:60 offset1:61
	ds_write2_b64 v248, v[104:105], v[106:107] offset0:62 offset1:63
	ds_write2_b64 v248, v[100:101], v[102:103] offset0:64 offset1:65
	ds_write2_b64 v248, v[96:97], v[98:99] offset0:66 offset1:67
	ds_write2_b64 v248, v[92:93], v[94:95] offset0:68 offset1:69
	ds_write2_b64 v248, v[88:89], v[90:91] offset0:70 offset1:71
	ds_write2_b64 v248, v[84:85], v[86:87] offset0:72 offset1:73
	ds_write2_b64 v248, v[80:81], v[82:83] offset0:74 offset1:75
	ds_write2_b64 v248, v[76:77], v[78:79] offset0:76 offset1:77
	ds_write2_b64 v248, v[72:73], v[74:75] offset0:78 offset1:79
	ds_write2_b64 v248, v[68:69], v[70:71] offset0:80 offset1:81
	ds_write2_b64 v248, v[64:65], v[66:67] offset0:82 offset1:83
	ds_write2_b64 v248, v[60:61], v[62:63] offset0:84 offset1:85
	ds_write2_b64 v248, v[56:57], v[58:59] offset0:86 offset1:87
	ds_write2_b64 v248, v[52:53], v[54:55] offset0:88 offset1:89
	ds_write2_b64 v248, v[48:49], v[50:51] offset0:90 offset1:91
	ds_write2_b64 v248, v[44:45], v[46:47] offset0:92 offset1:93
	ds_write2_b64 v248, v[40:41], v[42:43] offset0:94 offset1:95
	ds_write2_b64 v248, v[36:37], v[38:39] offset0:96 offset1:97
	ds_write2_b64 v248, v[32:33], v[34:35] offset0:98 offset1:99
	ds_write2_b64 v248, v[28:29], v[30:31] offset0:100 offset1:101
	ds_write2_b64 v248, v[24:25], v[26:27] offset0:102 offset1:103
	ds_write2_b64 v248, v[20:21], v[22:23] offset0:104 offset1:105
	ds_write2_b64 v248, v[16:17], v[18:19] offset0:106 offset1:107
	ds_write2_b64 v248, v[12:13], v[14:15] offset0:108 offset1:109
	ds_write2_b64 v248, v[252:253], v[254:255] offset0:110 offset1:111
	ds_write2_b64 v248, v[224:225], v[226:227] offset0:112 offset1:113
	ds_write2_b64 v248, v[220:221], v[222:223] offset0:114 offset1:115
	ds_write2_b64 v248, v[232:233], v[234:235] offset0:116 offset1:117
.LBB116_417:
	s_or_b64 exec, exec, s[0:1]
	v_cmp_lt_i32_e32 vcc, 19, v249
	s_waitcnt lgkmcnt(0)
	s_barrier
	s_and_saveexec_b64 s[0:1], vcc
	s_cbranch_execz .LBB116_419
; %bb.418:
	v_mul_f64 v[156:157], v[238:239], v[210:211]
	v_mul_f64 v[210:211], v[236:237], v[210:211]
	v_fma_f64 v[246:247], v[236:237], v[208:209], -v[156:157]
	v_fmac_f64_e32 v[210:211], v[238:239], v[208:209]
	ds_read2_b64 v[236:239], v248 offset0:40 offset1:41
	v_mov_b64_e32 v[8:9], v[152:153]
	v_mov_b64_e32 v[10:11], v[154:155]
	;; [unrolled: 1-line block ×3, first 2 shown]
	s_waitcnt lgkmcnt(0)
	v_mul_f64 v[152:153], v[238:239], v[210:211]
	v_mul_f64 v[156:157], v[236:237], v[210:211]
	v_fma_f64 v[152:153], v[236:237], v[246:247], -v[152:153]
	v_fmac_f64_e32 v[156:157], v[238:239], v[246:247]
	ds_read2_b64 v[236:239], v248 offset0:42 offset1:43
	v_add_f64 v[148:149], v[148:149], -v[152:153]
	v_add_f64 v[150:151], v[150:151], -v[156:157]
	s_waitcnt lgkmcnt(0)
	v_mul_f64 v[152:153], v[238:239], v[210:211]
	v_mul_f64 v[156:157], v[236:237], v[210:211]
	v_fma_f64 v[152:153], v[236:237], v[246:247], -v[152:153]
	v_fmac_f64_e32 v[156:157], v[238:239], v[246:247]
	ds_read2_b64 v[236:239], v248 offset0:44 offset1:45
	v_add_f64 v[144:145], v[144:145], -v[152:153]
	v_add_f64 v[146:147], v[146:147], -v[156:157]
	;; [unrolled: 8-line block ×38, first 2 shown]
	s_waitcnt lgkmcnt(0)
	v_mul_f64 v[152:153], v[238:239], v[210:211]
	v_fma_f64 v[152:153], v[236:237], v[246:247], -v[152:153]
	v_mul_f64 v[156:157], v[236:237], v[210:211]
	v_fmac_f64_e32 v[156:157], v[238:239], v[246:247]
	v_add_f64 v[232:233], v[232:233], -v[152:153]
	v_mov_b64_e32 v[154:155], v[10:11]
	v_mov_b64_e32 v[152:153], v[8:9]
	v_add_f64 v[234:235], v[234:235], -v[156:157]
.LBB116_419:
	s_or_b64 exec, exec, s[0:1]
	v_lshl_add_u32 v156, v249, 4, v248
	s_barrier
	ds_write2_b64 v156, v[148:149], v[150:151] offset1:1
	s_waitcnt lgkmcnt(0)
	s_barrier
	ds_read2_b64 v[236:239], v248 offset0:40 offset1:41
	s_cmp_lt_i32 s20, 22
	v_mov_b32_e32 v246, 20
	s_cbranch_scc1 .LBB116_422
; %bb.420:
	v_add_u32_e32 v247, 0x150, v248
	s_mov_b32 s0, 21
	v_mov_b32_e32 v246, 20
.LBB116_421:                            ; =>This Inner Loop Header: Depth=1
	ds_read2_b64 v[242:245], v247 offset1:1
	s_waitcnt lgkmcnt(1)
	v_cmp_gt_f64_e32 vcc, 0, v[236:237]
	v_xor_b32_e32 v156, 0x80000000, v237
	v_xor_b32_e32 v158, 0x80000000, v239
	v_cndmask_b32_e32 v157, v237, v156, vcc
	v_cmp_gt_f64_e32 vcc, 0, v[238:239]
	v_mov_b32_e32 v156, v236
	s_waitcnt lgkmcnt(0)
	v_xor_b32_e32 v160, 0x80000000, v245
	v_cndmask_b32_e32 v159, v239, v158, vcc
	v_mov_b32_e32 v158, v238
	v_add_f64 v[156:157], v[156:157], v[158:159]
	v_cmp_gt_f64_e32 vcc, 0, v[242:243]
	v_xor_b32_e32 v158, 0x80000000, v243
	v_add_u32_e32 v247, 16, v247
	v_cndmask_b32_e32 v159, v243, v158, vcc
	v_cmp_gt_f64_e32 vcc, 0, v[244:245]
	v_mov_b32_e32 v158, v242
	s_nop 0
	v_cndmask_b32_e32 v161, v245, v160, vcc
	v_mov_b32_e32 v160, v244
	v_add_f64 v[158:159], v[158:159], v[160:161]
	v_cmp_lt_f64_e32 vcc, v[156:157], v[158:159]
	v_mov_b32_e32 v156, s0
	s_add_i32 s0, s0, 1
	v_cndmask_b32_e32 v237, v237, v243, vcc
	v_cndmask_b32_e32 v236, v236, v242, vcc
	;; [unrolled: 1-line block ×5, first 2 shown]
	s_cmp_lg_u32 s20, s0
	s_cbranch_scc1 .LBB116_421
.LBB116_422:
	s_waitcnt lgkmcnt(0)
	v_cmp_eq_f64_e32 vcc, 0, v[236:237]
	v_cmp_eq_f64_e64 s[0:1], 0, v[238:239]
	s_and_b64 s[0:1], vcc, s[0:1]
	s_and_saveexec_b64 s[16:17], s[0:1]
	s_xor_b64 s[0:1], exec, s[16:17]
; %bb.423:
	v_cmp_ne_u32_e32 vcc, 0, v250
	s_nop 1
	v_cndmask_b32_e32 v250, 21, v250, vcc
; %bb.424:
	s_andn2_saveexec_b64 s[0:1], s[0:1]
	s_cbranch_execz .LBB116_430
; %bb.425:
	v_cmp_ngt_f64_e64 s[16:17], |v[236:237]|, |v[238:239]|
	s_and_saveexec_b64 s[18:19], s[16:17]
	s_xor_b64 s[16:17], exec, s[18:19]
	s_cbranch_execz .LBB116_427
; %bb.426:
	v_div_scale_f64 v[156:157], s[18:19], v[238:239], v[238:239], v[236:237]
	v_rcp_f64_e32 v[158:159], v[156:157]
	v_div_scale_f64 v[160:161], vcc, v[236:237], v[238:239], v[236:237]
	v_fma_f64 v[162:163], -v[156:157], v[158:159], 1.0
	v_fmac_f64_e32 v[158:159], v[158:159], v[162:163]
	v_fma_f64 v[162:163], -v[156:157], v[158:159], 1.0
	v_fmac_f64_e32 v[158:159], v[158:159], v[162:163]
	v_mul_f64 v[162:163], v[160:161], v[158:159]
	v_fma_f64 v[156:157], -v[156:157], v[162:163], v[160:161]
	v_div_fmas_f64 v[156:157], v[156:157], v[158:159], v[162:163]
	v_div_fixup_f64 v[156:157], v[156:157], v[238:239], v[236:237]
	v_fmac_f64_e32 v[238:239], v[236:237], v[156:157]
	v_div_scale_f64 v[158:159], s[18:19], v[238:239], v[238:239], 1.0
	v_rcp_f64_e32 v[160:161], v[158:159]
	s_nop 0
	v_fma_f64 v[162:163], -v[158:159], v[160:161], 1.0
	v_fmac_f64_e32 v[160:161], v[160:161], v[162:163]
	v_fma_f64 v[162:163], -v[158:159], v[160:161], 1.0
	v_fmac_f64_e32 v[160:161], v[160:161], v[162:163]
	v_div_scale_f64 v[162:163], vcc, 1.0, v[238:239], 1.0
	v_mul_f64 v[216:217], v[162:163], v[160:161]
	v_fma_f64 v[158:159], -v[158:159], v[216:217], v[162:163]
	s_nop 1
	v_div_fmas_f64 v[158:159], v[158:159], v[160:161], v[216:217]
	v_div_fixup_f64 v[238:239], v[158:159], v[238:239], 1.0
	v_mul_f64 v[236:237], v[156:157], v[238:239]
	v_xor_b32_e32 v239, 0x80000000, v239
.LBB116_427:
	s_andn2_saveexec_b64 s[16:17], s[16:17]
	s_cbranch_execz .LBB116_429
; %bb.428:
	v_div_scale_f64 v[156:157], s[18:19], v[236:237], v[236:237], v[238:239]
	v_rcp_f64_e32 v[158:159], v[156:157]
	v_div_scale_f64 v[160:161], vcc, v[238:239], v[236:237], v[238:239]
	v_fma_f64 v[162:163], -v[156:157], v[158:159], 1.0
	v_fmac_f64_e32 v[158:159], v[158:159], v[162:163]
	v_fma_f64 v[162:163], -v[156:157], v[158:159], 1.0
	v_fmac_f64_e32 v[158:159], v[158:159], v[162:163]
	v_mul_f64 v[162:163], v[160:161], v[158:159]
	v_fma_f64 v[156:157], -v[156:157], v[162:163], v[160:161]
	v_div_fmas_f64 v[156:157], v[156:157], v[158:159], v[162:163]
	v_div_fixup_f64 v[156:157], v[156:157], v[236:237], v[238:239]
	v_fmac_f64_e32 v[236:237], v[238:239], v[156:157]
	v_div_scale_f64 v[158:159], s[18:19], v[236:237], v[236:237], 1.0
	v_rcp_f64_e32 v[160:161], v[158:159]
	s_nop 0
	v_fma_f64 v[162:163], -v[158:159], v[160:161], 1.0
	v_fmac_f64_e32 v[160:161], v[160:161], v[162:163]
	v_fma_f64 v[162:163], -v[158:159], v[160:161], 1.0
	v_fmac_f64_e32 v[160:161], v[160:161], v[162:163]
	v_div_scale_f64 v[162:163], vcc, 1.0, v[236:237], 1.0
	v_mul_f64 v[216:217], v[162:163], v[160:161]
	v_fma_f64 v[158:159], -v[158:159], v[216:217], v[162:163]
	s_nop 1
	v_div_fmas_f64 v[158:159], v[158:159], v[160:161], v[216:217]
	v_div_fixup_f64 v[236:237], v[158:159], v[236:237], 1.0
	v_mul_f64 v[238:239], v[156:157], -v[236:237]
.LBB116_429:
	s_or_b64 exec, exec, s[16:17]
.LBB116_430:
	s_or_b64 exec, exec, s[0:1]
	v_cmp_ne_u32_e32 vcc, v249, v246
	s_and_saveexec_b64 s[0:1], vcc
	s_xor_b64 s[0:1], exec, s[0:1]
	s_cbranch_execz .LBB116_436
; %bb.431:
	v_cmp_eq_u32_e32 vcc, 20, v249
	s_and_saveexec_b64 s[16:17], vcc
	s_cbranch_execz .LBB116_435
; %bb.432:
	v_cmp_ne_u32_e32 vcc, 20, v246
	s_xor_b64 s[18:19], s[14:15], -1
	s_and_b64 s[22:23], s[18:19], vcc
	s_and_saveexec_b64 s[18:19], s[22:23]
	s_cbranch_execz .LBB116_434
; %bb.433:
	scratch_load_dwordx2 v[8:9], off, off offset:16 ; 8-byte Folded Reload
	v_ashrrev_i32_e32 v247, 31, v246
	s_waitcnt vmcnt(0)
	v_lshl_add_u64 v[156:157], v[246:247], 2, v[8:9]
	global_load_dword v158, v[156:157], off
	global_load_dword v159, v[8:9], off offset:80
	s_waitcnt vmcnt(1)
	global_store_dword v[8:9], v158, off offset:80
	s_waitcnt vmcnt(1)
	global_store_dword v[156:157], v159, off
.LBB116_434:
	s_or_b64 exec, exec, s[18:19]
	v_mov_b32_e32 v249, v246
	v_mov_b32_e32 v218, v246
.LBB116_435:
	s_or_b64 exec, exec, s[16:17]
.LBB116_436:
	s_andn2_saveexec_b64 s[0:1], s[0:1]
	s_cbranch_execz .LBB116_438
; %bb.437:
	v_mov_b32_e32 v249, 20
	ds_write2_b64 v248, v[144:145], v[146:147] offset0:42 offset1:43
	ds_write2_b64 v248, v[140:141], v[142:143] offset0:44 offset1:45
	;; [unrolled: 1-line block ×38, first 2 shown]
.LBB116_438:
	s_or_b64 exec, exec, s[0:1]
	v_cmp_lt_i32_e32 vcc, 20, v249
	s_waitcnt lgkmcnt(0)
	s_barrier
	s_and_saveexec_b64 s[0:1], vcc
	s_cbranch_execz .LBB116_440
; %bb.439:
	v_mul_f64 v[156:157], v[238:239], v[150:151]
	v_mul_f64 v[150:151], v[236:237], v[150:151]
	v_fma_f64 v[246:247], v[236:237], v[148:149], -v[156:157]
	v_fmac_f64_e32 v[150:151], v[238:239], v[148:149]
	ds_read2_b64 v[236:239], v248 offset0:42 offset1:43
	s_waitcnt lgkmcnt(0)
	v_mul_f64 v[148:149], v[238:239], v[150:151]
	v_mul_f64 v[156:157], v[236:237], v[150:151]
	v_fma_f64 v[148:149], v[236:237], v[246:247], -v[148:149]
	v_fmac_f64_e32 v[156:157], v[238:239], v[246:247]
	ds_read2_b64 v[236:239], v248 offset0:44 offset1:45
	v_add_f64 v[144:145], v[144:145], -v[148:149]
	v_add_f64 v[146:147], v[146:147], -v[156:157]
	s_waitcnt lgkmcnt(0)
	v_mul_f64 v[148:149], v[238:239], v[150:151]
	v_mul_f64 v[156:157], v[236:237], v[150:151]
	v_fma_f64 v[148:149], v[236:237], v[246:247], -v[148:149]
	v_fmac_f64_e32 v[156:157], v[238:239], v[246:247]
	ds_read2_b64 v[236:239], v248 offset0:46 offset1:47
	v_add_f64 v[140:141], v[140:141], -v[148:149]
	v_add_f64 v[142:143], v[142:143], -v[156:157]
	;; [unrolled: 8-line block ×37, first 2 shown]
	s_waitcnt lgkmcnt(0)
	v_mul_f64 v[148:149], v[238:239], v[150:151]
	v_mul_f64 v[156:157], v[236:237], v[150:151]
	v_fma_f64 v[148:149], v[236:237], v[246:247], -v[148:149]
	v_fmac_f64_e32 v[156:157], v[238:239], v[246:247]
	v_add_f64 v[232:233], v[232:233], -v[148:149]
	v_add_f64 v[234:235], v[234:235], -v[156:157]
	v_mov_b64_e32 v[148:149], v[246:247]
.LBB116_440:
	s_or_b64 exec, exec, s[0:1]
	v_lshl_add_u32 v156, v249, 4, v248
	s_barrier
	ds_write2_b64 v156, v[144:145], v[146:147] offset1:1
	s_waitcnt lgkmcnt(0)
	s_barrier
	ds_read2_b64 v[236:239], v248 offset0:42 offset1:43
	s_cmp_lt_i32 s20, 23
	v_mov_b32_e32 v246, 21
	s_cbranch_scc1 .LBB116_443
; %bb.441:
	v_add_u32_e32 v247, 0x160, v248
	s_mov_b32 s0, 22
	v_mov_b32_e32 v246, 21
.LBB116_442:                            ; =>This Inner Loop Header: Depth=1
	ds_read2_b64 v[242:245], v247 offset1:1
	s_waitcnt lgkmcnt(1)
	v_cmp_gt_f64_e32 vcc, 0, v[236:237]
	v_xor_b32_e32 v156, 0x80000000, v237
	v_xor_b32_e32 v158, 0x80000000, v239
	v_cndmask_b32_e32 v157, v237, v156, vcc
	v_cmp_gt_f64_e32 vcc, 0, v[238:239]
	v_mov_b32_e32 v156, v236
	s_waitcnt lgkmcnt(0)
	v_xor_b32_e32 v160, 0x80000000, v245
	v_cndmask_b32_e32 v159, v239, v158, vcc
	v_mov_b32_e32 v158, v238
	v_add_f64 v[156:157], v[156:157], v[158:159]
	v_cmp_gt_f64_e32 vcc, 0, v[242:243]
	v_xor_b32_e32 v158, 0x80000000, v243
	v_add_u32_e32 v247, 16, v247
	v_cndmask_b32_e32 v159, v243, v158, vcc
	v_cmp_gt_f64_e32 vcc, 0, v[244:245]
	v_mov_b32_e32 v158, v242
	s_nop 0
	v_cndmask_b32_e32 v161, v245, v160, vcc
	v_mov_b32_e32 v160, v244
	v_add_f64 v[158:159], v[158:159], v[160:161]
	v_cmp_lt_f64_e32 vcc, v[156:157], v[158:159]
	v_mov_b32_e32 v156, s0
	s_add_i32 s0, s0, 1
	v_cndmask_b32_e32 v237, v237, v243, vcc
	v_cndmask_b32_e32 v236, v236, v242, vcc
	;; [unrolled: 1-line block ×5, first 2 shown]
	s_cmp_lg_u32 s20, s0
	s_cbranch_scc1 .LBB116_442
.LBB116_443:
	s_waitcnt lgkmcnt(0)
	v_cmp_eq_f64_e32 vcc, 0, v[236:237]
	v_cmp_eq_f64_e64 s[0:1], 0, v[238:239]
	s_and_b64 s[0:1], vcc, s[0:1]
	s_and_saveexec_b64 s[16:17], s[0:1]
	s_xor_b64 s[0:1], exec, s[16:17]
; %bb.444:
	v_cmp_ne_u32_e32 vcc, 0, v250
	s_nop 1
	v_cndmask_b32_e32 v250, 22, v250, vcc
; %bb.445:
	s_andn2_saveexec_b64 s[0:1], s[0:1]
	s_cbranch_execz .LBB116_451
; %bb.446:
	v_cmp_ngt_f64_e64 s[16:17], |v[236:237]|, |v[238:239]|
	s_and_saveexec_b64 s[18:19], s[16:17]
	s_xor_b64 s[16:17], exec, s[18:19]
	s_cbranch_execz .LBB116_448
; %bb.447:
	v_div_scale_f64 v[156:157], s[18:19], v[238:239], v[238:239], v[236:237]
	v_rcp_f64_e32 v[158:159], v[156:157]
	v_div_scale_f64 v[160:161], vcc, v[236:237], v[238:239], v[236:237]
	v_fma_f64 v[162:163], -v[156:157], v[158:159], 1.0
	v_fmac_f64_e32 v[158:159], v[158:159], v[162:163]
	v_fma_f64 v[162:163], -v[156:157], v[158:159], 1.0
	v_fmac_f64_e32 v[158:159], v[158:159], v[162:163]
	v_mul_f64 v[162:163], v[160:161], v[158:159]
	v_fma_f64 v[156:157], -v[156:157], v[162:163], v[160:161]
	v_div_fmas_f64 v[156:157], v[156:157], v[158:159], v[162:163]
	v_div_fixup_f64 v[156:157], v[156:157], v[238:239], v[236:237]
	v_fmac_f64_e32 v[238:239], v[236:237], v[156:157]
	v_div_scale_f64 v[158:159], s[18:19], v[238:239], v[238:239], 1.0
	v_rcp_f64_e32 v[160:161], v[158:159]
	s_nop 0
	v_fma_f64 v[162:163], -v[158:159], v[160:161], 1.0
	v_fmac_f64_e32 v[160:161], v[160:161], v[162:163]
	v_fma_f64 v[162:163], -v[158:159], v[160:161], 1.0
	v_fmac_f64_e32 v[160:161], v[160:161], v[162:163]
	v_div_scale_f64 v[162:163], vcc, 1.0, v[238:239], 1.0
	v_mul_f64 v[216:217], v[162:163], v[160:161]
	v_fma_f64 v[158:159], -v[158:159], v[216:217], v[162:163]
	s_nop 1
	v_div_fmas_f64 v[158:159], v[158:159], v[160:161], v[216:217]
	v_div_fixup_f64 v[238:239], v[158:159], v[238:239], 1.0
	v_mul_f64 v[236:237], v[156:157], v[238:239]
	v_xor_b32_e32 v239, 0x80000000, v239
.LBB116_448:
	s_andn2_saveexec_b64 s[16:17], s[16:17]
	s_cbranch_execz .LBB116_450
; %bb.449:
	v_div_scale_f64 v[156:157], s[18:19], v[236:237], v[236:237], v[238:239]
	v_rcp_f64_e32 v[158:159], v[156:157]
	v_div_scale_f64 v[160:161], vcc, v[238:239], v[236:237], v[238:239]
	v_fma_f64 v[162:163], -v[156:157], v[158:159], 1.0
	v_fmac_f64_e32 v[158:159], v[158:159], v[162:163]
	v_fma_f64 v[162:163], -v[156:157], v[158:159], 1.0
	v_fmac_f64_e32 v[158:159], v[158:159], v[162:163]
	v_mul_f64 v[162:163], v[160:161], v[158:159]
	v_fma_f64 v[156:157], -v[156:157], v[162:163], v[160:161]
	v_div_fmas_f64 v[156:157], v[156:157], v[158:159], v[162:163]
	v_div_fixup_f64 v[156:157], v[156:157], v[236:237], v[238:239]
	v_fmac_f64_e32 v[236:237], v[238:239], v[156:157]
	v_div_scale_f64 v[158:159], s[18:19], v[236:237], v[236:237], 1.0
	v_rcp_f64_e32 v[160:161], v[158:159]
	s_nop 0
	v_fma_f64 v[162:163], -v[158:159], v[160:161], 1.0
	v_fmac_f64_e32 v[160:161], v[160:161], v[162:163]
	v_fma_f64 v[162:163], -v[158:159], v[160:161], 1.0
	v_fmac_f64_e32 v[160:161], v[160:161], v[162:163]
	v_div_scale_f64 v[162:163], vcc, 1.0, v[236:237], 1.0
	v_mul_f64 v[216:217], v[162:163], v[160:161]
	v_fma_f64 v[158:159], -v[158:159], v[216:217], v[162:163]
	s_nop 1
	v_div_fmas_f64 v[158:159], v[158:159], v[160:161], v[216:217]
	v_div_fixup_f64 v[236:237], v[158:159], v[236:237], 1.0
	v_mul_f64 v[238:239], v[156:157], -v[236:237]
.LBB116_450:
	s_or_b64 exec, exec, s[16:17]
.LBB116_451:
	s_or_b64 exec, exec, s[0:1]
	v_cmp_ne_u32_e32 vcc, v249, v246
	s_and_saveexec_b64 s[0:1], vcc
	s_xor_b64 s[0:1], exec, s[0:1]
	s_cbranch_execz .LBB116_457
; %bb.452:
	v_cmp_eq_u32_e32 vcc, 21, v249
	s_and_saveexec_b64 s[16:17], vcc
	s_cbranch_execz .LBB116_456
; %bb.453:
	v_cmp_ne_u32_e32 vcc, 21, v246
	s_xor_b64 s[18:19], s[14:15], -1
	s_and_b64 s[22:23], s[18:19], vcc
	s_and_saveexec_b64 s[18:19], s[22:23]
	s_cbranch_execz .LBB116_455
; %bb.454:
	scratch_load_dwordx2 v[8:9], off, off offset:16 ; 8-byte Folded Reload
	v_ashrrev_i32_e32 v247, 31, v246
	s_waitcnt vmcnt(0)
	v_lshl_add_u64 v[156:157], v[246:247], 2, v[8:9]
	global_load_dword v158, v[156:157], off
	global_load_dword v159, v[8:9], off offset:84
	s_waitcnt vmcnt(1)
	global_store_dword v[8:9], v158, off offset:84
	s_waitcnt vmcnt(1)
	global_store_dword v[156:157], v159, off
.LBB116_455:
	s_or_b64 exec, exec, s[18:19]
	v_mov_b32_e32 v249, v246
	v_mov_b32_e32 v218, v246
.LBB116_456:
	s_or_b64 exec, exec, s[16:17]
.LBB116_457:
	s_andn2_saveexec_b64 s[0:1], s[0:1]
	s_cbranch_execz .LBB116_459
; %bb.458:
	v_mov_b32_e32 v249, 21
	ds_write2_b64 v248, v[140:141], v[142:143] offset0:44 offset1:45
	ds_write2_b64 v248, v[136:137], v[138:139] offset0:46 offset1:47
	;; [unrolled: 1-line block ×37, first 2 shown]
.LBB116_459:
	s_or_b64 exec, exec, s[0:1]
	v_cmp_lt_i32_e32 vcc, 21, v249
	s_waitcnt lgkmcnt(0)
	s_barrier
	s_and_saveexec_b64 s[0:1], vcc
	s_cbranch_execz .LBB116_461
; %bb.460:
	v_mul_f64 v[156:157], v[238:239], v[146:147]
	v_mul_f64 v[146:147], v[236:237], v[146:147]
	v_fma_f64 v[246:247], v[236:237], v[144:145], -v[156:157]
	v_fmac_f64_e32 v[146:147], v[238:239], v[144:145]
	ds_read2_b64 v[236:239], v248 offset0:44 offset1:45
	s_waitcnt lgkmcnt(0)
	v_mul_f64 v[144:145], v[238:239], v[146:147]
	v_mul_f64 v[156:157], v[236:237], v[146:147]
	v_fma_f64 v[144:145], v[236:237], v[246:247], -v[144:145]
	v_fmac_f64_e32 v[156:157], v[238:239], v[246:247]
	ds_read2_b64 v[236:239], v248 offset0:46 offset1:47
	v_add_f64 v[140:141], v[140:141], -v[144:145]
	v_add_f64 v[142:143], v[142:143], -v[156:157]
	s_waitcnt lgkmcnt(0)
	v_mul_f64 v[144:145], v[238:239], v[146:147]
	v_mul_f64 v[156:157], v[236:237], v[146:147]
	v_fma_f64 v[144:145], v[236:237], v[246:247], -v[144:145]
	v_fmac_f64_e32 v[156:157], v[238:239], v[246:247]
	ds_read2_b64 v[236:239], v248 offset0:48 offset1:49
	v_add_f64 v[136:137], v[136:137], -v[144:145]
	v_add_f64 v[138:139], v[138:139], -v[156:157]
	s_waitcnt lgkmcnt(0)
	v_mul_f64 v[144:145], v[238:239], v[146:147]
	v_mul_f64 v[156:157], v[236:237], v[146:147]
	v_fma_f64 v[144:145], v[236:237], v[246:247], -v[144:145]
	v_fmac_f64_e32 v[156:157], v[238:239], v[246:247]
	ds_read2_b64 v[236:239], v248 offset0:50 offset1:51
	v_add_f64 v[132:133], v[132:133], -v[144:145]
	v_add_f64 v[134:135], v[134:135], -v[156:157]
	s_waitcnt lgkmcnt(0)
	v_mul_f64 v[144:145], v[238:239], v[146:147]
	v_mul_f64 v[156:157], v[236:237], v[146:147]
	v_fma_f64 v[144:145], v[236:237], v[246:247], -v[144:145]
	v_fmac_f64_e32 v[156:157], v[238:239], v[246:247]
	ds_read2_b64 v[236:239], v248 offset0:52 offset1:53
	v_add_f64 v[128:129], v[128:129], -v[144:145]
	v_add_f64 v[130:131], v[130:131], -v[156:157]
	s_waitcnt lgkmcnt(0)
	v_mul_f64 v[144:145], v[238:239], v[146:147]
	v_mul_f64 v[156:157], v[236:237], v[146:147]
	v_fma_f64 v[144:145], v[236:237], v[246:247], -v[144:145]
	v_fmac_f64_e32 v[156:157], v[238:239], v[246:247]
	ds_read2_b64 v[236:239], v248 offset0:54 offset1:55
	v_add_f64 v[124:125], v[124:125], -v[144:145]
	v_add_f64 v[126:127], v[126:127], -v[156:157]
	s_waitcnt lgkmcnt(0)
	v_mul_f64 v[144:145], v[238:239], v[146:147]
	v_mul_f64 v[156:157], v[236:237], v[146:147]
	v_fma_f64 v[144:145], v[236:237], v[246:247], -v[144:145]
	v_fmac_f64_e32 v[156:157], v[238:239], v[246:247]
	ds_read2_b64 v[236:239], v248 offset0:56 offset1:57
	v_add_f64 v[120:121], v[120:121], -v[144:145]
	v_add_f64 v[122:123], v[122:123], -v[156:157]
	s_waitcnt lgkmcnt(0)
	v_mul_f64 v[144:145], v[238:239], v[146:147]
	v_mul_f64 v[156:157], v[236:237], v[146:147]
	v_fma_f64 v[144:145], v[236:237], v[246:247], -v[144:145]
	v_fmac_f64_e32 v[156:157], v[238:239], v[246:247]
	ds_read2_b64 v[236:239], v248 offset0:58 offset1:59
	v_add_f64 v[116:117], v[116:117], -v[144:145]
	v_add_f64 v[118:119], v[118:119], -v[156:157]
	s_waitcnt lgkmcnt(0)
	v_mul_f64 v[144:145], v[238:239], v[146:147]
	v_mul_f64 v[156:157], v[236:237], v[146:147]
	v_fma_f64 v[144:145], v[236:237], v[246:247], -v[144:145]
	v_fmac_f64_e32 v[156:157], v[238:239], v[246:247]
	ds_read2_b64 v[236:239], v248 offset0:60 offset1:61
	v_add_f64 v[112:113], v[112:113], -v[144:145]
	v_add_f64 v[114:115], v[114:115], -v[156:157]
	s_waitcnt lgkmcnt(0)
	v_mul_f64 v[144:145], v[238:239], v[146:147]
	v_mul_f64 v[156:157], v[236:237], v[146:147]
	v_fma_f64 v[144:145], v[236:237], v[246:247], -v[144:145]
	v_fmac_f64_e32 v[156:157], v[238:239], v[246:247]
	ds_read2_b64 v[236:239], v248 offset0:62 offset1:63
	v_add_f64 v[108:109], v[108:109], -v[144:145]
	v_add_f64 v[110:111], v[110:111], -v[156:157]
	s_waitcnt lgkmcnt(0)
	v_mul_f64 v[144:145], v[238:239], v[146:147]
	v_mul_f64 v[156:157], v[236:237], v[146:147]
	v_fma_f64 v[144:145], v[236:237], v[246:247], -v[144:145]
	v_fmac_f64_e32 v[156:157], v[238:239], v[246:247]
	ds_read2_b64 v[236:239], v248 offset0:64 offset1:65
	v_add_f64 v[104:105], v[104:105], -v[144:145]
	v_add_f64 v[106:107], v[106:107], -v[156:157]
	s_waitcnt lgkmcnt(0)
	v_mul_f64 v[144:145], v[238:239], v[146:147]
	v_mul_f64 v[156:157], v[236:237], v[146:147]
	v_fma_f64 v[144:145], v[236:237], v[246:247], -v[144:145]
	v_fmac_f64_e32 v[156:157], v[238:239], v[246:247]
	ds_read2_b64 v[236:239], v248 offset0:66 offset1:67
	v_add_f64 v[100:101], v[100:101], -v[144:145]
	v_add_f64 v[102:103], v[102:103], -v[156:157]
	s_waitcnt lgkmcnt(0)
	v_mul_f64 v[144:145], v[238:239], v[146:147]
	v_mul_f64 v[156:157], v[236:237], v[146:147]
	v_fma_f64 v[144:145], v[236:237], v[246:247], -v[144:145]
	v_fmac_f64_e32 v[156:157], v[238:239], v[246:247]
	ds_read2_b64 v[236:239], v248 offset0:68 offset1:69
	v_add_f64 v[96:97], v[96:97], -v[144:145]
	v_add_f64 v[98:99], v[98:99], -v[156:157]
	s_waitcnt lgkmcnt(0)
	v_mul_f64 v[144:145], v[238:239], v[146:147]
	v_mul_f64 v[156:157], v[236:237], v[146:147]
	v_fma_f64 v[144:145], v[236:237], v[246:247], -v[144:145]
	v_fmac_f64_e32 v[156:157], v[238:239], v[246:247]
	ds_read2_b64 v[236:239], v248 offset0:70 offset1:71
	v_add_f64 v[92:93], v[92:93], -v[144:145]
	v_add_f64 v[94:95], v[94:95], -v[156:157]
	s_waitcnt lgkmcnt(0)
	v_mul_f64 v[144:145], v[238:239], v[146:147]
	v_mul_f64 v[156:157], v[236:237], v[146:147]
	v_fma_f64 v[144:145], v[236:237], v[246:247], -v[144:145]
	v_fmac_f64_e32 v[156:157], v[238:239], v[246:247]
	ds_read2_b64 v[236:239], v248 offset0:72 offset1:73
	v_add_f64 v[88:89], v[88:89], -v[144:145]
	v_add_f64 v[90:91], v[90:91], -v[156:157]
	s_waitcnt lgkmcnt(0)
	v_mul_f64 v[144:145], v[238:239], v[146:147]
	v_mul_f64 v[156:157], v[236:237], v[146:147]
	v_fma_f64 v[144:145], v[236:237], v[246:247], -v[144:145]
	v_fmac_f64_e32 v[156:157], v[238:239], v[246:247]
	ds_read2_b64 v[236:239], v248 offset0:74 offset1:75
	v_add_f64 v[84:85], v[84:85], -v[144:145]
	v_add_f64 v[86:87], v[86:87], -v[156:157]
	s_waitcnt lgkmcnt(0)
	v_mul_f64 v[144:145], v[238:239], v[146:147]
	v_mul_f64 v[156:157], v[236:237], v[146:147]
	v_fma_f64 v[144:145], v[236:237], v[246:247], -v[144:145]
	v_fmac_f64_e32 v[156:157], v[238:239], v[246:247]
	ds_read2_b64 v[236:239], v248 offset0:76 offset1:77
	v_add_f64 v[80:81], v[80:81], -v[144:145]
	v_add_f64 v[82:83], v[82:83], -v[156:157]
	s_waitcnt lgkmcnt(0)
	v_mul_f64 v[144:145], v[238:239], v[146:147]
	v_mul_f64 v[156:157], v[236:237], v[146:147]
	v_fma_f64 v[144:145], v[236:237], v[246:247], -v[144:145]
	v_fmac_f64_e32 v[156:157], v[238:239], v[246:247]
	ds_read2_b64 v[236:239], v248 offset0:78 offset1:79
	v_add_f64 v[76:77], v[76:77], -v[144:145]
	v_add_f64 v[78:79], v[78:79], -v[156:157]
	s_waitcnt lgkmcnt(0)
	v_mul_f64 v[144:145], v[238:239], v[146:147]
	v_mul_f64 v[156:157], v[236:237], v[146:147]
	v_fma_f64 v[144:145], v[236:237], v[246:247], -v[144:145]
	v_fmac_f64_e32 v[156:157], v[238:239], v[246:247]
	ds_read2_b64 v[236:239], v248 offset0:80 offset1:81
	v_add_f64 v[72:73], v[72:73], -v[144:145]
	v_add_f64 v[74:75], v[74:75], -v[156:157]
	s_waitcnt lgkmcnt(0)
	v_mul_f64 v[144:145], v[238:239], v[146:147]
	v_mul_f64 v[156:157], v[236:237], v[146:147]
	v_fma_f64 v[144:145], v[236:237], v[246:247], -v[144:145]
	v_fmac_f64_e32 v[156:157], v[238:239], v[246:247]
	ds_read2_b64 v[236:239], v248 offset0:82 offset1:83
	v_add_f64 v[68:69], v[68:69], -v[144:145]
	v_add_f64 v[70:71], v[70:71], -v[156:157]
	s_waitcnt lgkmcnt(0)
	v_mul_f64 v[144:145], v[238:239], v[146:147]
	v_mul_f64 v[156:157], v[236:237], v[146:147]
	v_fma_f64 v[144:145], v[236:237], v[246:247], -v[144:145]
	v_fmac_f64_e32 v[156:157], v[238:239], v[246:247]
	ds_read2_b64 v[236:239], v248 offset0:84 offset1:85
	v_add_f64 v[64:65], v[64:65], -v[144:145]
	v_add_f64 v[66:67], v[66:67], -v[156:157]
	s_waitcnt lgkmcnt(0)
	v_mul_f64 v[144:145], v[238:239], v[146:147]
	v_mul_f64 v[156:157], v[236:237], v[146:147]
	v_fma_f64 v[144:145], v[236:237], v[246:247], -v[144:145]
	v_fmac_f64_e32 v[156:157], v[238:239], v[246:247]
	ds_read2_b64 v[236:239], v248 offset0:86 offset1:87
	v_add_f64 v[60:61], v[60:61], -v[144:145]
	v_add_f64 v[62:63], v[62:63], -v[156:157]
	s_waitcnt lgkmcnt(0)
	v_mul_f64 v[144:145], v[238:239], v[146:147]
	v_mul_f64 v[156:157], v[236:237], v[146:147]
	v_fma_f64 v[144:145], v[236:237], v[246:247], -v[144:145]
	v_fmac_f64_e32 v[156:157], v[238:239], v[246:247]
	ds_read2_b64 v[236:239], v248 offset0:88 offset1:89
	v_add_f64 v[56:57], v[56:57], -v[144:145]
	v_add_f64 v[58:59], v[58:59], -v[156:157]
	s_waitcnt lgkmcnt(0)
	v_mul_f64 v[144:145], v[238:239], v[146:147]
	v_mul_f64 v[156:157], v[236:237], v[146:147]
	v_fma_f64 v[144:145], v[236:237], v[246:247], -v[144:145]
	v_fmac_f64_e32 v[156:157], v[238:239], v[246:247]
	ds_read2_b64 v[236:239], v248 offset0:90 offset1:91
	v_add_f64 v[52:53], v[52:53], -v[144:145]
	v_add_f64 v[54:55], v[54:55], -v[156:157]
	s_waitcnt lgkmcnt(0)
	v_mul_f64 v[144:145], v[238:239], v[146:147]
	v_mul_f64 v[156:157], v[236:237], v[146:147]
	v_fma_f64 v[144:145], v[236:237], v[246:247], -v[144:145]
	v_fmac_f64_e32 v[156:157], v[238:239], v[246:247]
	ds_read2_b64 v[236:239], v248 offset0:92 offset1:93
	v_add_f64 v[48:49], v[48:49], -v[144:145]
	v_add_f64 v[50:51], v[50:51], -v[156:157]
	s_waitcnt lgkmcnt(0)
	v_mul_f64 v[144:145], v[238:239], v[146:147]
	v_mul_f64 v[156:157], v[236:237], v[146:147]
	v_fma_f64 v[144:145], v[236:237], v[246:247], -v[144:145]
	v_fmac_f64_e32 v[156:157], v[238:239], v[246:247]
	ds_read2_b64 v[236:239], v248 offset0:94 offset1:95
	v_add_f64 v[44:45], v[44:45], -v[144:145]
	v_add_f64 v[46:47], v[46:47], -v[156:157]
	s_waitcnt lgkmcnt(0)
	v_mul_f64 v[144:145], v[238:239], v[146:147]
	v_mul_f64 v[156:157], v[236:237], v[146:147]
	v_fma_f64 v[144:145], v[236:237], v[246:247], -v[144:145]
	v_fmac_f64_e32 v[156:157], v[238:239], v[246:247]
	ds_read2_b64 v[236:239], v248 offset0:96 offset1:97
	v_add_f64 v[40:41], v[40:41], -v[144:145]
	v_add_f64 v[42:43], v[42:43], -v[156:157]
	s_waitcnt lgkmcnt(0)
	v_mul_f64 v[144:145], v[238:239], v[146:147]
	v_mul_f64 v[156:157], v[236:237], v[146:147]
	v_fma_f64 v[144:145], v[236:237], v[246:247], -v[144:145]
	v_fmac_f64_e32 v[156:157], v[238:239], v[246:247]
	ds_read2_b64 v[236:239], v248 offset0:98 offset1:99
	v_add_f64 v[36:37], v[36:37], -v[144:145]
	v_add_f64 v[38:39], v[38:39], -v[156:157]
	s_waitcnt lgkmcnt(0)
	v_mul_f64 v[144:145], v[238:239], v[146:147]
	v_mul_f64 v[156:157], v[236:237], v[146:147]
	v_fma_f64 v[144:145], v[236:237], v[246:247], -v[144:145]
	v_fmac_f64_e32 v[156:157], v[238:239], v[246:247]
	ds_read2_b64 v[236:239], v248 offset0:100 offset1:101
	v_add_f64 v[32:33], v[32:33], -v[144:145]
	v_add_f64 v[34:35], v[34:35], -v[156:157]
	s_waitcnt lgkmcnt(0)
	v_mul_f64 v[144:145], v[238:239], v[146:147]
	v_mul_f64 v[156:157], v[236:237], v[146:147]
	v_fma_f64 v[144:145], v[236:237], v[246:247], -v[144:145]
	v_fmac_f64_e32 v[156:157], v[238:239], v[246:247]
	ds_read2_b64 v[236:239], v248 offset0:102 offset1:103
	v_add_f64 v[28:29], v[28:29], -v[144:145]
	v_add_f64 v[30:31], v[30:31], -v[156:157]
	s_waitcnt lgkmcnt(0)
	v_mul_f64 v[144:145], v[238:239], v[146:147]
	v_mul_f64 v[156:157], v[236:237], v[146:147]
	v_fma_f64 v[144:145], v[236:237], v[246:247], -v[144:145]
	v_fmac_f64_e32 v[156:157], v[238:239], v[246:247]
	ds_read2_b64 v[236:239], v248 offset0:104 offset1:105
	v_add_f64 v[24:25], v[24:25], -v[144:145]
	v_add_f64 v[26:27], v[26:27], -v[156:157]
	s_waitcnt lgkmcnt(0)
	v_mul_f64 v[144:145], v[238:239], v[146:147]
	v_mul_f64 v[156:157], v[236:237], v[146:147]
	v_fma_f64 v[144:145], v[236:237], v[246:247], -v[144:145]
	v_fmac_f64_e32 v[156:157], v[238:239], v[246:247]
	ds_read2_b64 v[236:239], v248 offset0:106 offset1:107
	v_add_f64 v[20:21], v[20:21], -v[144:145]
	v_add_f64 v[22:23], v[22:23], -v[156:157]
	s_waitcnt lgkmcnt(0)
	v_mul_f64 v[144:145], v[238:239], v[146:147]
	v_mul_f64 v[156:157], v[236:237], v[146:147]
	v_fma_f64 v[144:145], v[236:237], v[246:247], -v[144:145]
	v_fmac_f64_e32 v[156:157], v[238:239], v[246:247]
	ds_read2_b64 v[236:239], v248 offset0:108 offset1:109
	v_add_f64 v[16:17], v[16:17], -v[144:145]
	v_add_f64 v[18:19], v[18:19], -v[156:157]
	s_waitcnt lgkmcnt(0)
	v_mul_f64 v[144:145], v[238:239], v[146:147]
	v_mul_f64 v[156:157], v[236:237], v[146:147]
	v_fma_f64 v[144:145], v[236:237], v[246:247], -v[144:145]
	v_fmac_f64_e32 v[156:157], v[238:239], v[246:247]
	ds_read2_b64 v[236:239], v248 offset0:110 offset1:111
	v_add_f64 v[12:13], v[12:13], -v[144:145]
	v_add_f64 v[14:15], v[14:15], -v[156:157]
	s_waitcnt lgkmcnt(0)
	v_mul_f64 v[144:145], v[238:239], v[146:147]
	v_mul_f64 v[156:157], v[236:237], v[146:147]
	v_fma_f64 v[144:145], v[236:237], v[246:247], -v[144:145]
	v_fmac_f64_e32 v[156:157], v[238:239], v[246:247]
	ds_read2_b64 v[236:239], v248 offset0:112 offset1:113
	v_add_f64 v[252:253], v[252:253], -v[144:145]
	v_add_f64 v[254:255], v[254:255], -v[156:157]
	s_waitcnt lgkmcnt(0)
	v_mul_f64 v[144:145], v[238:239], v[146:147]
	v_mul_f64 v[156:157], v[236:237], v[146:147]
	v_fma_f64 v[144:145], v[236:237], v[246:247], -v[144:145]
	v_fmac_f64_e32 v[156:157], v[238:239], v[246:247]
	ds_read2_b64 v[236:239], v248 offset0:114 offset1:115
	v_add_f64 v[224:225], v[224:225], -v[144:145]
	v_add_f64 v[226:227], v[226:227], -v[156:157]
	s_waitcnt lgkmcnt(0)
	v_mul_f64 v[144:145], v[238:239], v[146:147]
	v_mul_f64 v[156:157], v[236:237], v[146:147]
	v_fma_f64 v[144:145], v[236:237], v[246:247], -v[144:145]
	v_fmac_f64_e32 v[156:157], v[238:239], v[246:247]
	ds_read2_b64 v[236:239], v248 offset0:116 offset1:117
	v_add_f64 v[220:221], v[220:221], -v[144:145]
	v_add_f64 v[222:223], v[222:223], -v[156:157]
	s_waitcnt lgkmcnt(0)
	v_mul_f64 v[144:145], v[238:239], v[146:147]
	v_mul_f64 v[156:157], v[236:237], v[146:147]
	v_fma_f64 v[144:145], v[236:237], v[246:247], -v[144:145]
	v_fmac_f64_e32 v[156:157], v[238:239], v[246:247]
	v_add_f64 v[232:233], v[232:233], -v[144:145]
	v_add_f64 v[234:235], v[234:235], -v[156:157]
	v_mov_b64_e32 v[144:145], v[246:247]
.LBB116_461:
	s_or_b64 exec, exec, s[0:1]
	v_lshl_add_u32 v156, v249, 4, v248
	s_barrier
	ds_write2_b64 v156, v[140:141], v[142:143] offset1:1
	s_waitcnt lgkmcnt(0)
	s_barrier
	ds_read2_b64 v[236:239], v248 offset0:44 offset1:45
	s_cmp_lt_i32 s20, 24
	v_mov_b32_e32 v246, 22
	s_cbranch_scc1 .LBB116_464
; %bb.462:
	v_add_u32_e32 v247, 0x170, v248
	s_mov_b32 s0, 23
	v_mov_b32_e32 v246, 22
.LBB116_463:                            ; =>This Inner Loop Header: Depth=1
	ds_read2_b64 v[242:245], v247 offset1:1
	s_waitcnt lgkmcnt(1)
	v_cmp_gt_f64_e32 vcc, 0, v[236:237]
	v_xor_b32_e32 v156, 0x80000000, v237
	v_xor_b32_e32 v158, 0x80000000, v239
	v_cndmask_b32_e32 v157, v237, v156, vcc
	v_cmp_gt_f64_e32 vcc, 0, v[238:239]
	v_mov_b32_e32 v156, v236
	s_waitcnt lgkmcnt(0)
	v_xor_b32_e32 v160, 0x80000000, v245
	v_cndmask_b32_e32 v159, v239, v158, vcc
	v_mov_b32_e32 v158, v238
	v_add_f64 v[156:157], v[156:157], v[158:159]
	v_cmp_gt_f64_e32 vcc, 0, v[242:243]
	v_xor_b32_e32 v158, 0x80000000, v243
	v_add_u32_e32 v247, 16, v247
	v_cndmask_b32_e32 v159, v243, v158, vcc
	v_cmp_gt_f64_e32 vcc, 0, v[244:245]
	v_mov_b32_e32 v158, v242
	s_nop 0
	v_cndmask_b32_e32 v161, v245, v160, vcc
	v_mov_b32_e32 v160, v244
	v_add_f64 v[158:159], v[158:159], v[160:161]
	v_cmp_lt_f64_e32 vcc, v[156:157], v[158:159]
	v_mov_b32_e32 v156, s0
	s_add_i32 s0, s0, 1
	v_cndmask_b32_e32 v237, v237, v243, vcc
	v_cndmask_b32_e32 v236, v236, v242, vcc
	;; [unrolled: 1-line block ×5, first 2 shown]
	s_cmp_lg_u32 s20, s0
	s_cbranch_scc1 .LBB116_463
.LBB116_464:
	s_waitcnt lgkmcnt(0)
	v_cmp_eq_f64_e32 vcc, 0, v[236:237]
	v_cmp_eq_f64_e64 s[0:1], 0, v[238:239]
	s_and_b64 s[0:1], vcc, s[0:1]
	s_and_saveexec_b64 s[16:17], s[0:1]
	s_xor_b64 s[0:1], exec, s[16:17]
; %bb.465:
	v_cmp_ne_u32_e32 vcc, 0, v250
	s_nop 1
	v_cndmask_b32_e32 v250, 23, v250, vcc
; %bb.466:
	s_andn2_saveexec_b64 s[0:1], s[0:1]
	s_cbranch_execz .LBB116_472
; %bb.467:
	v_cmp_ngt_f64_e64 s[16:17], |v[236:237]|, |v[238:239]|
	s_and_saveexec_b64 s[18:19], s[16:17]
	s_xor_b64 s[16:17], exec, s[18:19]
	s_cbranch_execz .LBB116_469
; %bb.468:
	v_div_scale_f64 v[156:157], s[18:19], v[238:239], v[238:239], v[236:237]
	v_rcp_f64_e32 v[158:159], v[156:157]
	v_div_scale_f64 v[160:161], vcc, v[236:237], v[238:239], v[236:237]
	v_fma_f64 v[162:163], -v[156:157], v[158:159], 1.0
	v_fmac_f64_e32 v[158:159], v[158:159], v[162:163]
	v_fma_f64 v[162:163], -v[156:157], v[158:159], 1.0
	v_fmac_f64_e32 v[158:159], v[158:159], v[162:163]
	v_mul_f64 v[162:163], v[160:161], v[158:159]
	v_fma_f64 v[156:157], -v[156:157], v[162:163], v[160:161]
	v_div_fmas_f64 v[156:157], v[156:157], v[158:159], v[162:163]
	v_div_fixup_f64 v[156:157], v[156:157], v[238:239], v[236:237]
	v_fmac_f64_e32 v[238:239], v[236:237], v[156:157]
	v_div_scale_f64 v[158:159], s[18:19], v[238:239], v[238:239], 1.0
	v_rcp_f64_e32 v[160:161], v[158:159]
	s_nop 0
	v_fma_f64 v[162:163], -v[158:159], v[160:161], 1.0
	v_fmac_f64_e32 v[160:161], v[160:161], v[162:163]
	v_fma_f64 v[162:163], -v[158:159], v[160:161], 1.0
	v_fmac_f64_e32 v[160:161], v[160:161], v[162:163]
	v_div_scale_f64 v[162:163], vcc, 1.0, v[238:239], 1.0
	v_mul_f64 v[216:217], v[162:163], v[160:161]
	v_fma_f64 v[158:159], -v[158:159], v[216:217], v[162:163]
	s_nop 1
	v_div_fmas_f64 v[158:159], v[158:159], v[160:161], v[216:217]
	v_div_fixup_f64 v[238:239], v[158:159], v[238:239], 1.0
	v_mul_f64 v[236:237], v[156:157], v[238:239]
	v_xor_b32_e32 v239, 0x80000000, v239
.LBB116_469:
	s_andn2_saveexec_b64 s[16:17], s[16:17]
	s_cbranch_execz .LBB116_471
; %bb.470:
	v_div_scale_f64 v[156:157], s[18:19], v[236:237], v[236:237], v[238:239]
	v_rcp_f64_e32 v[158:159], v[156:157]
	v_div_scale_f64 v[160:161], vcc, v[238:239], v[236:237], v[238:239]
	v_fma_f64 v[162:163], -v[156:157], v[158:159], 1.0
	v_fmac_f64_e32 v[158:159], v[158:159], v[162:163]
	v_fma_f64 v[162:163], -v[156:157], v[158:159], 1.0
	v_fmac_f64_e32 v[158:159], v[158:159], v[162:163]
	v_mul_f64 v[162:163], v[160:161], v[158:159]
	v_fma_f64 v[156:157], -v[156:157], v[162:163], v[160:161]
	v_div_fmas_f64 v[156:157], v[156:157], v[158:159], v[162:163]
	v_div_fixup_f64 v[156:157], v[156:157], v[236:237], v[238:239]
	v_fmac_f64_e32 v[236:237], v[238:239], v[156:157]
	v_div_scale_f64 v[158:159], s[18:19], v[236:237], v[236:237], 1.0
	v_rcp_f64_e32 v[160:161], v[158:159]
	s_nop 0
	v_fma_f64 v[162:163], -v[158:159], v[160:161], 1.0
	v_fmac_f64_e32 v[160:161], v[160:161], v[162:163]
	v_fma_f64 v[162:163], -v[158:159], v[160:161], 1.0
	v_fmac_f64_e32 v[160:161], v[160:161], v[162:163]
	v_div_scale_f64 v[162:163], vcc, 1.0, v[236:237], 1.0
	v_mul_f64 v[216:217], v[162:163], v[160:161]
	v_fma_f64 v[158:159], -v[158:159], v[216:217], v[162:163]
	s_nop 1
	v_div_fmas_f64 v[158:159], v[158:159], v[160:161], v[216:217]
	v_div_fixup_f64 v[236:237], v[158:159], v[236:237], 1.0
	v_mul_f64 v[238:239], v[156:157], -v[236:237]
.LBB116_471:
	s_or_b64 exec, exec, s[16:17]
.LBB116_472:
	s_or_b64 exec, exec, s[0:1]
	v_cmp_ne_u32_e32 vcc, v249, v246
	s_and_saveexec_b64 s[0:1], vcc
	s_xor_b64 s[0:1], exec, s[0:1]
	s_cbranch_execz .LBB116_478
; %bb.473:
	v_cmp_eq_u32_e32 vcc, 22, v249
	s_and_saveexec_b64 s[16:17], vcc
	s_cbranch_execz .LBB116_477
; %bb.474:
	v_cmp_ne_u32_e32 vcc, 22, v246
	s_xor_b64 s[18:19], s[14:15], -1
	s_and_b64 s[22:23], s[18:19], vcc
	s_and_saveexec_b64 s[18:19], s[22:23]
	s_cbranch_execz .LBB116_476
; %bb.475:
	scratch_load_dwordx2 v[8:9], off, off offset:16 ; 8-byte Folded Reload
	v_ashrrev_i32_e32 v247, 31, v246
	s_waitcnt vmcnt(0)
	v_lshl_add_u64 v[156:157], v[246:247], 2, v[8:9]
	global_load_dword v158, v[156:157], off
	global_load_dword v159, v[8:9], off offset:88
	s_waitcnt vmcnt(1)
	global_store_dword v[8:9], v158, off offset:88
	s_waitcnt vmcnt(1)
	global_store_dword v[156:157], v159, off
.LBB116_476:
	s_or_b64 exec, exec, s[18:19]
	v_mov_b32_e32 v249, v246
	v_mov_b32_e32 v218, v246
.LBB116_477:
	s_or_b64 exec, exec, s[16:17]
.LBB116_478:
	s_andn2_saveexec_b64 s[0:1], s[0:1]
	s_cbranch_execz .LBB116_480
; %bb.479:
	v_mov_b32_e32 v249, 22
	ds_write2_b64 v248, v[136:137], v[138:139] offset0:46 offset1:47
	ds_write2_b64 v248, v[132:133], v[134:135] offset0:48 offset1:49
	;; [unrolled: 1-line block ×36, first 2 shown]
.LBB116_480:
	s_or_b64 exec, exec, s[0:1]
	v_cmp_lt_i32_e32 vcc, 22, v249
	s_waitcnt lgkmcnt(0)
	s_barrier
	s_and_saveexec_b64 s[0:1], vcc
	s_cbranch_execz .LBB116_482
; %bb.481:
	v_mul_f64 v[156:157], v[238:239], v[142:143]
	v_mul_f64 v[142:143], v[236:237], v[142:143]
	v_fma_f64 v[246:247], v[236:237], v[140:141], -v[156:157]
	v_fmac_f64_e32 v[142:143], v[238:239], v[140:141]
	ds_read2_b64 v[236:239], v248 offset0:46 offset1:47
	s_waitcnt lgkmcnt(0)
	v_mul_f64 v[140:141], v[238:239], v[142:143]
	v_mul_f64 v[156:157], v[236:237], v[142:143]
	v_fma_f64 v[140:141], v[236:237], v[246:247], -v[140:141]
	v_fmac_f64_e32 v[156:157], v[238:239], v[246:247]
	ds_read2_b64 v[236:239], v248 offset0:48 offset1:49
	v_add_f64 v[136:137], v[136:137], -v[140:141]
	v_add_f64 v[138:139], v[138:139], -v[156:157]
	s_waitcnt lgkmcnt(0)
	v_mul_f64 v[140:141], v[238:239], v[142:143]
	v_mul_f64 v[156:157], v[236:237], v[142:143]
	v_fma_f64 v[140:141], v[236:237], v[246:247], -v[140:141]
	v_fmac_f64_e32 v[156:157], v[238:239], v[246:247]
	ds_read2_b64 v[236:239], v248 offset0:50 offset1:51
	v_add_f64 v[132:133], v[132:133], -v[140:141]
	v_add_f64 v[134:135], v[134:135], -v[156:157]
	;; [unrolled: 8-line block ×35, first 2 shown]
	s_waitcnt lgkmcnt(0)
	v_mul_f64 v[140:141], v[238:239], v[142:143]
	v_mul_f64 v[156:157], v[236:237], v[142:143]
	v_fma_f64 v[140:141], v[236:237], v[246:247], -v[140:141]
	v_fmac_f64_e32 v[156:157], v[238:239], v[246:247]
	v_add_f64 v[232:233], v[232:233], -v[140:141]
	v_add_f64 v[234:235], v[234:235], -v[156:157]
	v_mov_b64_e32 v[140:141], v[246:247]
.LBB116_482:
	s_or_b64 exec, exec, s[0:1]
	v_lshl_add_u32 v156, v249, 4, v248
	s_barrier
	ds_write2_b64 v156, v[136:137], v[138:139] offset1:1
	s_waitcnt lgkmcnt(0)
	s_barrier
	ds_read2_b64 v[236:239], v248 offset0:46 offset1:47
	s_cmp_lt_i32 s20, 25
	v_mov_b32_e32 v246, 23
	s_cbranch_scc1 .LBB116_485
; %bb.483:
	v_add_u32_e32 v247, 0x180, v248
	s_mov_b32 s0, 24
	v_mov_b32_e32 v246, 23
.LBB116_484:                            ; =>This Inner Loop Header: Depth=1
	ds_read2_b64 v[242:245], v247 offset1:1
	s_waitcnt lgkmcnt(1)
	v_cmp_gt_f64_e32 vcc, 0, v[236:237]
	v_xor_b32_e32 v156, 0x80000000, v237
	v_xor_b32_e32 v158, 0x80000000, v239
	v_cndmask_b32_e32 v157, v237, v156, vcc
	v_cmp_gt_f64_e32 vcc, 0, v[238:239]
	v_mov_b32_e32 v156, v236
	s_waitcnt lgkmcnt(0)
	v_xor_b32_e32 v160, 0x80000000, v245
	v_cndmask_b32_e32 v159, v239, v158, vcc
	v_mov_b32_e32 v158, v238
	v_add_f64 v[156:157], v[156:157], v[158:159]
	v_cmp_gt_f64_e32 vcc, 0, v[242:243]
	v_xor_b32_e32 v158, 0x80000000, v243
	v_add_u32_e32 v247, 16, v247
	v_cndmask_b32_e32 v159, v243, v158, vcc
	v_cmp_gt_f64_e32 vcc, 0, v[244:245]
	v_mov_b32_e32 v158, v242
	s_nop 0
	v_cndmask_b32_e32 v161, v245, v160, vcc
	v_mov_b32_e32 v160, v244
	v_add_f64 v[158:159], v[158:159], v[160:161]
	v_cmp_lt_f64_e32 vcc, v[156:157], v[158:159]
	v_mov_b32_e32 v156, s0
	s_add_i32 s0, s0, 1
	v_cndmask_b32_e32 v237, v237, v243, vcc
	v_cndmask_b32_e32 v236, v236, v242, vcc
	;; [unrolled: 1-line block ×5, first 2 shown]
	s_cmp_lg_u32 s20, s0
	s_cbranch_scc1 .LBB116_484
.LBB116_485:
	s_waitcnt lgkmcnt(0)
	v_cmp_eq_f64_e32 vcc, 0, v[236:237]
	v_cmp_eq_f64_e64 s[0:1], 0, v[238:239]
	s_and_b64 s[0:1], vcc, s[0:1]
	s_and_saveexec_b64 s[16:17], s[0:1]
	s_xor_b64 s[0:1], exec, s[16:17]
; %bb.486:
	v_cmp_ne_u32_e32 vcc, 0, v250
	s_nop 1
	v_cndmask_b32_e32 v250, 24, v250, vcc
; %bb.487:
	s_andn2_saveexec_b64 s[0:1], s[0:1]
	s_cbranch_execz .LBB116_493
; %bb.488:
	v_cmp_ngt_f64_e64 s[16:17], |v[236:237]|, |v[238:239]|
	s_and_saveexec_b64 s[18:19], s[16:17]
	s_xor_b64 s[16:17], exec, s[18:19]
	s_cbranch_execz .LBB116_490
; %bb.489:
	v_div_scale_f64 v[156:157], s[18:19], v[238:239], v[238:239], v[236:237]
	v_rcp_f64_e32 v[158:159], v[156:157]
	v_div_scale_f64 v[160:161], vcc, v[236:237], v[238:239], v[236:237]
	v_fma_f64 v[162:163], -v[156:157], v[158:159], 1.0
	v_fmac_f64_e32 v[158:159], v[158:159], v[162:163]
	v_fma_f64 v[162:163], -v[156:157], v[158:159], 1.0
	v_fmac_f64_e32 v[158:159], v[158:159], v[162:163]
	v_mul_f64 v[162:163], v[160:161], v[158:159]
	v_fma_f64 v[156:157], -v[156:157], v[162:163], v[160:161]
	v_div_fmas_f64 v[156:157], v[156:157], v[158:159], v[162:163]
	v_div_fixup_f64 v[156:157], v[156:157], v[238:239], v[236:237]
	v_fmac_f64_e32 v[238:239], v[236:237], v[156:157]
	v_div_scale_f64 v[158:159], s[18:19], v[238:239], v[238:239], 1.0
	v_rcp_f64_e32 v[160:161], v[158:159]
	s_nop 0
	v_fma_f64 v[162:163], -v[158:159], v[160:161], 1.0
	v_fmac_f64_e32 v[160:161], v[160:161], v[162:163]
	v_fma_f64 v[162:163], -v[158:159], v[160:161], 1.0
	v_fmac_f64_e32 v[160:161], v[160:161], v[162:163]
	v_div_scale_f64 v[162:163], vcc, 1.0, v[238:239], 1.0
	v_mul_f64 v[216:217], v[162:163], v[160:161]
	v_fma_f64 v[158:159], -v[158:159], v[216:217], v[162:163]
	s_nop 1
	v_div_fmas_f64 v[158:159], v[158:159], v[160:161], v[216:217]
	v_div_fixup_f64 v[238:239], v[158:159], v[238:239], 1.0
	v_mul_f64 v[236:237], v[156:157], v[238:239]
	v_xor_b32_e32 v239, 0x80000000, v239
.LBB116_490:
	s_andn2_saveexec_b64 s[16:17], s[16:17]
	s_cbranch_execz .LBB116_492
; %bb.491:
	v_div_scale_f64 v[156:157], s[18:19], v[236:237], v[236:237], v[238:239]
	v_rcp_f64_e32 v[158:159], v[156:157]
	v_div_scale_f64 v[160:161], vcc, v[238:239], v[236:237], v[238:239]
	v_fma_f64 v[162:163], -v[156:157], v[158:159], 1.0
	v_fmac_f64_e32 v[158:159], v[158:159], v[162:163]
	v_fma_f64 v[162:163], -v[156:157], v[158:159], 1.0
	v_fmac_f64_e32 v[158:159], v[158:159], v[162:163]
	v_mul_f64 v[162:163], v[160:161], v[158:159]
	v_fma_f64 v[156:157], -v[156:157], v[162:163], v[160:161]
	v_div_fmas_f64 v[156:157], v[156:157], v[158:159], v[162:163]
	v_div_fixup_f64 v[156:157], v[156:157], v[236:237], v[238:239]
	v_fmac_f64_e32 v[236:237], v[238:239], v[156:157]
	v_div_scale_f64 v[158:159], s[18:19], v[236:237], v[236:237], 1.0
	v_rcp_f64_e32 v[160:161], v[158:159]
	s_nop 0
	v_fma_f64 v[162:163], -v[158:159], v[160:161], 1.0
	v_fmac_f64_e32 v[160:161], v[160:161], v[162:163]
	v_fma_f64 v[162:163], -v[158:159], v[160:161], 1.0
	v_fmac_f64_e32 v[160:161], v[160:161], v[162:163]
	v_div_scale_f64 v[162:163], vcc, 1.0, v[236:237], 1.0
	v_mul_f64 v[216:217], v[162:163], v[160:161]
	v_fma_f64 v[158:159], -v[158:159], v[216:217], v[162:163]
	s_nop 1
	v_div_fmas_f64 v[158:159], v[158:159], v[160:161], v[216:217]
	v_div_fixup_f64 v[236:237], v[158:159], v[236:237], 1.0
	v_mul_f64 v[238:239], v[156:157], -v[236:237]
.LBB116_492:
	s_or_b64 exec, exec, s[16:17]
.LBB116_493:
	s_or_b64 exec, exec, s[0:1]
	v_cmp_ne_u32_e32 vcc, v249, v246
	s_and_saveexec_b64 s[0:1], vcc
	s_xor_b64 s[0:1], exec, s[0:1]
	s_cbranch_execz .LBB116_499
; %bb.494:
	v_cmp_eq_u32_e32 vcc, 23, v249
	s_and_saveexec_b64 s[16:17], vcc
	s_cbranch_execz .LBB116_498
; %bb.495:
	v_cmp_ne_u32_e32 vcc, 23, v246
	s_xor_b64 s[18:19], s[14:15], -1
	s_and_b64 s[22:23], s[18:19], vcc
	s_and_saveexec_b64 s[18:19], s[22:23]
	s_cbranch_execz .LBB116_497
; %bb.496:
	scratch_load_dwordx2 v[8:9], off, off offset:16 ; 8-byte Folded Reload
	v_ashrrev_i32_e32 v247, 31, v246
	s_waitcnt vmcnt(0)
	v_lshl_add_u64 v[156:157], v[246:247], 2, v[8:9]
	global_load_dword v158, v[156:157], off
	global_load_dword v159, v[8:9], off offset:92
	s_waitcnt vmcnt(1)
	global_store_dword v[8:9], v158, off offset:92
	s_waitcnt vmcnt(1)
	global_store_dword v[156:157], v159, off
.LBB116_497:
	s_or_b64 exec, exec, s[18:19]
	v_mov_b32_e32 v249, v246
	v_mov_b32_e32 v218, v246
.LBB116_498:
	s_or_b64 exec, exec, s[16:17]
.LBB116_499:
	s_andn2_saveexec_b64 s[0:1], s[0:1]
	s_cbranch_execz .LBB116_501
; %bb.500:
	v_mov_b32_e32 v249, 23
	ds_write2_b64 v248, v[132:133], v[134:135] offset0:48 offset1:49
	ds_write2_b64 v248, v[128:129], v[130:131] offset0:50 offset1:51
	;; [unrolled: 1-line block ×35, first 2 shown]
.LBB116_501:
	s_or_b64 exec, exec, s[0:1]
	v_cmp_lt_i32_e32 vcc, 23, v249
	s_waitcnt lgkmcnt(0)
	s_barrier
	s_and_saveexec_b64 s[0:1], vcc
	s_cbranch_execz .LBB116_503
; %bb.502:
	v_mul_f64 v[156:157], v[238:239], v[138:139]
	v_mul_f64 v[138:139], v[236:237], v[138:139]
	v_fma_f64 v[246:247], v[236:237], v[136:137], -v[156:157]
	v_fmac_f64_e32 v[138:139], v[238:239], v[136:137]
	ds_read2_b64 v[236:239], v248 offset0:48 offset1:49
	s_waitcnt lgkmcnt(0)
	v_mul_f64 v[136:137], v[238:239], v[138:139]
	v_mul_f64 v[156:157], v[236:237], v[138:139]
	v_fma_f64 v[136:137], v[236:237], v[246:247], -v[136:137]
	v_fmac_f64_e32 v[156:157], v[238:239], v[246:247]
	ds_read2_b64 v[236:239], v248 offset0:50 offset1:51
	v_add_f64 v[132:133], v[132:133], -v[136:137]
	v_add_f64 v[134:135], v[134:135], -v[156:157]
	s_waitcnt lgkmcnt(0)
	v_mul_f64 v[136:137], v[238:239], v[138:139]
	v_mul_f64 v[156:157], v[236:237], v[138:139]
	v_fma_f64 v[136:137], v[236:237], v[246:247], -v[136:137]
	v_fmac_f64_e32 v[156:157], v[238:239], v[246:247]
	ds_read2_b64 v[236:239], v248 offset0:52 offset1:53
	v_add_f64 v[128:129], v[128:129], -v[136:137]
	v_add_f64 v[130:131], v[130:131], -v[156:157]
	;; [unrolled: 8-line block ×34, first 2 shown]
	s_waitcnt lgkmcnt(0)
	v_mul_f64 v[136:137], v[238:239], v[138:139]
	v_mul_f64 v[156:157], v[236:237], v[138:139]
	v_fma_f64 v[136:137], v[236:237], v[246:247], -v[136:137]
	v_fmac_f64_e32 v[156:157], v[238:239], v[246:247]
	v_add_f64 v[232:233], v[232:233], -v[136:137]
	v_add_f64 v[234:235], v[234:235], -v[156:157]
	v_mov_b64_e32 v[136:137], v[246:247]
.LBB116_503:
	s_or_b64 exec, exec, s[0:1]
	v_lshl_add_u32 v156, v249, 4, v248
	s_barrier
	ds_write2_b64 v156, v[132:133], v[134:135] offset1:1
	s_waitcnt lgkmcnt(0)
	s_barrier
	ds_read2_b64 v[236:239], v248 offset0:48 offset1:49
	s_cmp_lt_i32 s20, 26
	v_mov_b32_e32 v246, 24
	s_cbranch_scc1 .LBB116_506
; %bb.504:
	v_add_u32_e32 v247, 0x190, v248
	s_mov_b32 s0, 25
	v_mov_b32_e32 v246, 24
.LBB116_505:                            ; =>This Inner Loop Header: Depth=1
	ds_read2_b64 v[242:245], v247 offset1:1
	s_waitcnt lgkmcnt(1)
	v_cmp_gt_f64_e32 vcc, 0, v[236:237]
	v_xor_b32_e32 v156, 0x80000000, v237
	v_xor_b32_e32 v158, 0x80000000, v239
	v_cndmask_b32_e32 v157, v237, v156, vcc
	v_cmp_gt_f64_e32 vcc, 0, v[238:239]
	v_mov_b32_e32 v156, v236
	s_waitcnt lgkmcnt(0)
	v_xor_b32_e32 v160, 0x80000000, v245
	v_cndmask_b32_e32 v159, v239, v158, vcc
	v_mov_b32_e32 v158, v238
	v_add_f64 v[156:157], v[156:157], v[158:159]
	v_cmp_gt_f64_e32 vcc, 0, v[242:243]
	v_xor_b32_e32 v158, 0x80000000, v243
	v_add_u32_e32 v247, 16, v247
	v_cndmask_b32_e32 v159, v243, v158, vcc
	v_cmp_gt_f64_e32 vcc, 0, v[244:245]
	v_mov_b32_e32 v158, v242
	s_nop 0
	v_cndmask_b32_e32 v161, v245, v160, vcc
	v_mov_b32_e32 v160, v244
	v_add_f64 v[158:159], v[158:159], v[160:161]
	v_cmp_lt_f64_e32 vcc, v[156:157], v[158:159]
	v_mov_b32_e32 v156, s0
	s_add_i32 s0, s0, 1
	v_cndmask_b32_e32 v237, v237, v243, vcc
	v_cndmask_b32_e32 v236, v236, v242, vcc
	;; [unrolled: 1-line block ×5, first 2 shown]
	s_cmp_lg_u32 s20, s0
	s_cbranch_scc1 .LBB116_505
.LBB116_506:
	s_waitcnt lgkmcnt(0)
	v_cmp_eq_f64_e32 vcc, 0, v[236:237]
	v_cmp_eq_f64_e64 s[0:1], 0, v[238:239]
	s_and_b64 s[0:1], vcc, s[0:1]
	s_and_saveexec_b64 s[16:17], s[0:1]
	s_xor_b64 s[0:1], exec, s[16:17]
; %bb.507:
	v_cmp_ne_u32_e32 vcc, 0, v250
	s_nop 1
	v_cndmask_b32_e32 v250, 25, v250, vcc
; %bb.508:
	s_andn2_saveexec_b64 s[0:1], s[0:1]
	s_cbranch_execz .LBB116_514
; %bb.509:
	v_cmp_ngt_f64_e64 s[16:17], |v[236:237]|, |v[238:239]|
	s_and_saveexec_b64 s[18:19], s[16:17]
	s_xor_b64 s[16:17], exec, s[18:19]
	s_cbranch_execz .LBB116_511
; %bb.510:
	v_div_scale_f64 v[156:157], s[18:19], v[238:239], v[238:239], v[236:237]
	v_rcp_f64_e32 v[158:159], v[156:157]
	v_div_scale_f64 v[160:161], vcc, v[236:237], v[238:239], v[236:237]
	v_fma_f64 v[162:163], -v[156:157], v[158:159], 1.0
	v_fmac_f64_e32 v[158:159], v[158:159], v[162:163]
	v_fma_f64 v[162:163], -v[156:157], v[158:159], 1.0
	v_fmac_f64_e32 v[158:159], v[158:159], v[162:163]
	v_mul_f64 v[162:163], v[160:161], v[158:159]
	v_fma_f64 v[156:157], -v[156:157], v[162:163], v[160:161]
	v_div_fmas_f64 v[156:157], v[156:157], v[158:159], v[162:163]
	v_div_fixup_f64 v[156:157], v[156:157], v[238:239], v[236:237]
	v_fmac_f64_e32 v[238:239], v[236:237], v[156:157]
	v_div_scale_f64 v[158:159], s[18:19], v[238:239], v[238:239], 1.0
	v_rcp_f64_e32 v[160:161], v[158:159]
	s_nop 0
	v_fma_f64 v[162:163], -v[158:159], v[160:161], 1.0
	v_fmac_f64_e32 v[160:161], v[160:161], v[162:163]
	v_fma_f64 v[162:163], -v[158:159], v[160:161], 1.0
	v_fmac_f64_e32 v[160:161], v[160:161], v[162:163]
	v_div_scale_f64 v[162:163], vcc, 1.0, v[238:239], 1.0
	v_mul_f64 v[216:217], v[162:163], v[160:161]
	v_fma_f64 v[158:159], -v[158:159], v[216:217], v[162:163]
	s_nop 1
	v_div_fmas_f64 v[158:159], v[158:159], v[160:161], v[216:217]
	v_div_fixup_f64 v[238:239], v[158:159], v[238:239], 1.0
	v_mul_f64 v[236:237], v[156:157], v[238:239]
	v_xor_b32_e32 v239, 0x80000000, v239
.LBB116_511:
	s_andn2_saveexec_b64 s[16:17], s[16:17]
	s_cbranch_execz .LBB116_513
; %bb.512:
	v_div_scale_f64 v[156:157], s[18:19], v[236:237], v[236:237], v[238:239]
	v_rcp_f64_e32 v[158:159], v[156:157]
	v_div_scale_f64 v[160:161], vcc, v[238:239], v[236:237], v[238:239]
	v_fma_f64 v[162:163], -v[156:157], v[158:159], 1.0
	v_fmac_f64_e32 v[158:159], v[158:159], v[162:163]
	v_fma_f64 v[162:163], -v[156:157], v[158:159], 1.0
	v_fmac_f64_e32 v[158:159], v[158:159], v[162:163]
	v_mul_f64 v[162:163], v[160:161], v[158:159]
	v_fma_f64 v[156:157], -v[156:157], v[162:163], v[160:161]
	v_div_fmas_f64 v[156:157], v[156:157], v[158:159], v[162:163]
	v_div_fixup_f64 v[156:157], v[156:157], v[236:237], v[238:239]
	v_fmac_f64_e32 v[236:237], v[238:239], v[156:157]
	v_div_scale_f64 v[158:159], s[18:19], v[236:237], v[236:237], 1.0
	v_rcp_f64_e32 v[160:161], v[158:159]
	s_nop 0
	v_fma_f64 v[162:163], -v[158:159], v[160:161], 1.0
	v_fmac_f64_e32 v[160:161], v[160:161], v[162:163]
	v_fma_f64 v[162:163], -v[158:159], v[160:161], 1.0
	v_fmac_f64_e32 v[160:161], v[160:161], v[162:163]
	v_div_scale_f64 v[162:163], vcc, 1.0, v[236:237], 1.0
	v_mul_f64 v[216:217], v[162:163], v[160:161]
	v_fma_f64 v[158:159], -v[158:159], v[216:217], v[162:163]
	s_nop 1
	v_div_fmas_f64 v[158:159], v[158:159], v[160:161], v[216:217]
	v_div_fixup_f64 v[236:237], v[158:159], v[236:237], 1.0
	v_mul_f64 v[238:239], v[156:157], -v[236:237]
.LBB116_513:
	s_or_b64 exec, exec, s[16:17]
.LBB116_514:
	s_or_b64 exec, exec, s[0:1]
	v_cmp_ne_u32_e32 vcc, v249, v246
	s_and_saveexec_b64 s[0:1], vcc
	s_xor_b64 s[0:1], exec, s[0:1]
	s_cbranch_execz .LBB116_520
; %bb.515:
	v_cmp_eq_u32_e32 vcc, 24, v249
	s_and_saveexec_b64 s[16:17], vcc
	s_cbranch_execz .LBB116_519
; %bb.516:
	v_cmp_ne_u32_e32 vcc, 24, v246
	s_xor_b64 s[18:19], s[14:15], -1
	s_and_b64 s[22:23], s[18:19], vcc
	s_and_saveexec_b64 s[18:19], s[22:23]
	s_cbranch_execz .LBB116_518
; %bb.517:
	scratch_load_dwordx2 v[8:9], off, off offset:16 ; 8-byte Folded Reload
	v_ashrrev_i32_e32 v247, 31, v246
	s_waitcnt vmcnt(0)
	v_lshl_add_u64 v[156:157], v[246:247], 2, v[8:9]
	global_load_dword v158, v[156:157], off
	global_load_dword v159, v[8:9], off offset:96
	s_waitcnt vmcnt(1)
	global_store_dword v[8:9], v158, off offset:96
	s_waitcnt vmcnt(1)
	global_store_dword v[156:157], v159, off
.LBB116_518:
	s_or_b64 exec, exec, s[18:19]
	v_mov_b32_e32 v249, v246
	v_mov_b32_e32 v218, v246
.LBB116_519:
	s_or_b64 exec, exec, s[16:17]
.LBB116_520:
	s_andn2_saveexec_b64 s[0:1], s[0:1]
	s_cbranch_execz .LBB116_522
; %bb.521:
	v_mov_b32_e32 v249, 24
	ds_write2_b64 v248, v[128:129], v[130:131] offset0:50 offset1:51
	ds_write2_b64 v248, v[124:125], v[126:127] offset0:52 offset1:53
	ds_write2_b64 v248, v[120:121], v[122:123] offset0:54 offset1:55
	ds_write2_b64 v248, v[116:117], v[118:119] offset0:56 offset1:57
	ds_write2_b64 v248, v[112:113], v[114:115] offset0:58 offset1:59
	ds_write2_b64 v248, v[108:109], v[110:111] offset0:60 offset1:61
	ds_write2_b64 v248, v[104:105], v[106:107] offset0:62 offset1:63
	ds_write2_b64 v248, v[100:101], v[102:103] offset0:64 offset1:65
	ds_write2_b64 v248, v[96:97], v[98:99] offset0:66 offset1:67
	ds_write2_b64 v248, v[92:93], v[94:95] offset0:68 offset1:69
	ds_write2_b64 v248, v[88:89], v[90:91] offset0:70 offset1:71
	ds_write2_b64 v248, v[84:85], v[86:87] offset0:72 offset1:73
	ds_write2_b64 v248, v[80:81], v[82:83] offset0:74 offset1:75
	ds_write2_b64 v248, v[76:77], v[78:79] offset0:76 offset1:77
	ds_write2_b64 v248, v[72:73], v[74:75] offset0:78 offset1:79
	ds_write2_b64 v248, v[68:69], v[70:71] offset0:80 offset1:81
	ds_write2_b64 v248, v[64:65], v[66:67] offset0:82 offset1:83
	ds_write2_b64 v248, v[60:61], v[62:63] offset0:84 offset1:85
	ds_write2_b64 v248, v[56:57], v[58:59] offset0:86 offset1:87
	ds_write2_b64 v248, v[52:53], v[54:55] offset0:88 offset1:89
	ds_write2_b64 v248, v[48:49], v[50:51] offset0:90 offset1:91
	ds_write2_b64 v248, v[44:45], v[46:47] offset0:92 offset1:93
	ds_write2_b64 v248, v[40:41], v[42:43] offset0:94 offset1:95
	ds_write2_b64 v248, v[36:37], v[38:39] offset0:96 offset1:97
	ds_write2_b64 v248, v[32:33], v[34:35] offset0:98 offset1:99
	ds_write2_b64 v248, v[28:29], v[30:31] offset0:100 offset1:101
	ds_write2_b64 v248, v[24:25], v[26:27] offset0:102 offset1:103
	ds_write2_b64 v248, v[20:21], v[22:23] offset0:104 offset1:105
	ds_write2_b64 v248, v[16:17], v[18:19] offset0:106 offset1:107
	ds_write2_b64 v248, v[12:13], v[14:15] offset0:108 offset1:109
	ds_write2_b64 v248, v[252:253], v[254:255] offset0:110 offset1:111
	ds_write2_b64 v248, v[224:225], v[226:227] offset0:112 offset1:113
	ds_write2_b64 v248, v[220:221], v[222:223] offset0:114 offset1:115
	ds_write2_b64 v248, v[232:233], v[234:235] offset0:116 offset1:117
.LBB116_522:
	s_or_b64 exec, exec, s[0:1]
	v_cmp_lt_i32_e32 vcc, 24, v249
	s_waitcnt lgkmcnt(0)
	s_barrier
	s_and_saveexec_b64 s[0:1], vcc
	s_cbranch_execz .LBB116_524
; %bb.523:
	v_mul_f64 v[156:157], v[238:239], v[134:135]
	v_mul_f64 v[134:135], v[236:237], v[134:135]
	v_fma_f64 v[246:247], v[236:237], v[132:133], -v[156:157]
	v_fmac_f64_e32 v[134:135], v[238:239], v[132:133]
	ds_read2_b64 v[236:239], v248 offset0:50 offset1:51
	s_waitcnt lgkmcnt(0)
	v_mul_f64 v[132:133], v[238:239], v[134:135]
	v_mul_f64 v[156:157], v[236:237], v[134:135]
	v_fma_f64 v[132:133], v[236:237], v[246:247], -v[132:133]
	v_fmac_f64_e32 v[156:157], v[238:239], v[246:247]
	ds_read2_b64 v[236:239], v248 offset0:52 offset1:53
	v_add_f64 v[128:129], v[128:129], -v[132:133]
	v_add_f64 v[130:131], v[130:131], -v[156:157]
	s_waitcnt lgkmcnt(0)
	v_mul_f64 v[132:133], v[238:239], v[134:135]
	v_mul_f64 v[156:157], v[236:237], v[134:135]
	v_fma_f64 v[132:133], v[236:237], v[246:247], -v[132:133]
	v_fmac_f64_e32 v[156:157], v[238:239], v[246:247]
	ds_read2_b64 v[236:239], v248 offset0:54 offset1:55
	v_add_f64 v[124:125], v[124:125], -v[132:133]
	v_add_f64 v[126:127], v[126:127], -v[156:157]
	;; [unrolled: 8-line block ×33, first 2 shown]
	s_waitcnt lgkmcnt(0)
	v_mul_f64 v[132:133], v[238:239], v[134:135]
	v_mul_f64 v[156:157], v[236:237], v[134:135]
	v_fma_f64 v[132:133], v[236:237], v[246:247], -v[132:133]
	v_fmac_f64_e32 v[156:157], v[238:239], v[246:247]
	v_add_f64 v[232:233], v[232:233], -v[132:133]
	v_add_f64 v[234:235], v[234:235], -v[156:157]
	v_mov_b64_e32 v[132:133], v[246:247]
.LBB116_524:
	s_or_b64 exec, exec, s[0:1]
	v_lshl_add_u32 v156, v249, 4, v248
	s_barrier
	ds_write2_b64 v156, v[128:129], v[130:131] offset1:1
	s_waitcnt lgkmcnt(0)
	s_barrier
	ds_read2_b64 v[236:239], v248 offset0:50 offset1:51
	s_cmp_lt_i32 s20, 27
	v_mov_b32_e32 v246, 25
	s_cbranch_scc1 .LBB116_527
; %bb.525:
	v_add_u32_e32 v247, 0x1a0, v248
	s_mov_b32 s0, 26
	v_mov_b32_e32 v246, 25
.LBB116_526:                            ; =>This Inner Loop Header: Depth=1
	ds_read2_b64 v[242:245], v247 offset1:1
	s_waitcnt lgkmcnt(1)
	v_cmp_gt_f64_e32 vcc, 0, v[236:237]
	v_xor_b32_e32 v156, 0x80000000, v237
	v_xor_b32_e32 v158, 0x80000000, v239
	v_cndmask_b32_e32 v157, v237, v156, vcc
	v_cmp_gt_f64_e32 vcc, 0, v[238:239]
	v_mov_b32_e32 v156, v236
	s_waitcnt lgkmcnt(0)
	v_xor_b32_e32 v160, 0x80000000, v245
	v_cndmask_b32_e32 v159, v239, v158, vcc
	v_mov_b32_e32 v158, v238
	v_add_f64 v[156:157], v[156:157], v[158:159]
	v_cmp_gt_f64_e32 vcc, 0, v[242:243]
	v_xor_b32_e32 v158, 0x80000000, v243
	v_add_u32_e32 v247, 16, v247
	v_cndmask_b32_e32 v159, v243, v158, vcc
	v_cmp_gt_f64_e32 vcc, 0, v[244:245]
	v_mov_b32_e32 v158, v242
	s_nop 0
	v_cndmask_b32_e32 v161, v245, v160, vcc
	v_mov_b32_e32 v160, v244
	v_add_f64 v[158:159], v[158:159], v[160:161]
	v_cmp_lt_f64_e32 vcc, v[156:157], v[158:159]
	v_mov_b32_e32 v156, s0
	s_add_i32 s0, s0, 1
	v_cndmask_b32_e32 v237, v237, v243, vcc
	v_cndmask_b32_e32 v236, v236, v242, vcc
	;; [unrolled: 1-line block ×5, first 2 shown]
	s_cmp_lg_u32 s20, s0
	s_cbranch_scc1 .LBB116_526
.LBB116_527:
	s_waitcnt lgkmcnt(0)
	v_cmp_eq_f64_e32 vcc, 0, v[236:237]
	v_cmp_eq_f64_e64 s[0:1], 0, v[238:239]
	s_and_b64 s[0:1], vcc, s[0:1]
	s_and_saveexec_b64 s[16:17], s[0:1]
	s_xor_b64 s[0:1], exec, s[16:17]
; %bb.528:
	v_cmp_ne_u32_e32 vcc, 0, v250
	s_nop 1
	v_cndmask_b32_e32 v250, 26, v250, vcc
; %bb.529:
	s_andn2_saveexec_b64 s[0:1], s[0:1]
	s_cbranch_execz .LBB116_535
; %bb.530:
	v_cmp_ngt_f64_e64 s[16:17], |v[236:237]|, |v[238:239]|
	s_and_saveexec_b64 s[18:19], s[16:17]
	s_xor_b64 s[16:17], exec, s[18:19]
	s_cbranch_execz .LBB116_532
; %bb.531:
	v_div_scale_f64 v[156:157], s[18:19], v[238:239], v[238:239], v[236:237]
	v_rcp_f64_e32 v[158:159], v[156:157]
	v_div_scale_f64 v[160:161], vcc, v[236:237], v[238:239], v[236:237]
	v_fma_f64 v[162:163], -v[156:157], v[158:159], 1.0
	v_fmac_f64_e32 v[158:159], v[158:159], v[162:163]
	v_fma_f64 v[162:163], -v[156:157], v[158:159], 1.0
	v_fmac_f64_e32 v[158:159], v[158:159], v[162:163]
	v_mul_f64 v[162:163], v[160:161], v[158:159]
	v_fma_f64 v[156:157], -v[156:157], v[162:163], v[160:161]
	v_div_fmas_f64 v[156:157], v[156:157], v[158:159], v[162:163]
	v_div_fixup_f64 v[156:157], v[156:157], v[238:239], v[236:237]
	v_fmac_f64_e32 v[238:239], v[236:237], v[156:157]
	v_div_scale_f64 v[158:159], s[18:19], v[238:239], v[238:239], 1.0
	v_rcp_f64_e32 v[160:161], v[158:159]
	s_nop 0
	v_fma_f64 v[162:163], -v[158:159], v[160:161], 1.0
	v_fmac_f64_e32 v[160:161], v[160:161], v[162:163]
	v_fma_f64 v[162:163], -v[158:159], v[160:161], 1.0
	v_fmac_f64_e32 v[160:161], v[160:161], v[162:163]
	v_div_scale_f64 v[162:163], vcc, 1.0, v[238:239], 1.0
	v_mul_f64 v[216:217], v[162:163], v[160:161]
	v_fma_f64 v[158:159], -v[158:159], v[216:217], v[162:163]
	s_nop 1
	v_div_fmas_f64 v[158:159], v[158:159], v[160:161], v[216:217]
	v_div_fixup_f64 v[238:239], v[158:159], v[238:239], 1.0
	v_mul_f64 v[236:237], v[156:157], v[238:239]
	v_xor_b32_e32 v239, 0x80000000, v239
.LBB116_532:
	s_andn2_saveexec_b64 s[16:17], s[16:17]
	s_cbranch_execz .LBB116_534
; %bb.533:
	v_div_scale_f64 v[156:157], s[18:19], v[236:237], v[236:237], v[238:239]
	v_rcp_f64_e32 v[158:159], v[156:157]
	v_div_scale_f64 v[160:161], vcc, v[238:239], v[236:237], v[238:239]
	v_fma_f64 v[162:163], -v[156:157], v[158:159], 1.0
	v_fmac_f64_e32 v[158:159], v[158:159], v[162:163]
	v_fma_f64 v[162:163], -v[156:157], v[158:159], 1.0
	v_fmac_f64_e32 v[158:159], v[158:159], v[162:163]
	v_mul_f64 v[162:163], v[160:161], v[158:159]
	v_fma_f64 v[156:157], -v[156:157], v[162:163], v[160:161]
	v_div_fmas_f64 v[156:157], v[156:157], v[158:159], v[162:163]
	v_div_fixup_f64 v[156:157], v[156:157], v[236:237], v[238:239]
	v_fmac_f64_e32 v[236:237], v[238:239], v[156:157]
	v_div_scale_f64 v[158:159], s[18:19], v[236:237], v[236:237], 1.0
	v_rcp_f64_e32 v[160:161], v[158:159]
	s_nop 0
	v_fma_f64 v[162:163], -v[158:159], v[160:161], 1.0
	v_fmac_f64_e32 v[160:161], v[160:161], v[162:163]
	v_fma_f64 v[162:163], -v[158:159], v[160:161], 1.0
	v_fmac_f64_e32 v[160:161], v[160:161], v[162:163]
	v_div_scale_f64 v[162:163], vcc, 1.0, v[236:237], 1.0
	v_mul_f64 v[216:217], v[162:163], v[160:161]
	v_fma_f64 v[158:159], -v[158:159], v[216:217], v[162:163]
	s_nop 1
	v_div_fmas_f64 v[158:159], v[158:159], v[160:161], v[216:217]
	v_div_fixup_f64 v[236:237], v[158:159], v[236:237], 1.0
	v_mul_f64 v[238:239], v[156:157], -v[236:237]
.LBB116_534:
	s_or_b64 exec, exec, s[16:17]
.LBB116_535:
	s_or_b64 exec, exec, s[0:1]
	v_cmp_ne_u32_e32 vcc, v249, v246
	s_and_saveexec_b64 s[0:1], vcc
	s_xor_b64 s[0:1], exec, s[0:1]
	s_cbranch_execz .LBB116_541
; %bb.536:
	v_cmp_eq_u32_e32 vcc, 25, v249
	s_and_saveexec_b64 s[16:17], vcc
	s_cbranch_execz .LBB116_540
; %bb.537:
	v_cmp_ne_u32_e32 vcc, 25, v246
	s_xor_b64 s[18:19], s[14:15], -1
	s_and_b64 s[22:23], s[18:19], vcc
	s_and_saveexec_b64 s[18:19], s[22:23]
	s_cbranch_execz .LBB116_539
; %bb.538:
	scratch_load_dwordx2 v[8:9], off, off offset:16 ; 8-byte Folded Reload
	v_ashrrev_i32_e32 v247, 31, v246
	s_waitcnt vmcnt(0)
	v_lshl_add_u64 v[156:157], v[246:247], 2, v[8:9]
	global_load_dword v158, v[156:157], off
	global_load_dword v159, v[8:9], off offset:100
	s_waitcnt vmcnt(1)
	global_store_dword v[8:9], v158, off offset:100
	s_waitcnt vmcnt(1)
	global_store_dword v[156:157], v159, off
.LBB116_539:
	s_or_b64 exec, exec, s[18:19]
	v_mov_b32_e32 v249, v246
	v_mov_b32_e32 v218, v246
.LBB116_540:
	s_or_b64 exec, exec, s[16:17]
.LBB116_541:
	s_andn2_saveexec_b64 s[0:1], s[0:1]
	s_cbranch_execz .LBB116_543
; %bb.542:
	v_mov_b32_e32 v249, 25
	ds_write2_b64 v248, v[124:125], v[126:127] offset0:52 offset1:53
	ds_write2_b64 v248, v[120:121], v[122:123] offset0:54 offset1:55
	;; [unrolled: 1-line block ×33, first 2 shown]
.LBB116_543:
	s_or_b64 exec, exec, s[0:1]
	v_cmp_lt_i32_e32 vcc, 25, v249
	s_waitcnt lgkmcnt(0)
	s_barrier
	s_and_saveexec_b64 s[0:1], vcc
	s_cbranch_execz .LBB116_545
; %bb.544:
	v_mul_f64 v[156:157], v[238:239], v[130:131]
	v_mul_f64 v[130:131], v[236:237], v[130:131]
	v_fma_f64 v[246:247], v[236:237], v[128:129], -v[156:157]
	v_fmac_f64_e32 v[130:131], v[238:239], v[128:129]
	ds_read2_b64 v[236:239], v248 offset0:52 offset1:53
	s_waitcnt lgkmcnt(0)
	v_mul_f64 v[128:129], v[238:239], v[130:131]
	v_mul_f64 v[156:157], v[236:237], v[130:131]
	v_fma_f64 v[128:129], v[236:237], v[246:247], -v[128:129]
	v_fmac_f64_e32 v[156:157], v[238:239], v[246:247]
	ds_read2_b64 v[236:239], v248 offset0:54 offset1:55
	v_add_f64 v[124:125], v[124:125], -v[128:129]
	v_add_f64 v[126:127], v[126:127], -v[156:157]
	s_waitcnt lgkmcnt(0)
	v_mul_f64 v[128:129], v[238:239], v[130:131]
	v_mul_f64 v[156:157], v[236:237], v[130:131]
	v_fma_f64 v[128:129], v[236:237], v[246:247], -v[128:129]
	v_fmac_f64_e32 v[156:157], v[238:239], v[246:247]
	ds_read2_b64 v[236:239], v248 offset0:56 offset1:57
	v_add_f64 v[120:121], v[120:121], -v[128:129]
	v_add_f64 v[122:123], v[122:123], -v[156:157]
	;; [unrolled: 8-line block ×32, first 2 shown]
	s_waitcnt lgkmcnt(0)
	v_mul_f64 v[128:129], v[238:239], v[130:131]
	v_mul_f64 v[156:157], v[236:237], v[130:131]
	v_fma_f64 v[128:129], v[236:237], v[246:247], -v[128:129]
	v_fmac_f64_e32 v[156:157], v[238:239], v[246:247]
	v_add_f64 v[232:233], v[232:233], -v[128:129]
	v_add_f64 v[234:235], v[234:235], -v[156:157]
	v_mov_b64_e32 v[128:129], v[246:247]
.LBB116_545:
	s_or_b64 exec, exec, s[0:1]
	v_lshl_add_u32 v156, v249, 4, v248
	s_barrier
	ds_write2_b64 v156, v[124:125], v[126:127] offset1:1
	s_waitcnt lgkmcnt(0)
	s_barrier
	ds_read2_b64 v[236:239], v248 offset0:52 offset1:53
	s_cmp_lt_i32 s20, 28
	v_mov_b32_e32 v246, 26
	s_cbranch_scc1 .LBB116_548
; %bb.546:
	v_add_u32_e32 v247, 0x1b0, v248
	s_mov_b32 s0, 27
	v_mov_b32_e32 v246, 26
.LBB116_547:                            ; =>This Inner Loop Header: Depth=1
	ds_read2_b64 v[242:245], v247 offset1:1
	s_waitcnt lgkmcnt(1)
	v_cmp_gt_f64_e32 vcc, 0, v[236:237]
	v_xor_b32_e32 v156, 0x80000000, v237
	v_xor_b32_e32 v158, 0x80000000, v239
	v_cndmask_b32_e32 v157, v237, v156, vcc
	v_cmp_gt_f64_e32 vcc, 0, v[238:239]
	v_mov_b32_e32 v156, v236
	s_waitcnt lgkmcnt(0)
	v_xor_b32_e32 v160, 0x80000000, v245
	v_cndmask_b32_e32 v159, v239, v158, vcc
	v_mov_b32_e32 v158, v238
	v_add_f64 v[156:157], v[156:157], v[158:159]
	v_cmp_gt_f64_e32 vcc, 0, v[242:243]
	v_xor_b32_e32 v158, 0x80000000, v243
	v_add_u32_e32 v247, 16, v247
	v_cndmask_b32_e32 v159, v243, v158, vcc
	v_cmp_gt_f64_e32 vcc, 0, v[244:245]
	v_mov_b32_e32 v158, v242
	s_nop 0
	v_cndmask_b32_e32 v161, v245, v160, vcc
	v_mov_b32_e32 v160, v244
	v_add_f64 v[158:159], v[158:159], v[160:161]
	v_cmp_lt_f64_e32 vcc, v[156:157], v[158:159]
	v_mov_b32_e32 v156, s0
	s_add_i32 s0, s0, 1
	v_cndmask_b32_e32 v237, v237, v243, vcc
	v_cndmask_b32_e32 v236, v236, v242, vcc
	v_cndmask_b32_e32 v239, v239, v245, vcc
	v_cndmask_b32_e32 v238, v238, v244, vcc
	v_cndmask_b32_e32 v246, v246, v156, vcc
	s_cmp_lg_u32 s20, s0
	s_cbranch_scc1 .LBB116_547
.LBB116_548:
	s_waitcnt lgkmcnt(0)
	v_cmp_eq_f64_e32 vcc, 0, v[236:237]
	v_cmp_eq_f64_e64 s[0:1], 0, v[238:239]
	s_and_b64 s[0:1], vcc, s[0:1]
	s_and_saveexec_b64 s[16:17], s[0:1]
	s_xor_b64 s[0:1], exec, s[16:17]
; %bb.549:
	v_cmp_ne_u32_e32 vcc, 0, v250
	s_nop 1
	v_cndmask_b32_e32 v250, 27, v250, vcc
; %bb.550:
	s_andn2_saveexec_b64 s[0:1], s[0:1]
	s_cbranch_execz .LBB116_556
; %bb.551:
	v_cmp_ngt_f64_e64 s[16:17], |v[236:237]|, |v[238:239]|
	s_and_saveexec_b64 s[18:19], s[16:17]
	s_xor_b64 s[16:17], exec, s[18:19]
	s_cbranch_execz .LBB116_553
; %bb.552:
	v_div_scale_f64 v[156:157], s[18:19], v[238:239], v[238:239], v[236:237]
	v_rcp_f64_e32 v[158:159], v[156:157]
	v_div_scale_f64 v[160:161], vcc, v[236:237], v[238:239], v[236:237]
	v_fma_f64 v[162:163], -v[156:157], v[158:159], 1.0
	v_fmac_f64_e32 v[158:159], v[158:159], v[162:163]
	v_fma_f64 v[162:163], -v[156:157], v[158:159], 1.0
	v_fmac_f64_e32 v[158:159], v[158:159], v[162:163]
	v_mul_f64 v[162:163], v[160:161], v[158:159]
	v_fma_f64 v[156:157], -v[156:157], v[162:163], v[160:161]
	v_div_fmas_f64 v[156:157], v[156:157], v[158:159], v[162:163]
	v_div_fixup_f64 v[156:157], v[156:157], v[238:239], v[236:237]
	v_fmac_f64_e32 v[238:239], v[236:237], v[156:157]
	v_div_scale_f64 v[158:159], s[18:19], v[238:239], v[238:239], 1.0
	v_rcp_f64_e32 v[160:161], v[158:159]
	s_nop 0
	v_fma_f64 v[162:163], -v[158:159], v[160:161], 1.0
	v_fmac_f64_e32 v[160:161], v[160:161], v[162:163]
	v_fma_f64 v[162:163], -v[158:159], v[160:161], 1.0
	v_fmac_f64_e32 v[160:161], v[160:161], v[162:163]
	v_div_scale_f64 v[162:163], vcc, 1.0, v[238:239], 1.0
	v_mul_f64 v[216:217], v[162:163], v[160:161]
	v_fma_f64 v[158:159], -v[158:159], v[216:217], v[162:163]
	s_nop 1
	v_div_fmas_f64 v[158:159], v[158:159], v[160:161], v[216:217]
	v_div_fixup_f64 v[238:239], v[158:159], v[238:239], 1.0
	v_mul_f64 v[236:237], v[156:157], v[238:239]
	v_xor_b32_e32 v239, 0x80000000, v239
.LBB116_553:
	s_andn2_saveexec_b64 s[16:17], s[16:17]
	s_cbranch_execz .LBB116_555
; %bb.554:
	v_div_scale_f64 v[156:157], s[18:19], v[236:237], v[236:237], v[238:239]
	v_rcp_f64_e32 v[158:159], v[156:157]
	v_div_scale_f64 v[160:161], vcc, v[238:239], v[236:237], v[238:239]
	v_fma_f64 v[162:163], -v[156:157], v[158:159], 1.0
	v_fmac_f64_e32 v[158:159], v[158:159], v[162:163]
	v_fma_f64 v[162:163], -v[156:157], v[158:159], 1.0
	v_fmac_f64_e32 v[158:159], v[158:159], v[162:163]
	v_mul_f64 v[162:163], v[160:161], v[158:159]
	v_fma_f64 v[156:157], -v[156:157], v[162:163], v[160:161]
	v_div_fmas_f64 v[156:157], v[156:157], v[158:159], v[162:163]
	v_div_fixup_f64 v[156:157], v[156:157], v[236:237], v[238:239]
	v_fmac_f64_e32 v[236:237], v[238:239], v[156:157]
	v_div_scale_f64 v[158:159], s[18:19], v[236:237], v[236:237], 1.0
	v_rcp_f64_e32 v[160:161], v[158:159]
	s_nop 0
	v_fma_f64 v[162:163], -v[158:159], v[160:161], 1.0
	v_fmac_f64_e32 v[160:161], v[160:161], v[162:163]
	v_fma_f64 v[162:163], -v[158:159], v[160:161], 1.0
	v_fmac_f64_e32 v[160:161], v[160:161], v[162:163]
	v_div_scale_f64 v[162:163], vcc, 1.0, v[236:237], 1.0
	v_mul_f64 v[216:217], v[162:163], v[160:161]
	v_fma_f64 v[158:159], -v[158:159], v[216:217], v[162:163]
	s_nop 1
	v_div_fmas_f64 v[158:159], v[158:159], v[160:161], v[216:217]
	v_div_fixup_f64 v[236:237], v[158:159], v[236:237], 1.0
	v_mul_f64 v[238:239], v[156:157], -v[236:237]
.LBB116_555:
	s_or_b64 exec, exec, s[16:17]
.LBB116_556:
	s_or_b64 exec, exec, s[0:1]
	v_cmp_ne_u32_e32 vcc, v249, v246
	s_and_saveexec_b64 s[0:1], vcc
	s_xor_b64 s[0:1], exec, s[0:1]
	s_cbranch_execz .LBB116_562
; %bb.557:
	v_cmp_eq_u32_e32 vcc, 26, v249
	s_and_saveexec_b64 s[16:17], vcc
	s_cbranch_execz .LBB116_561
; %bb.558:
	v_cmp_ne_u32_e32 vcc, 26, v246
	s_xor_b64 s[18:19], s[14:15], -1
	s_and_b64 s[22:23], s[18:19], vcc
	s_and_saveexec_b64 s[18:19], s[22:23]
	s_cbranch_execz .LBB116_560
; %bb.559:
	scratch_load_dwordx2 v[8:9], off, off offset:16 ; 8-byte Folded Reload
	v_ashrrev_i32_e32 v247, 31, v246
	s_waitcnt vmcnt(0)
	v_lshl_add_u64 v[156:157], v[246:247], 2, v[8:9]
	global_load_dword v158, v[156:157], off
	global_load_dword v159, v[8:9], off offset:104
	s_waitcnt vmcnt(1)
	global_store_dword v[8:9], v158, off offset:104
	s_waitcnt vmcnt(1)
	global_store_dword v[156:157], v159, off
.LBB116_560:
	s_or_b64 exec, exec, s[18:19]
	v_mov_b32_e32 v249, v246
	v_mov_b32_e32 v218, v246
.LBB116_561:
	s_or_b64 exec, exec, s[16:17]
.LBB116_562:
	s_andn2_saveexec_b64 s[0:1], s[0:1]
	s_cbranch_execz .LBB116_564
; %bb.563:
	v_mov_b32_e32 v249, 26
	ds_write2_b64 v248, v[120:121], v[122:123] offset0:54 offset1:55
	ds_write2_b64 v248, v[116:117], v[118:119] offset0:56 offset1:57
	ds_write2_b64 v248, v[112:113], v[114:115] offset0:58 offset1:59
	ds_write2_b64 v248, v[108:109], v[110:111] offset0:60 offset1:61
	ds_write2_b64 v248, v[104:105], v[106:107] offset0:62 offset1:63
	ds_write2_b64 v248, v[100:101], v[102:103] offset0:64 offset1:65
	ds_write2_b64 v248, v[96:97], v[98:99] offset0:66 offset1:67
	ds_write2_b64 v248, v[92:93], v[94:95] offset0:68 offset1:69
	ds_write2_b64 v248, v[88:89], v[90:91] offset0:70 offset1:71
	ds_write2_b64 v248, v[84:85], v[86:87] offset0:72 offset1:73
	ds_write2_b64 v248, v[80:81], v[82:83] offset0:74 offset1:75
	ds_write2_b64 v248, v[76:77], v[78:79] offset0:76 offset1:77
	ds_write2_b64 v248, v[72:73], v[74:75] offset0:78 offset1:79
	ds_write2_b64 v248, v[68:69], v[70:71] offset0:80 offset1:81
	ds_write2_b64 v248, v[64:65], v[66:67] offset0:82 offset1:83
	ds_write2_b64 v248, v[60:61], v[62:63] offset0:84 offset1:85
	ds_write2_b64 v248, v[56:57], v[58:59] offset0:86 offset1:87
	ds_write2_b64 v248, v[52:53], v[54:55] offset0:88 offset1:89
	ds_write2_b64 v248, v[48:49], v[50:51] offset0:90 offset1:91
	ds_write2_b64 v248, v[44:45], v[46:47] offset0:92 offset1:93
	ds_write2_b64 v248, v[40:41], v[42:43] offset0:94 offset1:95
	ds_write2_b64 v248, v[36:37], v[38:39] offset0:96 offset1:97
	ds_write2_b64 v248, v[32:33], v[34:35] offset0:98 offset1:99
	ds_write2_b64 v248, v[28:29], v[30:31] offset0:100 offset1:101
	ds_write2_b64 v248, v[24:25], v[26:27] offset0:102 offset1:103
	ds_write2_b64 v248, v[20:21], v[22:23] offset0:104 offset1:105
	ds_write2_b64 v248, v[16:17], v[18:19] offset0:106 offset1:107
	ds_write2_b64 v248, v[12:13], v[14:15] offset0:108 offset1:109
	ds_write2_b64 v248, v[252:253], v[254:255] offset0:110 offset1:111
	ds_write2_b64 v248, v[224:225], v[226:227] offset0:112 offset1:113
	ds_write2_b64 v248, v[220:221], v[222:223] offset0:114 offset1:115
	ds_write2_b64 v248, v[232:233], v[234:235] offset0:116 offset1:117
.LBB116_564:
	s_or_b64 exec, exec, s[0:1]
	v_cmp_lt_i32_e32 vcc, 26, v249
	s_waitcnt lgkmcnt(0)
	s_barrier
	s_and_saveexec_b64 s[0:1], vcc
	s_cbranch_execz .LBB116_566
; %bb.565:
	v_mul_f64 v[156:157], v[238:239], v[126:127]
	v_mul_f64 v[126:127], v[236:237], v[126:127]
	v_fma_f64 v[246:247], v[236:237], v[124:125], -v[156:157]
	v_fmac_f64_e32 v[126:127], v[238:239], v[124:125]
	ds_read2_b64 v[236:239], v248 offset0:54 offset1:55
	s_waitcnt lgkmcnt(0)
	v_mul_f64 v[124:125], v[238:239], v[126:127]
	v_mul_f64 v[156:157], v[236:237], v[126:127]
	v_fma_f64 v[124:125], v[236:237], v[246:247], -v[124:125]
	v_fmac_f64_e32 v[156:157], v[238:239], v[246:247]
	ds_read2_b64 v[236:239], v248 offset0:56 offset1:57
	v_add_f64 v[120:121], v[120:121], -v[124:125]
	v_add_f64 v[122:123], v[122:123], -v[156:157]
	s_waitcnt lgkmcnt(0)
	v_mul_f64 v[124:125], v[238:239], v[126:127]
	v_mul_f64 v[156:157], v[236:237], v[126:127]
	v_fma_f64 v[124:125], v[236:237], v[246:247], -v[124:125]
	v_fmac_f64_e32 v[156:157], v[238:239], v[246:247]
	ds_read2_b64 v[236:239], v248 offset0:58 offset1:59
	v_add_f64 v[116:117], v[116:117], -v[124:125]
	v_add_f64 v[118:119], v[118:119], -v[156:157]
	;; [unrolled: 8-line block ×31, first 2 shown]
	s_waitcnt lgkmcnt(0)
	v_mul_f64 v[124:125], v[238:239], v[126:127]
	v_mul_f64 v[156:157], v[236:237], v[126:127]
	v_fma_f64 v[124:125], v[236:237], v[246:247], -v[124:125]
	v_fmac_f64_e32 v[156:157], v[238:239], v[246:247]
	v_add_f64 v[232:233], v[232:233], -v[124:125]
	v_add_f64 v[234:235], v[234:235], -v[156:157]
	v_mov_b64_e32 v[124:125], v[246:247]
.LBB116_566:
	s_or_b64 exec, exec, s[0:1]
	v_lshl_add_u32 v156, v249, 4, v248
	s_barrier
	ds_write2_b64 v156, v[120:121], v[122:123] offset1:1
	s_waitcnt lgkmcnt(0)
	s_barrier
	ds_read2_b64 v[236:239], v248 offset0:54 offset1:55
	s_cmp_lt_i32 s20, 29
	v_mov_b32_e32 v246, 27
	s_cbranch_scc1 .LBB116_569
; %bb.567:
	v_add_u32_e32 v247, 0x1c0, v248
	s_mov_b32 s0, 28
	v_mov_b32_e32 v246, 27
.LBB116_568:                            ; =>This Inner Loop Header: Depth=1
	ds_read2_b64 v[242:245], v247 offset1:1
	s_waitcnt lgkmcnt(1)
	v_cmp_gt_f64_e32 vcc, 0, v[236:237]
	v_xor_b32_e32 v156, 0x80000000, v237
	v_xor_b32_e32 v158, 0x80000000, v239
	v_cndmask_b32_e32 v157, v237, v156, vcc
	v_cmp_gt_f64_e32 vcc, 0, v[238:239]
	v_mov_b32_e32 v156, v236
	s_waitcnt lgkmcnt(0)
	v_xor_b32_e32 v160, 0x80000000, v245
	v_cndmask_b32_e32 v159, v239, v158, vcc
	v_mov_b32_e32 v158, v238
	v_add_f64 v[156:157], v[156:157], v[158:159]
	v_cmp_gt_f64_e32 vcc, 0, v[242:243]
	v_xor_b32_e32 v158, 0x80000000, v243
	v_add_u32_e32 v247, 16, v247
	v_cndmask_b32_e32 v159, v243, v158, vcc
	v_cmp_gt_f64_e32 vcc, 0, v[244:245]
	v_mov_b32_e32 v158, v242
	s_nop 0
	v_cndmask_b32_e32 v161, v245, v160, vcc
	v_mov_b32_e32 v160, v244
	v_add_f64 v[158:159], v[158:159], v[160:161]
	v_cmp_lt_f64_e32 vcc, v[156:157], v[158:159]
	v_mov_b32_e32 v156, s0
	s_add_i32 s0, s0, 1
	v_cndmask_b32_e32 v237, v237, v243, vcc
	v_cndmask_b32_e32 v236, v236, v242, vcc
	;; [unrolled: 1-line block ×5, first 2 shown]
	s_cmp_lg_u32 s20, s0
	s_cbranch_scc1 .LBB116_568
.LBB116_569:
	s_waitcnt lgkmcnt(0)
	v_cmp_eq_f64_e32 vcc, 0, v[236:237]
	v_cmp_eq_f64_e64 s[0:1], 0, v[238:239]
	s_and_b64 s[0:1], vcc, s[0:1]
	s_and_saveexec_b64 s[16:17], s[0:1]
	s_xor_b64 s[0:1], exec, s[16:17]
; %bb.570:
	v_cmp_ne_u32_e32 vcc, 0, v250
	s_nop 1
	v_cndmask_b32_e32 v250, 28, v250, vcc
; %bb.571:
	s_andn2_saveexec_b64 s[0:1], s[0:1]
	s_cbranch_execz .LBB116_577
; %bb.572:
	v_cmp_ngt_f64_e64 s[16:17], |v[236:237]|, |v[238:239]|
	s_and_saveexec_b64 s[18:19], s[16:17]
	s_xor_b64 s[16:17], exec, s[18:19]
	s_cbranch_execz .LBB116_574
; %bb.573:
	v_div_scale_f64 v[156:157], s[18:19], v[238:239], v[238:239], v[236:237]
	v_rcp_f64_e32 v[158:159], v[156:157]
	v_div_scale_f64 v[160:161], vcc, v[236:237], v[238:239], v[236:237]
	v_fma_f64 v[162:163], -v[156:157], v[158:159], 1.0
	v_fmac_f64_e32 v[158:159], v[158:159], v[162:163]
	v_fma_f64 v[162:163], -v[156:157], v[158:159], 1.0
	v_fmac_f64_e32 v[158:159], v[158:159], v[162:163]
	v_mul_f64 v[162:163], v[160:161], v[158:159]
	v_fma_f64 v[156:157], -v[156:157], v[162:163], v[160:161]
	v_div_fmas_f64 v[156:157], v[156:157], v[158:159], v[162:163]
	v_div_fixup_f64 v[156:157], v[156:157], v[238:239], v[236:237]
	v_fmac_f64_e32 v[238:239], v[236:237], v[156:157]
	v_div_scale_f64 v[158:159], s[18:19], v[238:239], v[238:239], 1.0
	v_rcp_f64_e32 v[160:161], v[158:159]
	s_nop 0
	v_fma_f64 v[162:163], -v[158:159], v[160:161], 1.0
	v_fmac_f64_e32 v[160:161], v[160:161], v[162:163]
	v_fma_f64 v[162:163], -v[158:159], v[160:161], 1.0
	v_fmac_f64_e32 v[160:161], v[160:161], v[162:163]
	v_div_scale_f64 v[162:163], vcc, 1.0, v[238:239], 1.0
	v_mul_f64 v[216:217], v[162:163], v[160:161]
	v_fma_f64 v[158:159], -v[158:159], v[216:217], v[162:163]
	s_nop 1
	v_div_fmas_f64 v[158:159], v[158:159], v[160:161], v[216:217]
	v_div_fixup_f64 v[238:239], v[158:159], v[238:239], 1.0
	v_mul_f64 v[236:237], v[156:157], v[238:239]
	v_xor_b32_e32 v239, 0x80000000, v239
.LBB116_574:
	s_andn2_saveexec_b64 s[16:17], s[16:17]
	s_cbranch_execz .LBB116_576
; %bb.575:
	v_div_scale_f64 v[156:157], s[18:19], v[236:237], v[236:237], v[238:239]
	v_rcp_f64_e32 v[158:159], v[156:157]
	v_div_scale_f64 v[160:161], vcc, v[238:239], v[236:237], v[238:239]
	v_fma_f64 v[162:163], -v[156:157], v[158:159], 1.0
	v_fmac_f64_e32 v[158:159], v[158:159], v[162:163]
	v_fma_f64 v[162:163], -v[156:157], v[158:159], 1.0
	v_fmac_f64_e32 v[158:159], v[158:159], v[162:163]
	v_mul_f64 v[162:163], v[160:161], v[158:159]
	v_fma_f64 v[156:157], -v[156:157], v[162:163], v[160:161]
	v_div_fmas_f64 v[156:157], v[156:157], v[158:159], v[162:163]
	v_div_fixup_f64 v[156:157], v[156:157], v[236:237], v[238:239]
	v_fmac_f64_e32 v[236:237], v[238:239], v[156:157]
	v_div_scale_f64 v[158:159], s[18:19], v[236:237], v[236:237], 1.0
	v_rcp_f64_e32 v[160:161], v[158:159]
	s_nop 0
	v_fma_f64 v[162:163], -v[158:159], v[160:161], 1.0
	v_fmac_f64_e32 v[160:161], v[160:161], v[162:163]
	v_fma_f64 v[162:163], -v[158:159], v[160:161], 1.0
	v_fmac_f64_e32 v[160:161], v[160:161], v[162:163]
	v_div_scale_f64 v[162:163], vcc, 1.0, v[236:237], 1.0
	v_mul_f64 v[216:217], v[162:163], v[160:161]
	v_fma_f64 v[158:159], -v[158:159], v[216:217], v[162:163]
	s_nop 1
	v_div_fmas_f64 v[158:159], v[158:159], v[160:161], v[216:217]
	v_div_fixup_f64 v[236:237], v[158:159], v[236:237], 1.0
	v_mul_f64 v[238:239], v[156:157], -v[236:237]
.LBB116_576:
	s_or_b64 exec, exec, s[16:17]
.LBB116_577:
	s_or_b64 exec, exec, s[0:1]
	v_cmp_ne_u32_e32 vcc, v249, v246
	s_and_saveexec_b64 s[0:1], vcc
	s_xor_b64 s[0:1], exec, s[0:1]
	s_cbranch_execz .LBB116_583
; %bb.578:
	v_cmp_eq_u32_e32 vcc, 27, v249
	s_and_saveexec_b64 s[16:17], vcc
	s_cbranch_execz .LBB116_582
; %bb.579:
	v_cmp_ne_u32_e32 vcc, 27, v246
	s_xor_b64 s[18:19], s[14:15], -1
	s_and_b64 s[22:23], s[18:19], vcc
	s_and_saveexec_b64 s[18:19], s[22:23]
	s_cbranch_execz .LBB116_581
; %bb.580:
	scratch_load_dwordx2 v[8:9], off, off offset:16 ; 8-byte Folded Reload
	v_ashrrev_i32_e32 v247, 31, v246
	s_waitcnt vmcnt(0)
	v_lshl_add_u64 v[156:157], v[246:247], 2, v[8:9]
	global_load_dword v158, v[156:157], off
	global_load_dword v159, v[8:9], off offset:108
	s_waitcnt vmcnt(1)
	global_store_dword v[8:9], v158, off offset:108
	s_waitcnt vmcnt(1)
	global_store_dword v[156:157], v159, off
.LBB116_581:
	s_or_b64 exec, exec, s[18:19]
	v_mov_b32_e32 v249, v246
	v_mov_b32_e32 v218, v246
.LBB116_582:
	s_or_b64 exec, exec, s[16:17]
.LBB116_583:
	s_andn2_saveexec_b64 s[0:1], s[0:1]
	s_cbranch_execz .LBB116_585
; %bb.584:
	v_mov_b32_e32 v249, 27
	ds_write2_b64 v248, v[116:117], v[118:119] offset0:56 offset1:57
	ds_write2_b64 v248, v[112:113], v[114:115] offset0:58 offset1:59
	;; [unrolled: 1-line block ×31, first 2 shown]
.LBB116_585:
	s_or_b64 exec, exec, s[0:1]
	v_cmp_lt_i32_e32 vcc, 27, v249
	s_waitcnt lgkmcnt(0)
	s_barrier
	s_and_saveexec_b64 s[0:1], vcc
	s_cbranch_execz .LBB116_587
; %bb.586:
	v_mul_f64 v[156:157], v[238:239], v[122:123]
	v_mul_f64 v[122:123], v[236:237], v[122:123]
	v_fma_f64 v[246:247], v[236:237], v[120:121], -v[156:157]
	v_fmac_f64_e32 v[122:123], v[238:239], v[120:121]
	ds_read2_b64 v[236:239], v248 offset0:56 offset1:57
	s_waitcnt lgkmcnt(0)
	v_mul_f64 v[120:121], v[238:239], v[122:123]
	v_mul_f64 v[156:157], v[236:237], v[122:123]
	v_fma_f64 v[120:121], v[236:237], v[246:247], -v[120:121]
	v_fmac_f64_e32 v[156:157], v[238:239], v[246:247]
	ds_read2_b64 v[236:239], v248 offset0:58 offset1:59
	v_add_f64 v[116:117], v[116:117], -v[120:121]
	v_add_f64 v[118:119], v[118:119], -v[156:157]
	s_waitcnt lgkmcnt(0)
	v_mul_f64 v[120:121], v[238:239], v[122:123]
	v_mul_f64 v[156:157], v[236:237], v[122:123]
	v_fma_f64 v[120:121], v[236:237], v[246:247], -v[120:121]
	v_fmac_f64_e32 v[156:157], v[238:239], v[246:247]
	ds_read2_b64 v[236:239], v248 offset0:60 offset1:61
	v_add_f64 v[112:113], v[112:113], -v[120:121]
	v_add_f64 v[114:115], v[114:115], -v[156:157]
	;; [unrolled: 8-line block ×30, first 2 shown]
	s_waitcnt lgkmcnt(0)
	v_mul_f64 v[120:121], v[238:239], v[122:123]
	v_mul_f64 v[156:157], v[236:237], v[122:123]
	v_fma_f64 v[120:121], v[236:237], v[246:247], -v[120:121]
	v_fmac_f64_e32 v[156:157], v[238:239], v[246:247]
	v_add_f64 v[232:233], v[232:233], -v[120:121]
	v_add_f64 v[234:235], v[234:235], -v[156:157]
	v_mov_b64_e32 v[120:121], v[246:247]
.LBB116_587:
	s_or_b64 exec, exec, s[0:1]
	v_lshl_add_u32 v156, v249, 4, v248
	s_barrier
	ds_write2_b64 v156, v[116:117], v[118:119] offset1:1
	s_waitcnt lgkmcnt(0)
	s_barrier
	ds_read2_b64 v[236:239], v248 offset0:56 offset1:57
	s_cmp_lt_i32 s20, 30
	v_mov_b32_e32 v246, 28
	s_cbranch_scc1 .LBB116_590
; %bb.588:
	v_add_u32_e32 v247, 0x1d0, v248
	s_mov_b32 s0, 29
	v_mov_b32_e32 v246, 28
.LBB116_589:                            ; =>This Inner Loop Header: Depth=1
	ds_read2_b64 v[242:245], v247 offset1:1
	s_waitcnt lgkmcnt(1)
	v_cmp_gt_f64_e32 vcc, 0, v[236:237]
	v_xor_b32_e32 v156, 0x80000000, v237
	v_xor_b32_e32 v158, 0x80000000, v239
	v_cndmask_b32_e32 v157, v237, v156, vcc
	v_cmp_gt_f64_e32 vcc, 0, v[238:239]
	v_mov_b32_e32 v156, v236
	s_waitcnt lgkmcnt(0)
	v_xor_b32_e32 v160, 0x80000000, v245
	v_cndmask_b32_e32 v159, v239, v158, vcc
	v_mov_b32_e32 v158, v238
	v_add_f64 v[156:157], v[156:157], v[158:159]
	v_cmp_gt_f64_e32 vcc, 0, v[242:243]
	v_xor_b32_e32 v158, 0x80000000, v243
	v_add_u32_e32 v247, 16, v247
	v_cndmask_b32_e32 v159, v243, v158, vcc
	v_cmp_gt_f64_e32 vcc, 0, v[244:245]
	v_mov_b32_e32 v158, v242
	s_nop 0
	v_cndmask_b32_e32 v161, v245, v160, vcc
	v_mov_b32_e32 v160, v244
	v_add_f64 v[158:159], v[158:159], v[160:161]
	v_cmp_lt_f64_e32 vcc, v[156:157], v[158:159]
	v_mov_b32_e32 v156, s0
	s_add_i32 s0, s0, 1
	v_cndmask_b32_e32 v237, v237, v243, vcc
	v_cndmask_b32_e32 v236, v236, v242, vcc
	;; [unrolled: 1-line block ×5, first 2 shown]
	s_cmp_lg_u32 s20, s0
	s_cbranch_scc1 .LBB116_589
.LBB116_590:
	s_waitcnt lgkmcnt(0)
	v_cmp_eq_f64_e32 vcc, 0, v[236:237]
	v_cmp_eq_f64_e64 s[0:1], 0, v[238:239]
	s_and_b64 s[0:1], vcc, s[0:1]
	s_and_saveexec_b64 s[16:17], s[0:1]
	s_xor_b64 s[0:1], exec, s[16:17]
; %bb.591:
	v_cmp_ne_u32_e32 vcc, 0, v250
	s_nop 1
	v_cndmask_b32_e32 v250, 29, v250, vcc
; %bb.592:
	s_andn2_saveexec_b64 s[0:1], s[0:1]
	s_cbranch_execz .LBB116_598
; %bb.593:
	v_cmp_ngt_f64_e64 s[16:17], |v[236:237]|, |v[238:239]|
	s_and_saveexec_b64 s[18:19], s[16:17]
	s_xor_b64 s[16:17], exec, s[18:19]
	s_cbranch_execz .LBB116_595
; %bb.594:
	v_div_scale_f64 v[156:157], s[18:19], v[238:239], v[238:239], v[236:237]
	v_rcp_f64_e32 v[158:159], v[156:157]
	v_div_scale_f64 v[160:161], vcc, v[236:237], v[238:239], v[236:237]
	v_fma_f64 v[162:163], -v[156:157], v[158:159], 1.0
	v_fmac_f64_e32 v[158:159], v[158:159], v[162:163]
	v_fma_f64 v[162:163], -v[156:157], v[158:159], 1.0
	v_fmac_f64_e32 v[158:159], v[158:159], v[162:163]
	v_mul_f64 v[162:163], v[160:161], v[158:159]
	v_fma_f64 v[156:157], -v[156:157], v[162:163], v[160:161]
	v_div_fmas_f64 v[156:157], v[156:157], v[158:159], v[162:163]
	v_div_fixup_f64 v[156:157], v[156:157], v[238:239], v[236:237]
	v_fmac_f64_e32 v[238:239], v[236:237], v[156:157]
	v_div_scale_f64 v[158:159], s[18:19], v[238:239], v[238:239], 1.0
	v_rcp_f64_e32 v[160:161], v[158:159]
	s_nop 0
	v_fma_f64 v[162:163], -v[158:159], v[160:161], 1.0
	v_fmac_f64_e32 v[160:161], v[160:161], v[162:163]
	v_fma_f64 v[162:163], -v[158:159], v[160:161], 1.0
	v_fmac_f64_e32 v[160:161], v[160:161], v[162:163]
	v_div_scale_f64 v[162:163], vcc, 1.0, v[238:239], 1.0
	v_mul_f64 v[216:217], v[162:163], v[160:161]
	v_fma_f64 v[158:159], -v[158:159], v[216:217], v[162:163]
	s_nop 1
	v_div_fmas_f64 v[158:159], v[158:159], v[160:161], v[216:217]
	v_div_fixup_f64 v[238:239], v[158:159], v[238:239], 1.0
	v_mul_f64 v[236:237], v[156:157], v[238:239]
	v_xor_b32_e32 v239, 0x80000000, v239
.LBB116_595:
	s_andn2_saveexec_b64 s[16:17], s[16:17]
	s_cbranch_execz .LBB116_597
; %bb.596:
	v_div_scale_f64 v[156:157], s[18:19], v[236:237], v[236:237], v[238:239]
	v_rcp_f64_e32 v[158:159], v[156:157]
	v_div_scale_f64 v[160:161], vcc, v[238:239], v[236:237], v[238:239]
	v_fma_f64 v[162:163], -v[156:157], v[158:159], 1.0
	v_fmac_f64_e32 v[158:159], v[158:159], v[162:163]
	v_fma_f64 v[162:163], -v[156:157], v[158:159], 1.0
	v_fmac_f64_e32 v[158:159], v[158:159], v[162:163]
	v_mul_f64 v[162:163], v[160:161], v[158:159]
	v_fma_f64 v[156:157], -v[156:157], v[162:163], v[160:161]
	v_div_fmas_f64 v[156:157], v[156:157], v[158:159], v[162:163]
	v_div_fixup_f64 v[156:157], v[156:157], v[236:237], v[238:239]
	v_fmac_f64_e32 v[236:237], v[238:239], v[156:157]
	v_div_scale_f64 v[158:159], s[18:19], v[236:237], v[236:237], 1.0
	v_rcp_f64_e32 v[160:161], v[158:159]
	s_nop 0
	v_fma_f64 v[162:163], -v[158:159], v[160:161], 1.0
	v_fmac_f64_e32 v[160:161], v[160:161], v[162:163]
	v_fma_f64 v[162:163], -v[158:159], v[160:161], 1.0
	v_fmac_f64_e32 v[160:161], v[160:161], v[162:163]
	v_div_scale_f64 v[162:163], vcc, 1.0, v[236:237], 1.0
	v_mul_f64 v[216:217], v[162:163], v[160:161]
	v_fma_f64 v[158:159], -v[158:159], v[216:217], v[162:163]
	s_nop 1
	v_div_fmas_f64 v[158:159], v[158:159], v[160:161], v[216:217]
	v_div_fixup_f64 v[236:237], v[158:159], v[236:237], 1.0
	v_mul_f64 v[238:239], v[156:157], -v[236:237]
.LBB116_597:
	s_or_b64 exec, exec, s[16:17]
.LBB116_598:
	s_or_b64 exec, exec, s[0:1]
	v_cmp_ne_u32_e32 vcc, v249, v246
	s_and_saveexec_b64 s[0:1], vcc
	s_xor_b64 s[0:1], exec, s[0:1]
	s_cbranch_execz .LBB116_604
; %bb.599:
	v_cmp_eq_u32_e32 vcc, 28, v249
	s_and_saveexec_b64 s[16:17], vcc
	s_cbranch_execz .LBB116_603
; %bb.600:
	v_cmp_ne_u32_e32 vcc, 28, v246
	s_xor_b64 s[18:19], s[14:15], -1
	s_and_b64 s[22:23], s[18:19], vcc
	s_and_saveexec_b64 s[18:19], s[22:23]
	s_cbranch_execz .LBB116_602
; %bb.601:
	scratch_load_dwordx2 v[8:9], off, off offset:16 ; 8-byte Folded Reload
	v_ashrrev_i32_e32 v247, 31, v246
	s_waitcnt vmcnt(0)
	v_lshl_add_u64 v[156:157], v[246:247], 2, v[8:9]
	global_load_dword v158, v[156:157], off
	global_load_dword v159, v[8:9], off offset:112
	s_waitcnt vmcnt(1)
	global_store_dword v[8:9], v158, off offset:112
	s_waitcnt vmcnt(1)
	global_store_dword v[156:157], v159, off
.LBB116_602:
	s_or_b64 exec, exec, s[18:19]
	v_mov_b32_e32 v249, v246
	v_mov_b32_e32 v218, v246
.LBB116_603:
	s_or_b64 exec, exec, s[16:17]
.LBB116_604:
	s_andn2_saveexec_b64 s[0:1], s[0:1]
	s_cbranch_execz .LBB116_606
; %bb.605:
	v_mov_b32_e32 v249, 28
	ds_write2_b64 v248, v[112:113], v[114:115] offset0:58 offset1:59
	ds_write2_b64 v248, v[108:109], v[110:111] offset0:60 offset1:61
	;; [unrolled: 1-line block ×30, first 2 shown]
.LBB116_606:
	s_or_b64 exec, exec, s[0:1]
	v_cmp_lt_i32_e32 vcc, 28, v249
	s_waitcnt lgkmcnt(0)
	s_barrier
	s_and_saveexec_b64 s[0:1], vcc
	s_cbranch_execz .LBB116_608
; %bb.607:
	v_mul_f64 v[156:157], v[238:239], v[118:119]
	v_mul_f64 v[118:119], v[236:237], v[118:119]
	v_fma_f64 v[246:247], v[236:237], v[116:117], -v[156:157]
	v_fmac_f64_e32 v[118:119], v[238:239], v[116:117]
	ds_read2_b64 v[236:239], v248 offset0:58 offset1:59
	s_waitcnt lgkmcnt(0)
	v_mul_f64 v[116:117], v[238:239], v[118:119]
	v_mul_f64 v[156:157], v[236:237], v[118:119]
	v_fma_f64 v[116:117], v[236:237], v[246:247], -v[116:117]
	v_fmac_f64_e32 v[156:157], v[238:239], v[246:247]
	ds_read2_b64 v[236:239], v248 offset0:60 offset1:61
	v_add_f64 v[112:113], v[112:113], -v[116:117]
	v_add_f64 v[114:115], v[114:115], -v[156:157]
	s_waitcnt lgkmcnt(0)
	v_mul_f64 v[116:117], v[238:239], v[118:119]
	v_mul_f64 v[156:157], v[236:237], v[118:119]
	v_fma_f64 v[116:117], v[236:237], v[246:247], -v[116:117]
	v_fmac_f64_e32 v[156:157], v[238:239], v[246:247]
	ds_read2_b64 v[236:239], v248 offset0:62 offset1:63
	v_add_f64 v[108:109], v[108:109], -v[116:117]
	v_add_f64 v[110:111], v[110:111], -v[156:157]
	s_waitcnt lgkmcnt(0)
	v_mul_f64 v[116:117], v[238:239], v[118:119]
	v_mul_f64 v[156:157], v[236:237], v[118:119]
	v_fma_f64 v[116:117], v[236:237], v[246:247], -v[116:117]
	v_fmac_f64_e32 v[156:157], v[238:239], v[246:247]
	ds_read2_b64 v[236:239], v248 offset0:64 offset1:65
	v_add_f64 v[104:105], v[104:105], -v[116:117]
	v_add_f64 v[106:107], v[106:107], -v[156:157]
	s_waitcnt lgkmcnt(0)
	v_mul_f64 v[116:117], v[238:239], v[118:119]
	v_mul_f64 v[156:157], v[236:237], v[118:119]
	v_fma_f64 v[116:117], v[236:237], v[246:247], -v[116:117]
	v_fmac_f64_e32 v[156:157], v[238:239], v[246:247]
	ds_read2_b64 v[236:239], v248 offset0:66 offset1:67
	v_add_f64 v[100:101], v[100:101], -v[116:117]
	v_add_f64 v[102:103], v[102:103], -v[156:157]
	s_waitcnt lgkmcnt(0)
	v_mul_f64 v[116:117], v[238:239], v[118:119]
	v_mul_f64 v[156:157], v[236:237], v[118:119]
	v_fma_f64 v[116:117], v[236:237], v[246:247], -v[116:117]
	v_fmac_f64_e32 v[156:157], v[238:239], v[246:247]
	ds_read2_b64 v[236:239], v248 offset0:68 offset1:69
	v_add_f64 v[96:97], v[96:97], -v[116:117]
	v_add_f64 v[98:99], v[98:99], -v[156:157]
	s_waitcnt lgkmcnt(0)
	v_mul_f64 v[116:117], v[238:239], v[118:119]
	v_mul_f64 v[156:157], v[236:237], v[118:119]
	v_fma_f64 v[116:117], v[236:237], v[246:247], -v[116:117]
	v_fmac_f64_e32 v[156:157], v[238:239], v[246:247]
	ds_read2_b64 v[236:239], v248 offset0:70 offset1:71
	v_add_f64 v[92:93], v[92:93], -v[116:117]
	v_add_f64 v[94:95], v[94:95], -v[156:157]
	s_waitcnt lgkmcnt(0)
	v_mul_f64 v[116:117], v[238:239], v[118:119]
	v_mul_f64 v[156:157], v[236:237], v[118:119]
	v_fma_f64 v[116:117], v[236:237], v[246:247], -v[116:117]
	v_fmac_f64_e32 v[156:157], v[238:239], v[246:247]
	ds_read2_b64 v[236:239], v248 offset0:72 offset1:73
	v_add_f64 v[88:89], v[88:89], -v[116:117]
	v_add_f64 v[90:91], v[90:91], -v[156:157]
	s_waitcnt lgkmcnt(0)
	v_mul_f64 v[116:117], v[238:239], v[118:119]
	v_mul_f64 v[156:157], v[236:237], v[118:119]
	v_fma_f64 v[116:117], v[236:237], v[246:247], -v[116:117]
	v_fmac_f64_e32 v[156:157], v[238:239], v[246:247]
	ds_read2_b64 v[236:239], v248 offset0:74 offset1:75
	v_add_f64 v[84:85], v[84:85], -v[116:117]
	v_add_f64 v[86:87], v[86:87], -v[156:157]
	s_waitcnt lgkmcnt(0)
	v_mul_f64 v[116:117], v[238:239], v[118:119]
	v_mul_f64 v[156:157], v[236:237], v[118:119]
	v_fma_f64 v[116:117], v[236:237], v[246:247], -v[116:117]
	v_fmac_f64_e32 v[156:157], v[238:239], v[246:247]
	ds_read2_b64 v[236:239], v248 offset0:76 offset1:77
	v_add_f64 v[80:81], v[80:81], -v[116:117]
	v_add_f64 v[82:83], v[82:83], -v[156:157]
	s_waitcnt lgkmcnt(0)
	v_mul_f64 v[116:117], v[238:239], v[118:119]
	v_mul_f64 v[156:157], v[236:237], v[118:119]
	v_fma_f64 v[116:117], v[236:237], v[246:247], -v[116:117]
	v_fmac_f64_e32 v[156:157], v[238:239], v[246:247]
	ds_read2_b64 v[236:239], v248 offset0:78 offset1:79
	v_add_f64 v[76:77], v[76:77], -v[116:117]
	v_add_f64 v[78:79], v[78:79], -v[156:157]
	s_waitcnt lgkmcnt(0)
	v_mul_f64 v[116:117], v[238:239], v[118:119]
	v_mul_f64 v[156:157], v[236:237], v[118:119]
	v_fma_f64 v[116:117], v[236:237], v[246:247], -v[116:117]
	v_fmac_f64_e32 v[156:157], v[238:239], v[246:247]
	ds_read2_b64 v[236:239], v248 offset0:80 offset1:81
	v_add_f64 v[72:73], v[72:73], -v[116:117]
	v_add_f64 v[74:75], v[74:75], -v[156:157]
	s_waitcnt lgkmcnt(0)
	v_mul_f64 v[116:117], v[238:239], v[118:119]
	v_mul_f64 v[156:157], v[236:237], v[118:119]
	v_fma_f64 v[116:117], v[236:237], v[246:247], -v[116:117]
	v_fmac_f64_e32 v[156:157], v[238:239], v[246:247]
	ds_read2_b64 v[236:239], v248 offset0:82 offset1:83
	v_add_f64 v[68:69], v[68:69], -v[116:117]
	v_add_f64 v[70:71], v[70:71], -v[156:157]
	s_waitcnt lgkmcnt(0)
	v_mul_f64 v[116:117], v[238:239], v[118:119]
	v_mul_f64 v[156:157], v[236:237], v[118:119]
	v_fma_f64 v[116:117], v[236:237], v[246:247], -v[116:117]
	v_fmac_f64_e32 v[156:157], v[238:239], v[246:247]
	ds_read2_b64 v[236:239], v248 offset0:84 offset1:85
	v_add_f64 v[64:65], v[64:65], -v[116:117]
	v_add_f64 v[66:67], v[66:67], -v[156:157]
	s_waitcnt lgkmcnt(0)
	v_mul_f64 v[116:117], v[238:239], v[118:119]
	v_mul_f64 v[156:157], v[236:237], v[118:119]
	v_fma_f64 v[116:117], v[236:237], v[246:247], -v[116:117]
	v_fmac_f64_e32 v[156:157], v[238:239], v[246:247]
	ds_read2_b64 v[236:239], v248 offset0:86 offset1:87
	v_add_f64 v[60:61], v[60:61], -v[116:117]
	v_add_f64 v[62:63], v[62:63], -v[156:157]
	s_waitcnt lgkmcnt(0)
	v_mul_f64 v[116:117], v[238:239], v[118:119]
	v_mul_f64 v[156:157], v[236:237], v[118:119]
	v_fma_f64 v[116:117], v[236:237], v[246:247], -v[116:117]
	v_fmac_f64_e32 v[156:157], v[238:239], v[246:247]
	ds_read2_b64 v[236:239], v248 offset0:88 offset1:89
	v_add_f64 v[56:57], v[56:57], -v[116:117]
	v_add_f64 v[58:59], v[58:59], -v[156:157]
	s_waitcnt lgkmcnt(0)
	v_mul_f64 v[116:117], v[238:239], v[118:119]
	v_mul_f64 v[156:157], v[236:237], v[118:119]
	v_fma_f64 v[116:117], v[236:237], v[246:247], -v[116:117]
	v_fmac_f64_e32 v[156:157], v[238:239], v[246:247]
	ds_read2_b64 v[236:239], v248 offset0:90 offset1:91
	v_add_f64 v[52:53], v[52:53], -v[116:117]
	v_add_f64 v[54:55], v[54:55], -v[156:157]
	s_waitcnt lgkmcnt(0)
	v_mul_f64 v[116:117], v[238:239], v[118:119]
	v_mul_f64 v[156:157], v[236:237], v[118:119]
	v_fma_f64 v[116:117], v[236:237], v[246:247], -v[116:117]
	v_fmac_f64_e32 v[156:157], v[238:239], v[246:247]
	ds_read2_b64 v[236:239], v248 offset0:92 offset1:93
	v_add_f64 v[48:49], v[48:49], -v[116:117]
	v_add_f64 v[50:51], v[50:51], -v[156:157]
	s_waitcnt lgkmcnt(0)
	v_mul_f64 v[116:117], v[238:239], v[118:119]
	v_mul_f64 v[156:157], v[236:237], v[118:119]
	v_fma_f64 v[116:117], v[236:237], v[246:247], -v[116:117]
	v_fmac_f64_e32 v[156:157], v[238:239], v[246:247]
	ds_read2_b64 v[236:239], v248 offset0:94 offset1:95
	v_add_f64 v[44:45], v[44:45], -v[116:117]
	v_add_f64 v[46:47], v[46:47], -v[156:157]
	s_waitcnt lgkmcnt(0)
	v_mul_f64 v[116:117], v[238:239], v[118:119]
	v_mul_f64 v[156:157], v[236:237], v[118:119]
	v_fma_f64 v[116:117], v[236:237], v[246:247], -v[116:117]
	v_fmac_f64_e32 v[156:157], v[238:239], v[246:247]
	ds_read2_b64 v[236:239], v248 offset0:96 offset1:97
	v_add_f64 v[40:41], v[40:41], -v[116:117]
	v_add_f64 v[42:43], v[42:43], -v[156:157]
	s_waitcnt lgkmcnt(0)
	v_mul_f64 v[116:117], v[238:239], v[118:119]
	v_mul_f64 v[156:157], v[236:237], v[118:119]
	v_fma_f64 v[116:117], v[236:237], v[246:247], -v[116:117]
	v_fmac_f64_e32 v[156:157], v[238:239], v[246:247]
	ds_read2_b64 v[236:239], v248 offset0:98 offset1:99
	v_add_f64 v[36:37], v[36:37], -v[116:117]
	v_add_f64 v[38:39], v[38:39], -v[156:157]
	s_waitcnt lgkmcnt(0)
	v_mul_f64 v[116:117], v[238:239], v[118:119]
	v_mul_f64 v[156:157], v[236:237], v[118:119]
	v_fma_f64 v[116:117], v[236:237], v[246:247], -v[116:117]
	v_fmac_f64_e32 v[156:157], v[238:239], v[246:247]
	ds_read2_b64 v[236:239], v248 offset0:100 offset1:101
	v_add_f64 v[32:33], v[32:33], -v[116:117]
	v_add_f64 v[34:35], v[34:35], -v[156:157]
	s_waitcnt lgkmcnt(0)
	v_mul_f64 v[116:117], v[238:239], v[118:119]
	v_mul_f64 v[156:157], v[236:237], v[118:119]
	v_fma_f64 v[116:117], v[236:237], v[246:247], -v[116:117]
	v_fmac_f64_e32 v[156:157], v[238:239], v[246:247]
	ds_read2_b64 v[236:239], v248 offset0:102 offset1:103
	v_add_f64 v[28:29], v[28:29], -v[116:117]
	v_add_f64 v[30:31], v[30:31], -v[156:157]
	s_waitcnt lgkmcnt(0)
	v_mul_f64 v[116:117], v[238:239], v[118:119]
	v_mul_f64 v[156:157], v[236:237], v[118:119]
	v_fma_f64 v[116:117], v[236:237], v[246:247], -v[116:117]
	v_fmac_f64_e32 v[156:157], v[238:239], v[246:247]
	ds_read2_b64 v[236:239], v248 offset0:104 offset1:105
	v_add_f64 v[24:25], v[24:25], -v[116:117]
	v_add_f64 v[26:27], v[26:27], -v[156:157]
	s_waitcnt lgkmcnt(0)
	v_mul_f64 v[116:117], v[238:239], v[118:119]
	v_mul_f64 v[156:157], v[236:237], v[118:119]
	v_fma_f64 v[116:117], v[236:237], v[246:247], -v[116:117]
	v_fmac_f64_e32 v[156:157], v[238:239], v[246:247]
	ds_read2_b64 v[236:239], v248 offset0:106 offset1:107
	v_add_f64 v[20:21], v[20:21], -v[116:117]
	v_add_f64 v[22:23], v[22:23], -v[156:157]
	s_waitcnt lgkmcnt(0)
	v_mul_f64 v[116:117], v[238:239], v[118:119]
	v_mul_f64 v[156:157], v[236:237], v[118:119]
	v_fma_f64 v[116:117], v[236:237], v[246:247], -v[116:117]
	v_fmac_f64_e32 v[156:157], v[238:239], v[246:247]
	ds_read2_b64 v[236:239], v248 offset0:108 offset1:109
	v_add_f64 v[16:17], v[16:17], -v[116:117]
	v_add_f64 v[18:19], v[18:19], -v[156:157]
	s_waitcnt lgkmcnt(0)
	v_mul_f64 v[116:117], v[238:239], v[118:119]
	v_mul_f64 v[156:157], v[236:237], v[118:119]
	v_fma_f64 v[116:117], v[236:237], v[246:247], -v[116:117]
	v_fmac_f64_e32 v[156:157], v[238:239], v[246:247]
	ds_read2_b64 v[236:239], v248 offset0:110 offset1:111
	v_add_f64 v[12:13], v[12:13], -v[116:117]
	v_add_f64 v[14:15], v[14:15], -v[156:157]
	s_waitcnt lgkmcnt(0)
	v_mul_f64 v[116:117], v[238:239], v[118:119]
	v_mul_f64 v[156:157], v[236:237], v[118:119]
	v_fma_f64 v[116:117], v[236:237], v[246:247], -v[116:117]
	v_fmac_f64_e32 v[156:157], v[238:239], v[246:247]
	ds_read2_b64 v[236:239], v248 offset0:112 offset1:113
	v_add_f64 v[252:253], v[252:253], -v[116:117]
	v_add_f64 v[254:255], v[254:255], -v[156:157]
	s_waitcnt lgkmcnt(0)
	v_mul_f64 v[116:117], v[238:239], v[118:119]
	v_mul_f64 v[156:157], v[236:237], v[118:119]
	v_fma_f64 v[116:117], v[236:237], v[246:247], -v[116:117]
	v_fmac_f64_e32 v[156:157], v[238:239], v[246:247]
	ds_read2_b64 v[236:239], v248 offset0:114 offset1:115
	v_add_f64 v[224:225], v[224:225], -v[116:117]
	v_add_f64 v[226:227], v[226:227], -v[156:157]
	s_waitcnt lgkmcnt(0)
	v_mul_f64 v[116:117], v[238:239], v[118:119]
	v_mul_f64 v[156:157], v[236:237], v[118:119]
	v_fma_f64 v[116:117], v[236:237], v[246:247], -v[116:117]
	v_fmac_f64_e32 v[156:157], v[238:239], v[246:247]
	ds_read2_b64 v[236:239], v248 offset0:116 offset1:117
	v_add_f64 v[220:221], v[220:221], -v[116:117]
	v_add_f64 v[222:223], v[222:223], -v[156:157]
	s_waitcnt lgkmcnt(0)
	v_mul_f64 v[116:117], v[238:239], v[118:119]
	v_mul_f64 v[156:157], v[236:237], v[118:119]
	v_fma_f64 v[116:117], v[236:237], v[246:247], -v[116:117]
	v_fmac_f64_e32 v[156:157], v[238:239], v[246:247]
	v_add_f64 v[232:233], v[232:233], -v[116:117]
	v_add_f64 v[234:235], v[234:235], -v[156:157]
	v_mov_b64_e32 v[116:117], v[246:247]
.LBB116_608:
	s_or_b64 exec, exec, s[0:1]
	v_lshl_add_u32 v156, v249, 4, v248
	s_barrier
	ds_write2_b64 v156, v[112:113], v[114:115] offset1:1
	s_waitcnt lgkmcnt(0)
	s_barrier
	ds_read2_b64 v[236:239], v248 offset0:58 offset1:59
	s_cmp_lt_i32 s20, 31
	v_mov_b32_e32 v246, 29
	s_cbranch_scc1 .LBB116_611
; %bb.609:
	v_add_u32_e32 v247, 0x1e0, v248
	s_mov_b32 s0, 30
	v_mov_b32_e32 v246, 29
.LBB116_610:                            ; =>This Inner Loop Header: Depth=1
	ds_read2_b64 v[242:245], v247 offset1:1
	s_waitcnt lgkmcnt(1)
	v_cmp_gt_f64_e32 vcc, 0, v[236:237]
	v_xor_b32_e32 v156, 0x80000000, v237
	v_xor_b32_e32 v158, 0x80000000, v239
	v_cndmask_b32_e32 v157, v237, v156, vcc
	v_cmp_gt_f64_e32 vcc, 0, v[238:239]
	v_mov_b32_e32 v156, v236
	s_waitcnt lgkmcnt(0)
	v_xor_b32_e32 v160, 0x80000000, v245
	v_cndmask_b32_e32 v159, v239, v158, vcc
	v_mov_b32_e32 v158, v238
	v_add_f64 v[156:157], v[156:157], v[158:159]
	v_cmp_gt_f64_e32 vcc, 0, v[242:243]
	v_xor_b32_e32 v158, 0x80000000, v243
	v_add_u32_e32 v247, 16, v247
	v_cndmask_b32_e32 v159, v243, v158, vcc
	v_cmp_gt_f64_e32 vcc, 0, v[244:245]
	v_mov_b32_e32 v158, v242
	s_nop 0
	v_cndmask_b32_e32 v161, v245, v160, vcc
	v_mov_b32_e32 v160, v244
	v_add_f64 v[158:159], v[158:159], v[160:161]
	v_cmp_lt_f64_e32 vcc, v[156:157], v[158:159]
	v_mov_b32_e32 v156, s0
	s_add_i32 s0, s0, 1
	v_cndmask_b32_e32 v237, v237, v243, vcc
	v_cndmask_b32_e32 v236, v236, v242, vcc
	;; [unrolled: 1-line block ×5, first 2 shown]
	s_cmp_lg_u32 s20, s0
	s_cbranch_scc1 .LBB116_610
.LBB116_611:
	s_waitcnt lgkmcnt(0)
	v_cmp_eq_f64_e32 vcc, 0, v[236:237]
	v_cmp_eq_f64_e64 s[0:1], 0, v[238:239]
	s_and_b64 s[0:1], vcc, s[0:1]
	s_and_saveexec_b64 s[16:17], s[0:1]
	s_xor_b64 s[0:1], exec, s[16:17]
; %bb.612:
	v_cmp_ne_u32_e32 vcc, 0, v250
	s_nop 1
	v_cndmask_b32_e32 v250, 30, v250, vcc
; %bb.613:
	s_andn2_saveexec_b64 s[0:1], s[0:1]
	s_cbranch_execz .LBB116_619
; %bb.614:
	v_cmp_ngt_f64_e64 s[16:17], |v[236:237]|, |v[238:239]|
	s_and_saveexec_b64 s[18:19], s[16:17]
	s_xor_b64 s[16:17], exec, s[18:19]
	s_cbranch_execz .LBB116_616
; %bb.615:
	v_div_scale_f64 v[156:157], s[18:19], v[238:239], v[238:239], v[236:237]
	v_rcp_f64_e32 v[158:159], v[156:157]
	v_div_scale_f64 v[160:161], vcc, v[236:237], v[238:239], v[236:237]
	v_fma_f64 v[162:163], -v[156:157], v[158:159], 1.0
	v_fmac_f64_e32 v[158:159], v[158:159], v[162:163]
	v_fma_f64 v[162:163], -v[156:157], v[158:159], 1.0
	v_fmac_f64_e32 v[158:159], v[158:159], v[162:163]
	v_mul_f64 v[162:163], v[160:161], v[158:159]
	v_fma_f64 v[156:157], -v[156:157], v[162:163], v[160:161]
	v_div_fmas_f64 v[156:157], v[156:157], v[158:159], v[162:163]
	v_div_fixup_f64 v[156:157], v[156:157], v[238:239], v[236:237]
	v_fmac_f64_e32 v[238:239], v[236:237], v[156:157]
	v_div_scale_f64 v[158:159], s[18:19], v[238:239], v[238:239], 1.0
	v_rcp_f64_e32 v[160:161], v[158:159]
	s_nop 0
	v_fma_f64 v[162:163], -v[158:159], v[160:161], 1.0
	v_fmac_f64_e32 v[160:161], v[160:161], v[162:163]
	v_fma_f64 v[162:163], -v[158:159], v[160:161], 1.0
	v_fmac_f64_e32 v[160:161], v[160:161], v[162:163]
	v_div_scale_f64 v[162:163], vcc, 1.0, v[238:239], 1.0
	v_mul_f64 v[216:217], v[162:163], v[160:161]
	v_fma_f64 v[158:159], -v[158:159], v[216:217], v[162:163]
	s_nop 1
	v_div_fmas_f64 v[158:159], v[158:159], v[160:161], v[216:217]
	v_div_fixup_f64 v[238:239], v[158:159], v[238:239], 1.0
	v_mul_f64 v[236:237], v[156:157], v[238:239]
	v_xor_b32_e32 v239, 0x80000000, v239
.LBB116_616:
	s_andn2_saveexec_b64 s[16:17], s[16:17]
	s_cbranch_execz .LBB116_618
; %bb.617:
	v_div_scale_f64 v[156:157], s[18:19], v[236:237], v[236:237], v[238:239]
	v_rcp_f64_e32 v[158:159], v[156:157]
	v_div_scale_f64 v[160:161], vcc, v[238:239], v[236:237], v[238:239]
	v_fma_f64 v[162:163], -v[156:157], v[158:159], 1.0
	v_fmac_f64_e32 v[158:159], v[158:159], v[162:163]
	v_fma_f64 v[162:163], -v[156:157], v[158:159], 1.0
	v_fmac_f64_e32 v[158:159], v[158:159], v[162:163]
	v_mul_f64 v[162:163], v[160:161], v[158:159]
	v_fma_f64 v[156:157], -v[156:157], v[162:163], v[160:161]
	v_div_fmas_f64 v[156:157], v[156:157], v[158:159], v[162:163]
	v_div_fixup_f64 v[156:157], v[156:157], v[236:237], v[238:239]
	v_fmac_f64_e32 v[236:237], v[238:239], v[156:157]
	v_div_scale_f64 v[158:159], s[18:19], v[236:237], v[236:237], 1.0
	v_rcp_f64_e32 v[160:161], v[158:159]
	s_nop 0
	v_fma_f64 v[162:163], -v[158:159], v[160:161], 1.0
	v_fmac_f64_e32 v[160:161], v[160:161], v[162:163]
	v_fma_f64 v[162:163], -v[158:159], v[160:161], 1.0
	v_fmac_f64_e32 v[160:161], v[160:161], v[162:163]
	v_div_scale_f64 v[162:163], vcc, 1.0, v[236:237], 1.0
	v_mul_f64 v[216:217], v[162:163], v[160:161]
	v_fma_f64 v[158:159], -v[158:159], v[216:217], v[162:163]
	s_nop 1
	v_div_fmas_f64 v[158:159], v[158:159], v[160:161], v[216:217]
	v_div_fixup_f64 v[236:237], v[158:159], v[236:237], 1.0
	v_mul_f64 v[238:239], v[156:157], -v[236:237]
.LBB116_618:
	s_or_b64 exec, exec, s[16:17]
.LBB116_619:
	s_or_b64 exec, exec, s[0:1]
	v_cmp_ne_u32_e32 vcc, v249, v246
	s_and_saveexec_b64 s[0:1], vcc
	s_xor_b64 s[0:1], exec, s[0:1]
	s_cbranch_execz .LBB116_625
; %bb.620:
	v_cmp_eq_u32_e32 vcc, 29, v249
	s_and_saveexec_b64 s[16:17], vcc
	s_cbranch_execz .LBB116_624
; %bb.621:
	v_cmp_ne_u32_e32 vcc, 29, v246
	s_xor_b64 s[18:19], s[14:15], -1
	s_and_b64 s[22:23], s[18:19], vcc
	s_and_saveexec_b64 s[18:19], s[22:23]
	s_cbranch_execz .LBB116_623
; %bb.622:
	scratch_load_dwordx2 v[8:9], off, off offset:16 ; 8-byte Folded Reload
	v_ashrrev_i32_e32 v247, 31, v246
	s_waitcnt vmcnt(0)
	v_lshl_add_u64 v[156:157], v[246:247], 2, v[8:9]
	global_load_dword v158, v[156:157], off
	global_load_dword v159, v[8:9], off offset:116
	s_waitcnt vmcnt(1)
	global_store_dword v[8:9], v158, off offset:116
	s_waitcnt vmcnt(1)
	global_store_dword v[156:157], v159, off
.LBB116_623:
	s_or_b64 exec, exec, s[18:19]
	v_mov_b32_e32 v249, v246
	v_mov_b32_e32 v218, v246
.LBB116_624:
	s_or_b64 exec, exec, s[16:17]
.LBB116_625:
	s_andn2_saveexec_b64 s[0:1], s[0:1]
	s_cbranch_execz .LBB116_627
; %bb.626:
	v_mov_b32_e32 v249, 29
	ds_write2_b64 v248, v[108:109], v[110:111] offset0:60 offset1:61
	ds_write2_b64 v248, v[104:105], v[106:107] offset0:62 offset1:63
	;; [unrolled: 1-line block ×29, first 2 shown]
.LBB116_627:
	s_or_b64 exec, exec, s[0:1]
	v_cmp_lt_i32_e32 vcc, 29, v249
	s_waitcnt lgkmcnt(0)
	s_barrier
	s_and_saveexec_b64 s[0:1], vcc
	s_cbranch_execz .LBB116_629
; %bb.628:
	v_mul_f64 v[156:157], v[238:239], v[114:115]
	v_mul_f64 v[114:115], v[236:237], v[114:115]
	v_fma_f64 v[246:247], v[236:237], v[112:113], -v[156:157]
	v_fmac_f64_e32 v[114:115], v[238:239], v[112:113]
	ds_read2_b64 v[236:239], v248 offset0:60 offset1:61
	s_waitcnt lgkmcnt(0)
	v_mul_f64 v[112:113], v[238:239], v[114:115]
	v_mul_f64 v[156:157], v[236:237], v[114:115]
	v_fma_f64 v[112:113], v[236:237], v[246:247], -v[112:113]
	v_fmac_f64_e32 v[156:157], v[238:239], v[246:247]
	ds_read2_b64 v[236:239], v248 offset0:62 offset1:63
	v_add_f64 v[108:109], v[108:109], -v[112:113]
	v_add_f64 v[110:111], v[110:111], -v[156:157]
	s_waitcnt lgkmcnt(0)
	v_mul_f64 v[112:113], v[238:239], v[114:115]
	v_mul_f64 v[156:157], v[236:237], v[114:115]
	v_fma_f64 v[112:113], v[236:237], v[246:247], -v[112:113]
	v_fmac_f64_e32 v[156:157], v[238:239], v[246:247]
	ds_read2_b64 v[236:239], v248 offset0:64 offset1:65
	v_add_f64 v[104:105], v[104:105], -v[112:113]
	v_add_f64 v[106:107], v[106:107], -v[156:157]
	;; [unrolled: 8-line block ×28, first 2 shown]
	s_waitcnt lgkmcnt(0)
	v_mul_f64 v[112:113], v[238:239], v[114:115]
	v_mul_f64 v[156:157], v[236:237], v[114:115]
	v_fma_f64 v[112:113], v[236:237], v[246:247], -v[112:113]
	v_fmac_f64_e32 v[156:157], v[238:239], v[246:247]
	v_add_f64 v[232:233], v[232:233], -v[112:113]
	v_add_f64 v[234:235], v[234:235], -v[156:157]
	v_mov_b64_e32 v[112:113], v[246:247]
.LBB116_629:
	s_or_b64 exec, exec, s[0:1]
	v_lshl_add_u32 v156, v249, 4, v248
	s_barrier
	ds_write2_b64 v156, v[108:109], v[110:111] offset1:1
	s_waitcnt lgkmcnt(0)
	s_barrier
	ds_read2_b64 v[236:239], v248 offset0:60 offset1:61
	s_cmp_lt_i32 s20, 32
	v_mov_b32_e32 v246, 30
	s_cbranch_scc1 .LBB116_632
; %bb.630:
	v_add_u32_e32 v247, 0x1f0, v248
	s_mov_b32 s0, 31
	v_mov_b32_e32 v246, 30
.LBB116_631:                            ; =>This Inner Loop Header: Depth=1
	ds_read2_b64 v[242:245], v247 offset1:1
	s_waitcnt lgkmcnt(1)
	v_cmp_gt_f64_e32 vcc, 0, v[236:237]
	v_xor_b32_e32 v156, 0x80000000, v237
	v_xor_b32_e32 v158, 0x80000000, v239
	v_cndmask_b32_e32 v157, v237, v156, vcc
	v_cmp_gt_f64_e32 vcc, 0, v[238:239]
	v_mov_b32_e32 v156, v236
	s_waitcnt lgkmcnt(0)
	v_xor_b32_e32 v160, 0x80000000, v245
	v_cndmask_b32_e32 v159, v239, v158, vcc
	v_mov_b32_e32 v158, v238
	v_add_f64 v[156:157], v[156:157], v[158:159]
	v_cmp_gt_f64_e32 vcc, 0, v[242:243]
	v_xor_b32_e32 v158, 0x80000000, v243
	v_add_u32_e32 v247, 16, v247
	v_cndmask_b32_e32 v159, v243, v158, vcc
	v_cmp_gt_f64_e32 vcc, 0, v[244:245]
	v_mov_b32_e32 v158, v242
	s_nop 0
	v_cndmask_b32_e32 v161, v245, v160, vcc
	v_mov_b32_e32 v160, v244
	v_add_f64 v[158:159], v[158:159], v[160:161]
	v_cmp_lt_f64_e32 vcc, v[156:157], v[158:159]
	v_mov_b32_e32 v156, s0
	s_add_i32 s0, s0, 1
	v_cndmask_b32_e32 v237, v237, v243, vcc
	v_cndmask_b32_e32 v236, v236, v242, vcc
	;; [unrolled: 1-line block ×5, first 2 shown]
	s_cmp_lg_u32 s20, s0
	s_cbranch_scc1 .LBB116_631
.LBB116_632:
	s_waitcnt lgkmcnt(0)
	v_cmp_eq_f64_e32 vcc, 0, v[236:237]
	v_cmp_eq_f64_e64 s[0:1], 0, v[238:239]
	s_and_b64 s[0:1], vcc, s[0:1]
	s_and_saveexec_b64 s[16:17], s[0:1]
	s_xor_b64 s[0:1], exec, s[16:17]
; %bb.633:
	v_cmp_ne_u32_e32 vcc, 0, v250
	s_nop 1
	v_cndmask_b32_e32 v250, 31, v250, vcc
; %bb.634:
	s_andn2_saveexec_b64 s[0:1], s[0:1]
	s_cbranch_execz .LBB116_640
; %bb.635:
	v_cmp_ngt_f64_e64 s[16:17], |v[236:237]|, |v[238:239]|
	s_and_saveexec_b64 s[18:19], s[16:17]
	s_xor_b64 s[16:17], exec, s[18:19]
	s_cbranch_execz .LBB116_637
; %bb.636:
	v_div_scale_f64 v[156:157], s[18:19], v[238:239], v[238:239], v[236:237]
	v_rcp_f64_e32 v[158:159], v[156:157]
	v_div_scale_f64 v[160:161], vcc, v[236:237], v[238:239], v[236:237]
	v_fma_f64 v[162:163], -v[156:157], v[158:159], 1.0
	v_fmac_f64_e32 v[158:159], v[158:159], v[162:163]
	v_fma_f64 v[162:163], -v[156:157], v[158:159], 1.0
	v_fmac_f64_e32 v[158:159], v[158:159], v[162:163]
	v_mul_f64 v[162:163], v[160:161], v[158:159]
	v_fma_f64 v[156:157], -v[156:157], v[162:163], v[160:161]
	v_div_fmas_f64 v[156:157], v[156:157], v[158:159], v[162:163]
	v_div_fixup_f64 v[156:157], v[156:157], v[238:239], v[236:237]
	v_fmac_f64_e32 v[238:239], v[236:237], v[156:157]
	v_div_scale_f64 v[158:159], s[18:19], v[238:239], v[238:239], 1.0
	v_rcp_f64_e32 v[160:161], v[158:159]
	s_nop 0
	v_fma_f64 v[162:163], -v[158:159], v[160:161], 1.0
	v_fmac_f64_e32 v[160:161], v[160:161], v[162:163]
	v_fma_f64 v[162:163], -v[158:159], v[160:161], 1.0
	v_fmac_f64_e32 v[160:161], v[160:161], v[162:163]
	v_div_scale_f64 v[162:163], vcc, 1.0, v[238:239], 1.0
	v_mul_f64 v[216:217], v[162:163], v[160:161]
	v_fma_f64 v[158:159], -v[158:159], v[216:217], v[162:163]
	s_nop 1
	v_div_fmas_f64 v[158:159], v[158:159], v[160:161], v[216:217]
	v_div_fixup_f64 v[238:239], v[158:159], v[238:239], 1.0
	v_mul_f64 v[236:237], v[156:157], v[238:239]
	v_xor_b32_e32 v239, 0x80000000, v239
.LBB116_637:
	s_andn2_saveexec_b64 s[16:17], s[16:17]
	s_cbranch_execz .LBB116_639
; %bb.638:
	v_div_scale_f64 v[156:157], s[18:19], v[236:237], v[236:237], v[238:239]
	v_rcp_f64_e32 v[158:159], v[156:157]
	v_div_scale_f64 v[160:161], vcc, v[238:239], v[236:237], v[238:239]
	v_fma_f64 v[162:163], -v[156:157], v[158:159], 1.0
	v_fmac_f64_e32 v[158:159], v[158:159], v[162:163]
	v_fma_f64 v[162:163], -v[156:157], v[158:159], 1.0
	v_fmac_f64_e32 v[158:159], v[158:159], v[162:163]
	v_mul_f64 v[162:163], v[160:161], v[158:159]
	v_fma_f64 v[156:157], -v[156:157], v[162:163], v[160:161]
	v_div_fmas_f64 v[156:157], v[156:157], v[158:159], v[162:163]
	v_div_fixup_f64 v[156:157], v[156:157], v[236:237], v[238:239]
	v_fmac_f64_e32 v[236:237], v[238:239], v[156:157]
	v_div_scale_f64 v[158:159], s[18:19], v[236:237], v[236:237], 1.0
	v_rcp_f64_e32 v[160:161], v[158:159]
	s_nop 0
	v_fma_f64 v[162:163], -v[158:159], v[160:161], 1.0
	v_fmac_f64_e32 v[160:161], v[160:161], v[162:163]
	v_fma_f64 v[162:163], -v[158:159], v[160:161], 1.0
	v_fmac_f64_e32 v[160:161], v[160:161], v[162:163]
	v_div_scale_f64 v[162:163], vcc, 1.0, v[236:237], 1.0
	v_mul_f64 v[216:217], v[162:163], v[160:161]
	v_fma_f64 v[158:159], -v[158:159], v[216:217], v[162:163]
	s_nop 1
	v_div_fmas_f64 v[158:159], v[158:159], v[160:161], v[216:217]
	v_div_fixup_f64 v[236:237], v[158:159], v[236:237], 1.0
	v_mul_f64 v[238:239], v[156:157], -v[236:237]
.LBB116_639:
	s_or_b64 exec, exec, s[16:17]
.LBB116_640:
	s_or_b64 exec, exec, s[0:1]
	v_cmp_ne_u32_e32 vcc, v249, v246
	s_and_saveexec_b64 s[0:1], vcc
	s_xor_b64 s[0:1], exec, s[0:1]
	s_cbranch_execz .LBB116_646
; %bb.641:
	v_cmp_eq_u32_e32 vcc, 30, v249
	s_and_saveexec_b64 s[16:17], vcc
	s_cbranch_execz .LBB116_645
; %bb.642:
	v_cmp_ne_u32_e32 vcc, 30, v246
	s_xor_b64 s[18:19], s[14:15], -1
	s_and_b64 s[22:23], s[18:19], vcc
	s_and_saveexec_b64 s[18:19], s[22:23]
	s_cbranch_execz .LBB116_644
; %bb.643:
	scratch_load_dwordx2 v[8:9], off, off offset:16 ; 8-byte Folded Reload
	v_ashrrev_i32_e32 v247, 31, v246
	s_waitcnt vmcnt(0)
	v_lshl_add_u64 v[156:157], v[246:247], 2, v[8:9]
	global_load_dword v158, v[156:157], off
	global_load_dword v159, v[8:9], off offset:120
	s_waitcnt vmcnt(1)
	global_store_dword v[8:9], v158, off offset:120
	s_waitcnt vmcnt(1)
	global_store_dword v[156:157], v159, off
.LBB116_644:
	s_or_b64 exec, exec, s[18:19]
	v_mov_b32_e32 v249, v246
	v_mov_b32_e32 v218, v246
.LBB116_645:
	s_or_b64 exec, exec, s[16:17]
.LBB116_646:
	s_andn2_saveexec_b64 s[0:1], s[0:1]
	s_cbranch_execz .LBB116_648
; %bb.647:
	v_mov_b32_e32 v249, 30
	ds_write2_b64 v248, v[104:105], v[106:107] offset0:62 offset1:63
	ds_write2_b64 v248, v[100:101], v[102:103] offset0:64 offset1:65
	;; [unrolled: 1-line block ×28, first 2 shown]
.LBB116_648:
	s_or_b64 exec, exec, s[0:1]
	v_cmp_lt_i32_e32 vcc, 30, v249
	s_waitcnt lgkmcnt(0)
	s_barrier
	s_and_saveexec_b64 s[0:1], vcc
	s_cbranch_execz .LBB116_650
; %bb.649:
	v_mul_f64 v[156:157], v[238:239], v[110:111]
	v_mul_f64 v[110:111], v[236:237], v[110:111]
	v_fma_f64 v[246:247], v[236:237], v[108:109], -v[156:157]
	v_fmac_f64_e32 v[110:111], v[238:239], v[108:109]
	ds_read2_b64 v[236:239], v248 offset0:62 offset1:63
	s_waitcnt lgkmcnt(0)
	v_mul_f64 v[108:109], v[238:239], v[110:111]
	v_mul_f64 v[156:157], v[236:237], v[110:111]
	v_fma_f64 v[108:109], v[236:237], v[246:247], -v[108:109]
	v_fmac_f64_e32 v[156:157], v[238:239], v[246:247]
	ds_read2_b64 v[236:239], v248 offset0:64 offset1:65
	v_add_f64 v[104:105], v[104:105], -v[108:109]
	v_add_f64 v[106:107], v[106:107], -v[156:157]
	s_waitcnt lgkmcnt(0)
	v_mul_f64 v[108:109], v[238:239], v[110:111]
	v_mul_f64 v[156:157], v[236:237], v[110:111]
	v_fma_f64 v[108:109], v[236:237], v[246:247], -v[108:109]
	v_fmac_f64_e32 v[156:157], v[238:239], v[246:247]
	ds_read2_b64 v[236:239], v248 offset0:66 offset1:67
	v_add_f64 v[100:101], v[100:101], -v[108:109]
	v_add_f64 v[102:103], v[102:103], -v[156:157]
	;; [unrolled: 8-line block ×27, first 2 shown]
	s_waitcnt lgkmcnt(0)
	v_mul_f64 v[108:109], v[238:239], v[110:111]
	v_mul_f64 v[156:157], v[236:237], v[110:111]
	v_fma_f64 v[108:109], v[236:237], v[246:247], -v[108:109]
	v_fmac_f64_e32 v[156:157], v[238:239], v[246:247]
	v_add_f64 v[232:233], v[232:233], -v[108:109]
	v_add_f64 v[234:235], v[234:235], -v[156:157]
	v_mov_b64_e32 v[108:109], v[246:247]
.LBB116_650:
	s_or_b64 exec, exec, s[0:1]
	v_lshl_add_u32 v156, v249, 4, v248
	s_barrier
	ds_write2_b64 v156, v[104:105], v[106:107] offset1:1
	s_waitcnt lgkmcnt(0)
	s_barrier
	ds_read2_b64 v[236:239], v248 offset0:62 offset1:63
	s_cmp_lt_i32 s20, 33
	v_mov_b32_e32 v246, 31
	s_cbranch_scc1 .LBB116_653
; %bb.651:
	v_add_u32_e32 v247, 0x200, v248
	s_mov_b32 s0, 32
	v_mov_b32_e32 v246, 31
.LBB116_652:                            ; =>This Inner Loop Header: Depth=1
	ds_read2_b64 v[242:245], v247 offset1:1
	s_waitcnt lgkmcnt(1)
	v_cmp_gt_f64_e32 vcc, 0, v[236:237]
	v_xor_b32_e32 v156, 0x80000000, v237
	v_xor_b32_e32 v158, 0x80000000, v239
	v_cndmask_b32_e32 v157, v237, v156, vcc
	v_cmp_gt_f64_e32 vcc, 0, v[238:239]
	v_mov_b32_e32 v156, v236
	s_waitcnt lgkmcnt(0)
	v_xor_b32_e32 v160, 0x80000000, v245
	v_cndmask_b32_e32 v159, v239, v158, vcc
	v_mov_b32_e32 v158, v238
	v_add_f64 v[156:157], v[156:157], v[158:159]
	v_cmp_gt_f64_e32 vcc, 0, v[242:243]
	v_xor_b32_e32 v158, 0x80000000, v243
	v_add_u32_e32 v247, 16, v247
	v_cndmask_b32_e32 v159, v243, v158, vcc
	v_cmp_gt_f64_e32 vcc, 0, v[244:245]
	v_mov_b32_e32 v158, v242
	s_nop 0
	v_cndmask_b32_e32 v161, v245, v160, vcc
	v_mov_b32_e32 v160, v244
	v_add_f64 v[158:159], v[158:159], v[160:161]
	v_cmp_lt_f64_e32 vcc, v[156:157], v[158:159]
	v_mov_b32_e32 v156, s0
	s_add_i32 s0, s0, 1
	v_cndmask_b32_e32 v237, v237, v243, vcc
	v_cndmask_b32_e32 v236, v236, v242, vcc
	;; [unrolled: 1-line block ×5, first 2 shown]
	s_cmp_lg_u32 s20, s0
	s_cbranch_scc1 .LBB116_652
.LBB116_653:
	s_waitcnt lgkmcnt(0)
	v_cmp_eq_f64_e32 vcc, 0, v[236:237]
	v_cmp_eq_f64_e64 s[0:1], 0, v[238:239]
	s_and_b64 s[0:1], vcc, s[0:1]
	s_and_saveexec_b64 s[16:17], s[0:1]
	s_xor_b64 s[0:1], exec, s[16:17]
; %bb.654:
	v_cmp_ne_u32_e32 vcc, 0, v250
	s_nop 1
	v_cndmask_b32_e32 v250, 32, v250, vcc
; %bb.655:
	s_andn2_saveexec_b64 s[0:1], s[0:1]
	s_cbranch_execz .LBB116_661
; %bb.656:
	v_cmp_ngt_f64_e64 s[16:17], |v[236:237]|, |v[238:239]|
	s_and_saveexec_b64 s[18:19], s[16:17]
	s_xor_b64 s[16:17], exec, s[18:19]
	s_cbranch_execz .LBB116_658
; %bb.657:
	v_div_scale_f64 v[156:157], s[18:19], v[238:239], v[238:239], v[236:237]
	v_rcp_f64_e32 v[158:159], v[156:157]
	v_div_scale_f64 v[160:161], vcc, v[236:237], v[238:239], v[236:237]
	v_fma_f64 v[162:163], -v[156:157], v[158:159], 1.0
	v_fmac_f64_e32 v[158:159], v[158:159], v[162:163]
	v_fma_f64 v[162:163], -v[156:157], v[158:159], 1.0
	v_fmac_f64_e32 v[158:159], v[158:159], v[162:163]
	v_mul_f64 v[162:163], v[160:161], v[158:159]
	v_fma_f64 v[156:157], -v[156:157], v[162:163], v[160:161]
	v_div_fmas_f64 v[156:157], v[156:157], v[158:159], v[162:163]
	v_div_fixup_f64 v[156:157], v[156:157], v[238:239], v[236:237]
	v_fmac_f64_e32 v[238:239], v[236:237], v[156:157]
	v_div_scale_f64 v[158:159], s[18:19], v[238:239], v[238:239], 1.0
	v_rcp_f64_e32 v[160:161], v[158:159]
	s_nop 0
	v_fma_f64 v[162:163], -v[158:159], v[160:161], 1.0
	v_fmac_f64_e32 v[160:161], v[160:161], v[162:163]
	v_fma_f64 v[162:163], -v[158:159], v[160:161], 1.0
	v_fmac_f64_e32 v[160:161], v[160:161], v[162:163]
	v_div_scale_f64 v[162:163], vcc, 1.0, v[238:239], 1.0
	v_mul_f64 v[216:217], v[162:163], v[160:161]
	v_fma_f64 v[158:159], -v[158:159], v[216:217], v[162:163]
	s_nop 1
	v_div_fmas_f64 v[158:159], v[158:159], v[160:161], v[216:217]
	v_div_fixup_f64 v[238:239], v[158:159], v[238:239], 1.0
	v_mul_f64 v[236:237], v[156:157], v[238:239]
	v_xor_b32_e32 v239, 0x80000000, v239
.LBB116_658:
	s_andn2_saveexec_b64 s[16:17], s[16:17]
	s_cbranch_execz .LBB116_660
; %bb.659:
	v_div_scale_f64 v[156:157], s[18:19], v[236:237], v[236:237], v[238:239]
	v_rcp_f64_e32 v[158:159], v[156:157]
	v_div_scale_f64 v[160:161], vcc, v[238:239], v[236:237], v[238:239]
	v_fma_f64 v[162:163], -v[156:157], v[158:159], 1.0
	v_fmac_f64_e32 v[158:159], v[158:159], v[162:163]
	v_fma_f64 v[162:163], -v[156:157], v[158:159], 1.0
	v_fmac_f64_e32 v[158:159], v[158:159], v[162:163]
	v_mul_f64 v[162:163], v[160:161], v[158:159]
	v_fma_f64 v[156:157], -v[156:157], v[162:163], v[160:161]
	v_div_fmas_f64 v[156:157], v[156:157], v[158:159], v[162:163]
	v_div_fixup_f64 v[156:157], v[156:157], v[236:237], v[238:239]
	v_fmac_f64_e32 v[236:237], v[238:239], v[156:157]
	v_div_scale_f64 v[158:159], s[18:19], v[236:237], v[236:237], 1.0
	v_rcp_f64_e32 v[160:161], v[158:159]
	s_nop 0
	v_fma_f64 v[162:163], -v[158:159], v[160:161], 1.0
	v_fmac_f64_e32 v[160:161], v[160:161], v[162:163]
	v_fma_f64 v[162:163], -v[158:159], v[160:161], 1.0
	v_fmac_f64_e32 v[160:161], v[160:161], v[162:163]
	v_div_scale_f64 v[162:163], vcc, 1.0, v[236:237], 1.0
	v_mul_f64 v[216:217], v[162:163], v[160:161]
	v_fma_f64 v[158:159], -v[158:159], v[216:217], v[162:163]
	s_nop 1
	v_div_fmas_f64 v[158:159], v[158:159], v[160:161], v[216:217]
	v_div_fixup_f64 v[236:237], v[158:159], v[236:237], 1.0
	v_mul_f64 v[238:239], v[156:157], -v[236:237]
.LBB116_660:
	s_or_b64 exec, exec, s[16:17]
.LBB116_661:
	s_or_b64 exec, exec, s[0:1]
	v_cmp_ne_u32_e32 vcc, v249, v246
	s_and_saveexec_b64 s[0:1], vcc
	s_xor_b64 s[0:1], exec, s[0:1]
	s_cbranch_execz .LBB116_667
; %bb.662:
	v_cmp_eq_u32_e32 vcc, 31, v249
	s_and_saveexec_b64 s[16:17], vcc
	s_cbranch_execz .LBB116_666
; %bb.663:
	v_cmp_ne_u32_e32 vcc, 31, v246
	s_xor_b64 s[18:19], s[14:15], -1
	s_and_b64 s[22:23], s[18:19], vcc
	s_and_saveexec_b64 s[18:19], s[22:23]
	s_cbranch_execz .LBB116_665
; %bb.664:
	scratch_load_dwordx2 v[8:9], off, off offset:16 ; 8-byte Folded Reload
	v_ashrrev_i32_e32 v247, 31, v246
	s_waitcnt vmcnt(0)
	v_lshl_add_u64 v[156:157], v[246:247], 2, v[8:9]
	global_load_dword v158, v[156:157], off
	global_load_dword v159, v[8:9], off offset:124
	s_waitcnt vmcnt(1)
	global_store_dword v[8:9], v158, off offset:124
	s_waitcnt vmcnt(1)
	global_store_dword v[156:157], v159, off
.LBB116_665:
	s_or_b64 exec, exec, s[18:19]
	v_mov_b32_e32 v249, v246
	v_mov_b32_e32 v218, v246
.LBB116_666:
	s_or_b64 exec, exec, s[16:17]
.LBB116_667:
	s_andn2_saveexec_b64 s[0:1], s[0:1]
	s_cbranch_execz .LBB116_669
; %bb.668:
	v_mov_b32_e32 v249, 31
	ds_write2_b64 v248, v[100:101], v[102:103] offset0:64 offset1:65
	ds_write2_b64 v248, v[96:97], v[98:99] offset0:66 offset1:67
	;; [unrolled: 1-line block ×27, first 2 shown]
.LBB116_669:
	s_or_b64 exec, exec, s[0:1]
	v_cmp_lt_i32_e32 vcc, 31, v249
	s_waitcnt lgkmcnt(0)
	s_barrier
	s_and_saveexec_b64 s[0:1], vcc
	s_cbranch_execz .LBB116_671
; %bb.670:
	v_mul_f64 v[156:157], v[238:239], v[106:107]
	v_mul_f64 v[106:107], v[236:237], v[106:107]
	v_fma_f64 v[246:247], v[236:237], v[104:105], -v[156:157]
	v_fmac_f64_e32 v[106:107], v[238:239], v[104:105]
	ds_read2_b64 v[236:239], v248 offset0:64 offset1:65
	s_waitcnt lgkmcnt(0)
	v_mul_f64 v[104:105], v[238:239], v[106:107]
	v_mul_f64 v[156:157], v[236:237], v[106:107]
	v_fma_f64 v[104:105], v[236:237], v[246:247], -v[104:105]
	v_fmac_f64_e32 v[156:157], v[238:239], v[246:247]
	ds_read2_b64 v[236:239], v248 offset0:66 offset1:67
	v_add_f64 v[100:101], v[100:101], -v[104:105]
	v_add_f64 v[102:103], v[102:103], -v[156:157]
	s_waitcnt lgkmcnt(0)
	v_mul_f64 v[104:105], v[238:239], v[106:107]
	v_mul_f64 v[156:157], v[236:237], v[106:107]
	v_fma_f64 v[104:105], v[236:237], v[246:247], -v[104:105]
	v_fmac_f64_e32 v[156:157], v[238:239], v[246:247]
	ds_read2_b64 v[236:239], v248 offset0:68 offset1:69
	v_add_f64 v[96:97], v[96:97], -v[104:105]
	v_add_f64 v[98:99], v[98:99], -v[156:157]
	s_waitcnt lgkmcnt(0)
	v_mul_f64 v[104:105], v[238:239], v[106:107]
	v_mul_f64 v[156:157], v[236:237], v[106:107]
	v_fma_f64 v[104:105], v[236:237], v[246:247], -v[104:105]
	v_fmac_f64_e32 v[156:157], v[238:239], v[246:247]
	ds_read2_b64 v[236:239], v248 offset0:70 offset1:71
	v_add_f64 v[92:93], v[92:93], -v[104:105]
	v_add_f64 v[94:95], v[94:95], -v[156:157]
	s_waitcnt lgkmcnt(0)
	v_mul_f64 v[104:105], v[238:239], v[106:107]
	v_mul_f64 v[156:157], v[236:237], v[106:107]
	v_fma_f64 v[104:105], v[236:237], v[246:247], -v[104:105]
	v_fmac_f64_e32 v[156:157], v[238:239], v[246:247]
	ds_read2_b64 v[236:239], v248 offset0:72 offset1:73
	v_add_f64 v[88:89], v[88:89], -v[104:105]
	v_add_f64 v[90:91], v[90:91], -v[156:157]
	s_waitcnt lgkmcnt(0)
	v_mul_f64 v[104:105], v[238:239], v[106:107]
	v_mul_f64 v[156:157], v[236:237], v[106:107]
	v_fma_f64 v[104:105], v[236:237], v[246:247], -v[104:105]
	v_fmac_f64_e32 v[156:157], v[238:239], v[246:247]
	ds_read2_b64 v[236:239], v248 offset0:74 offset1:75
	v_add_f64 v[84:85], v[84:85], -v[104:105]
	v_add_f64 v[86:87], v[86:87], -v[156:157]
	s_waitcnt lgkmcnt(0)
	v_mul_f64 v[104:105], v[238:239], v[106:107]
	v_mul_f64 v[156:157], v[236:237], v[106:107]
	v_fma_f64 v[104:105], v[236:237], v[246:247], -v[104:105]
	v_fmac_f64_e32 v[156:157], v[238:239], v[246:247]
	ds_read2_b64 v[236:239], v248 offset0:76 offset1:77
	v_add_f64 v[80:81], v[80:81], -v[104:105]
	v_add_f64 v[82:83], v[82:83], -v[156:157]
	s_waitcnt lgkmcnt(0)
	v_mul_f64 v[104:105], v[238:239], v[106:107]
	v_mul_f64 v[156:157], v[236:237], v[106:107]
	v_fma_f64 v[104:105], v[236:237], v[246:247], -v[104:105]
	v_fmac_f64_e32 v[156:157], v[238:239], v[246:247]
	ds_read2_b64 v[236:239], v248 offset0:78 offset1:79
	v_add_f64 v[76:77], v[76:77], -v[104:105]
	v_add_f64 v[78:79], v[78:79], -v[156:157]
	s_waitcnt lgkmcnt(0)
	v_mul_f64 v[104:105], v[238:239], v[106:107]
	v_mul_f64 v[156:157], v[236:237], v[106:107]
	v_fma_f64 v[104:105], v[236:237], v[246:247], -v[104:105]
	v_fmac_f64_e32 v[156:157], v[238:239], v[246:247]
	ds_read2_b64 v[236:239], v248 offset0:80 offset1:81
	v_add_f64 v[72:73], v[72:73], -v[104:105]
	v_add_f64 v[74:75], v[74:75], -v[156:157]
	s_waitcnt lgkmcnt(0)
	v_mul_f64 v[104:105], v[238:239], v[106:107]
	v_mul_f64 v[156:157], v[236:237], v[106:107]
	v_fma_f64 v[104:105], v[236:237], v[246:247], -v[104:105]
	v_fmac_f64_e32 v[156:157], v[238:239], v[246:247]
	ds_read2_b64 v[236:239], v248 offset0:82 offset1:83
	v_add_f64 v[68:69], v[68:69], -v[104:105]
	v_add_f64 v[70:71], v[70:71], -v[156:157]
	s_waitcnt lgkmcnt(0)
	v_mul_f64 v[104:105], v[238:239], v[106:107]
	v_mul_f64 v[156:157], v[236:237], v[106:107]
	v_fma_f64 v[104:105], v[236:237], v[246:247], -v[104:105]
	v_fmac_f64_e32 v[156:157], v[238:239], v[246:247]
	ds_read2_b64 v[236:239], v248 offset0:84 offset1:85
	v_add_f64 v[64:65], v[64:65], -v[104:105]
	v_add_f64 v[66:67], v[66:67], -v[156:157]
	s_waitcnt lgkmcnt(0)
	v_mul_f64 v[104:105], v[238:239], v[106:107]
	v_mul_f64 v[156:157], v[236:237], v[106:107]
	v_fma_f64 v[104:105], v[236:237], v[246:247], -v[104:105]
	v_fmac_f64_e32 v[156:157], v[238:239], v[246:247]
	ds_read2_b64 v[236:239], v248 offset0:86 offset1:87
	v_add_f64 v[60:61], v[60:61], -v[104:105]
	v_add_f64 v[62:63], v[62:63], -v[156:157]
	s_waitcnt lgkmcnt(0)
	v_mul_f64 v[104:105], v[238:239], v[106:107]
	v_mul_f64 v[156:157], v[236:237], v[106:107]
	v_fma_f64 v[104:105], v[236:237], v[246:247], -v[104:105]
	v_fmac_f64_e32 v[156:157], v[238:239], v[246:247]
	ds_read2_b64 v[236:239], v248 offset0:88 offset1:89
	v_add_f64 v[56:57], v[56:57], -v[104:105]
	v_add_f64 v[58:59], v[58:59], -v[156:157]
	s_waitcnt lgkmcnt(0)
	v_mul_f64 v[104:105], v[238:239], v[106:107]
	v_mul_f64 v[156:157], v[236:237], v[106:107]
	v_fma_f64 v[104:105], v[236:237], v[246:247], -v[104:105]
	v_fmac_f64_e32 v[156:157], v[238:239], v[246:247]
	ds_read2_b64 v[236:239], v248 offset0:90 offset1:91
	v_add_f64 v[52:53], v[52:53], -v[104:105]
	v_add_f64 v[54:55], v[54:55], -v[156:157]
	s_waitcnt lgkmcnt(0)
	v_mul_f64 v[104:105], v[238:239], v[106:107]
	v_mul_f64 v[156:157], v[236:237], v[106:107]
	v_fma_f64 v[104:105], v[236:237], v[246:247], -v[104:105]
	v_fmac_f64_e32 v[156:157], v[238:239], v[246:247]
	ds_read2_b64 v[236:239], v248 offset0:92 offset1:93
	v_add_f64 v[48:49], v[48:49], -v[104:105]
	v_add_f64 v[50:51], v[50:51], -v[156:157]
	s_waitcnt lgkmcnt(0)
	v_mul_f64 v[104:105], v[238:239], v[106:107]
	v_mul_f64 v[156:157], v[236:237], v[106:107]
	v_fma_f64 v[104:105], v[236:237], v[246:247], -v[104:105]
	v_fmac_f64_e32 v[156:157], v[238:239], v[246:247]
	ds_read2_b64 v[236:239], v248 offset0:94 offset1:95
	v_add_f64 v[44:45], v[44:45], -v[104:105]
	v_add_f64 v[46:47], v[46:47], -v[156:157]
	s_waitcnt lgkmcnt(0)
	v_mul_f64 v[104:105], v[238:239], v[106:107]
	v_mul_f64 v[156:157], v[236:237], v[106:107]
	v_fma_f64 v[104:105], v[236:237], v[246:247], -v[104:105]
	v_fmac_f64_e32 v[156:157], v[238:239], v[246:247]
	ds_read2_b64 v[236:239], v248 offset0:96 offset1:97
	v_add_f64 v[40:41], v[40:41], -v[104:105]
	v_add_f64 v[42:43], v[42:43], -v[156:157]
	s_waitcnt lgkmcnt(0)
	v_mul_f64 v[104:105], v[238:239], v[106:107]
	v_mul_f64 v[156:157], v[236:237], v[106:107]
	v_fma_f64 v[104:105], v[236:237], v[246:247], -v[104:105]
	v_fmac_f64_e32 v[156:157], v[238:239], v[246:247]
	ds_read2_b64 v[236:239], v248 offset0:98 offset1:99
	v_add_f64 v[36:37], v[36:37], -v[104:105]
	v_add_f64 v[38:39], v[38:39], -v[156:157]
	s_waitcnt lgkmcnt(0)
	v_mul_f64 v[104:105], v[238:239], v[106:107]
	v_mul_f64 v[156:157], v[236:237], v[106:107]
	v_fma_f64 v[104:105], v[236:237], v[246:247], -v[104:105]
	v_fmac_f64_e32 v[156:157], v[238:239], v[246:247]
	ds_read2_b64 v[236:239], v248 offset0:100 offset1:101
	v_add_f64 v[32:33], v[32:33], -v[104:105]
	v_add_f64 v[34:35], v[34:35], -v[156:157]
	s_waitcnt lgkmcnt(0)
	v_mul_f64 v[104:105], v[238:239], v[106:107]
	v_mul_f64 v[156:157], v[236:237], v[106:107]
	v_fma_f64 v[104:105], v[236:237], v[246:247], -v[104:105]
	v_fmac_f64_e32 v[156:157], v[238:239], v[246:247]
	ds_read2_b64 v[236:239], v248 offset0:102 offset1:103
	v_add_f64 v[28:29], v[28:29], -v[104:105]
	v_add_f64 v[30:31], v[30:31], -v[156:157]
	s_waitcnt lgkmcnt(0)
	v_mul_f64 v[104:105], v[238:239], v[106:107]
	v_mul_f64 v[156:157], v[236:237], v[106:107]
	v_fma_f64 v[104:105], v[236:237], v[246:247], -v[104:105]
	v_fmac_f64_e32 v[156:157], v[238:239], v[246:247]
	ds_read2_b64 v[236:239], v248 offset0:104 offset1:105
	v_add_f64 v[24:25], v[24:25], -v[104:105]
	v_add_f64 v[26:27], v[26:27], -v[156:157]
	s_waitcnt lgkmcnt(0)
	v_mul_f64 v[104:105], v[238:239], v[106:107]
	v_mul_f64 v[156:157], v[236:237], v[106:107]
	v_fma_f64 v[104:105], v[236:237], v[246:247], -v[104:105]
	v_fmac_f64_e32 v[156:157], v[238:239], v[246:247]
	ds_read2_b64 v[236:239], v248 offset0:106 offset1:107
	v_add_f64 v[20:21], v[20:21], -v[104:105]
	v_add_f64 v[22:23], v[22:23], -v[156:157]
	s_waitcnt lgkmcnt(0)
	v_mul_f64 v[104:105], v[238:239], v[106:107]
	v_mul_f64 v[156:157], v[236:237], v[106:107]
	v_fma_f64 v[104:105], v[236:237], v[246:247], -v[104:105]
	v_fmac_f64_e32 v[156:157], v[238:239], v[246:247]
	ds_read2_b64 v[236:239], v248 offset0:108 offset1:109
	v_add_f64 v[16:17], v[16:17], -v[104:105]
	v_add_f64 v[18:19], v[18:19], -v[156:157]
	s_waitcnt lgkmcnt(0)
	v_mul_f64 v[104:105], v[238:239], v[106:107]
	v_mul_f64 v[156:157], v[236:237], v[106:107]
	v_fma_f64 v[104:105], v[236:237], v[246:247], -v[104:105]
	v_fmac_f64_e32 v[156:157], v[238:239], v[246:247]
	ds_read2_b64 v[236:239], v248 offset0:110 offset1:111
	v_add_f64 v[12:13], v[12:13], -v[104:105]
	v_add_f64 v[14:15], v[14:15], -v[156:157]
	s_waitcnt lgkmcnt(0)
	v_mul_f64 v[104:105], v[238:239], v[106:107]
	v_mul_f64 v[156:157], v[236:237], v[106:107]
	v_fma_f64 v[104:105], v[236:237], v[246:247], -v[104:105]
	v_fmac_f64_e32 v[156:157], v[238:239], v[246:247]
	ds_read2_b64 v[236:239], v248 offset0:112 offset1:113
	v_add_f64 v[252:253], v[252:253], -v[104:105]
	v_add_f64 v[254:255], v[254:255], -v[156:157]
	s_waitcnt lgkmcnt(0)
	v_mul_f64 v[104:105], v[238:239], v[106:107]
	v_mul_f64 v[156:157], v[236:237], v[106:107]
	v_fma_f64 v[104:105], v[236:237], v[246:247], -v[104:105]
	v_fmac_f64_e32 v[156:157], v[238:239], v[246:247]
	ds_read2_b64 v[236:239], v248 offset0:114 offset1:115
	v_add_f64 v[224:225], v[224:225], -v[104:105]
	v_add_f64 v[226:227], v[226:227], -v[156:157]
	s_waitcnt lgkmcnt(0)
	v_mul_f64 v[104:105], v[238:239], v[106:107]
	v_mul_f64 v[156:157], v[236:237], v[106:107]
	v_fma_f64 v[104:105], v[236:237], v[246:247], -v[104:105]
	v_fmac_f64_e32 v[156:157], v[238:239], v[246:247]
	ds_read2_b64 v[236:239], v248 offset0:116 offset1:117
	v_add_f64 v[220:221], v[220:221], -v[104:105]
	v_add_f64 v[222:223], v[222:223], -v[156:157]
	s_waitcnt lgkmcnt(0)
	v_mul_f64 v[104:105], v[238:239], v[106:107]
	v_mul_f64 v[156:157], v[236:237], v[106:107]
	v_fma_f64 v[104:105], v[236:237], v[246:247], -v[104:105]
	v_fmac_f64_e32 v[156:157], v[238:239], v[246:247]
	v_add_f64 v[232:233], v[232:233], -v[104:105]
	v_add_f64 v[234:235], v[234:235], -v[156:157]
	v_mov_b64_e32 v[104:105], v[246:247]
.LBB116_671:
	s_or_b64 exec, exec, s[0:1]
	v_lshl_add_u32 v156, v249, 4, v248
	s_barrier
	ds_write2_b64 v156, v[100:101], v[102:103] offset1:1
	s_waitcnt lgkmcnt(0)
	s_barrier
	ds_read2_b64 v[236:239], v248 offset0:64 offset1:65
	s_cmp_lt_i32 s20, 34
	v_mov_b32_e32 v246, 32
	s_cbranch_scc1 .LBB116_674
; %bb.672:
	v_add_u32_e32 v247, 0x210, v248
	s_mov_b32 s0, 33
	v_mov_b32_e32 v246, 32
.LBB116_673:                            ; =>This Inner Loop Header: Depth=1
	ds_read2_b64 v[242:245], v247 offset1:1
	s_waitcnt lgkmcnt(1)
	v_cmp_gt_f64_e32 vcc, 0, v[236:237]
	v_xor_b32_e32 v156, 0x80000000, v237
	v_xor_b32_e32 v158, 0x80000000, v239
	v_cndmask_b32_e32 v157, v237, v156, vcc
	v_cmp_gt_f64_e32 vcc, 0, v[238:239]
	v_mov_b32_e32 v156, v236
	s_waitcnt lgkmcnt(0)
	v_xor_b32_e32 v160, 0x80000000, v245
	v_cndmask_b32_e32 v159, v239, v158, vcc
	v_mov_b32_e32 v158, v238
	v_add_f64 v[156:157], v[156:157], v[158:159]
	v_cmp_gt_f64_e32 vcc, 0, v[242:243]
	v_xor_b32_e32 v158, 0x80000000, v243
	v_add_u32_e32 v247, 16, v247
	v_cndmask_b32_e32 v159, v243, v158, vcc
	v_cmp_gt_f64_e32 vcc, 0, v[244:245]
	v_mov_b32_e32 v158, v242
	s_nop 0
	v_cndmask_b32_e32 v161, v245, v160, vcc
	v_mov_b32_e32 v160, v244
	v_add_f64 v[158:159], v[158:159], v[160:161]
	v_cmp_lt_f64_e32 vcc, v[156:157], v[158:159]
	v_mov_b32_e32 v156, s0
	s_add_i32 s0, s0, 1
	v_cndmask_b32_e32 v237, v237, v243, vcc
	v_cndmask_b32_e32 v236, v236, v242, vcc
	v_cndmask_b32_e32 v239, v239, v245, vcc
	v_cndmask_b32_e32 v238, v238, v244, vcc
	v_cndmask_b32_e32 v246, v246, v156, vcc
	s_cmp_lg_u32 s20, s0
	s_cbranch_scc1 .LBB116_673
.LBB116_674:
	s_waitcnt lgkmcnt(0)
	v_cmp_eq_f64_e32 vcc, 0, v[236:237]
	v_cmp_eq_f64_e64 s[0:1], 0, v[238:239]
	s_and_b64 s[0:1], vcc, s[0:1]
	s_and_saveexec_b64 s[16:17], s[0:1]
	s_xor_b64 s[0:1], exec, s[16:17]
; %bb.675:
	v_cmp_ne_u32_e32 vcc, 0, v250
	s_nop 1
	v_cndmask_b32_e32 v250, 33, v250, vcc
; %bb.676:
	s_andn2_saveexec_b64 s[0:1], s[0:1]
	s_cbranch_execz .LBB116_682
; %bb.677:
	v_cmp_ngt_f64_e64 s[16:17], |v[236:237]|, |v[238:239]|
	s_and_saveexec_b64 s[18:19], s[16:17]
	s_xor_b64 s[16:17], exec, s[18:19]
	s_cbranch_execz .LBB116_679
; %bb.678:
	v_div_scale_f64 v[156:157], s[18:19], v[238:239], v[238:239], v[236:237]
	v_rcp_f64_e32 v[158:159], v[156:157]
	v_div_scale_f64 v[160:161], vcc, v[236:237], v[238:239], v[236:237]
	v_fma_f64 v[162:163], -v[156:157], v[158:159], 1.0
	v_fmac_f64_e32 v[158:159], v[158:159], v[162:163]
	v_fma_f64 v[162:163], -v[156:157], v[158:159], 1.0
	v_fmac_f64_e32 v[158:159], v[158:159], v[162:163]
	v_mul_f64 v[162:163], v[160:161], v[158:159]
	v_fma_f64 v[156:157], -v[156:157], v[162:163], v[160:161]
	v_div_fmas_f64 v[156:157], v[156:157], v[158:159], v[162:163]
	v_div_fixup_f64 v[156:157], v[156:157], v[238:239], v[236:237]
	v_fmac_f64_e32 v[238:239], v[236:237], v[156:157]
	v_div_scale_f64 v[158:159], s[18:19], v[238:239], v[238:239], 1.0
	v_rcp_f64_e32 v[160:161], v[158:159]
	s_nop 0
	v_fma_f64 v[162:163], -v[158:159], v[160:161], 1.0
	v_fmac_f64_e32 v[160:161], v[160:161], v[162:163]
	v_fma_f64 v[162:163], -v[158:159], v[160:161], 1.0
	v_fmac_f64_e32 v[160:161], v[160:161], v[162:163]
	v_div_scale_f64 v[162:163], vcc, 1.0, v[238:239], 1.0
	v_mul_f64 v[216:217], v[162:163], v[160:161]
	v_fma_f64 v[158:159], -v[158:159], v[216:217], v[162:163]
	s_nop 1
	v_div_fmas_f64 v[158:159], v[158:159], v[160:161], v[216:217]
	v_div_fixup_f64 v[238:239], v[158:159], v[238:239], 1.0
	v_mul_f64 v[236:237], v[156:157], v[238:239]
	v_xor_b32_e32 v239, 0x80000000, v239
.LBB116_679:
	s_andn2_saveexec_b64 s[16:17], s[16:17]
	s_cbranch_execz .LBB116_681
; %bb.680:
	v_div_scale_f64 v[156:157], s[18:19], v[236:237], v[236:237], v[238:239]
	v_rcp_f64_e32 v[158:159], v[156:157]
	v_div_scale_f64 v[160:161], vcc, v[238:239], v[236:237], v[238:239]
	v_fma_f64 v[162:163], -v[156:157], v[158:159], 1.0
	v_fmac_f64_e32 v[158:159], v[158:159], v[162:163]
	v_fma_f64 v[162:163], -v[156:157], v[158:159], 1.0
	v_fmac_f64_e32 v[158:159], v[158:159], v[162:163]
	v_mul_f64 v[162:163], v[160:161], v[158:159]
	v_fma_f64 v[156:157], -v[156:157], v[162:163], v[160:161]
	v_div_fmas_f64 v[156:157], v[156:157], v[158:159], v[162:163]
	v_div_fixup_f64 v[156:157], v[156:157], v[236:237], v[238:239]
	v_fmac_f64_e32 v[236:237], v[238:239], v[156:157]
	v_div_scale_f64 v[158:159], s[18:19], v[236:237], v[236:237], 1.0
	v_rcp_f64_e32 v[160:161], v[158:159]
	s_nop 0
	v_fma_f64 v[162:163], -v[158:159], v[160:161], 1.0
	v_fmac_f64_e32 v[160:161], v[160:161], v[162:163]
	v_fma_f64 v[162:163], -v[158:159], v[160:161], 1.0
	v_fmac_f64_e32 v[160:161], v[160:161], v[162:163]
	v_div_scale_f64 v[162:163], vcc, 1.0, v[236:237], 1.0
	v_mul_f64 v[216:217], v[162:163], v[160:161]
	v_fma_f64 v[158:159], -v[158:159], v[216:217], v[162:163]
	s_nop 1
	v_div_fmas_f64 v[158:159], v[158:159], v[160:161], v[216:217]
	v_div_fixup_f64 v[236:237], v[158:159], v[236:237], 1.0
	v_mul_f64 v[238:239], v[156:157], -v[236:237]
.LBB116_681:
	s_or_b64 exec, exec, s[16:17]
.LBB116_682:
	s_or_b64 exec, exec, s[0:1]
	v_cmp_ne_u32_e32 vcc, v249, v246
	s_and_saveexec_b64 s[0:1], vcc
	s_xor_b64 s[0:1], exec, s[0:1]
	s_cbranch_execz .LBB116_688
; %bb.683:
	v_cmp_eq_u32_e32 vcc, 32, v249
	s_and_saveexec_b64 s[16:17], vcc
	s_cbranch_execz .LBB116_687
; %bb.684:
	v_cmp_ne_u32_e32 vcc, 32, v246
	s_xor_b64 s[18:19], s[14:15], -1
	s_and_b64 s[22:23], s[18:19], vcc
	s_and_saveexec_b64 s[18:19], s[22:23]
	s_cbranch_execz .LBB116_686
; %bb.685:
	scratch_load_dwordx2 v[8:9], off, off offset:16 ; 8-byte Folded Reload
	v_ashrrev_i32_e32 v247, 31, v246
	s_waitcnt vmcnt(0)
	v_lshl_add_u64 v[156:157], v[246:247], 2, v[8:9]
	global_load_dword v158, v[156:157], off
	global_load_dword v159, v[8:9], off offset:128
	s_waitcnt vmcnt(1)
	global_store_dword v[8:9], v158, off offset:128
	s_waitcnt vmcnt(1)
	global_store_dword v[156:157], v159, off
.LBB116_686:
	s_or_b64 exec, exec, s[18:19]
	v_mov_b32_e32 v249, v246
	v_mov_b32_e32 v218, v246
.LBB116_687:
	s_or_b64 exec, exec, s[16:17]
.LBB116_688:
	s_andn2_saveexec_b64 s[0:1], s[0:1]
	s_cbranch_execz .LBB116_690
; %bb.689:
	v_mov_b32_e32 v249, 32
	ds_write2_b64 v248, v[96:97], v[98:99] offset0:66 offset1:67
	ds_write2_b64 v248, v[92:93], v[94:95] offset0:68 offset1:69
	;; [unrolled: 1-line block ×26, first 2 shown]
.LBB116_690:
	s_or_b64 exec, exec, s[0:1]
	v_cmp_lt_i32_e32 vcc, 32, v249
	s_waitcnt lgkmcnt(0)
	s_barrier
	s_and_saveexec_b64 s[0:1], vcc
	s_cbranch_execz .LBB116_692
; %bb.691:
	v_mul_f64 v[156:157], v[238:239], v[102:103]
	v_mul_f64 v[102:103], v[236:237], v[102:103]
	v_fma_f64 v[246:247], v[236:237], v[100:101], -v[156:157]
	v_fmac_f64_e32 v[102:103], v[238:239], v[100:101]
	ds_read2_b64 v[236:239], v248 offset0:66 offset1:67
	s_waitcnt lgkmcnt(0)
	v_mul_f64 v[100:101], v[238:239], v[102:103]
	v_mul_f64 v[156:157], v[236:237], v[102:103]
	v_fma_f64 v[100:101], v[236:237], v[246:247], -v[100:101]
	v_fmac_f64_e32 v[156:157], v[238:239], v[246:247]
	ds_read2_b64 v[236:239], v248 offset0:68 offset1:69
	v_add_f64 v[96:97], v[96:97], -v[100:101]
	v_add_f64 v[98:99], v[98:99], -v[156:157]
	s_waitcnt lgkmcnt(0)
	v_mul_f64 v[100:101], v[238:239], v[102:103]
	v_mul_f64 v[156:157], v[236:237], v[102:103]
	v_fma_f64 v[100:101], v[236:237], v[246:247], -v[100:101]
	v_fmac_f64_e32 v[156:157], v[238:239], v[246:247]
	ds_read2_b64 v[236:239], v248 offset0:70 offset1:71
	v_add_f64 v[92:93], v[92:93], -v[100:101]
	v_add_f64 v[94:95], v[94:95], -v[156:157]
	;; [unrolled: 8-line block ×25, first 2 shown]
	s_waitcnt lgkmcnt(0)
	v_mul_f64 v[100:101], v[238:239], v[102:103]
	v_mul_f64 v[156:157], v[236:237], v[102:103]
	v_fma_f64 v[100:101], v[236:237], v[246:247], -v[100:101]
	v_fmac_f64_e32 v[156:157], v[238:239], v[246:247]
	v_add_f64 v[232:233], v[232:233], -v[100:101]
	v_add_f64 v[234:235], v[234:235], -v[156:157]
	v_mov_b64_e32 v[100:101], v[246:247]
.LBB116_692:
	s_or_b64 exec, exec, s[0:1]
	v_lshl_add_u32 v156, v249, 4, v248
	s_barrier
	ds_write2_b64 v156, v[96:97], v[98:99] offset1:1
	s_waitcnt lgkmcnt(0)
	s_barrier
	ds_read2_b64 v[236:239], v248 offset0:66 offset1:67
	s_cmp_lt_i32 s20, 35
	v_mov_b32_e32 v246, 33
	s_cbranch_scc1 .LBB116_695
; %bb.693:
	v_add_u32_e32 v247, 0x220, v248
	s_mov_b32 s0, 34
	v_mov_b32_e32 v246, 33
.LBB116_694:                            ; =>This Inner Loop Header: Depth=1
	ds_read2_b64 v[242:245], v247 offset1:1
	s_waitcnt lgkmcnt(1)
	v_cmp_gt_f64_e32 vcc, 0, v[236:237]
	v_xor_b32_e32 v156, 0x80000000, v237
	v_xor_b32_e32 v158, 0x80000000, v239
	v_cndmask_b32_e32 v157, v237, v156, vcc
	v_cmp_gt_f64_e32 vcc, 0, v[238:239]
	v_mov_b32_e32 v156, v236
	s_waitcnt lgkmcnt(0)
	v_xor_b32_e32 v160, 0x80000000, v245
	v_cndmask_b32_e32 v159, v239, v158, vcc
	v_mov_b32_e32 v158, v238
	v_add_f64 v[156:157], v[156:157], v[158:159]
	v_cmp_gt_f64_e32 vcc, 0, v[242:243]
	v_xor_b32_e32 v158, 0x80000000, v243
	v_add_u32_e32 v247, 16, v247
	v_cndmask_b32_e32 v159, v243, v158, vcc
	v_cmp_gt_f64_e32 vcc, 0, v[244:245]
	v_mov_b32_e32 v158, v242
	s_nop 0
	v_cndmask_b32_e32 v161, v245, v160, vcc
	v_mov_b32_e32 v160, v244
	v_add_f64 v[158:159], v[158:159], v[160:161]
	v_cmp_lt_f64_e32 vcc, v[156:157], v[158:159]
	v_mov_b32_e32 v156, s0
	s_add_i32 s0, s0, 1
	v_cndmask_b32_e32 v237, v237, v243, vcc
	v_cndmask_b32_e32 v236, v236, v242, vcc
	;; [unrolled: 1-line block ×5, first 2 shown]
	s_cmp_lg_u32 s20, s0
	s_cbranch_scc1 .LBB116_694
.LBB116_695:
	s_waitcnt lgkmcnt(0)
	v_cmp_eq_f64_e32 vcc, 0, v[236:237]
	v_cmp_eq_f64_e64 s[0:1], 0, v[238:239]
	s_and_b64 s[0:1], vcc, s[0:1]
	s_and_saveexec_b64 s[16:17], s[0:1]
	s_xor_b64 s[0:1], exec, s[16:17]
; %bb.696:
	v_cmp_ne_u32_e32 vcc, 0, v250
	s_nop 1
	v_cndmask_b32_e32 v250, 34, v250, vcc
; %bb.697:
	s_andn2_saveexec_b64 s[0:1], s[0:1]
	s_cbranch_execz .LBB116_703
; %bb.698:
	v_cmp_ngt_f64_e64 s[16:17], |v[236:237]|, |v[238:239]|
	s_and_saveexec_b64 s[18:19], s[16:17]
	s_xor_b64 s[16:17], exec, s[18:19]
	s_cbranch_execz .LBB116_700
; %bb.699:
	v_div_scale_f64 v[156:157], s[18:19], v[238:239], v[238:239], v[236:237]
	v_rcp_f64_e32 v[158:159], v[156:157]
	v_div_scale_f64 v[160:161], vcc, v[236:237], v[238:239], v[236:237]
	v_fma_f64 v[162:163], -v[156:157], v[158:159], 1.0
	v_fmac_f64_e32 v[158:159], v[158:159], v[162:163]
	v_fma_f64 v[162:163], -v[156:157], v[158:159], 1.0
	v_fmac_f64_e32 v[158:159], v[158:159], v[162:163]
	v_mul_f64 v[162:163], v[160:161], v[158:159]
	v_fma_f64 v[156:157], -v[156:157], v[162:163], v[160:161]
	v_div_fmas_f64 v[156:157], v[156:157], v[158:159], v[162:163]
	v_div_fixup_f64 v[156:157], v[156:157], v[238:239], v[236:237]
	v_fmac_f64_e32 v[238:239], v[236:237], v[156:157]
	v_div_scale_f64 v[158:159], s[18:19], v[238:239], v[238:239], 1.0
	v_rcp_f64_e32 v[160:161], v[158:159]
	s_nop 0
	v_fma_f64 v[162:163], -v[158:159], v[160:161], 1.0
	v_fmac_f64_e32 v[160:161], v[160:161], v[162:163]
	v_fma_f64 v[162:163], -v[158:159], v[160:161], 1.0
	v_fmac_f64_e32 v[160:161], v[160:161], v[162:163]
	v_div_scale_f64 v[162:163], vcc, 1.0, v[238:239], 1.0
	v_mul_f64 v[216:217], v[162:163], v[160:161]
	v_fma_f64 v[158:159], -v[158:159], v[216:217], v[162:163]
	s_nop 1
	v_div_fmas_f64 v[158:159], v[158:159], v[160:161], v[216:217]
	v_div_fixup_f64 v[238:239], v[158:159], v[238:239], 1.0
	v_mul_f64 v[236:237], v[156:157], v[238:239]
	v_xor_b32_e32 v239, 0x80000000, v239
.LBB116_700:
	s_andn2_saveexec_b64 s[16:17], s[16:17]
	s_cbranch_execz .LBB116_702
; %bb.701:
	v_div_scale_f64 v[156:157], s[18:19], v[236:237], v[236:237], v[238:239]
	v_rcp_f64_e32 v[158:159], v[156:157]
	v_div_scale_f64 v[160:161], vcc, v[238:239], v[236:237], v[238:239]
	v_fma_f64 v[162:163], -v[156:157], v[158:159], 1.0
	v_fmac_f64_e32 v[158:159], v[158:159], v[162:163]
	v_fma_f64 v[162:163], -v[156:157], v[158:159], 1.0
	v_fmac_f64_e32 v[158:159], v[158:159], v[162:163]
	v_mul_f64 v[162:163], v[160:161], v[158:159]
	v_fma_f64 v[156:157], -v[156:157], v[162:163], v[160:161]
	v_div_fmas_f64 v[156:157], v[156:157], v[158:159], v[162:163]
	v_div_fixup_f64 v[156:157], v[156:157], v[236:237], v[238:239]
	v_fmac_f64_e32 v[236:237], v[238:239], v[156:157]
	v_div_scale_f64 v[158:159], s[18:19], v[236:237], v[236:237], 1.0
	v_rcp_f64_e32 v[160:161], v[158:159]
	s_nop 0
	v_fma_f64 v[162:163], -v[158:159], v[160:161], 1.0
	v_fmac_f64_e32 v[160:161], v[160:161], v[162:163]
	v_fma_f64 v[162:163], -v[158:159], v[160:161], 1.0
	v_fmac_f64_e32 v[160:161], v[160:161], v[162:163]
	v_div_scale_f64 v[162:163], vcc, 1.0, v[236:237], 1.0
	v_mul_f64 v[216:217], v[162:163], v[160:161]
	v_fma_f64 v[158:159], -v[158:159], v[216:217], v[162:163]
	s_nop 1
	v_div_fmas_f64 v[158:159], v[158:159], v[160:161], v[216:217]
	v_div_fixup_f64 v[236:237], v[158:159], v[236:237], 1.0
	v_mul_f64 v[238:239], v[156:157], -v[236:237]
.LBB116_702:
	s_or_b64 exec, exec, s[16:17]
.LBB116_703:
	s_or_b64 exec, exec, s[0:1]
	v_cmp_ne_u32_e32 vcc, v249, v246
	s_and_saveexec_b64 s[0:1], vcc
	s_xor_b64 s[0:1], exec, s[0:1]
	s_cbranch_execz .LBB116_709
; %bb.704:
	v_cmp_eq_u32_e32 vcc, 33, v249
	s_and_saveexec_b64 s[16:17], vcc
	s_cbranch_execz .LBB116_708
; %bb.705:
	v_cmp_ne_u32_e32 vcc, 33, v246
	s_xor_b64 s[18:19], s[14:15], -1
	s_and_b64 s[22:23], s[18:19], vcc
	s_and_saveexec_b64 s[18:19], s[22:23]
	s_cbranch_execz .LBB116_707
; %bb.706:
	scratch_load_dwordx2 v[8:9], off, off offset:16 ; 8-byte Folded Reload
	v_ashrrev_i32_e32 v247, 31, v246
	s_waitcnt vmcnt(0)
	v_lshl_add_u64 v[156:157], v[246:247], 2, v[8:9]
	global_load_dword v158, v[156:157], off
	global_load_dword v159, v[8:9], off offset:132
	s_waitcnt vmcnt(1)
	global_store_dword v[8:9], v158, off offset:132
	s_waitcnt vmcnt(1)
	global_store_dword v[156:157], v159, off
.LBB116_707:
	s_or_b64 exec, exec, s[18:19]
	v_mov_b32_e32 v249, v246
	v_mov_b32_e32 v218, v246
.LBB116_708:
	s_or_b64 exec, exec, s[16:17]
.LBB116_709:
	s_andn2_saveexec_b64 s[0:1], s[0:1]
	s_cbranch_execz .LBB116_711
; %bb.710:
	v_mov_b32_e32 v249, 33
	ds_write2_b64 v248, v[92:93], v[94:95] offset0:68 offset1:69
	ds_write2_b64 v248, v[88:89], v[90:91] offset0:70 offset1:71
	;; [unrolled: 1-line block ×25, first 2 shown]
.LBB116_711:
	s_or_b64 exec, exec, s[0:1]
	v_cmp_lt_i32_e32 vcc, 33, v249
	s_waitcnt lgkmcnt(0)
	s_barrier
	s_and_saveexec_b64 s[0:1], vcc
	s_cbranch_execz .LBB116_713
; %bb.712:
	v_mul_f64 v[156:157], v[238:239], v[98:99]
	v_mul_f64 v[98:99], v[236:237], v[98:99]
	v_fma_f64 v[246:247], v[236:237], v[96:97], -v[156:157]
	v_fmac_f64_e32 v[98:99], v[238:239], v[96:97]
	ds_read2_b64 v[236:239], v248 offset0:68 offset1:69
	s_waitcnt lgkmcnt(0)
	v_mul_f64 v[96:97], v[238:239], v[98:99]
	v_mul_f64 v[156:157], v[236:237], v[98:99]
	v_fma_f64 v[96:97], v[236:237], v[246:247], -v[96:97]
	v_fmac_f64_e32 v[156:157], v[238:239], v[246:247]
	ds_read2_b64 v[236:239], v248 offset0:70 offset1:71
	v_add_f64 v[92:93], v[92:93], -v[96:97]
	v_add_f64 v[94:95], v[94:95], -v[156:157]
	s_waitcnt lgkmcnt(0)
	v_mul_f64 v[96:97], v[238:239], v[98:99]
	v_mul_f64 v[156:157], v[236:237], v[98:99]
	v_fma_f64 v[96:97], v[236:237], v[246:247], -v[96:97]
	v_fmac_f64_e32 v[156:157], v[238:239], v[246:247]
	ds_read2_b64 v[236:239], v248 offset0:72 offset1:73
	v_add_f64 v[88:89], v[88:89], -v[96:97]
	v_add_f64 v[90:91], v[90:91], -v[156:157]
	;; [unrolled: 8-line block ×24, first 2 shown]
	s_waitcnt lgkmcnt(0)
	v_mul_f64 v[96:97], v[238:239], v[98:99]
	v_mul_f64 v[156:157], v[236:237], v[98:99]
	v_fma_f64 v[96:97], v[236:237], v[246:247], -v[96:97]
	v_fmac_f64_e32 v[156:157], v[238:239], v[246:247]
	v_add_f64 v[232:233], v[232:233], -v[96:97]
	v_add_f64 v[234:235], v[234:235], -v[156:157]
	v_mov_b64_e32 v[96:97], v[246:247]
.LBB116_713:
	s_or_b64 exec, exec, s[0:1]
	v_lshl_add_u32 v156, v249, 4, v248
	s_barrier
	ds_write2_b64 v156, v[92:93], v[94:95] offset1:1
	s_waitcnt lgkmcnt(0)
	s_barrier
	ds_read2_b64 v[236:239], v248 offset0:68 offset1:69
	s_cmp_lt_i32 s20, 36
	v_mov_b32_e32 v246, 34
	s_cbranch_scc1 .LBB116_716
; %bb.714:
	v_add_u32_e32 v247, 0x230, v248
	s_mov_b32 s0, 35
	v_mov_b32_e32 v246, 34
.LBB116_715:                            ; =>This Inner Loop Header: Depth=1
	ds_read2_b64 v[242:245], v247 offset1:1
	s_waitcnt lgkmcnt(1)
	v_cmp_gt_f64_e32 vcc, 0, v[236:237]
	v_xor_b32_e32 v156, 0x80000000, v237
	v_xor_b32_e32 v158, 0x80000000, v239
	v_cndmask_b32_e32 v157, v237, v156, vcc
	v_cmp_gt_f64_e32 vcc, 0, v[238:239]
	v_mov_b32_e32 v156, v236
	s_waitcnt lgkmcnt(0)
	v_xor_b32_e32 v160, 0x80000000, v245
	v_cndmask_b32_e32 v159, v239, v158, vcc
	v_mov_b32_e32 v158, v238
	v_add_f64 v[156:157], v[156:157], v[158:159]
	v_cmp_gt_f64_e32 vcc, 0, v[242:243]
	v_xor_b32_e32 v158, 0x80000000, v243
	v_add_u32_e32 v247, 16, v247
	v_cndmask_b32_e32 v159, v243, v158, vcc
	v_cmp_gt_f64_e32 vcc, 0, v[244:245]
	v_mov_b32_e32 v158, v242
	s_nop 0
	v_cndmask_b32_e32 v161, v245, v160, vcc
	v_mov_b32_e32 v160, v244
	v_add_f64 v[158:159], v[158:159], v[160:161]
	v_cmp_lt_f64_e32 vcc, v[156:157], v[158:159]
	v_mov_b32_e32 v156, s0
	s_add_i32 s0, s0, 1
	v_cndmask_b32_e32 v237, v237, v243, vcc
	v_cndmask_b32_e32 v236, v236, v242, vcc
	;; [unrolled: 1-line block ×5, first 2 shown]
	s_cmp_lg_u32 s20, s0
	s_cbranch_scc1 .LBB116_715
.LBB116_716:
	s_waitcnt lgkmcnt(0)
	v_cmp_eq_f64_e32 vcc, 0, v[236:237]
	v_cmp_eq_f64_e64 s[0:1], 0, v[238:239]
	s_and_b64 s[0:1], vcc, s[0:1]
	s_and_saveexec_b64 s[16:17], s[0:1]
	s_xor_b64 s[0:1], exec, s[16:17]
; %bb.717:
	v_cmp_ne_u32_e32 vcc, 0, v250
	s_nop 1
	v_cndmask_b32_e32 v250, 35, v250, vcc
; %bb.718:
	s_andn2_saveexec_b64 s[0:1], s[0:1]
	s_cbranch_execz .LBB116_724
; %bb.719:
	v_cmp_ngt_f64_e64 s[16:17], |v[236:237]|, |v[238:239]|
	s_and_saveexec_b64 s[18:19], s[16:17]
	s_xor_b64 s[16:17], exec, s[18:19]
	s_cbranch_execz .LBB116_721
; %bb.720:
	v_div_scale_f64 v[156:157], s[18:19], v[238:239], v[238:239], v[236:237]
	v_rcp_f64_e32 v[158:159], v[156:157]
	v_div_scale_f64 v[160:161], vcc, v[236:237], v[238:239], v[236:237]
	v_fma_f64 v[162:163], -v[156:157], v[158:159], 1.0
	v_fmac_f64_e32 v[158:159], v[158:159], v[162:163]
	v_fma_f64 v[162:163], -v[156:157], v[158:159], 1.0
	v_fmac_f64_e32 v[158:159], v[158:159], v[162:163]
	v_mul_f64 v[162:163], v[160:161], v[158:159]
	v_fma_f64 v[156:157], -v[156:157], v[162:163], v[160:161]
	v_div_fmas_f64 v[156:157], v[156:157], v[158:159], v[162:163]
	v_div_fixup_f64 v[156:157], v[156:157], v[238:239], v[236:237]
	v_fmac_f64_e32 v[238:239], v[236:237], v[156:157]
	v_div_scale_f64 v[158:159], s[18:19], v[238:239], v[238:239], 1.0
	v_rcp_f64_e32 v[160:161], v[158:159]
	s_nop 0
	v_fma_f64 v[162:163], -v[158:159], v[160:161], 1.0
	v_fmac_f64_e32 v[160:161], v[160:161], v[162:163]
	v_fma_f64 v[162:163], -v[158:159], v[160:161], 1.0
	v_fmac_f64_e32 v[160:161], v[160:161], v[162:163]
	v_div_scale_f64 v[162:163], vcc, 1.0, v[238:239], 1.0
	v_mul_f64 v[216:217], v[162:163], v[160:161]
	v_fma_f64 v[158:159], -v[158:159], v[216:217], v[162:163]
	s_nop 1
	v_div_fmas_f64 v[158:159], v[158:159], v[160:161], v[216:217]
	v_div_fixup_f64 v[238:239], v[158:159], v[238:239], 1.0
	v_mul_f64 v[236:237], v[156:157], v[238:239]
	v_xor_b32_e32 v239, 0x80000000, v239
.LBB116_721:
	s_andn2_saveexec_b64 s[16:17], s[16:17]
	s_cbranch_execz .LBB116_723
; %bb.722:
	v_div_scale_f64 v[156:157], s[18:19], v[236:237], v[236:237], v[238:239]
	v_rcp_f64_e32 v[158:159], v[156:157]
	v_div_scale_f64 v[160:161], vcc, v[238:239], v[236:237], v[238:239]
	v_fma_f64 v[162:163], -v[156:157], v[158:159], 1.0
	v_fmac_f64_e32 v[158:159], v[158:159], v[162:163]
	v_fma_f64 v[162:163], -v[156:157], v[158:159], 1.0
	v_fmac_f64_e32 v[158:159], v[158:159], v[162:163]
	v_mul_f64 v[162:163], v[160:161], v[158:159]
	v_fma_f64 v[156:157], -v[156:157], v[162:163], v[160:161]
	v_div_fmas_f64 v[156:157], v[156:157], v[158:159], v[162:163]
	v_div_fixup_f64 v[156:157], v[156:157], v[236:237], v[238:239]
	v_fmac_f64_e32 v[236:237], v[238:239], v[156:157]
	v_div_scale_f64 v[158:159], s[18:19], v[236:237], v[236:237], 1.0
	v_rcp_f64_e32 v[160:161], v[158:159]
	s_nop 0
	v_fma_f64 v[162:163], -v[158:159], v[160:161], 1.0
	v_fmac_f64_e32 v[160:161], v[160:161], v[162:163]
	v_fma_f64 v[162:163], -v[158:159], v[160:161], 1.0
	v_fmac_f64_e32 v[160:161], v[160:161], v[162:163]
	v_div_scale_f64 v[162:163], vcc, 1.0, v[236:237], 1.0
	v_mul_f64 v[216:217], v[162:163], v[160:161]
	v_fma_f64 v[158:159], -v[158:159], v[216:217], v[162:163]
	s_nop 1
	v_div_fmas_f64 v[158:159], v[158:159], v[160:161], v[216:217]
	v_div_fixup_f64 v[236:237], v[158:159], v[236:237], 1.0
	v_mul_f64 v[238:239], v[156:157], -v[236:237]
.LBB116_723:
	s_or_b64 exec, exec, s[16:17]
.LBB116_724:
	s_or_b64 exec, exec, s[0:1]
	v_cmp_ne_u32_e32 vcc, v249, v246
	s_and_saveexec_b64 s[0:1], vcc
	s_xor_b64 s[0:1], exec, s[0:1]
	s_cbranch_execz .LBB116_730
; %bb.725:
	v_cmp_eq_u32_e32 vcc, 34, v249
	s_and_saveexec_b64 s[16:17], vcc
	s_cbranch_execz .LBB116_729
; %bb.726:
	v_cmp_ne_u32_e32 vcc, 34, v246
	s_xor_b64 s[18:19], s[14:15], -1
	s_and_b64 s[22:23], s[18:19], vcc
	s_and_saveexec_b64 s[18:19], s[22:23]
	s_cbranch_execz .LBB116_728
; %bb.727:
	scratch_load_dwordx2 v[8:9], off, off offset:16 ; 8-byte Folded Reload
	v_ashrrev_i32_e32 v247, 31, v246
	s_waitcnt vmcnt(0)
	v_lshl_add_u64 v[156:157], v[246:247], 2, v[8:9]
	global_load_dword v158, v[156:157], off
	global_load_dword v159, v[8:9], off offset:136
	s_waitcnt vmcnt(1)
	global_store_dword v[8:9], v158, off offset:136
	s_waitcnt vmcnt(1)
	global_store_dword v[156:157], v159, off
.LBB116_728:
	s_or_b64 exec, exec, s[18:19]
	v_mov_b32_e32 v249, v246
	v_mov_b32_e32 v218, v246
.LBB116_729:
	s_or_b64 exec, exec, s[16:17]
.LBB116_730:
	s_andn2_saveexec_b64 s[0:1], s[0:1]
	s_cbranch_execz .LBB116_732
; %bb.731:
	v_mov_b32_e32 v249, 34
	ds_write2_b64 v248, v[88:89], v[90:91] offset0:70 offset1:71
	ds_write2_b64 v248, v[84:85], v[86:87] offset0:72 offset1:73
	;; [unrolled: 1-line block ×24, first 2 shown]
.LBB116_732:
	s_or_b64 exec, exec, s[0:1]
	v_cmp_lt_i32_e32 vcc, 34, v249
	s_waitcnt lgkmcnt(0)
	s_barrier
	s_and_saveexec_b64 s[0:1], vcc
	s_cbranch_execz .LBB116_734
; %bb.733:
	v_mul_f64 v[156:157], v[238:239], v[94:95]
	v_mul_f64 v[94:95], v[236:237], v[94:95]
	v_fma_f64 v[246:247], v[236:237], v[92:93], -v[156:157]
	v_fmac_f64_e32 v[94:95], v[238:239], v[92:93]
	ds_read2_b64 v[236:239], v248 offset0:70 offset1:71
	s_waitcnt lgkmcnt(0)
	v_mul_f64 v[92:93], v[238:239], v[94:95]
	v_mul_f64 v[156:157], v[236:237], v[94:95]
	v_fma_f64 v[92:93], v[236:237], v[246:247], -v[92:93]
	v_fmac_f64_e32 v[156:157], v[238:239], v[246:247]
	ds_read2_b64 v[236:239], v248 offset0:72 offset1:73
	v_add_f64 v[88:89], v[88:89], -v[92:93]
	v_add_f64 v[90:91], v[90:91], -v[156:157]
	s_waitcnt lgkmcnt(0)
	v_mul_f64 v[92:93], v[238:239], v[94:95]
	v_mul_f64 v[156:157], v[236:237], v[94:95]
	v_fma_f64 v[92:93], v[236:237], v[246:247], -v[92:93]
	v_fmac_f64_e32 v[156:157], v[238:239], v[246:247]
	ds_read2_b64 v[236:239], v248 offset0:74 offset1:75
	v_add_f64 v[84:85], v[84:85], -v[92:93]
	v_add_f64 v[86:87], v[86:87], -v[156:157]
	;; [unrolled: 8-line block ×23, first 2 shown]
	s_waitcnt lgkmcnt(0)
	v_mul_f64 v[92:93], v[238:239], v[94:95]
	v_mul_f64 v[156:157], v[236:237], v[94:95]
	v_fma_f64 v[92:93], v[236:237], v[246:247], -v[92:93]
	v_fmac_f64_e32 v[156:157], v[238:239], v[246:247]
	v_add_f64 v[232:233], v[232:233], -v[92:93]
	v_add_f64 v[234:235], v[234:235], -v[156:157]
	v_mov_b64_e32 v[92:93], v[246:247]
.LBB116_734:
	s_or_b64 exec, exec, s[0:1]
	v_lshl_add_u32 v156, v249, 4, v248
	s_barrier
	ds_write2_b64 v156, v[88:89], v[90:91] offset1:1
	s_waitcnt lgkmcnt(0)
	s_barrier
	ds_read2_b64 v[236:239], v248 offset0:70 offset1:71
	s_cmp_lt_i32 s20, 37
	v_mov_b32_e32 v246, 35
	s_cbranch_scc1 .LBB116_737
; %bb.735:
	v_add_u32_e32 v247, 0x240, v248
	s_mov_b32 s0, 36
	v_mov_b32_e32 v246, 35
.LBB116_736:                            ; =>This Inner Loop Header: Depth=1
	ds_read2_b64 v[242:245], v247 offset1:1
	s_waitcnt lgkmcnt(1)
	v_cmp_gt_f64_e32 vcc, 0, v[236:237]
	v_xor_b32_e32 v156, 0x80000000, v237
	v_xor_b32_e32 v158, 0x80000000, v239
	v_cndmask_b32_e32 v157, v237, v156, vcc
	v_cmp_gt_f64_e32 vcc, 0, v[238:239]
	v_mov_b32_e32 v156, v236
	s_waitcnt lgkmcnt(0)
	v_xor_b32_e32 v160, 0x80000000, v245
	v_cndmask_b32_e32 v159, v239, v158, vcc
	v_mov_b32_e32 v158, v238
	v_add_f64 v[156:157], v[156:157], v[158:159]
	v_cmp_gt_f64_e32 vcc, 0, v[242:243]
	v_xor_b32_e32 v158, 0x80000000, v243
	v_add_u32_e32 v247, 16, v247
	v_cndmask_b32_e32 v159, v243, v158, vcc
	v_cmp_gt_f64_e32 vcc, 0, v[244:245]
	v_mov_b32_e32 v158, v242
	s_nop 0
	v_cndmask_b32_e32 v161, v245, v160, vcc
	v_mov_b32_e32 v160, v244
	v_add_f64 v[158:159], v[158:159], v[160:161]
	v_cmp_lt_f64_e32 vcc, v[156:157], v[158:159]
	v_mov_b32_e32 v156, s0
	s_add_i32 s0, s0, 1
	v_cndmask_b32_e32 v237, v237, v243, vcc
	v_cndmask_b32_e32 v236, v236, v242, vcc
	;; [unrolled: 1-line block ×5, first 2 shown]
	s_cmp_lg_u32 s20, s0
	s_cbranch_scc1 .LBB116_736
.LBB116_737:
	s_waitcnt lgkmcnt(0)
	v_cmp_eq_f64_e32 vcc, 0, v[236:237]
	v_cmp_eq_f64_e64 s[0:1], 0, v[238:239]
	s_and_b64 s[0:1], vcc, s[0:1]
	s_and_saveexec_b64 s[16:17], s[0:1]
	s_xor_b64 s[0:1], exec, s[16:17]
; %bb.738:
	v_cmp_ne_u32_e32 vcc, 0, v250
	s_nop 1
	v_cndmask_b32_e32 v250, 36, v250, vcc
; %bb.739:
	s_andn2_saveexec_b64 s[0:1], s[0:1]
	s_cbranch_execz .LBB116_745
; %bb.740:
	v_cmp_ngt_f64_e64 s[16:17], |v[236:237]|, |v[238:239]|
	s_and_saveexec_b64 s[18:19], s[16:17]
	s_xor_b64 s[16:17], exec, s[18:19]
	s_cbranch_execz .LBB116_742
; %bb.741:
	v_div_scale_f64 v[156:157], s[18:19], v[238:239], v[238:239], v[236:237]
	v_rcp_f64_e32 v[158:159], v[156:157]
	v_div_scale_f64 v[160:161], vcc, v[236:237], v[238:239], v[236:237]
	v_fma_f64 v[162:163], -v[156:157], v[158:159], 1.0
	v_fmac_f64_e32 v[158:159], v[158:159], v[162:163]
	v_fma_f64 v[162:163], -v[156:157], v[158:159], 1.0
	v_fmac_f64_e32 v[158:159], v[158:159], v[162:163]
	v_mul_f64 v[162:163], v[160:161], v[158:159]
	v_fma_f64 v[156:157], -v[156:157], v[162:163], v[160:161]
	v_div_fmas_f64 v[156:157], v[156:157], v[158:159], v[162:163]
	v_div_fixup_f64 v[156:157], v[156:157], v[238:239], v[236:237]
	v_fmac_f64_e32 v[238:239], v[236:237], v[156:157]
	v_div_scale_f64 v[158:159], s[18:19], v[238:239], v[238:239], 1.0
	v_rcp_f64_e32 v[160:161], v[158:159]
	s_nop 0
	v_fma_f64 v[162:163], -v[158:159], v[160:161], 1.0
	v_fmac_f64_e32 v[160:161], v[160:161], v[162:163]
	v_fma_f64 v[162:163], -v[158:159], v[160:161], 1.0
	v_fmac_f64_e32 v[160:161], v[160:161], v[162:163]
	v_div_scale_f64 v[162:163], vcc, 1.0, v[238:239], 1.0
	v_mul_f64 v[216:217], v[162:163], v[160:161]
	v_fma_f64 v[158:159], -v[158:159], v[216:217], v[162:163]
	s_nop 1
	v_div_fmas_f64 v[158:159], v[158:159], v[160:161], v[216:217]
	v_div_fixup_f64 v[238:239], v[158:159], v[238:239], 1.0
	v_mul_f64 v[236:237], v[156:157], v[238:239]
	v_xor_b32_e32 v239, 0x80000000, v239
.LBB116_742:
	s_andn2_saveexec_b64 s[16:17], s[16:17]
	s_cbranch_execz .LBB116_744
; %bb.743:
	v_div_scale_f64 v[156:157], s[18:19], v[236:237], v[236:237], v[238:239]
	v_rcp_f64_e32 v[158:159], v[156:157]
	v_div_scale_f64 v[160:161], vcc, v[238:239], v[236:237], v[238:239]
	v_fma_f64 v[162:163], -v[156:157], v[158:159], 1.0
	v_fmac_f64_e32 v[158:159], v[158:159], v[162:163]
	v_fma_f64 v[162:163], -v[156:157], v[158:159], 1.0
	v_fmac_f64_e32 v[158:159], v[158:159], v[162:163]
	v_mul_f64 v[162:163], v[160:161], v[158:159]
	v_fma_f64 v[156:157], -v[156:157], v[162:163], v[160:161]
	v_div_fmas_f64 v[156:157], v[156:157], v[158:159], v[162:163]
	v_div_fixup_f64 v[156:157], v[156:157], v[236:237], v[238:239]
	v_fmac_f64_e32 v[236:237], v[238:239], v[156:157]
	v_div_scale_f64 v[158:159], s[18:19], v[236:237], v[236:237], 1.0
	v_rcp_f64_e32 v[160:161], v[158:159]
	s_nop 0
	v_fma_f64 v[162:163], -v[158:159], v[160:161], 1.0
	v_fmac_f64_e32 v[160:161], v[160:161], v[162:163]
	v_fma_f64 v[162:163], -v[158:159], v[160:161], 1.0
	v_fmac_f64_e32 v[160:161], v[160:161], v[162:163]
	v_div_scale_f64 v[162:163], vcc, 1.0, v[236:237], 1.0
	v_mul_f64 v[216:217], v[162:163], v[160:161]
	v_fma_f64 v[158:159], -v[158:159], v[216:217], v[162:163]
	s_nop 1
	v_div_fmas_f64 v[158:159], v[158:159], v[160:161], v[216:217]
	v_div_fixup_f64 v[236:237], v[158:159], v[236:237], 1.0
	v_mul_f64 v[238:239], v[156:157], -v[236:237]
.LBB116_744:
	s_or_b64 exec, exec, s[16:17]
.LBB116_745:
	s_or_b64 exec, exec, s[0:1]
	v_cmp_ne_u32_e32 vcc, v249, v246
	s_and_saveexec_b64 s[0:1], vcc
	s_xor_b64 s[0:1], exec, s[0:1]
	s_cbranch_execz .LBB116_751
; %bb.746:
	v_cmp_eq_u32_e32 vcc, 35, v249
	s_and_saveexec_b64 s[16:17], vcc
	s_cbranch_execz .LBB116_750
; %bb.747:
	v_cmp_ne_u32_e32 vcc, 35, v246
	s_xor_b64 s[18:19], s[14:15], -1
	s_and_b64 s[22:23], s[18:19], vcc
	s_and_saveexec_b64 s[18:19], s[22:23]
	s_cbranch_execz .LBB116_749
; %bb.748:
	scratch_load_dwordx2 v[8:9], off, off offset:16 ; 8-byte Folded Reload
	v_ashrrev_i32_e32 v247, 31, v246
	s_waitcnt vmcnt(0)
	v_lshl_add_u64 v[156:157], v[246:247], 2, v[8:9]
	global_load_dword v158, v[156:157], off
	global_load_dword v159, v[8:9], off offset:140
	s_waitcnt vmcnt(1)
	global_store_dword v[8:9], v158, off offset:140
	s_waitcnt vmcnt(1)
	global_store_dword v[156:157], v159, off
.LBB116_749:
	s_or_b64 exec, exec, s[18:19]
	v_mov_b32_e32 v249, v246
	v_mov_b32_e32 v218, v246
.LBB116_750:
	s_or_b64 exec, exec, s[16:17]
.LBB116_751:
	s_andn2_saveexec_b64 s[0:1], s[0:1]
	s_cbranch_execz .LBB116_753
; %bb.752:
	v_mov_b32_e32 v249, 35
	ds_write2_b64 v248, v[84:85], v[86:87] offset0:72 offset1:73
	ds_write2_b64 v248, v[80:81], v[82:83] offset0:74 offset1:75
	;; [unrolled: 1-line block ×23, first 2 shown]
.LBB116_753:
	s_or_b64 exec, exec, s[0:1]
	v_cmp_lt_i32_e32 vcc, 35, v249
	s_waitcnt lgkmcnt(0)
	s_barrier
	s_and_saveexec_b64 s[0:1], vcc
	s_cbranch_execz .LBB116_755
; %bb.754:
	v_mul_f64 v[156:157], v[238:239], v[90:91]
	v_mul_f64 v[90:91], v[236:237], v[90:91]
	v_fma_f64 v[246:247], v[236:237], v[88:89], -v[156:157]
	v_fmac_f64_e32 v[90:91], v[238:239], v[88:89]
	ds_read2_b64 v[236:239], v248 offset0:72 offset1:73
	s_waitcnt lgkmcnt(0)
	v_mul_f64 v[88:89], v[238:239], v[90:91]
	v_mul_f64 v[156:157], v[236:237], v[90:91]
	v_fma_f64 v[88:89], v[236:237], v[246:247], -v[88:89]
	v_fmac_f64_e32 v[156:157], v[238:239], v[246:247]
	ds_read2_b64 v[236:239], v248 offset0:74 offset1:75
	v_add_f64 v[84:85], v[84:85], -v[88:89]
	v_add_f64 v[86:87], v[86:87], -v[156:157]
	s_waitcnt lgkmcnt(0)
	v_mul_f64 v[88:89], v[238:239], v[90:91]
	v_mul_f64 v[156:157], v[236:237], v[90:91]
	v_fma_f64 v[88:89], v[236:237], v[246:247], -v[88:89]
	v_fmac_f64_e32 v[156:157], v[238:239], v[246:247]
	ds_read2_b64 v[236:239], v248 offset0:76 offset1:77
	v_add_f64 v[80:81], v[80:81], -v[88:89]
	v_add_f64 v[82:83], v[82:83], -v[156:157]
	;; [unrolled: 8-line block ×22, first 2 shown]
	s_waitcnt lgkmcnt(0)
	v_mul_f64 v[88:89], v[238:239], v[90:91]
	v_mul_f64 v[156:157], v[236:237], v[90:91]
	v_fma_f64 v[88:89], v[236:237], v[246:247], -v[88:89]
	v_fmac_f64_e32 v[156:157], v[238:239], v[246:247]
	v_add_f64 v[232:233], v[232:233], -v[88:89]
	v_add_f64 v[234:235], v[234:235], -v[156:157]
	v_mov_b64_e32 v[88:89], v[246:247]
.LBB116_755:
	s_or_b64 exec, exec, s[0:1]
	v_lshl_add_u32 v156, v249, 4, v248
	s_barrier
	ds_write2_b64 v156, v[84:85], v[86:87] offset1:1
	s_waitcnt lgkmcnt(0)
	s_barrier
	ds_read2_b64 v[236:239], v248 offset0:72 offset1:73
	s_cmp_lt_i32 s20, 38
	v_mov_b32_e32 v246, 36
	s_cbranch_scc1 .LBB116_758
; %bb.756:
	v_add_u32_e32 v247, 0x250, v248
	s_mov_b32 s0, 37
	v_mov_b32_e32 v246, 36
.LBB116_757:                            ; =>This Inner Loop Header: Depth=1
	ds_read2_b64 v[242:245], v247 offset1:1
	s_waitcnt lgkmcnt(1)
	v_cmp_gt_f64_e32 vcc, 0, v[236:237]
	v_xor_b32_e32 v156, 0x80000000, v237
	v_xor_b32_e32 v158, 0x80000000, v239
	v_cndmask_b32_e32 v157, v237, v156, vcc
	v_cmp_gt_f64_e32 vcc, 0, v[238:239]
	v_mov_b32_e32 v156, v236
	s_waitcnt lgkmcnt(0)
	v_xor_b32_e32 v160, 0x80000000, v245
	v_cndmask_b32_e32 v159, v239, v158, vcc
	v_mov_b32_e32 v158, v238
	v_add_f64 v[156:157], v[156:157], v[158:159]
	v_cmp_gt_f64_e32 vcc, 0, v[242:243]
	v_xor_b32_e32 v158, 0x80000000, v243
	v_add_u32_e32 v247, 16, v247
	v_cndmask_b32_e32 v159, v243, v158, vcc
	v_cmp_gt_f64_e32 vcc, 0, v[244:245]
	v_mov_b32_e32 v158, v242
	s_nop 0
	v_cndmask_b32_e32 v161, v245, v160, vcc
	v_mov_b32_e32 v160, v244
	v_add_f64 v[158:159], v[158:159], v[160:161]
	v_cmp_lt_f64_e32 vcc, v[156:157], v[158:159]
	v_mov_b32_e32 v156, s0
	s_add_i32 s0, s0, 1
	v_cndmask_b32_e32 v237, v237, v243, vcc
	v_cndmask_b32_e32 v236, v236, v242, vcc
	;; [unrolled: 1-line block ×5, first 2 shown]
	s_cmp_lg_u32 s20, s0
	s_cbranch_scc1 .LBB116_757
.LBB116_758:
	s_waitcnt lgkmcnt(0)
	v_cmp_eq_f64_e32 vcc, 0, v[236:237]
	v_cmp_eq_f64_e64 s[0:1], 0, v[238:239]
	s_and_b64 s[0:1], vcc, s[0:1]
	s_and_saveexec_b64 s[16:17], s[0:1]
	s_xor_b64 s[0:1], exec, s[16:17]
; %bb.759:
	v_cmp_ne_u32_e32 vcc, 0, v250
	s_nop 1
	v_cndmask_b32_e32 v250, 37, v250, vcc
; %bb.760:
	s_andn2_saveexec_b64 s[0:1], s[0:1]
	s_cbranch_execz .LBB116_766
; %bb.761:
	v_cmp_ngt_f64_e64 s[16:17], |v[236:237]|, |v[238:239]|
	s_and_saveexec_b64 s[18:19], s[16:17]
	s_xor_b64 s[16:17], exec, s[18:19]
	s_cbranch_execz .LBB116_763
; %bb.762:
	v_div_scale_f64 v[156:157], s[18:19], v[238:239], v[238:239], v[236:237]
	v_rcp_f64_e32 v[158:159], v[156:157]
	v_div_scale_f64 v[160:161], vcc, v[236:237], v[238:239], v[236:237]
	v_fma_f64 v[162:163], -v[156:157], v[158:159], 1.0
	v_fmac_f64_e32 v[158:159], v[158:159], v[162:163]
	v_fma_f64 v[162:163], -v[156:157], v[158:159], 1.0
	v_fmac_f64_e32 v[158:159], v[158:159], v[162:163]
	v_mul_f64 v[162:163], v[160:161], v[158:159]
	v_fma_f64 v[156:157], -v[156:157], v[162:163], v[160:161]
	v_div_fmas_f64 v[156:157], v[156:157], v[158:159], v[162:163]
	v_div_fixup_f64 v[156:157], v[156:157], v[238:239], v[236:237]
	v_fmac_f64_e32 v[238:239], v[236:237], v[156:157]
	v_div_scale_f64 v[158:159], s[18:19], v[238:239], v[238:239], 1.0
	v_rcp_f64_e32 v[160:161], v[158:159]
	s_nop 0
	v_fma_f64 v[162:163], -v[158:159], v[160:161], 1.0
	v_fmac_f64_e32 v[160:161], v[160:161], v[162:163]
	v_fma_f64 v[162:163], -v[158:159], v[160:161], 1.0
	v_fmac_f64_e32 v[160:161], v[160:161], v[162:163]
	v_div_scale_f64 v[162:163], vcc, 1.0, v[238:239], 1.0
	v_mul_f64 v[216:217], v[162:163], v[160:161]
	v_fma_f64 v[158:159], -v[158:159], v[216:217], v[162:163]
	s_nop 1
	v_div_fmas_f64 v[158:159], v[158:159], v[160:161], v[216:217]
	v_div_fixup_f64 v[238:239], v[158:159], v[238:239], 1.0
	v_mul_f64 v[236:237], v[156:157], v[238:239]
	v_xor_b32_e32 v239, 0x80000000, v239
.LBB116_763:
	s_andn2_saveexec_b64 s[16:17], s[16:17]
	s_cbranch_execz .LBB116_765
; %bb.764:
	v_div_scale_f64 v[156:157], s[18:19], v[236:237], v[236:237], v[238:239]
	v_rcp_f64_e32 v[158:159], v[156:157]
	v_div_scale_f64 v[160:161], vcc, v[238:239], v[236:237], v[238:239]
	v_fma_f64 v[162:163], -v[156:157], v[158:159], 1.0
	v_fmac_f64_e32 v[158:159], v[158:159], v[162:163]
	v_fma_f64 v[162:163], -v[156:157], v[158:159], 1.0
	v_fmac_f64_e32 v[158:159], v[158:159], v[162:163]
	v_mul_f64 v[162:163], v[160:161], v[158:159]
	v_fma_f64 v[156:157], -v[156:157], v[162:163], v[160:161]
	v_div_fmas_f64 v[156:157], v[156:157], v[158:159], v[162:163]
	v_div_fixup_f64 v[156:157], v[156:157], v[236:237], v[238:239]
	v_fmac_f64_e32 v[236:237], v[238:239], v[156:157]
	v_div_scale_f64 v[158:159], s[18:19], v[236:237], v[236:237], 1.0
	v_rcp_f64_e32 v[160:161], v[158:159]
	s_nop 0
	v_fma_f64 v[162:163], -v[158:159], v[160:161], 1.0
	v_fmac_f64_e32 v[160:161], v[160:161], v[162:163]
	v_fma_f64 v[162:163], -v[158:159], v[160:161], 1.0
	v_fmac_f64_e32 v[160:161], v[160:161], v[162:163]
	v_div_scale_f64 v[162:163], vcc, 1.0, v[236:237], 1.0
	v_mul_f64 v[216:217], v[162:163], v[160:161]
	v_fma_f64 v[158:159], -v[158:159], v[216:217], v[162:163]
	s_nop 1
	v_div_fmas_f64 v[158:159], v[158:159], v[160:161], v[216:217]
	v_div_fixup_f64 v[236:237], v[158:159], v[236:237], 1.0
	v_mul_f64 v[238:239], v[156:157], -v[236:237]
.LBB116_765:
	s_or_b64 exec, exec, s[16:17]
.LBB116_766:
	s_or_b64 exec, exec, s[0:1]
	v_cmp_ne_u32_e32 vcc, v249, v246
	s_and_saveexec_b64 s[0:1], vcc
	s_xor_b64 s[0:1], exec, s[0:1]
	s_cbranch_execz .LBB116_772
; %bb.767:
	v_cmp_eq_u32_e32 vcc, 36, v249
	s_and_saveexec_b64 s[16:17], vcc
	s_cbranch_execz .LBB116_771
; %bb.768:
	v_cmp_ne_u32_e32 vcc, 36, v246
	s_xor_b64 s[18:19], s[14:15], -1
	s_and_b64 s[22:23], s[18:19], vcc
	s_and_saveexec_b64 s[18:19], s[22:23]
	s_cbranch_execz .LBB116_770
; %bb.769:
	scratch_load_dwordx2 v[8:9], off, off offset:16 ; 8-byte Folded Reload
	v_ashrrev_i32_e32 v247, 31, v246
	s_waitcnt vmcnt(0)
	v_lshl_add_u64 v[156:157], v[246:247], 2, v[8:9]
	global_load_dword v158, v[156:157], off
	global_load_dword v159, v[8:9], off offset:144
	s_waitcnt vmcnt(1)
	global_store_dword v[8:9], v158, off offset:144
	s_waitcnt vmcnt(1)
	global_store_dword v[156:157], v159, off
.LBB116_770:
	s_or_b64 exec, exec, s[18:19]
	v_mov_b32_e32 v249, v246
	v_mov_b32_e32 v218, v246
.LBB116_771:
	s_or_b64 exec, exec, s[16:17]
.LBB116_772:
	s_andn2_saveexec_b64 s[0:1], s[0:1]
	s_cbranch_execz .LBB116_774
; %bb.773:
	v_mov_b32_e32 v249, 36
	ds_write2_b64 v248, v[80:81], v[82:83] offset0:74 offset1:75
	ds_write2_b64 v248, v[76:77], v[78:79] offset0:76 offset1:77
	;; [unrolled: 1-line block ×22, first 2 shown]
.LBB116_774:
	s_or_b64 exec, exec, s[0:1]
	v_cmp_lt_i32_e32 vcc, 36, v249
	s_waitcnt lgkmcnt(0)
	s_barrier
	s_and_saveexec_b64 s[0:1], vcc
	s_cbranch_execz .LBB116_776
; %bb.775:
	v_mul_f64 v[156:157], v[238:239], v[86:87]
	v_mul_f64 v[86:87], v[236:237], v[86:87]
	v_fma_f64 v[246:247], v[236:237], v[84:85], -v[156:157]
	v_fmac_f64_e32 v[86:87], v[238:239], v[84:85]
	ds_read2_b64 v[236:239], v248 offset0:74 offset1:75
	s_waitcnt lgkmcnt(0)
	v_mul_f64 v[84:85], v[238:239], v[86:87]
	v_mul_f64 v[156:157], v[236:237], v[86:87]
	v_fma_f64 v[84:85], v[236:237], v[246:247], -v[84:85]
	v_fmac_f64_e32 v[156:157], v[238:239], v[246:247]
	ds_read2_b64 v[236:239], v248 offset0:76 offset1:77
	v_add_f64 v[80:81], v[80:81], -v[84:85]
	v_add_f64 v[82:83], v[82:83], -v[156:157]
	s_waitcnt lgkmcnt(0)
	v_mul_f64 v[84:85], v[238:239], v[86:87]
	v_mul_f64 v[156:157], v[236:237], v[86:87]
	v_fma_f64 v[84:85], v[236:237], v[246:247], -v[84:85]
	v_fmac_f64_e32 v[156:157], v[238:239], v[246:247]
	ds_read2_b64 v[236:239], v248 offset0:78 offset1:79
	v_add_f64 v[76:77], v[76:77], -v[84:85]
	v_add_f64 v[78:79], v[78:79], -v[156:157]
	;; [unrolled: 8-line block ×21, first 2 shown]
	s_waitcnt lgkmcnt(0)
	v_mul_f64 v[84:85], v[238:239], v[86:87]
	v_mul_f64 v[156:157], v[236:237], v[86:87]
	v_fma_f64 v[84:85], v[236:237], v[246:247], -v[84:85]
	v_fmac_f64_e32 v[156:157], v[238:239], v[246:247]
	v_add_f64 v[232:233], v[232:233], -v[84:85]
	v_add_f64 v[234:235], v[234:235], -v[156:157]
	v_mov_b64_e32 v[84:85], v[246:247]
.LBB116_776:
	s_or_b64 exec, exec, s[0:1]
	v_lshl_add_u32 v156, v249, 4, v248
	s_barrier
	ds_write2_b64 v156, v[80:81], v[82:83] offset1:1
	s_waitcnt lgkmcnt(0)
	s_barrier
	ds_read2_b64 v[236:239], v248 offset0:74 offset1:75
	s_cmp_lt_i32 s20, 39
	v_mov_b32_e32 v246, 37
	s_cbranch_scc1 .LBB116_779
; %bb.777:
	v_add_u32_e32 v247, 0x260, v248
	s_mov_b32 s0, 38
	v_mov_b32_e32 v246, 37
.LBB116_778:                            ; =>This Inner Loop Header: Depth=1
	ds_read2_b64 v[242:245], v247 offset1:1
	s_waitcnt lgkmcnt(1)
	v_cmp_gt_f64_e32 vcc, 0, v[236:237]
	v_xor_b32_e32 v156, 0x80000000, v237
	v_xor_b32_e32 v158, 0x80000000, v239
	v_cndmask_b32_e32 v157, v237, v156, vcc
	v_cmp_gt_f64_e32 vcc, 0, v[238:239]
	v_mov_b32_e32 v156, v236
	s_waitcnt lgkmcnt(0)
	v_xor_b32_e32 v160, 0x80000000, v245
	v_cndmask_b32_e32 v159, v239, v158, vcc
	v_mov_b32_e32 v158, v238
	v_add_f64 v[156:157], v[156:157], v[158:159]
	v_cmp_gt_f64_e32 vcc, 0, v[242:243]
	v_xor_b32_e32 v158, 0x80000000, v243
	v_add_u32_e32 v247, 16, v247
	v_cndmask_b32_e32 v159, v243, v158, vcc
	v_cmp_gt_f64_e32 vcc, 0, v[244:245]
	v_mov_b32_e32 v158, v242
	s_nop 0
	v_cndmask_b32_e32 v161, v245, v160, vcc
	v_mov_b32_e32 v160, v244
	v_add_f64 v[158:159], v[158:159], v[160:161]
	v_cmp_lt_f64_e32 vcc, v[156:157], v[158:159]
	v_mov_b32_e32 v156, s0
	s_add_i32 s0, s0, 1
	v_cndmask_b32_e32 v237, v237, v243, vcc
	v_cndmask_b32_e32 v236, v236, v242, vcc
	;; [unrolled: 1-line block ×5, first 2 shown]
	s_cmp_lg_u32 s20, s0
	s_cbranch_scc1 .LBB116_778
.LBB116_779:
	s_waitcnt lgkmcnt(0)
	v_cmp_eq_f64_e32 vcc, 0, v[236:237]
	v_cmp_eq_f64_e64 s[0:1], 0, v[238:239]
	s_and_b64 s[0:1], vcc, s[0:1]
	s_and_saveexec_b64 s[16:17], s[0:1]
	s_xor_b64 s[0:1], exec, s[16:17]
; %bb.780:
	v_cmp_ne_u32_e32 vcc, 0, v250
	s_nop 1
	v_cndmask_b32_e32 v250, 38, v250, vcc
; %bb.781:
	s_andn2_saveexec_b64 s[0:1], s[0:1]
	s_cbranch_execz .LBB116_787
; %bb.782:
	v_cmp_ngt_f64_e64 s[16:17], |v[236:237]|, |v[238:239]|
	s_and_saveexec_b64 s[18:19], s[16:17]
	s_xor_b64 s[16:17], exec, s[18:19]
	s_cbranch_execz .LBB116_784
; %bb.783:
	v_div_scale_f64 v[156:157], s[18:19], v[238:239], v[238:239], v[236:237]
	v_rcp_f64_e32 v[158:159], v[156:157]
	v_div_scale_f64 v[160:161], vcc, v[236:237], v[238:239], v[236:237]
	v_fma_f64 v[162:163], -v[156:157], v[158:159], 1.0
	v_fmac_f64_e32 v[158:159], v[158:159], v[162:163]
	v_fma_f64 v[162:163], -v[156:157], v[158:159], 1.0
	v_fmac_f64_e32 v[158:159], v[158:159], v[162:163]
	v_mul_f64 v[162:163], v[160:161], v[158:159]
	v_fma_f64 v[156:157], -v[156:157], v[162:163], v[160:161]
	v_div_fmas_f64 v[156:157], v[156:157], v[158:159], v[162:163]
	v_div_fixup_f64 v[156:157], v[156:157], v[238:239], v[236:237]
	v_fmac_f64_e32 v[238:239], v[236:237], v[156:157]
	v_div_scale_f64 v[158:159], s[18:19], v[238:239], v[238:239], 1.0
	v_rcp_f64_e32 v[160:161], v[158:159]
	s_nop 0
	v_fma_f64 v[162:163], -v[158:159], v[160:161], 1.0
	v_fmac_f64_e32 v[160:161], v[160:161], v[162:163]
	v_fma_f64 v[162:163], -v[158:159], v[160:161], 1.0
	v_fmac_f64_e32 v[160:161], v[160:161], v[162:163]
	v_div_scale_f64 v[162:163], vcc, 1.0, v[238:239], 1.0
	v_mul_f64 v[216:217], v[162:163], v[160:161]
	v_fma_f64 v[158:159], -v[158:159], v[216:217], v[162:163]
	s_nop 1
	v_div_fmas_f64 v[158:159], v[158:159], v[160:161], v[216:217]
	v_div_fixup_f64 v[238:239], v[158:159], v[238:239], 1.0
	v_mul_f64 v[236:237], v[156:157], v[238:239]
	v_xor_b32_e32 v239, 0x80000000, v239
.LBB116_784:
	s_andn2_saveexec_b64 s[16:17], s[16:17]
	s_cbranch_execz .LBB116_786
; %bb.785:
	v_div_scale_f64 v[156:157], s[18:19], v[236:237], v[236:237], v[238:239]
	v_rcp_f64_e32 v[158:159], v[156:157]
	v_div_scale_f64 v[160:161], vcc, v[238:239], v[236:237], v[238:239]
	v_fma_f64 v[162:163], -v[156:157], v[158:159], 1.0
	v_fmac_f64_e32 v[158:159], v[158:159], v[162:163]
	v_fma_f64 v[162:163], -v[156:157], v[158:159], 1.0
	v_fmac_f64_e32 v[158:159], v[158:159], v[162:163]
	v_mul_f64 v[162:163], v[160:161], v[158:159]
	v_fma_f64 v[156:157], -v[156:157], v[162:163], v[160:161]
	v_div_fmas_f64 v[156:157], v[156:157], v[158:159], v[162:163]
	v_div_fixup_f64 v[156:157], v[156:157], v[236:237], v[238:239]
	v_fmac_f64_e32 v[236:237], v[238:239], v[156:157]
	v_div_scale_f64 v[158:159], s[18:19], v[236:237], v[236:237], 1.0
	v_rcp_f64_e32 v[160:161], v[158:159]
	s_nop 0
	v_fma_f64 v[162:163], -v[158:159], v[160:161], 1.0
	v_fmac_f64_e32 v[160:161], v[160:161], v[162:163]
	v_fma_f64 v[162:163], -v[158:159], v[160:161], 1.0
	v_fmac_f64_e32 v[160:161], v[160:161], v[162:163]
	v_div_scale_f64 v[162:163], vcc, 1.0, v[236:237], 1.0
	v_mul_f64 v[216:217], v[162:163], v[160:161]
	v_fma_f64 v[158:159], -v[158:159], v[216:217], v[162:163]
	s_nop 1
	v_div_fmas_f64 v[158:159], v[158:159], v[160:161], v[216:217]
	v_div_fixup_f64 v[236:237], v[158:159], v[236:237], 1.0
	v_mul_f64 v[238:239], v[156:157], -v[236:237]
.LBB116_786:
	s_or_b64 exec, exec, s[16:17]
.LBB116_787:
	s_or_b64 exec, exec, s[0:1]
	v_cmp_ne_u32_e32 vcc, v249, v246
	s_and_saveexec_b64 s[0:1], vcc
	s_xor_b64 s[0:1], exec, s[0:1]
	s_cbranch_execz .LBB116_793
; %bb.788:
	v_cmp_eq_u32_e32 vcc, 37, v249
	s_and_saveexec_b64 s[16:17], vcc
	s_cbranch_execz .LBB116_792
; %bb.789:
	v_cmp_ne_u32_e32 vcc, 37, v246
	s_xor_b64 s[18:19], s[14:15], -1
	s_and_b64 s[22:23], s[18:19], vcc
	s_and_saveexec_b64 s[18:19], s[22:23]
	s_cbranch_execz .LBB116_791
; %bb.790:
	scratch_load_dwordx2 v[8:9], off, off offset:16 ; 8-byte Folded Reload
	v_ashrrev_i32_e32 v247, 31, v246
	s_waitcnt vmcnt(0)
	v_lshl_add_u64 v[156:157], v[246:247], 2, v[8:9]
	global_load_dword v158, v[156:157], off
	global_load_dword v159, v[8:9], off offset:148
	s_waitcnt vmcnt(1)
	global_store_dword v[8:9], v158, off offset:148
	s_waitcnt vmcnt(1)
	global_store_dword v[156:157], v159, off
.LBB116_791:
	s_or_b64 exec, exec, s[18:19]
	v_mov_b32_e32 v249, v246
	v_mov_b32_e32 v218, v246
.LBB116_792:
	s_or_b64 exec, exec, s[16:17]
.LBB116_793:
	s_andn2_saveexec_b64 s[0:1], s[0:1]
	s_cbranch_execz .LBB116_795
; %bb.794:
	v_mov_b32_e32 v249, 37
	ds_write2_b64 v248, v[76:77], v[78:79] offset0:76 offset1:77
	ds_write2_b64 v248, v[72:73], v[74:75] offset0:78 offset1:79
	;; [unrolled: 1-line block ×21, first 2 shown]
.LBB116_795:
	s_or_b64 exec, exec, s[0:1]
	v_cmp_lt_i32_e32 vcc, 37, v249
	s_waitcnt lgkmcnt(0)
	s_barrier
	s_and_saveexec_b64 s[0:1], vcc
	s_cbranch_execz .LBB116_797
; %bb.796:
	v_mul_f64 v[156:157], v[238:239], v[82:83]
	v_mul_f64 v[82:83], v[236:237], v[82:83]
	v_fma_f64 v[246:247], v[236:237], v[80:81], -v[156:157]
	v_fmac_f64_e32 v[82:83], v[238:239], v[80:81]
	ds_read2_b64 v[236:239], v248 offset0:76 offset1:77
	s_waitcnt lgkmcnt(0)
	v_mul_f64 v[80:81], v[238:239], v[82:83]
	v_mul_f64 v[156:157], v[236:237], v[82:83]
	v_fma_f64 v[80:81], v[236:237], v[246:247], -v[80:81]
	v_fmac_f64_e32 v[156:157], v[238:239], v[246:247]
	ds_read2_b64 v[236:239], v248 offset0:78 offset1:79
	v_add_f64 v[76:77], v[76:77], -v[80:81]
	v_add_f64 v[78:79], v[78:79], -v[156:157]
	s_waitcnt lgkmcnt(0)
	v_mul_f64 v[80:81], v[238:239], v[82:83]
	v_mul_f64 v[156:157], v[236:237], v[82:83]
	v_fma_f64 v[80:81], v[236:237], v[246:247], -v[80:81]
	v_fmac_f64_e32 v[156:157], v[238:239], v[246:247]
	ds_read2_b64 v[236:239], v248 offset0:80 offset1:81
	v_add_f64 v[72:73], v[72:73], -v[80:81]
	v_add_f64 v[74:75], v[74:75], -v[156:157]
	;; [unrolled: 8-line block ×20, first 2 shown]
	s_waitcnt lgkmcnt(0)
	v_mul_f64 v[80:81], v[238:239], v[82:83]
	v_mul_f64 v[156:157], v[236:237], v[82:83]
	v_fma_f64 v[80:81], v[236:237], v[246:247], -v[80:81]
	v_fmac_f64_e32 v[156:157], v[238:239], v[246:247]
	v_add_f64 v[232:233], v[232:233], -v[80:81]
	v_add_f64 v[234:235], v[234:235], -v[156:157]
	v_mov_b64_e32 v[80:81], v[246:247]
.LBB116_797:
	s_or_b64 exec, exec, s[0:1]
	v_lshl_add_u32 v156, v249, 4, v248
	s_barrier
	ds_write2_b64 v156, v[76:77], v[78:79] offset1:1
	s_waitcnt lgkmcnt(0)
	s_barrier
	ds_read2_b64 v[236:239], v248 offset0:76 offset1:77
	s_cmp_lt_i32 s20, 40
	v_mov_b32_e32 v246, 38
	s_cbranch_scc1 .LBB116_800
; %bb.798:
	v_add_u32_e32 v247, 0x270, v248
	s_mov_b32 s0, 39
	v_mov_b32_e32 v246, 38
.LBB116_799:                            ; =>This Inner Loop Header: Depth=1
	ds_read2_b64 v[242:245], v247 offset1:1
	s_waitcnt lgkmcnt(1)
	v_cmp_gt_f64_e32 vcc, 0, v[236:237]
	v_xor_b32_e32 v156, 0x80000000, v237
	v_xor_b32_e32 v158, 0x80000000, v239
	v_cndmask_b32_e32 v157, v237, v156, vcc
	v_cmp_gt_f64_e32 vcc, 0, v[238:239]
	v_mov_b32_e32 v156, v236
	s_waitcnt lgkmcnt(0)
	v_xor_b32_e32 v160, 0x80000000, v245
	v_cndmask_b32_e32 v159, v239, v158, vcc
	v_mov_b32_e32 v158, v238
	v_add_f64 v[156:157], v[156:157], v[158:159]
	v_cmp_gt_f64_e32 vcc, 0, v[242:243]
	v_xor_b32_e32 v158, 0x80000000, v243
	v_add_u32_e32 v247, 16, v247
	v_cndmask_b32_e32 v159, v243, v158, vcc
	v_cmp_gt_f64_e32 vcc, 0, v[244:245]
	v_mov_b32_e32 v158, v242
	s_nop 0
	v_cndmask_b32_e32 v161, v245, v160, vcc
	v_mov_b32_e32 v160, v244
	v_add_f64 v[158:159], v[158:159], v[160:161]
	v_cmp_lt_f64_e32 vcc, v[156:157], v[158:159]
	v_mov_b32_e32 v156, s0
	s_add_i32 s0, s0, 1
	v_cndmask_b32_e32 v237, v237, v243, vcc
	v_cndmask_b32_e32 v236, v236, v242, vcc
	;; [unrolled: 1-line block ×5, first 2 shown]
	s_cmp_lg_u32 s20, s0
	s_cbranch_scc1 .LBB116_799
.LBB116_800:
	s_waitcnt lgkmcnt(0)
	v_cmp_eq_f64_e32 vcc, 0, v[236:237]
	v_cmp_eq_f64_e64 s[0:1], 0, v[238:239]
	s_and_b64 s[0:1], vcc, s[0:1]
	s_and_saveexec_b64 s[16:17], s[0:1]
	s_xor_b64 s[0:1], exec, s[16:17]
; %bb.801:
	v_cmp_ne_u32_e32 vcc, 0, v250
	s_nop 1
	v_cndmask_b32_e32 v250, 39, v250, vcc
; %bb.802:
	s_andn2_saveexec_b64 s[0:1], s[0:1]
	s_cbranch_execz .LBB116_808
; %bb.803:
	v_cmp_ngt_f64_e64 s[16:17], |v[236:237]|, |v[238:239]|
	s_and_saveexec_b64 s[18:19], s[16:17]
	s_xor_b64 s[16:17], exec, s[18:19]
	s_cbranch_execz .LBB116_805
; %bb.804:
	v_div_scale_f64 v[156:157], s[18:19], v[238:239], v[238:239], v[236:237]
	v_rcp_f64_e32 v[158:159], v[156:157]
	v_div_scale_f64 v[160:161], vcc, v[236:237], v[238:239], v[236:237]
	v_fma_f64 v[162:163], -v[156:157], v[158:159], 1.0
	v_fmac_f64_e32 v[158:159], v[158:159], v[162:163]
	v_fma_f64 v[162:163], -v[156:157], v[158:159], 1.0
	v_fmac_f64_e32 v[158:159], v[158:159], v[162:163]
	v_mul_f64 v[162:163], v[160:161], v[158:159]
	v_fma_f64 v[156:157], -v[156:157], v[162:163], v[160:161]
	v_div_fmas_f64 v[156:157], v[156:157], v[158:159], v[162:163]
	v_div_fixup_f64 v[156:157], v[156:157], v[238:239], v[236:237]
	v_fmac_f64_e32 v[238:239], v[236:237], v[156:157]
	v_div_scale_f64 v[158:159], s[18:19], v[238:239], v[238:239], 1.0
	v_rcp_f64_e32 v[160:161], v[158:159]
	s_nop 0
	v_fma_f64 v[162:163], -v[158:159], v[160:161], 1.0
	v_fmac_f64_e32 v[160:161], v[160:161], v[162:163]
	v_fma_f64 v[162:163], -v[158:159], v[160:161], 1.0
	v_fmac_f64_e32 v[160:161], v[160:161], v[162:163]
	v_div_scale_f64 v[162:163], vcc, 1.0, v[238:239], 1.0
	v_mul_f64 v[216:217], v[162:163], v[160:161]
	v_fma_f64 v[158:159], -v[158:159], v[216:217], v[162:163]
	s_nop 1
	v_div_fmas_f64 v[158:159], v[158:159], v[160:161], v[216:217]
	v_div_fixup_f64 v[238:239], v[158:159], v[238:239], 1.0
	v_mul_f64 v[236:237], v[156:157], v[238:239]
	v_xor_b32_e32 v239, 0x80000000, v239
.LBB116_805:
	s_andn2_saveexec_b64 s[16:17], s[16:17]
	s_cbranch_execz .LBB116_807
; %bb.806:
	v_div_scale_f64 v[156:157], s[18:19], v[236:237], v[236:237], v[238:239]
	v_rcp_f64_e32 v[158:159], v[156:157]
	v_div_scale_f64 v[160:161], vcc, v[238:239], v[236:237], v[238:239]
	v_fma_f64 v[162:163], -v[156:157], v[158:159], 1.0
	v_fmac_f64_e32 v[158:159], v[158:159], v[162:163]
	v_fma_f64 v[162:163], -v[156:157], v[158:159], 1.0
	v_fmac_f64_e32 v[158:159], v[158:159], v[162:163]
	v_mul_f64 v[162:163], v[160:161], v[158:159]
	v_fma_f64 v[156:157], -v[156:157], v[162:163], v[160:161]
	v_div_fmas_f64 v[156:157], v[156:157], v[158:159], v[162:163]
	v_div_fixup_f64 v[156:157], v[156:157], v[236:237], v[238:239]
	v_fmac_f64_e32 v[236:237], v[238:239], v[156:157]
	v_div_scale_f64 v[158:159], s[18:19], v[236:237], v[236:237], 1.0
	v_rcp_f64_e32 v[160:161], v[158:159]
	s_nop 0
	v_fma_f64 v[162:163], -v[158:159], v[160:161], 1.0
	v_fmac_f64_e32 v[160:161], v[160:161], v[162:163]
	v_fma_f64 v[162:163], -v[158:159], v[160:161], 1.0
	v_fmac_f64_e32 v[160:161], v[160:161], v[162:163]
	v_div_scale_f64 v[162:163], vcc, 1.0, v[236:237], 1.0
	v_mul_f64 v[216:217], v[162:163], v[160:161]
	v_fma_f64 v[158:159], -v[158:159], v[216:217], v[162:163]
	s_nop 1
	v_div_fmas_f64 v[158:159], v[158:159], v[160:161], v[216:217]
	v_div_fixup_f64 v[236:237], v[158:159], v[236:237], 1.0
	v_mul_f64 v[238:239], v[156:157], -v[236:237]
.LBB116_807:
	s_or_b64 exec, exec, s[16:17]
.LBB116_808:
	s_or_b64 exec, exec, s[0:1]
	v_cmp_ne_u32_e32 vcc, v249, v246
	s_and_saveexec_b64 s[0:1], vcc
	s_xor_b64 s[0:1], exec, s[0:1]
	s_cbranch_execz .LBB116_814
; %bb.809:
	v_cmp_eq_u32_e32 vcc, 38, v249
	s_and_saveexec_b64 s[16:17], vcc
	s_cbranch_execz .LBB116_813
; %bb.810:
	v_cmp_ne_u32_e32 vcc, 38, v246
	s_xor_b64 s[18:19], s[14:15], -1
	s_and_b64 s[22:23], s[18:19], vcc
	s_and_saveexec_b64 s[18:19], s[22:23]
	s_cbranch_execz .LBB116_812
; %bb.811:
	scratch_load_dwordx2 v[8:9], off, off offset:16 ; 8-byte Folded Reload
	v_ashrrev_i32_e32 v247, 31, v246
	s_waitcnt vmcnt(0)
	v_lshl_add_u64 v[156:157], v[246:247], 2, v[8:9]
	global_load_dword v158, v[156:157], off
	global_load_dword v159, v[8:9], off offset:152
	s_waitcnt vmcnt(1)
	global_store_dword v[8:9], v158, off offset:152
	s_waitcnt vmcnt(1)
	global_store_dword v[156:157], v159, off
.LBB116_812:
	s_or_b64 exec, exec, s[18:19]
	v_mov_b32_e32 v249, v246
	v_mov_b32_e32 v218, v246
.LBB116_813:
	s_or_b64 exec, exec, s[16:17]
.LBB116_814:
	s_andn2_saveexec_b64 s[0:1], s[0:1]
	s_cbranch_execz .LBB116_816
; %bb.815:
	v_mov_b32_e32 v249, 38
	ds_write2_b64 v248, v[72:73], v[74:75] offset0:78 offset1:79
	ds_write2_b64 v248, v[68:69], v[70:71] offset0:80 offset1:81
	;; [unrolled: 1-line block ×20, first 2 shown]
.LBB116_816:
	s_or_b64 exec, exec, s[0:1]
	v_cmp_lt_i32_e32 vcc, 38, v249
	s_waitcnt lgkmcnt(0)
	s_barrier
	s_and_saveexec_b64 s[0:1], vcc
	s_cbranch_execz .LBB116_818
; %bb.817:
	v_mul_f64 v[156:157], v[238:239], v[78:79]
	v_mul_f64 v[78:79], v[236:237], v[78:79]
	v_fma_f64 v[246:247], v[236:237], v[76:77], -v[156:157]
	v_fmac_f64_e32 v[78:79], v[238:239], v[76:77]
	ds_read2_b64 v[236:239], v248 offset0:78 offset1:79
	s_waitcnt lgkmcnt(0)
	v_mul_f64 v[76:77], v[238:239], v[78:79]
	v_mul_f64 v[156:157], v[236:237], v[78:79]
	v_fma_f64 v[76:77], v[236:237], v[246:247], -v[76:77]
	v_fmac_f64_e32 v[156:157], v[238:239], v[246:247]
	ds_read2_b64 v[236:239], v248 offset0:80 offset1:81
	v_add_f64 v[72:73], v[72:73], -v[76:77]
	v_add_f64 v[74:75], v[74:75], -v[156:157]
	s_waitcnt lgkmcnt(0)
	v_mul_f64 v[76:77], v[238:239], v[78:79]
	v_mul_f64 v[156:157], v[236:237], v[78:79]
	v_fma_f64 v[76:77], v[236:237], v[246:247], -v[76:77]
	v_fmac_f64_e32 v[156:157], v[238:239], v[246:247]
	ds_read2_b64 v[236:239], v248 offset0:82 offset1:83
	v_add_f64 v[68:69], v[68:69], -v[76:77]
	v_add_f64 v[70:71], v[70:71], -v[156:157]
	s_waitcnt lgkmcnt(0)
	v_mul_f64 v[76:77], v[238:239], v[78:79]
	v_mul_f64 v[156:157], v[236:237], v[78:79]
	v_fma_f64 v[76:77], v[236:237], v[246:247], -v[76:77]
	v_fmac_f64_e32 v[156:157], v[238:239], v[246:247]
	ds_read2_b64 v[236:239], v248 offset0:84 offset1:85
	v_add_f64 v[64:65], v[64:65], -v[76:77]
	v_add_f64 v[66:67], v[66:67], -v[156:157]
	s_waitcnt lgkmcnt(0)
	v_mul_f64 v[76:77], v[238:239], v[78:79]
	v_mul_f64 v[156:157], v[236:237], v[78:79]
	v_fma_f64 v[76:77], v[236:237], v[246:247], -v[76:77]
	v_fmac_f64_e32 v[156:157], v[238:239], v[246:247]
	ds_read2_b64 v[236:239], v248 offset0:86 offset1:87
	v_add_f64 v[60:61], v[60:61], -v[76:77]
	v_add_f64 v[62:63], v[62:63], -v[156:157]
	s_waitcnt lgkmcnt(0)
	v_mul_f64 v[76:77], v[238:239], v[78:79]
	v_mul_f64 v[156:157], v[236:237], v[78:79]
	v_fma_f64 v[76:77], v[236:237], v[246:247], -v[76:77]
	v_fmac_f64_e32 v[156:157], v[238:239], v[246:247]
	ds_read2_b64 v[236:239], v248 offset0:88 offset1:89
	v_add_f64 v[56:57], v[56:57], -v[76:77]
	v_add_f64 v[58:59], v[58:59], -v[156:157]
	s_waitcnt lgkmcnt(0)
	v_mul_f64 v[76:77], v[238:239], v[78:79]
	v_mul_f64 v[156:157], v[236:237], v[78:79]
	v_fma_f64 v[76:77], v[236:237], v[246:247], -v[76:77]
	v_fmac_f64_e32 v[156:157], v[238:239], v[246:247]
	ds_read2_b64 v[236:239], v248 offset0:90 offset1:91
	v_add_f64 v[52:53], v[52:53], -v[76:77]
	v_add_f64 v[54:55], v[54:55], -v[156:157]
	s_waitcnt lgkmcnt(0)
	v_mul_f64 v[76:77], v[238:239], v[78:79]
	v_mul_f64 v[156:157], v[236:237], v[78:79]
	v_fma_f64 v[76:77], v[236:237], v[246:247], -v[76:77]
	v_fmac_f64_e32 v[156:157], v[238:239], v[246:247]
	ds_read2_b64 v[236:239], v248 offset0:92 offset1:93
	v_add_f64 v[48:49], v[48:49], -v[76:77]
	v_add_f64 v[50:51], v[50:51], -v[156:157]
	s_waitcnt lgkmcnt(0)
	v_mul_f64 v[76:77], v[238:239], v[78:79]
	v_mul_f64 v[156:157], v[236:237], v[78:79]
	v_fma_f64 v[76:77], v[236:237], v[246:247], -v[76:77]
	v_fmac_f64_e32 v[156:157], v[238:239], v[246:247]
	ds_read2_b64 v[236:239], v248 offset0:94 offset1:95
	v_add_f64 v[44:45], v[44:45], -v[76:77]
	v_add_f64 v[46:47], v[46:47], -v[156:157]
	s_waitcnt lgkmcnt(0)
	v_mul_f64 v[76:77], v[238:239], v[78:79]
	v_mul_f64 v[156:157], v[236:237], v[78:79]
	v_fma_f64 v[76:77], v[236:237], v[246:247], -v[76:77]
	v_fmac_f64_e32 v[156:157], v[238:239], v[246:247]
	ds_read2_b64 v[236:239], v248 offset0:96 offset1:97
	v_add_f64 v[40:41], v[40:41], -v[76:77]
	v_add_f64 v[42:43], v[42:43], -v[156:157]
	s_waitcnt lgkmcnt(0)
	v_mul_f64 v[76:77], v[238:239], v[78:79]
	v_mul_f64 v[156:157], v[236:237], v[78:79]
	v_fma_f64 v[76:77], v[236:237], v[246:247], -v[76:77]
	v_fmac_f64_e32 v[156:157], v[238:239], v[246:247]
	ds_read2_b64 v[236:239], v248 offset0:98 offset1:99
	v_add_f64 v[36:37], v[36:37], -v[76:77]
	v_add_f64 v[38:39], v[38:39], -v[156:157]
	s_waitcnt lgkmcnt(0)
	v_mul_f64 v[76:77], v[238:239], v[78:79]
	v_mul_f64 v[156:157], v[236:237], v[78:79]
	v_fma_f64 v[76:77], v[236:237], v[246:247], -v[76:77]
	v_fmac_f64_e32 v[156:157], v[238:239], v[246:247]
	ds_read2_b64 v[236:239], v248 offset0:100 offset1:101
	v_add_f64 v[32:33], v[32:33], -v[76:77]
	v_add_f64 v[34:35], v[34:35], -v[156:157]
	s_waitcnt lgkmcnt(0)
	v_mul_f64 v[76:77], v[238:239], v[78:79]
	v_mul_f64 v[156:157], v[236:237], v[78:79]
	v_fma_f64 v[76:77], v[236:237], v[246:247], -v[76:77]
	v_fmac_f64_e32 v[156:157], v[238:239], v[246:247]
	ds_read2_b64 v[236:239], v248 offset0:102 offset1:103
	v_add_f64 v[28:29], v[28:29], -v[76:77]
	v_add_f64 v[30:31], v[30:31], -v[156:157]
	s_waitcnt lgkmcnt(0)
	v_mul_f64 v[76:77], v[238:239], v[78:79]
	v_mul_f64 v[156:157], v[236:237], v[78:79]
	v_fma_f64 v[76:77], v[236:237], v[246:247], -v[76:77]
	v_fmac_f64_e32 v[156:157], v[238:239], v[246:247]
	ds_read2_b64 v[236:239], v248 offset0:104 offset1:105
	v_add_f64 v[24:25], v[24:25], -v[76:77]
	v_add_f64 v[26:27], v[26:27], -v[156:157]
	s_waitcnt lgkmcnt(0)
	v_mul_f64 v[76:77], v[238:239], v[78:79]
	v_mul_f64 v[156:157], v[236:237], v[78:79]
	v_fma_f64 v[76:77], v[236:237], v[246:247], -v[76:77]
	v_fmac_f64_e32 v[156:157], v[238:239], v[246:247]
	ds_read2_b64 v[236:239], v248 offset0:106 offset1:107
	v_add_f64 v[20:21], v[20:21], -v[76:77]
	v_add_f64 v[22:23], v[22:23], -v[156:157]
	s_waitcnt lgkmcnt(0)
	v_mul_f64 v[76:77], v[238:239], v[78:79]
	v_mul_f64 v[156:157], v[236:237], v[78:79]
	v_fma_f64 v[76:77], v[236:237], v[246:247], -v[76:77]
	v_fmac_f64_e32 v[156:157], v[238:239], v[246:247]
	ds_read2_b64 v[236:239], v248 offset0:108 offset1:109
	v_add_f64 v[16:17], v[16:17], -v[76:77]
	v_add_f64 v[18:19], v[18:19], -v[156:157]
	s_waitcnt lgkmcnt(0)
	v_mul_f64 v[76:77], v[238:239], v[78:79]
	v_mul_f64 v[156:157], v[236:237], v[78:79]
	v_fma_f64 v[76:77], v[236:237], v[246:247], -v[76:77]
	v_fmac_f64_e32 v[156:157], v[238:239], v[246:247]
	ds_read2_b64 v[236:239], v248 offset0:110 offset1:111
	v_add_f64 v[12:13], v[12:13], -v[76:77]
	v_add_f64 v[14:15], v[14:15], -v[156:157]
	s_waitcnt lgkmcnt(0)
	v_mul_f64 v[76:77], v[238:239], v[78:79]
	v_mul_f64 v[156:157], v[236:237], v[78:79]
	v_fma_f64 v[76:77], v[236:237], v[246:247], -v[76:77]
	v_fmac_f64_e32 v[156:157], v[238:239], v[246:247]
	ds_read2_b64 v[236:239], v248 offset0:112 offset1:113
	v_add_f64 v[252:253], v[252:253], -v[76:77]
	v_add_f64 v[254:255], v[254:255], -v[156:157]
	s_waitcnt lgkmcnt(0)
	v_mul_f64 v[76:77], v[238:239], v[78:79]
	v_mul_f64 v[156:157], v[236:237], v[78:79]
	v_fma_f64 v[76:77], v[236:237], v[246:247], -v[76:77]
	v_fmac_f64_e32 v[156:157], v[238:239], v[246:247]
	ds_read2_b64 v[236:239], v248 offset0:114 offset1:115
	v_add_f64 v[224:225], v[224:225], -v[76:77]
	v_add_f64 v[226:227], v[226:227], -v[156:157]
	s_waitcnt lgkmcnt(0)
	v_mul_f64 v[76:77], v[238:239], v[78:79]
	v_mul_f64 v[156:157], v[236:237], v[78:79]
	v_fma_f64 v[76:77], v[236:237], v[246:247], -v[76:77]
	v_fmac_f64_e32 v[156:157], v[238:239], v[246:247]
	ds_read2_b64 v[236:239], v248 offset0:116 offset1:117
	v_add_f64 v[220:221], v[220:221], -v[76:77]
	v_add_f64 v[222:223], v[222:223], -v[156:157]
	s_waitcnt lgkmcnt(0)
	v_mul_f64 v[76:77], v[238:239], v[78:79]
	v_mul_f64 v[156:157], v[236:237], v[78:79]
	v_fma_f64 v[76:77], v[236:237], v[246:247], -v[76:77]
	v_fmac_f64_e32 v[156:157], v[238:239], v[246:247]
	v_add_f64 v[232:233], v[232:233], -v[76:77]
	v_add_f64 v[234:235], v[234:235], -v[156:157]
	v_mov_b64_e32 v[76:77], v[246:247]
.LBB116_818:
	s_or_b64 exec, exec, s[0:1]
	v_lshl_add_u32 v156, v249, 4, v248
	s_barrier
	ds_write2_b64 v156, v[72:73], v[74:75] offset1:1
	s_waitcnt lgkmcnt(0)
	s_barrier
	ds_read2_b64 v[236:239], v248 offset0:78 offset1:79
	s_cmp_lt_i32 s20, 41
	v_mov_b32_e32 v246, 39
	s_cbranch_scc1 .LBB116_821
; %bb.819:
	v_add_u32_e32 v247, 0x280, v248
	s_mov_b32 s0, 40
	v_mov_b32_e32 v246, 39
.LBB116_820:                            ; =>This Inner Loop Header: Depth=1
	ds_read2_b64 v[242:245], v247 offset1:1
	s_waitcnt lgkmcnt(1)
	v_cmp_gt_f64_e32 vcc, 0, v[236:237]
	v_xor_b32_e32 v156, 0x80000000, v237
	v_xor_b32_e32 v158, 0x80000000, v239
	v_cndmask_b32_e32 v157, v237, v156, vcc
	v_cmp_gt_f64_e32 vcc, 0, v[238:239]
	v_mov_b32_e32 v156, v236
	s_waitcnt lgkmcnt(0)
	v_xor_b32_e32 v160, 0x80000000, v245
	v_cndmask_b32_e32 v159, v239, v158, vcc
	v_mov_b32_e32 v158, v238
	v_add_f64 v[156:157], v[156:157], v[158:159]
	v_cmp_gt_f64_e32 vcc, 0, v[242:243]
	v_xor_b32_e32 v158, 0x80000000, v243
	v_add_u32_e32 v247, 16, v247
	v_cndmask_b32_e32 v159, v243, v158, vcc
	v_cmp_gt_f64_e32 vcc, 0, v[244:245]
	v_mov_b32_e32 v158, v242
	s_nop 0
	v_cndmask_b32_e32 v161, v245, v160, vcc
	v_mov_b32_e32 v160, v244
	v_add_f64 v[158:159], v[158:159], v[160:161]
	v_cmp_lt_f64_e32 vcc, v[156:157], v[158:159]
	v_mov_b32_e32 v156, s0
	s_add_i32 s0, s0, 1
	v_cndmask_b32_e32 v237, v237, v243, vcc
	v_cndmask_b32_e32 v236, v236, v242, vcc
	v_cndmask_b32_e32 v239, v239, v245, vcc
	v_cndmask_b32_e32 v238, v238, v244, vcc
	v_cndmask_b32_e32 v246, v246, v156, vcc
	s_cmp_lg_u32 s20, s0
	s_cbranch_scc1 .LBB116_820
.LBB116_821:
	s_waitcnt lgkmcnt(0)
	v_cmp_eq_f64_e32 vcc, 0, v[236:237]
	v_cmp_eq_f64_e64 s[0:1], 0, v[238:239]
	s_and_b64 s[0:1], vcc, s[0:1]
	s_and_saveexec_b64 s[16:17], s[0:1]
	s_xor_b64 s[0:1], exec, s[16:17]
; %bb.822:
	v_cmp_ne_u32_e32 vcc, 0, v250
	s_nop 1
	v_cndmask_b32_e32 v250, 40, v250, vcc
; %bb.823:
	s_andn2_saveexec_b64 s[0:1], s[0:1]
	s_cbranch_execz .LBB116_829
; %bb.824:
	v_cmp_ngt_f64_e64 s[16:17], |v[236:237]|, |v[238:239]|
	s_and_saveexec_b64 s[18:19], s[16:17]
	s_xor_b64 s[16:17], exec, s[18:19]
	s_cbranch_execz .LBB116_826
; %bb.825:
	v_div_scale_f64 v[156:157], s[18:19], v[238:239], v[238:239], v[236:237]
	v_rcp_f64_e32 v[158:159], v[156:157]
	v_div_scale_f64 v[160:161], vcc, v[236:237], v[238:239], v[236:237]
	v_fma_f64 v[162:163], -v[156:157], v[158:159], 1.0
	v_fmac_f64_e32 v[158:159], v[158:159], v[162:163]
	v_fma_f64 v[162:163], -v[156:157], v[158:159], 1.0
	v_fmac_f64_e32 v[158:159], v[158:159], v[162:163]
	v_mul_f64 v[162:163], v[160:161], v[158:159]
	v_fma_f64 v[156:157], -v[156:157], v[162:163], v[160:161]
	v_div_fmas_f64 v[156:157], v[156:157], v[158:159], v[162:163]
	v_div_fixup_f64 v[156:157], v[156:157], v[238:239], v[236:237]
	v_fmac_f64_e32 v[238:239], v[236:237], v[156:157]
	v_div_scale_f64 v[158:159], s[18:19], v[238:239], v[238:239], 1.0
	v_rcp_f64_e32 v[160:161], v[158:159]
	s_nop 0
	v_fma_f64 v[162:163], -v[158:159], v[160:161], 1.0
	v_fmac_f64_e32 v[160:161], v[160:161], v[162:163]
	v_fma_f64 v[162:163], -v[158:159], v[160:161], 1.0
	v_fmac_f64_e32 v[160:161], v[160:161], v[162:163]
	v_div_scale_f64 v[162:163], vcc, 1.0, v[238:239], 1.0
	v_mul_f64 v[216:217], v[162:163], v[160:161]
	v_fma_f64 v[158:159], -v[158:159], v[216:217], v[162:163]
	s_nop 1
	v_div_fmas_f64 v[158:159], v[158:159], v[160:161], v[216:217]
	v_div_fixup_f64 v[238:239], v[158:159], v[238:239], 1.0
	v_mul_f64 v[236:237], v[156:157], v[238:239]
	v_xor_b32_e32 v239, 0x80000000, v239
.LBB116_826:
	s_andn2_saveexec_b64 s[16:17], s[16:17]
	s_cbranch_execz .LBB116_828
; %bb.827:
	v_div_scale_f64 v[156:157], s[18:19], v[236:237], v[236:237], v[238:239]
	v_rcp_f64_e32 v[158:159], v[156:157]
	v_div_scale_f64 v[160:161], vcc, v[238:239], v[236:237], v[238:239]
	v_fma_f64 v[162:163], -v[156:157], v[158:159], 1.0
	v_fmac_f64_e32 v[158:159], v[158:159], v[162:163]
	v_fma_f64 v[162:163], -v[156:157], v[158:159], 1.0
	v_fmac_f64_e32 v[158:159], v[158:159], v[162:163]
	v_mul_f64 v[162:163], v[160:161], v[158:159]
	v_fma_f64 v[156:157], -v[156:157], v[162:163], v[160:161]
	v_div_fmas_f64 v[156:157], v[156:157], v[158:159], v[162:163]
	v_div_fixup_f64 v[156:157], v[156:157], v[236:237], v[238:239]
	v_fmac_f64_e32 v[236:237], v[238:239], v[156:157]
	v_div_scale_f64 v[158:159], s[18:19], v[236:237], v[236:237], 1.0
	v_rcp_f64_e32 v[160:161], v[158:159]
	s_nop 0
	v_fma_f64 v[162:163], -v[158:159], v[160:161], 1.0
	v_fmac_f64_e32 v[160:161], v[160:161], v[162:163]
	v_fma_f64 v[162:163], -v[158:159], v[160:161], 1.0
	v_fmac_f64_e32 v[160:161], v[160:161], v[162:163]
	v_div_scale_f64 v[162:163], vcc, 1.0, v[236:237], 1.0
	v_mul_f64 v[216:217], v[162:163], v[160:161]
	v_fma_f64 v[158:159], -v[158:159], v[216:217], v[162:163]
	s_nop 1
	v_div_fmas_f64 v[158:159], v[158:159], v[160:161], v[216:217]
	v_div_fixup_f64 v[236:237], v[158:159], v[236:237], 1.0
	v_mul_f64 v[238:239], v[156:157], -v[236:237]
.LBB116_828:
	s_or_b64 exec, exec, s[16:17]
.LBB116_829:
	s_or_b64 exec, exec, s[0:1]
	v_cmp_ne_u32_e32 vcc, v249, v246
	s_and_saveexec_b64 s[0:1], vcc
	s_xor_b64 s[0:1], exec, s[0:1]
	s_cbranch_execz .LBB116_835
; %bb.830:
	v_cmp_eq_u32_e32 vcc, 39, v249
	s_and_saveexec_b64 s[16:17], vcc
	s_cbranch_execz .LBB116_834
; %bb.831:
	v_cmp_ne_u32_e32 vcc, 39, v246
	s_xor_b64 s[18:19], s[14:15], -1
	s_and_b64 s[22:23], s[18:19], vcc
	s_and_saveexec_b64 s[18:19], s[22:23]
	s_cbranch_execz .LBB116_833
; %bb.832:
	scratch_load_dwordx2 v[8:9], off, off offset:16 ; 8-byte Folded Reload
	v_ashrrev_i32_e32 v247, 31, v246
	s_waitcnt vmcnt(0)
	v_lshl_add_u64 v[156:157], v[246:247], 2, v[8:9]
	global_load_dword v158, v[156:157], off
	global_load_dword v159, v[8:9], off offset:156
	s_waitcnt vmcnt(1)
	global_store_dword v[8:9], v158, off offset:156
	s_waitcnt vmcnt(1)
	global_store_dword v[156:157], v159, off
.LBB116_833:
	s_or_b64 exec, exec, s[18:19]
	v_mov_b32_e32 v249, v246
	v_mov_b32_e32 v218, v246
.LBB116_834:
	s_or_b64 exec, exec, s[16:17]
.LBB116_835:
	s_andn2_saveexec_b64 s[0:1], s[0:1]
	s_cbranch_execz .LBB116_837
; %bb.836:
	v_mov_b32_e32 v249, 39
	ds_write2_b64 v248, v[68:69], v[70:71] offset0:80 offset1:81
	ds_write2_b64 v248, v[64:65], v[66:67] offset0:82 offset1:83
	;; [unrolled: 1-line block ×19, first 2 shown]
.LBB116_837:
	s_or_b64 exec, exec, s[0:1]
	v_cmp_lt_i32_e32 vcc, 39, v249
	s_waitcnt lgkmcnt(0)
	s_barrier
	s_and_saveexec_b64 s[0:1], vcc
	s_cbranch_execz .LBB116_839
; %bb.838:
	v_mul_f64 v[156:157], v[238:239], v[74:75]
	v_mul_f64 v[74:75], v[236:237], v[74:75]
	v_fma_f64 v[246:247], v[236:237], v[72:73], -v[156:157]
	v_fmac_f64_e32 v[74:75], v[238:239], v[72:73]
	ds_read2_b64 v[236:239], v248 offset0:80 offset1:81
	s_waitcnt lgkmcnt(0)
	v_mul_f64 v[72:73], v[238:239], v[74:75]
	v_mul_f64 v[156:157], v[236:237], v[74:75]
	v_fma_f64 v[72:73], v[236:237], v[246:247], -v[72:73]
	v_fmac_f64_e32 v[156:157], v[238:239], v[246:247]
	ds_read2_b64 v[236:239], v248 offset0:82 offset1:83
	v_add_f64 v[68:69], v[68:69], -v[72:73]
	v_add_f64 v[70:71], v[70:71], -v[156:157]
	s_waitcnt lgkmcnt(0)
	v_mul_f64 v[72:73], v[238:239], v[74:75]
	v_mul_f64 v[156:157], v[236:237], v[74:75]
	v_fma_f64 v[72:73], v[236:237], v[246:247], -v[72:73]
	v_fmac_f64_e32 v[156:157], v[238:239], v[246:247]
	ds_read2_b64 v[236:239], v248 offset0:84 offset1:85
	v_add_f64 v[64:65], v[64:65], -v[72:73]
	v_add_f64 v[66:67], v[66:67], -v[156:157]
	;; [unrolled: 8-line block ×18, first 2 shown]
	s_waitcnt lgkmcnt(0)
	v_mul_f64 v[72:73], v[238:239], v[74:75]
	v_mul_f64 v[156:157], v[236:237], v[74:75]
	v_fma_f64 v[72:73], v[236:237], v[246:247], -v[72:73]
	v_fmac_f64_e32 v[156:157], v[238:239], v[246:247]
	v_add_f64 v[232:233], v[232:233], -v[72:73]
	v_add_f64 v[234:235], v[234:235], -v[156:157]
	v_mov_b64_e32 v[72:73], v[246:247]
.LBB116_839:
	s_or_b64 exec, exec, s[0:1]
	v_lshl_add_u32 v156, v249, 4, v248
	s_barrier
	ds_write2_b64 v156, v[68:69], v[70:71] offset1:1
	s_waitcnt lgkmcnt(0)
	s_barrier
	ds_read2_b64 v[236:239], v248 offset0:80 offset1:81
	s_cmp_lt_i32 s20, 42
	v_mov_b32_e32 v246, 40
	s_cbranch_scc1 .LBB116_842
; %bb.840:
	v_add_u32_e32 v247, 0x290, v248
	s_mov_b32 s0, 41
	v_mov_b32_e32 v246, 40
.LBB116_841:                            ; =>This Inner Loop Header: Depth=1
	ds_read2_b64 v[242:245], v247 offset1:1
	s_waitcnt lgkmcnt(1)
	v_cmp_gt_f64_e32 vcc, 0, v[236:237]
	v_xor_b32_e32 v156, 0x80000000, v237
	v_xor_b32_e32 v158, 0x80000000, v239
	v_cndmask_b32_e32 v157, v237, v156, vcc
	v_cmp_gt_f64_e32 vcc, 0, v[238:239]
	v_mov_b32_e32 v156, v236
	s_waitcnt lgkmcnt(0)
	v_xor_b32_e32 v160, 0x80000000, v245
	v_cndmask_b32_e32 v159, v239, v158, vcc
	v_mov_b32_e32 v158, v238
	v_add_f64 v[156:157], v[156:157], v[158:159]
	v_cmp_gt_f64_e32 vcc, 0, v[242:243]
	v_xor_b32_e32 v158, 0x80000000, v243
	v_add_u32_e32 v247, 16, v247
	v_cndmask_b32_e32 v159, v243, v158, vcc
	v_cmp_gt_f64_e32 vcc, 0, v[244:245]
	v_mov_b32_e32 v158, v242
	s_nop 0
	v_cndmask_b32_e32 v161, v245, v160, vcc
	v_mov_b32_e32 v160, v244
	v_add_f64 v[158:159], v[158:159], v[160:161]
	v_cmp_lt_f64_e32 vcc, v[156:157], v[158:159]
	v_mov_b32_e32 v156, s0
	s_add_i32 s0, s0, 1
	v_cndmask_b32_e32 v237, v237, v243, vcc
	v_cndmask_b32_e32 v236, v236, v242, vcc
	;; [unrolled: 1-line block ×5, first 2 shown]
	s_cmp_lg_u32 s20, s0
	s_cbranch_scc1 .LBB116_841
.LBB116_842:
	s_waitcnt lgkmcnt(0)
	v_cmp_eq_f64_e32 vcc, 0, v[236:237]
	v_cmp_eq_f64_e64 s[0:1], 0, v[238:239]
	s_and_b64 s[0:1], vcc, s[0:1]
	s_and_saveexec_b64 s[16:17], s[0:1]
	s_xor_b64 s[0:1], exec, s[16:17]
; %bb.843:
	v_cmp_ne_u32_e32 vcc, 0, v250
	s_nop 1
	v_cndmask_b32_e32 v250, 41, v250, vcc
; %bb.844:
	s_andn2_saveexec_b64 s[0:1], s[0:1]
	s_cbranch_execz .LBB116_850
; %bb.845:
	v_cmp_ngt_f64_e64 s[16:17], |v[236:237]|, |v[238:239]|
	s_and_saveexec_b64 s[18:19], s[16:17]
	s_xor_b64 s[16:17], exec, s[18:19]
	s_cbranch_execz .LBB116_847
; %bb.846:
	v_div_scale_f64 v[156:157], s[18:19], v[238:239], v[238:239], v[236:237]
	v_rcp_f64_e32 v[158:159], v[156:157]
	v_div_scale_f64 v[160:161], vcc, v[236:237], v[238:239], v[236:237]
	v_fma_f64 v[162:163], -v[156:157], v[158:159], 1.0
	v_fmac_f64_e32 v[158:159], v[158:159], v[162:163]
	v_fma_f64 v[162:163], -v[156:157], v[158:159], 1.0
	v_fmac_f64_e32 v[158:159], v[158:159], v[162:163]
	v_mul_f64 v[162:163], v[160:161], v[158:159]
	v_fma_f64 v[156:157], -v[156:157], v[162:163], v[160:161]
	v_div_fmas_f64 v[156:157], v[156:157], v[158:159], v[162:163]
	v_div_fixup_f64 v[156:157], v[156:157], v[238:239], v[236:237]
	v_fmac_f64_e32 v[238:239], v[236:237], v[156:157]
	v_div_scale_f64 v[158:159], s[18:19], v[238:239], v[238:239], 1.0
	v_rcp_f64_e32 v[160:161], v[158:159]
	s_nop 0
	v_fma_f64 v[162:163], -v[158:159], v[160:161], 1.0
	v_fmac_f64_e32 v[160:161], v[160:161], v[162:163]
	v_fma_f64 v[162:163], -v[158:159], v[160:161], 1.0
	v_fmac_f64_e32 v[160:161], v[160:161], v[162:163]
	v_div_scale_f64 v[162:163], vcc, 1.0, v[238:239], 1.0
	v_mul_f64 v[216:217], v[162:163], v[160:161]
	v_fma_f64 v[158:159], -v[158:159], v[216:217], v[162:163]
	s_nop 1
	v_div_fmas_f64 v[158:159], v[158:159], v[160:161], v[216:217]
	v_div_fixup_f64 v[238:239], v[158:159], v[238:239], 1.0
	v_mul_f64 v[236:237], v[156:157], v[238:239]
	v_xor_b32_e32 v239, 0x80000000, v239
.LBB116_847:
	s_andn2_saveexec_b64 s[16:17], s[16:17]
	s_cbranch_execz .LBB116_849
; %bb.848:
	v_div_scale_f64 v[156:157], s[18:19], v[236:237], v[236:237], v[238:239]
	v_rcp_f64_e32 v[158:159], v[156:157]
	v_div_scale_f64 v[160:161], vcc, v[238:239], v[236:237], v[238:239]
	v_fma_f64 v[162:163], -v[156:157], v[158:159], 1.0
	v_fmac_f64_e32 v[158:159], v[158:159], v[162:163]
	v_fma_f64 v[162:163], -v[156:157], v[158:159], 1.0
	v_fmac_f64_e32 v[158:159], v[158:159], v[162:163]
	v_mul_f64 v[162:163], v[160:161], v[158:159]
	v_fma_f64 v[156:157], -v[156:157], v[162:163], v[160:161]
	v_div_fmas_f64 v[156:157], v[156:157], v[158:159], v[162:163]
	v_div_fixup_f64 v[156:157], v[156:157], v[236:237], v[238:239]
	v_fmac_f64_e32 v[236:237], v[238:239], v[156:157]
	v_div_scale_f64 v[158:159], s[18:19], v[236:237], v[236:237], 1.0
	v_rcp_f64_e32 v[160:161], v[158:159]
	s_nop 0
	v_fma_f64 v[162:163], -v[158:159], v[160:161], 1.0
	v_fmac_f64_e32 v[160:161], v[160:161], v[162:163]
	v_fma_f64 v[162:163], -v[158:159], v[160:161], 1.0
	v_fmac_f64_e32 v[160:161], v[160:161], v[162:163]
	v_div_scale_f64 v[162:163], vcc, 1.0, v[236:237], 1.0
	v_mul_f64 v[216:217], v[162:163], v[160:161]
	v_fma_f64 v[158:159], -v[158:159], v[216:217], v[162:163]
	s_nop 1
	v_div_fmas_f64 v[158:159], v[158:159], v[160:161], v[216:217]
	v_div_fixup_f64 v[236:237], v[158:159], v[236:237], 1.0
	v_mul_f64 v[238:239], v[156:157], -v[236:237]
.LBB116_849:
	s_or_b64 exec, exec, s[16:17]
.LBB116_850:
	s_or_b64 exec, exec, s[0:1]
	v_cmp_ne_u32_e32 vcc, v249, v246
	s_and_saveexec_b64 s[0:1], vcc
	s_xor_b64 s[0:1], exec, s[0:1]
	s_cbranch_execz .LBB116_856
; %bb.851:
	v_cmp_eq_u32_e32 vcc, 40, v249
	s_and_saveexec_b64 s[16:17], vcc
	s_cbranch_execz .LBB116_855
; %bb.852:
	v_cmp_ne_u32_e32 vcc, 40, v246
	s_xor_b64 s[18:19], s[14:15], -1
	s_and_b64 s[22:23], s[18:19], vcc
	s_and_saveexec_b64 s[18:19], s[22:23]
	s_cbranch_execz .LBB116_854
; %bb.853:
	scratch_load_dwordx2 v[8:9], off, off offset:16 ; 8-byte Folded Reload
	v_ashrrev_i32_e32 v247, 31, v246
	s_waitcnt vmcnt(0)
	v_lshl_add_u64 v[156:157], v[246:247], 2, v[8:9]
	global_load_dword v158, v[156:157], off
	global_load_dword v159, v[8:9], off offset:160
	s_waitcnt vmcnt(1)
	global_store_dword v[8:9], v158, off offset:160
	s_waitcnt vmcnt(1)
	global_store_dword v[156:157], v159, off
.LBB116_854:
	s_or_b64 exec, exec, s[18:19]
	v_mov_b32_e32 v249, v246
	v_mov_b32_e32 v218, v246
.LBB116_855:
	s_or_b64 exec, exec, s[16:17]
.LBB116_856:
	s_andn2_saveexec_b64 s[0:1], s[0:1]
	s_cbranch_execz .LBB116_858
; %bb.857:
	v_mov_b32_e32 v249, 40
	ds_write2_b64 v248, v[64:65], v[66:67] offset0:82 offset1:83
	ds_write2_b64 v248, v[60:61], v[62:63] offset0:84 offset1:85
	;; [unrolled: 1-line block ×18, first 2 shown]
.LBB116_858:
	s_or_b64 exec, exec, s[0:1]
	v_cmp_lt_i32_e32 vcc, 40, v249
	s_waitcnt lgkmcnt(0)
	s_barrier
	s_and_saveexec_b64 s[0:1], vcc
	s_cbranch_execz .LBB116_860
; %bb.859:
	v_mul_f64 v[156:157], v[238:239], v[70:71]
	v_mul_f64 v[70:71], v[236:237], v[70:71]
	v_fma_f64 v[246:247], v[236:237], v[68:69], -v[156:157]
	v_fmac_f64_e32 v[70:71], v[238:239], v[68:69]
	ds_read2_b64 v[236:239], v248 offset0:82 offset1:83
	s_waitcnt lgkmcnt(0)
	v_mul_f64 v[68:69], v[238:239], v[70:71]
	v_mul_f64 v[156:157], v[236:237], v[70:71]
	v_fma_f64 v[68:69], v[236:237], v[246:247], -v[68:69]
	v_fmac_f64_e32 v[156:157], v[238:239], v[246:247]
	ds_read2_b64 v[236:239], v248 offset0:84 offset1:85
	v_add_f64 v[64:65], v[64:65], -v[68:69]
	v_add_f64 v[66:67], v[66:67], -v[156:157]
	s_waitcnt lgkmcnt(0)
	v_mul_f64 v[68:69], v[238:239], v[70:71]
	v_mul_f64 v[156:157], v[236:237], v[70:71]
	v_fma_f64 v[68:69], v[236:237], v[246:247], -v[68:69]
	v_fmac_f64_e32 v[156:157], v[238:239], v[246:247]
	ds_read2_b64 v[236:239], v248 offset0:86 offset1:87
	v_add_f64 v[60:61], v[60:61], -v[68:69]
	v_add_f64 v[62:63], v[62:63], -v[156:157]
	;; [unrolled: 8-line block ×17, first 2 shown]
	s_waitcnt lgkmcnt(0)
	v_mul_f64 v[68:69], v[238:239], v[70:71]
	v_mul_f64 v[156:157], v[236:237], v[70:71]
	v_fma_f64 v[68:69], v[236:237], v[246:247], -v[68:69]
	v_fmac_f64_e32 v[156:157], v[238:239], v[246:247]
	v_add_f64 v[232:233], v[232:233], -v[68:69]
	v_add_f64 v[234:235], v[234:235], -v[156:157]
	v_mov_b64_e32 v[68:69], v[246:247]
.LBB116_860:
	s_or_b64 exec, exec, s[0:1]
	v_lshl_add_u32 v156, v249, 4, v248
	s_barrier
	ds_write2_b64 v156, v[64:65], v[66:67] offset1:1
	s_waitcnt lgkmcnt(0)
	s_barrier
	ds_read2_b64 v[236:239], v248 offset0:82 offset1:83
	s_cmp_lt_i32 s20, 43
	v_mov_b32_e32 v246, 41
	s_cbranch_scc1 .LBB116_863
; %bb.861:
	v_add_u32_e32 v247, 0x2a0, v248
	s_mov_b32 s0, 42
	v_mov_b32_e32 v246, 41
.LBB116_862:                            ; =>This Inner Loop Header: Depth=1
	ds_read2_b64 v[242:245], v247 offset1:1
	s_waitcnt lgkmcnt(1)
	v_cmp_gt_f64_e32 vcc, 0, v[236:237]
	v_xor_b32_e32 v156, 0x80000000, v237
	v_xor_b32_e32 v158, 0x80000000, v239
	v_cndmask_b32_e32 v157, v237, v156, vcc
	v_cmp_gt_f64_e32 vcc, 0, v[238:239]
	v_mov_b32_e32 v156, v236
	s_waitcnt lgkmcnt(0)
	v_xor_b32_e32 v160, 0x80000000, v245
	v_cndmask_b32_e32 v159, v239, v158, vcc
	v_mov_b32_e32 v158, v238
	v_add_f64 v[156:157], v[156:157], v[158:159]
	v_cmp_gt_f64_e32 vcc, 0, v[242:243]
	v_xor_b32_e32 v158, 0x80000000, v243
	v_add_u32_e32 v247, 16, v247
	v_cndmask_b32_e32 v159, v243, v158, vcc
	v_cmp_gt_f64_e32 vcc, 0, v[244:245]
	v_mov_b32_e32 v158, v242
	s_nop 0
	v_cndmask_b32_e32 v161, v245, v160, vcc
	v_mov_b32_e32 v160, v244
	v_add_f64 v[158:159], v[158:159], v[160:161]
	v_cmp_lt_f64_e32 vcc, v[156:157], v[158:159]
	v_mov_b32_e32 v156, s0
	s_add_i32 s0, s0, 1
	v_cndmask_b32_e32 v237, v237, v243, vcc
	v_cndmask_b32_e32 v236, v236, v242, vcc
	;; [unrolled: 1-line block ×5, first 2 shown]
	s_cmp_lg_u32 s20, s0
	s_cbranch_scc1 .LBB116_862
.LBB116_863:
	s_waitcnt lgkmcnt(0)
	v_cmp_eq_f64_e32 vcc, 0, v[236:237]
	v_cmp_eq_f64_e64 s[0:1], 0, v[238:239]
	s_and_b64 s[0:1], vcc, s[0:1]
	s_and_saveexec_b64 s[16:17], s[0:1]
	s_xor_b64 s[0:1], exec, s[16:17]
; %bb.864:
	v_cmp_ne_u32_e32 vcc, 0, v250
	s_nop 1
	v_cndmask_b32_e32 v250, 42, v250, vcc
; %bb.865:
	s_andn2_saveexec_b64 s[0:1], s[0:1]
	s_cbranch_execz .LBB116_871
; %bb.866:
	v_cmp_ngt_f64_e64 s[16:17], |v[236:237]|, |v[238:239]|
	s_and_saveexec_b64 s[18:19], s[16:17]
	s_xor_b64 s[16:17], exec, s[18:19]
	s_cbranch_execz .LBB116_868
; %bb.867:
	v_div_scale_f64 v[156:157], s[18:19], v[238:239], v[238:239], v[236:237]
	v_rcp_f64_e32 v[158:159], v[156:157]
	v_div_scale_f64 v[160:161], vcc, v[236:237], v[238:239], v[236:237]
	v_fma_f64 v[162:163], -v[156:157], v[158:159], 1.0
	v_fmac_f64_e32 v[158:159], v[158:159], v[162:163]
	v_fma_f64 v[162:163], -v[156:157], v[158:159], 1.0
	v_fmac_f64_e32 v[158:159], v[158:159], v[162:163]
	v_mul_f64 v[162:163], v[160:161], v[158:159]
	v_fma_f64 v[156:157], -v[156:157], v[162:163], v[160:161]
	v_div_fmas_f64 v[156:157], v[156:157], v[158:159], v[162:163]
	v_div_fixup_f64 v[156:157], v[156:157], v[238:239], v[236:237]
	v_fmac_f64_e32 v[238:239], v[236:237], v[156:157]
	v_div_scale_f64 v[158:159], s[18:19], v[238:239], v[238:239], 1.0
	v_rcp_f64_e32 v[160:161], v[158:159]
	s_nop 0
	v_fma_f64 v[162:163], -v[158:159], v[160:161], 1.0
	v_fmac_f64_e32 v[160:161], v[160:161], v[162:163]
	v_fma_f64 v[162:163], -v[158:159], v[160:161], 1.0
	v_fmac_f64_e32 v[160:161], v[160:161], v[162:163]
	v_div_scale_f64 v[162:163], vcc, 1.0, v[238:239], 1.0
	v_mul_f64 v[216:217], v[162:163], v[160:161]
	v_fma_f64 v[158:159], -v[158:159], v[216:217], v[162:163]
	s_nop 1
	v_div_fmas_f64 v[158:159], v[158:159], v[160:161], v[216:217]
	v_div_fixup_f64 v[238:239], v[158:159], v[238:239], 1.0
	v_mul_f64 v[236:237], v[156:157], v[238:239]
	v_xor_b32_e32 v239, 0x80000000, v239
.LBB116_868:
	s_andn2_saveexec_b64 s[16:17], s[16:17]
	s_cbranch_execz .LBB116_870
; %bb.869:
	v_div_scale_f64 v[156:157], s[18:19], v[236:237], v[236:237], v[238:239]
	v_rcp_f64_e32 v[158:159], v[156:157]
	v_div_scale_f64 v[160:161], vcc, v[238:239], v[236:237], v[238:239]
	v_fma_f64 v[162:163], -v[156:157], v[158:159], 1.0
	v_fmac_f64_e32 v[158:159], v[158:159], v[162:163]
	v_fma_f64 v[162:163], -v[156:157], v[158:159], 1.0
	v_fmac_f64_e32 v[158:159], v[158:159], v[162:163]
	v_mul_f64 v[162:163], v[160:161], v[158:159]
	v_fma_f64 v[156:157], -v[156:157], v[162:163], v[160:161]
	v_div_fmas_f64 v[156:157], v[156:157], v[158:159], v[162:163]
	v_div_fixup_f64 v[156:157], v[156:157], v[236:237], v[238:239]
	v_fmac_f64_e32 v[236:237], v[238:239], v[156:157]
	v_div_scale_f64 v[158:159], s[18:19], v[236:237], v[236:237], 1.0
	v_rcp_f64_e32 v[160:161], v[158:159]
	s_nop 0
	v_fma_f64 v[162:163], -v[158:159], v[160:161], 1.0
	v_fmac_f64_e32 v[160:161], v[160:161], v[162:163]
	v_fma_f64 v[162:163], -v[158:159], v[160:161], 1.0
	v_fmac_f64_e32 v[160:161], v[160:161], v[162:163]
	v_div_scale_f64 v[162:163], vcc, 1.0, v[236:237], 1.0
	v_mul_f64 v[216:217], v[162:163], v[160:161]
	v_fma_f64 v[158:159], -v[158:159], v[216:217], v[162:163]
	s_nop 1
	v_div_fmas_f64 v[158:159], v[158:159], v[160:161], v[216:217]
	v_div_fixup_f64 v[236:237], v[158:159], v[236:237], 1.0
	v_mul_f64 v[238:239], v[156:157], -v[236:237]
.LBB116_870:
	s_or_b64 exec, exec, s[16:17]
.LBB116_871:
	s_or_b64 exec, exec, s[0:1]
	v_cmp_ne_u32_e32 vcc, v249, v246
	s_and_saveexec_b64 s[0:1], vcc
	s_xor_b64 s[0:1], exec, s[0:1]
	s_cbranch_execz .LBB116_877
; %bb.872:
	v_cmp_eq_u32_e32 vcc, 41, v249
	s_and_saveexec_b64 s[16:17], vcc
	s_cbranch_execz .LBB116_876
; %bb.873:
	v_cmp_ne_u32_e32 vcc, 41, v246
	s_xor_b64 s[18:19], s[14:15], -1
	s_and_b64 s[22:23], s[18:19], vcc
	s_and_saveexec_b64 s[18:19], s[22:23]
	s_cbranch_execz .LBB116_875
; %bb.874:
	scratch_load_dwordx2 v[8:9], off, off offset:16 ; 8-byte Folded Reload
	v_ashrrev_i32_e32 v247, 31, v246
	s_waitcnt vmcnt(0)
	v_lshl_add_u64 v[156:157], v[246:247], 2, v[8:9]
	global_load_dword v158, v[156:157], off
	global_load_dword v159, v[8:9], off offset:164
	s_waitcnt vmcnt(1)
	global_store_dword v[8:9], v158, off offset:164
	s_waitcnt vmcnt(1)
	global_store_dword v[156:157], v159, off
.LBB116_875:
	s_or_b64 exec, exec, s[18:19]
	v_mov_b32_e32 v249, v246
	v_mov_b32_e32 v218, v246
.LBB116_876:
	s_or_b64 exec, exec, s[16:17]
.LBB116_877:
	s_andn2_saveexec_b64 s[0:1], s[0:1]
	s_cbranch_execz .LBB116_879
; %bb.878:
	v_mov_b32_e32 v249, 41
	ds_write2_b64 v248, v[60:61], v[62:63] offset0:84 offset1:85
	ds_write2_b64 v248, v[56:57], v[58:59] offset0:86 offset1:87
	;; [unrolled: 1-line block ×17, first 2 shown]
.LBB116_879:
	s_or_b64 exec, exec, s[0:1]
	v_cmp_lt_i32_e32 vcc, 41, v249
	s_waitcnt lgkmcnt(0)
	s_barrier
	s_and_saveexec_b64 s[0:1], vcc
	s_cbranch_execz .LBB116_881
; %bb.880:
	v_mul_f64 v[156:157], v[238:239], v[66:67]
	v_mul_f64 v[66:67], v[236:237], v[66:67]
	v_fma_f64 v[246:247], v[236:237], v[64:65], -v[156:157]
	v_fmac_f64_e32 v[66:67], v[238:239], v[64:65]
	ds_read2_b64 v[236:239], v248 offset0:84 offset1:85
	s_waitcnt lgkmcnt(0)
	v_mul_f64 v[64:65], v[238:239], v[66:67]
	v_mul_f64 v[156:157], v[236:237], v[66:67]
	v_fma_f64 v[64:65], v[236:237], v[246:247], -v[64:65]
	v_fmac_f64_e32 v[156:157], v[238:239], v[246:247]
	ds_read2_b64 v[236:239], v248 offset0:86 offset1:87
	v_add_f64 v[60:61], v[60:61], -v[64:65]
	v_add_f64 v[62:63], v[62:63], -v[156:157]
	s_waitcnt lgkmcnt(0)
	v_mul_f64 v[64:65], v[238:239], v[66:67]
	v_mul_f64 v[156:157], v[236:237], v[66:67]
	v_fma_f64 v[64:65], v[236:237], v[246:247], -v[64:65]
	v_fmac_f64_e32 v[156:157], v[238:239], v[246:247]
	ds_read2_b64 v[236:239], v248 offset0:88 offset1:89
	v_add_f64 v[56:57], v[56:57], -v[64:65]
	v_add_f64 v[58:59], v[58:59], -v[156:157]
	;; [unrolled: 8-line block ×16, first 2 shown]
	s_waitcnt lgkmcnt(0)
	v_mul_f64 v[64:65], v[238:239], v[66:67]
	v_mul_f64 v[156:157], v[236:237], v[66:67]
	v_fma_f64 v[64:65], v[236:237], v[246:247], -v[64:65]
	v_fmac_f64_e32 v[156:157], v[238:239], v[246:247]
	v_add_f64 v[232:233], v[232:233], -v[64:65]
	v_add_f64 v[234:235], v[234:235], -v[156:157]
	v_mov_b64_e32 v[64:65], v[246:247]
.LBB116_881:
	s_or_b64 exec, exec, s[0:1]
	v_lshl_add_u32 v156, v249, 4, v248
	s_barrier
	ds_write2_b64 v156, v[60:61], v[62:63] offset1:1
	s_waitcnt lgkmcnt(0)
	s_barrier
	ds_read2_b64 v[236:239], v248 offset0:84 offset1:85
	s_cmp_lt_i32 s20, 44
	v_mov_b32_e32 v246, 42
	s_cbranch_scc1 .LBB116_884
; %bb.882:
	v_add_u32_e32 v247, 0x2b0, v248
	s_mov_b32 s0, 43
	v_mov_b32_e32 v246, 42
.LBB116_883:                            ; =>This Inner Loop Header: Depth=1
	ds_read2_b64 v[242:245], v247 offset1:1
	s_waitcnt lgkmcnt(1)
	v_cmp_gt_f64_e32 vcc, 0, v[236:237]
	v_xor_b32_e32 v156, 0x80000000, v237
	v_xor_b32_e32 v158, 0x80000000, v239
	v_cndmask_b32_e32 v157, v237, v156, vcc
	v_cmp_gt_f64_e32 vcc, 0, v[238:239]
	v_mov_b32_e32 v156, v236
	s_waitcnt lgkmcnt(0)
	v_xor_b32_e32 v160, 0x80000000, v245
	v_cndmask_b32_e32 v159, v239, v158, vcc
	v_mov_b32_e32 v158, v238
	v_add_f64 v[156:157], v[156:157], v[158:159]
	v_cmp_gt_f64_e32 vcc, 0, v[242:243]
	v_xor_b32_e32 v158, 0x80000000, v243
	v_add_u32_e32 v247, 16, v247
	v_cndmask_b32_e32 v159, v243, v158, vcc
	v_cmp_gt_f64_e32 vcc, 0, v[244:245]
	v_mov_b32_e32 v158, v242
	s_nop 0
	v_cndmask_b32_e32 v161, v245, v160, vcc
	v_mov_b32_e32 v160, v244
	v_add_f64 v[158:159], v[158:159], v[160:161]
	v_cmp_lt_f64_e32 vcc, v[156:157], v[158:159]
	v_mov_b32_e32 v156, s0
	s_add_i32 s0, s0, 1
	v_cndmask_b32_e32 v237, v237, v243, vcc
	v_cndmask_b32_e32 v236, v236, v242, vcc
	;; [unrolled: 1-line block ×5, first 2 shown]
	s_cmp_lg_u32 s20, s0
	s_cbranch_scc1 .LBB116_883
.LBB116_884:
	s_waitcnt lgkmcnt(0)
	v_cmp_eq_f64_e32 vcc, 0, v[236:237]
	v_cmp_eq_f64_e64 s[0:1], 0, v[238:239]
	s_and_b64 s[0:1], vcc, s[0:1]
	s_and_saveexec_b64 s[16:17], s[0:1]
	s_xor_b64 s[0:1], exec, s[16:17]
; %bb.885:
	v_cmp_ne_u32_e32 vcc, 0, v250
	s_nop 1
	v_cndmask_b32_e32 v250, 43, v250, vcc
; %bb.886:
	s_andn2_saveexec_b64 s[0:1], s[0:1]
	s_cbranch_execz .LBB116_892
; %bb.887:
	v_cmp_ngt_f64_e64 s[16:17], |v[236:237]|, |v[238:239]|
	s_and_saveexec_b64 s[18:19], s[16:17]
	s_xor_b64 s[16:17], exec, s[18:19]
	s_cbranch_execz .LBB116_889
; %bb.888:
	v_div_scale_f64 v[156:157], s[18:19], v[238:239], v[238:239], v[236:237]
	v_rcp_f64_e32 v[158:159], v[156:157]
	v_div_scale_f64 v[160:161], vcc, v[236:237], v[238:239], v[236:237]
	v_fma_f64 v[162:163], -v[156:157], v[158:159], 1.0
	v_fmac_f64_e32 v[158:159], v[158:159], v[162:163]
	v_fma_f64 v[162:163], -v[156:157], v[158:159], 1.0
	v_fmac_f64_e32 v[158:159], v[158:159], v[162:163]
	v_mul_f64 v[162:163], v[160:161], v[158:159]
	v_fma_f64 v[156:157], -v[156:157], v[162:163], v[160:161]
	v_div_fmas_f64 v[156:157], v[156:157], v[158:159], v[162:163]
	v_div_fixup_f64 v[156:157], v[156:157], v[238:239], v[236:237]
	v_fmac_f64_e32 v[238:239], v[236:237], v[156:157]
	v_div_scale_f64 v[158:159], s[18:19], v[238:239], v[238:239], 1.0
	v_rcp_f64_e32 v[160:161], v[158:159]
	s_nop 0
	v_fma_f64 v[162:163], -v[158:159], v[160:161], 1.0
	v_fmac_f64_e32 v[160:161], v[160:161], v[162:163]
	v_fma_f64 v[162:163], -v[158:159], v[160:161], 1.0
	v_fmac_f64_e32 v[160:161], v[160:161], v[162:163]
	v_div_scale_f64 v[162:163], vcc, 1.0, v[238:239], 1.0
	v_mul_f64 v[216:217], v[162:163], v[160:161]
	v_fma_f64 v[158:159], -v[158:159], v[216:217], v[162:163]
	s_nop 1
	v_div_fmas_f64 v[158:159], v[158:159], v[160:161], v[216:217]
	v_div_fixup_f64 v[238:239], v[158:159], v[238:239], 1.0
	v_mul_f64 v[236:237], v[156:157], v[238:239]
	v_xor_b32_e32 v239, 0x80000000, v239
.LBB116_889:
	s_andn2_saveexec_b64 s[16:17], s[16:17]
	s_cbranch_execz .LBB116_891
; %bb.890:
	v_div_scale_f64 v[156:157], s[18:19], v[236:237], v[236:237], v[238:239]
	v_rcp_f64_e32 v[158:159], v[156:157]
	v_div_scale_f64 v[160:161], vcc, v[238:239], v[236:237], v[238:239]
	v_fma_f64 v[162:163], -v[156:157], v[158:159], 1.0
	v_fmac_f64_e32 v[158:159], v[158:159], v[162:163]
	v_fma_f64 v[162:163], -v[156:157], v[158:159], 1.0
	v_fmac_f64_e32 v[158:159], v[158:159], v[162:163]
	v_mul_f64 v[162:163], v[160:161], v[158:159]
	v_fma_f64 v[156:157], -v[156:157], v[162:163], v[160:161]
	v_div_fmas_f64 v[156:157], v[156:157], v[158:159], v[162:163]
	v_div_fixup_f64 v[156:157], v[156:157], v[236:237], v[238:239]
	v_fmac_f64_e32 v[236:237], v[238:239], v[156:157]
	v_div_scale_f64 v[158:159], s[18:19], v[236:237], v[236:237], 1.0
	v_rcp_f64_e32 v[160:161], v[158:159]
	s_nop 0
	v_fma_f64 v[162:163], -v[158:159], v[160:161], 1.0
	v_fmac_f64_e32 v[160:161], v[160:161], v[162:163]
	v_fma_f64 v[162:163], -v[158:159], v[160:161], 1.0
	v_fmac_f64_e32 v[160:161], v[160:161], v[162:163]
	v_div_scale_f64 v[162:163], vcc, 1.0, v[236:237], 1.0
	v_mul_f64 v[216:217], v[162:163], v[160:161]
	v_fma_f64 v[158:159], -v[158:159], v[216:217], v[162:163]
	s_nop 1
	v_div_fmas_f64 v[158:159], v[158:159], v[160:161], v[216:217]
	v_div_fixup_f64 v[236:237], v[158:159], v[236:237], 1.0
	v_mul_f64 v[238:239], v[156:157], -v[236:237]
.LBB116_891:
	s_or_b64 exec, exec, s[16:17]
.LBB116_892:
	s_or_b64 exec, exec, s[0:1]
	v_cmp_ne_u32_e32 vcc, v249, v246
	s_and_saveexec_b64 s[0:1], vcc
	s_xor_b64 s[0:1], exec, s[0:1]
	s_cbranch_execz .LBB116_898
; %bb.893:
	v_cmp_eq_u32_e32 vcc, 42, v249
	s_and_saveexec_b64 s[16:17], vcc
	s_cbranch_execz .LBB116_897
; %bb.894:
	v_cmp_ne_u32_e32 vcc, 42, v246
	s_xor_b64 s[18:19], s[14:15], -1
	s_and_b64 s[22:23], s[18:19], vcc
	s_and_saveexec_b64 s[18:19], s[22:23]
	s_cbranch_execz .LBB116_896
; %bb.895:
	scratch_load_dwordx2 v[8:9], off, off offset:16 ; 8-byte Folded Reload
	v_ashrrev_i32_e32 v247, 31, v246
	s_waitcnt vmcnt(0)
	v_lshl_add_u64 v[156:157], v[246:247], 2, v[8:9]
	global_load_dword v158, v[156:157], off
	global_load_dword v159, v[8:9], off offset:168
	s_waitcnt vmcnt(1)
	global_store_dword v[8:9], v158, off offset:168
	s_waitcnt vmcnt(1)
	global_store_dword v[156:157], v159, off
.LBB116_896:
	s_or_b64 exec, exec, s[18:19]
	v_mov_b32_e32 v249, v246
	v_mov_b32_e32 v218, v246
.LBB116_897:
	s_or_b64 exec, exec, s[16:17]
.LBB116_898:
	s_andn2_saveexec_b64 s[0:1], s[0:1]
	s_cbranch_execz .LBB116_900
; %bb.899:
	v_mov_b32_e32 v249, 42
	ds_write2_b64 v248, v[56:57], v[58:59] offset0:86 offset1:87
	ds_write2_b64 v248, v[52:53], v[54:55] offset0:88 offset1:89
	ds_write2_b64 v248, v[48:49], v[50:51] offset0:90 offset1:91
	ds_write2_b64 v248, v[44:45], v[46:47] offset0:92 offset1:93
	ds_write2_b64 v248, v[40:41], v[42:43] offset0:94 offset1:95
	ds_write2_b64 v248, v[36:37], v[38:39] offset0:96 offset1:97
	ds_write2_b64 v248, v[32:33], v[34:35] offset0:98 offset1:99
	ds_write2_b64 v248, v[28:29], v[30:31] offset0:100 offset1:101
	ds_write2_b64 v248, v[24:25], v[26:27] offset0:102 offset1:103
	ds_write2_b64 v248, v[20:21], v[22:23] offset0:104 offset1:105
	ds_write2_b64 v248, v[16:17], v[18:19] offset0:106 offset1:107
	ds_write2_b64 v248, v[12:13], v[14:15] offset0:108 offset1:109
	ds_write2_b64 v248, v[252:253], v[254:255] offset0:110 offset1:111
	ds_write2_b64 v248, v[224:225], v[226:227] offset0:112 offset1:113
	ds_write2_b64 v248, v[220:221], v[222:223] offset0:114 offset1:115
	ds_write2_b64 v248, v[232:233], v[234:235] offset0:116 offset1:117
.LBB116_900:
	s_or_b64 exec, exec, s[0:1]
	v_cmp_lt_i32_e32 vcc, 42, v249
	s_waitcnt lgkmcnt(0)
	s_barrier
	s_and_saveexec_b64 s[0:1], vcc
	s_cbranch_execz .LBB116_902
; %bb.901:
	v_mul_f64 v[246:247], v[236:237], v[62:63]
	v_mul_f64 v[62:63], v[238:239], v[62:63]
	v_fmac_f64_e32 v[246:247], v[238:239], v[60:61]
	v_fma_f64 v[60:61], v[236:237], v[60:61], -v[62:63]
	ds_read2_b64 v[236:239], v248 offset0:86 offset1:87
	s_waitcnt lgkmcnt(0)
	v_mul_f64 v[62:63], v[238:239], v[246:247]
	v_mul_f64 v[156:157], v[236:237], v[246:247]
	v_fma_f64 v[62:63], v[236:237], v[60:61], -v[62:63]
	v_fmac_f64_e32 v[156:157], v[238:239], v[60:61]
	ds_read2_b64 v[236:239], v248 offset0:88 offset1:89
	v_add_f64 v[56:57], v[56:57], -v[62:63]
	v_add_f64 v[58:59], v[58:59], -v[156:157]
	s_waitcnt lgkmcnt(0)
	v_mul_f64 v[62:63], v[238:239], v[246:247]
	v_mul_f64 v[156:157], v[236:237], v[246:247]
	v_fma_f64 v[62:63], v[236:237], v[60:61], -v[62:63]
	v_fmac_f64_e32 v[156:157], v[238:239], v[60:61]
	ds_read2_b64 v[236:239], v248 offset0:90 offset1:91
	v_add_f64 v[52:53], v[52:53], -v[62:63]
	v_add_f64 v[54:55], v[54:55], -v[156:157]
	;; [unrolled: 8-line block ×15, first 2 shown]
	s_waitcnt lgkmcnt(0)
	v_mul_f64 v[62:63], v[238:239], v[246:247]
	v_mul_f64 v[156:157], v[236:237], v[246:247]
	v_fma_f64 v[62:63], v[236:237], v[60:61], -v[62:63]
	v_fmac_f64_e32 v[156:157], v[238:239], v[60:61]
	v_add_f64 v[232:233], v[232:233], -v[62:63]
	v_add_f64 v[234:235], v[234:235], -v[156:157]
	v_mov_b64_e32 v[62:63], v[246:247]
.LBB116_902:
	s_or_b64 exec, exec, s[0:1]
	v_lshl_add_u32 v156, v249, 4, v248
	s_barrier
	ds_write2_b64 v156, v[56:57], v[58:59] offset1:1
	s_waitcnt lgkmcnt(0)
	s_barrier
	ds_read2_b64 v[236:239], v248 offset0:86 offset1:87
	s_cmp_lt_i32 s20, 45
	v_mov_b32_e32 v246, 43
	s_cbranch_scc1 .LBB116_905
; %bb.903:
	v_add_u32_e32 v247, 0x2c0, v248
	s_mov_b32 s0, 44
	v_mov_b32_e32 v246, 43
.LBB116_904:                            ; =>This Inner Loop Header: Depth=1
	ds_read2_b64 v[242:245], v247 offset1:1
	s_waitcnt lgkmcnt(1)
	v_cmp_gt_f64_e32 vcc, 0, v[236:237]
	v_xor_b32_e32 v156, 0x80000000, v237
	v_xor_b32_e32 v158, 0x80000000, v239
	v_cndmask_b32_e32 v157, v237, v156, vcc
	v_cmp_gt_f64_e32 vcc, 0, v[238:239]
	v_mov_b32_e32 v156, v236
	s_waitcnt lgkmcnt(0)
	v_xor_b32_e32 v160, 0x80000000, v245
	v_cndmask_b32_e32 v159, v239, v158, vcc
	v_mov_b32_e32 v158, v238
	v_add_f64 v[156:157], v[156:157], v[158:159]
	v_cmp_gt_f64_e32 vcc, 0, v[242:243]
	v_xor_b32_e32 v158, 0x80000000, v243
	v_add_u32_e32 v247, 16, v247
	v_cndmask_b32_e32 v159, v243, v158, vcc
	v_cmp_gt_f64_e32 vcc, 0, v[244:245]
	v_mov_b32_e32 v158, v242
	s_nop 0
	v_cndmask_b32_e32 v161, v245, v160, vcc
	v_mov_b32_e32 v160, v244
	v_add_f64 v[158:159], v[158:159], v[160:161]
	v_cmp_lt_f64_e32 vcc, v[156:157], v[158:159]
	v_mov_b32_e32 v156, s0
	s_add_i32 s0, s0, 1
	v_cndmask_b32_e32 v237, v237, v243, vcc
	v_cndmask_b32_e32 v236, v236, v242, vcc
	;; [unrolled: 1-line block ×5, first 2 shown]
	s_cmp_lg_u32 s20, s0
	s_cbranch_scc1 .LBB116_904
.LBB116_905:
	s_waitcnt lgkmcnt(0)
	v_cmp_eq_f64_e32 vcc, 0, v[236:237]
	v_cmp_eq_f64_e64 s[0:1], 0, v[238:239]
	s_and_b64 s[0:1], vcc, s[0:1]
	s_and_saveexec_b64 s[16:17], s[0:1]
	s_xor_b64 s[0:1], exec, s[16:17]
; %bb.906:
	v_cmp_ne_u32_e32 vcc, 0, v250
	s_nop 1
	v_cndmask_b32_e32 v250, 44, v250, vcc
; %bb.907:
	s_andn2_saveexec_b64 s[0:1], s[0:1]
	s_cbranch_execz .LBB116_913
; %bb.908:
	v_cmp_ngt_f64_e64 s[16:17], |v[236:237]|, |v[238:239]|
	s_and_saveexec_b64 s[18:19], s[16:17]
	s_xor_b64 s[16:17], exec, s[18:19]
	s_cbranch_execz .LBB116_910
; %bb.909:
	v_div_scale_f64 v[156:157], s[18:19], v[238:239], v[238:239], v[236:237]
	v_rcp_f64_e32 v[158:159], v[156:157]
	v_div_scale_f64 v[160:161], vcc, v[236:237], v[238:239], v[236:237]
	v_fma_f64 v[162:163], -v[156:157], v[158:159], 1.0
	v_fmac_f64_e32 v[158:159], v[158:159], v[162:163]
	v_fma_f64 v[162:163], -v[156:157], v[158:159], 1.0
	v_fmac_f64_e32 v[158:159], v[158:159], v[162:163]
	v_mul_f64 v[162:163], v[160:161], v[158:159]
	v_fma_f64 v[156:157], -v[156:157], v[162:163], v[160:161]
	v_div_fmas_f64 v[156:157], v[156:157], v[158:159], v[162:163]
	v_div_fixup_f64 v[156:157], v[156:157], v[238:239], v[236:237]
	v_fmac_f64_e32 v[238:239], v[236:237], v[156:157]
	v_div_scale_f64 v[158:159], s[18:19], v[238:239], v[238:239], 1.0
	v_rcp_f64_e32 v[160:161], v[158:159]
	s_nop 0
	v_fma_f64 v[162:163], -v[158:159], v[160:161], 1.0
	v_fmac_f64_e32 v[160:161], v[160:161], v[162:163]
	v_fma_f64 v[162:163], -v[158:159], v[160:161], 1.0
	v_fmac_f64_e32 v[160:161], v[160:161], v[162:163]
	v_div_scale_f64 v[162:163], vcc, 1.0, v[238:239], 1.0
	v_mul_f64 v[216:217], v[162:163], v[160:161]
	v_fma_f64 v[158:159], -v[158:159], v[216:217], v[162:163]
	s_nop 1
	v_div_fmas_f64 v[158:159], v[158:159], v[160:161], v[216:217]
	v_div_fixup_f64 v[238:239], v[158:159], v[238:239], 1.0
	v_mul_f64 v[236:237], v[156:157], v[238:239]
	v_xor_b32_e32 v239, 0x80000000, v239
.LBB116_910:
	s_andn2_saveexec_b64 s[16:17], s[16:17]
	s_cbranch_execz .LBB116_912
; %bb.911:
	v_div_scale_f64 v[156:157], s[18:19], v[236:237], v[236:237], v[238:239]
	v_rcp_f64_e32 v[158:159], v[156:157]
	v_div_scale_f64 v[160:161], vcc, v[238:239], v[236:237], v[238:239]
	v_fma_f64 v[162:163], -v[156:157], v[158:159], 1.0
	v_fmac_f64_e32 v[158:159], v[158:159], v[162:163]
	v_fma_f64 v[162:163], -v[156:157], v[158:159], 1.0
	v_fmac_f64_e32 v[158:159], v[158:159], v[162:163]
	v_mul_f64 v[162:163], v[160:161], v[158:159]
	v_fma_f64 v[156:157], -v[156:157], v[162:163], v[160:161]
	v_div_fmas_f64 v[156:157], v[156:157], v[158:159], v[162:163]
	v_div_fixup_f64 v[156:157], v[156:157], v[236:237], v[238:239]
	v_fmac_f64_e32 v[236:237], v[238:239], v[156:157]
	v_div_scale_f64 v[158:159], s[18:19], v[236:237], v[236:237], 1.0
	v_rcp_f64_e32 v[160:161], v[158:159]
	s_nop 0
	v_fma_f64 v[162:163], -v[158:159], v[160:161], 1.0
	v_fmac_f64_e32 v[160:161], v[160:161], v[162:163]
	v_fma_f64 v[162:163], -v[158:159], v[160:161], 1.0
	v_fmac_f64_e32 v[160:161], v[160:161], v[162:163]
	v_div_scale_f64 v[162:163], vcc, 1.0, v[236:237], 1.0
	v_mul_f64 v[216:217], v[162:163], v[160:161]
	v_fma_f64 v[158:159], -v[158:159], v[216:217], v[162:163]
	s_nop 1
	v_div_fmas_f64 v[158:159], v[158:159], v[160:161], v[216:217]
	v_div_fixup_f64 v[236:237], v[158:159], v[236:237], 1.0
	v_mul_f64 v[238:239], v[156:157], -v[236:237]
.LBB116_912:
	s_or_b64 exec, exec, s[16:17]
.LBB116_913:
	s_or_b64 exec, exec, s[0:1]
	v_cmp_ne_u32_e32 vcc, v249, v246
	s_and_saveexec_b64 s[0:1], vcc
	s_xor_b64 s[0:1], exec, s[0:1]
	s_cbranch_execz .LBB116_919
; %bb.914:
	v_cmp_eq_u32_e32 vcc, 43, v249
	s_and_saveexec_b64 s[16:17], vcc
	s_cbranch_execz .LBB116_918
; %bb.915:
	v_cmp_ne_u32_e32 vcc, 43, v246
	s_xor_b64 s[18:19], s[14:15], -1
	s_and_b64 s[22:23], s[18:19], vcc
	s_and_saveexec_b64 s[18:19], s[22:23]
	s_cbranch_execz .LBB116_917
; %bb.916:
	scratch_load_dwordx2 v[8:9], off, off offset:16 ; 8-byte Folded Reload
	v_ashrrev_i32_e32 v247, 31, v246
	s_waitcnt vmcnt(0)
	v_lshl_add_u64 v[156:157], v[246:247], 2, v[8:9]
	global_load_dword v158, v[156:157], off
	global_load_dword v159, v[8:9], off offset:172
	s_waitcnt vmcnt(1)
	global_store_dword v[8:9], v158, off offset:172
	s_waitcnt vmcnt(1)
	global_store_dword v[156:157], v159, off
.LBB116_917:
	s_or_b64 exec, exec, s[18:19]
	v_mov_b32_e32 v249, v246
	v_mov_b32_e32 v218, v246
.LBB116_918:
	s_or_b64 exec, exec, s[16:17]
.LBB116_919:
	s_andn2_saveexec_b64 s[0:1], s[0:1]
	s_cbranch_execz .LBB116_921
; %bb.920:
	v_mov_b32_e32 v249, 43
	ds_write2_b64 v248, v[52:53], v[54:55] offset0:88 offset1:89
	ds_write2_b64 v248, v[48:49], v[50:51] offset0:90 offset1:91
	;; [unrolled: 1-line block ×15, first 2 shown]
.LBB116_921:
	s_or_b64 exec, exec, s[0:1]
	v_cmp_lt_i32_e32 vcc, 43, v249
	s_waitcnt lgkmcnt(0)
	s_barrier
	s_and_saveexec_b64 s[0:1], vcc
	s_cbranch_execz .LBB116_923
; %bb.922:
	v_mul_f64 v[246:247], v[236:237], v[58:59]
	v_mul_f64 v[58:59], v[238:239], v[58:59]
	v_fmac_f64_e32 v[246:247], v[238:239], v[56:57]
	v_fma_f64 v[56:57], v[236:237], v[56:57], -v[58:59]
	ds_read2_b64 v[236:239], v248 offset0:88 offset1:89
	s_waitcnt lgkmcnt(0)
	v_mul_f64 v[58:59], v[238:239], v[246:247]
	v_mul_f64 v[156:157], v[236:237], v[246:247]
	v_fma_f64 v[58:59], v[236:237], v[56:57], -v[58:59]
	v_fmac_f64_e32 v[156:157], v[238:239], v[56:57]
	ds_read2_b64 v[236:239], v248 offset0:90 offset1:91
	v_add_f64 v[52:53], v[52:53], -v[58:59]
	v_add_f64 v[54:55], v[54:55], -v[156:157]
	s_waitcnt lgkmcnt(0)
	v_mul_f64 v[58:59], v[238:239], v[246:247]
	v_mul_f64 v[156:157], v[236:237], v[246:247]
	v_fma_f64 v[58:59], v[236:237], v[56:57], -v[58:59]
	v_fmac_f64_e32 v[156:157], v[238:239], v[56:57]
	ds_read2_b64 v[236:239], v248 offset0:92 offset1:93
	v_add_f64 v[48:49], v[48:49], -v[58:59]
	v_add_f64 v[50:51], v[50:51], -v[156:157]
	;; [unrolled: 8-line block ×14, first 2 shown]
	s_waitcnt lgkmcnt(0)
	v_mul_f64 v[58:59], v[238:239], v[246:247]
	v_mul_f64 v[156:157], v[236:237], v[246:247]
	v_fma_f64 v[58:59], v[236:237], v[56:57], -v[58:59]
	v_fmac_f64_e32 v[156:157], v[238:239], v[56:57]
	v_add_f64 v[232:233], v[232:233], -v[58:59]
	v_add_f64 v[234:235], v[234:235], -v[156:157]
	v_mov_b64_e32 v[58:59], v[246:247]
.LBB116_923:
	s_or_b64 exec, exec, s[0:1]
	v_lshl_add_u32 v156, v249, 4, v248
	s_barrier
	ds_write2_b64 v156, v[52:53], v[54:55] offset1:1
	s_waitcnt lgkmcnt(0)
	s_barrier
	ds_read2_b64 v[236:239], v248 offset0:88 offset1:89
	s_cmp_lt_i32 s20, 46
	v_mov_b32_e32 v246, 44
	s_cbranch_scc1 .LBB116_926
; %bb.924:
	v_add_u32_e32 v247, 0x2d0, v248
	s_mov_b32 s0, 45
	v_mov_b32_e32 v246, 44
.LBB116_925:                            ; =>This Inner Loop Header: Depth=1
	ds_read2_b64 v[242:245], v247 offset1:1
	s_waitcnt lgkmcnt(1)
	v_cmp_gt_f64_e32 vcc, 0, v[236:237]
	v_xor_b32_e32 v156, 0x80000000, v237
	v_xor_b32_e32 v158, 0x80000000, v239
	v_cndmask_b32_e32 v157, v237, v156, vcc
	v_cmp_gt_f64_e32 vcc, 0, v[238:239]
	v_mov_b32_e32 v156, v236
	s_waitcnt lgkmcnt(0)
	v_xor_b32_e32 v160, 0x80000000, v245
	v_cndmask_b32_e32 v159, v239, v158, vcc
	v_mov_b32_e32 v158, v238
	v_add_f64 v[156:157], v[156:157], v[158:159]
	v_cmp_gt_f64_e32 vcc, 0, v[242:243]
	v_xor_b32_e32 v158, 0x80000000, v243
	v_add_u32_e32 v247, 16, v247
	v_cndmask_b32_e32 v159, v243, v158, vcc
	v_cmp_gt_f64_e32 vcc, 0, v[244:245]
	v_mov_b32_e32 v158, v242
	s_nop 0
	v_cndmask_b32_e32 v161, v245, v160, vcc
	v_mov_b32_e32 v160, v244
	v_add_f64 v[158:159], v[158:159], v[160:161]
	v_cmp_lt_f64_e32 vcc, v[156:157], v[158:159]
	v_mov_b32_e32 v156, s0
	s_add_i32 s0, s0, 1
	v_cndmask_b32_e32 v237, v237, v243, vcc
	v_cndmask_b32_e32 v236, v236, v242, vcc
	;; [unrolled: 1-line block ×5, first 2 shown]
	s_cmp_lg_u32 s20, s0
	s_cbranch_scc1 .LBB116_925
.LBB116_926:
	s_waitcnt lgkmcnt(0)
	v_cmp_eq_f64_e32 vcc, 0, v[236:237]
	v_cmp_eq_f64_e64 s[0:1], 0, v[238:239]
	s_and_b64 s[0:1], vcc, s[0:1]
	s_and_saveexec_b64 s[16:17], s[0:1]
	s_xor_b64 s[0:1], exec, s[16:17]
; %bb.927:
	v_cmp_ne_u32_e32 vcc, 0, v250
	s_nop 1
	v_cndmask_b32_e32 v250, 45, v250, vcc
; %bb.928:
	s_andn2_saveexec_b64 s[0:1], s[0:1]
	s_cbranch_execz .LBB116_934
; %bb.929:
	v_cmp_ngt_f64_e64 s[16:17], |v[236:237]|, |v[238:239]|
	s_and_saveexec_b64 s[18:19], s[16:17]
	s_xor_b64 s[16:17], exec, s[18:19]
	s_cbranch_execz .LBB116_931
; %bb.930:
	v_div_scale_f64 v[156:157], s[18:19], v[238:239], v[238:239], v[236:237]
	v_rcp_f64_e32 v[158:159], v[156:157]
	v_div_scale_f64 v[160:161], vcc, v[236:237], v[238:239], v[236:237]
	v_fma_f64 v[162:163], -v[156:157], v[158:159], 1.0
	v_fmac_f64_e32 v[158:159], v[158:159], v[162:163]
	v_fma_f64 v[162:163], -v[156:157], v[158:159], 1.0
	v_fmac_f64_e32 v[158:159], v[158:159], v[162:163]
	v_mul_f64 v[162:163], v[160:161], v[158:159]
	v_fma_f64 v[156:157], -v[156:157], v[162:163], v[160:161]
	v_div_fmas_f64 v[156:157], v[156:157], v[158:159], v[162:163]
	v_div_fixup_f64 v[156:157], v[156:157], v[238:239], v[236:237]
	v_fmac_f64_e32 v[238:239], v[236:237], v[156:157]
	v_div_scale_f64 v[158:159], s[18:19], v[238:239], v[238:239], 1.0
	v_rcp_f64_e32 v[160:161], v[158:159]
	s_nop 0
	v_fma_f64 v[162:163], -v[158:159], v[160:161], 1.0
	v_fmac_f64_e32 v[160:161], v[160:161], v[162:163]
	v_fma_f64 v[162:163], -v[158:159], v[160:161], 1.0
	v_fmac_f64_e32 v[160:161], v[160:161], v[162:163]
	v_div_scale_f64 v[162:163], vcc, 1.0, v[238:239], 1.0
	v_mul_f64 v[216:217], v[162:163], v[160:161]
	v_fma_f64 v[158:159], -v[158:159], v[216:217], v[162:163]
	s_nop 1
	v_div_fmas_f64 v[158:159], v[158:159], v[160:161], v[216:217]
	v_div_fixup_f64 v[238:239], v[158:159], v[238:239], 1.0
	v_mul_f64 v[236:237], v[156:157], v[238:239]
	v_xor_b32_e32 v239, 0x80000000, v239
.LBB116_931:
	s_andn2_saveexec_b64 s[16:17], s[16:17]
	s_cbranch_execz .LBB116_933
; %bb.932:
	v_div_scale_f64 v[156:157], s[18:19], v[236:237], v[236:237], v[238:239]
	v_rcp_f64_e32 v[158:159], v[156:157]
	v_div_scale_f64 v[160:161], vcc, v[238:239], v[236:237], v[238:239]
	v_fma_f64 v[162:163], -v[156:157], v[158:159], 1.0
	v_fmac_f64_e32 v[158:159], v[158:159], v[162:163]
	v_fma_f64 v[162:163], -v[156:157], v[158:159], 1.0
	v_fmac_f64_e32 v[158:159], v[158:159], v[162:163]
	v_mul_f64 v[162:163], v[160:161], v[158:159]
	v_fma_f64 v[156:157], -v[156:157], v[162:163], v[160:161]
	v_div_fmas_f64 v[156:157], v[156:157], v[158:159], v[162:163]
	v_div_fixup_f64 v[156:157], v[156:157], v[236:237], v[238:239]
	v_fmac_f64_e32 v[236:237], v[238:239], v[156:157]
	v_div_scale_f64 v[158:159], s[18:19], v[236:237], v[236:237], 1.0
	v_rcp_f64_e32 v[160:161], v[158:159]
	s_nop 0
	v_fma_f64 v[162:163], -v[158:159], v[160:161], 1.0
	v_fmac_f64_e32 v[160:161], v[160:161], v[162:163]
	v_fma_f64 v[162:163], -v[158:159], v[160:161], 1.0
	v_fmac_f64_e32 v[160:161], v[160:161], v[162:163]
	v_div_scale_f64 v[162:163], vcc, 1.0, v[236:237], 1.0
	v_mul_f64 v[216:217], v[162:163], v[160:161]
	v_fma_f64 v[158:159], -v[158:159], v[216:217], v[162:163]
	s_nop 1
	v_div_fmas_f64 v[158:159], v[158:159], v[160:161], v[216:217]
	v_div_fixup_f64 v[236:237], v[158:159], v[236:237], 1.0
	v_mul_f64 v[238:239], v[156:157], -v[236:237]
.LBB116_933:
	s_or_b64 exec, exec, s[16:17]
.LBB116_934:
	s_or_b64 exec, exec, s[0:1]
	v_cmp_ne_u32_e32 vcc, v249, v246
	s_and_saveexec_b64 s[0:1], vcc
	s_xor_b64 s[0:1], exec, s[0:1]
	s_cbranch_execz .LBB116_940
; %bb.935:
	v_cmp_eq_u32_e32 vcc, 44, v249
	s_and_saveexec_b64 s[16:17], vcc
	s_cbranch_execz .LBB116_939
; %bb.936:
	v_cmp_ne_u32_e32 vcc, 44, v246
	s_xor_b64 s[18:19], s[14:15], -1
	s_and_b64 s[22:23], s[18:19], vcc
	s_and_saveexec_b64 s[18:19], s[22:23]
	s_cbranch_execz .LBB116_938
; %bb.937:
	scratch_load_dwordx2 v[8:9], off, off offset:16 ; 8-byte Folded Reload
	v_ashrrev_i32_e32 v247, 31, v246
	s_waitcnt vmcnt(0)
	v_lshl_add_u64 v[156:157], v[246:247], 2, v[8:9]
	global_load_dword v158, v[156:157], off
	global_load_dword v159, v[8:9], off offset:176
	s_waitcnt vmcnt(1)
	global_store_dword v[8:9], v158, off offset:176
	s_waitcnt vmcnt(1)
	global_store_dword v[156:157], v159, off
.LBB116_938:
	s_or_b64 exec, exec, s[18:19]
	v_mov_b32_e32 v249, v246
	v_mov_b32_e32 v218, v246
.LBB116_939:
	s_or_b64 exec, exec, s[16:17]
.LBB116_940:
	s_andn2_saveexec_b64 s[0:1], s[0:1]
	s_cbranch_execz .LBB116_942
; %bb.941:
	v_mov_b32_e32 v249, 44
	ds_write2_b64 v248, v[48:49], v[50:51] offset0:90 offset1:91
	ds_write2_b64 v248, v[44:45], v[46:47] offset0:92 offset1:93
	;; [unrolled: 1-line block ×14, first 2 shown]
.LBB116_942:
	s_or_b64 exec, exec, s[0:1]
	v_cmp_lt_i32_e32 vcc, 44, v249
	s_waitcnt lgkmcnt(0)
	s_barrier
	s_and_saveexec_b64 s[0:1], vcc
	s_cbranch_execz .LBB116_944
; %bb.943:
	v_mul_f64 v[246:247], v[236:237], v[54:55]
	v_mul_f64 v[54:55], v[238:239], v[54:55]
	v_fmac_f64_e32 v[246:247], v[238:239], v[52:53]
	v_fma_f64 v[52:53], v[236:237], v[52:53], -v[54:55]
	ds_read2_b64 v[236:239], v248 offset0:90 offset1:91
	s_waitcnt lgkmcnt(0)
	v_mul_f64 v[54:55], v[238:239], v[246:247]
	v_mul_f64 v[156:157], v[236:237], v[246:247]
	v_fma_f64 v[54:55], v[236:237], v[52:53], -v[54:55]
	v_fmac_f64_e32 v[156:157], v[238:239], v[52:53]
	ds_read2_b64 v[236:239], v248 offset0:92 offset1:93
	v_add_f64 v[48:49], v[48:49], -v[54:55]
	v_add_f64 v[50:51], v[50:51], -v[156:157]
	s_waitcnt lgkmcnt(0)
	v_mul_f64 v[54:55], v[238:239], v[246:247]
	v_mul_f64 v[156:157], v[236:237], v[246:247]
	v_fma_f64 v[54:55], v[236:237], v[52:53], -v[54:55]
	v_fmac_f64_e32 v[156:157], v[238:239], v[52:53]
	ds_read2_b64 v[236:239], v248 offset0:94 offset1:95
	v_add_f64 v[44:45], v[44:45], -v[54:55]
	v_add_f64 v[46:47], v[46:47], -v[156:157]
	;; [unrolled: 8-line block ×13, first 2 shown]
	s_waitcnt lgkmcnt(0)
	v_mul_f64 v[54:55], v[238:239], v[246:247]
	v_mul_f64 v[156:157], v[236:237], v[246:247]
	v_fma_f64 v[54:55], v[236:237], v[52:53], -v[54:55]
	v_fmac_f64_e32 v[156:157], v[238:239], v[52:53]
	v_add_f64 v[232:233], v[232:233], -v[54:55]
	v_add_f64 v[234:235], v[234:235], -v[156:157]
	v_mov_b64_e32 v[54:55], v[246:247]
.LBB116_944:
	s_or_b64 exec, exec, s[0:1]
	v_lshl_add_u32 v156, v249, 4, v248
	s_barrier
	ds_write2_b64 v156, v[48:49], v[50:51] offset1:1
	s_waitcnt lgkmcnt(0)
	s_barrier
	ds_read2_b64 v[236:239], v248 offset0:90 offset1:91
	s_cmp_lt_i32 s20, 47
	v_mov_b32_e32 v246, 45
	s_cbranch_scc1 .LBB116_947
; %bb.945:
	v_add_u32_e32 v247, 0x2e0, v248
	s_mov_b32 s0, 46
	v_mov_b32_e32 v246, 45
.LBB116_946:                            ; =>This Inner Loop Header: Depth=1
	ds_read2_b64 v[242:245], v247 offset1:1
	s_waitcnt lgkmcnt(1)
	v_cmp_gt_f64_e32 vcc, 0, v[236:237]
	v_xor_b32_e32 v156, 0x80000000, v237
	v_xor_b32_e32 v158, 0x80000000, v239
	v_cndmask_b32_e32 v157, v237, v156, vcc
	v_cmp_gt_f64_e32 vcc, 0, v[238:239]
	v_mov_b32_e32 v156, v236
	s_waitcnt lgkmcnt(0)
	v_xor_b32_e32 v160, 0x80000000, v245
	v_cndmask_b32_e32 v159, v239, v158, vcc
	v_mov_b32_e32 v158, v238
	v_add_f64 v[156:157], v[156:157], v[158:159]
	v_cmp_gt_f64_e32 vcc, 0, v[242:243]
	v_xor_b32_e32 v158, 0x80000000, v243
	v_add_u32_e32 v247, 16, v247
	v_cndmask_b32_e32 v159, v243, v158, vcc
	v_cmp_gt_f64_e32 vcc, 0, v[244:245]
	v_mov_b32_e32 v158, v242
	s_nop 0
	v_cndmask_b32_e32 v161, v245, v160, vcc
	v_mov_b32_e32 v160, v244
	v_add_f64 v[158:159], v[158:159], v[160:161]
	v_cmp_lt_f64_e32 vcc, v[156:157], v[158:159]
	v_mov_b32_e32 v156, s0
	s_add_i32 s0, s0, 1
	v_cndmask_b32_e32 v237, v237, v243, vcc
	v_cndmask_b32_e32 v236, v236, v242, vcc
	v_cndmask_b32_e32 v239, v239, v245, vcc
	v_cndmask_b32_e32 v238, v238, v244, vcc
	v_cndmask_b32_e32 v246, v246, v156, vcc
	s_cmp_lg_u32 s20, s0
	s_cbranch_scc1 .LBB116_946
.LBB116_947:
	s_waitcnt lgkmcnt(0)
	v_cmp_eq_f64_e32 vcc, 0, v[236:237]
	v_cmp_eq_f64_e64 s[0:1], 0, v[238:239]
	s_and_b64 s[0:1], vcc, s[0:1]
	s_and_saveexec_b64 s[16:17], s[0:1]
	s_xor_b64 s[0:1], exec, s[16:17]
; %bb.948:
	v_cmp_ne_u32_e32 vcc, 0, v250
	s_nop 1
	v_cndmask_b32_e32 v250, 46, v250, vcc
; %bb.949:
	s_andn2_saveexec_b64 s[0:1], s[0:1]
	s_cbranch_execz .LBB116_955
; %bb.950:
	v_cmp_ngt_f64_e64 s[16:17], |v[236:237]|, |v[238:239]|
	s_and_saveexec_b64 s[18:19], s[16:17]
	s_xor_b64 s[16:17], exec, s[18:19]
	s_cbranch_execz .LBB116_952
; %bb.951:
	v_div_scale_f64 v[156:157], s[18:19], v[238:239], v[238:239], v[236:237]
	v_rcp_f64_e32 v[158:159], v[156:157]
	v_div_scale_f64 v[160:161], vcc, v[236:237], v[238:239], v[236:237]
	v_fma_f64 v[162:163], -v[156:157], v[158:159], 1.0
	v_fmac_f64_e32 v[158:159], v[158:159], v[162:163]
	v_fma_f64 v[162:163], -v[156:157], v[158:159], 1.0
	v_fmac_f64_e32 v[158:159], v[158:159], v[162:163]
	v_mul_f64 v[162:163], v[160:161], v[158:159]
	v_fma_f64 v[156:157], -v[156:157], v[162:163], v[160:161]
	v_div_fmas_f64 v[156:157], v[156:157], v[158:159], v[162:163]
	v_div_fixup_f64 v[156:157], v[156:157], v[238:239], v[236:237]
	v_fmac_f64_e32 v[238:239], v[236:237], v[156:157]
	v_div_scale_f64 v[158:159], s[18:19], v[238:239], v[238:239], 1.0
	v_rcp_f64_e32 v[160:161], v[158:159]
	s_nop 0
	v_fma_f64 v[162:163], -v[158:159], v[160:161], 1.0
	v_fmac_f64_e32 v[160:161], v[160:161], v[162:163]
	v_fma_f64 v[162:163], -v[158:159], v[160:161], 1.0
	v_fmac_f64_e32 v[160:161], v[160:161], v[162:163]
	v_div_scale_f64 v[162:163], vcc, 1.0, v[238:239], 1.0
	v_mul_f64 v[216:217], v[162:163], v[160:161]
	v_fma_f64 v[158:159], -v[158:159], v[216:217], v[162:163]
	s_nop 1
	v_div_fmas_f64 v[158:159], v[158:159], v[160:161], v[216:217]
	v_div_fixup_f64 v[238:239], v[158:159], v[238:239], 1.0
	v_mul_f64 v[236:237], v[156:157], v[238:239]
	v_xor_b32_e32 v239, 0x80000000, v239
.LBB116_952:
	s_andn2_saveexec_b64 s[16:17], s[16:17]
	s_cbranch_execz .LBB116_954
; %bb.953:
	v_div_scale_f64 v[156:157], s[18:19], v[236:237], v[236:237], v[238:239]
	v_rcp_f64_e32 v[158:159], v[156:157]
	v_div_scale_f64 v[160:161], vcc, v[238:239], v[236:237], v[238:239]
	v_fma_f64 v[162:163], -v[156:157], v[158:159], 1.0
	v_fmac_f64_e32 v[158:159], v[158:159], v[162:163]
	v_fma_f64 v[162:163], -v[156:157], v[158:159], 1.0
	v_fmac_f64_e32 v[158:159], v[158:159], v[162:163]
	v_mul_f64 v[162:163], v[160:161], v[158:159]
	v_fma_f64 v[156:157], -v[156:157], v[162:163], v[160:161]
	v_div_fmas_f64 v[156:157], v[156:157], v[158:159], v[162:163]
	v_div_fixup_f64 v[156:157], v[156:157], v[236:237], v[238:239]
	v_fmac_f64_e32 v[236:237], v[238:239], v[156:157]
	v_div_scale_f64 v[158:159], s[18:19], v[236:237], v[236:237], 1.0
	v_rcp_f64_e32 v[160:161], v[158:159]
	s_nop 0
	v_fma_f64 v[162:163], -v[158:159], v[160:161], 1.0
	v_fmac_f64_e32 v[160:161], v[160:161], v[162:163]
	v_fma_f64 v[162:163], -v[158:159], v[160:161], 1.0
	v_fmac_f64_e32 v[160:161], v[160:161], v[162:163]
	v_div_scale_f64 v[162:163], vcc, 1.0, v[236:237], 1.0
	v_mul_f64 v[216:217], v[162:163], v[160:161]
	v_fma_f64 v[158:159], -v[158:159], v[216:217], v[162:163]
	s_nop 1
	v_div_fmas_f64 v[158:159], v[158:159], v[160:161], v[216:217]
	v_div_fixup_f64 v[236:237], v[158:159], v[236:237], 1.0
	v_mul_f64 v[238:239], v[156:157], -v[236:237]
.LBB116_954:
	s_or_b64 exec, exec, s[16:17]
.LBB116_955:
	s_or_b64 exec, exec, s[0:1]
	v_cmp_ne_u32_e32 vcc, v249, v246
	s_and_saveexec_b64 s[0:1], vcc
	s_xor_b64 s[0:1], exec, s[0:1]
	s_cbranch_execz .LBB116_961
; %bb.956:
	v_cmp_eq_u32_e32 vcc, 45, v249
	s_and_saveexec_b64 s[16:17], vcc
	s_cbranch_execz .LBB116_960
; %bb.957:
	v_cmp_ne_u32_e32 vcc, 45, v246
	s_xor_b64 s[18:19], s[14:15], -1
	s_and_b64 s[22:23], s[18:19], vcc
	s_and_saveexec_b64 s[18:19], s[22:23]
	s_cbranch_execz .LBB116_959
; %bb.958:
	scratch_load_dwordx2 v[8:9], off, off offset:16 ; 8-byte Folded Reload
	v_ashrrev_i32_e32 v247, 31, v246
	s_waitcnt vmcnt(0)
	v_lshl_add_u64 v[156:157], v[246:247], 2, v[8:9]
	global_load_dword v158, v[156:157], off
	global_load_dword v159, v[8:9], off offset:180
	s_waitcnt vmcnt(1)
	global_store_dword v[8:9], v158, off offset:180
	s_waitcnt vmcnt(1)
	global_store_dword v[156:157], v159, off
.LBB116_959:
	s_or_b64 exec, exec, s[18:19]
	v_mov_b32_e32 v249, v246
	v_mov_b32_e32 v218, v246
.LBB116_960:
	s_or_b64 exec, exec, s[16:17]
.LBB116_961:
	s_andn2_saveexec_b64 s[0:1], s[0:1]
	s_cbranch_execz .LBB116_963
; %bb.962:
	v_mov_b32_e32 v249, 45
	ds_write2_b64 v248, v[44:45], v[46:47] offset0:92 offset1:93
	ds_write2_b64 v248, v[40:41], v[42:43] offset0:94 offset1:95
	;; [unrolled: 1-line block ×13, first 2 shown]
.LBB116_963:
	s_or_b64 exec, exec, s[0:1]
	v_cmp_lt_i32_e32 vcc, 45, v249
	s_waitcnt lgkmcnt(0)
	s_barrier
	s_and_saveexec_b64 s[0:1], vcc
	s_cbranch_execz .LBB116_965
; %bb.964:
	v_mul_f64 v[246:247], v[236:237], v[50:51]
	v_mul_f64 v[50:51], v[238:239], v[50:51]
	v_fmac_f64_e32 v[246:247], v[238:239], v[48:49]
	v_fma_f64 v[48:49], v[236:237], v[48:49], -v[50:51]
	ds_read2_b64 v[236:239], v248 offset0:92 offset1:93
	s_waitcnt lgkmcnt(0)
	v_mul_f64 v[50:51], v[238:239], v[246:247]
	v_mul_f64 v[156:157], v[236:237], v[246:247]
	v_fma_f64 v[50:51], v[236:237], v[48:49], -v[50:51]
	v_fmac_f64_e32 v[156:157], v[238:239], v[48:49]
	ds_read2_b64 v[236:239], v248 offset0:94 offset1:95
	v_add_f64 v[44:45], v[44:45], -v[50:51]
	v_add_f64 v[46:47], v[46:47], -v[156:157]
	s_waitcnt lgkmcnt(0)
	v_mul_f64 v[50:51], v[238:239], v[246:247]
	v_mul_f64 v[156:157], v[236:237], v[246:247]
	v_fma_f64 v[50:51], v[236:237], v[48:49], -v[50:51]
	v_fmac_f64_e32 v[156:157], v[238:239], v[48:49]
	ds_read2_b64 v[236:239], v248 offset0:96 offset1:97
	v_add_f64 v[40:41], v[40:41], -v[50:51]
	v_add_f64 v[42:43], v[42:43], -v[156:157]
	;; [unrolled: 8-line block ×12, first 2 shown]
	s_waitcnt lgkmcnt(0)
	v_mul_f64 v[50:51], v[238:239], v[246:247]
	v_mul_f64 v[156:157], v[236:237], v[246:247]
	v_fma_f64 v[50:51], v[236:237], v[48:49], -v[50:51]
	v_fmac_f64_e32 v[156:157], v[238:239], v[48:49]
	v_add_f64 v[232:233], v[232:233], -v[50:51]
	v_add_f64 v[234:235], v[234:235], -v[156:157]
	v_mov_b64_e32 v[50:51], v[246:247]
.LBB116_965:
	s_or_b64 exec, exec, s[0:1]
	v_lshl_add_u32 v156, v249, 4, v248
	s_barrier
	ds_write2_b64 v156, v[44:45], v[46:47] offset1:1
	s_waitcnt lgkmcnt(0)
	s_barrier
	ds_read2_b64 v[236:239], v248 offset0:92 offset1:93
	s_cmp_lt_i32 s20, 48
	v_mov_b32_e32 v246, 46
	s_cbranch_scc1 .LBB116_968
; %bb.966:
	v_add_u32_e32 v247, 0x2f0, v248
	s_mov_b32 s0, 47
	v_mov_b32_e32 v246, 46
.LBB116_967:                            ; =>This Inner Loop Header: Depth=1
	ds_read2_b64 v[242:245], v247 offset1:1
	s_waitcnt lgkmcnt(1)
	v_cmp_gt_f64_e32 vcc, 0, v[236:237]
	v_xor_b32_e32 v156, 0x80000000, v237
	v_xor_b32_e32 v158, 0x80000000, v239
	v_cndmask_b32_e32 v157, v237, v156, vcc
	v_cmp_gt_f64_e32 vcc, 0, v[238:239]
	v_mov_b32_e32 v156, v236
	s_waitcnt lgkmcnt(0)
	v_xor_b32_e32 v160, 0x80000000, v245
	v_cndmask_b32_e32 v159, v239, v158, vcc
	v_mov_b32_e32 v158, v238
	v_add_f64 v[156:157], v[156:157], v[158:159]
	v_cmp_gt_f64_e32 vcc, 0, v[242:243]
	v_xor_b32_e32 v158, 0x80000000, v243
	v_add_u32_e32 v247, 16, v247
	v_cndmask_b32_e32 v159, v243, v158, vcc
	v_cmp_gt_f64_e32 vcc, 0, v[244:245]
	v_mov_b32_e32 v158, v242
	s_nop 0
	v_cndmask_b32_e32 v161, v245, v160, vcc
	v_mov_b32_e32 v160, v244
	v_add_f64 v[158:159], v[158:159], v[160:161]
	v_cmp_lt_f64_e32 vcc, v[156:157], v[158:159]
	v_mov_b32_e32 v156, s0
	s_add_i32 s0, s0, 1
	v_cndmask_b32_e32 v237, v237, v243, vcc
	v_cndmask_b32_e32 v236, v236, v242, vcc
	v_cndmask_b32_e32 v239, v239, v245, vcc
	v_cndmask_b32_e32 v238, v238, v244, vcc
	v_cndmask_b32_e32 v246, v246, v156, vcc
	s_cmp_lg_u32 s20, s0
	s_cbranch_scc1 .LBB116_967
.LBB116_968:
	s_waitcnt lgkmcnt(0)
	v_cmp_eq_f64_e32 vcc, 0, v[236:237]
	v_cmp_eq_f64_e64 s[0:1], 0, v[238:239]
	s_and_b64 s[0:1], vcc, s[0:1]
	s_and_saveexec_b64 s[16:17], s[0:1]
	s_xor_b64 s[0:1], exec, s[16:17]
; %bb.969:
	v_cmp_ne_u32_e32 vcc, 0, v250
	s_nop 1
	v_cndmask_b32_e32 v250, 47, v250, vcc
; %bb.970:
	s_andn2_saveexec_b64 s[0:1], s[0:1]
	s_cbranch_execz .LBB116_976
; %bb.971:
	v_cmp_ngt_f64_e64 s[16:17], |v[236:237]|, |v[238:239]|
	s_and_saveexec_b64 s[18:19], s[16:17]
	s_xor_b64 s[16:17], exec, s[18:19]
	s_cbranch_execz .LBB116_973
; %bb.972:
	v_div_scale_f64 v[156:157], s[18:19], v[238:239], v[238:239], v[236:237]
	v_rcp_f64_e32 v[158:159], v[156:157]
	v_div_scale_f64 v[160:161], vcc, v[236:237], v[238:239], v[236:237]
	v_fma_f64 v[162:163], -v[156:157], v[158:159], 1.0
	v_fmac_f64_e32 v[158:159], v[158:159], v[162:163]
	v_fma_f64 v[162:163], -v[156:157], v[158:159], 1.0
	v_fmac_f64_e32 v[158:159], v[158:159], v[162:163]
	v_mul_f64 v[162:163], v[160:161], v[158:159]
	v_fma_f64 v[156:157], -v[156:157], v[162:163], v[160:161]
	v_div_fmas_f64 v[156:157], v[156:157], v[158:159], v[162:163]
	v_div_fixup_f64 v[156:157], v[156:157], v[238:239], v[236:237]
	v_fmac_f64_e32 v[238:239], v[236:237], v[156:157]
	v_div_scale_f64 v[158:159], s[18:19], v[238:239], v[238:239], 1.0
	v_rcp_f64_e32 v[160:161], v[158:159]
	s_nop 0
	v_fma_f64 v[162:163], -v[158:159], v[160:161], 1.0
	v_fmac_f64_e32 v[160:161], v[160:161], v[162:163]
	v_fma_f64 v[162:163], -v[158:159], v[160:161], 1.0
	v_fmac_f64_e32 v[160:161], v[160:161], v[162:163]
	v_div_scale_f64 v[162:163], vcc, 1.0, v[238:239], 1.0
	v_mul_f64 v[216:217], v[162:163], v[160:161]
	v_fma_f64 v[158:159], -v[158:159], v[216:217], v[162:163]
	s_nop 1
	v_div_fmas_f64 v[158:159], v[158:159], v[160:161], v[216:217]
	v_div_fixup_f64 v[238:239], v[158:159], v[238:239], 1.0
	v_mul_f64 v[236:237], v[156:157], v[238:239]
	v_xor_b32_e32 v239, 0x80000000, v239
.LBB116_973:
	s_andn2_saveexec_b64 s[16:17], s[16:17]
	s_cbranch_execz .LBB116_975
; %bb.974:
	v_div_scale_f64 v[156:157], s[18:19], v[236:237], v[236:237], v[238:239]
	v_rcp_f64_e32 v[158:159], v[156:157]
	v_div_scale_f64 v[160:161], vcc, v[238:239], v[236:237], v[238:239]
	v_fma_f64 v[162:163], -v[156:157], v[158:159], 1.0
	v_fmac_f64_e32 v[158:159], v[158:159], v[162:163]
	v_fma_f64 v[162:163], -v[156:157], v[158:159], 1.0
	v_fmac_f64_e32 v[158:159], v[158:159], v[162:163]
	v_mul_f64 v[162:163], v[160:161], v[158:159]
	v_fma_f64 v[156:157], -v[156:157], v[162:163], v[160:161]
	v_div_fmas_f64 v[156:157], v[156:157], v[158:159], v[162:163]
	v_div_fixup_f64 v[156:157], v[156:157], v[236:237], v[238:239]
	v_fmac_f64_e32 v[236:237], v[238:239], v[156:157]
	v_div_scale_f64 v[158:159], s[18:19], v[236:237], v[236:237], 1.0
	v_rcp_f64_e32 v[160:161], v[158:159]
	s_nop 0
	v_fma_f64 v[162:163], -v[158:159], v[160:161], 1.0
	v_fmac_f64_e32 v[160:161], v[160:161], v[162:163]
	v_fma_f64 v[162:163], -v[158:159], v[160:161], 1.0
	v_fmac_f64_e32 v[160:161], v[160:161], v[162:163]
	v_div_scale_f64 v[162:163], vcc, 1.0, v[236:237], 1.0
	v_mul_f64 v[216:217], v[162:163], v[160:161]
	v_fma_f64 v[158:159], -v[158:159], v[216:217], v[162:163]
	s_nop 1
	v_div_fmas_f64 v[158:159], v[158:159], v[160:161], v[216:217]
	v_div_fixup_f64 v[236:237], v[158:159], v[236:237], 1.0
	v_mul_f64 v[238:239], v[156:157], -v[236:237]
.LBB116_975:
	s_or_b64 exec, exec, s[16:17]
.LBB116_976:
	s_or_b64 exec, exec, s[0:1]
	v_cmp_ne_u32_e32 vcc, v249, v246
	s_and_saveexec_b64 s[0:1], vcc
	s_xor_b64 s[0:1], exec, s[0:1]
	s_cbranch_execz .LBB116_982
; %bb.977:
	v_cmp_eq_u32_e32 vcc, 46, v249
	s_and_saveexec_b64 s[16:17], vcc
	s_cbranch_execz .LBB116_981
; %bb.978:
	v_cmp_ne_u32_e32 vcc, 46, v246
	s_xor_b64 s[18:19], s[14:15], -1
	s_and_b64 s[22:23], s[18:19], vcc
	s_and_saveexec_b64 s[18:19], s[22:23]
	s_cbranch_execz .LBB116_980
; %bb.979:
	scratch_load_dwordx2 v[8:9], off, off offset:16 ; 8-byte Folded Reload
	v_ashrrev_i32_e32 v247, 31, v246
	s_waitcnt vmcnt(0)
	v_lshl_add_u64 v[156:157], v[246:247], 2, v[8:9]
	global_load_dword v158, v[156:157], off
	global_load_dword v159, v[8:9], off offset:184
	s_waitcnt vmcnt(1)
	global_store_dword v[8:9], v158, off offset:184
	s_waitcnt vmcnt(1)
	global_store_dword v[156:157], v159, off
.LBB116_980:
	s_or_b64 exec, exec, s[18:19]
	v_mov_b32_e32 v249, v246
	v_mov_b32_e32 v218, v246
.LBB116_981:
	s_or_b64 exec, exec, s[16:17]
.LBB116_982:
	s_andn2_saveexec_b64 s[0:1], s[0:1]
	s_cbranch_execz .LBB116_984
; %bb.983:
	v_mov_b32_e32 v249, 46
	ds_write2_b64 v248, v[40:41], v[42:43] offset0:94 offset1:95
	ds_write2_b64 v248, v[36:37], v[38:39] offset0:96 offset1:97
	;; [unrolled: 1-line block ×12, first 2 shown]
.LBB116_984:
	s_or_b64 exec, exec, s[0:1]
	v_cmp_lt_i32_e32 vcc, 46, v249
	s_waitcnt lgkmcnt(0)
	s_barrier
	s_and_saveexec_b64 s[0:1], vcc
	s_cbranch_execz .LBB116_986
; %bb.985:
	v_mul_f64 v[246:247], v[236:237], v[46:47]
	v_mul_f64 v[46:47], v[238:239], v[46:47]
	v_fmac_f64_e32 v[246:247], v[238:239], v[44:45]
	v_fma_f64 v[44:45], v[236:237], v[44:45], -v[46:47]
	ds_read2_b64 v[236:239], v248 offset0:94 offset1:95
	s_waitcnt lgkmcnt(0)
	v_mul_f64 v[46:47], v[238:239], v[246:247]
	v_mul_f64 v[156:157], v[236:237], v[246:247]
	v_fma_f64 v[46:47], v[236:237], v[44:45], -v[46:47]
	v_fmac_f64_e32 v[156:157], v[238:239], v[44:45]
	ds_read2_b64 v[236:239], v248 offset0:96 offset1:97
	v_add_f64 v[40:41], v[40:41], -v[46:47]
	v_add_f64 v[42:43], v[42:43], -v[156:157]
	s_waitcnt lgkmcnt(0)
	v_mul_f64 v[46:47], v[238:239], v[246:247]
	v_mul_f64 v[156:157], v[236:237], v[246:247]
	v_fma_f64 v[46:47], v[236:237], v[44:45], -v[46:47]
	v_fmac_f64_e32 v[156:157], v[238:239], v[44:45]
	ds_read2_b64 v[236:239], v248 offset0:98 offset1:99
	v_add_f64 v[36:37], v[36:37], -v[46:47]
	v_add_f64 v[38:39], v[38:39], -v[156:157]
	;; [unrolled: 8-line block ×11, first 2 shown]
	s_waitcnt lgkmcnt(0)
	v_mul_f64 v[46:47], v[238:239], v[246:247]
	v_mul_f64 v[156:157], v[236:237], v[246:247]
	v_fma_f64 v[46:47], v[236:237], v[44:45], -v[46:47]
	v_fmac_f64_e32 v[156:157], v[238:239], v[44:45]
	v_add_f64 v[232:233], v[232:233], -v[46:47]
	v_add_f64 v[234:235], v[234:235], -v[156:157]
	v_mov_b64_e32 v[46:47], v[246:247]
.LBB116_986:
	s_or_b64 exec, exec, s[0:1]
	v_lshl_add_u32 v156, v249, 4, v248
	s_barrier
	ds_write2_b64 v156, v[40:41], v[42:43] offset1:1
	s_waitcnt lgkmcnt(0)
	s_barrier
	ds_read2_b64 v[236:239], v248 offset0:94 offset1:95
	s_cmp_lt_i32 s20, 49
	v_mov_b32_e32 v246, 47
	s_cbranch_scc1 .LBB116_989
; %bb.987:
	v_add_u32_e32 v247, 0x300, v248
	s_mov_b32 s0, 48
	v_mov_b32_e32 v246, 47
.LBB116_988:                            ; =>This Inner Loop Header: Depth=1
	ds_read2_b64 v[242:245], v247 offset1:1
	s_waitcnt lgkmcnt(1)
	v_cmp_gt_f64_e32 vcc, 0, v[236:237]
	v_xor_b32_e32 v156, 0x80000000, v237
	v_xor_b32_e32 v158, 0x80000000, v239
	v_cndmask_b32_e32 v157, v237, v156, vcc
	v_cmp_gt_f64_e32 vcc, 0, v[238:239]
	v_mov_b32_e32 v156, v236
	s_waitcnt lgkmcnt(0)
	v_xor_b32_e32 v160, 0x80000000, v245
	v_cndmask_b32_e32 v159, v239, v158, vcc
	v_mov_b32_e32 v158, v238
	v_add_f64 v[156:157], v[156:157], v[158:159]
	v_cmp_gt_f64_e32 vcc, 0, v[242:243]
	v_xor_b32_e32 v158, 0x80000000, v243
	v_add_u32_e32 v247, 16, v247
	v_cndmask_b32_e32 v159, v243, v158, vcc
	v_cmp_gt_f64_e32 vcc, 0, v[244:245]
	v_mov_b32_e32 v158, v242
	s_nop 0
	v_cndmask_b32_e32 v161, v245, v160, vcc
	v_mov_b32_e32 v160, v244
	v_add_f64 v[158:159], v[158:159], v[160:161]
	v_cmp_lt_f64_e32 vcc, v[156:157], v[158:159]
	v_mov_b32_e32 v156, s0
	s_add_i32 s0, s0, 1
	v_cndmask_b32_e32 v237, v237, v243, vcc
	v_cndmask_b32_e32 v236, v236, v242, vcc
	;; [unrolled: 1-line block ×5, first 2 shown]
	s_cmp_lg_u32 s20, s0
	s_cbranch_scc1 .LBB116_988
.LBB116_989:
	s_waitcnt lgkmcnt(0)
	v_cmp_eq_f64_e32 vcc, 0, v[236:237]
	v_cmp_eq_f64_e64 s[0:1], 0, v[238:239]
	s_and_b64 s[0:1], vcc, s[0:1]
	s_and_saveexec_b64 s[16:17], s[0:1]
	s_xor_b64 s[0:1], exec, s[16:17]
; %bb.990:
	v_cmp_ne_u32_e32 vcc, 0, v250
	s_nop 1
	v_cndmask_b32_e32 v250, 48, v250, vcc
; %bb.991:
	s_andn2_saveexec_b64 s[0:1], s[0:1]
	s_cbranch_execz .LBB116_997
; %bb.992:
	v_cmp_ngt_f64_e64 s[16:17], |v[236:237]|, |v[238:239]|
	s_and_saveexec_b64 s[18:19], s[16:17]
	s_xor_b64 s[16:17], exec, s[18:19]
	s_cbranch_execz .LBB116_994
; %bb.993:
	v_div_scale_f64 v[156:157], s[18:19], v[238:239], v[238:239], v[236:237]
	v_rcp_f64_e32 v[158:159], v[156:157]
	v_div_scale_f64 v[160:161], vcc, v[236:237], v[238:239], v[236:237]
	v_fma_f64 v[162:163], -v[156:157], v[158:159], 1.0
	v_fmac_f64_e32 v[158:159], v[158:159], v[162:163]
	v_fma_f64 v[162:163], -v[156:157], v[158:159], 1.0
	v_fmac_f64_e32 v[158:159], v[158:159], v[162:163]
	v_mul_f64 v[162:163], v[160:161], v[158:159]
	v_fma_f64 v[156:157], -v[156:157], v[162:163], v[160:161]
	v_div_fmas_f64 v[156:157], v[156:157], v[158:159], v[162:163]
	v_div_fixup_f64 v[156:157], v[156:157], v[238:239], v[236:237]
	v_fmac_f64_e32 v[238:239], v[236:237], v[156:157]
	v_div_scale_f64 v[158:159], s[18:19], v[238:239], v[238:239], 1.0
	v_rcp_f64_e32 v[160:161], v[158:159]
	s_nop 0
	v_fma_f64 v[162:163], -v[158:159], v[160:161], 1.0
	v_fmac_f64_e32 v[160:161], v[160:161], v[162:163]
	v_fma_f64 v[162:163], -v[158:159], v[160:161], 1.0
	v_fmac_f64_e32 v[160:161], v[160:161], v[162:163]
	v_div_scale_f64 v[162:163], vcc, 1.0, v[238:239], 1.0
	v_mul_f64 v[216:217], v[162:163], v[160:161]
	v_fma_f64 v[158:159], -v[158:159], v[216:217], v[162:163]
	s_nop 1
	v_div_fmas_f64 v[158:159], v[158:159], v[160:161], v[216:217]
	v_div_fixup_f64 v[238:239], v[158:159], v[238:239], 1.0
	v_mul_f64 v[236:237], v[156:157], v[238:239]
	v_xor_b32_e32 v239, 0x80000000, v239
.LBB116_994:
	s_andn2_saveexec_b64 s[16:17], s[16:17]
	s_cbranch_execz .LBB116_996
; %bb.995:
	v_div_scale_f64 v[156:157], s[18:19], v[236:237], v[236:237], v[238:239]
	v_rcp_f64_e32 v[158:159], v[156:157]
	v_div_scale_f64 v[160:161], vcc, v[238:239], v[236:237], v[238:239]
	v_fma_f64 v[162:163], -v[156:157], v[158:159], 1.0
	v_fmac_f64_e32 v[158:159], v[158:159], v[162:163]
	v_fma_f64 v[162:163], -v[156:157], v[158:159], 1.0
	v_fmac_f64_e32 v[158:159], v[158:159], v[162:163]
	v_mul_f64 v[162:163], v[160:161], v[158:159]
	v_fma_f64 v[156:157], -v[156:157], v[162:163], v[160:161]
	v_div_fmas_f64 v[156:157], v[156:157], v[158:159], v[162:163]
	v_div_fixup_f64 v[156:157], v[156:157], v[236:237], v[238:239]
	v_fmac_f64_e32 v[236:237], v[238:239], v[156:157]
	v_div_scale_f64 v[158:159], s[18:19], v[236:237], v[236:237], 1.0
	v_rcp_f64_e32 v[160:161], v[158:159]
	s_nop 0
	v_fma_f64 v[162:163], -v[158:159], v[160:161], 1.0
	v_fmac_f64_e32 v[160:161], v[160:161], v[162:163]
	v_fma_f64 v[162:163], -v[158:159], v[160:161], 1.0
	v_fmac_f64_e32 v[160:161], v[160:161], v[162:163]
	v_div_scale_f64 v[162:163], vcc, 1.0, v[236:237], 1.0
	v_mul_f64 v[216:217], v[162:163], v[160:161]
	v_fma_f64 v[158:159], -v[158:159], v[216:217], v[162:163]
	s_nop 1
	v_div_fmas_f64 v[158:159], v[158:159], v[160:161], v[216:217]
	v_div_fixup_f64 v[236:237], v[158:159], v[236:237], 1.0
	v_mul_f64 v[238:239], v[156:157], -v[236:237]
.LBB116_996:
	s_or_b64 exec, exec, s[16:17]
.LBB116_997:
	s_or_b64 exec, exec, s[0:1]
	v_cmp_ne_u32_e32 vcc, v249, v246
	s_and_saveexec_b64 s[0:1], vcc
	s_xor_b64 s[0:1], exec, s[0:1]
	s_cbranch_execz .LBB116_1003
; %bb.998:
	v_cmp_eq_u32_e32 vcc, 47, v249
	s_and_saveexec_b64 s[16:17], vcc
	s_cbranch_execz .LBB116_1002
; %bb.999:
	v_cmp_ne_u32_e32 vcc, 47, v246
	s_xor_b64 s[18:19], s[14:15], -1
	s_and_b64 s[22:23], s[18:19], vcc
	s_and_saveexec_b64 s[18:19], s[22:23]
	s_cbranch_execz .LBB116_1001
; %bb.1000:
	scratch_load_dwordx2 v[8:9], off, off offset:16 ; 8-byte Folded Reload
	v_ashrrev_i32_e32 v247, 31, v246
	s_waitcnt vmcnt(0)
	v_lshl_add_u64 v[156:157], v[246:247], 2, v[8:9]
	global_load_dword v158, v[156:157], off
	global_load_dword v159, v[8:9], off offset:188
	s_waitcnt vmcnt(1)
	global_store_dword v[8:9], v158, off offset:188
	s_waitcnt vmcnt(1)
	global_store_dword v[156:157], v159, off
.LBB116_1001:
	s_or_b64 exec, exec, s[18:19]
	v_mov_b32_e32 v249, v246
	v_mov_b32_e32 v218, v246
.LBB116_1002:
	s_or_b64 exec, exec, s[16:17]
.LBB116_1003:
	s_andn2_saveexec_b64 s[0:1], s[0:1]
	s_cbranch_execz .LBB116_1005
; %bb.1004:
	v_mov_b32_e32 v249, 47
	ds_write2_b64 v248, v[36:37], v[38:39] offset0:96 offset1:97
	ds_write2_b64 v248, v[32:33], v[34:35] offset0:98 offset1:99
	;; [unrolled: 1-line block ×11, first 2 shown]
.LBB116_1005:
	s_or_b64 exec, exec, s[0:1]
	v_cmp_lt_i32_e32 vcc, 47, v249
	s_waitcnt lgkmcnt(0)
	s_barrier
	s_and_saveexec_b64 s[0:1], vcc
	s_cbranch_execz .LBB116_1007
; %bb.1006:
	v_mul_f64 v[246:247], v[236:237], v[42:43]
	v_mul_f64 v[42:43], v[238:239], v[42:43]
	v_fmac_f64_e32 v[246:247], v[238:239], v[40:41]
	v_fma_f64 v[40:41], v[236:237], v[40:41], -v[42:43]
	ds_read2_b64 v[236:239], v248 offset0:96 offset1:97
	s_waitcnt lgkmcnt(0)
	v_mul_f64 v[42:43], v[238:239], v[246:247]
	v_mul_f64 v[156:157], v[236:237], v[246:247]
	v_fma_f64 v[42:43], v[236:237], v[40:41], -v[42:43]
	v_fmac_f64_e32 v[156:157], v[238:239], v[40:41]
	ds_read2_b64 v[236:239], v248 offset0:98 offset1:99
	v_add_f64 v[36:37], v[36:37], -v[42:43]
	v_add_f64 v[38:39], v[38:39], -v[156:157]
	s_waitcnt lgkmcnt(0)
	v_mul_f64 v[42:43], v[238:239], v[246:247]
	v_mul_f64 v[156:157], v[236:237], v[246:247]
	v_fma_f64 v[42:43], v[236:237], v[40:41], -v[42:43]
	v_fmac_f64_e32 v[156:157], v[238:239], v[40:41]
	ds_read2_b64 v[236:239], v248 offset0:100 offset1:101
	v_add_f64 v[32:33], v[32:33], -v[42:43]
	v_add_f64 v[34:35], v[34:35], -v[156:157]
	;; [unrolled: 8-line block ×10, first 2 shown]
	s_waitcnt lgkmcnt(0)
	v_mul_f64 v[42:43], v[238:239], v[246:247]
	v_mul_f64 v[156:157], v[236:237], v[246:247]
	v_fma_f64 v[42:43], v[236:237], v[40:41], -v[42:43]
	v_fmac_f64_e32 v[156:157], v[238:239], v[40:41]
	v_add_f64 v[232:233], v[232:233], -v[42:43]
	v_add_f64 v[234:235], v[234:235], -v[156:157]
	v_mov_b64_e32 v[42:43], v[246:247]
.LBB116_1007:
	s_or_b64 exec, exec, s[0:1]
	v_lshl_add_u32 v156, v249, 4, v248
	s_barrier
	ds_write2_b64 v156, v[36:37], v[38:39] offset1:1
	s_waitcnt lgkmcnt(0)
	s_barrier
	ds_read2_b64 v[236:239], v248 offset0:96 offset1:97
	s_cmp_lt_i32 s20, 50
	v_mov_b32_e32 v246, 48
	s_cbranch_scc1 .LBB116_1010
; %bb.1008:
	v_add_u32_e32 v247, 0x310, v248
	s_mov_b32 s0, 49
	v_mov_b32_e32 v246, 48
.LBB116_1009:                           ; =>This Inner Loop Header: Depth=1
	ds_read2_b64 v[242:245], v247 offset1:1
	s_waitcnt lgkmcnt(1)
	v_cmp_gt_f64_e32 vcc, 0, v[236:237]
	v_xor_b32_e32 v156, 0x80000000, v237
	v_xor_b32_e32 v158, 0x80000000, v239
	v_cndmask_b32_e32 v157, v237, v156, vcc
	v_cmp_gt_f64_e32 vcc, 0, v[238:239]
	v_mov_b32_e32 v156, v236
	s_waitcnt lgkmcnt(0)
	v_xor_b32_e32 v160, 0x80000000, v245
	v_cndmask_b32_e32 v159, v239, v158, vcc
	v_mov_b32_e32 v158, v238
	v_add_f64 v[156:157], v[156:157], v[158:159]
	v_cmp_gt_f64_e32 vcc, 0, v[242:243]
	v_xor_b32_e32 v158, 0x80000000, v243
	v_add_u32_e32 v247, 16, v247
	v_cndmask_b32_e32 v159, v243, v158, vcc
	v_cmp_gt_f64_e32 vcc, 0, v[244:245]
	v_mov_b32_e32 v158, v242
	s_nop 0
	v_cndmask_b32_e32 v161, v245, v160, vcc
	v_mov_b32_e32 v160, v244
	v_add_f64 v[158:159], v[158:159], v[160:161]
	v_cmp_lt_f64_e32 vcc, v[156:157], v[158:159]
	v_mov_b32_e32 v156, s0
	s_add_i32 s0, s0, 1
	v_cndmask_b32_e32 v237, v237, v243, vcc
	v_cndmask_b32_e32 v236, v236, v242, vcc
	;; [unrolled: 1-line block ×5, first 2 shown]
	s_cmp_lg_u32 s20, s0
	s_cbranch_scc1 .LBB116_1009
.LBB116_1010:
	s_waitcnt lgkmcnt(0)
	v_cmp_eq_f64_e32 vcc, 0, v[236:237]
	v_cmp_eq_f64_e64 s[0:1], 0, v[238:239]
	s_and_b64 s[0:1], vcc, s[0:1]
	s_and_saveexec_b64 s[16:17], s[0:1]
	s_xor_b64 s[0:1], exec, s[16:17]
; %bb.1011:
	v_cmp_ne_u32_e32 vcc, 0, v250
	s_nop 1
	v_cndmask_b32_e32 v250, 49, v250, vcc
; %bb.1012:
	s_andn2_saveexec_b64 s[0:1], s[0:1]
	s_cbranch_execz .LBB116_1018
; %bb.1013:
	v_cmp_ngt_f64_e64 s[16:17], |v[236:237]|, |v[238:239]|
	s_and_saveexec_b64 s[18:19], s[16:17]
	s_xor_b64 s[16:17], exec, s[18:19]
	s_cbranch_execz .LBB116_1015
; %bb.1014:
	v_div_scale_f64 v[156:157], s[18:19], v[238:239], v[238:239], v[236:237]
	v_rcp_f64_e32 v[158:159], v[156:157]
	v_div_scale_f64 v[160:161], vcc, v[236:237], v[238:239], v[236:237]
	v_fma_f64 v[162:163], -v[156:157], v[158:159], 1.0
	v_fmac_f64_e32 v[158:159], v[158:159], v[162:163]
	v_fma_f64 v[162:163], -v[156:157], v[158:159], 1.0
	v_fmac_f64_e32 v[158:159], v[158:159], v[162:163]
	v_mul_f64 v[162:163], v[160:161], v[158:159]
	v_fma_f64 v[156:157], -v[156:157], v[162:163], v[160:161]
	v_div_fmas_f64 v[156:157], v[156:157], v[158:159], v[162:163]
	v_div_fixup_f64 v[156:157], v[156:157], v[238:239], v[236:237]
	v_fmac_f64_e32 v[238:239], v[236:237], v[156:157]
	v_div_scale_f64 v[158:159], s[18:19], v[238:239], v[238:239], 1.0
	v_rcp_f64_e32 v[160:161], v[158:159]
	s_nop 0
	v_fma_f64 v[162:163], -v[158:159], v[160:161], 1.0
	v_fmac_f64_e32 v[160:161], v[160:161], v[162:163]
	v_fma_f64 v[162:163], -v[158:159], v[160:161], 1.0
	v_fmac_f64_e32 v[160:161], v[160:161], v[162:163]
	v_div_scale_f64 v[162:163], vcc, 1.0, v[238:239], 1.0
	v_mul_f64 v[216:217], v[162:163], v[160:161]
	v_fma_f64 v[158:159], -v[158:159], v[216:217], v[162:163]
	s_nop 1
	v_div_fmas_f64 v[158:159], v[158:159], v[160:161], v[216:217]
	v_div_fixup_f64 v[238:239], v[158:159], v[238:239], 1.0
	v_mul_f64 v[236:237], v[156:157], v[238:239]
	v_xor_b32_e32 v239, 0x80000000, v239
.LBB116_1015:
	s_andn2_saveexec_b64 s[16:17], s[16:17]
	s_cbranch_execz .LBB116_1017
; %bb.1016:
	v_div_scale_f64 v[156:157], s[18:19], v[236:237], v[236:237], v[238:239]
	v_rcp_f64_e32 v[158:159], v[156:157]
	v_div_scale_f64 v[160:161], vcc, v[238:239], v[236:237], v[238:239]
	v_fma_f64 v[162:163], -v[156:157], v[158:159], 1.0
	v_fmac_f64_e32 v[158:159], v[158:159], v[162:163]
	v_fma_f64 v[162:163], -v[156:157], v[158:159], 1.0
	v_fmac_f64_e32 v[158:159], v[158:159], v[162:163]
	v_mul_f64 v[162:163], v[160:161], v[158:159]
	v_fma_f64 v[156:157], -v[156:157], v[162:163], v[160:161]
	v_div_fmas_f64 v[156:157], v[156:157], v[158:159], v[162:163]
	v_div_fixup_f64 v[156:157], v[156:157], v[236:237], v[238:239]
	v_fmac_f64_e32 v[236:237], v[238:239], v[156:157]
	v_div_scale_f64 v[158:159], s[18:19], v[236:237], v[236:237], 1.0
	v_rcp_f64_e32 v[160:161], v[158:159]
	s_nop 0
	v_fma_f64 v[162:163], -v[158:159], v[160:161], 1.0
	v_fmac_f64_e32 v[160:161], v[160:161], v[162:163]
	v_fma_f64 v[162:163], -v[158:159], v[160:161], 1.0
	v_fmac_f64_e32 v[160:161], v[160:161], v[162:163]
	v_div_scale_f64 v[162:163], vcc, 1.0, v[236:237], 1.0
	v_mul_f64 v[216:217], v[162:163], v[160:161]
	v_fma_f64 v[158:159], -v[158:159], v[216:217], v[162:163]
	s_nop 1
	v_div_fmas_f64 v[158:159], v[158:159], v[160:161], v[216:217]
	v_div_fixup_f64 v[236:237], v[158:159], v[236:237], 1.0
	v_mul_f64 v[238:239], v[156:157], -v[236:237]
.LBB116_1017:
	s_or_b64 exec, exec, s[16:17]
.LBB116_1018:
	s_or_b64 exec, exec, s[0:1]
	v_cmp_ne_u32_e32 vcc, v249, v246
	s_and_saveexec_b64 s[0:1], vcc
	s_xor_b64 s[0:1], exec, s[0:1]
	s_cbranch_execz .LBB116_1024
; %bb.1019:
	v_cmp_eq_u32_e32 vcc, 48, v249
	s_and_saveexec_b64 s[16:17], vcc
	s_cbranch_execz .LBB116_1023
; %bb.1020:
	v_cmp_ne_u32_e32 vcc, 48, v246
	s_xor_b64 s[18:19], s[14:15], -1
	s_and_b64 s[22:23], s[18:19], vcc
	s_and_saveexec_b64 s[18:19], s[22:23]
	s_cbranch_execz .LBB116_1022
; %bb.1021:
	scratch_load_dwordx2 v[8:9], off, off offset:16 ; 8-byte Folded Reload
	v_ashrrev_i32_e32 v247, 31, v246
	s_waitcnt vmcnt(0)
	v_lshl_add_u64 v[156:157], v[246:247], 2, v[8:9]
	global_load_dword v158, v[156:157], off
	global_load_dword v159, v[8:9], off offset:192
	s_waitcnt vmcnt(1)
	global_store_dword v[8:9], v158, off offset:192
	s_waitcnt vmcnt(1)
	global_store_dword v[156:157], v159, off
.LBB116_1022:
	s_or_b64 exec, exec, s[18:19]
	v_mov_b32_e32 v249, v246
	v_mov_b32_e32 v218, v246
.LBB116_1023:
	s_or_b64 exec, exec, s[16:17]
.LBB116_1024:
	s_andn2_saveexec_b64 s[0:1], s[0:1]
	s_cbranch_execz .LBB116_1026
; %bb.1025:
	v_mov_b32_e32 v249, 48
	ds_write2_b64 v248, v[32:33], v[34:35] offset0:98 offset1:99
	ds_write2_b64 v248, v[28:29], v[30:31] offset0:100 offset1:101
	;; [unrolled: 1-line block ×10, first 2 shown]
.LBB116_1026:
	s_or_b64 exec, exec, s[0:1]
	v_cmp_lt_i32_e32 vcc, 48, v249
	s_waitcnt lgkmcnt(0)
	s_barrier
	s_and_saveexec_b64 s[0:1], vcc
	s_cbranch_execz .LBB116_1028
; %bb.1027:
	v_mul_f64 v[246:247], v[236:237], v[38:39]
	v_mul_f64 v[38:39], v[238:239], v[38:39]
	v_fmac_f64_e32 v[246:247], v[238:239], v[36:37]
	v_fma_f64 v[36:37], v[236:237], v[36:37], -v[38:39]
	ds_read2_b64 v[236:239], v248 offset0:98 offset1:99
	s_waitcnt lgkmcnt(0)
	v_mul_f64 v[38:39], v[238:239], v[246:247]
	v_mul_f64 v[156:157], v[236:237], v[246:247]
	v_fma_f64 v[38:39], v[236:237], v[36:37], -v[38:39]
	v_fmac_f64_e32 v[156:157], v[238:239], v[36:37]
	ds_read2_b64 v[236:239], v248 offset0:100 offset1:101
	v_add_f64 v[32:33], v[32:33], -v[38:39]
	v_add_f64 v[34:35], v[34:35], -v[156:157]
	s_waitcnt lgkmcnt(0)
	v_mul_f64 v[38:39], v[238:239], v[246:247]
	v_mul_f64 v[156:157], v[236:237], v[246:247]
	v_fma_f64 v[38:39], v[236:237], v[36:37], -v[38:39]
	v_fmac_f64_e32 v[156:157], v[238:239], v[36:37]
	ds_read2_b64 v[236:239], v248 offset0:102 offset1:103
	v_add_f64 v[28:29], v[28:29], -v[38:39]
	v_add_f64 v[30:31], v[30:31], -v[156:157]
	;; [unrolled: 8-line block ×9, first 2 shown]
	s_waitcnt lgkmcnt(0)
	v_mul_f64 v[38:39], v[238:239], v[246:247]
	v_mul_f64 v[156:157], v[236:237], v[246:247]
	v_fma_f64 v[38:39], v[236:237], v[36:37], -v[38:39]
	v_fmac_f64_e32 v[156:157], v[238:239], v[36:37]
	v_add_f64 v[232:233], v[232:233], -v[38:39]
	v_add_f64 v[234:235], v[234:235], -v[156:157]
	v_mov_b64_e32 v[38:39], v[246:247]
.LBB116_1028:
	s_or_b64 exec, exec, s[0:1]
	v_lshl_add_u32 v156, v249, 4, v248
	s_barrier
	ds_write2_b64 v156, v[32:33], v[34:35] offset1:1
	s_waitcnt lgkmcnt(0)
	s_barrier
	ds_read2_b64 v[236:239], v248 offset0:98 offset1:99
	s_cmp_lt_i32 s20, 51
	v_mov_b32_e32 v246, 49
	s_cbranch_scc1 .LBB116_1031
; %bb.1029:
	v_add_u32_e32 v247, 0x320, v248
	s_mov_b32 s0, 50
	v_mov_b32_e32 v246, 49
.LBB116_1030:                           ; =>This Inner Loop Header: Depth=1
	ds_read2_b64 v[242:245], v247 offset1:1
	s_waitcnt lgkmcnt(1)
	v_cmp_gt_f64_e32 vcc, 0, v[236:237]
	v_xor_b32_e32 v156, 0x80000000, v237
	v_xor_b32_e32 v158, 0x80000000, v239
	v_cndmask_b32_e32 v157, v237, v156, vcc
	v_cmp_gt_f64_e32 vcc, 0, v[238:239]
	v_mov_b32_e32 v156, v236
	s_waitcnt lgkmcnt(0)
	v_xor_b32_e32 v160, 0x80000000, v245
	v_cndmask_b32_e32 v159, v239, v158, vcc
	v_mov_b32_e32 v158, v238
	v_add_f64 v[156:157], v[156:157], v[158:159]
	v_cmp_gt_f64_e32 vcc, 0, v[242:243]
	v_xor_b32_e32 v158, 0x80000000, v243
	v_add_u32_e32 v247, 16, v247
	v_cndmask_b32_e32 v159, v243, v158, vcc
	v_cmp_gt_f64_e32 vcc, 0, v[244:245]
	v_mov_b32_e32 v158, v242
	s_nop 0
	v_cndmask_b32_e32 v161, v245, v160, vcc
	v_mov_b32_e32 v160, v244
	v_add_f64 v[158:159], v[158:159], v[160:161]
	v_cmp_lt_f64_e32 vcc, v[156:157], v[158:159]
	v_mov_b32_e32 v156, s0
	s_add_i32 s0, s0, 1
	v_cndmask_b32_e32 v237, v237, v243, vcc
	v_cndmask_b32_e32 v236, v236, v242, vcc
	;; [unrolled: 1-line block ×5, first 2 shown]
	s_cmp_lg_u32 s20, s0
	s_cbranch_scc1 .LBB116_1030
.LBB116_1031:
	s_waitcnt lgkmcnt(0)
	v_cmp_eq_f64_e32 vcc, 0, v[236:237]
	v_cmp_eq_f64_e64 s[0:1], 0, v[238:239]
	s_and_b64 s[0:1], vcc, s[0:1]
	s_and_saveexec_b64 s[16:17], s[0:1]
	s_xor_b64 s[0:1], exec, s[16:17]
; %bb.1032:
	v_cmp_ne_u32_e32 vcc, 0, v250
	s_nop 1
	v_cndmask_b32_e32 v250, 50, v250, vcc
; %bb.1033:
	s_andn2_saveexec_b64 s[0:1], s[0:1]
	s_cbranch_execz .LBB116_1039
; %bb.1034:
	v_cmp_ngt_f64_e64 s[16:17], |v[236:237]|, |v[238:239]|
	s_and_saveexec_b64 s[18:19], s[16:17]
	s_xor_b64 s[16:17], exec, s[18:19]
	s_cbranch_execz .LBB116_1036
; %bb.1035:
	v_div_scale_f64 v[156:157], s[18:19], v[238:239], v[238:239], v[236:237]
	v_rcp_f64_e32 v[158:159], v[156:157]
	v_div_scale_f64 v[160:161], vcc, v[236:237], v[238:239], v[236:237]
	v_fma_f64 v[162:163], -v[156:157], v[158:159], 1.0
	v_fmac_f64_e32 v[158:159], v[158:159], v[162:163]
	v_fma_f64 v[162:163], -v[156:157], v[158:159], 1.0
	v_fmac_f64_e32 v[158:159], v[158:159], v[162:163]
	v_mul_f64 v[162:163], v[160:161], v[158:159]
	v_fma_f64 v[156:157], -v[156:157], v[162:163], v[160:161]
	v_div_fmas_f64 v[156:157], v[156:157], v[158:159], v[162:163]
	v_div_fixup_f64 v[156:157], v[156:157], v[238:239], v[236:237]
	v_fmac_f64_e32 v[238:239], v[236:237], v[156:157]
	v_div_scale_f64 v[158:159], s[18:19], v[238:239], v[238:239], 1.0
	v_rcp_f64_e32 v[160:161], v[158:159]
	s_nop 0
	v_fma_f64 v[162:163], -v[158:159], v[160:161], 1.0
	v_fmac_f64_e32 v[160:161], v[160:161], v[162:163]
	v_fma_f64 v[162:163], -v[158:159], v[160:161], 1.0
	v_fmac_f64_e32 v[160:161], v[160:161], v[162:163]
	v_div_scale_f64 v[162:163], vcc, 1.0, v[238:239], 1.0
	v_mul_f64 v[216:217], v[162:163], v[160:161]
	v_fma_f64 v[158:159], -v[158:159], v[216:217], v[162:163]
	s_nop 1
	v_div_fmas_f64 v[158:159], v[158:159], v[160:161], v[216:217]
	v_div_fixup_f64 v[238:239], v[158:159], v[238:239], 1.0
	v_mul_f64 v[236:237], v[156:157], v[238:239]
	v_xor_b32_e32 v239, 0x80000000, v239
.LBB116_1036:
	s_andn2_saveexec_b64 s[16:17], s[16:17]
	s_cbranch_execz .LBB116_1038
; %bb.1037:
	v_div_scale_f64 v[156:157], s[18:19], v[236:237], v[236:237], v[238:239]
	v_rcp_f64_e32 v[158:159], v[156:157]
	v_div_scale_f64 v[160:161], vcc, v[238:239], v[236:237], v[238:239]
	v_fma_f64 v[162:163], -v[156:157], v[158:159], 1.0
	v_fmac_f64_e32 v[158:159], v[158:159], v[162:163]
	v_fma_f64 v[162:163], -v[156:157], v[158:159], 1.0
	v_fmac_f64_e32 v[158:159], v[158:159], v[162:163]
	v_mul_f64 v[162:163], v[160:161], v[158:159]
	v_fma_f64 v[156:157], -v[156:157], v[162:163], v[160:161]
	v_div_fmas_f64 v[156:157], v[156:157], v[158:159], v[162:163]
	v_div_fixup_f64 v[156:157], v[156:157], v[236:237], v[238:239]
	v_fmac_f64_e32 v[236:237], v[238:239], v[156:157]
	v_div_scale_f64 v[158:159], s[18:19], v[236:237], v[236:237], 1.0
	v_rcp_f64_e32 v[160:161], v[158:159]
	s_nop 0
	v_fma_f64 v[162:163], -v[158:159], v[160:161], 1.0
	v_fmac_f64_e32 v[160:161], v[160:161], v[162:163]
	v_fma_f64 v[162:163], -v[158:159], v[160:161], 1.0
	v_fmac_f64_e32 v[160:161], v[160:161], v[162:163]
	v_div_scale_f64 v[162:163], vcc, 1.0, v[236:237], 1.0
	v_mul_f64 v[216:217], v[162:163], v[160:161]
	v_fma_f64 v[158:159], -v[158:159], v[216:217], v[162:163]
	s_nop 1
	v_div_fmas_f64 v[158:159], v[158:159], v[160:161], v[216:217]
	v_div_fixup_f64 v[236:237], v[158:159], v[236:237], 1.0
	v_mul_f64 v[238:239], v[156:157], -v[236:237]
.LBB116_1038:
	s_or_b64 exec, exec, s[16:17]
.LBB116_1039:
	s_or_b64 exec, exec, s[0:1]
	v_cmp_ne_u32_e32 vcc, v249, v246
	s_and_saveexec_b64 s[0:1], vcc
	s_xor_b64 s[0:1], exec, s[0:1]
	s_cbranch_execz .LBB116_1045
; %bb.1040:
	v_cmp_eq_u32_e32 vcc, 49, v249
	s_and_saveexec_b64 s[16:17], vcc
	s_cbranch_execz .LBB116_1044
; %bb.1041:
	v_cmp_ne_u32_e32 vcc, 49, v246
	s_xor_b64 s[18:19], s[14:15], -1
	s_and_b64 s[22:23], s[18:19], vcc
	s_and_saveexec_b64 s[18:19], s[22:23]
	s_cbranch_execz .LBB116_1043
; %bb.1042:
	scratch_load_dwordx2 v[8:9], off, off offset:16 ; 8-byte Folded Reload
	v_ashrrev_i32_e32 v247, 31, v246
	s_waitcnt vmcnt(0)
	v_lshl_add_u64 v[156:157], v[246:247], 2, v[8:9]
	global_load_dword v158, v[156:157], off
	global_load_dword v159, v[8:9], off offset:196
	s_waitcnt vmcnt(1)
	global_store_dword v[8:9], v158, off offset:196
	s_waitcnt vmcnt(1)
	global_store_dword v[156:157], v159, off
.LBB116_1043:
	s_or_b64 exec, exec, s[18:19]
	v_mov_b32_e32 v249, v246
	v_mov_b32_e32 v218, v246
.LBB116_1044:
	s_or_b64 exec, exec, s[16:17]
.LBB116_1045:
	s_andn2_saveexec_b64 s[0:1], s[0:1]
	s_cbranch_execz .LBB116_1047
; %bb.1046:
	v_mov_b32_e32 v249, 49
	ds_write2_b64 v248, v[28:29], v[30:31] offset0:100 offset1:101
	ds_write2_b64 v248, v[24:25], v[26:27] offset0:102 offset1:103
	ds_write2_b64 v248, v[20:21], v[22:23] offset0:104 offset1:105
	ds_write2_b64 v248, v[16:17], v[18:19] offset0:106 offset1:107
	ds_write2_b64 v248, v[12:13], v[14:15] offset0:108 offset1:109
	ds_write2_b64 v248, v[252:253], v[254:255] offset0:110 offset1:111
	ds_write2_b64 v248, v[224:225], v[226:227] offset0:112 offset1:113
	ds_write2_b64 v248, v[220:221], v[222:223] offset0:114 offset1:115
	ds_write2_b64 v248, v[232:233], v[234:235] offset0:116 offset1:117
.LBB116_1047:
	s_or_b64 exec, exec, s[0:1]
	v_cmp_lt_i32_e32 vcc, 49, v249
	s_waitcnt lgkmcnt(0)
	s_barrier
	s_and_saveexec_b64 s[0:1], vcc
	s_cbranch_execz .LBB116_1049
; %bb.1048:
	v_mul_f64 v[246:247], v[236:237], v[34:35]
	v_mul_f64 v[34:35], v[238:239], v[34:35]
	v_fmac_f64_e32 v[246:247], v[238:239], v[32:33]
	v_fma_f64 v[32:33], v[236:237], v[32:33], -v[34:35]
	ds_read2_b64 v[236:239], v248 offset0:100 offset1:101
	s_waitcnt lgkmcnt(0)
	v_mul_f64 v[34:35], v[238:239], v[246:247]
	v_mul_f64 v[156:157], v[236:237], v[246:247]
	v_fma_f64 v[34:35], v[236:237], v[32:33], -v[34:35]
	v_fmac_f64_e32 v[156:157], v[238:239], v[32:33]
	ds_read2_b64 v[236:239], v248 offset0:102 offset1:103
	v_add_f64 v[28:29], v[28:29], -v[34:35]
	v_add_f64 v[30:31], v[30:31], -v[156:157]
	s_waitcnt lgkmcnt(0)
	v_mul_f64 v[34:35], v[238:239], v[246:247]
	v_mul_f64 v[156:157], v[236:237], v[246:247]
	v_fma_f64 v[34:35], v[236:237], v[32:33], -v[34:35]
	v_fmac_f64_e32 v[156:157], v[238:239], v[32:33]
	ds_read2_b64 v[236:239], v248 offset0:104 offset1:105
	v_add_f64 v[24:25], v[24:25], -v[34:35]
	v_add_f64 v[26:27], v[26:27], -v[156:157]
	;; [unrolled: 8-line block ×8, first 2 shown]
	s_waitcnt lgkmcnt(0)
	v_mul_f64 v[34:35], v[238:239], v[246:247]
	v_mul_f64 v[156:157], v[236:237], v[246:247]
	v_fma_f64 v[34:35], v[236:237], v[32:33], -v[34:35]
	v_fmac_f64_e32 v[156:157], v[238:239], v[32:33]
	v_add_f64 v[232:233], v[232:233], -v[34:35]
	v_add_f64 v[234:235], v[234:235], -v[156:157]
	v_mov_b64_e32 v[34:35], v[246:247]
.LBB116_1049:
	s_or_b64 exec, exec, s[0:1]
	v_lshl_add_u32 v156, v249, 4, v248
	s_barrier
	ds_write2_b64 v156, v[28:29], v[30:31] offset1:1
	s_waitcnt lgkmcnt(0)
	s_barrier
	ds_read2_b64 v[236:239], v248 offset0:100 offset1:101
	s_cmp_lt_i32 s20, 52
	v_mov_b32_e32 v246, 50
	s_cbranch_scc1 .LBB116_1052
; %bb.1050:
	v_add_u32_e32 v247, 0x330, v248
	s_mov_b32 s0, 51
	v_mov_b32_e32 v246, 50
.LBB116_1051:                           ; =>This Inner Loop Header: Depth=1
	ds_read2_b64 v[242:245], v247 offset1:1
	s_waitcnt lgkmcnt(1)
	v_cmp_gt_f64_e32 vcc, 0, v[236:237]
	v_xor_b32_e32 v156, 0x80000000, v237
	v_xor_b32_e32 v158, 0x80000000, v239
	v_cndmask_b32_e32 v157, v237, v156, vcc
	v_cmp_gt_f64_e32 vcc, 0, v[238:239]
	v_mov_b32_e32 v156, v236
	s_waitcnt lgkmcnt(0)
	v_xor_b32_e32 v160, 0x80000000, v245
	v_cndmask_b32_e32 v159, v239, v158, vcc
	v_mov_b32_e32 v158, v238
	v_add_f64 v[156:157], v[156:157], v[158:159]
	v_cmp_gt_f64_e32 vcc, 0, v[242:243]
	v_xor_b32_e32 v158, 0x80000000, v243
	v_add_u32_e32 v247, 16, v247
	v_cndmask_b32_e32 v159, v243, v158, vcc
	v_cmp_gt_f64_e32 vcc, 0, v[244:245]
	v_mov_b32_e32 v158, v242
	s_nop 0
	v_cndmask_b32_e32 v161, v245, v160, vcc
	v_mov_b32_e32 v160, v244
	v_add_f64 v[158:159], v[158:159], v[160:161]
	v_cmp_lt_f64_e32 vcc, v[156:157], v[158:159]
	v_mov_b32_e32 v156, s0
	s_add_i32 s0, s0, 1
	v_cndmask_b32_e32 v237, v237, v243, vcc
	v_cndmask_b32_e32 v236, v236, v242, vcc
	;; [unrolled: 1-line block ×5, first 2 shown]
	s_cmp_lg_u32 s20, s0
	s_cbranch_scc1 .LBB116_1051
.LBB116_1052:
	s_waitcnt lgkmcnt(0)
	v_cmp_eq_f64_e32 vcc, 0, v[236:237]
	v_cmp_eq_f64_e64 s[0:1], 0, v[238:239]
	s_and_b64 s[0:1], vcc, s[0:1]
	s_and_saveexec_b64 s[16:17], s[0:1]
	s_xor_b64 s[0:1], exec, s[16:17]
; %bb.1053:
	v_cmp_ne_u32_e32 vcc, 0, v250
	s_nop 1
	v_cndmask_b32_e32 v250, 51, v250, vcc
; %bb.1054:
	s_andn2_saveexec_b64 s[0:1], s[0:1]
	s_cbranch_execz .LBB116_1060
; %bb.1055:
	v_cmp_ngt_f64_e64 s[16:17], |v[236:237]|, |v[238:239]|
	s_and_saveexec_b64 s[18:19], s[16:17]
	s_xor_b64 s[16:17], exec, s[18:19]
	s_cbranch_execz .LBB116_1057
; %bb.1056:
	v_div_scale_f64 v[156:157], s[18:19], v[238:239], v[238:239], v[236:237]
	v_rcp_f64_e32 v[158:159], v[156:157]
	v_div_scale_f64 v[160:161], vcc, v[236:237], v[238:239], v[236:237]
	v_fma_f64 v[162:163], -v[156:157], v[158:159], 1.0
	v_fmac_f64_e32 v[158:159], v[158:159], v[162:163]
	v_fma_f64 v[162:163], -v[156:157], v[158:159], 1.0
	v_fmac_f64_e32 v[158:159], v[158:159], v[162:163]
	v_mul_f64 v[162:163], v[160:161], v[158:159]
	v_fma_f64 v[156:157], -v[156:157], v[162:163], v[160:161]
	v_div_fmas_f64 v[156:157], v[156:157], v[158:159], v[162:163]
	v_div_fixup_f64 v[156:157], v[156:157], v[238:239], v[236:237]
	v_fmac_f64_e32 v[238:239], v[236:237], v[156:157]
	v_div_scale_f64 v[158:159], s[18:19], v[238:239], v[238:239], 1.0
	v_rcp_f64_e32 v[160:161], v[158:159]
	s_nop 0
	v_fma_f64 v[162:163], -v[158:159], v[160:161], 1.0
	v_fmac_f64_e32 v[160:161], v[160:161], v[162:163]
	v_fma_f64 v[162:163], -v[158:159], v[160:161], 1.0
	v_fmac_f64_e32 v[160:161], v[160:161], v[162:163]
	v_div_scale_f64 v[162:163], vcc, 1.0, v[238:239], 1.0
	v_mul_f64 v[216:217], v[162:163], v[160:161]
	v_fma_f64 v[158:159], -v[158:159], v[216:217], v[162:163]
	s_nop 1
	v_div_fmas_f64 v[158:159], v[158:159], v[160:161], v[216:217]
	v_div_fixup_f64 v[238:239], v[158:159], v[238:239], 1.0
	v_mul_f64 v[236:237], v[156:157], v[238:239]
	v_xor_b32_e32 v239, 0x80000000, v239
.LBB116_1057:
	s_andn2_saveexec_b64 s[16:17], s[16:17]
	s_cbranch_execz .LBB116_1059
; %bb.1058:
	v_div_scale_f64 v[156:157], s[18:19], v[236:237], v[236:237], v[238:239]
	v_rcp_f64_e32 v[158:159], v[156:157]
	v_div_scale_f64 v[160:161], vcc, v[238:239], v[236:237], v[238:239]
	v_fma_f64 v[162:163], -v[156:157], v[158:159], 1.0
	v_fmac_f64_e32 v[158:159], v[158:159], v[162:163]
	v_fma_f64 v[162:163], -v[156:157], v[158:159], 1.0
	v_fmac_f64_e32 v[158:159], v[158:159], v[162:163]
	v_mul_f64 v[162:163], v[160:161], v[158:159]
	v_fma_f64 v[156:157], -v[156:157], v[162:163], v[160:161]
	v_div_fmas_f64 v[156:157], v[156:157], v[158:159], v[162:163]
	v_div_fixup_f64 v[156:157], v[156:157], v[236:237], v[238:239]
	v_fmac_f64_e32 v[236:237], v[238:239], v[156:157]
	v_div_scale_f64 v[158:159], s[18:19], v[236:237], v[236:237], 1.0
	v_rcp_f64_e32 v[160:161], v[158:159]
	s_nop 0
	v_fma_f64 v[162:163], -v[158:159], v[160:161], 1.0
	v_fmac_f64_e32 v[160:161], v[160:161], v[162:163]
	v_fma_f64 v[162:163], -v[158:159], v[160:161], 1.0
	v_fmac_f64_e32 v[160:161], v[160:161], v[162:163]
	v_div_scale_f64 v[162:163], vcc, 1.0, v[236:237], 1.0
	v_mul_f64 v[216:217], v[162:163], v[160:161]
	v_fma_f64 v[158:159], -v[158:159], v[216:217], v[162:163]
	s_nop 1
	v_div_fmas_f64 v[158:159], v[158:159], v[160:161], v[216:217]
	v_div_fixup_f64 v[236:237], v[158:159], v[236:237], 1.0
	v_mul_f64 v[238:239], v[156:157], -v[236:237]
.LBB116_1059:
	s_or_b64 exec, exec, s[16:17]
.LBB116_1060:
	s_or_b64 exec, exec, s[0:1]
	v_cmp_ne_u32_e32 vcc, v249, v246
	s_and_saveexec_b64 s[0:1], vcc
	s_xor_b64 s[0:1], exec, s[0:1]
	s_cbranch_execz .LBB116_1066
; %bb.1061:
	v_cmp_eq_u32_e32 vcc, 50, v249
	s_and_saveexec_b64 s[16:17], vcc
	s_cbranch_execz .LBB116_1065
; %bb.1062:
	v_cmp_ne_u32_e32 vcc, 50, v246
	s_xor_b64 s[18:19], s[14:15], -1
	s_and_b64 s[22:23], s[18:19], vcc
	s_and_saveexec_b64 s[18:19], s[22:23]
	s_cbranch_execz .LBB116_1064
; %bb.1063:
	scratch_load_dwordx2 v[8:9], off, off offset:16 ; 8-byte Folded Reload
	v_ashrrev_i32_e32 v247, 31, v246
	s_waitcnt vmcnt(0)
	v_lshl_add_u64 v[156:157], v[246:247], 2, v[8:9]
	global_load_dword v158, v[156:157], off
	global_load_dword v159, v[8:9], off offset:200
	s_waitcnt vmcnt(1)
	global_store_dword v[8:9], v158, off offset:200
	s_waitcnt vmcnt(1)
	global_store_dword v[156:157], v159, off
.LBB116_1064:
	s_or_b64 exec, exec, s[18:19]
	v_mov_b32_e32 v249, v246
	v_mov_b32_e32 v218, v246
.LBB116_1065:
	s_or_b64 exec, exec, s[16:17]
.LBB116_1066:
	s_andn2_saveexec_b64 s[0:1], s[0:1]
	s_cbranch_execz .LBB116_1068
; %bb.1067:
	v_mov_b32_e32 v249, 50
	ds_write2_b64 v248, v[24:25], v[26:27] offset0:102 offset1:103
	ds_write2_b64 v248, v[20:21], v[22:23] offset0:104 offset1:105
	;; [unrolled: 1-line block ×8, first 2 shown]
.LBB116_1068:
	s_or_b64 exec, exec, s[0:1]
	v_cmp_lt_i32_e32 vcc, 50, v249
	s_waitcnt lgkmcnt(0)
	s_barrier
	s_and_saveexec_b64 s[0:1], vcc
	s_cbranch_execz .LBB116_1070
; %bb.1069:
	v_mul_f64 v[246:247], v[236:237], v[30:31]
	v_mul_f64 v[30:31], v[238:239], v[30:31]
	v_fmac_f64_e32 v[246:247], v[238:239], v[28:29]
	v_fma_f64 v[28:29], v[236:237], v[28:29], -v[30:31]
	ds_read2_b64 v[236:239], v248 offset0:102 offset1:103
	s_waitcnt lgkmcnt(0)
	v_mul_f64 v[30:31], v[238:239], v[246:247]
	v_mul_f64 v[156:157], v[236:237], v[246:247]
	v_fma_f64 v[30:31], v[236:237], v[28:29], -v[30:31]
	v_fmac_f64_e32 v[156:157], v[238:239], v[28:29]
	ds_read2_b64 v[236:239], v248 offset0:104 offset1:105
	v_add_f64 v[24:25], v[24:25], -v[30:31]
	v_add_f64 v[26:27], v[26:27], -v[156:157]
	s_waitcnt lgkmcnt(0)
	v_mul_f64 v[30:31], v[238:239], v[246:247]
	v_mul_f64 v[156:157], v[236:237], v[246:247]
	v_fma_f64 v[30:31], v[236:237], v[28:29], -v[30:31]
	v_fmac_f64_e32 v[156:157], v[238:239], v[28:29]
	ds_read2_b64 v[236:239], v248 offset0:106 offset1:107
	v_add_f64 v[20:21], v[20:21], -v[30:31]
	v_add_f64 v[22:23], v[22:23], -v[156:157]
	;; [unrolled: 8-line block ×7, first 2 shown]
	s_waitcnt lgkmcnt(0)
	v_mul_f64 v[30:31], v[238:239], v[246:247]
	v_mul_f64 v[156:157], v[236:237], v[246:247]
	v_fma_f64 v[30:31], v[236:237], v[28:29], -v[30:31]
	v_fmac_f64_e32 v[156:157], v[238:239], v[28:29]
	v_add_f64 v[232:233], v[232:233], -v[30:31]
	v_add_f64 v[234:235], v[234:235], -v[156:157]
	v_mov_b64_e32 v[30:31], v[246:247]
.LBB116_1070:
	s_or_b64 exec, exec, s[0:1]
	v_lshl_add_u32 v156, v249, 4, v248
	s_barrier
	ds_write2_b64 v156, v[24:25], v[26:27] offset1:1
	s_waitcnt lgkmcnt(0)
	s_barrier
	ds_read2_b64 v[236:239], v248 offset0:102 offset1:103
	s_cmp_lt_i32 s20, 53
	v_mov_b32_e32 v246, 51
	s_cbranch_scc1 .LBB116_1073
; %bb.1071:
	v_add_u32_e32 v247, 0x340, v248
	s_mov_b32 s0, 52
	v_mov_b32_e32 v246, 51
.LBB116_1072:                           ; =>This Inner Loop Header: Depth=1
	ds_read2_b64 v[242:245], v247 offset1:1
	s_waitcnt lgkmcnt(1)
	v_cmp_gt_f64_e32 vcc, 0, v[236:237]
	v_xor_b32_e32 v156, 0x80000000, v237
	v_xor_b32_e32 v158, 0x80000000, v239
	v_cndmask_b32_e32 v157, v237, v156, vcc
	v_cmp_gt_f64_e32 vcc, 0, v[238:239]
	v_mov_b32_e32 v156, v236
	s_waitcnt lgkmcnt(0)
	v_xor_b32_e32 v160, 0x80000000, v245
	v_cndmask_b32_e32 v159, v239, v158, vcc
	v_mov_b32_e32 v158, v238
	v_add_f64 v[156:157], v[156:157], v[158:159]
	v_cmp_gt_f64_e32 vcc, 0, v[242:243]
	v_xor_b32_e32 v158, 0x80000000, v243
	v_add_u32_e32 v247, 16, v247
	v_cndmask_b32_e32 v159, v243, v158, vcc
	v_cmp_gt_f64_e32 vcc, 0, v[244:245]
	v_mov_b32_e32 v158, v242
	s_nop 0
	v_cndmask_b32_e32 v161, v245, v160, vcc
	v_mov_b32_e32 v160, v244
	v_add_f64 v[158:159], v[158:159], v[160:161]
	v_cmp_lt_f64_e32 vcc, v[156:157], v[158:159]
	v_mov_b32_e32 v156, s0
	s_add_i32 s0, s0, 1
	v_cndmask_b32_e32 v237, v237, v243, vcc
	v_cndmask_b32_e32 v236, v236, v242, vcc
	;; [unrolled: 1-line block ×5, first 2 shown]
	s_cmp_lg_u32 s20, s0
	s_cbranch_scc1 .LBB116_1072
.LBB116_1073:
	s_waitcnt lgkmcnt(0)
	v_cmp_eq_f64_e32 vcc, 0, v[236:237]
	v_cmp_eq_f64_e64 s[0:1], 0, v[238:239]
	s_and_b64 s[0:1], vcc, s[0:1]
	s_and_saveexec_b64 s[16:17], s[0:1]
	s_xor_b64 s[0:1], exec, s[16:17]
; %bb.1074:
	v_cmp_ne_u32_e32 vcc, 0, v250
	s_nop 1
	v_cndmask_b32_e32 v250, 52, v250, vcc
; %bb.1075:
	s_andn2_saveexec_b64 s[0:1], s[0:1]
	s_cbranch_execz .LBB116_1081
; %bb.1076:
	v_cmp_ngt_f64_e64 s[16:17], |v[236:237]|, |v[238:239]|
	s_and_saveexec_b64 s[18:19], s[16:17]
	s_xor_b64 s[16:17], exec, s[18:19]
	s_cbranch_execz .LBB116_1078
; %bb.1077:
	v_div_scale_f64 v[156:157], s[18:19], v[238:239], v[238:239], v[236:237]
	v_rcp_f64_e32 v[158:159], v[156:157]
	v_div_scale_f64 v[160:161], vcc, v[236:237], v[238:239], v[236:237]
	v_fma_f64 v[162:163], -v[156:157], v[158:159], 1.0
	v_fmac_f64_e32 v[158:159], v[158:159], v[162:163]
	v_fma_f64 v[162:163], -v[156:157], v[158:159], 1.0
	v_fmac_f64_e32 v[158:159], v[158:159], v[162:163]
	v_mul_f64 v[162:163], v[160:161], v[158:159]
	v_fma_f64 v[156:157], -v[156:157], v[162:163], v[160:161]
	v_div_fmas_f64 v[156:157], v[156:157], v[158:159], v[162:163]
	v_div_fixup_f64 v[156:157], v[156:157], v[238:239], v[236:237]
	v_fmac_f64_e32 v[238:239], v[236:237], v[156:157]
	v_div_scale_f64 v[158:159], s[18:19], v[238:239], v[238:239], 1.0
	v_rcp_f64_e32 v[160:161], v[158:159]
	s_nop 0
	v_fma_f64 v[162:163], -v[158:159], v[160:161], 1.0
	v_fmac_f64_e32 v[160:161], v[160:161], v[162:163]
	v_fma_f64 v[162:163], -v[158:159], v[160:161], 1.0
	v_fmac_f64_e32 v[160:161], v[160:161], v[162:163]
	v_div_scale_f64 v[162:163], vcc, 1.0, v[238:239], 1.0
	v_mul_f64 v[216:217], v[162:163], v[160:161]
	v_fma_f64 v[158:159], -v[158:159], v[216:217], v[162:163]
	s_nop 1
	v_div_fmas_f64 v[158:159], v[158:159], v[160:161], v[216:217]
	v_div_fixup_f64 v[238:239], v[158:159], v[238:239], 1.0
	v_mul_f64 v[236:237], v[156:157], v[238:239]
	v_xor_b32_e32 v239, 0x80000000, v239
.LBB116_1078:
	s_andn2_saveexec_b64 s[16:17], s[16:17]
	s_cbranch_execz .LBB116_1080
; %bb.1079:
	v_div_scale_f64 v[156:157], s[18:19], v[236:237], v[236:237], v[238:239]
	v_rcp_f64_e32 v[158:159], v[156:157]
	v_div_scale_f64 v[160:161], vcc, v[238:239], v[236:237], v[238:239]
	v_fma_f64 v[162:163], -v[156:157], v[158:159], 1.0
	v_fmac_f64_e32 v[158:159], v[158:159], v[162:163]
	v_fma_f64 v[162:163], -v[156:157], v[158:159], 1.0
	v_fmac_f64_e32 v[158:159], v[158:159], v[162:163]
	v_mul_f64 v[162:163], v[160:161], v[158:159]
	v_fma_f64 v[156:157], -v[156:157], v[162:163], v[160:161]
	v_div_fmas_f64 v[156:157], v[156:157], v[158:159], v[162:163]
	v_div_fixup_f64 v[156:157], v[156:157], v[236:237], v[238:239]
	v_fmac_f64_e32 v[236:237], v[238:239], v[156:157]
	v_div_scale_f64 v[158:159], s[18:19], v[236:237], v[236:237], 1.0
	v_rcp_f64_e32 v[160:161], v[158:159]
	s_nop 0
	v_fma_f64 v[162:163], -v[158:159], v[160:161], 1.0
	v_fmac_f64_e32 v[160:161], v[160:161], v[162:163]
	v_fma_f64 v[162:163], -v[158:159], v[160:161], 1.0
	v_fmac_f64_e32 v[160:161], v[160:161], v[162:163]
	v_div_scale_f64 v[162:163], vcc, 1.0, v[236:237], 1.0
	v_mul_f64 v[216:217], v[162:163], v[160:161]
	v_fma_f64 v[158:159], -v[158:159], v[216:217], v[162:163]
	s_nop 1
	v_div_fmas_f64 v[158:159], v[158:159], v[160:161], v[216:217]
	v_div_fixup_f64 v[236:237], v[158:159], v[236:237], 1.0
	v_mul_f64 v[238:239], v[156:157], -v[236:237]
.LBB116_1080:
	s_or_b64 exec, exec, s[16:17]
.LBB116_1081:
	s_or_b64 exec, exec, s[0:1]
	v_cmp_ne_u32_e32 vcc, v249, v246
	s_and_saveexec_b64 s[0:1], vcc
	s_xor_b64 s[0:1], exec, s[0:1]
	s_cbranch_execz .LBB116_1087
; %bb.1082:
	v_cmp_eq_u32_e32 vcc, 51, v249
	s_and_saveexec_b64 s[16:17], vcc
	s_cbranch_execz .LBB116_1086
; %bb.1083:
	v_cmp_ne_u32_e32 vcc, 51, v246
	s_xor_b64 s[18:19], s[14:15], -1
	s_and_b64 s[22:23], s[18:19], vcc
	s_and_saveexec_b64 s[18:19], s[22:23]
	s_cbranch_execz .LBB116_1085
; %bb.1084:
	scratch_load_dwordx2 v[8:9], off, off offset:16 ; 8-byte Folded Reload
	v_ashrrev_i32_e32 v247, 31, v246
	s_waitcnt vmcnt(0)
	v_lshl_add_u64 v[156:157], v[246:247], 2, v[8:9]
	global_load_dword v158, v[156:157], off
	global_load_dword v159, v[8:9], off offset:204
	s_waitcnt vmcnt(1)
	global_store_dword v[8:9], v158, off offset:204
	s_waitcnt vmcnt(1)
	global_store_dword v[156:157], v159, off
.LBB116_1085:
	s_or_b64 exec, exec, s[18:19]
	v_mov_b32_e32 v249, v246
	v_mov_b32_e32 v218, v246
.LBB116_1086:
	s_or_b64 exec, exec, s[16:17]
.LBB116_1087:
	s_andn2_saveexec_b64 s[0:1], s[0:1]
	s_cbranch_execz .LBB116_1089
; %bb.1088:
	v_mov_b32_e32 v249, 51
	ds_write2_b64 v248, v[20:21], v[22:23] offset0:104 offset1:105
	ds_write2_b64 v248, v[16:17], v[18:19] offset0:106 offset1:107
	;; [unrolled: 1-line block ×7, first 2 shown]
.LBB116_1089:
	s_or_b64 exec, exec, s[0:1]
	v_cmp_lt_i32_e32 vcc, 51, v249
	s_waitcnt lgkmcnt(0)
	s_barrier
	s_and_saveexec_b64 s[0:1], vcc
	s_cbranch_execz .LBB116_1091
; %bb.1090:
	v_mul_f64 v[246:247], v[236:237], v[26:27]
	v_mul_f64 v[26:27], v[238:239], v[26:27]
	v_fmac_f64_e32 v[246:247], v[238:239], v[24:25]
	v_fma_f64 v[24:25], v[236:237], v[24:25], -v[26:27]
	ds_read2_b64 v[236:239], v248 offset0:104 offset1:105
	s_waitcnt lgkmcnt(0)
	v_mul_f64 v[26:27], v[238:239], v[246:247]
	v_mul_f64 v[156:157], v[236:237], v[246:247]
	v_fma_f64 v[26:27], v[236:237], v[24:25], -v[26:27]
	v_fmac_f64_e32 v[156:157], v[238:239], v[24:25]
	ds_read2_b64 v[236:239], v248 offset0:106 offset1:107
	v_add_f64 v[20:21], v[20:21], -v[26:27]
	v_add_f64 v[22:23], v[22:23], -v[156:157]
	s_waitcnt lgkmcnt(0)
	v_mul_f64 v[26:27], v[238:239], v[246:247]
	v_mul_f64 v[156:157], v[236:237], v[246:247]
	v_fma_f64 v[26:27], v[236:237], v[24:25], -v[26:27]
	v_fmac_f64_e32 v[156:157], v[238:239], v[24:25]
	ds_read2_b64 v[236:239], v248 offset0:108 offset1:109
	v_add_f64 v[16:17], v[16:17], -v[26:27]
	v_add_f64 v[18:19], v[18:19], -v[156:157]
	;; [unrolled: 8-line block ×6, first 2 shown]
	s_waitcnt lgkmcnt(0)
	v_mul_f64 v[26:27], v[238:239], v[246:247]
	v_mul_f64 v[156:157], v[236:237], v[246:247]
	v_fma_f64 v[26:27], v[236:237], v[24:25], -v[26:27]
	v_fmac_f64_e32 v[156:157], v[238:239], v[24:25]
	v_add_f64 v[232:233], v[232:233], -v[26:27]
	v_add_f64 v[234:235], v[234:235], -v[156:157]
	v_mov_b64_e32 v[26:27], v[246:247]
.LBB116_1091:
	s_or_b64 exec, exec, s[0:1]
	v_lshl_add_u32 v156, v249, 4, v248
	s_barrier
	ds_write2_b64 v156, v[20:21], v[22:23] offset1:1
	s_waitcnt lgkmcnt(0)
	s_barrier
	ds_read2_b64 v[236:239], v248 offset0:104 offset1:105
	s_cmp_lt_i32 s20, 54
	v_mov_b32_e32 v246, 52
	s_cbranch_scc1 .LBB116_1094
; %bb.1092:
	v_add_u32_e32 v247, 0x350, v248
	s_mov_b32 s0, 53
	v_mov_b32_e32 v246, 52
.LBB116_1093:                           ; =>This Inner Loop Header: Depth=1
	ds_read2_b64 v[242:245], v247 offset1:1
	s_waitcnt lgkmcnt(1)
	v_cmp_gt_f64_e32 vcc, 0, v[236:237]
	v_xor_b32_e32 v156, 0x80000000, v237
	v_xor_b32_e32 v158, 0x80000000, v239
	v_cndmask_b32_e32 v157, v237, v156, vcc
	v_cmp_gt_f64_e32 vcc, 0, v[238:239]
	v_mov_b32_e32 v156, v236
	s_waitcnt lgkmcnt(0)
	v_xor_b32_e32 v160, 0x80000000, v245
	v_cndmask_b32_e32 v159, v239, v158, vcc
	v_mov_b32_e32 v158, v238
	v_add_f64 v[156:157], v[156:157], v[158:159]
	v_cmp_gt_f64_e32 vcc, 0, v[242:243]
	v_xor_b32_e32 v158, 0x80000000, v243
	v_add_u32_e32 v247, 16, v247
	v_cndmask_b32_e32 v159, v243, v158, vcc
	v_cmp_gt_f64_e32 vcc, 0, v[244:245]
	v_mov_b32_e32 v158, v242
	s_nop 0
	v_cndmask_b32_e32 v161, v245, v160, vcc
	v_mov_b32_e32 v160, v244
	v_add_f64 v[158:159], v[158:159], v[160:161]
	v_cmp_lt_f64_e32 vcc, v[156:157], v[158:159]
	v_mov_b32_e32 v156, s0
	s_add_i32 s0, s0, 1
	v_cndmask_b32_e32 v237, v237, v243, vcc
	v_cndmask_b32_e32 v236, v236, v242, vcc
	;; [unrolled: 1-line block ×5, first 2 shown]
	s_cmp_lg_u32 s20, s0
	s_cbranch_scc1 .LBB116_1093
.LBB116_1094:
	s_waitcnt lgkmcnt(0)
	v_cmp_eq_f64_e32 vcc, 0, v[236:237]
	v_cmp_eq_f64_e64 s[0:1], 0, v[238:239]
	s_and_b64 s[0:1], vcc, s[0:1]
	s_and_saveexec_b64 s[16:17], s[0:1]
	s_xor_b64 s[0:1], exec, s[16:17]
; %bb.1095:
	v_cmp_ne_u32_e32 vcc, 0, v250
	s_nop 1
	v_cndmask_b32_e32 v250, 53, v250, vcc
; %bb.1096:
	s_andn2_saveexec_b64 s[0:1], s[0:1]
	s_cbranch_execz .LBB116_1102
; %bb.1097:
	v_cmp_ngt_f64_e64 s[16:17], |v[236:237]|, |v[238:239]|
	s_and_saveexec_b64 s[18:19], s[16:17]
	s_xor_b64 s[16:17], exec, s[18:19]
	s_cbranch_execz .LBB116_1099
; %bb.1098:
	v_div_scale_f64 v[156:157], s[18:19], v[238:239], v[238:239], v[236:237]
	v_rcp_f64_e32 v[158:159], v[156:157]
	v_div_scale_f64 v[160:161], vcc, v[236:237], v[238:239], v[236:237]
	v_fma_f64 v[162:163], -v[156:157], v[158:159], 1.0
	v_fmac_f64_e32 v[158:159], v[158:159], v[162:163]
	v_fma_f64 v[162:163], -v[156:157], v[158:159], 1.0
	v_fmac_f64_e32 v[158:159], v[158:159], v[162:163]
	v_mul_f64 v[162:163], v[160:161], v[158:159]
	v_fma_f64 v[156:157], -v[156:157], v[162:163], v[160:161]
	v_div_fmas_f64 v[156:157], v[156:157], v[158:159], v[162:163]
	v_div_fixup_f64 v[156:157], v[156:157], v[238:239], v[236:237]
	v_fmac_f64_e32 v[238:239], v[236:237], v[156:157]
	v_div_scale_f64 v[158:159], s[18:19], v[238:239], v[238:239], 1.0
	v_rcp_f64_e32 v[160:161], v[158:159]
	s_nop 0
	v_fma_f64 v[162:163], -v[158:159], v[160:161], 1.0
	v_fmac_f64_e32 v[160:161], v[160:161], v[162:163]
	v_fma_f64 v[162:163], -v[158:159], v[160:161], 1.0
	v_fmac_f64_e32 v[160:161], v[160:161], v[162:163]
	v_div_scale_f64 v[162:163], vcc, 1.0, v[238:239], 1.0
	v_mul_f64 v[216:217], v[162:163], v[160:161]
	v_fma_f64 v[158:159], -v[158:159], v[216:217], v[162:163]
	s_nop 1
	v_div_fmas_f64 v[158:159], v[158:159], v[160:161], v[216:217]
	v_div_fixup_f64 v[238:239], v[158:159], v[238:239], 1.0
	v_mul_f64 v[236:237], v[156:157], v[238:239]
	v_xor_b32_e32 v239, 0x80000000, v239
.LBB116_1099:
	s_andn2_saveexec_b64 s[16:17], s[16:17]
	s_cbranch_execz .LBB116_1101
; %bb.1100:
	v_div_scale_f64 v[156:157], s[18:19], v[236:237], v[236:237], v[238:239]
	v_rcp_f64_e32 v[158:159], v[156:157]
	v_div_scale_f64 v[160:161], vcc, v[238:239], v[236:237], v[238:239]
	v_fma_f64 v[162:163], -v[156:157], v[158:159], 1.0
	v_fmac_f64_e32 v[158:159], v[158:159], v[162:163]
	v_fma_f64 v[162:163], -v[156:157], v[158:159], 1.0
	v_fmac_f64_e32 v[158:159], v[158:159], v[162:163]
	v_mul_f64 v[162:163], v[160:161], v[158:159]
	v_fma_f64 v[156:157], -v[156:157], v[162:163], v[160:161]
	v_div_fmas_f64 v[156:157], v[156:157], v[158:159], v[162:163]
	v_div_fixup_f64 v[156:157], v[156:157], v[236:237], v[238:239]
	v_fmac_f64_e32 v[236:237], v[238:239], v[156:157]
	v_div_scale_f64 v[158:159], s[18:19], v[236:237], v[236:237], 1.0
	v_rcp_f64_e32 v[160:161], v[158:159]
	s_nop 0
	v_fma_f64 v[162:163], -v[158:159], v[160:161], 1.0
	v_fmac_f64_e32 v[160:161], v[160:161], v[162:163]
	v_fma_f64 v[162:163], -v[158:159], v[160:161], 1.0
	v_fmac_f64_e32 v[160:161], v[160:161], v[162:163]
	v_div_scale_f64 v[162:163], vcc, 1.0, v[236:237], 1.0
	v_mul_f64 v[216:217], v[162:163], v[160:161]
	v_fma_f64 v[158:159], -v[158:159], v[216:217], v[162:163]
	s_nop 1
	v_div_fmas_f64 v[158:159], v[158:159], v[160:161], v[216:217]
	v_div_fixup_f64 v[236:237], v[158:159], v[236:237], 1.0
	v_mul_f64 v[238:239], v[156:157], -v[236:237]
.LBB116_1101:
	s_or_b64 exec, exec, s[16:17]
.LBB116_1102:
	s_or_b64 exec, exec, s[0:1]
	v_cmp_ne_u32_e32 vcc, v249, v246
	s_and_saveexec_b64 s[0:1], vcc
	s_xor_b64 s[0:1], exec, s[0:1]
	s_cbranch_execz .LBB116_1108
; %bb.1103:
	v_cmp_eq_u32_e32 vcc, 52, v249
	s_and_saveexec_b64 s[16:17], vcc
	s_cbranch_execz .LBB116_1107
; %bb.1104:
	v_cmp_ne_u32_e32 vcc, 52, v246
	s_xor_b64 s[18:19], s[14:15], -1
	s_and_b64 s[22:23], s[18:19], vcc
	s_and_saveexec_b64 s[18:19], s[22:23]
	s_cbranch_execz .LBB116_1106
; %bb.1105:
	scratch_load_dwordx2 v[8:9], off, off offset:16 ; 8-byte Folded Reload
	v_ashrrev_i32_e32 v247, 31, v246
	s_waitcnt vmcnt(0)
	v_lshl_add_u64 v[156:157], v[246:247], 2, v[8:9]
	global_load_dword v158, v[156:157], off
	global_load_dword v159, v[8:9], off offset:208
	s_waitcnt vmcnt(1)
	global_store_dword v[8:9], v158, off offset:208
	s_waitcnt vmcnt(1)
	global_store_dword v[156:157], v159, off
.LBB116_1106:
	s_or_b64 exec, exec, s[18:19]
	v_mov_b32_e32 v249, v246
	v_mov_b32_e32 v218, v246
.LBB116_1107:
	s_or_b64 exec, exec, s[16:17]
.LBB116_1108:
	s_andn2_saveexec_b64 s[0:1], s[0:1]
	s_cbranch_execz .LBB116_1110
; %bb.1109:
	v_mov_b32_e32 v249, 52
	ds_write2_b64 v248, v[16:17], v[18:19] offset0:106 offset1:107
	ds_write2_b64 v248, v[12:13], v[14:15] offset0:108 offset1:109
	;; [unrolled: 1-line block ×6, first 2 shown]
.LBB116_1110:
	s_or_b64 exec, exec, s[0:1]
	v_cmp_lt_i32_e32 vcc, 52, v249
	s_waitcnt lgkmcnt(0)
	s_barrier
	s_and_saveexec_b64 s[0:1], vcc
	s_cbranch_execz .LBB116_1112
; %bb.1111:
	v_mul_f64 v[156:157], v[236:237], v[22:23]
	v_mul_f64 v[22:23], v[238:239], v[22:23]
	v_fmac_f64_e32 v[156:157], v[238:239], v[20:21]
	v_fma_f64 v[20:21], v[236:237], v[20:21], -v[22:23]
	ds_read2_b64 v[236:239], v248 offset0:106 offset1:107
	s_waitcnt lgkmcnt(0)
	v_mul_f64 v[22:23], v[238:239], v[156:157]
	v_mul_f64 v[158:159], v[236:237], v[156:157]
	v_fma_f64 v[22:23], v[236:237], v[20:21], -v[22:23]
	v_fmac_f64_e32 v[158:159], v[238:239], v[20:21]
	ds_read2_b64 v[236:239], v248 offset0:108 offset1:109
	v_add_f64 v[16:17], v[16:17], -v[22:23]
	v_add_f64 v[18:19], v[18:19], -v[158:159]
	s_waitcnt lgkmcnt(0)
	v_mul_f64 v[22:23], v[238:239], v[156:157]
	v_mul_f64 v[158:159], v[236:237], v[156:157]
	v_fma_f64 v[22:23], v[236:237], v[20:21], -v[22:23]
	v_fmac_f64_e32 v[158:159], v[238:239], v[20:21]
	ds_read2_b64 v[236:239], v248 offset0:110 offset1:111
	v_add_f64 v[12:13], v[12:13], -v[22:23]
	v_add_f64 v[14:15], v[14:15], -v[158:159]
	;; [unrolled: 8-line block ×5, first 2 shown]
	s_waitcnt lgkmcnt(0)
	v_mul_f64 v[22:23], v[238:239], v[156:157]
	v_mul_f64 v[158:159], v[236:237], v[156:157]
	v_fma_f64 v[22:23], v[236:237], v[20:21], -v[22:23]
	v_fmac_f64_e32 v[158:159], v[238:239], v[20:21]
	v_add_f64 v[232:233], v[232:233], -v[22:23]
	v_add_f64 v[234:235], v[234:235], -v[158:159]
	v_mov_b64_e32 v[22:23], v[156:157]
.LBB116_1112:
	s_or_b64 exec, exec, s[0:1]
	v_lshl_add_u32 v156, v249, 4, v248
	s_barrier
	ds_write2_b64 v156, v[16:17], v[18:19] offset1:1
	s_waitcnt lgkmcnt(0)
	s_barrier
	ds_read2_b64 v[236:239], v248 offset0:106 offset1:107
	s_cmp_lt_i32 s20, 55
	v_mov_b32_e32 v246, 53
	s_cbranch_scc1 .LBB116_1115
; %bb.1113:
	v_add_u32_e32 v247, 0x360, v248
	s_mov_b32 s0, 54
	v_mov_b32_e32 v246, 53
.LBB116_1114:                           ; =>This Inner Loop Header: Depth=1
	ds_read2_b64 v[242:245], v247 offset1:1
	s_waitcnt lgkmcnt(1)
	v_cmp_gt_f64_e32 vcc, 0, v[236:237]
	v_xor_b32_e32 v156, 0x80000000, v237
	v_xor_b32_e32 v158, 0x80000000, v239
	v_cndmask_b32_e32 v157, v237, v156, vcc
	v_cmp_gt_f64_e32 vcc, 0, v[238:239]
	v_mov_b32_e32 v156, v236
	s_waitcnt lgkmcnt(0)
	v_xor_b32_e32 v160, 0x80000000, v245
	v_cndmask_b32_e32 v159, v239, v158, vcc
	v_mov_b32_e32 v158, v238
	v_add_f64 v[156:157], v[156:157], v[158:159]
	v_cmp_gt_f64_e32 vcc, 0, v[242:243]
	v_xor_b32_e32 v158, 0x80000000, v243
	v_add_u32_e32 v247, 16, v247
	v_cndmask_b32_e32 v159, v243, v158, vcc
	v_cmp_gt_f64_e32 vcc, 0, v[244:245]
	v_mov_b32_e32 v158, v242
	s_nop 0
	v_cndmask_b32_e32 v161, v245, v160, vcc
	v_mov_b32_e32 v160, v244
	v_add_f64 v[158:159], v[158:159], v[160:161]
	v_cmp_lt_f64_e32 vcc, v[156:157], v[158:159]
	v_mov_b32_e32 v156, s0
	s_add_i32 s0, s0, 1
	v_cndmask_b32_e32 v237, v237, v243, vcc
	v_cndmask_b32_e32 v236, v236, v242, vcc
	;; [unrolled: 1-line block ×5, first 2 shown]
	s_cmp_lg_u32 s20, s0
	s_cbranch_scc1 .LBB116_1114
.LBB116_1115:
	s_waitcnt lgkmcnt(0)
	v_cmp_eq_f64_e32 vcc, 0, v[236:237]
	v_cmp_eq_f64_e64 s[0:1], 0, v[238:239]
	s_and_b64 s[0:1], vcc, s[0:1]
	s_and_saveexec_b64 s[16:17], s[0:1]
	s_xor_b64 s[0:1], exec, s[16:17]
; %bb.1116:
	v_cmp_ne_u32_e32 vcc, 0, v250
	s_nop 1
	v_cndmask_b32_e32 v250, 54, v250, vcc
; %bb.1117:
	s_andn2_saveexec_b64 s[0:1], s[0:1]
	s_cbranch_execz .LBB116_1123
; %bb.1118:
	v_cmp_ngt_f64_e64 s[16:17], |v[236:237]|, |v[238:239]|
	s_and_saveexec_b64 s[18:19], s[16:17]
	s_xor_b64 s[16:17], exec, s[18:19]
	s_cbranch_execz .LBB116_1120
; %bb.1119:
	v_div_scale_f64 v[156:157], s[18:19], v[238:239], v[238:239], v[236:237]
	v_rcp_f64_e32 v[158:159], v[156:157]
	v_div_scale_f64 v[160:161], vcc, v[236:237], v[238:239], v[236:237]
	v_fma_f64 v[162:163], -v[156:157], v[158:159], 1.0
	v_fmac_f64_e32 v[158:159], v[158:159], v[162:163]
	v_fma_f64 v[162:163], -v[156:157], v[158:159], 1.0
	v_fmac_f64_e32 v[158:159], v[158:159], v[162:163]
	v_mul_f64 v[162:163], v[160:161], v[158:159]
	v_fma_f64 v[156:157], -v[156:157], v[162:163], v[160:161]
	v_div_fmas_f64 v[156:157], v[156:157], v[158:159], v[162:163]
	v_div_fixup_f64 v[156:157], v[156:157], v[238:239], v[236:237]
	v_fmac_f64_e32 v[238:239], v[236:237], v[156:157]
	v_div_scale_f64 v[158:159], s[18:19], v[238:239], v[238:239], 1.0
	v_rcp_f64_e32 v[160:161], v[158:159]
	s_nop 0
	v_fma_f64 v[162:163], -v[158:159], v[160:161], 1.0
	v_fmac_f64_e32 v[160:161], v[160:161], v[162:163]
	v_fma_f64 v[162:163], -v[158:159], v[160:161], 1.0
	v_fmac_f64_e32 v[160:161], v[160:161], v[162:163]
	v_div_scale_f64 v[162:163], vcc, 1.0, v[238:239], 1.0
	v_mul_f64 v[216:217], v[162:163], v[160:161]
	v_fma_f64 v[158:159], -v[158:159], v[216:217], v[162:163]
	s_nop 1
	v_div_fmas_f64 v[158:159], v[158:159], v[160:161], v[216:217]
	v_div_fixup_f64 v[238:239], v[158:159], v[238:239], 1.0
	v_mul_f64 v[236:237], v[156:157], v[238:239]
	v_xor_b32_e32 v239, 0x80000000, v239
.LBB116_1120:
	s_andn2_saveexec_b64 s[16:17], s[16:17]
	s_cbranch_execz .LBB116_1122
; %bb.1121:
	v_div_scale_f64 v[156:157], s[18:19], v[236:237], v[236:237], v[238:239]
	v_rcp_f64_e32 v[158:159], v[156:157]
	v_div_scale_f64 v[160:161], vcc, v[238:239], v[236:237], v[238:239]
	v_fma_f64 v[162:163], -v[156:157], v[158:159], 1.0
	v_fmac_f64_e32 v[158:159], v[158:159], v[162:163]
	v_fma_f64 v[162:163], -v[156:157], v[158:159], 1.0
	v_fmac_f64_e32 v[158:159], v[158:159], v[162:163]
	v_mul_f64 v[162:163], v[160:161], v[158:159]
	v_fma_f64 v[156:157], -v[156:157], v[162:163], v[160:161]
	v_div_fmas_f64 v[156:157], v[156:157], v[158:159], v[162:163]
	v_div_fixup_f64 v[156:157], v[156:157], v[236:237], v[238:239]
	v_fmac_f64_e32 v[236:237], v[238:239], v[156:157]
	v_div_scale_f64 v[158:159], s[18:19], v[236:237], v[236:237], 1.0
	v_rcp_f64_e32 v[160:161], v[158:159]
	s_nop 0
	v_fma_f64 v[162:163], -v[158:159], v[160:161], 1.0
	v_fmac_f64_e32 v[160:161], v[160:161], v[162:163]
	v_fma_f64 v[162:163], -v[158:159], v[160:161], 1.0
	v_fmac_f64_e32 v[160:161], v[160:161], v[162:163]
	v_div_scale_f64 v[162:163], vcc, 1.0, v[236:237], 1.0
	v_mul_f64 v[216:217], v[162:163], v[160:161]
	v_fma_f64 v[158:159], -v[158:159], v[216:217], v[162:163]
	s_nop 1
	v_div_fmas_f64 v[158:159], v[158:159], v[160:161], v[216:217]
	v_div_fixup_f64 v[236:237], v[158:159], v[236:237], 1.0
	v_mul_f64 v[238:239], v[156:157], -v[236:237]
.LBB116_1122:
	s_or_b64 exec, exec, s[16:17]
.LBB116_1123:
	s_or_b64 exec, exec, s[0:1]
	v_cmp_ne_u32_e32 vcc, v249, v246
	s_and_saveexec_b64 s[0:1], vcc
	s_xor_b64 s[0:1], exec, s[0:1]
	s_cbranch_execz .LBB116_1129
; %bb.1124:
	v_cmp_eq_u32_e32 vcc, 53, v249
	s_and_saveexec_b64 s[16:17], vcc
	s_cbranch_execz .LBB116_1128
; %bb.1125:
	v_cmp_ne_u32_e32 vcc, 53, v246
	s_xor_b64 s[18:19], s[14:15], -1
	s_and_b64 s[22:23], s[18:19], vcc
	s_and_saveexec_b64 s[18:19], s[22:23]
	s_cbranch_execz .LBB116_1127
; %bb.1126:
	scratch_load_dwordx2 v[8:9], off, off offset:16 ; 8-byte Folded Reload
	v_ashrrev_i32_e32 v247, 31, v246
	s_waitcnt vmcnt(0)
	v_lshl_add_u64 v[156:157], v[246:247], 2, v[8:9]
	global_load_dword v158, v[156:157], off
	global_load_dword v159, v[8:9], off offset:212
	s_waitcnt vmcnt(1)
	global_store_dword v[8:9], v158, off offset:212
	s_waitcnt vmcnt(1)
	global_store_dword v[156:157], v159, off
.LBB116_1127:
	s_or_b64 exec, exec, s[18:19]
	v_mov_b32_e32 v249, v246
	v_mov_b32_e32 v218, v246
.LBB116_1128:
	s_or_b64 exec, exec, s[16:17]
.LBB116_1129:
	s_andn2_saveexec_b64 s[0:1], s[0:1]
	s_cbranch_execz .LBB116_1131
; %bb.1130:
	v_mov_b32_e32 v249, 53
	ds_write2_b64 v248, v[12:13], v[14:15] offset0:108 offset1:109
	ds_write2_b64 v248, v[252:253], v[254:255] offset0:110 offset1:111
	;; [unrolled: 1-line block ×5, first 2 shown]
.LBB116_1131:
	s_or_b64 exec, exec, s[0:1]
	v_cmp_lt_i32_e32 vcc, 53, v249
	s_waitcnt lgkmcnt(0)
	s_barrier
	s_and_saveexec_b64 s[0:1], vcc
	s_cbranch_execz .LBB116_1133
; %bb.1132:
	v_mul_f64 v[156:157], v[236:237], v[18:19]
	v_mul_f64 v[18:19], v[238:239], v[18:19]
	v_fmac_f64_e32 v[156:157], v[238:239], v[16:17]
	v_fma_f64 v[16:17], v[236:237], v[16:17], -v[18:19]
	ds_read2_b64 v[236:239], v248 offset0:108 offset1:109
	s_waitcnt lgkmcnt(0)
	v_mul_f64 v[18:19], v[238:239], v[156:157]
	v_mul_f64 v[158:159], v[236:237], v[156:157]
	v_fma_f64 v[18:19], v[236:237], v[16:17], -v[18:19]
	v_fmac_f64_e32 v[158:159], v[238:239], v[16:17]
	ds_read2_b64 v[236:239], v248 offset0:110 offset1:111
	v_add_f64 v[12:13], v[12:13], -v[18:19]
	v_add_f64 v[14:15], v[14:15], -v[158:159]
	s_waitcnt lgkmcnt(0)
	v_mul_f64 v[18:19], v[238:239], v[156:157]
	v_mul_f64 v[158:159], v[236:237], v[156:157]
	v_fma_f64 v[18:19], v[236:237], v[16:17], -v[18:19]
	v_fmac_f64_e32 v[158:159], v[238:239], v[16:17]
	ds_read2_b64 v[236:239], v248 offset0:112 offset1:113
	v_add_f64 v[252:253], v[252:253], -v[18:19]
	v_add_f64 v[254:255], v[254:255], -v[158:159]
	s_waitcnt lgkmcnt(0)
	v_mul_f64 v[18:19], v[238:239], v[156:157]
	v_mul_f64 v[158:159], v[236:237], v[156:157]
	v_fma_f64 v[18:19], v[236:237], v[16:17], -v[18:19]
	v_fmac_f64_e32 v[158:159], v[238:239], v[16:17]
	ds_read2_b64 v[236:239], v248 offset0:114 offset1:115
	v_add_f64 v[224:225], v[224:225], -v[18:19]
	v_add_f64 v[226:227], v[226:227], -v[158:159]
	s_waitcnt lgkmcnt(0)
	v_mul_f64 v[18:19], v[238:239], v[156:157]
	v_mul_f64 v[158:159], v[236:237], v[156:157]
	v_fma_f64 v[18:19], v[236:237], v[16:17], -v[18:19]
	v_fmac_f64_e32 v[158:159], v[238:239], v[16:17]
	ds_read2_b64 v[236:239], v248 offset0:116 offset1:117
	v_add_f64 v[220:221], v[220:221], -v[18:19]
	v_add_f64 v[222:223], v[222:223], -v[158:159]
	s_waitcnt lgkmcnt(0)
	v_mul_f64 v[18:19], v[238:239], v[156:157]
	v_mul_f64 v[158:159], v[236:237], v[156:157]
	v_fma_f64 v[18:19], v[236:237], v[16:17], -v[18:19]
	v_fmac_f64_e32 v[158:159], v[238:239], v[16:17]
	v_add_f64 v[232:233], v[232:233], -v[18:19]
	v_add_f64 v[234:235], v[234:235], -v[158:159]
	v_mov_b64_e32 v[18:19], v[156:157]
.LBB116_1133:
	s_or_b64 exec, exec, s[0:1]
	v_lshl_add_u32 v156, v249, 4, v248
	s_barrier
	ds_write2_b64 v156, v[12:13], v[14:15] offset1:1
	s_waitcnt lgkmcnt(0)
	s_barrier
	ds_read2_b64 v[236:239], v248 offset0:108 offset1:109
	s_cmp_lt_i32 s20, 56
	v_mov_b32_e32 v246, 54
	s_cbranch_scc1 .LBB116_1136
; %bb.1134:
	v_add_u32_e32 v247, 0x370, v248
	s_mov_b32 s0, 55
	v_mov_b32_e32 v246, 54
.LBB116_1135:                           ; =>This Inner Loop Header: Depth=1
	ds_read2_b64 v[242:245], v247 offset1:1
	s_waitcnt lgkmcnt(1)
	v_cmp_gt_f64_e32 vcc, 0, v[236:237]
	v_xor_b32_e32 v156, 0x80000000, v237
	v_xor_b32_e32 v158, 0x80000000, v239
	v_cndmask_b32_e32 v157, v237, v156, vcc
	v_cmp_gt_f64_e32 vcc, 0, v[238:239]
	v_mov_b32_e32 v156, v236
	s_waitcnt lgkmcnt(0)
	v_xor_b32_e32 v160, 0x80000000, v245
	v_cndmask_b32_e32 v159, v239, v158, vcc
	v_mov_b32_e32 v158, v238
	v_add_f64 v[156:157], v[156:157], v[158:159]
	v_cmp_gt_f64_e32 vcc, 0, v[242:243]
	v_xor_b32_e32 v158, 0x80000000, v243
	v_add_u32_e32 v247, 16, v247
	v_cndmask_b32_e32 v159, v243, v158, vcc
	v_cmp_gt_f64_e32 vcc, 0, v[244:245]
	v_mov_b32_e32 v158, v242
	s_nop 0
	v_cndmask_b32_e32 v161, v245, v160, vcc
	v_mov_b32_e32 v160, v244
	v_add_f64 v[158:159], v[158:159], v[160:161]
	v_cmp_lt_f64_e32 vcc, v[156:157], v[158:159]
	v_mov_b32_e32 v156, s0
	s_add_i32 s0, s0, 1
	v_cndmask_b32_e32 v237, v237, v243, vcc
	v_cndmask_b32_e32 v236, v236, v242, vcc
	;; [unrolled: 1-line block ×5, first 2 shown]
	s_cmp_lg_u32 s20, s0
	s_cbranch_scc1 .LBB116_1135
.LBB116_1136:
	s_waitcnt lgkmcnt(0)
	v_cmp_eq_f64_e32 vcc, 0, v[236:237]
	v_cmp_eq_f64_e64 s[0:1], 0, v[238:239]
	s_and_b64 s[0:1], vcc, s[0:1]
	s_and_saveexec_b64 s[16:17], s[0:1]
	s_xor_b64 s[0:1], exec, s[16:17]
; %bb.1137:
	v_cmp_ne_u32_e32 vcc, 0, v250
	s_nop 1
	v_cndmask_b32_e32 v250, 55, v250, vcc
; %bb.1138:
	s_andn2_saveexec_b64 s[0:1], s[0:1]
	s_cbranch_execz .LBB116_1144
; %bb.1139:
	v_cmp_ngt_f64_e64 s[16:17], |v[236:237]|, |v[238:239]|
	s_and_saveexec_b64 s[18:19], s[16:17]
	s_xor_b64 s[16:17], exec, s[18:19]
	s_cbranch_execz .LBB116_1141
; %bb.1140:
	v_div_scale_f64 v[156:157], s[18:19], v[238:239], v[238:239], v[236:237]
	v_rcp_f64_e32 v[158:159], v[156:157]
	v_div_scale_f64 v[160:161], vcc, v[236:237], v[238:239], v[236:237]
	v_fma_f64 v[162:163], -v[156:157], v[158:159], 1.0
	v_fmac_f64_e32 v[158:159], v[158:159], v[162:163]
	v_fma_f64 v[162:163], -v[156:157], v[158:159], 1.0
	v_fmac_f64_e32 v[158:159], v[158:159], v[162:163]
	v_mul_f64 v[162:163], v[160:161], v[158:159]
	v_fma_f64 v[156:157], -v[156:157], v[162:163], v[160:161]
	v_div_fmas_f64 v[156:157], v[156:157], v[158:159], v[162:163]
	v_div_fixup_f64 v[156:157], v[156:157], v[238:239], v[236:237]
	v_fmac_f64_e32 v[238:239], v[236:237], v[156:157]
	v_div_scale_f64 v[158:159], s[18:19], v[238:239], v[238:239], 1.0
	v_rcp_f64_e32 v[160:161], v[158:159]
	s_nop 0
	v_fma_f64 v[162:163], -v[158:159], v[160:161], 1.0
	v_fmac_f64_e32 v[160:161], v[160:161], v[162:163]
	v_fma_f64 v[162:163], -v[158:159], v[160:161], 1.0
	v_fmac_f64_e32 v[160:161], v[160:161], v[162:163]
	v_div_scale_f64 v[162:163], vcc, 1.0, v[238:239], 1.0
	v_mul_f64 v[216:217], v[162:163], v[160:161]
	v_fma_f64 v[158:159], -v[158:159], v[216:217], v[162:163]
	s_nop 1
	v_div_fmas_f64 v[158:159], v[158:159], v[160:161], v[216:217]
	v_div_fixup_f64 v[238:239], v[158:159], v[238:239], 1.0
	v_mul_f64 v[236:237], v[156:157], v[238:239]
	v_xor_b32_e32 v239, 0x80000000, v239
.LBB116_1141:
	s_andn2_saveexec_b64 s[16:17], s[16:17]
	s_cbranch_execz .LBB116_1143
; %bb.1142:
	v_div_scale_f64 v[156:157], s[18:19], v[236:237], v[236:237], v[238:239]
	v_rcp_f64_e32 v[158:159], v[156:157]
	v_div_scale_f64 v[160:161], vcc, v[238:239], v[236:237], v[238:239]
	v_fma_f64 v[162:163], -v[156:157], v[158:159], 1.0
	v_fmac_f64_e32 v[158:159], v[158:159], v[162:163]
	v_fma_f64 v[162:163], -v[156:157], v[158:159], 1.0
	v_fmac_f64_e32 v[158:159], v[158:159], v[162:163]
	v_mul_f64 v[162:163], v[160:161], v[158:159]
	v_fma_f64 v[156:157], -v[156:157], v[162:163], v[160:161]
	v_div_fmas_f64 v[156:157], v[156:157], v[158:159], v[162:163]
	v_div_fixup_f64 v[156:157], v[156:157], v[236:237], v[238:239]
	v_fmac_f64_e32 v[236:237], v[238:239], v[156:157]
	v_div_scale_f64 v[158:159], s[18:19], v[236:237], v[236:237], 1.0
	v_rcp_f64_e32 v[160:161], v[158:159]
	s_nop 0
	v_fma_f64 v[162:163], -v[158:159], v[160:161], 1.0
	v_fmac_f64_e32 v[160:161], v[160:161], v[162:163]
	v_fma_f64 v[162:163], -v[158:159], v[160:161], 1.0
	v_fmac_f64_e32 v[160:161], v[160:161], v[162:163]
	v_div_scale_f64 v[162:163], vcc, 1.0, v[236:237], 1.0
	v_mul_f64 v[216:217], v[162:163], v[160:161]
	v_fma_f64 v[158:159], -v[158:159], v[216:217], v[162:163]
	s_nop 1
	v_div_fmas_f64 v[158:159], v[158:159], v[160:161], v[216:217]
	v_div_fixup_f64 v[236:237], v[158:159], v[236:237], 1.0
	v_mul_f64 v[238:239], v[156:157], -v[236:237]
.LBB116_1143:
	s_or_b64 exec, exec, s[16:17]
.LBB116_1144:
	s_or_b64 exec, exec, s[0:1]
	v_cmp_ne_u32_e32 vcc, v249, v246
	s_and_saveexec_b64 s[0:1], vcc
	s_xor_b64 s[0:1], exec, s[0:1]
	s_cbranch_execz .LBB116_1150
; %bb.1145:
	v_cmp_eq_u32_e32 vcc, 54, v249
	s_and_saveexec_b64 s[16:17], vcc
	s_cbranch_execz .LBB116_1149
; %bb.1146:
	v_cmp_ne_u32_e32 vcc, 54, v246
	s_xor_b64 s[18:19], s[14:15], -1
	s_and_b64 s[22:23], s[18:19], vcc
	s_and_saveexec_b64 s[18:19], s[22:23]
	s_cbranch_execz .LBB116_1148
; %bb.1147:
	scratch_load_dwordx2 v[8:9], off, off offset:16 ; 8-byte Folded Reload
	v_ashrrev_i32_e32 v247, 31, v246
	s_waitcnt vmcnt(0)
	v_lshl_add_u64 v[156:157], v[246:247], 2, v[8:9]
	global_load_dword v158, v[156:157], off
	global_load_dword v159, v[8:9], off offset:216
	s_waitcnt vmcnt(1)
	global_store_dword v[8:9], v158, off offset:216
	s_waitcnt vmcnt(1)
	global_store_dword v[156:157], v159, off
.LBB116_1148:
	s_or_b64 exec, exec, s[18:19]
	v_mov_b32_e32 v249, v246
	v_mov_b32_e32 v218, v246
.LBB116_1149:
	s_or_b64 exec, exec, s[16:17]
.LBB116_1150:
	s_andn2_saveexec_b64 s[0:1], s[0:1]
	s_cbranch_execz .LBB116_1152
; %bb.1151:
	v_mov_b32_e32 v249, 54
	ds_write2_b64 v248, v[252:253], v[254:255] offset0:110 offset1:111
	ds_write2_b64 v248, v[224:225], v[226:227] offset0:112 offset1:113
	;; [unrolled: 1-line block ×4, first 2 shown]
.LBB116_1152:
	s_or_b64 exec, exec, s[0:1]
	v_cmp_lt_i32_e32 vcc, 54, v249
	s_waitcnt lgkmcnt(0)
	s_barrier
	s_and_saveexec_b64 s[0:1], vcc
	s_cbranch_execz .LBB116_1154
; %bb.1153:
	v_mul_f64 v[156:157], v[236:237], v[14:15]
	v_mul_f64 v[14:15], v[238:239], v[14:15]
	v_fmac_f64_e32 v[156:157], v[238:239], v[12:13]
	v_fma_f64 v[12:13], v[236:237], v[12:13], -v[14:15]
	ds_read2_b64 v[236:239], v248 offset0:110 offset1:111
	s_waitcnt lgkmcnt(0)
	v_mul_f64 v[14:15], v[238:239], v[156:157]
	v_mul_f64 v[158:159], v[236:237], v[156:157]
	v_fma_f64 v[14:15], v[236:237], v[12:13], -v[14:15]
	v_fmac_f64_e32 v[158:159], v[238:239], v[12:13]
	ds_read2_b64 v[236:239], v248 offset0:112 offset1:113
	v_add_f64 v[252:253], v[252:253], -v[14:15]
	v_add_f64 v[254:255], v[254:255], -v[158:159]
	s_waitcnt lgkmcnt(0)
	v_mul_f64 v[14:15], v[238:239], v[156:157]
	v_mul_f64 v[158:159], v[236:237], v[156:157]
	v_fma_f64 v[14:15], v[236:237], v[12:13], -v[14:15]
	v_fmac_f64_e32 v[158:159], v[238:239], v[12:13]
	ds_read2_b64 v[236:239], v248 offset0:114 offset1:115
	v_add_f64 v[224:225], v[224:225], -v[14:15]
	v_add_f64 v[226:227], v[226:227], -v[158:159]
	;; [unrolled: 8-line block ×3, first 2 shown]
	s_waitcnt lgkmcnt(0)
	v_mul_f64 v[14:15], v[238:239], v[156:157]
	v_mul_f64 v[158:159], v[236:237], v[156:157]
	v_fma_f64 v[14:15], v[236:237], v[12:13], -v[14:15]
	v_fmac_f64_e32 v[158:159], v[238:239], v[12:13]
	v_add_f64 v[232:233], v[232:233], -v[14:15]
	v_add_f64 v[234:235], v[234:235], -v[158:159]
	v_mov_b64_e32 v[14:15], v[156:157]
.LBB116_1154:
	s_or_b64 exec, exec, s[0:1]
	v_lshl_add_u32 v156, v249, 4, v248
	s_barrier
	ds_write2_b64 v156, v[252:253], v[254:255] offset1:1
	s_waitcnt lgkmcnt(0)
	s_barrier
	ds_read2_b64 v[236:239], v248 offset0:110 offset1:111
	s_cmp_lt_i32 s20, 57
	v_mov_b32_e32 v246, 55
	s_cbranch_scc1 .LBB116_1157
; %bb.1155:
	v_add_u32_e32 v247, 0x380, v248
	s_mov_b32 s0, 56
	v_mov_b32_e32 v246, 55
.LBB116_1156:                           ; =>This Inner Loop Header: Depth=1
	ds_read2_b64 v[242:245], v247 offset1:1
	s_waitcnt lgkmcnt(1)
	v_cmp_gt_f64_e32 vcc, 0, v[236:237]
	v_xor_b32_e32 v156, 0x80000000, v237
	v_xor_b32_e32 v158, 0x80000000, v239
	v_cndmask_b32_e32 v157, v237, v156, vcc
	v_cmp_gt_f64_e32 vcc, 0, v[238:239]
	v_mov_b32_e32 v156, v236
	s_waitcnt lgkmcnt(0)
	v_xor_b32_e32 v160, 0x80000000, v245
	v_cndmask_b32_e32 v159, v239, v158, vcc
	v_mov_b32_e32 v158, v238
	v_add_f64 v[156:157], v[156:157], v[158:159]
	v_cmp_gt_f64_e32 vcc, 0, v[242:243]
	v_xor_b32_e32 v158, 0x80000000, v243
	v_add_u32_e32 v247, 16, v247
	v_cndmask_b32_e32 v159, v243, v158, vcc
	v_cmp_gt_f64_e32 vcc, 0, v[244:245]
	v_mov_b32_e32 v158, v242
	s_nop 0
	v_cndmask_b32_e32 v161, v245, v160, vcc
	v_mov_b32_e32 v160, v244
	v_add_f64 v[158:159], v[158:159], v[160:161]
	v_cmp_lt_f64_e32 vcc, v[156:157], v[158:159]
	v_mov_b32_e32 v156, s0
	s_add_i32 s0, s0, 1
	v_cndmask_b32_e32 v237, v237, v243, vcc
	v_cndmask_b32_e32 v236, v236, v242, vcc
	;; [unrolled: 1-line block ×5, first 2 shown]
	s_cmp_lg_u32 s20, s0
	s_cbranch_scc1 .LBB116_1156
.LBB116_1157:
	s_waitcnt lgkmcnt(0)
	v_cmp_eq_f64_e32 vcc, 0, v[236:237]
	v_cmp_eq_f64_e64 s[0:1], 0, v[238:239]
	s_and_b64 s[0:1], vcc, s[0:1]
	s_and_saveexec_b64 s[16:17], s[0:1]
	s_xor_b64 s[0:1], exec, s[16:17]
; %bb.1158:
	v_cmp_ne_u32_e32 vcc, 0, v250
	s_nop 1
	v_cndmask_b32_e32 v250, 56, v250, vcc
; %bb.1159:
	s_andn2_saveexec_b64 s[0:1], s[0:1]
	s_cbranch_execz .LBB116_1165
; %bb.1160:
	v_cmp_ngt_f64_e64 s[16:17], |v[236:237]|, |v[238:239]|
	s_and_saveexec_b64 s[18:19], s[16:17]
	s_xor_b64 s[16:17], exec, s[18:19]
	s_cbranch_execz .LBB116_1162
; %bb.1161:
	v_div_scale_f64 v[156:157], s[18:19], v[238:239], v[238:239], v[236:237]
	v_rcp_f64_e32 v[158:159], v[156:157]
	v_div_scale_f64 v[160:161], vcc, v[236:237], v[238:239], v[236:237]
	v_fma_f64 v[162:163], -v[156:157], v[158:159], 1.0
	v_fmac_f64_e32 v[158:159], v[158:159], v[162:163]
	v_fma_f64 v[162:163], -v[156:157], v[158:159], 1.0
	v_fmac_f64_e32 v[158:159], v[158:159], v[162:163]
	v_mul_f64 v[162:163], v[160:161], v[158:159]
	v_fma_f64 v[156:157], -v[156:157], v[162:163], v[160:161]
	v_div_fmas_f64 v[156:157], v[156:157], v[158:159], v[162:163]
	v_div_fixup_f64 v[156:157], v[156:157], v[238:239], v[236:237]
	v_fmac_f64_e32 v[238:239], v[236:237], v[156:157]
	v_div_scale_f64 v[158:159], s[18:19], v[238:239], v[238:239], 1.0
	v_rcp_f64_e32 v[160:161], v[158:159]
	s_nop 0
	v_fma_f64 v[162:163], -v[158:159], v[160:161], 1.0
	v_fmac_f64_e32 v[160:161], v[160:161], v[162:163]
	v_fma_f64 v[162:163], -v[158:159], v[160:161], 1.0
	v_fmac_f64_e32 v[160:161], v[160:161], v[162:163]
	v_div_scale_f64 v[162:163], vcc, 1.0, v[238:239], 1.0
	v_mul_f64 v[216:217], v[162:163], v[160:161]
	v_fma_f64 v[158:159], -v[158:159], v[216:217], v[162:163]
	s_nop 1
	v_div_fmas_f64 v[158:159], v[158:159], v[160:161], v[216:217]
	v_div_fixup_f64 v[238:239], v[158:159], v[238:239], 1.0
	v_mul_f64 v[236:237], v[156:157], v[238:239]
	v_xor_b32_e32 v239, 0x80000000, v239
.LBB116_1162:
	s_andn2_saveexec_b64 s[16:17], s[16:17]
	s_cbranch_execz .LBB116_1164
; %bb.1163:
	v_div_scale_f64 v[156:157], s[18:19], v[236:237], v[236:237], v[238:239]
	v_rcp_f64_e32 v[158:159], v[156:157]
	v_div_scale_f64 v[160:161], vcc, v[238:239], v[236:237], v[238:239]
	v_fma_f64 v[162:163], -v[156:157], v[158:159], 1.0
	v_fmac_f64_e32 v[158:159], v[158:159], v[162:163]
	v_fma_f64 v[162:163], -v[156:157], v[158:159], 1.0
	v_fmac_f64_e32 v[158:159], v[158:159], v[162:163]
	v_mul_f64 v[162:163], v[160:161], v[158:159]
	v_fma_f64 v[156:157], -v[156:157], v[162:163], v[160:161]
	v_div_fmas_f64 v[156:157], v[156:157], v[158:159], v[162:163]
	v_div_fixup_f64 v[156:157], v[156:157], v[236:237], v[238:239]
	v_fmac_f64_e32 v[236:237], v[238:239], v[156:157]
	v_div_scale_f64 v[158:159], s[18:19], v[236:237], v[236:237], 1.0
	v_rcp_f64_e32 v[160:161], v[158:159]
	s_nop 0
	v_fma_f64 v[162:163], -v[158:159], v[160:161], 1.0
	v_fmac_f64_e32 v[160:161], v[160:161], v[162:163]
	v_fma_f64 v[162:163], -v[158:159], v[160:161], 1.0
	v_fmac_f64_e32 v[160:161], v[160:161], v[162:163]
	v_div_scale_f64 v[162:163], vcc, 1.0, v[236:237], 1.0
	v_mul_f64 v[216:217], v[162:163], v[160:161]
	v_fma_f64 v[158:159], -v[158:159], v[216:217], v[162:163]
	s_nop 1
	v_div_fmas_f64 v[158:159], v[158:159], v[160:161], v[216:217]
	v_div_fixup_f64 v[236:237], v[158:159], v[236:237], 1.0
	v_mul_f64 v[238:239], v[156:157], -v[236:237]
.LBB116_1164:
	s_or_b64 exec, exec, s[16:17]
.LBB116_1165:
	s_or_b64 exec, exec, s[0:1]
	v_cmp_ne_u32_e32 vcc, v249, v246
	s_and_saveexec_b64 s[0:1], vcc
	s_xor_b64 s[0:1], exec, s[0:1]
	s_cbranch_execz .LBB116_1171
; %bb.1166:
	v_cmp_eq_u32_e32 vcc, 55, v249
	s_and_saveexec_b64 s[16:17], vcc
	s_cbranch_execz .LBB116_1170
; %bb.1167:
	v_cmp_ne_u32_e32 vcc, 55, v246
	s_xor_b64 s[18:19], s[14:15], -1
	s_and_b64 s[22:23], s[18:19], vcc
	s_and_saveexec_b64 s[18:19], s[22:23]
	s_cbranch_execz .LBB116_1169
; %bb.1168:
	scratch_load_dwordx2 v[8:9], off, off offset:16 ; 8-byte Folded Reload
	v_ashrrev_i32_e32 v247, 31, v246
	s_waitcnt vmcnt(0)
	v_lshl_add_u64 v[156:157], v[246:247], 2, v[8:9]
	global_load_dword v158, v[156:157], off
	global_load_dword v159, v[8:9], off offset:220
	s_waitcnt vmcnt(1)
	global_store_dword v[8:9], v158, off offset:220
	s_waitcnt vmcnt(1)
	global_store_dword v[156:157], v159, off
.LBB116_1169:
	s_or_b64 exec, exec, s[18:19]
	v_mov_b32_e32 v249, v246
	v_mov_b32_e32 v218, v246
.LBB116_1170:
	s_or_b64 exec, exec, s[16:17]
.LBB116_1171:
	s_andn2_saveexec_b64 s[0:1], s[0:1]
	s_cbranch_execz .LBB116_1173
; %bb.1172:
	v_mov_b32_e32 v249, 55
	ds_write2_b64 v248, v[224:225], v[226:227] offset0:112 offset1:113
	ds_write2_b64 v248, v[220:221], v[222:223] offset0:114 offset1:115
	ds_write2_b64 v248, v[232:233], v[234:235] offset0:116 offset1:117
.LBB116_1173:
	s_or_b64 exec, exec, s[0:1]
	v_cmp_lt_i32_e32 vcc, 55, v249
	s_waitcnt lgkmcnt(0)
	s_barrier
	s_and_saveexec_b64 s[0:1], vcc
	s_cbranch_execz .LBB116_1175
; %bb.1174:
	v_mul_f64 v[156:157], v[236:237], v[254:255]
	v_mul_f64 v[10:11], v[238:239], v[254:255]
	v_fmac_f64_e32 v[156:157], v[238:239], v[252:253]
	v_fma_f64 v[252:253], v[236:237], v[252:253], -v[10:11]
	ds_read2_b64 v[236:239], v248 offset0:112 offset1:113
	v_mov_b64_e32 v[254:255], v[156:157]
	s_waitcnt lgkmcnt(0)
	v_mul_f64 v[10:11], v[238:239], v[156:157]
	v_mul_f64 v[158:159], v[236:237], v[156:157]
	v_fma_f64 v[10:11], v[236:237], v[252:253], -v[10:11]
	v_fmac_f64_e32 v[158:159], v[238:239], v[252:253]
	ds_read2_b64 v[236:239], v248 offset0:114 offset1:115
	v_add_f64 v[224:225], v[224:225], -v[10:11]
	v_add_f64 v[226:227], v[226:227], -v[158:159]
	s_waitcnt lgkmcnt(0)
	v_mul_f64 v[10:11], v[238:239], v[156:157]
	v_mul_f64 v[158:159], v[236:237], v[156:157]
	v_fma_f64 v[10:11], v[236:237], v[252:253], -v[10:11]
	v_fmac_f64_e32 v[158:159], v[238:239], v[252:253]
	ds_read2_b64 v[236:239], v248 offset0:116 offset1:117
	v_add_f64 v[220:221], v[220:221], -v[10:11]
	v_add_f64 v[222:223], v[222:223], -v[158:159]
	s_waitcnt lgkmcnt(0)
	v_mul_f64 v[10:11], v[238:239], v[156:157]
	v_mul_f64 v[158:159], v[236:237], v[156:157]
	v_fma_f64 v[10:11], v[236:237], v[252:253], -v[10:11]
	v_fmac_f64_e32 v[158:159], v[238:239], v[252:253]
	v_add_f64 v[232:233], v[232:233], -v[10:11]
	v_add_f64 v[234:235], v[234:235], -v[158:159]
.LBB116_1175:
	s_or_b64 exec, exec, s[0:1]
	v_lshl_add_u32 v156, v249, 4, v248
	s_barrier
	ds_write2_b64 v156, v[224:225], v[226:227] offset1:1
	s_waitcnt lgkmcnt(0)
	s_barrier
	ds_read2_b64 v[236:239], v248 offset0:112 offset1:113
	s_cmp_lt_i32 s20, 58
	v_mov_b32_e32 v246, 56
	s_cbranch_scc1 .LBB116_1178
; %bb.1176:
	v_add_u32_e32 v247, 0x390, v248
	s_mov_b32 s0, 57
	v_mov_b32_e32 v246, 56
.LBB116_1177:                           ; =>This Inner Loop Header: Depth=1
	ds_read2_b64 v[242:245], v247 offset1:1
	s_waitcnt lgkmcnt(1)
	v_cmp_gt_f64_e32 vcc, 0, v[236:237]
	v_xor_b32_e32 v156, 0x80000000, v237
	v_xor_b32_e32 v158, 0x80000000, v239
	v_cndmask_b32_e32 v157, v237, v156, vcc
	v_cmp_gt_f64_e32 vcc, 0, v[238:239]
	v_mov_b32_e32 v156, v236
	s_waitcnt lgkmcnt(0)
	v_xor_b32_e32 v160, 0x80000000, v245
	v_cndmask_b32_e32 v159, v239, v158, vcc
	v_mov_b32_e32 v158, v238
	v_add_f64 v[156:157], v[156:157], v[158:159]
	v_cmp_gt_f64_e32 vcc, 0, v[242:243]
	v_xor_b32_e32 v158, 0x80000000, v243
	v_add_u32_e32 v247, 16, v247
	v_cndmask_b32_e32 v159, v243, v158, vcc
	v_cmp_gt_f64_e32 vcc, 0, v[244:245]
	v_mov_b32_e32 v158, v242
	s_nop 0
	v_cndmask_b32_e32 v161, v245, v160, vcc
	v_mov_b32_e32 v160, v244
	v_add_f64 v[158:159], v[158:159], v[160:161]
	v_cmp_lt_f64_e32 vcc, v[156:157], v[158:159]
	v_mov_b32_e32 v156, s0
	s_add_i32 s0, s0, 1
	v_cndmask_b32_e32 v237, v237, v243, vcc
	v_cndmask_b32_e32 v236, v236, v242, vcc
	;; [unrolled: 1-line block ×5, first 2 shown]
	s_cmp_lg_u32 s20, s0
	s_cbranch_scc1 .LBB116_1177
.LBB116_1178:
	s_waitcnt lgkmcnt(0)
	v_cmp_eq_f64_e32 vcc, 0, v[236:237]
	v_cmp_eq_f64_e64 s[0:1], 0, v[238:239]
	s_and_b64 s[0:1], vcc, s[0:1]
	s_and_saveexec_b64 s[16:17], s[0:1]
	s_xor_b64 s[0:1], exec, s[16:17]
; %bb.1179:
	v_cmp_ne_u32_e32 vcc, 0, v250
	s_nop 1
	v_cndmask_b32_e32 v250, 57, v250, vcc
; %bb.1180:
	s_andn2_saveexec_b64 s[0:1], s[0:1]
	s_cbranch_execz .LBB116_1186
; %bb.1181:
	v_cmp_ngt_f64_e64 s[16:17], |v[236:237]|, |v[238:239]|
	s_and_saveexec_b64 s[18:19], s[16:17]
	s_xor_b64 s[16:17], exec, s[18:19]
	s_cbranch_execz .LBB116_1183
; %bb.1182:
	v_div_scale_f64 v[156:157], s[18:19], v[238:239], v[238:239], v[236:237]
	v_rcp_f64_e32 v[158:159], v[156:157]
	v_div_scale_f64 v[160:161], vcc, v[236:237], v[238:239], v[236:237]
	v_fma_f64 v[162:163], -v[156:157], v[158:159], 1.0
	v_fmac_f64_e32 v[158:159], v[158:159], v[162:163]
	v_fma_f64 v[162:163], -v[156:157], v[158:159], 1.0
	v_fmac_f64_e32 v[158:159], v[158:159], v[162:163]
	v_mul_f64 v[162:163], v[160:161], v[158:159]
	v_fma_f64 v[156:157], -v[156:157], v[162:163], v[160:161]
	v_div_fmas_f64 v[156:157], v[156:157], v[158:159], v[162:163]
	v_div_fixup_f64 v[156:157], v[156:157], v[238:239], v[236:237]
	v_fmac_f64_e32 v[238:239], v[236:237], v[156:157]
	v_div_scale_f64 v[158:159], s[18:19], v[238:239], v[238:239], 1.0
	v_rcp_f64_e32 v[160:161], v[158:159]
	s_nop 0
	v_fma_f64 v[162:163], -v[158:159], v[160:161], 1.0
	v_fmac_f64_e32 v[160:161], v[160:161], v[162:163]
	v_fma_f64 v[162:163], -v[158:159], v[160:161], 1.0
	v_fmac_f64_e32 v[160:161], v[160:161], v[162:163]
	v_div_scale_f64 v[162:163], vcc, 1.0, v[238:239], 1.0
	v_mul_f64 v[216:217], v[162:163], v[160:161]
	v_fma_f64 v[158:159], -v[158:159], v[216:217], v[162:163]
	s_nop 1
	v_div_fmas_f64 v[158:159], v[158:159], v[160:161], v[216:217]
	v_div_fixup_f64 v[238:239], v[158:159], v[238:239], 1.0
	v_mul_f64 v[236:237], v[156:157], v[238:239]
	v_xor_b32_e32 v239, 0x80000000, v239
.LBB116_1183:
	s_andn2_saveexec_b64 s[16:17], s[16:17]
	s_cbranch_execz .LBB116_1185
; %bb.1184:
	v_div_scale_f64 v[156:157], s[18:19], v[236:237], v[236:237], v[238:239]
	v_rcp_f64_e32 v[158:159], v[156:157]
	v_div_scale_f64 v[160:161], vcc, v[238:239], v[236:237], v[238:239]
	v_fma_f64 v[162:163], -v[156:157], v[158:159], 1.0
	v_fmac_f64_e32 v[158:159], v[158:159], v[162:163]
	v_fma_f64 v[162:163], -v[156:157], v[158:159], 1.0
	v_fmac_f64_e32 v[158:159], v[158:159], v[162:163]
	v_mul_f64 v[162:163], v[160:161], v[158:159]
	v_fma_f64 v[156:157], -v[156:157], v[162:163], v[160:161]
	v_div_fmas_f64 v[156:157], v[156:157], v[158:159], v[162:163]
	v_div_fixup_f64 v[156:157], v[156:157], v[236:237], v[238:239]
	v_fmac_f64_e32 v[236:237], v[238:239], v[156:157]
	v_div_scale_f64 v[158:159], s[18:19], v[236:237], v[236:237], 1.0
	v_rcp_f64_e32 v[160:161], v[158:159]
	s_nop 0
	v_fma_f64 v[162:163], -v[158:159], v[160:161], 1.0
	v_fmac_f64_e32 v[160:161], v[160:161], v[162:163]
	v_fma_f64 v[162:163], -v[158:159], v[160:161], 1.0
	v_fmac_f64_e32 v[160:161], v[160:161], v[162:163]
	v_div_scale_f64 v[162:163], vcc, 1.0, v[236:237], 1.0
	v_mul_f64 v[216:217], v[162:163], v[160:161]
	v_fma_f64 v[158:159], -v[158:159], v[216:217], v[162:163]
	s_nop 1
	v_div_fmas_f64 v[158:159], v[158:159], v[160:161], v[216:217]
	v_div_fixup_f64 v[236:237], v[158:159], v[236:237], 1.0
	v_mul_f64 v[238:239], v[156:157], -v[236:237]
.LBB116_1185:
	s_or_b64 exec, exec, s[16:17]
.LBB116_1186:
	s_or_b64 exec, exec, s[0:1]
	v_cmp_ne_u32_e32 vcc, v249, v246
	s_and_saveexec_b64 s[0:1], vcc
	s_xor_b64 s[0:1], exec, s[0:1]
	s_cbranch_execz .LBB116_1192
; %bb.1187:
	v_cmp_eq_u32_e32 vcc, 56, v249
	s_and_saveexec_b64 s[16:17], vcc
	s_cbranch_execz .LBB116_1191
; %bb.1188:
	v_cmp_ne_u32_e32 vcc, 56, v246
	s_xor_b64 s[18:19], s[14:15], -1
	s_and_b64 s[22:23], s[18:19], vcc
	s_and_saveexec_b64 s[18:19], s[22:23]
	s_cbranch_execz .LBB116_1190
; %bb.1189:
	scratch_load_dwordx2 v[8:9], off, off offset:16 ; 8-byte Folded Reload
	v_ashrrev_i32_e32 v247, 31, v246
	s_waitcnt vmcnt(0)
	v_lshl_add_u64 v[156:157], v[246:247], 2, v[8:9]
	global_load_dword v158, v[156:157], off
	global_load_dword v159, v[8:9], off offset:224
	s_waitcnt vmcnt(1)
	global_store_dword v[8:9], v158, off offset:224
	s_waitcnt vmcnt(1)
	global_store_dword v[156:157], v159, off
.LBB116_1190:
	s_or_b64 exec, exec, s[18:19]
	v_mov_b32_e32 v249, v246
	v_mov_b32_e32 v218, v246
.LBB116_1191:
	s_or_b64 exec, exec, s[16:17]
.LBB116_1192:
	s_andn2_saveexec_b64 s[0:1], s[0:1]
	s_cbranch_execz .LBB116_1194
; %bb.1193:
	v_mov_b32_e32 v249, 56
	ds_write2_b64 v248, v[220:221], v[222:223] offset0:114 offset1:115
	ds_write2_b64 v248, v[232:233], v[234:235] offset0:116 offset1:117
.LBB116_1194:
	s_or_b64 exec, exec, s[0:1]
	s_waitcnt lgkmcnt(0)
	s_barrier
	v_cmp_lt_i32_e32 vcc, 56, v249
	s_mov_b64 s[0:1], exec
	v_mov_b64_e32 v[10:11], v[2:3]
	s_and_b64 s[16:17], s[0:1], vcc
	v_mov_b64_e32 v[8:9], v[0:1]
	s_mov_b64 exec, s[16:17]
	s_cbranch_execz .LBB116_1196
; %bb.1195:
	v_mov_b64_e32 v[0:1], v[4:5]
	v_mul_f64 v[156:157], v[236:237], v[226:227]
	v_mov_b64_e32 v[2:3], v[6:7]
	v_mul_f64 v[6:7], v[238:239], v[226:227]
	v_fmac_f64_e32 v[156:157], v[238:239], v[224:225]
	v_fma_f64 v[224:225], v[236:237], v[224:225], -v[6:7]
	ds_read2_b64 v[236:239], v248 offset0:114 offset1:115
	v_mov_b64_e32 v[226:227], v[156:157]
	s_waitcnt lgkmcnt(0)
	v_mul_f64 v[6:7], v[238:239], v[156:157]
	v_mul_f64 v[158:159], v[236:237], v[156:157]
	v_fma_f64 v[6:7], v[236:237], v[224:225], -v[6:7]
	v_fmac_f64_e32 v[158:159], v[238:239], v[224:225]
	ds_read2_b64 v[236:239], v248 offset0:116 offset1:117
	v_add_f64 v[220:221], v[220:221], -v[6:7]
	v_add_f64 v[222:223], v[222:223], -v[158:159]
	s_waitcnt lgkmcnt(0)
	v_mul_f64 v[6:7], v[238:239], v[156:157]
	v_fma_f64 v[6:7], v[236:237], v[224:225], -v[6:7]
	v_mul_f64 v[158:159], v[236:237], v[156:157]
	v_fmac_f64_e32 v[158:159], v[238:239], v[224:225]
	v_add_f64 v[232:233], v[232:233], -v[6:7]
	v_mov_b64_e32 v[6:7], v[2:3]
	v_mov_b64_e32 v[4:5], v[0:1]
	v_add_f64 v[234:235], v[234:235], -v[158:159]
.LBB116_1196:
	s_or_b64 exec, exec, s[0:1]
	v_lshl_add_u32 v156, v249, 4, v248
	s_barrier
	ds_write2_b64 v156, v[220:221], v[222:223] offset1:1
	s_waitcnt lgkmcnt(0)
	s_barrier
	ds_read2_b64 v[236:239], v248 offset0:114 offset1:115
	s_cmp_lt_i32 s20, 59
	v_mov_b32_e32 v246, 57
	s_cbranch_scc1 .LBB116_1199
; %bb.1197:
	v_add_u32_e32 v247, 0x3a0, v248
	s_mov_b32 s0, 58
	v_mov_b32_e32 v246, 57
.LBB116_1198:                           ; =>This Inner Loop Header: Depth=1
	ds_read2_b64 v[242:245], v247 offset1:1
	s_waitcnt lgkmcnt(1)
	v_cmp_gt_f64_e32 vcc, 0, v[236:237]
	v_xor_b32_e32 v156, 0x80000000, v237
	v_xor_b32_e32 v158, 0x80000000, v239
	v_cndmask_b32_e32 v157, v237, v156, vcc
	v_cmp_gt_f64_e32 vcc, 0, v[238:239]
	v_mov_b32_e32 v156, v236
	s_waitcnt lgkmcnt(0)
	v_xor_b32_e32 v160, 0x80000000, v245
	v_cndmask_b32_e32 v159, v239, v158, vcc
	v_mov_b32_e32 v158, v238
	v_add_f64 v[156:157], v[156:157], v[158:159]
	v_cmp_gt_f64_e32 vcc, 0, v[242:243]
	v_xor_b32_e32 v158, 0x80000000, v243
	v_add_u32_e32 v247, 16, v247
	v_cndmask_b32_e32 v159, v243, v158, vcc
	v_cmp_gt_f64_e32 vcc, 0, v[244:245]
	v_mov_b32_e32 v158, v242
	s_nop 0
	v_cndmask_b32_e32 v161, v245, v160, vcc
	v_mov_b32_e32 v160, v244
	v_add_f64 v[158:159], v[158:159], v[160:161]
	v_cmp_lt_f64_e32 vcc, v[156:157], v[158:159]
	v_mov_b32_e32 v156, s0
	s_add_i32 s0, s0, 1
	v_cndmask_b32_e32 v237, v237, v243, vcc
	v_cndmask_b32_e32 v236, v236, v242, vcc
	;; [unrolled: 1-line block ×5, first 2 shown]
	s_cmp_lg_u32 s20, s0
	s_cbranch_scc1 .LBB116_1198
.LBB116_1199:
	s_waitcnt lgkmcnt(0)
	v_cmp_eq_f64_e32 vcc, 0, v[236:237]
	v_cmp_eq_f64_e64 s[0:1], 0, v[238:239]
	s_and_b64 s[0:1], vcc, s[0:1]
	s_and_saveexec_b64 s[16:17], s[0:1]
	s_xor_b64 s[0:1], exec, s[16:17]
; %bb.1200:
	v_cmp_ne_u32_e32 vcc, 0, v250
	s_nop 1
	v_cndmask_b32_e32 v250, 58, v250, vcc
; %bb.1201:
	s_andn2_saveexec_b64 s[0:1], s[0:1]
	s_cbranch_execz .LBB116_1207
; %bb.1202:
	v_cmp_ngt_f64_e64 s[16:17], |v[236:237]|, |v[238:239]|
	s_and_saveexec_b64 s[18:19], s[16:17]
	s_xor_b64 s[16:17], exec, s[18:19]
	s_cbranch_execz .LBB116_1204
; %bb.1203:
	v_div_scale_f64 v[156:157], s[18:19], v[238:239], v[238:239], v[236:237]
	v_rcp_f64_e32 v[158:159], v[156:157]
	v_div_scale_f64 v[160:161], vcc, v[236:237], v[238:239], v[236:237]
	v_fma_f64 v[162:163], -v[156:157], v[158:159], 1.0
	v_fmac_f64_e32 v[158:159], v[158:159], v[162:163]
	v_fma_f64 v[162:163], -v[156:157], v[158:159], 1.0
	v_fmac_f64_e32 v[158:159], v[158:159], v[162:163]
	v_mul_f64 v[162:163], v[160:161], v[158:159]
	v_fma_f64 v[156:157], -v[156:157], v[162:163], v[160:161]
	v_div_fmas_f64 v[156:157], v[156:157], v[158:159], v[162:163]
	v_div_fixup_f64 v[156:157], v[156:157], v[238:239], v[236:237]
	v_fmac_f64_e32 v[238:239], v[236:237], v[156:157]
	v_div_scale_f64 v[158:159], s[18:19], v[238:239], v[238:239], 1.0
	v_rcp_f64_e32 v[160:161], v[158:159]
	s_nop 0
	v_fma_f64 v[162:163], -v[158:159], v[160:161], 1.0
	v_fmac_f64_e32 v[160:161], v[160:161], v[162:163]
	v_fma_f64 v[162:163], -v[158:159], v[160:161], 1.0
	v_fmac_f64_e32 v[160:161], v[160:161], v[162:163]
	v_div_scale_f64 v[162:163], vcc, 1.0, v[238:239], 1.0
	v_mul_f64 v[216:217], v[162:163], v[160:161]
	v_fma_f64 v[158:159], -v[158:159], v[216:217], v[162:163]
	s_nop 1
	v_div_fmas_f64 v[158:159], v[158:159], v[160:161], v[216:217]
	v_div_fixup_f64 v[238:239], v[158:159], v[238:239], 1.0
	v_mul_f64 v[236:237], v[156:157], v[238:239]
	v_xor_b32_e32 v239, 0x80000000, v239
.LBB116_1204:
	s_andn2_saveexec_b64 s[16:17], s[16:17]
	s_cbranch_execz .LBB116_1206
; %bb.1205:
	v_div_scale_f64 v[156:157], s[18:19], v[236:237], v[236:237], v[238:239]
	v_rcp_f64_e32 v[158:159], v[156:157]
	v_div_scale_f64 v[160:161], vcc, v[238:239], v[236:237], v[238:239]
	v_fma_f64 v[162:163], -v[156:157], v[158:159], 1.0
	v_fmac_f64_e32 v[158:159], v[158:159], v[162:163]
	v_fma_f64 v[162:163], -v[156:157], v[158:159], 1.0
	v_fmac_f64_e32 v[158:159], v[158:159], v[162:163]
	v_mul_f64 v[162:163], v[160:161], v[158:159]
	v_fma_f64 v[156:157], -v[156:157], v[162:163], v[160:161]
	v_div_fmas_f64 v[156:157], v[156:157], v[158:159], v[162:163]
	v_div_fixup_f64 v[156:157], v[156:157], v[236:237], v[238:239]
	v_fmac_f64_e32 v[236:237], v[238:239], v[156:157]
	v_div_scale_f64 v[158:159], s[18:19], v[236:237], v[236:237], 1.0
	v_rcp_f64_e32 v[160:161], v[158:159]
	s_nop 0
	v_fma_f64 v[162:163], -v[158:159], v[160:161], 1.0
	v_fmac_f64_e32 v[160:161], v[160:161], v[162:163]
	v_fma_f64 v[162:163], -v[158:159], v[160:161], 1.0
	v_fmac_f64_e32 v[160:161], v[160:161], v[162:163]
	v_div_scale_f64 v[162:163], vcc, 1.0, v[236:237], 1.0
	v_mul_f64 v[216:217], v[162:163], v[160:161]
	v_fma_f64 v[158:159], -v[158:159], v[216:217], v[162:163]
	s_nop 1
	v_div_fmas_f64 v[158:159], v[158:159], v[160:161], v[216:217]
	v_div_fixup_f64 v[236:237], v[158:159], v[236:237], 1.0
	v_mul_f64 v[238:239], v[156:157], -v[236:237]
.LBB116_1206:
	s_or_b64 exec, exec, s[16:17]
.LBB116_1207:
	s_or_b64 exec, exec, s[0:1]
	v_cmp_ne_u32_e32 vcc, v249, v246
	s_and_saveexec_b64 s[0:1], vcc
	s_xor_b64 s[0:1], exec, s[0:1]
	s_cbranch_execz .LBB116_1213
; %bb.1208:
	v_cmp_eq_u32_e32 vcc, 57, v249
	s_and_saveexec_b64 s[16:17], vcc
	s_cbranch_execz .LBB116_1212
; %bb.1209:
	v_cmp_ne_u32_e32 vcc, 57, v246
	s_xor_b64 s[18:19], s[14:15], -1
	s_and_b64 s[22:23], s[18:19], vcc
	s_and_saveexec_b64 s[18:19], s[22:23]
	s_cbranch_execz .LBB116_1211
; %bb.1210:
	scratch_load_dwordx2 v[0:1], off, off offset:16 ; 8-byte Folded Reload
	v_ashrrev_i32_e32 v247, 31, v246
	s_waitcnt vmcnt(0)
	v_lshl_add_u64 v[156:157], v[246:247], 2, v[0:1]
	global_load_dword v158, v[156:157], off
	global_load_dword v159, v[0:1], off offset:228
	s_waitcnt vmcnt(1)
	global_store_dword v[0:1], v158, off offset:228
	s_waitcnt vmcnt(1)
	global_store_dword v[156:157], v159, off
.LBB116_1211:
	s_or_b64 exec, exec, s[18:19]
	v_mov_b32_e32 v249, v246
	v_mov_b32_e32 v218, v246
.LBB116_1212:
	s_or_b64 exec, exec, s[16:17]
.LBB116_1213:
	s_andn2_saveexec_b64 s[0:1], s[0:1]
; %bb.1214:
	v_mov_b32_e32 v249, 57
	ds_write2_b64 v248, v[232:233], v[234:235] offset0:116 offset1:117
; %bb.1215:
	s_or_b64 exec, exec, s[0:1]
	v_cmp_lt_i32_e32 vcc, 57, v249
	s_waitcnt lgkmcnt(0)
	s_barrier
	s_and_saveexec_b64 s[0:1], vcc
	s_cbranch_execz .LBB116_1217
; %bb.1216:
	v_mul_f64 v[156:157], v[236:237], v[222:223]
	v_mul_f64 v[2:3], v[238:239], v[222:223]
	v_fmac_f64_e32 v[156:157], v[238:239], v[220:221]
	v_fma_f64 v[220:221], v[236:237], v[220:221], -v[2:3]
	ds_read2_b64 v[236:239], v248 offset0:116 offset1:117
	v_mov_b64_e32 v[222:223], v[156:157]
	s_waitcnt lgkmcnt(0)
	v_mul_f64 v[2:3], v[238:239], v[156:157]
	v_mul_f64 v[158:159], v[236:237], v[156:157]
	v_fma_f64 v[2:3], v[236:237], v[220:221], -v[2:3]
	v_fmac_f64_e32 v[158:159], v[238:239], v[220:221]
	v_add_f64 v[232:233], v[232:233], -v[2:3]
	v_add_f64 v[234:235], v[234:235], -v[158:159]
.LBB116_1217:
	s_or_b64 exec, exec, s[0:1]
	v_lshl_add_u32 v156, v249, 4, v248
	s_barrier
	ds_write2_b64 v156, v[232:233], v[234:235] offset1:1
	s_waitcnt lgkmcnt(0)
	s_barrier
	ds_read2_b64 v[236:239], v248 offset0:116 offset1:117
	s_cmp_lt_i32 s20, 60
	v_mov_b32_e32 v246, 58
	s_cbranch_scc1 .LBB116_1220
; %bb.1218:
	v_add_u32_e32 v247, 0x3b0, v248
	s_mov_b32 s0, 59
	v_mov_b32_e32 v246, 58
.LBB116_1219:                           ; =>This Inner Loop Header: Depth=1
	ds_read2_b64 v[242:245], v247 offset1:1
	s_waitcnt lgkmcnt(1)
	v_cmp_gt_f64_e32 vcc, 0, v[236:237]
	v_xor_b32_e32 v156, 0x80000000, v237
	v_xor_b32_e32 v158, 0x80000000, v239
	v_cndmask_b32_e32 v157, v237, v156, vcc
	v_cmp_gt_f64_e32 vcc, 0, v[238:239]
	v_mov_b32_e32 v156, v236
	s_waitcnt lgkmcnt(0)
	v_xor_b32_e32 v160, 0x80000000, v245
	v_cndmask_b32_e32 v159, v239, v158, vcc
	v_mov_b32_e32 v158, v238
	v_add_f64 v[156:157], v[156:157], v[158:159]
	v_cmp_gt_f64_e32 vcc, 0, v[242:243]
	v_xor_b32_e32 v158, 0x80000000, v243
	v_add_u32_e32 v247, 16, v247
	v_cndmask_b32_e32 v159, v243, v158, vcc
	v_cmp_gt_f64_e32 vcc, 0, v[244:245]
	v_mov_b32_e32 v158, v242
	s_nop 0
	v_cndmask_b32_e32 v161, v245, v160, vcc
	v_mov_b32_e32 v160, v244
	v_add_f64 v[158:159], v[158:159], v[160:161]
	v_cmp_lt_f64_e32 vcc, v[156:157], v[158:159]
	v_mov_b32_e32 v156, s0
	s_add_i32 s0, s0, 1
	v_cndmask_b32_e32 v237, v237, v243, vcc
	v_cndmask_b32_e32 v236, v236, v242, vcc
	;; [unrolled: 1-line block ×5, first 2 shown]
	s_cmp_lg_u32 s20, s0
	s_cbranch_scc1 .LBB116_1219
.LBB116_1220:
	s_waitcnt lgkmcnt(0)
	v_cmp_eq_f64_e32 vcc, 0, v[236:237]
	v_cmp_eq_f64_e64 s[0:1], 0, v[238:239]
	s_and_b64 s[0:1], vcc, s[0:1]
	s_and_saveexec_b64 s[16:17], s[0:1]
	s_xor_b64 s[0:1], exec, s[16:17]
; %bb.1221:
	v_cmp_ne_u32_e32 vcc, 0, v250
	s_nop 1
	v_cndmask_b32_e32 v250, 59, v250, vcc
; %bb.1222:
	s_andn2_saveexec_b64 s[0:1], s[0:1]
	s_cbranch_execz .LBB116_1228
; %bb.1223:
	v_cmp_ngt_f64_e64 s[16:17], |v[236:237]|, |v[238:239]|
	s_and_saveexec_b64 s[18:19], s[16:17]
	s_xor_b64 s[16:17], exec, s[18:19]
	s_cbranch_execz .LBB116_1225
; %bb.1224:
	v_div_scale_f64 v[156:157], s[18:19], v[238:239], v[238:239], v[236:237]
	v_rcp_f64_e32 v[158:159], v[156:157]
	v_div_scale_f64 v[160:161], vcc, v[236:237], v[238:239], v[236:237]
	v_fma_f64 v[162:163], -v[156:157], v[158:159], 1.0
	v_fmac_f64_e32 v[158:159], v[158:159], v[162:163]
	v_fma_f64 v[162:163], -v[156:157], v[158:159], 1.0
	v_fmac_f64_e32 v[158:159], v[158:159], v[162:163]
	v_mul_f64 v[162:163], v[160:161], v[158:159]
	v_fma_f64 v[156:157], -v[156:157], v[162:163], v[160:161]
	v_div_fmas_f64 v[156:157], v[156:157], v[158:159], v[162:163]
	v_div_fixup_f64 v[156:157], v[156:157], v[238:239], v[236:237]
	v_fmac_f64_e32 v[238:239], v[236:237], v[156:157]
	v_div_scale_f64 v[158:159], s[18:19], v[238:239], v[238:239], 1.0
	v_rcp_f64_e32 v[160:161], v[158:159]
	s_nop 0
	v_fma_f64 v[162:163], -v[158:159], v[160:161], 1.0
	v_fmac_f64_e32 v[160:161], v[160:161], v[162:163]
	v_fma_f64 v[162:163], -v[158:159], v[160:161], 1.0
	v_fmac_f64_e32 v[160:161], v[160:161], v[162:163]
	v_div_scale_f64 v[162:163], vcc, 1.0, v[238:239], 1.0
	v_mul_f64 v[216:217], v[162:163], v[160:161]
	v_fma_f64 v[158:159], -v[158:159], v[216:217], v[162:163]
	s_nop 1
	v_div_fmas_f64 v[158:159], v[158:159], v[160:161], v[216:217]
	v_div_fixup_f64 v[238:239], v[158:159], v[238:239], 1.0
	v_mul_f64 v[236:237], v[156:157], v[238:239]
	v_xor_b32_e32 v239, 0x80000000, v239
.LBB116_1225:
	s_andn2_saveexec_b64 s[16:17], s[16:17]
	s_cbranch_execz .LBB116_1227
; %bb.1226:
	v_div_scale_f64 v[156:157], s[18:19], v[236:237], v[236:237], v[238:239]
	v_rcp_f64_e32 v[158:159], v[156:157]
	v_div_scale_f64 v[160:161], vcc, v[238:239], v[236:237], v[238:239]
	v_fma_f64 v[162:163], -v[156:157], v[158:159], 1.0
	v_fmac_f64_e32 v[158:159], v[158:159], v[162:163]
	v_fma_f64 v[162:163], -v[156:157], v[158:159], 1.0
	v_fmac_f64_e32 v[158:159], v[158:159], v[162:163]
	v_mul_f64 v[162:163], v[160:161], v[158:159]
	v_fma_f64 v[156:157], -v[156:157], v[162:163], v[160:161]
	v_div_fmas_f64 v[156:157], v[156:157], v[158:159], v[162:163]
	v_div_fixup_f64 v[156:157], v[156:157], v[236:237], v[238:239]
	v_fmac_f64_e32 v[236:237], v[238:239], v[156:157]
	v_div_scale_f64 v[158:159], s[18:19], v[236:237], v[236:237], 1.0
	v_rcp_f64_e32 v[160:161], v[158:159]
	s_nop 0
	v_fma_f64 v[162:163], -v[158:159], v[160:161], 1.0
	v_fmac_f64_e32 v[160:161], v[160:161], v[162:163]
	v_fma_f64 v[162:163], -v[158:159], v[160:161], 1.0
	v_fmac_f64_e32 v[160:161], v[160:161], v[162:163]
	v_div_scale_f64 v[162:163], vcc, 1.0, v[236:237], 1.0
	v_mul_f64 v[216:217], v[162:163], v[160:161]
	v_fma_f64 v[158:159], -v[158:159], v[216:217], v[162:163]
	s_nop 1
	v_div_fmas_f64 v[158:159], v[158:159], v[160:161], v[216:217]
	v_div_fixup_f64 v[236:237], v[158:159], v[236:237], 1.0
	v_mul_f64 v[238:239], v[156:157], -v[236:237]
.LBB116_1227:
	s_or_b64 exec, exec, s[16:17]
.LBB116_1228:
	s_or_b64 exec, exec, s[0:1]
	v_cmp_ne_u32_e32 vcc, v249, v246
	v_mov_b32_e32 v248, 58
	s_and_saveexec_b64 s[0:1], vcc
	s_cbranch_execz .LBB116_1234
; %bb.1229:
	v_cmp_eq_u32_e32 vcc, 58, v249
	s_and_saveexec_b64 s[16:17], vcc
	s_cbranch_execz .LBB116_1233
; %bb.1230:
	v_cmp_ne_u32_e32 vcc, 58, v246
	s_xor_b64 s[14:15], s[14:15], -1
	s_and_b64 s[18:19], s[14:15], vcc
	s_and_saveexec_b64 s[14:15], s[18:19]
	s_cbranch_execz .LBB116_1232
; %bb.1231:
	scratch_load_dwordx2 v[0:1], off, off offset:16 ; 8-byte Folded Reload
	v_ashrrev_i32_e32 v247, 31, v246
	s_waitcnt vmcnt(0)
	v_lshl_add_u64 v[156:157], v[246:247], 2, v[0:1]
	global_load_dword v158, v[156:157], off
	global_load_dword v159, v[0:1], off offset:232
	s_waitcnt vmcnt(1)
	global_store_dword v[0:1], v158, off offset:232
	s_waitcnt vmcnt(1)
	global_store_dword v[156:157], v159, off
.LBB116_1232:
	s_or_b64 exec, exec, s[14:15]
	v_mov_b32_e32 v249, v246
	v_mov_b32_e32 v218, v246
.LBB116_1233:
	s_or_b64 exec, exec, s[16:17]
	v_mov_b32_e32 v248, v249
.LBB116_1234:
	s_or_b64 exec, exec, s[0:1]
	v_cmp_gt_i32_e32 vcc, 59, v248
	v_ashrrev_i32_e32 v249, 31, v248
	s_barrier
	s_barrier
	s_and_saveexec_b64 s[0:1], vcc
	s_cbranch_execz .LBB116_1236
; %bb.1235:
	v_mov_b32_e32 v156, s6
	v_mov_b32_e32 v157, s7
	v_mul_lo_u32 v160, s11, v240
	v_mul_lo_u32 v161, s10, v241
	v_mad_u64_u32 v[158:159], s[6:7], s10, v240, 0
	v_add3_u32 v159, v159, v161, v160
	v_lshl_add_u64 v[156:157], v[158:159], 2, v[156:157]
	v_lshl_add_u64 v[156:157], s[8:9], 2, v[156:157]
	;; [unrolled: 1-line block ×3, first 2 shown]
	v_add3_u32 v158, v218, s13, 1
	global_store_dword v[156:157], v158, off
.LBB116_1236:
	s_or_b64 exec, exec, s[0:1]
	v_cmp_eq_u32_e32 vcc, 0, v248
	s_and_saveexec_b64 s[6:7], vcc
	s_cbranch_execz .LBB116_1239
; %bb.1237:
	v_mov_b32_e32 v156, s4
	v_mov_b32_e32 v157, s5
	v_lshl_add_u64 v[242:243], v[240:241], 2, v[156:157]
	global_load_dword v156, v[242:243], off
	v_cmp_ne_u32_e64 s[0:1], 0, v250
	s_waitcnt vmcnt(0)
	v_cmp_eq_u32_e32 vcc, 0, v156
	s_and_b64 s[0:1], vcc, s[0:1]
	s_and_b64 exec, exec, s[0:1]
	s_cbranch_execz .LBB116_1239
; %bb.1238:
	v_add_u32_e32 v156, s13, v250
	global_store_dword v[242:243], v156, off
.LBB116_1239:
	s_or_b64 exec, exec, s[6:7]
	scratch_load_dwordx2 v[160:161], off, off offset:72 ; 8-byte Folded Reload
	scratch_load_dwordx4 v[0:3], off, off offset:56 ; 16-byte Folded Reload
	v_mul_f64 v[156:157], v[238:239], v[234:235]
	v_fma_f64 v[156:157], v[236:237], v[232:233], -v[156:157]
	v_mul_f64 v[158:159], v[236:237], v[234:235]
	v_cmp_lt_i32_e32 vcc, 58, v248
	v_fmac_f64_e32 v[158:159], v[238:239], v[232:233]
	s_nop 0
	v_cndmask_b32_e32 v233, v233, v157, vcc
	v_cndmask_b32_e32 v232, v232, v156, vcc
	;; [unrolled: 1-line block ×4, first 2 shown]
	s_waitcnt vmcnt(1)
	v_lshl_add_u64 v[156:157], v[248:249], 4, v[160:161]
	s_waitcnt vmcnt(0)
	global_store_dwordx4 v[156:157], v[0:3], off
	scratch_load_dwordx4 v[0:3], off, off offset:24 ; 16-byte Folded Reload
	v_lshl_add_u64 v[156:157], s[2:3], 4, v[156:157]
	global_store_dwordx4 v[156:157], v[212:215], off
	v_add_u32_e32 v156, s12, v248
	v_ashrrev_i32_e32 v157, 31, v156
	v_lshl_add_u64 v[158:159], v[156:157], 4, v[160:161]
	v_add_u32_e32 v156, s2, v156
	v_ashrrev_i32_e32 v157, 31, v156
	s_waitcnt vmcnt(1)
	global_store_dwordx4 v[158:159], v[0:3], off
	scratch_load_dwordx4 v[0:3], off, off   ; 16-byte Folded Reload
	v_lshl_add_u64 v[158:159], v[156:157], 4, v[160:161]
	v_add_u32_e32 v156, s2, v156
	v_ashrrev_i32_e32 v157, 31, v156
	s_waitcnt vmcnt(0)
	global_store_dwordx4 v[158:159], v[0:3], off
	v_lshl_add_u64 v[158:159], v[156:157], 4, v[160:161]
	v_add_u32_e32 v156, s2, v156
	v_ashrrev_i32_e32 v157, 31, v156
	global_store_dwordx4 v[158:159], v[8:11], off
	v_lshl_add_u64 v[158:159], v[156:157], 4, v[160:161]
	v_add_u32_e32 v156, s2, v156
	v_ashrrev_i32_e32 v157, 31, v156
	;; [unrolled: 4-line block ×14, first 2 shown]
	global_store_dwordx4 v[158:159], v[168:171], off
	v_lshl_add_u64 v[158:159], v[156:157], 4, v[160:161]
	v_add_u32_e32 v156, s2, v156
	v_add_u32_e32 v152, s2, v156
	v_ashrrev_i32_e32 v157, 31, v156
	v_ashrrev_i32_e32 v153, 31, v152
	global_store_dwordx4 v[158:159], v[164:167], off
	v_lshl_add_u64 v[158:159], v[156:157], 4, v[160:161]
	v_lshl_add_u64 v[154:155], v[152:153], 4, v[160:161]
	global_store_dwordx4 v[158:159], v[208:211], off
	global_store_dwordx4 v[154:155], v[148:151], off
	s_nop 1
	v_add_u32_e32 v148, s2, v152
	v_ashrrev_i32_e32 v149, 31, v148
	v_lshl_add_u64 v[150:151], v[148:149], 4, v[160:161]
	global_store_dwordx4 v[150:151], v[144:147], off
	s_nop 1
	v_add_u32_e32 v144, s2, v148
	v_ashrrev_i32_e32 v145, 31, v144
	v_lshl_add_u64 v[146:147], v[144:145], 4, v[160:161]
	global_store_dwordx4 v[146:147], v[140:143], off
	s_nop 1
	v_add_u32_e32 v140, s2, v144
	v_ashrrev_i32_e32 v141, 31, v140
	v_lshl_add_u64 v[142:143], v[140:141], 4, v[160:161]
	global_store_dwordx4 v[142:143], v[136:139], off
	s_nop 1
	v_add_u32_e32 v136, s2, v140
	v_ashrrev_i32_e32 v137, 31, v136
	v_lshl_add_u64 v[138:139], v[136:137], 4, v[160:161]
	global_store_dwordx4 v[138:139], v[132:135], off
	s_nop 1
	v_add_u32_e32 v132, s2, v136
	v_ashrrev_i32_e32 v133, 31, v132
	v_lshl_add_u64 v[134:135], v[132:133], 4, v[160:161]
	global_store_dwordx4 v[134:135], v[128:131], off
	s_nop 1
	v_add_u32_e32 v128, s2, v132
	v_ashrrev_i32_e32 v129, 31, v128
	v_lshl_add_u64 v[130:131], v[128:129], 4, v[160:161]
	global_store_dwordx4 v[130:131], v[124:127], off
	s_nop 1
	v_add_u32_e32 v124, s2, v128
	v_ashrrev_i32_e32 v125, 31, v124
	v_lshl_add_u64 v[126:127], v[124:125], 4, v[160:161]
	global_store_dwordx4 v[126:127], v[120:123], off
	s_nop 1
	v_add_u32_e32 v120, s2, v124
	v_ashrrev_i32_e32 v121, 31, v120
	v_lshl_add_u64 v[122:123], v[120:121], 4, v[160:161]
	global_store_dwordx4 v[122:123], v[116:119], off
	s_nop 1
	v_add_u32_e32 v116, s2, v120
	v_ashrrev_i32_e32 v117, 31, v116
	v_lshl_add_u64 v[118:119], v[116:117], 4, v[160:161]
	global_store_dwordx4 v[118:119], v[112:115], off
	s_nop 1
	v_add_u32_e32 v112, s2, v116
	v_ashrrev_i32_e32 v113, 31, v112
	v_lshl_add_u64 v[114:115], v[112:113], 4, v[160:161]
	global_store_dwordx4 v[114:115], v[108:111], off
	s_nop 1
	v_add_u32_e32 v108, s2, v112
	v_ashrrev_i32_e32 v109, 31, v108
	v_lshl_add_u64 v[110:111], v[108:109], 4, v[160:161]
	global_store_dwordx4 v[110:111], v[104:107], off
	s_nop 1
	v_add_u32_e32 v104, s2, v108
	v_ashrrev_i32_e32 v105, 31, v104
	v_lshl_add_u64 v[106:107], v[104:105], 4, v[160:161]
	global_store_dwordx4 v[106:107], v[100:103], off
	s_nop 1
	v_add_u32_e32 v100, s2, v104
	v_ashrrev_i32_e32 v101, 31, v100
	v_lshl_add_u64 v[102:103], v[100:101], 4, v[160:161]
	global_store_dwordx4 v[102:103], v[96:99], off
	s_nop 1
	v_add_u32_e32 v96, s2, v100
	v_ashrrev_i32_e32 v97, 31, v96
	v_lshl_add_u64 v[98:99], v[96:97], 4, v[160:161]
	global_store_dwordx4 v[98:99], v[92:95], off
	s_nop 1
	v_add_u32_e32 v92, s2, v96
	v_ashrrev_i32_e32 v93, 31, v92
	v_lshl_add_u64 v[94:95], v[92:93], 4, v[160:161]
	global_store_dwordx4 v[94:95], v[88:91], off
	s_nop 1
	v_add_u32_e32 v88, s2, v92
	v_ashrrev_i32_e32 v89, 31, v88
	v_lshl_add_u64 v[90:91], v[88:89], 4, v[160:161]
	global_store_dwordx4 v[90:91], v[84:87], off
	s_nop 1
	v_add_u32_e32 v84, s2, v88
	v_ashrrev_i32_e32 v85, 31, v84
	v_lshl_add_u64 v[86:87], v[84:85], 4, v[160:161]
	global_store_dwordx4 v[86:87], v[80:83], off
	s_nop 1
	v_add_u32_e32 v80, s2, v84
	v_ashrrev_i32_e32 v81, 31, v80
	v_lshl_add_u64 v[82:83], v[80:81], 4, v[160:161]
	global_store_dwordx4 v[82:83], v[76:79], off
	s_nop 1
	v_add_u32_e32 v76, s2, v80
	v_ashrrev_i32_e32 v77, 31, v76
	v_lshl_add_u64 v[78:79], v[76:77], 4, v[160:161]
	global_store_dwordx4 v[78:79], v[72:75], off
	s_nop 1
	v_add_u32_e32 v72, s2, v76
	v_ashrrev_i32_e32 v73, 31, v72
	v_lshl_add_u64 v[74:75], v[72:73], 4, v[160:161]
	global_store_dwordx4 v[74:75], v[68:71], off
	s_nop 1
	v_add_u32_e32 v68, s2, v72
	v_ashrrev_i32_e32 v69, 31, v68
	v_lshl_add_u64 v[70:71], v[68:69], 4, v[160:161]
	global_store_dwordx4 v[70:71], v[64:67], off
	s_nop 1
	v_add_u32_e32 v64, s2, v68
	v_ashrrev_i32_e32 v65, 31, v64
	v_lshl_add_u64 v[66:67], v[64:65], 4, v[160:161]
	global_store_dwordx4 v[66:67], v[60:63], off
	s_nop 1
	v_add_u32_e32 v60, s2, v64
	v_ashrrev_i32_e32 v61, 31, v60
	v_lshl_add_u64 v[62:63], v[60:61], 4, v[160:161]
	global_store_dwordx4 v[62:63], v[56:59], off
	s_nop 1
	v_add_u32_e32 v56, s2, v60
	v_ashrrev_i32_e32 v57, 31, v56
	v_lshl_add_u64 v[58:59], v[56:57], 4, v[160:161]
	global_store_dwordx4 v[58:59], v[52:55], off
	s_nop 1
	v_add_u32_e32 v52, s2, v56
	v_ashrrev_i32_e32 v53, 31, v52
	v_lshl_add_u64 v[54:55], v[52:53], 4, v[160:161]
	global_store_dwordx4 v[54:55], v[48:51], off
	s_nop 1
	v_add_u32_e32 v48, s2, v52
	v_ashrrev_i32_e32 v49, 31, v48
	v_lshl_add_u64 v[50:51], v[48:49], 4, v[160:161]
	global_store_dwordx4 v[50:51], v[44:47], off
	s_nop 1
	v_add_u32_e32 v44, s2, v48
	v_ashrrev_i32_e32 v45, 31, v44
	v_lshl_add_u64 v[46:47], v[44:45], 4, v[160:161]
	global_store_dwordx4 v[46:47], v[40:43], off
	s_nop 1
	v_add_u32_e32 v40, s2, v44
	v_ashrrev_i32_e32 v41, 31, v40
	v_lshl_add_u64 v[42:43], v[40:41], 4, v[160:161]
	global_store_dwordx4 v[42:43], v[36:39], off
	s_nop 1
	v_add_u32_e32 v36, s2, v40
	v_ashrrev_i32_e32 v37, 31, v36
	v_lshl_add_u64 v[38:39], v[36:37], 4, v[160:161]
	global_store_dwordx4 v[38:39], v[32:35], off
	s_nop 1
	v_add_u32_e32 v32, s2, v36
	v_ashrrev_i32_e32 v33, 31, v32
	v_lshl_add_u64 v[34:35], v[32:33], 4, v[160:161]
	global_store_dwordx4 v[34:35], v[28:31], off
	s_nop 1
	v_add_u32_e32 v28, s2, v32
	v_ashrrev_i32_e32 v29, 31, v28
	v_lshl_add_u64 v[30:31], v[28:29], 4, v[160:161]
	global_store_dwordx4 v[30:31], v[24:27], off
	s_nop 1
	v_add_u32_e32 v24, s2, v28
	v_ashrrev_i32_e32 v25, 31, v24
	v_lshl_add_u64 v[26:27], v[24:25], 4, v[160:161]
	global_store_dwordx4 v[26:27], v[20:23], off
	s_nop 1
	v_add_u32_e32 v20, s2, v24
	v_ashrrev_i32_e32 v21, 31, v20
	v_lshl_add_u64 v[22:23], v[20:21], 4, v[160:161]
	global_store_dwordx4 v[22:23], v[16:19], off
	s_nop 1
	v_add_u32_e32 v16, s2, v20
	v_ashrrev_i32_e32 v17, 31, v16
	v_lshl_add_u64 v[18:19], v[16:17], 4, v[160:161]
	global_store_dwordx4 v[18:19], v[12:15], off
	s_nop 1
	v_add_u32_e32 v12, s2, v16
	v_add_u32_e32 v8, s2, v12
	;; [unrolled: 1-line block ×4, first 2 shown]
	v_ashrrev_i32_e32 v13, 31, v12
	v_ashrrev_i32_e32 v9, 31, v8
	;; [unrolled: 1-line block ×4, first 2 shown]
	v_lshl_add_u64 v[14:15], v[12:13], 4, v[160:161]
	v_lshl_add_u64 v[10:11], v[8:9], 4, v[160:161]
	;; [unrolled: 1-line block ×4, first 2 shown]
	global_store_dwordx4 v[14:15], v[252:255], off
	global_store_dwordx4 v[10:11], v[224:227], off
	;; [unrolled: 1-line block ×4, first 2 shown]
.LBB116_1240:
	s_endpgm
	.section	.rodata,"a",@progbits
	.p2align	6, 0x0
	.amdhsa_kernel _ZN9rocsolver6v33100L18getf2_small_kernelILi59E19rocblas_complex_numIdEiiPS3_EEvT1_T3_lS5_lPS5_llPT2_S5_S5_S7_l
		.amdhsa_group_segment_fixed_size 0
		.amdhsa_private_segment_fixed_size 84
		.amdhsa_kernarg_size 352
		.amdhsa_user_sgpr_count 2
		.amdhsa_user_sgpr_dispatch_ptr 0
		.amdhsa_user_sgpr_queue_ptr 0
		.amdhsa_user_sgpr_kernarg_segment_ptr 1
		.amdhsa_user_sgpr_dispatch_id 0
		.amdhsa_user_sgpr_kernarg_preload_length 0
		.amdhsa_user_sgpr_kernarg_preload_offset 0
		.amdhsa_user_sgpr_private_segment_size 0
		.amdhsa_uses_dynamic_stack 0
		.amdhsa_enable_private_segment 1
		.amdhsa_system_sgpr_workgroup_id_x 1
		.amdhsa_system_sgpr_workgroup_id_y 1
		.amdhsa_system_sgpr_workgroup_id_z 0
		.amdhsa_system_sgpr_workgroup_info 0
		.amdhsa_system_vgpr_workitem_id 1
		.amdhsa_next_free_vgpr 256
		.amdhsa_next_free_sgpr 26
		.amdhsa_accum_offset 256
		.amdhsa_reserve_vcc 1
		.amdhsa_float_round_mode_32 0
		.amdhsa_float_round_mode_16_64 0
		.amdhsa_float_denorm_mode_32 3
		.amdhsa_float_denorm_mode_16_64 3
		.amdhsa_dx10_clamp 1
		.amdhsa_ieee_mode 1
		.amdhsa_fp16_overflow 0
		.amdhsa_tg_split 0
		.amdhsa_exception_fp_ieee_invalid_op 0
		.amdhsa_exception_fp_denorm_src 0
		.amdhsa_exception_fp_ieee_div_zero 0
		.amdhsa_exception_fp_ieee_overflow 0
		.amdhsa_exception_fp_ieee_underflow 0
		.amdhsa_exception_fp_ieee_inexact 0
		.amdhsa_exception_int_div_zero 0
	.end_amdhsa_kernel
	.section	.text._ZN9rocsolver6v33100L18getf2_small_kernelILi59E19rocblas_complex_numIdEiiPS3_EEvT1_T3_lS5_lPS5_llPT2_S5_S5_S7_l,"axG",@progbits,_ZN9rocsolver6v33100L18getf2_small_kernelILi59E19rocblas_complex_numIdEiiPS3_EEvT1_T3_lS5_lPS5_llPT2_S5_S5_S7_l,comdat
.Lfunc_end116:
	.size	_ZN9rocsolver6v33100L18getf2_small_kernelILi59E19rocblas_complex_numIdEiiPS3_EEvT1_T3_lS5_lPS5_llPT2_S5_S5_S7_l, .Lfunc_end116-_ZN9rocsolver6v33100L18getf2_small_kernelILi59E19rocblas_complex_numIdEiiPS3_EEvT1_T3_lS5_lPS5_llPT2_S5_S5_S7_l
                                        ; -- End function
	.set _ZN9rocsolver6v33100L18getf2_small_kernelILi59E19rocblas_complex_numIdEiiPS3_EEvT1_T3_lS5_lPS5_llPT2_S5_S5_S7_l.num_vgpr, 256
	.set _ZN9rocsolver6v33100L18getf2_small_kernelILi59E19rocblas_complex_numIdEiiPS3_EEvT1_T3_lS5_lPS5_llPT2_S5_S5_S7_l.num_agpr, 0
	.set _ZN9rocsolver6v33100L18getf2_small_kernelILi59E19rocblas_complex_numIdEiiPS3_EEvT1_T3_lS5_lPS5_llPT2_S5_S5_S7_l.numbered_sgpr, 26
	.set _ZN9rocsolver6v33100L18getf2_small_kernelILi59E19rocblas_complex_numIdEiiPS3_EEvT1_T3_lS5_lPS5_llPT2_S5_S5_S7_l.num_named_barrier, 0
	.set _ZN9rocsolver6v33100L18getf2_small_kernelILi59E19rocblas_complex_numIdEiiPS3_EEvT1_T3_lS5_lPS5_llPT2_S5_S5_S7_l.private_seg_size, 84
	.set _ZN9rocsolver6v33100L18getf2_small_kernelILi59E19rocblas_complex_numIdEiiPS3_EEvT1_T3_lS5_lPS5_llPT2_S5_S5_S7_l.uses_vcc, 1
	.set _ZN9rocsolver6v33100L18getf2_small_kernelILi59E19rocblas_complex_numIdEiiPS3_EEvT1_T3_lS5_lPS5_llPT2_S5_S5_S7_l.uses_flat_scratch, 0
	.set _ZN9rocsolver6v33100L18getf2_small_kernelILi59E19rocblas_complex_numIdEiiPS3_EEvT1_T3_lS5_lPS5_llPT2_S5_S5_S7_l.has_dyn_sized_stack, 0
	.set _ZN9rocsolver6v33100L18getf2_small_kernelILi59E19rocblas_complex_numIdEiiPS3_EEvT1_T3_lS5_lPS5_llPT2_S5_S5_S7_l.has_recursion, 0
	.set _ZN9rocsolver6v33100L18getf2_small_kernelILi59E19rocblas_complex_numIdEiiPS3_EEvT1_T3_lS5_lPS5_llPT2_S5_S5_S7_l.has_indirect_call, 0
	.section	.AMDGPU.csdata,"",@progbits
; Kernel info:
; codeLenInByte = 164200
; TotalNumSgprs: 32
; NumVgprs: 256
; NumAgprs: 0
; TotalNumVgprs: 256
; ScratchSize: 84
; MemoryBound: 0
; FloatMode: 240
; IeeeMode: 1
; LDSByteSize: 0 bytes/workgroup (compile time only)
; SGPRBlocks: 3
; VGPRBlocks: 31
; NumSGPRsForWavesPerEU: 32
; NumVGPRsForWavesPerEU: 256
; AccumOffset: 256
; Occupancy: 2
; WaveLimiterHint : 0
; COMPUTE_PGM_RSRC2:SCRATCH_EN: 1
; COMPUTE_PGM_RSRC2:USER_SGPR: 2
; COMPUTE_PGM_RSRC2:TRAP_HANDLER: 0
; COMPUTE_PGM_RSRC2:TGID_X_EN: 1
; COMPUTE_PGM_RSRC2:TGID_Y_EN: 1
; COMPUTE_PGM_RSRC2:TGID_Z_EN: 0
; COMPUTE_PGM_RSRC2:TIDIG_COMP_CNT: 1
; COMPUTE_PGM_RSRC3_GFX90A:ACCUM_OFFSET: 63
; COMPUTE_PGM_RSRC3_GFX90A:TG_SPLIT: 0
	.section	.text._ZN9rocsolver6v33100L23getf2_npvt_small_kernelILi59E19rocblas_complex_numIdEiiPS3_EEvT1_T3_lS5_lPT2_S5_S5_,"axG",@progbits,_ZN9rocsolver6v33100L23getf2_npvt_small_kernelILi59E19rocblas_complex_numIdEiiPS3_EEvT1_T3_lS5_lPT2_S5_S5_,comdat
	.globl	_ZN9rocsolver6v33100L23getf2_npvt_small_kernelILi59E19rocblas_complex_numIdEiiPS3_EEvT1_T3_lS5_lPT2_S5_S5_ ; -- Begin function _ZN9rocsolver6v33100L23getf2_npvt_small_kernelILi59E19rocblas_complex_numIdEiiPS3_EEvT1_T3_lS5_lPT2_S5_S5_
	.p2align	8
	.type	_ZN9rocsolver6v33100L23getf2_npvt_small_kernelILi59E19rocblas_complex_numIdEiiPS3_EEvT1_T3_lS5_lPT2_S5_S5_,@function
_ZN9rocsolver6v33100L23getf2_npvt_small_kernelILi59E19rocblas_complex_numIdEiiPS3_EEvT1_T3_lS5_lPT2_S5_S5_: ; @_ZN9rocsolver6v33100L23getf2_npvt_small_kernelILi59E19rocblas_complex_numIdEiiPS3_EEvT1_T3_lS5_lPT2_S5_S5_
; %bb.0:
	s_load_dword s2, s[0:1], 0x44
	s_load_dwordx2 s[8:9], s[0:1], 0x30
	v_bfe_u32 v2, v0, 10, 10
	s_waitcnt lgkmcnt(0)
	s_lshr_b32 s2, s2, 16
	s_mul_i32 s3, s3, s2
	v_add_u32_e32 v4, s3, v2
	v_cmp_gt_i32_e32 vcc, s8, v4
	s_and_saveexec_b64 s[4:5], vcc
	s_cbranch_execnz .LBB117_1
; %bb.535:
	s_getpc_b64 s[16:17]
.Lpost_getpc14:
	s_add_u32 s16, s16, (.LBB117_534-.Lpost_getpc14)&4294967295
	s_addc_u32 s17, s17, (.LBB117_534-.Lpost_getpc14)>>32
	s_setpc_b64 s[16:17]
.LBB117_1:
	s_load_dwordx4 s[12:15], s[0:1], 0x8
	s_load_dword s10, s[0:1], 0x18
	s_load_dwordx4 s[4:7], s[0:1], 0x20
	v_ashrrev_i32_e32 v5, 31, v4
	scratch_store_dwordx2 off, v[4:5], off offset:1384 ; 8-byte Folded Spill
	v_and_b32_e32 v200, 0x3ff, v0
	s_waitcnt lgkmcnt(0)
	v_mov_b32_e32 v0, s12
	v_mul_lo_u32 v3, s5, v4
	v_mul_lo_u32 v6, s4, v5
	v_mad_u64_u32 v[4:5], s[0:1], s4, v4, 0
	v_mov_b32_e32 v1, s13
	v_add3_u32 v5, v5, v6, v3
	v_lshl_add_u64 v[0:1], v[4:5], 4, v[0:1]
	v_lshl_add_u64 v[0:1], s[14:15], 4, v[0:1]
	v_lshlrev_b32_e32 v4, 4, v200
	v_mov_b32_e32 v5, 0
	s_add_i32 s0, s10, s10
	v_lshl_add_u64 v[6:7], v[0:1], 0, v[4:5]
	v_add_u32_e32 v4, s0, v200
	v_ashrrev_i32_e32 v5, 31, v4
	v_lshl_add_u64 v[8:9], v[4:5], 4, v[0:1]
	v_add_u32_e32 v4, s10, v4
	v_ashrrev_i32_e32 v5, 31, v4
	;; [unrolled: 3-line block ×56, first 2 shown]
	v_lshl_add_u64 v[238:239], v[4:5], 4, v[0:1]
	v_add_u32_e32 v4, s10, v4
	s_mulk_i32 s2, 0x3b0
	v_ashrrev_i32_e32 v5, 31, v4
	s_movk_i32 s0, 0x3b0
	s_add_i32 s1, s2, 0
	v_lshl_add_u64 v[240:241], v[4:5], 4, v[0:1]
	v_mad_u32_u24 v202, v2, s0, 0
	v_lshl_add_u32 v201, v2, 4, s1
	global_load_dwordx4 v[2:5], v[6:7], off
	s_ashr_i32 s11, s10, 31
	v_lshl_add_u64 v[0:1], s[10:11], 4, v[6:7]
	scratch_store_dwordx2 off, v[6:7], off offset:144 ; 8-byte Folded Spill
	v_cmp_ne_u32_e64 s[2:3], 0, v200
	v_cmp_eq_u32_e64 s[0:1], 0, v200
	s_waitcnt vmcnt(1)
	scratch_store_dwordx4 off, v[2:5], off offset:128 ; 16-byte Folded Spill
	scratch_store_dwordx2 off, v[0:1], off offset:608 ; 8-byte Folded Spill
	global_load_dwordx4 v[0:3], v[0:1], off
	s_waitcnt vmcnt(0)
	scratch_store_dwordx4 off, v[0:3], off offset:112 ; 16-byte Folded Spill
	scratch_store_dwordx2 off, v[8:9], off offset:152 ; 8-byte Folded Spill
	global_load_dwordx4 v[0:3], v[8:9], off
	;; [unrolled: 4-line block ×8, first 2 shown]
	s_nop 0
	global_load_dwordx4 v[4:7], v[22:23], off
	s_nop 0
	scratch_store_dwordx2 off, v[22:23], off offset:208 ; 8-byte Folded Spill
	s_waitcnt vmcnt(1)
	scratch_store_dwordx4 off, v[4:7], off  ; 16-byte Folded Spill
	scratch_store_dwordx2 off, v[24:25], off offset:216 ; 8-byte Folded Spill
	scratch_store_dwordx2 off, v[72:73], off offset:408 ; 8-byte Folded Spill
	global_load_dwordx4 v[92:95], v[72:73], off
	global_load_dwordx4 v[88:91], v[74:75], off
	;; [unrolled: 1-line block ×33, first 2 shown]
	s_nop 0
	scratch_store_dwordx2 off, v[74:75], off offset:416 ; 8-byte Folded Spill
	scratch_store_dwordx2 off, v[76:77], off offset:424 ; 8-byte Folded Spill
	;; [unrolled: 1-line block ×4, first 2 shown]
	global_load_dwordx4 v[76:79], v[196:197], off
	s_nop 0
	global_load_dwordx4 v[72:75], v[198:199], off
	s_nop 0
	scratch_store_dwordx2 off, v[198:199], off offset:448 ; 8-byte Folded Spill
	v_mov_b64_e32 v[198:199], v[2:3]
	scratch_store_dwordx2 off, v[26:27], off offset:224 ; 8-byte Folded Spill
	scratch_store_dwordx2 off, v[28:29], off offset:232 ; 8-byte Folded Spill
	;; [unrolled: 1-line block ×23, first 2 shown]
	v_mov_b64_e32 v[196:197], v[0:1]
	global_load_dwordx4 v[68:71], v[204:205], off
	global_load_dwordx4 v[64:67], v[206:207], off
	;; [unrolled: 1-line block ×13, first 2 shown]
	s_nop 0
	scratch_store_dwordx2 off, v[232:233], off offset:568 ; 8-byte Folded Spill
	scratch_store_dwordx2 off, v[234:235], off offset:576 ; 8-byte Folded Spill
	global_load_dwordx4 v[232:235], v[240:241], off
	s_nop 0
	scratch_store_dwordx2 off, v[204:205], off offset:456 ; 8-byte Folded Spill
	scratch_store_dwordx2 off, v[206:207], off offset:464 ; 8-byte Folded Spill
	;; [unrolled: 1-line block ×17, first 2 shown]
	s_and_saveexec_b64 s[10:11], s[0:1]
	s_cbranch_execz .LBB117_8
; %bb.2:
	scratch_load_dwordx4 v[192:195], off, off offset:128 ; 16-byte Folded Reload
	s_waitcnt vmcnt(0)
	ds_write2_b64 v201, v[192:193], v[194:195] offset1:1
	scratch_load_dwordx4 v[192:195], off, off offset:112 ; 16-byte Folded Reload
	s_waitcnt vmcnt(0)
	ds_write2_b64 v202, v[192:193], v[194:195] offset0:2 offset1:3
	scratch_load_dwordx4 v[192:195], off, off offset:96 ; 16-byte Folded Reload
	s_waitcnt vmcnt(0)
	ds_write2_b64 v202, v[192:193], v[194:195] offset0:4 offset1:5
	;; [unrolled: 3-line block ×7, first 2 shown]
	ds_write2_b64 v202, v[196:197], v[198:199] offset0:16 offset1:17
	scratch_load_dwordx4 v[192:195], off, off ; 16-byte Folded Reload
	s_waitcnt vmcnt(0)
	ds_write2_b64 v202, v[192:193], v[194:195] offset0:18 offset1:19
	ds_write2_b64 v202, v[188:189], v[190:191] offset0:20 offset1:21
	ds_write2_b64 v202, v[184:185], v[186:187] offset0:22 offset1:23
	ds_write2_b64 v202, v[180:181], v[182:183] offset0:24 offset1:25
	ds_write2_b64 v202, v[176:177], v[178:179] offset0:26 offset1:27
	ds_write2_b64 v202, v[172:173], v[174:175] offset0:28 offset1:29
	ds_write2_b64 v202, v[168:169], v[170:171] offset0:30 offset1:31
	ds_write2_b64 v202, v[164:165], v[166:167] offset0:32 offset1:33
	ds_write2_b64 v202, v[160:161], v[162:163] offset0:34 offset1:35
	ds_write2_b64 v202, v[156:157], v[158:159] offset0:36 offset1:37
	ds_write2_b64 v202, v[152:153], v[154:155] offset0:38 offset1:39
	ds_write2_b64 v202, v[148:149], v[150:151] offset0:40 offset1:41
	ds_write2_b64 v202, v[144:145], v[146:147] offset0:42 offset1:43
	ds_write2_b64 v202, v[140:141], v[142:143] offset0:44 offset1:45
	ds_write2_b64 v202, v[136:137], v[138:139] offset0:46 offset1:47
	ds_write2_b64 v202, v[132:133], v[134:135] offset0:48 offset1:49
	ds_write2_b64 v202, v[128:129], v[130:131] offset0:50 offset1:51
	ds_write2_b64 v202, v[124:125], v[126:127] offset0:52 offset1:53
	ds_write2_b64 v202, v[120:121], v[122:123] offset0:54 offset1:55
	ds_write2_b64 v202, v[116:117], v[118:119] offset0:56 offset1:57
	ds_write2_b64 v202, v[112:113], v[114:115] offset0:58 offset1:59
	ds_write2_b64 v202, v[108:109], v[110:111] offset0:60 offset1:61
	ds_write2_b64 v202, v[104:105], v[106:107] offset0:62 offset1:63
	ds_write2_b64 v202, v[100:101], v[102:103] offset0:64 offset1:65
	ds_write2_b64 v202, v[96:97], v[98:99] offset0:66 offset1:67
	ds_write2_b64 v202, v[92:93], v[94:95] offset0:68 offset1:69
	ds_write2_b64 v202, v[88:89], v[90:91] offset0:70 offset1:71
	ds_write2_b64 v202, v[84:85], v[86:87] offset0:72 offset1:73
	ds_write2_b64 v202, v[80:81], v[82:83] offset0:74 offset1:75
	ds_write2_b64 v202, v[76:77], v[78:79] offset0:76 offset1:77
	ds_write2_b64 v202, v[72:73], v[74:75] offset0:78 offset1:79
	ds_write2_b64 v202, v[68:69], v[70:71] offset0:80 offset1:81
	ds_write2_b64 v202, v[64:65], v[66:67] offset0:82 offset1:83
	ds_write2_b64 v202, v[60:61], v[62:63] offset0:84 offset1:85
	ds_write2_b64 v202, v[56:57], v[58:59] offset0:86 offset1:87
	ds_write2_b64 v202, v[52:53], v[54:55] offset0:88 offset1:89
	ds_write2_b64 v202, v[48:49], v[50:51] offset0:90 offset1:91
	ds_write2_b64 v202, v[44:45], v[46:47] offset0:92 offset1:93
	ds_write2_b64 v202, v[40:41], v[42:43] offset0:94 offset1:95
	ds_write2_b64 v202, v[36:37], v[38:39] offset0:96 offset1:97
	ds_write2_b64 v202, v[32:33], v[34:35] offset0:98 offset1:99
	ds_write2_b64 v202, v[28:29], v[30:31] offset0:100 offset1:101
	ds_write2_b64 v202, v[24:25], v[26:27] offset0:102 offset1:103
	ds_write2_b64 v202, v[20:21], v[22:23] offset0:104 offset1:105
	ds_write2_b64 v202, v[16:17], v[18:19] offset0:106 offset1:107
	ds_write2_b64 v202, v[12:13], v[14:15] offset0:108 offset1:109
	ds_write2_b64 v202, v[8:9], v[10:11] offset0:110 offset1:111
	ds_write2_b64 v202, v[4:5], v[6:7] offset0:112 offset1:113
	ds_write2_b64 v202, v[0:1], v[2:3] offset0:114 offset1:115
	ds_write2_b64 v202, v[232:233], v[234:235] offset0:116 offset1:117
	ds_read2_b64 v[208:211], v201 offset1:1
	s_waitcnt lgkmcnt(0)
	v_cmp_neq_f64_e32 vcc, 0, v[208:209]
	v_cmp_neq_f64_e64 s[4:5], 0, v[210:211]
	s_or_b64 s[4:5], vcc, s[4:5]
	s_and_b64 exec, exec, s[4:5]
	s_cbranch_execz .LBB117_8
; %bb.3:
	v_cmp_ngt_f64_e64 s[4:5], |v[208:209]|, |v[210:211]|
                                        ; implicit-def: $vgpr204_vgpr205
	s_and_saveexec_b64 s[12:13], s[4:5]
	s_xor_b64 s[4:5], exec, s[12:13]
                                        ; implicit-def: $vgpr206_vgpr207
	s_cbranch_execz .LBB117_5
; %bb.4:
	v_div_scale_f64 v[204:205], s[12:13], v[210:211], v[210:211], v[208:209]
	v_rcp_f64_e32 v[206:207], v[204:205]
	v_div_scale_f64 v[212:213], vcc, v[208:209], v[210:211], v[208:209]
	v_fma_f64 v[214:215], -v[204:205], v[206:207], 1.0
	v_fmac_f64_e32 v[206:207], v[206:207], v[214:215]
	v_fma_f64 v[214:215], -v[204:205], v[206:207], 1.0
	v_fmac_f64_e32 v[206:207], v[206:207], v[214:215]
	v_mul_f64 v[214:215], v[212:213], v[206:207]
	v_fma_f64 v[204:205], -v[204:205], v[214:215], v[212:213]
	v_div_fmas_f64 v[204:205], v[204:205], v[206:207], v[214:215]
	v_div_fixup_f64 v[204:205], v[204:205], v[210:211], v[208:209]
	v_fmac_f64_e32 v[210:211], v[208:209], v[204:205]
	v_div_scale_f64 v[206:207], s[12:13], v[210:211], v[210:211], 1.0
	v_rcp_f64_e32 v[208:209], v[206:207]
	s_nop 0
	v_fma_f64 v[212:213], -v[206:207], v[208:209], 1.0
	v_fmac_f64_e32 v[208:209], v[208:209], v[212:213]
	v_fma_f64 v[212:213], -v[206:207], v[208:209], 1.0
	v_fmac_f64_e32 v[208:209], v[208:209], v[212:213]
	v_div_scale_f64 v[212:213], vcc, 1.0, v[210:211], 1.0
	v_mul_f64 v[214:215], v[212:213], v[208:209]
	v_fma_f64 v[206:207], -v[206:207], v[214:215], v[212:213]
	s_nop 1
	v_div_fmas_f64 v[206:207], v[206:207], v[208:209], v[214:215]
	v_div_fixup_f64 v[206:207], v[206:207], v[210:211], 1.0
	v_mul_f64 v[204:205], v[204:205], v[206:207]
	v_xor_b32_e32 v207, 0x80000000, v207
                                        ; implicit-def: $vgpr208_vgpr209
.LBB117_5:
	s_andn2_saveexec_b64 s[4:5], s[4:5]
	s_cbranch_execz .LBB117_7
; %bb.6:
	v_div_scale_f64 v[204:205], s[12:13], v[208:209], v[208:209], v[210:211]
	v_rcp_f64_e32 v[206:207], v[204:205]
	v_div_scale_f64 v[212:213], vcc, v[210:211], v[208:209], v[210:211]
	v_fma_f64 v[214:215], -v[204:205], v[206:207], 1.0
	v_fmac_f64_e32 v[206:207], v[206:207], v[214:215]
	v_fma_f64 v[214:215], -v[204:205], v[206:207], 1.0
	v_fmac_f64_e32 v[206:207], v[206:207], v[214:215]
	v_mul_f64 v[214:215], v[212:213], v[206:207]
	v_fma_f64 v[204:205], -v[204:205], v[214:215], v[212:213]
	v_div_fmas_f64 v[204:205], v[204:205], v[206:207], v[214:215]
	v_div_fixup_f64 v[206:207], v[204:205], v[208:209], v[210:211]
	v_fmac_f64_e32 v[208:209], v[210:211], v[206:207]
	v_div_scale_f64 v[204:205], s[12:13], v[208:209], v[208:209], 1.0
	v_rcp_f64_e32 v[210:211], v[204:205]
	s_nop 0
	v_fma_f64 v[212:213], -v[204:205], v[210:211], 1.0
	v_fmac_f64_e32 v[210:211], v[210:211], v[212:213]
	v_fma_f64 v[212:213], -v[204:205], v[210:211], 1.0
	v_fmac_f64_e32 v[210:211], v[210:211], v[212:213]
	v_div_scale_f64 v[212:213], vcc, 1.0, v[208:209], 1.0
	v_mul_f64 v[214:215], v[212:213], v[210:211]
	v_fma_f64 v[204:205], -v[204:205], v[214:215], v[212:213]
	s_nop 1
	v_div_fmas_f64 v[204:205], v[204:205], v[210:211], v[214:215]
	v_div_fixup_f64 v[204:205], v[204:205], v[208:209], 1.0
	v_mul_f64 v[206:207], v[206:207], -v[204:205]
.LBB117_7:
	s_or_b64 exec, exec, s[4:5]
	ds_write2_b64 v201, v[204:205], v[206:207] offset1:1
.LBB117_8:
	s_or_b64 exec, exec, s[10:11]
	s_waitcnt lgkmcnt(0)
	s_barrier
	ds_read2_b64 v[192:195], v201 offset1:1
	s_waitcnt lgkmcnt(0)
	scratch_store_dwordx4 off, v[192:195], off offset:616 ; 16-byte Folded Spill
	s_and_saveexec_b64 s[4:5], s[2:3]
	s_cbranch_execz .LBB117_10
; %bb.9:
	scratch_load_dwordx4 v[210:213], off, off offset:128 ; 16-byte Folded Reload
	scratch_load_dwordx4 v[192:195], off, off offset:616 ; 16-byte Folded Reload
	s_waitcnt vmcnt(0)
	v_mul_f64 v[204:205], v[194:195], v[212:213]
	v_mul_f64 v[212:213], v[192:193], v[212:213]
	v_fma_f64 v[208:209], v[192:193], v[210:211], -v[204:205]
	v_fmac_f64_e32 v[212:213], v[194:195], v[210:211]
	scratch_load_dwordx4 v[192:195], off, off offset:112 ; 16-byte Folded Reload
	ds_read2_b64 v[204:207], v202 offset0:2 offset1:3
	s_waitcnt lgkmcnt(0)
	v_mul_f64 v[210:211], v[206:207], v[212:213]
	v_fma_f64 v[210:211], v[204:205], v[208:209], -v[210:211]
	v_mul_f64 v[204:205], v[204:205], v[212:213]
	v_fmac_f64_e32 v[204:205], v[206:207], v[208:209]
	s_waitcnt vmcnt(0)
	v_add_f64 v[192:193], v[192:193], -v[210:211]
	v_add_f64 v[194:195], v[194:195], -v[204:205]
	scratch_store_dwordx4 off, v[192:195], off offset:112 ; 16-byte Folded Spill
	scratch_load_dwordx4 v[192:195], off, off offset:96 ; 16-byte Folded Reload
	ds_read2_b64 v[204:207], v202 offset0:4 offset1:5
	s_waitcnt lgkmcnt(0)
	v_mul_f64 v[210:211], v[206:207], v[212:213]
	v_fma_f64 v[210:211], v[204:205], v[208:209], -v[210:211]
	v_mul_f64 v[204:205], v[204:205], v[212:213]
	v_fmac_f64_e32 v[204:205], v[206:207], v[208:209]
	s_waitcnt vmcnt(0)
	v_add_f64 v[192:193], v[192:193], -v[210:211]
	v_add_f64 v[194:195], v[194:195], -v[204:205]
	scratch_store_dwordx4 off, v[192:195], off offset:96 ; 16-byte Folded Spill
	;; [unrolled: 11-line block ×7, first 2 shown]
	scratch_load_dwordx4 v[192:195], off, off ; 16-byte Folded Reload
	ds_read2_b64 v[204:207], v202 offset0:16 offset1:17
	s_waitcnt lgkmcnt(0)
	v_mul_f64 v[210:211], v[206:207], v[212:213]
	v_fma_f64 v[210:211], v[204:205], v[208:209], -v[210:211]
	v_mul_f64 v[204:205], v[204:205], v[212:213]
	v_fmac_f64_e32 v[204:205], v[206:207], v[208:209]
	v_add_f64 v[198:199], v[198:199], -v[204:205]
	ds_read2_b64 v[204:207], v202 offset0:18 offset1:19
	v_add_f64 v[196:197], v[196:197], -v[210:211]
	s_waitcnt lgkmcnt(0)
	v_mul_f64 v[210:211], v[206:207], v[212:213]
	v_fma_f64 v[210:211], v[204:205], v[208:209], -v[210:211]
	v_mul_f64 v[204:205], v[204:205], v[212:213]
	v_fmac_f64_e32 v[204:205], v[206:207], v[208:209]
	s_waitcnt vmcnt(0)
	v_add_f64 v[194:195], v[194:195], -v[204:205]
	ds_read2_b64 v[204:207], v202 offset0:20 offset1:21
	v_add_f64 v[192:193], v[192:193], -v[210:211]
	scratch_store_dwordx4 off, v[192:195], off ; 16-byte Folded Spill
	s_waitcnt lgkmcnt(0)
	v_mul_f64 v[210:211], v[206:207], v[212:213]
	v_fma_f64 v[210:211], v[204:205], v[208:209], -v[210:211]
	v_mul_f64 v[204:205], v[204:205], v[212:213]
	v_fmac_f64_e32 v[204:205], v[206:207], v[208:209]
	v_add_f64 v[190:191], v[190:191], -v[204:205]
	ds_read2_b64 v[204:207], v202 offset0:22 offset1:23
	v_add_f64 v[188:189], v[188:189], -v[210:211]
	s_waitcnt lgkmcnt(0)
	v_mul_f64 v[210:211], v[206:207], v[212:213]
	v_fma_f64 v[210:211], v[204:205], v[208:209], -v[210:211]
	v_mul_f64 v[204:205], v[204:205], v[212:213]
	v_fmac_f64_e32 v[204:205], v[206:207], v[208:209]
	v_add_f64 v[186:187], v[186:187], -v[204:205]
	ds_read2_b64 v[204:207], v202 offset0:24 offset1:25
	v_add_f64 v[184:185], v[184:185], -v[210:211]
	;; [unrolled: 8-line block ×48, first 2 shown]
	s_waitcnt lgkmcnt(0)
	v_mul_f64 v[210:211], v[206:207], v[212:213]
	v_fma_f64 v[210:211], v[204:205], v[208:209], -v[210:211]
	v_mul_f64 v[204:205], v[204:205], v[212:213]
	v_fmac_f64_e32 v[204:205], v[206:207], v[208:209]
	v_add_f64 v[232:233], v[232:233], -v[210:211]
	v_add_f64 v[234:235], v[234:235], -v[204:205]
	v_mov_b64_e32 v[210:211], v[208:209]
	scratch_store_dwordx4 off, v[210:213], off offset:128 ; 16-byte Folded Spill
.LBB117_10:
	s_or_b64 exec, exec, s[4:5]
	v_cmp_eq_u32_e32 vcc, 1, v200
	s_waitcnt vmcnt(63) expcnt(7) lgkmcnt(15)
	s_barrier
	s_and_saveexec_b64 s[4:5], vcc
	s_cbranch_execz .LBB117_17
; %bb.11:
	scratch_load_dwordx4 v[192:195], off, off offset:112 ; 16-byte Folded Reload
	s_waitcnt vmcnt(0)
	ds_write2_b64 v201, v[192:193], v[194:195] offset1:1
	scratch_load_dwordx4 v[192:195], off, off offset:96 ; 16-byte Folded Reload
	s_waitcnt vmcnt(0)
	ds_write2_b64 v202, v[192:193], v[194:195] offset0:4 offset1:5
	scratch_load_dwordx4 v[192:195], off, off offset:80 ; 16-byte Folded Reload
	s_waitcnt vmcnt(0)
	ds_write2_b64 v202, v[192:193], v[194:195] offset0:6 offset1:7
	;; [unrolled: 3-line block ×6, first 2 shown]
	ds_write2_b64 v202, v[196:197], v[198:199] offset0:16 offset1:17
	scratch_load_dwordx4 v[192:195], off, off ; 16-byte Folded Reload
	s_waitcnt vmcnt(0)
	ds_write2_b64 v202, v[192:193], v[194:195] offset0:18 offset1:19
	ds_write2_b64 v202, v[188:189], v[190:191] offset0:20 offset1:21
	;; [unrolled: 1-line block ×50, first 2 shown]
	ds_read2_b64 v[208:211], v201 offset1:1
	s_waitcnt lgkmcnt(0)
	v_cmp_neq_f64_e32 vcc, 0, v[208:209]
	v_cmp_neq_f64_e64 s[2:3], 0, v[210:211]
	s_or_b64 s[2:3], vcc, s[2:3]
	s_and_b64 exec, exec, s[2:3]
	s_cbranch_execz .LBB117_17
; %bb.12:
	v_cmp_ngt_f64_e64 s[2:3], |v[208:209]|, |v[210:211]|
                                        ; implicit-def: $vgpr204_vgpr205
	s_and_saveexec_b64 s[10:11], s[2:3]
	s_xor_b64 s[2:3], exec, s[10:11]
                                        ; implicit-def: $vgpr206_vgpr207
	s_cbranch_execz .LBB117_14
; %bb.13:
	v_div_scale_f64 v[204:205], s[10:11], v[210:211], v[210:211], v[208:209]
	v_rcp_f64_e32 v[206:207], v[204:205]
	v_div_scale_f64 v[212:213], vcc, v[208:209], v[210:211], v[208:209]
	v_fma_f64 v[214:215], -v[204:205], v[206:207], 1.0
	v_fmac_f64_e32 v[206:207], v[206:207], v[214:215]
	v_fma_f64 v[214:215], -v[204:205], v[206:207], 1.0
	v_fmac_f64_e32 v[206:207], v[206:207], v[214:215]
	v_mul_f64 v[214:215], v[212:213], v[206:207]
	v_fma_f64 v[204:205], -v[204:205], v[214:215], v[212:213]
	v_div_fmas_f64 v[204:205], v[204:205], v[206:207], v[214:215]
	v_div_fixup_f64 v[204:205], v[204:205], v[210:211], v[208:209]
	v_fmac_f64_e32 v[210:211], v[208:209], v[204:205]
	v_div_scale_f64 v[206:207], s[10:11], v[210:211], v[210:211], 1.0
	v_rcp_f64_e32 v[208:209], v[206:207]
	s_nop 0
	v_fma_f64 v[212:213], -v[206:207], v[208:209], 1.0
	v_fmac_f64_e32 v[208:209], v[208:209], v[212:213]
	v_fma_f64 v[212:213], -v[206:207], v[208:209], 1.0
	v_fmac_f64_e32 v[208:209], v[208:209], v[212:213]
	v_div_scale_f64 v[212:213], vcc, 1.0, v[210:211], 1.0
	v_mul_f64 v[214:215], v[212:213], v[208:209]
	v_fma_f64 v[206:207], -v[206:207], v[214:215], v[212:213]
	s_nop 1
	v_div_fmas_f64 v[206:207], v[206:207], v[208:209], v[214:215]
	v_div_fixup_f64 v[206:207], v[206:207], v[210:211], 1.0
	v_mul_f64 v[204:205], v[204:205], v[206:207]
	v_xor_b32_e32 v207, 0x80000000, v207
                                        ; implicit-def: $vgpr208_vgpr209
.LBB117_14:
	s_andn2_saveexec_b64 s[2:3], s[2:3]
	s_cbranch_execz .LBB117_16
; %bb.15:
	v_div_scale_f64 v[204:205], s[10:11], v[208:209], v[208:209], v[210:211]
	v_rcp_f64_e32 v[206:207], v[204:205]
	v_div_scale_f64 v[212:213], vcc, v[210:211], v[208:209], v[210:211]
	v_fma_f64 v[214:215], -v[204:205], v[206:207], 1.0
	v_fmac_f64_e32 v[206:207], v[206:207], v[214:215]
	v_fma_f64 v[214:215], -v[204:205], v[206:207], 1.0
	v_fmac_f64_e32 v[206:207], v[206:207], v[214:215]
	v_mul_f64 v[214:215], v[212:213], v[206:207]
	v_fma_f64 v[204:205], -v[204:205], v[214:215], v[212:213]
	v_div_fmas_f64 v[204:205], v[204:205], v[206:207], v[214:215]
	v_div_fixup_f64 v[206:207], v[204:205], v[208:209], v[210:211]
	v_fmac_f64_e32 v[208:209], v[210:211], v[206:207]
	v_div_scale_f64 v[204:205], s[10:11], v[208:209], v[208:209], 1.0
	v_rcp_f64_e32 v[210:211], v[204:205]
	s_nop 0
	v_fma_f64 v[212:213], -v[204:205], v[210:211], 1.0
	v_fmac_f64_e32 v[210:211], v[210:211], v[212:213]
	v_fma_f64 v[212:213], -v[204:205], v[210:211], 1.0
	v_fmac_f64_e32 v[210:211], v[210:211], v[212:213]
	v_div_scale_f64 v[212:213], vcc, 1.0, v[208:209], 1.0
	v_mul_f64 v[214:215], v[212:213], v[210:211]
	v_fma_f64 v[204:205], -v[204:205], v[214:215], v[212:213]
	s_nop 1
	v_div_fmas_f64 v[204:205], v[204:205], v[210:211], v[214:215]
	v_div_fixup_f64 v[204:205], v[204:205], v[208:209], 1.0
	v_mul_f64 v[206:207], v[206:207], -v[204:205]
.LBB117_16:
	s_or_b64 exec, exec, s[2:3]
	ds_write2_b64 v201, v[204:205], v[206:207] offset1:1
.LBB117_17:
	s_or_b64 exec, exec, s[4:5]
	s_waitcnt lgkmcnt(0)
	s_barrier
	ds_read2_b64 v[192:195], v201 offset1:1
	v_cmp_lt_u32_e32 vcc, 1, v200
	s_waitcnt lgkmcnt(0)
	scratch_store_dwordx4 off, v[192:195], off offset:632 ; 16-byte Folded Spill
	s_and_saveexec_b64 s[2:3], vcc
	s_cbranch_execz .LBB117_19
; %bb.18:
	scratch_load_dwordx4 v[210:213], off, off offset:112 ; 16-byte Folded Reload
	scratch_load_dwordx4 v[192:195], off, off offset:632 ; 16-byte Folded Reload
	s_waitcnt vmcnt(0)
	v_mul_f64 v[204:205], v[194:195], v[212:213]
	v_mul_f64 v[212:213], v[192:193], v[212:213]
	v_fma_f64 v[208:209], v[192:193], v[210:211], -v[204:205]
	v_fmac_f64_e32 v[212:213], v[194:195], v[210:211]
	scratch_load_dwordx4 v[192:195], off, off offset:96 ; 16-byte Folded Reload
	ds_read2_b64 v[204:207], v202 offset0:4 offset1:5
	s_waitcnt lgkmcnt(0)
	v_mul_f64 v[210:211], v[206:207], v[212:213]
	v_fma_f64 v[210:211], v[204:205], v[208:209], -v[210:211]
	v_mul_f64 v[204:205], v[204:205], v[212:213]
	v_fmac_f64_e32 v[204:205], v[206:207], v[208:209]
	s_waitcnt vmcnt(0)
	v_add_f64 v[192:193], v[192:193], -v[210:211]
	v_add_f64 v[194:195], v[194:195], -v[204:205]
	scratch_store_dwordx4 off, v[192:195], off offset:96 ; 16-byte Folded Spill
	scratch_load_dwordx4 v[192:195], off, off offset:80 ; 16-byte Folded Reload
	ds_read2_b64 v[204:207], v202 offset0:6 offset1:7
	s_waitcnt lgkmcnt(0)
	v_mul_f64 v[210:211], v[206:207], v[212:213]
	v_fma_f64 v[210:211], v[204:205], v[208:209], -v[210:211]
	v_mul_f64 v[204:205], v[204:205], v[212:213]
	v_fmac_f64_e32 v[204:205], v[206:207], v[208:209]
	s_waitcnt vmcnt(0)
	v_add_f64 v[192:193], v[192:193], -v[210:211]
	v_add_f64 v[194:195], v[194:195], -v[204:205]
	scratch_store_dwordx4 off, v[192:195], off offset:80 ; 16-byte Folded Spill
	;; [unrolled: 11-line block ×6, first 2 shown]
	scratch_load_dwordx4 v[192:195], off, off ; 16-byte Folded Reload
	ds_read2_b64 v[204:207], v202 offset0:16 offset1:17
	s_waitcnt lgkmcnt(0)
	v_mul_f64 v[210:211], v[206:207], v[212:213]
	v_fma_f64 v[210:211], v[204:205], v[208:209], -v[210:211]
	v_mul_f64 v[204:205], v[204:205], v[212:213]
	v_fmac_f64_e32 v[204:205], v[206:207], v[208:209]
	v_add_f64 v[198:199], v[198:199], -v[204:205]
	ds_read2_b64 v[204:207], v202 offset0:18 offset1:19
	v_add_f64 v[196:197], v[196:197], -v[210:211]
	s_waitcnt lgkmcnt(0)
	v_mul_f64 v[210:211], v[206:207], v[212:213]
	v_fma_f64 v[210:211], v[204:205], v[208:209], -v[210:211]
	v_mul_f64 v[204:205], v[204:205], v[212:213]
	v_fmac_f64_e32 v[204:205], v[206:207], v[208:209]
	s_waitcnt vmcnt(0)
	v_add_f64 v[194:195], v[194:195], -v[204:205]
	ds_read2_b64 v[204:207], v202 offset0:20 offset1:21
	v_add_f64 v[192:193], v[192:193], -v[210:211]
	scratch_store_dwordx4 off, v[192:195], off ; 16-byte Folded Spill
	s_waitcnt lgkmcnt(0)
	v_mul_f64 v[210:211], v[206:207], v[212:213]
	v_fma_f64 v[210:211], v[204:205], v[208:209], -v[210:211]
	v_mul_f64 v[204:205], v[204:205], v[212:213]
	v_fmac_f64_e32 v[204:205], v[206:207], v[208:209]
	v_add_f64 v[190:191], v[190:191], -v[204:205]
	ds_read2_b64 v[204:207], v202 offset0:22 offset1:23
	v_add_f64 v[188:189], v[188:189], -v[210:211]
	s_waitcnt lgkmcnt(0)
	v_mul_f64 v[210:211], v[206:207], v[212:213]
	v_fma_f64 v[210:211], v[204:205], v[208:209], -v[210:211]
	v_mul_f64 v[204:205], v[204:205], v[212:213]
	v_fmac_f64_e32 v[204:205], v[206:207], v[208:209]
	v_add_f64 v[186:187], v[186:187], -v[204:205]
	ds_read2_b64 v[204:207], v202 offset0:24 offset1:25
	v_add_f64 v[184:185], v[184:185], -v[210:211]
	;; [unrolled: 8-line block ×48, first 2 shown]
	s_waitcnt lgkmcnt(0)
	v_mul_f64 v[210:211], v[206:207], v[212:213]
	v_fma_f64 v[210:211], v[204:205], v[208:209], -v[210:211]
	v_mul_f64 v[204:205], v[204:205], v[212:213]
	v_fmac_f64_e32 v[204:205], v[206:207], v[208:209]
	v_add_f64 v[232:233], v[232:233], -v[210:211]
	v_add_f64 v[234:235], v[234:235], -v[204:205]
	v_mov_b64_e32 v[210:211], v[208:209]
	scratch_store_dwordx4 off, v[210:213], off offset:112 ; 16-byte Folded Spill
.LBB117_19:
	s_or_b64 exec, exec, s[2:3]
	v_cmp_eq_u32_e32 vcc, 2, v200
	s_waitcnt vmcnt(63) expcnt(7) lgkmcnt(15)
	s_barrier
	s_and_saveexec_b64 s[4:5], vcc
	s_cbranch_execz .LBB117_26
; %bb.20:
	scratch_load_dwordx4 v[192:195], off, off offset:96 ; 16-byte Folded Reload
	s_waitcnt vmcnt(0)
	ds_write2_b64 v201, v[192:193], v[194:195] offset1:1
	scratch_load_dwordx4 v[192:195], off, off offset:80 ; 16-byte Folded Reload
	s_waitcnt vmcnt(0)
	ds_write2_b64 v202, v[192:193], v[194:195] offset0:6 offset1:7
	scratch_load_dwordx4 v[192:195], off, off offset:64 ; 16-byte Folded Reload
	s_waitcnt vmcnt(0)
	ds_write2_b64 v202, v[192:193], v[194:195] offset0:8 offset1:9
	;; [unrolled: 3-line block ×5, first 2 shown]
	ds_write2_b64 v202, v[196:197], v[198:199] offset0:16 offset1:17
	scratch_load_dwordx4 v[192:195], off, off ; 16-byte Folded Reload
	s_waitcnt vmcnt(0)
	ds_write2_b64 v202, v[192:193], v[194:195] offset0:18 offset1:19
	ds_write2_b64 v202, v[188:189], v[190:191] offset0:20 offset1:21
	ds_write2_b64 v202, v[184:185], v[186:187] offset0:22 offset1:23
	ds_write2_b64 v202, v[180:181], v[182:183] offset0:24 offset1:25
	ds_write2_b64 v202, v[176:177], v[178:179] offset0:26 offset1:27
	ds_write2_b64 v202, v[172:173], v[174:175] offset0:28 offset1:29
	ds_write2_b64 v202, v[168:169], v[170:171] offset0:30 offset1:31
	ds_write2_b64 v202, v[164:165], v[166:167] offset0:32 offset1:33
	ds_write2_b64 v202, v[160:161], v[162:163] offset0:34 offset1:35
	ds_write2_b64 v202, v[156:157], v[158:159] offset0:36 offset1:37
	ds_write2_b64 v202, v[152:153], v[154:155] offset0:38 offset1:39
	ds_write2_b64 v202, v[148:149], v[150:151] offset0:40 offset1:41
	ds_write2_b64 v202, v[144:145], v[146:147] offset0:42 offset1:43
	ds_write2_b64 v202, v[140:141], v[142:143] offset0:44 offset1:45
	ds_write2_b64 v202, v[136:137], v[138:139] offset0:46 offset1:47
	ds_write2_b64 v202, v[132:133], v[134:135] offset0:48 offset1:49
	ds_write2_b64 v202, v[128:129], v[130:131] offset0:50 offset1:51
	ds_write2_b64 v202, v[124:125], v[126:127] offset0:52 offset1:53
	ds_write2_b64 v202, v[120:121], v[122:123] offset0:54 offset1:55
	ds_write2_b64 v202, v[116:117], v[118:119] offset0:56 offset1:57
	ds_write2_b64 v202, v[112:113], v[114:115] offset0:58 offset1:59
	ds_write2_b64 v202, v[108:109], v[110:111] offset0:60 offset1:61
	ds_write2_b64 v202, v[104:105], v[106:107] offset0:62 offset1:63
	ds_write2_b64 v202, v[100:101], v[102:103] offset0:64 offset1:65
	ds_write2_b64 v202, v[96:97], v[98:99] offset0:66 offset1:67
	ds_write2_b64 v202, v[92:93], v[94:95] offset0:68 offset1:69
	ds_write2_b64 v202, v[88:89], v[90:91] offset0:70 offset1:71
	ds_write2_b64 v202, v[84:85], v[86:87] offset0:72 offset1:73
	ds_write2_b64 v202, v[80:81], v[82:83] offset0:74 offset1:75
	ds_write2_b64 v202, v[76:77], v[78:79] offset0:76 offset1:77
	ds_write2_b64 v202, v[72:73], v[74:75] offset0:78 offset1:79
	ds_write2_b64 v202, v[68:69], v[70:71] offset0:80 offset1:81
	ds_write2_b64 v202, v[64:65], v[66:67] offset0:82 offset1:83
	ds_write2_b64 v202, v[60:61], v[62:63] offset0:84 offset1:85
	ds_write2_b64 v202, v[56:57], v[58:59] offset0:86 offset1:87
	ds_write2_b64 v202, v[52:53], v[54:55] offset0:88 offset1:89
	ds_write2_b64 v202, v[48:49], v[50:51] offset0:90 offset1:91
	ds_write2_b64 v202, v[44:45], v[46:47] offset0:92 offset1:93
	ds_write2_b64 v202, v[40:41], v[42:43] offset0:94 offset1:95
	ds_write2_b64 v202, v[36:37], v[38:39] offset0:96 offset1:97
	ds_write2_b64 v202, v[32:33], v[34:35] offset0:98 offset1:99
	ds_write2_b64 v202, v[28:29], v[30:31] offset0:100 offset1:101
	ds_write2_b64 v202, v[24:25], v[26:27] offset0:102 offset1:103
	ds_write2_b64 v202, v[20:21], v[22:23] offset0:104 offset1:105
	ds_write2_b64 v202, v[16:17], v[18:19] offset0:106 offset1:107
	ds_write2_b64 v202, v[12:13], v[14:15] offset0:108 offset1:109
	ds_write2_b64 v202, v[8:9], v[10:11] offset0:110 offset1:111
	ds_write2_b64 v202, v[4:5], v[6:7] offset0:112 offset1:113
	ds_write2_b64 v202, v[0:1], v[2:3] offset0:114 offset1:115
	ds_write2_b64 v202, v[232:233], v[234:235] offset0:116 offset1:117
	ds_read2_b64 v[208:211], v201 offset1:1
	s_waitcnt lgkmcnt(0)
	v_cmp_neq_f64_e32 vcc, 0, v[208:209]
	v_cmp_neq_f64_e64 s[2:3], 0, v[210:211]
	s_or_b64 s[2:3], vcc, s[2:3]
	s_and_b64 exec, exec, s[2:3]
	s_cbranch_execz .LBB117_26
; %bb.21:
	v_cmp_ngt_f64_e64 s[2:3], |v[208:209]|, |v[210:211]|
                                        ; implicit-def: $vgpr204_vgpr205
	s_and_saveexec_b64 s[10:11], s[2:3]
	s_xor_b64 s[2:3], exec, s[10:11]
                                        ; implicit-def: $vgpr206_vgpr207
	s_cbranch_execz .LBB117_23
; %bb.22:
	v_div_scale_f64 v[204:205], s[10:11], v[210:211], v[210:211], v[208:209]
	v_rcp_f64_e32 v[206:207], v[204:205]
	v_div_scale_f64 v[212:213], vcc, v[208:209], v[210:211], v[208:209]
	v_fma_f64 v[214:215], -v[204:205], v[206:207], 1.0
	v_fmac_f64_e32 v[206:207], v[206:207], v[214:215]
	v_fma_f64 v[214:215], -v[204:205], v[206:207], 1.0
	v_fmac_f64_e32 v[206:207], v[206:207], v[214:215]
	v_mul_f64 v[214:215], v[212:213], v[206:207]
	v_fma_f64 v[204:205], -v[204:205], v[214:215], v[212:213]
	v_div_fmas_f64 v[204:205], v[204:205], v[206:207], v[214:215]
	v_div_fixup_f64 v[204:205], v[204:205], v[210:211], v[208:209]
	v_fmac_f64_e32 v[210:211], v[208:209], v[204:205]
	v_div_scale_f64 v[206:207], s[10:11], v[210:211], v[210:211], 1.0
	v_rcp_f64_e32 v[208:209], v[206:207]
	s_nop 0
	v_fma_f64 v[212:213], -v[206:207], v[208:209], 1.0
	v_fmac_f64_e32 v[208:209], v[208:209], v[212:213]
	v_fma_f64 v[212:213], -v[206:207], v[208:209], 1.0
	v_fmac_f64_e32 v[208:209], v[208:209], v[212:213]
	v_div_scale_f64 v[212:213], vcc, 1.0, v[210:211], 1.0
	v_mul_f64 v[214:215], v[212:213], v[208:209]
	v_fma_f64 v[206:207], -v[206:207], v[214:215], v[212:213]
	s_nop 1
	v_div_fmas_f64 v[206:207], v[206:207], v[208:209], v[214:215]
	v_div_fixup_f64 v[206:207], v[206:207], v[210:211], 1.0
	v_mul_f64 v[204:205], v[204:205], v[206:207]
	v_xor_b32_e32 v207, 0x80000000, v207
                                        ; implicit-def: $vgpr208_vgpr209
.LBB117_23:
	s_andn2_saveexec_b64 s[2:3], s[2:3]
	s_cbranch_execz .LBB117_25
; %bb.24:
	v_div_scale_f64 v[204:205], s[10:11], v[208:209], v[208:209], v[210:211]
	v_rcp_f64_e32 v[206:207], v[204:205]
	v_div_scale_f64 v[212:213], vcc, v[210:211], v[208:209], v[210:211]
	v_fma_f64 v[214:215], -v[204:205], v[206:207], 1.0
	v_fmac_f64_e32 v[206:207], v[206:207], v[214:215]
	v_fma_f64 v[214:215], -v[204:205], v[206:207], 1.0
	v_fmac_f64_e32 v[206:207], v[206:207], v[214:215]
	v_mul_f64 v[214:215], v[212:213], v[206:207]
	v_fma_f64 v[204:205], -v[204:205], v[214:215], v[212:213]
	v_div_fmas_f64 v[204:205], v[204:205], v[206:207], v[214:215]
	v_div_fixup_f64 v[206:207], v[204:205], v[208:209], v[210:211]
	v_fmac_f64_e32 v[208:209], v[210:211], v[206:207]
	v_div_scale_f64 v[204:205], s[10:11], v[208:209], v[208:209], 1.0
	v_rcp_f64_e32 v[210:211], v[204:205]
	s_nop 0
	v_fma_f64 v[212:213], -v[204:205], v[210:211], 1.0
	v_fmac_f64_e32 v[210:211], v[210:211], v[212:213]
	v_fma_f64 v[212:213], -v[204:205], v[210:211], 1.0
	v_fmac_f64_e32 v[210:211], v[210:211], v[212:213]
	v_div_scale_f64 v[212:213], vcc, 1.0, v[208:209], 1.0
	v_mul_f64 v[214:215], v[212:213], v[210:211]
	v_fma_f64 v[204:205], -v[204:205], v[214:215], v[212:213]
	s_nop 1
	v_div_fmas_f64 v[204:205], v[204:205], v[210:211], v[214:215]
	v_div_fixup_f64 v[204:205], v[204:205], v[208:209], 1.0
	v_mul_f64 v[206:207], v[206:207], -v[204:205]
.LBB117_25:
	s_or_b64 exec, exec, s[2:3]
	ds_write2_b64 v201, v[204:205], v[206:207] offset1:1
.LBB117_26:
	s_or_b64 exec, exec, s[4:5]
	s_waitcnt lgkmcnt(0)
	s_barrier
	ds_read2_b64 v[192:195], v201 offset1:1
	v_cmp_lt_u32_e32 vcc, 2, v200
	s_waitcnt lgkmcnt(0)
	scratch_store_dwordx4 off, v[192:195], off offset:648 ; 16-byte Folded Spill
	s_and_saveexec_b64 s[2:3], vcc
	s_cbranch_execz .LBB117_28
; %bb.27:
	scratch_load_dwordx4 v[210:213], off, off offset:96 ; 16-byte Folded Reload
	scratch_load_dwordx4 v[192:195], off, off offset:648 ; 16-byte Folded Reload
	s_waitcnt vmcnt(0)
	v_mul_f64 v[204:205], v[194:195], v[212:213]
	v_mul_f64 v[212:213], v[192:193], v[212:213]
	v_fma_f64 v[208:209], v[192:193], v[210:211], -v[204:205]
	v_fmac_f64_e32 v[212:213], v[194:195], v[210:211]
	scratch_load_dwordx4 v[192:195], off, off offset:80 ; 16-byte Folded Reload
	ds_read2_b64 v[204:207], v202 offset0:6 offset1:7
	s_waitcnt lgkmcnt(0)
	v_mul_f64 v[210:211], v[206:207], v[212:213]
	v_fma_f64 v[210:211], v[204:205], v[208:209], -v[210:211]
	v_mul_f64 v[204:205], v[204:205], v[212:213]
	v_fmac_f64_e32 v[204:205], v[206:207], v[208:209]
	s_waitcnt vmcnt(0)
	v_add_f64 v[192:193], v[192:193], -v[210:211]
	v_add_f64 v[194:195], v[194:195], -v[204:205]
	scratch_store_dwordx4 off, v[192:195], off offset:80 ; 16-byte Folded Spill
	scratch_load_dwordx4 v[192:195], off, off offset:64 ; 16-byte Folded Reload
	ds_read2_b64 v[204:207], v202 offset0:8 offset1:9
	s_waitcnt lgkmcnt(0)
	v_mul_f64 v[210:211], v[206:207], v[212:213]
	v_fma_f64 v[210:211], v[204:205], v[208:209], -v[210:211]
	v_mul_f64 v[204:205], v[204:205], v[212:213]
	v_fmac_f64_e32 v[204:205], v[206:207], v[208:209]
	s_waitcnt vmcnt(0)
	v_add_f64 v[192:193], v[192:193], -v[210:211]
	v_add_f64 v[194:195], v[194:195], -v[204:205]
	scratch_store_dwordx4 off, v[192:195], off offset:64 ; 16-byte Folded Spill
	;; [unrolled: 11-line block ×5, first 2 shown]
	scratch_load_dwordx4 v[192:195], off, off ; 16-byte Folded Reload
	ds_read2_b64 v[204:207], v202 offset0:16 offset1:17
	s_waitcnt lgkmcnt(0)
	v_mul_f64 v[210:211], v[206:207], v[212:213]
	v_fma_f64 v[210:211], v[204:205], v[208:209], -v[210:211]
	v_mul_f64 v[204:205], v[204:205], v[212:213]
	v_fmac_f64_e32 v[204:205], v[206:207], v[208:209]
	v_add_f64 v[198:199], v[198:199], -v[204:205]
	ds_read2_b64 v[204:207], v202 offset0:18 offset1:19
	v_add_f64 v[196:197], v[196:197], -v[210:211]
	s_waitcnt lgkmcnt(0)
	v_mul_f64 v[210:211], v[206:207], v[212:213]
	v_fma_f64 v[210:211], v[204:205], v[208:209], -v[210:211]
	v_mul_f64 v[204:205], v[204:205], v[212:213]
	v_fmac_f64_e32 v[204:205], v[206:207], v[208:209]
	s_waitcnt vmcnt(0)
	v_add_f64 v[194:195], v[194:195], -v[204:205]
	ds_read2_b64 v[204:207], v202 offset0:20 offset1:21
	v_add_f64 v[192:193], v[192:193], -v[210:211]
	scratch_store_dwordx4 off, v[192:195], off ; 16-byte Folded Spill
	s_waitcnt lgkmcnt(0)
	v_mul_f64 v[210:211], v[206:207], v[212:213]
	v_fma_f64 v[210:211], v[204:205], v[208:209], -v[210:211]
	v_mul_f64 v[204:205], v[204:205], v[212:213]
	v_fmac_f64_e32 v[204:205], v[206:207], v[208:209]
	v_add_f64 v[190:191], v[190:191], -v[204:205]
	ds_read2_b64 v[204:207], v202 offset0:22 offset1:23
	v_add_f64 v[188:189], v[188:189], -v[210:211]
	s_waitcnt lgkmcnt(0)
	v_mul_f64 v[210:211], v[206:207], v[212:213]
	v_fma_f64 v[210:211], v[204:205], v[208:209], -v[210:211]
	v_mul_f64 v[204:205], v[204:205], v[212:213]
	v_fmac_f64_e32 v[204:205], v[206:207], v[208:209]
	v_add_f64 v[186:187], v[186:187], -v[204:205]
	ds_read2_b64 v[204:207], v202 offset0:24 offset1:25
	v_add_f64 v[184:185], v[184:185], -v[210:211]
	;; [unrolled: 8-line block ×48, first 2 shown]
	s_waitcnt lgkmcnt(0)
	v_mul_f64 v[210:211], v[206:207], v[212:213]
	v_fma_f64 v[210:211], v[204:205], v[208:209], -v[210:211]
	v_mul_f64 v[204:205], v[204:205], v[212:213]
	v_fmac_f64_e32 v[204:205], v[206:207], v[208:209]
	v_add_f64 v[232:233], v[232:233], -v[210:211]
	v_add_f64 v[234:235], v[234:235], -v[204:205]
	v_mov_b64_e32 v[210:211], v[208:209]
	scratch_store_dwordx4 off, v[210:213], off offset:96 ; 16-byte Folded Spill
.LBB117_28:
	s_or_b64 exec, exec, s[2:3]
	v_cmp_eq_u32_e32 vcc, 3, v200
	s_waitcnt vmcnt(63) expcnt(7) lgkmcnt(15)
	s_barrier
	s_and_saveexec_b64 s[4:5], vcc
	s_cbranch_execz .LBB117_35
; %bb.29:
	scratch_load_dwordx4 v[192:195], off, off offset:80 ; 16-byte Folded Reload
	s_waitcnt vmcnt(0)
	ds_write2_b64 v201, v[192:193], v[194:195] offset1:1
	scratch_load_dwordx4 v[192:195], off, off offset:64 ; 16-byte Folded Reload
	s_waitcnt vmcnt(0)
	ds_write2_b64 v202, v[192:193], v[194:195] offset0:8 offset1:9
	scratch_load_dwordx4 v[192:195], off, off offset:48 ; 16-byte Folded Reload
	s_waitcnt vmcnt(0)
	ds_write2_b64 v202, v[192:193], v[194:195] offset0:10 offset1:11
	;; [unrolled: 3-line block ×4, first 2 shown]
	ds_write2_b64 v202, v[196:197], v[198:199] offset0:16 offset1:17
	scratch_load_dwordx4 v[192:195], off, off ; 16-byte Folded Reload
	s_waitcnt vmcnt(0)
	ds_write2_b64 v202, v[192:193], v[194:195] offset0:18 offset1:19
	ds_write2_b64 v202, v[188:189], v[190:191] offset0:20 offset1:21
	;; [unrolled: 1-line block ×50, first 2 shown]
	ds_read2_b64 v[208:211], v201 offset1:1
	s_waitcnt lgkmcnt(0)
	v_cmp_neq_f64_e32 vcc, 0, v[208:209]
	v_cmp_neq_f64_e64 s[2:3], 0, v[210:211]
	s_or_b64 s[2:3], vcc, s[2:3]
	s_and_b64 exec, exec, s[2:3]
	s_cbranch_execz .LBB117_35
; %bb.30:
	v_cmp_ngt_f64_e64 s[2:3], |v[208:209]|, |v[210:211]|
                                        ; implicit-def: $vgpr204_vgpr205
	s_and_saveexec_b64 s[10:11], s[2:3]
	s_xor_b64 s[2:3], exec, s[10:11]
                                        ; implicit-def: $vgpr206_vgpr207
	s_cbranch_execz .LBB117_32
; %bb.31:
	v_div_scale_f64 v[204:205], s[10:11], v[210:211], v[210:211], v[208:209]
	v_rcp_f64_e32 v[206:207], v[204:205]
	v_div_scale_f64 v[212:213], vcc, v[208:209], v[210:211], v[208:209]
	v_fma_f64 v[214:215], -v[204:205], v[206:207], 1.0
	v_fmac_f64_e32 v[206:207], v[206:207], v[214:215]
	v_fma_f64 v[214:215], -v[204:205], v[206:207], 1.0
	v_fmac_f64_e32 v[206:207], v[206:207], v[214:215]
	v_mul_f64 v[214:215], v[212:213], v[206:207]
	v_fma_f64 v[204:205], -v[204:205], v[214:215], v[212:213]
	v_div_fmas_f64 v[204:205], v[204:205], v[206:207], v[214:215]
	v_div_fixup_f64 v[204:205], v[204:205], v[210:211], v[208:209]
	v_fmac_f64_e32 v[210:211], v[208:209], v[204:205]
	v_div_scale_f64 v[206:207], s[10:11], v[210:211], v[210:211], 1.0
	v_rcp_f64_e32 v[208:209], v[206:207]
	s_nop 0
	v_fma_f64 v[212:213], -v[206:207], v[208:209], 1.0
	v_fmac_f64_e32 v[208:209], v[208:209], v[212:213]
	v_fma_f64 v[212:213], -v[206:207], v[208:209], 1.0
	v_fmac_f64_e32 v[208:209], v[208:209], v[212:213]
	v_div_scale_f64 v[212:213], vcc, 1.0, v[210:211], 1.0
	v_mul_f64 v[214:215], v[212:213], v[208:209]
	v_fma_f64 v[206:207], -v[206:207], v[214:215], v[212:213]
	s_nop 1
	v_div_fmas_f64 v[206:207], v[206:207], v[208:209], v[214:215]
	v_div_fixup_f64 v[206:207], v[206:207], v[210:211], 1.0
	v_mul_f64 v[204:205], v[204:205], v[206:207]
	v_xor_b32_e32 v207, 0x80000000, v207
                                        ; implicit-def: $vgpr208_vgpr209
.LBB117_32:
	s_andn2_saveexec_b64 s[2:3], s[2:3]
	s_cbranch_execz .LBB117_34
; %bb.33:
	v_div_scale_f64 v[204:205], s[10:11], v[208:209], v[208:209], v[210:211]
	v_rcp_f64_e32 v[206:207], v[204:205]
	v_div_scale_f64 v[212:213], vcc, v[210:211], v[208:209], v[210:211]
	v_fma_f64 v[214:215], -v[204:205], v[206:207], 1.0
	v_fmac_f64_e32 v[206:207], v[206:207], v[214:215]
	v_fma_f64 v[214:215], -v[204:205], v[206:207], 1.0
	v_fmac_f64_e32 v[206:207], v[206:207], v[214:215]
	v_mul_f64 v[214:215], v[212:213], v[206:207]
	v_fma_f64 v[204:205], -v[204:205], v[214:215], v[212:213]
	v_div_fmas_f64 v[204:205], v[204:205], v[206:207], v[214:215]
	v_div_fixup_f64 v[206:207], v[204:205], v[208:209], v[210:211]
	v_fmac_f64_e32 v[208:209], v[210:211], v[206:207]
	v_div_scale_f64 v[204:205], s[10:11], v[208:209], v[208:209], 1.0
	v_rcp_f64_e32 v[210:211], v[204:205]
	s_nop 0
	v_fma_f64 v[212:213], -v[204:205], v[210:211], 1.0
	v_fmac_f64_e32 v[210:211], v[210:211], v[212:213]
	v_fma_f64 v[212:213], -v[204:205], v[210:211], 1.0
	v_fmac_f64_e32 v[210:211], v[210:211], v[212:213]
	v_div_scale_f64 v[212:213], vcc, 1.0, v[208:209], 1.0
	v_mul_f64 v[214:215], v[212:213], v[210:211]
	v_fma_f64 v[204:205], -v[204:205], v[214:215], v[212:213]
	s_nop 1
	v_div_fmas_f64 v[204:205], v[204:205], v[210:211], v[214:215]
	v_div_fixup_f64 v[204:205], v[204:205], v[208:209], 1.0
	v_mul_f64 v[206:207], v[206:207], -v[204:205]
.LBB117_34:
	s_or_b64 exec, exec, s[2:3]
	ds_write2_b64 v201, v[204:205], v[206:207] offset1:1
.LBB117_35:
	s_or_b64 exec, exec, s[4:5]
	s_waitcnt lgkmcnt(0)
	s_barrier
	ds_read2_b64 v[192:195], v201 offset1:1
	v_cmp_lt_u32_e32 vcc, 3, v200
	s_waitcnt lgkmcnt(0)
	scratch_store_dwordx4 off, v[192:195], off offset:664 ; 16-byte Folded Spill
	s_and_saveexec_b64 s[2:3], vcc
	s_cbranch_execz .LBB117_37
; %bb.36:
	scratch_load_dwordx4 v[210:213], off, off offset:80 ; 16-byte Folded Reload
	scratch_load_dwordx4 v[192:195], off, off offset:664 ; 16-byte Folded Reload
	s_waitcnt vmcnt(0)
	v_mul_f64 v[204:205], v[194:195], v[212:213]
	v_mul_f64 v[212:213], v[192:193], v[212:213]
	v_fma_f64 v[208:209], v[192:193], v[210:211], -v[204:205]
	v_fmac_f64_e32 v[212:213], v[194:195], v[210:211]
	scratch_load_dwordx4 v[192:195], off, off offset:64 ; 16-byte Folded Reload
	ds_read2_b64 v[204:207], v202 offset0:8 offset1:9
	s_waitcnt lgkmcnt(0)
	v_mul_f64 v[210:211], v[206:207], v[212:213]
	v_fma_f64 v[210:211], v[204:205], v[208:209], -v[210:211]
	v_mul_f64 v[204:205], v[204:205], v[212:213]
	v_fmac_f64_e32 v[204:205], v[206:207], v[208:209]
	s_waitcnt vmcnt(0)
	v_add_f64 v[192:193], v[192:193], -v[210:211]
	v_add_f64 v[194:195], v[194:195], -v[204:205]
	scratch_store_dwordx4 off, v[192:195], off offset:64 ; 16-byte Folded Spill
	scratch_load_dwordx4 v[192:195], off, off offset:48 ; 16-byte Folded Reload
	ds_read2_b64 v[204:207], v202 offset0:10 offset1:11
	s_waitcnt lgkmcnt(0)
	v_mul_f64 v[210:211], v[206:207], v[212:213]
	v_fma_f64 v[210:211], v[204:205], v[208:209], -v[210:211]
	v_mul_f64 v[204:205], v[204:205], v[212:213]
	v_fmac_f64_e32 v[204:205], v[206:207], v[208:209]
	s_waitcnt vmcnt(0)
	v_add_f64 v[192:193], v[192:193], -v[210:211]
	v_add_f64 v[194:195], v[194:195], -v[204:205]
	scratch_store_dwordx4 off, v[192:195], off offset:48 ; 16-byte Folded Spill
	;; [unrolled: 11-line block ×4, first 2 shown]
	scratch_load_dwordx4 v[192:195], off, off ; 16-byte Folded Reload
	ds_read2_b64 v[204:207], v202 offset0:16 offset1:17
	s_waitcnt lgkmcnt(0)
	v_mul_f64 v[210:211], v[206:207], v[212:213]
	v_fma_f64 v[210:211], v[204:205], v[208:209], -v[210:211]
	v_mul_f64 v[204:205], v[204:205], v[212:213]
	v_fmac_f64_e32 v[204:205], v[206:207], v[208:209]
	v_add_f64 v[198:199], v[198:199], -v[204:205]
	ds_read2_b64 v[204:207], v202 offset0:18 offset1:19
	v_add_f64 v[196:197], v[196:197], -v[210:211]
	s_waitcnt lgkmcnt(0)
	v_mul_f64 v[210:211], v[206:207], v[212:213]
	v_fma_f64 v[210:211], v[204:205], v[208:209], -v[210:211]
	v_mul_f64 v[204:205], v[204:205], v[212:213]
	v_fmac_f64_e32 v[204:205], v[206:207], v[208:209]
	s_waitcnt vmcnt(0)
	v_add_f64 v[194:195], v[194:195], -v[204:205]
	ds_read2_b64 v[204:207], v202 offset0:20 offset1:21
	v_add_f64 v[192:193], v[192:193], -v[210:211]
	scratch_store_dwordx4 off, v[192:195], off ; 16-byte Folded Spill
	s_waitcnt lgkmcnt(0)
	v_mul_f64 v[210:211], v[206:207], v[212:213]
	v_fma_f64 v[210:211], v[204:205], v[208:209], -v[210:211]
	v_mul_f64 v[204:205], v[204:205], v[212:213]
	v_fmac_f64_e32 v[204:205], v[206:207], v[208:209]
	v_add_f64 v[190:191], v[190:191], -v[204:205]
	ds_read2_b64 v[204:207], v202 offset0:22 offset1:23
	v_add_f64 v[188:189], v[188:189], -v[210:211]
	s_waitcnt lgkmcnt(0)
	v_mul_f64 v[210:211], v[206:207], v[212:213]
	v_fma_f64 v[210:211], v[204:205], v[208:209], -v[210:211]
	v_mul_f64 v[204:205], v[204:205], v[212:213]
	v_fmac_f64_e32 v[204:205], v[206:207], v[208:209]
	v_add_f64 v[186:187], v[186:187], -v[204:205]
	ds_read2_b64 v[204:207], v202 offset0:24 offset1:25
	v_add_f64 v[184:185], v[184:185], -v[210:211]
	;; [unrolled: 8-line block ×48, first 2 shown]
	s_waitcnt lgkmcnt(0)
	v_mul_f64 v[210:211], v[206:207], v[212:213]
	v_fma_f64 v[210:211], v[204:205], v[208:209], -v[210:211]
	v_mul_f64 v[204:205], v[204:205], v[212:213]
	v_fmac_f64_e32 v[204:205], v[206:207], v[208:209]
	v_add_f64 v[232:233], v[232:233], -v[210:211]
	v_add_f64 v[234:235], v[234:235], -v[204:205]
	v_mov_b64_e32 v[210:211], v[208:209]
	scratch_store_dwordx4 off, v[210:213], off offset:80 ; 16-byte Folded Spill
.LBB117_37:
	s_or_b64 exec, exec, s[2:3]
	v_cmp_eq_u32_e32 vcc, 4, v200
	s_waitcnt vmcnt(63) expcnt(7) lgkmcnt(15)
	s_barrier
	s_and_saveexec_b64 s[4:5], vcc
	s_cbranch_execz .LBB117_44
; %bb.38:
	scratch_load_dwordx4 v[192:195], off, off offset:64 ; 16-byte Folded Reload
	s_waitcnt vmcnt(0)
	ds_write2_b64 v201, v[192:193], v[194:195] offset1:1
	scratch_load_dwordx4 v[192:195], off, off offset:48 ; 16-byte Folded Reload
	s_waitcnt vmcnt(0)
	ds_write2_b64 v202, v[192:193], v[194:195] offset0:10 offset1:11
	scratch_load_dwordx4 v[192:195], off, off offset:32 ; 16-byte Folded Reload
	s_waitcnt vmcnt(0)
	ds_write2_b64 v202, v[192:193], v[194:195] offset0:12 offset1:13
	;; [unrolled: 3-line block ×3, first 2 shown]
	ds_write2_b64 v202, v[196:197], v[198:199] offset0:16 offset1:17
	scratch_load_dwordx4 v[192:195], off, off ; 16-byte Folded Reload
	s_waitcnt vmcnt(0)
	ds_write2_b64 v202, v[192:193], v[194:195] offset0:18 offset1:19
	ds_write2_b64 v202, v[188:189], v[190:191] offset0:20 offset1:21
	;; [unrolled: 1-line block ×50, first 2 shown]
	ds_read2_b64 v[208:211], v201 offset1:1
	s_waitcnt lgkmcnt(0)
	v_cmp_neq_f64_e32 vcc, 0, v[208:209]
	v_cmp_neq_f64_e64 s[2:3], 0, v[210:211]
	s_or_b64 s[2:3], vcc, s[2:3]
	s_and_b64 exec, exec, s[2:3]
	s_cbranch_execz .LBB117_44
; %bb.39:
	v_cmp_ngt_f64_e64 s[2:3], |v[208:209]|, |v[210:211]|
                                        ; implicit-def: $vgpr204_vgpr205
	s_and_saveexec_b64 s[10:11], s[2:3]
	s_xor_b64 s[2:3], exec, s[10:11]
                                        ; implicit-def: $vgpr206_vgpr207
	s_cbranch_execz .LBB117_41
; %bb.40:
	v_div_scale_f64 v[204:205], s[10:11], v[210:211], v[210:211], v[208:209]
	v_rcp_f64_e32 v[206:207], v[204:205]
	v_div_scale_f64 v[212:213], vcc, v[208:209], v[210:211], v[208:209]
	v_fma_f64 v[214:215], -v[204:205], v[206:207], 1.0
	v_fmac_f64_e32 v[206:207], v[206:207], v[214:215]
	v_fma_f64 v[214:215], -v[204:205], v[206:207], 1.0
	v_fmac_f64_e32 v[206:207], v[206:207], v[214:215]
	v_mul_f64 v[214:215], v[212:213], v[206:207]
	v_fma_f64 v[204:205], -v[204:205], v[214:215], v[212:213]
	v_div_fmas_f64 v[204:205], v[204:205], v[206:207], v[214:215]
	v_div_fixup_f64 v[204:205], v[204:205], v[210:211], v[208:209]
	v_fmac_f64_e32 v[210:211], v[208:209], v[204:205]
	v_div_scale_f64 v[206:207], s[10:11], v[210:211], v[210:211], 1.0
	v_rcp_f64_e32 v[208:209], v[206:207]
	s_nop 0
	v_fma_f64 v[212:213], -v[206:207], v[208:209], 1.0
	v_fmac_f64_e32 v[208:209], v[208:209], v[212:213]
	v_fma_f64 v[212:213], -v[206:207], v[208:209], 1.0
	v_fmac_f64_e32 v[208:209], v[208:209], v[212:213]
	v_div_scale_f64 v[212:213], vcc, 1.0, v[210:211], 1.0
	v_mul_f64 v[214:215], v[212:213], v[208:209]
	v_fma_f64 v[206:207], -v[206:207], v[214:215], v[212:213]
	s_nop 1
	v_div_fmas_f64 v[206:207], v[206:207], v[208:209], v[214:215]
	v_div_fixup_f64 v[206:207], v[206:207], v[210:211], 1.0
	v_mul_f64 v[204:205], v[204:205], v[206:207]
	v_xor_b32_e32 v207, 0x80000000, v207
                                        ; implicit-def: $vgpr208_vgpr209
.LBB117_41:
	s_andn2_saveexec_b64 s[2:3], s[2:3]
	s_cbranch_execz .LBB117_43
; %bb.42:
	v_div_scale_f64 v[204:205], s[10:11], v[208:209], v[208:209], v[210:211]
	v_rcp_f64_e32 v[206:207], v[204:205]
	v_div_scale_f64 v[212:213], vcc, v[210:211], v[208:209], v[210:211]
	v_fma_f64 v[214:215], -v[204:205], v[206:207], 1.0
	v_fmac_f64_e32 v[206:207], v[206:207], v[214:215]
	v_fma_f64 v[214:215], -v[204:205], v[206:207], 1.0
	v_fmac_f64_e32 v[206:207], v[206:207], v[214:215]
	v_mul_f64 v[214:215], v[212:213], v[206:207]
	v_fma_f64 v[204:205], -v[204:205], v[214:215], v[212:213]
	v_div_fmas_f64 v[204:205], v[204:205], v[206:207], v[214:215]
	v_div_fixup_f64 v[206:207], v[204:205], v[208:209], v[210:211]
	v_fmac_f64_e32 v[208:209], v[210:211], v[206:207]
	v_div_scale_f64 v[204:205], s[10:11], v[208:209], v[208:209], 1.0
	v_rcp_f64_e32 v[210:211], v[204:205]
	s_nop 0
	v_fma_f64 v[212:213], -v[204:205], v[210:211], 1.0
	v_fmac_f64_e32 v[210:211], v[210:211], v[212:213]
	v_fma_f64 v[212:213], -v[204:205], v[210:211], 1.0
	v_fmac_f64_e32 v[210:211], v[210:211], v[212:213]
	v_div_scale_f64 v[212:213], vcc, 1.0, v[208:209], 1.0
	v_mul_f64 v[214:215], v[212:213], v[210:211]
	v_fma_f64 v[204:205], -v[204:205], v[214:215], v[212:213]
	s_nop 1
	v_div_fmas_f64 v[204:205], v[204:205], v[210:211], v[214:215]
	v_div_fixup_f64 v[204:205], v[204:205], v[208:209], 1.0
	v_mul_f64 v[206:207], v[206:207], -v[204:205]
.LBB117_43:
	s_or_b64 exec, exec, s[2:3]
	ds_write2_b64 v201, v[204:205], v[206:207] offset1:1
.LBB117_44:
	s_or_b64 exec, exec, s[4:5]
	s_waitcnt lgkmcnt(0)
	s_barrier
	ds_read2_b64 v[192:195], v201 offset1:1
	v_cmp_lt_u32_e32 vcc, 4, v200
	s_waitcnt lgkmcnt(0)
	scratch_store_dwordx4 off, v[192:195], off offset:680 ; 16-byte Folded Spill
	s_and_saveexec_b64 s[2:3], vcc
	s_cbranch_execz .LBB117_46
; %bb.45:
	scratch_load_dwordx4 v[210:213], off, off offset:64 ; 16-byte Folded Reload
	scratch_load_dwordx4 v[192:195], off, off offset:680 ; 16-byte Folded Reload
	s_waitcnt vmcnt(0)
	v_mul_f64 v[204:205], v[194:195], v[212:213]
	v_mul_f64 v[212:213], v[192:193], v[212:213]
	v_fma_f64 v[208:209], v[192:193], v[210:211], -v[204:205]
	v_fmac_f64_e32 v[212:213], v[194:195], v[210:211]
	scratch_load_dwordx4 v[192:195], off, off offset:48 ; 16-byte Folded Reload
	ds_read2_b64 v[204:207], v202 offset0:10 offset1:11
	s_waitcnt lgkmcnt(0)
	v_mul_f64 v[210:211], v[206:207], v[212:213]
	v_fma_f64 v[210:211], v[204:205], v[208:209], -v[210:211]
	v_mul_f64 v[204:205], v[204:205], v[212:213]
	v_fmac_f64_e32 v[204:205], v[206:207], v[208:209]
	s_waitcnt vmcnt(0)
	v_add_f64 v[192:193], v[192:193], -v[210:211]
	v_add_f64 v[194:195], v[194:195], -v[204:205]
	scratch_store_dwordx4 off, v[192:195], off offset:48 ; 16-byte Folded Spill
	scratch_load_dwordx4 v[192:195], off, off offset:32 ; 16-byte Folded Reload
	ds_read2_b64 v[204:207], v202 offset0:12 offset1:13
	s_waitcnt lgkmcnt(0)
	v_mul_f64 v[210:211], v[206:207], v[212:213]
	v_fma_f64 v[210:211], v[204:205], v[208:209], -v[210:211]
	v_mul_f64 v[204:205], v[204:205], v[212:213]
	v_fmac_f64_e32 v[204:205], v[206:207], v[208:209]
	s_waitcnt vmcnt(0)
	v_add_f64 v[192:193], v[192:193], -v[210:211]
	v_add_f64 v[194:195], v[194:195], -v[204:205]
	scratch_store_dwordx4 off, v[192:195], off offset:32 ; 16-byte Folded Spill
	;; [unrolled: 11-line block ×3, first 2 shown]
	scratch_load_dwordx4 v[192:195], off, off ; 16-byte Folded Reload
	ds_read2_b64 v[204:207], v202 offset0:16 offset1:17
	s_waitcnt lgkmcnt(0)
	v_mul_f64 v[210:211], v[206:207], v[212:213]
	v_fma_f64 v[210:211], v[204:205], v[208:209], -v[210:211]
	v_mul_f64 v[204:205], v[204:205], v[212:213]
	v_fmac_f64_e32 v[204:205], v[206:207], v[208:209]
	v_add_f64 v[198:199], v[198:199], -v[204:205]
	ds_read2_b64 v[204:207], v202 offset0:18 offset1:19
	v_add_f64 v[196:197], v[196:197], -v[210:211]
	s_waitcnt lgkmcnt(0)
	v_mul_f64 v[210:211], v[206:207], v[212:213]
	v_fma_f64 v[210:211], v[204:205], v[208:209], -v[210:211]
	v_mul_f64 v[204:205], v[204:205], v[212:213]
	v_fmac_f64_e32 v[204:205], v[206:207], v[208:209]
	s_waitcnt vmcnt(0)
	v_add_f64 v[194:195], v[194:195], -v[204:205]
	ds_read2_b64 v[204:207], v202 offset0:20 offset1:21
	v_add_f64 v[192:193], v[192:193], -v[210:211]
	scratch_store_dwordx4 off, v[192:195], off ; 16-byte Folded Spill
	s_waitcnt lgkmcnt(0)
	v_mul_f64 v[210:211], v[206:207], v[212:213]
	v_fma_f64 v[210:211], v[204:205], v[208:209], -v[210:211]
	v_mul_f64 v[204:205], v[204:205], v[212:213]
	v_fmac_f64_e32 v[204:205], v[206:207], v[208:209]
	v_add_f64 v[190:191], v[190:191], -v[204:205]
	ds_read2_b64 v[204:207], v202 offset0:22 offset1:23
	v_add_f64 v[188:189], v[188:189], -v[210:211]
	s_waitcnt lgkmcnt(0)
	v_mul_f64 v[210:211], v[206:207], v[212:213]
	v_fma_f64 v[210:211], v[204:205], v[208:209], -v[210:211]
	v_mul_f64 v[204:205], v[204:205], v[212:213]
	v_fmac_f64_e32 v[204:205], v[206:207], v[208:209]
	v_add_f64 v[186:187], v[186:187], -v[204:205]
	ds_read2_b64 v[204:207], v202 offset0:24 offset1:25
	v_add_f64 v[184:185], v[184:185], -v[210:211]
	;; [unrolled: 8-line block ×48, first 2 shown]
	s_waitcnt lgkmcnt(0)
	v_mul_f64 v[210:211], v[206:207], v[212:213]
	v_fma_f64 v[210:211], v[204:205], v[208:209], -v[210:211]
	v_mul_f64 v[204:205], v[204:205], v[212:213]
	v_fmac_f64_e32 v[204:205], v[206:207], v[208:209]
	v_add_f64 v[232:233], v[232:233], -v[210:211]
	v_add_f64 v[234:235], v[234:235], -v[204:205]
	v_mov_b64_e32 v[210:211], v[208:209]
	scratch_store_dwordx4 off, v[210:213], off offset:64 ; 16-byte Folded Spill
.LBB117_46:
	s_or_b64 exec, exec, s[2:3]
	v_cmp_eq_u32_e32 vcc, 5, v200
	s_waitcnt vmcnt(63) expcnt(7) lgkmcnt(15)
	s_barrier
	s_and_saveexec_b64 s[4:5], vcc
	s_cbranch_execz .LBB117_53
; %bb.47:
	scratch_load_dwordx4 v[192:195], off, off offset:48 ; 16-byte Folded Reload
	s_waitcnt vmcnt(0)
	ds_write2_b64 v201, v[192:193], v[194:195] offset1:1
	scratch_load_dwordx4 v[192:195], off, off offset:32 ; 16-byte Folded Reload
	s_waitcnt vmcnt(0)
	ds_write2_b64 v202, v[192:193], v[194:195] offset0:12 offset1:13
	scratch_load_dwordx4 v[192:195], off, off offset:16 ; 16-byte Folded Reload
	s_waitcnt vmcnt(0)
	ds_write2_b64 v202, v[192:193], v[194:195] offset0:14 offset1:15
	ds_write2_b64 v202, v[196:197], v[198:199] offset0:16 offset1:17
	scratch_load_dwordx4 v[192:195], off, off ; 16-byte Folded Reload
	s_waitcnt vmcnt(0)
	ds_write2_b64 v202, v[192:193], v[194:195] offset0:18 offset1:19
	ds_write2_b64 v202, v[188:189], v[190:191] offset0:20 offset1:21
	;; [unrolled: 1-line block ×50, first 2 shown]
	ds_read2_b64 v[208:211], v201 offset1:1
	s_waitcnt lgkmcnt(0)
	v_cmp_neq_f64_e32 vcc, 0, v[208:209]
	v_cmp_neq_f64_e64 s[2:3], 0, v[210:211]
	s_or_b64 s[2:3], vcc, s[2:3]
	s_and_b64 exec, exec, s[2:3]
	s_cbranch_execz .LBB117_53
; %bb.48:
	v_cmp_ngt_f64_e64 s[2:3], |v[208:209]|, |v[210:211]|
                                        ; implicit-def: $vgpr204_vgpr205
	s_and_saveexec_b64 s[10:11], s[2:3]
	s_xor_b64 s[2:3], exec, s[10:11]
                                        ; implicit-def: $vgpr206_vgpr207
	s_cbranch_execz .LBB117_50
; %bb.49:
	v_div_scale_f64 v[204:205], s[10:11], v[210:211], v[210:211], v[208:209]
	v_rcp_f64_e32 v[206:207], v[204:205]
	v_div_scale_f64 v[212:213], vcc, v[208:209], v[210:211], v[208:209]
	v_fma_f64 v[214:215], -v[204:205], v[206:207], 1.0
	v_fmac_f64_e32 v[206:207], v[206:207], v[214:215]
	v_fma_f64 v[214:215], -v[204:205], v[206:207], 1.0
	v_fmac_f64_e32 v[206:207], v[206:207], v[214:215]
	v_mul_f64 v[214:215], v[212:213], v[206:207]
	v_fma_f64 v[204:205], -v[204:205], v[214:215], v[212:213]
	v_div_fmas_f64 v[204:205], v[204:205], v[206:207], v[214:215]
	v_div_fixup_f64 v[204:205], v[204:205], v[210:211], v[208:209]
	v_fmac_f64_e32 v[210:211], v[208:209], v[204:205]
	v_div_scale_f64 v[206:207], s[10:11], v[210:211], v[210:211], 1.0
	v_rcp_f64_e32 v[208:209], v[206:207]
	s_nop 0
	v_fma_f64 v[212:213], -v[206:207], v[208:209], 1.0
	v_fmac_f64_e32 v[208:209], v[208:209], v[212:213]
	v_fma_f64 v[212:213], -v[206:207], v[208:209], 1.0
	v_fmac_f64_e32 v[208:209], v[208:209], v[212:213]
	v_div_scale_f64 v[212:213], vcc, 1.0, v[210:211], 1.0
	v_mul_f64 v[214:215], v[212:213], v[208:209]
	v_fma_f64 v[206:207], -v[206:207], v[214:215], v[212:213]
	s_nop 1
	v_div_fmas_f64 v[206:207], v[206:207], v[208:209], v[214:215]
	v_div_fixup_f64 v[206:207], v[206:207], v[210:211], 1.0
	v_mul_f64 v[204:205], v[204:205], v[206:207]
	v_xor_b32_e32 v207, 0x80000000, v207
                                        ; implicit-def: $vgpr208_vgpr209
.LBB117_50:
	s_andn2_saveexec_b64 s[2:3], s[2:3]
	s_cbranch_execz .LBB117_52
; %bb.51:
	v_div_scale_f64 v[204:205], s[10:11], v[208:209], v[208:209], v[210:211]
	v_rcp_f64_e32 v[206:207], v[204:205]
	v_div_scale_f64 v[212:213], vcc, v[210:211], v[208:209], v[210:211]
	v_fma_f64 v[214:215], -v[204:205], v[206:207], 1.0
	v_fmac_f64_e32 v[206:207], v[206:207], v[214:215]
	v_fma_f64 v[214:215], -v[204:205], v[206:207], 1.0
	v_fmac_f64_e32 v[206:207], v[206:207], v[214:215]
	v_mul_f64 v[214:215], v[212:213], v[206:207]
	v_fma_f64 v[204:205], -v[204:205], v[214:215], v[212:213]
	v_div_fmas_f64 v[204:205], v[204:205], v[206:207], v[214:215]
	v_div_fixup_f64 v[206:207], v[204:205], v[208:209], v[210:211]
	v_fmac_f64_e32 v[208:209], v[210:211], v[206:207]
	v_div_scale_f64 v[204:205], s[10:11], v[208:209], v[208:209], 1.0
	v_rcp_f64_e32 v[210:211], v[204:205]
	s_nop 0
	v_fma_f64 v[212:213], -v[204:205], v[210:211], 1.0
	v_fmac_f64_e32 v[210:211], v[210:211], v[212:213]
	v_fma_f64 v[212:213], -v[204:205], v[210:211], 1.0
	v_fmac_f64_e32 v[210:211], v[210:211], v[212:213]
	v_div_scale_f64 v[212:213], vcc, 1.0, v[208:209], 1.0
	v_mul_f64 v[214:215], v[212:213], v[210:211]
	v_fma_f64 v[204:205], -v[204:205], v[214:215], v[212:213]
	s_nop 1
	v_div_fmas_f64 v[204:205], v[204:205], v[210:211], v[214:215]
	v_div_fixup_f64 v[204:205], v[204:205], v[208:209], 1.0
	v_mul_f64 v[206:207], v[206:207], -v[204:205]
.LBB117_52:
	s_or_b64 exec, exec, s[2:3]
	ds_write2_b64 v201, v[204:205], v[206:207] offset1:1
.LBB117_53:
	s_or_b64 exec, exec, s[4:5]
	s_waitcnt lgkmcnt(0)
	s_barrier
	ds_read2_b64 v[192:195], v201 offset1:1
	v_cmp_lt_u32_e32 vcc, 5, v200
	s_waitcnt lgkmcnt(0)
	scratch_store_dwordx4 off, v[192:195], off offset:696 ; 16-byte Folded Spill
	s_and_saveexec_b64 s[2:3], vcc
	s_cbranch_execz .LBB117_55
; %bb.54:
	scratch_load_dwordx4 v[210:213], off, off offset:48 ; 16-byte Folded Reload
	scratch_load_dwordx4 v[192:195], off, off offset:696 ; 16-byte Folded Reload
	s_waitcnt vmcnt(0)
	v_mul_f64 v[204:205], v[194:195], v[212:213]
	v_mul_f64 v[212:213], v[192:193], v[212:213]
	v_fma_f64 v[208:209], v[192:193], v[210:211], -v[204:205]
	v_fmac_f64_e32 v[212:213], v[194:195], v[210:211]
	scratch_load_dwordx4 v[192:195], off, off offset:32 ; 16-byte Folded Reload
	ds_read2_b64 v[204:207], v202 offset0:12 offset1:13
	s_waitcnt lgkmcnt(0)
	v_mul_f64 v[210:211], v[206:207], v[212:213]
	v_fma_f64 v[210:211], v[204:205], v[208:209], -v[210:211]
	v_mul_f64 v[204:205], v[204:205], v[212:213]
	v_fmac_f64_e32 v[204:205], v[206:207], v[208:209]
	s_waitcnt vmcnt(0)
	v_add_f64 v[192:193], v[192:193], -v[210:211]
	v_add_f64 v[194:195], v[194:195], -v[204:205]
	scratch_store_dwordx4 off, v[192:195], off offset:32 ; 16-byte Folded Spill
	scratch_load_dwordx4 v[192:195], off, off offset:16 ; 16-byte Folded Reload
	ds_read2_b64 v[204:207], v202 offset0:14 offset1:15
	s_waitcnt lgkmcnt(0)
	v_mul_f64 v[210:211], v[206:207], v[212:213]
	v_fma_f64 v[210:211], v[204:205], v[208:209], -v[210:211]
	v_mul_f64 v[204:205], v[204:205], v[212:213]
	v_fmac_f64_e32 v[204:205], v[206:207], v[208:209]
	s_waitcnt vmcnt(0)
	v_add_f64 v[192:193], v[192:193], -v[210:211]
	v_add_f64 v[194:195], v[194:195], -v[204:205]
	scratch_store_dwordx4 off, v[192:195], off offset:16 ; 16-byte Folded Spill
	scratch_load_dwordx4 v[192:195], off, off ; 16-byte Folded Reload
	ds_read2_b64 v[204:207], v202 offset0:16 offset1:17
	s_waitcnt lgkmcnt(0)
	v_mul_f64 v[210:211], v[206:207], v[212:213]
	v_fma_f64 v[210:211], v[204:205], v[208:209], -v[210:211]
	v_mul_f64 v[204:205], v[204:205], v[212:213]
	v_fmac_f64_e32 v[204:205], v[206:207], v[208:209]
	v_add_f64 v[198:199], v[198:199], -v[204:205]
	ds_read2_b64 v[204:207], v202 offset0:18 offset1:19
	v_add_f64 v[196:197], v[196:197], -v[210:211]
	s_waitcnt lgkmcnt(0)
	v_mul_f64 v[210:211], v[206:207], v[212:213]
	v_fma_f64 v[210:211], v[204:205], v[208:209], -v[210:211]
	v_mul_f64 v[204:205], v[204:205], v[212:213]
	v_fmac_f64_e32 v[204:205], v[206:207], v[208:209]
	s_waitcnt vmcnt(0)
	v_add_f64 v[194:195], v[194:195], -v[204:205]
	ds_read2_b64 v[204:207], v202 offset0:20 offset1:21
	v_add_f64 v[192:193], v[192:193], -v[210:211]
	scratch_store_dwordx4 off, v[192:195], off ; 16-byte Folded Spill
	s_waitcnt lgkmcnt(0)
	v_mul_f64 v[210:211], v[206:207], v[212:213]
	v_fma_f64 v[210:211], v[204:205], v[208:209], -v[210:211]
	v_mul_f64 v[204:205], v[204:205], v[212:213]
	v_fmac_f64_e32 v[204:205], v[206:207], v[208:209]
	v_add_f64 v[190:191], v[190:191], -v[204:205]
	ds_read2_b64 v[204:207], v202 offset0:22 offset1:23
	v_add_f64 v[188:189], v[188:189], -v[210:211]
	s_waitcnt lgkmcnt(0)
	v_mul_f64 v[210:211], v[206:207], v[212:213]
	v_fma_f64 v[210:211], v[204:205], v[208:209], -v[210:211]
	v_mul_f64 v[204:205], v[204:205], v[212:213]
	v_fmac_f64_e32 v[204:205], v[206:207], v[208:209]
	v_add_f64 v[186:187], v[186:187], -v[204:205]
	ds_read2_b64 v[204:207], v202 offset0:24 offset1:25
	v_add_f64 v[184:185], v[184:185], -v[210:211]
	;; [unrolled: 8-line block ×48, first 2 shown]
	s_waitcnt lgkmcnt(0)
	v_mul_f64 v[210:211], v[206:207], v[212:213]
	v_fma_f64 v[210:211], v[204:205], v[208:209], -v[210:211]
	v_mul_f64 v[204:205], v[204:205], v[212:213]
	v_fmac_f64_e32 v[204:205], v[206:207], v[208:209]
	v_add_f64 v[232:233], v[232:233], -v[210:211]
	v_add_f64 v[234:235], v[234:235], -v[204:205]
	v_mov_b64_e32 v[210:211], v[208:209]
	scratch_store_dwordx4 off, v[210:213], off offset:48 ; 16-byte Folded Spill
.LBB117_55:
	s_or_b64 exec, exec, s[2:3]
	v_cmp_eq_u32_e32 vcc, 6, v200
	s_waitcnt vmcnt(63) expcnt(7) lgkmcnt(15)
	s_barrier
	s_and_saveexec_b64 s[4:5], vcc
	s_cbranch_execz .LBB117_62
; %bb.56:
	scratch_load_dwordx4 v[192:195], off, off offset:32 ; 16-byte Folded Reload
	s_waitcnt vmcnt(0)
	ds_write2_b64 v201, v[192:193], v[194:195] offset1:1
	scratch_load_dwordx4 v[192:195], off, off offset:16 ; 16-byte Folded Reload
	s_waitcnt vmcnt(0)
	ds_write2_b64 v202, v[192:193], v[194:195] offset0:14 offset1:15
	ds_write2_b64 v202, v[196:197], v[198:199] offset0:16 offset1:17
	scratch_load_dwordx4 v[192:195], off, off ; 16-byte Folded Reload
	s_waitcnt vmcnt(0)
	ds_write2_b64 v202, v[192:193], v[194:195] offset0:18 offset1:19
	ds_write2_b64 v202, v[188:189], v[190:191] offset0:20 offset1:21
	;; [unrolled: 1-line block ×50, first 2 shown]
	ds_read2_b64 v[208:211], v201 offset1:1
	s_waitcnt lgkmcnt(0)
	v_cmp_neq_f64_e32 vcc, 0, v[208:209]
	v_cmp_neq_f64_e64 s[2:3], 0, v[210:211]
	s_or_b64 s[2:3], vcc, s[2:3]
	s_and_b64 exec, exec, s[2:3]
	s_cbranch_execz .LBB117_62
; %bb.57:
	v_cmp_ngt_f64_e64 s[2:3], |v[208:209]|, |v[210:211]|
                                        ; implicit-def: $vgpr204_vgpr205
	s_and_saveexec_b64 s[10:11], s[2:3]
	s_xor_b64 s[2:3], exec, s[10:11]
                                        ; implicit-def: $vgpr206_vgpr207
	s_cbranch_execz .LBB117_59
; %bb.58:
	v_div_scale_f64 v[204:205], s[10:11], v[210:211], v[210:211], v[208:209]
	v_rcp_f64_e32 v[206:207], v[204:205]
	v_div_scale_f64 v[212:213], vcc, v[208:209], v[210:211], v[208:209]
	v_fma_f64 v[214:215], -v[204:205], v[206:207], 1.0
	v_fmac_f64_e32 v[206:207], v[206:207], v[214:215]
	v_fma_f64 v[214:215], -v[204:205], v[206:207], 1.0
	v_fmac_f64_e32 v[206:207], v[206:207], v[214:215]
	v_mul_f64 v[214:215], v[212:213], v[206:207]
	v_fma_f64 v[204:205], -v[204:205], v[214:215], v[212:213]
	v_div_fmas_f64 v[204:205], v[204:205], v[206:207], v[214:215]
	v_div_fixup_f64 v[204:205], v[204:205], v[210:211], v[208:209]
	v_fmac_f64_e32 v[210:211], v[208:209], v[204:205]
	v_div_scale_f64 v[206:207], s[10:11], v[210:211], v[210:211], 1.0
	v_rcp_f64_e32 v[208:209], v[206:207]
	s_nop 0
	v_fma_f64 v[212:213], -v[206:207], v[208:209], 1.0
	v_fmac_f64_e32 v[208:209], v[208:209], v[212:213]
	v_fma_f64 v[212:213], -v[206:207], v[208:209], 1.0
	v_fmac_f64_e32 v[208:209], v[208:209], v[212:213]
	v_div_scale_f64 v[212:213], vcc, 1.0, v[210:211], 1.0
	v_mul_f64 v[214:215], v[212:213], v[208:209]
	v_fma_f64 v[206:207], -v[206:207], v[214:215], v[212:213]
	s_nop 1
	v_div_fmas_f64 v[206:207], v[206:207], v[208:209], v[214:215]
	v_div_fixup_f64 v[206:207], v[206:207], v[210:211], 1.0
	v_mul_f64 v[204:205], v[204:205], v[206:207]
	v_xor_b32_e32 v207, 0x80000000, v207
                                        ; implicit-def: $vgpr208_vgpr209
.LBB117_59:
	s_andn2_saveexec_b64 s[2:3], s[2:3]
	s_cbranch_execz .LBB117_61
; %bb.60:
	v_div_scale_f64 v[204:205], s[10:11], v[208:209], v[208:209], v[210:211]
	v_rcp_f64_e32 v[206:207], v[204:205]
	v_div_scale_f64 v[212:213], vcc, v[210:211], v[208:209], v[210:211]
	v_fma_f64 v[214:215], -v[204:205], v[206:207], 1.0
	v_fmac_f64_e32 v[206:207], v[206:207], v[214:215]
	v_fma_f64 v[214:215], -v[204:205], v[206:207], 1.0
	v_fmac_f64_e32 v[206:207], v[206:207], v[214:215]
	v_mul_f64 v[214:215], v[212:213], v[206:207]
	v_fma_f64 v[204:205], -v[204:205], v[214:215], v[212:213]
	v_div_fmas_f64 v[204:205], v[204:205], v[206:207], v[214:215]
	v_div_fixup_f64 v[206:207], v[204:205], v[208:209], v[210:211]
	v_fmac_f64_e32 v[208:209], v[210:211], v[206:207]
	v_div_scale_f64 v[204:205], s[10:11], v[208:209], v[208:209], 1.0
	v_rcp_f64_e32 v[210:211], v[204:205]
	s_nop 0
	v_fma_f64 v[212:213], -v[204:205], v[210:211], 1.0
	v_fmac_f64_e32 v[210:211], v[210:211], v[212:213]
	v_fma_f64 v[212:213], -v[204:205], v[210:211], 1.0
	v_fmac_f64_e32 v[210:211], v[210:211], v[212:213]
	v_div_scale_f64 v[212:213], vcc, 1.0, v[208:209], 1.0
	v_mul_f64 v[214:215], v[212:213], v[210:211]
	v_fma_f64 v[204:205], -v[204:205], v[214:215], v[212:213]
	s_nop 1
	v_div_fmas_f64 v[204:205], v[204:205], v[210:211], v[214:215]
	v_div_fixup_f64 v[204:205], v[204:205], v[208:209], 1.0
	v_mul_f64 v[206:207], v[206:207], -v[204:205]
.LBB117_61:
	s_or_b64 exec, exec, s[2:3]
	ds_write2_b64 v201, v[204:205], v[206:207] offset1:1
.LBB117_62:
	s_or_b64 exec, exec, s[4:5]
	s_waitcnt lgkmcnt(0)
	s_barrier
	ds_read2_b64 v[192:195], v201 offset1:1
	v_cmp_lt_u32_e32 vcc, 6, v200
	s_waitcnt lgkmcnt(0)
	scratch_store_dwordx4 off, v[192:195], off offset:712 ; 16-byte Folded Spill
	s_and_saveexec_b64 s[2:3], vcc
	s_cbranch_execz .LBB117_64
; %bb.63:
	scratch_load_dwordx4 v[210:213], off, off offset:32 ; 16-byte Folded Reload
	scratch_load_dwordx4 v[192:195], off, off offset:712 ; 16-byte Folded Reload
	s_waitcnt vmcnt(0)
	v_mul_f64 v[204:205], v[194:195], v[212:213]
	v_mul_f64 v[212:213], v[192:193], v[212:213]
	v_fma_f64 v[208:209], v[192:193], v[210:211], -v[204:205]
	v_fmac_f64_e32 v[212:213], v[194:195], v[210:211]
	scratch_load_dwordx4 v[192:195], off, off offset:16 ; 16-byte Folded Reload
	ds_read2_b64 v[204:207], v202 offset0:14 offset1:15
	s_waitcnt lgkmcnt(0)
	v_mul_f64 v[210:211], v[206:207], v[212:213]
	v_fma_f64 v[210:211], v[204:205], v[208:209], -v[210:211]
	v_mul_f64 v[204:205], v[204:205], v[212:213]
	v_fmac_f64_e32 v[204:205], v[206:207], v[208:209]
	s_waitcnt vmcnt(0)
	v_add_f64 v[192:193], v[192:193], -v[210:211]
	v_add_f64 v[194:195], v[194:195], -v[204:205]
	scratch_store_dwordx4 off, v[192:195], off offset:16 ; 16-byte Folded Spill
	scratch_load_dwordx4 v[192:195], off, off ; 16-byte Folded Reload
	ds_read2_b64 v[204:207], v202 offset0:16 offset1:17
	s_waitcnt lgkmcnt(0)
	v_mul_f64 v[210:211], v[206:207], v[212:213]
	v_fma_f64 v[210:211], v[204:205], v[208:209], -v[210:211]
	v_mul_f64 v[204:205], v[204:205], v[212:213]
	v_fmac_f64_e32 v[204:205], v[206:207], v[208:209]
	v_add_f64 v[198:199], v[198:199], -v[204:205]
	ds_read2_b64 v[204:207], v202 offset0:18 offset1:19
	v_add_f64 v[196:197], v[196:197], -v[210:211]
	s_waitcnt lgkmcnt(0)
	v_mul_f64 v[210:211], v[206:207], v[212:213]
	v_fma_f64 v[210:211], v[204:205], v[208:209], -v[210:211]
	v_mul_f64 v[204:205], v[204:205], v[212:213]
	v_fmac_f64_e32 v[204:205], v[206:207], v[208:209]
	s_waitcnt vmcnt(0)
	v_add_f64 v[194:195], v[194:195], -v[204:205]
	ds_read2_b64 v[204:207], v202 offset0:20 offset1:21
	v_add_f64 v[192:193], v[192:193], -v[210:211]
	scratch_store_dwordx4 off, v[192:195], off ; 16-byte Folded Spill
	s_waitcnt lgkmcnt(0)
	v_mul_f64 v[210:211], v[206:207], v[212:213]
	v_fma_f64 v[210:211], v[204:205], v[208:209], -v[210:211]
	v_mul_f64 v[204:205], v[204:205], v[212:213]
	v_fmac_f64_e32 v[204:205], v[206:207], v[208:209]
	v_add_f64 v[190:191], v[190:191], -v[204:205]
	ds_read2_b64 v[204:207], v202 offset0:22 offset1:23
	v_add_f64 v[188:189], v[188:189], -v[210:211]
	s_waitcnt lgkmcnt(0)
	v_mul_f64 v[210:211], v[206:207], v[212:213]
	v_fma_f64 v[210:211], v[204:205], v[208:209], -v[210:211]
	v_mul_f64 v[204:205], v[204:205], v[212:213]
	v_fmac_f64_e32 v[204:205], v[206:207], v[208:209]
	v_add_f64 v[186:187], v[186:187], -v[204:205]
	ds_read2_b64 v[204:207], v202 offset0:24 offset1:25
	v_add_f64 v[184:185], v[184:185], -v[210:211]
	;; [unrolled: 8-line block ×48, first 2 shown]
	s_waitcnt lgkmcnt(0)
	v_mul_f64 v[210:211], v[206:207], v[212:213]
	v_fma_f64 v[210:211], v[204:205], v[208:209], -v[210:211]
	v_mul_f64 v[204:205], v[204:205], v[212:213]
	v_fmac_f64_e32 v[204:205], v[206:207], v[208:209]
	v_add_f64 v[232:233], v[232:233], -v[210:211]
	v_add_f64 v[234:235], v[234:235], -v[204:205]
	v_mov_b64_e32 v[210:211], v[208:209]
	scratch_store_dwordx4 off, v[210:213], off offset:32 ; 16-byte Folded Spill
.LBB117_64:
	s_or_b64 exec, exec, s[2:3]
	v_cmp_eq_u32_e32 vcc, 7, v200
	s_waitcnt vmcnt(63) expcnt(7) lgkmcnt(15)
	s_barrier
	s_and_saveexec_b64 s[4:5], vcc
	s_cbranch_execz .LBB117_71
; %bb.65:
	scratch_load_dwordx4 v[192:195], off, off offset:16 ; 16-byte Folded Reload
	s_waitcnt vmcnt(0)
	ds_write2_b64 v201, v[192:193], v[194:195] offset1:1
	ds_write2_b64 v202, v[196:197], v[198:199] offset0:16 offset1:17
	scratch_load_dwordx4 v[192:195], off, off ; 16-byte Folded Reload
	s_waitcnt vmcnt(0)
	ds_write2_b64 v202, v[192:193], v[194:195] offset0:18 offset1:19
	ds_write2_b64 v202, v[188:189], v[190:191] offset0:20 offset1:21
	;; [unrolled: 1-line block ×50, first 2 shown]
	ds_read2_b64 v[208:211], v201 offset1:1
	s_waitcnt lgkmcnt(0)
	v_cmp_neq_f64_e32 vcc, 0, v[208:209]
	v_cmp_neq_f64_e64 s[2:3], 0, v[210:211]
	s_or_b64 s[2:3], vcc, s[2:3]
	s_and_b64 exec, exec, s[2:3]
	s_cbranch_execz .LBB117_71
; %bb.66:
	v_cmp_ngt_f64_e64 s[2:3], |v[208:209]|, |v[210:211]|
                                        ; implicit-def: $vgpr204_vgpr205
	s_and_saveexec_b64 s[10:11], s[2:3]
	s_xor_b64 s[2:3], exec, s[10:11]
                                        ; implicit-def: $vgpr206_vgpr207
	s_cbranch_execz .LBB117_68
; %bb.67:
	v_div_scale_f64 v[204:205], s[10:11], v[210:211], v[210:211], v[208:209]
	v_rcp_f64_e32 v[206:207], v[204:205]
	v_div_scale_f64 v[212:213], vcc, v[208:209], v[210:211], v[208:209]
	v_fma_f64 v[214:215], -v[204:205], v[206:207], 1.0
	v_fmac_f64_e32 v[206:207], v[206:207], v[214:215]
	v_fma_f64 v[214:215], -v[204:205], v[206:207], 1.0
	v_fmac_f64_e32 v[206:207], v[206:207], v[214:215]
	v_mul_f64 v[214:215], v[212:213], v[206:207]
	v_fma_f64 v[204:205], -v[204:205], v[214:215], v[212:213]
	v_div_fmas_f64 v[204:205], v[204:205], v[206:207], v[214:215]
	v_div_fixup_f64 v[204:205], v[204:205], v[210:211], v[208:209]
	v_fmac_f64_e32 v[210:211], v[208:209], v[204:205]
	v_div_scale_f64 v[206:207], s[10:11], v[210:211], v[210:211], 1.0
	v_rcp_f64_e32 v[208:209], v[206:207]
	s_nop 0
	v_fma_f64 v[212:213], -v[206:207], v[208:209], 1.0
	v_fmac_f64_e32 v[208:209], v[208:209], v[212:213]
	v_fma_f64 v[212:213], -v[206:207], v[208:209], 1.0
	v_fmac_f64_e32 v[208:209], v[208:209], v[212:213]
	v_div_scale_f64 v[212:213], vcc, 1.0, v[210:211], 1.0
	v_mul_f64 v[214:215], v[212:213], v[208:209]
	v_fma_f64 v[206:207], -v[206:207], v[214:215], v[212:213]
	s_nop 1
	v_div_fmas_f64 v[206:207], v[206:207], v[208:209], v[214:215]
	v_div_fixup_f64 v[206:207], v[206:207], v[210:211], 1.0
	v_mul_f64 v[204:205], v[204:205], v[206:207]
	v_xor_b32_e32 v207, 0x80000000, v207
                                        ; implicit-def: $vgpr208_vgpr209
.LBB117_68:
	s_andn2_saveexec_b64 s[2:3], s[2:3]
	s_cbranch_execz .LBB117_70
; %bb.69:
	v_div_scale_f64 v[204:205], s[10:11], v[208:209], v[208:209], v[210:211]
	v_rcp_f64_e32 v[206:207], v[204:205]
	v_div_scale_f64 v[212:213], vcc, v[210:211], v[208:209], v[210:211]
	v_fma_f64 v[214:215], -v[204:205], v[206:207], 1.0
	v_fmac_f64_e32 v[206:207], v[206:207], v[214:215]
	v_fma_f64 v[214:215], -v[204:205], v[206:207], 1.0
	v_fmac_f64_e32 v[206:207], v[206:207], v[214:215]
	v_mul_f64 v[214:215], v[212:213], v[206:207]
	v_fma_f64 v[204:205], -v[204:205], v[214:215], v[212:213]
	v_div_fmas_f64 v[204:205], v[204:205], v[206:207], v[214:215]
	v_div_fixup_f64 v[206:207], v[204:205], v[208:209], v[210:211]
	v_fmac_f64_e32 v[208:209], v[210:211], v[206:207]
	v_div_scale_f64 v[204:205], s[10:11], v[208:209], v[208:209], 1.0
	v_rcp_f64_e32 v[210:211], v[204:205]
	s_nop 0
	v_fma_f64 v[212:213], -v[204:205], v[210:211], 1.0
	v_fmac_f64_e32 v[210:211], v[210:211], v[212:213]
	v_fma_f64 v[212:213], -v[204:205], v[210:211], 1.0
	v_fmac_f64_e32 v[210:211], v[210:211], v[212:213]
	v_div_scale_f64 v[212:213], vcc, 1.0, v[208:209], 1.0
	v_mul_f64 v[214:215], v[212:213], v[210:211]
	v_fma_f64 v[204:205], -v[204:205], v[214:215], v[212:213]
	s_nop 1
	v_div_fmas_f64 v[204:205], v[204:205], v[210:211], v[214:215]
	v_div_fixup_f64 v[204:205], v[204:205], v[208:209], 1.0
	v_mul_f64 v[206:207], v[206:207], -v[204:205]
.LBB117_70:
	s_or_b64 exec, exec, s[2:3]
	ds_write2_b64 v201, v[204:205], v[206:207] offset1:1
.LBB117_71:
	s_or_b64 exec, exec, s[4:5]
	s_waitcnt lgkmcnt(0)
	s_barrier
	ds_read2_b64 v[192:195], v201 offset1:1
	v_cmp_lt_u32_e32 vcc, 7, v200
	s_waitcnt lgkmcnt(0)
	scratch_store_dwordx4 off, v[192:195], off offset:728 ; 16-byte Folded Spill
	s_and_saveexec_b64 s[2:3], vcc
	s_cbranch_execz .LBB117_73
; %bb.72:
	scratch_load_dwordx4 v[210:213], off, off offset:16 ; 16-byte Folded Reload
	scratch_load_dwordx4 v[192:195], off, off offset:728 ; 16-byte Folded Reload
	s_waitcnt vmcnt(0)
	v_mul_f64 v[204:205], v[194:195], v[212:213]
	v_mul_f64 v[212:213], v[192:193], v[212:213]
	v_fma_f64 v[208:209], v[192:193], v[210:211], -v[204:205]
	v_fmac_f64_e32 v[212:213], v[194:195], v[210:211]
	scratch_load_dwordx4 v[192:195], off, off ; 16-byte Folded Reload
	ds_read2_b64 v[204:207], v202 offset0:16 offset1:17
	s_waitcnt lgkmcnt(0)
	v_mul_f64 v[210:211], v[206:207], v[212:213]
	v_fma_f64 v[210:211], v[204:205], v[208:209], -v[210:211]
	v_mul_f64 v[204:205], v[204:205], v[212:213]
	v_fmac_f64_e32 v[204:205], v[206:207], v[208:209]
	v_add_f64 v[198:199], v[198:199], -v[204:205]
	ds_read2_b64 v[204:207], v202 offset0:18 offset1:19
	v_add_f64 v[196:197], v[196:197], -v[210:211]
	s_waitcnt lgkmcnt(0)
	v_mul_f64 v[210:211], v[206:207], v[212:213]
	v_fma_f64 v[210:211], v[204:205], v[208:209], -v[210:211]
	v_mul_f64 v[204:205], v[204:205], v[212:213]
	v_fmac_f64_e32 v[204:205], v[206:207], v[208:209]
	s_waitcnt vmcnt(0)
	v_add_f64 v[194:195], v[194:195], -v[204:205]
	ds_read2_b64 v[204:207], v202 offset0:20 offset1:21
	v_add_f64 v[192:193], v[192:193], -v[210:211]
	scratch_store_dwordx4 off, v[192:195], off ; 16-byte Folded Spill
	s_waitcnt lgkmcnt(0)
	v_mul_f64 v[210:211], v[206:207], v[212:213]
	v_fma_f64 v[210:211], v[204:205], v[208:209], -v[210:211]
	v_mul_f64 v[204:205], v[204:205], v[212:213]
	v_fmac_f64_e32 v[204:205], v[206:207], v[208:209]
	v_add_f64 v[190:191], v[190:191], -v[204:205]
	ds_read2_b64 v[204:207], v202 offset0:22 offset1:23
	v_add_f64 v[188:189], v[188:189], -v[210:211]
	s_waitcnt lgkmcnt(0)
	v_mul_f64 v[210:211], v[206:207], v[212:213]
	v_fma_f64 v[210:211], v[204:205], v[208:209], -v[210:211]
	v_mul_f64 v[204:205], v[204:205], v[212:213]
	v_fmac_f64_e32 v[204:205], v[206:207], v[208:209]
	v_add_f64 v[186:187], v[186:187], -v[204:205]
	ds_read2_b64 v[204:207], v202 offset0:24 offset1:25
	v_add_f64 v[184:185], v[184:185], -v[210:211]
	;; [unrolled: 8-line block ×48, first 2 shown]
	s_waitcnt lgkmcnt(0)
	v_mul_f64 v[210:211], v[206:207], v[212:213]
	v_fma_f64 v[210:211], v[204:205], v[208:209], -v[210:211]
	v_mul_f64 v[204:205], v[204:205], v[212:213]
	v_fmac_f64_e32 v[204:205], v[206:207], v[208:209]
	v_add_f64 v[232:233], v[232:233], -v[210:211]
	v_add_f64 v[234:235], v[234:235], -v[204:205]
	v_mov_b64_e32 v[210:211], v[208:209]
	scratch_store_dwordx4 off, v[210:213], off offset:16 ; 16-byte Folded Spill
.LBB117_73:
	s_or_b64 exec, exec, s[2:3]
	v_cmp_eq_u32_e32 vcc, 8, v200
	s_waitcnt vmcnt(63) expcnt(7) lgkmcnt(15)
	s_barrier
	s_and_saveexec_b64 s[4:5], vcc
	s_cbranch_execz .LBB117_80
; %bb.74:
	scratch_load_dwordx4 v[192:195], off, off ; 16-byte Folded Reload
	ds_write2_b64 v201, v[196:197], v[198:199] offset1:1
	s_waitcnt vmcnt(0)
	ds_write2_b64 v202, v[192:193], v[194:195] offset0:18 offset1:19
	ds_write2_b64 v202, v[188:189], v[190:191] offset0:20 offset1:21
	ds_write2_b64 v202, v[184:185], v[186:187] offset0:22 offset1:23
	ds_write2_b64 v202, v[180:181], v[182:183] offset0:24 offset1:25
	ds_write2_b64 v202, v[176:177], v[178:179] offset0:26 offset1:27
	ds_write2_b64 v202, v[172:173], v[174:175] offset0:28 offset1:29
	ds_write2_b64 v202, v[168:169], v[170:171] offset0:30 offset1:31
	ds_write2_b64 v202, v[164:165], v[166:167] offset0:32 offset1:33
	ds_write2_b64 v202, v[160:161], v[162:163] offset0:34 offset1:35
	ds_write2_b64 v202, v[156:157], v[158:159] offset0:36 offset1:37
	ds_write2_b64 v202, v[152:153], v[154:155] offset0:38 offset1:39
	ds_write2_b64 v202, v[148:149], v[150:151] offset0:40 offset1:41
	ds_write2_b64 v202, v[144:145], v[146:147] offset0:42 offset1:43
	ds_write2_b64 v202, v[140:141], v[142:143] offset0:44 offset1:45
	ds_write2_b64 v202, v[136:137], v[138:139] offset0:46 offset1:47
	ds_write2_b64 v202, v[132:133], v[134:135] offset0:48 offset1:49
	ds_write2_b64 v202, v[128:129], v[130:131] offset0:50 offset1:51
	ds_write2_b64 v202, v[124:125], v[126:127] offset0:52 offset1:53
	ds_write2_b64 v202, v[120:121], v[122:123] offset0:54 offset1:55
	ds_write2_b64 v202, v[116:117], v[118:119] offset0:56 offset1:57
	ds_write2_b64 v202, v[112:113], v[114:115] offset0:58 offset1:59
	ds_write2_b64 v202, v[108:109], v[110:111] offset0:60 offset1:61
	ds_write2_b64 v202, v[104:105], v[106:107] offset0:62 offset1:63
	ds_write2_b64 v202, v[100:101], v[102:103] offset0:64 offset1:65
	ds_write2_b64 v202, v[96:97], v[98:99] offset0:66 offset1:67
	ds_write2_b64 v202, v[92:93], v[94:95] offset0:68 offset1:69
	ds_write2_b64 v202, v[88:89], v[90:91] offset0:70 offset1:71
	ds_write2_b64 v202, v[84:85], v[86:87] offset0:72 offset1:73
	ds_write2_b64 v202, v[80:81], v[82:83] offset0:74 offset1:75
	ds_write2_b64 v202, v[76:77], v[78:79] offset0:76 offset1:77
	ds_write2_b64 v202, v[72:73], v[74:75] offset0:78 offset1:79
	ds_write2_b64 v202, v[68:69], v[70:71] offset0:80 offset1:81
	ds_write2_b64 v202, v[64:65], v[66:67] offset0:82 offset1:83
	ds_write2_b64 v202, v[60:61], v[62:63] offset0:84 offset1:85
	ds_write2_b64 v202, v[56:57], v[58:59] offset0:86 offset1:87
	ds_write2_b64 v202, v[52:53], v[54:55] offset0:88 offset1:89
	ds_write2_b64 v202, v[48:49], v[50:51] offset0:90 offset1:91
	ds_write2_b64 v202, v[44:45], v[46:47] offset0:92 offset1:93
	ds_write2_b64 v202, v[40:41], v[42:43] offset0:94 offset1:95
	ds_write2_b64 v202, v[36:37], v[38:39] offset0:96 offset1:97
	ds_write2_b64 v202, v[32:33], v[34:35] offset0:98 offset1:99
	ds_write2_b64 v202, v[28:29], v[30:31] offset0:100 offset1:101
	ds_write2_b64 v202, v[24:25], v[26:27] offset0:102 offset1:103
	ds_write2_b64 v202, v[20:21], v[22:23] offset0:104 offset1:105
	ds_write2_b64 v202, v[16:17], v[18:19] offset0:106 offset1:107
	ds_write2_b64 v202, v[12:13], v[14:15] offset0:108 offset1:109
	ds_write2_b64 v202, v[8:9], v[10:11] offset0:110 offset1:111
	ds_write2_b64 v202, v[4:5], v[6:7] offset0:112 offset1:113
	ds_write2_b64 v202, v[0:1], v[2:3] offset0:114 offset1:115
	ds_write2_b64 v202, v[232:233], v[234:235] offset0:116 offset1:117
	ds_read2_b64 v[208:211], v201 offset1:1
	s_waitcnt lgkmcnt(0)
	v_cmp_neq_f64_e32 vcc, 0, v[208:209]
	v_cmp_neq_f64_e64 s[2:3], 0, v[210:211]
	s_or_b64 s[2:3], vcc, s[2:3]
	s_and_b64 exec, exec, s[2:3]
	s_cbranch_execz .LBB117_80
; %bb.75:
	v_cmp_ngt_f64_e64 s[2:3], |v[208:209]|, |v[210:211]|
                                        ; implicit-def: $vgpr204_vgpr205
	s_and_saveexec_b64 s[10:11], s[2:3]
	s_xor_b64 s[2:3], exec, s[10:11]
                                        ; implicit-def: $vgpr206_vgpr207
	s_cbranch_execz .LBB117_77
; %bb.76:
	v_div_scale_f64 v[204:205], s[10:11], v[210:211], v[210:211], v[208:209]
	v_rcp_f64_e32 v[206:207], v[204:205]
	v_div_scale_f64 v[212:213], vcc, v[208:209], v[210:211], v[208:209]
	v_fma_f64 v[214:215], -v[204:205], v[206:207], 1.0
	v_fmac_f64_e32 v[206:207], v[206:207], v[214:215]
	v_fma_f64 v[214:215], -v[204:205], v[206:207], 1.0
	v_fmac_f64_e32 v[206:207], v[206:207], v[214:215]
	v_mul_f64 v[214:215], v[212:213], v[206:207]
	v_fma_f64 v[204:205], -v[204:205], v[214:215], v[212:213]
	v_div_fmas_f64 v[204:205], v[204:205], v[206:207], v[214:215]
	v_div_fixup_f64 v[204:205], v[204:205], v[210:211], v[208:209]
	v_fmac_f64_e32 v[210:211], v[208:209], v[204:205]
	v_div_scale_f64 v[206:207], s[10:11], v[210:211], v[210:211], 1.0
	v_rcp_f64_e32 v[208:209], v[206:207]
	s_nop 0
	v_fma_f64 v[212:213], -v[206:207], v[208:209], 1.0
	v_fmac_f64_e32 v[208:209], v[208:209], v[212:213]
	v_fma_f64 v[212:213], -v[206:207], v[208:209], 1.0
	v_fmac_f64_e32 v[208:209], v[208:209], v[212:213]
	v_div_scale_f64 v[212:213], vcc, 1.0, v[210:211], 1.0
	v_mul_f64 v[214:215], v[212:213], v[208:209]
	v_fma_f64 v[206:207], -v[206:207], v[214:215], v[212:213]
	s_nop 1
	v_div_fmas_f64 v[206:207], v[206:207], v[208:209], v[214:215]
	v_div_fixup_f64 v[206:207], v[206:207], v[210:211], 1.0
	v_mul_f64 v[204:205], v[204:205], v[206:207]
	v_xor_b32_e32 v207, 0x80000000, v207
                                        ; implicit-def: $vgpr208_vgpr209
.LBB117_77:
	s_andn2_saveexec_b64 s[2:3], s[2:3]
	s_cbranch_execz .LBB117_79
; %bb.78:
	v_div_scale_f64 v[204:205], s[10:11], v[208:209], v[208:209], v[210:211]
	v_rcp_f64_e32 v[206:207], v[204:205]
	v_div_scale_f64 v[212:213], vcc, v[210:211], v[208:209], v[210:211]
	v_fma_f64 v[214:215], -v[204:205], v[206:207], 1.0
	v_fmac_f64_e32 v[206:207], v[206:207], v[214:215]
	v_fma_f64 v[214:215], -v[204:205], v[206:207], 1.0
	v_fmac_f64_e32 v[206:207], v[206:207], v[214:215]
	v_mul_f64 v[214:215], v[212:213], v[206:207]
	v_fma_f64 v[204:205], -v[204:205], v[214:215], v[212:213]
	v_div_fmas_f64 v[204:205], v[204:205], v[206:207], v[214:215]
	v_div_fixup_f64 v[206:207], v[204:205], v[208:209], v[210:211]
	v_fmac_f64_e32 v[208:209], v[210:211], v[206:207]
	v_div_scale_f64 v[204:205], s[10:11], v[208:209], v[208:209], 1.0
	v_rcp_f64_e32 v[210:211], v[204:205]
	s_nop 0
	v_fma_f64 v[212:213], -v[204:205], v[210:211], 1.0
	v_fmac_f64_e32 v[210:211], v[210:211], v[212:213]
	v_fma_f64 v[212:213], -v[204:205], v[210:211], 1.0
	v_fmac_f64_e32 v[210:211], v[210:211], v[212:213]
	v_div_scale_f64 v[212:213], vcc, 1.0, v[208:209], 1.0
	v_mul_f64 v[214:215], v[212:213], v[210:211]
	v_fma_f64 v[204:205], -v[204:205], v[214:215], v[212:213]
	s_nop 1
	v_div_fmas_f64 v[204:205], v[204:205], v[210:211], v[214:215]
	v_div_fixup_f64 v[204:205], v[204:205], v[208:209], 1.0
	v_mul_f64 v[206:207], v[206:207], -v[204:205]
.LBB117_79:
	s_or_b64 exec, exec, s[2:3]
	ds_write2_b64 v201, v[204:205], v[206:207] offset1:1
.LBB117_80:
	s_or_b64 exec, exec, s[4:5]
	s_waitcnt lgkmcnt(0)
	s_barrier
	ds_read2_b64 v[192:195], v201 offset1:1
	v_cmp_lt_u32_e32 vcc, 8, v200
	s_waitcnt lgkmcnt(0)
	scratch_store_dwordx4 off, v[192:195], off offset:744 ; 16-byte Folded Spill
	s_and_saveexec_b64 s[2:3], vcc
	s_cbranch_execz .LBB117_82
; %bb.81:
	scratch_load_dwordx4 v[192:195], off, off offset:744 ; 16-byte Folded Reload
	s_waitcnt vmcnt(0)
	v_mul_f64 v[204:205], v[194:195], v[198:199]
	v_mul_f64 v[198:199], v[192:193], v[198:199]
	v_fma_f64 v[208:209], v[192:193], v[196:197], -v[204:205]
	v_fmac_f64_e32 v[198:199], v[194:195], v[196:197]
	scratch_load_dwordx4 v[192:195], off, off ; 16-byte Folded Reload
	ds_read2_b64 v[204:207], v202 offset0:18 offset1:19
	s_waitcnt lgkmcnt(0)
	v_mul_f64 v[196:197], v[206:207], v[198:199]
	v_fma_f64 v[196:197], v[204:205], v[208:209], -v[196:197]
	v_mul_f64 v[204:205], v[204:205], v[198:199]
	v_fmac_f64_e32 v[204:205], v[206:207], v[208:209]
	s_waitcnt vmcnt(0)
	v_add_f64 v[194:195], v[194:195], -v[204:205]
	ds_read2_b64 v[204:207], v202 offset0:20 offset1:21
	v_add_f64 v[192:193], v[192:193], -v[196:197]
	scratch_store_dwordx4 off, v[192:195], off ; 16-byte Folded Spill
	s_waitcnt lgkmcnt(0)
	v_mul_f64 v[196:197], v[206:207], v[198:199]
	v_fma_f64 v[196:197], v[204:205], v[208:209], -v[196:197]
	v_mul_f64 v[204:205], v[204:205], v[198:199]
	v_fmac_f64_e32 v[204:205], v[206:207], v[208:209]
	v_add_f64 v[190:191], v[190:191], -v[204:205]
	ds_read2_b64 v[204:207], v202 offset0:22 offset1:23
	v_add_f64 v[188:189], v[188:189], -v[196:197]
	s_waitcnt lgkmcnt(0)
	v_mul_f64 v[196:197], v[206:207], v[198:199]
	v_fma_f64 v[196:197], v[204:205], v[208:209], -v[196:197]
	v_mul_f64 v[204:205], v[204:205], v[198:199]
	v_fmac_f64_e32 v[204:205], v[206:207], v[208:209]
	v_add_f64 v[186:187], v[186:187], -v[204:205]
	ds_read2_b64 v[204:207], v202 offset0:24 offset1:25
	v_add_f64 v[184:185], v[184:185], -v[196:197]
	;; [unrolled: 8-line block ×48, first 2 shown]
	s_waitcnt lgkmcnt(0)
	v_mul_f64 v[196:197], v[206:207], v[198:199]
	v_fma_f64 v[196:197], v[204:205], v[208:209], -v[196:197]
	v_mul_f64 v[204:205], v[204:205], v[198:199]
	v_fmac_f64_e32 v[204:205], v[206:207], v[208:209]
	v_add_f64 v[232:233], v[232:233], -v[196:197]
	v_add_f64 v[234:235], v[234:235], -v[204:205]
	v_mov_b64_e32 v[196:197], v[208:209]
.LBB117_82:
	s_or_b64 exec, exec, s[2:3]
	v_cmp_eq_u32_e32 vcc, 9, v200
	s_waitcnt vmcnt(63) expcnt(7) lgkmcnt(15)
	s_barrier
	s_and_saveexec_b64 s[4:5], vcc
	s_cbranch_execz .LBB117_89
; %bb.83:
	scratch_load_dwordx4 v[192:195], off, off ; 16-byte Folded Reload
	s_waitcnt vmcnt(0)
	ds_write2_b64 v201, v[192:193], v[194:195] offset1:1
	ds_write2_b64 v202, v[188:189], v[190:191] offset0:20 offset1:21
	ds_write2_b64 v202, v[184:185], v[186:187] offset0:22 offset1:23
	ds_write2_b64 v202, v[180:181], v[182:183] offset0:24 offset1:25
	ds_write2_b64 v202, v[176:177], v[178:179] offset0:26 offset1:27
	ds_write2_b64 v202, v[172:173], v[174:175] offset0:28 offset1:29
	ds_write2_b64 v202, v[168:169], v[170:171] offset0:30 offset1:31
	ds_write2_b64 v202, v[164:165], v[166:167] offset0:32 offset1:33
	ds_write2_b64 v202, v[160:161], v[162:163] offset0:34 offset1:35
	ds_write2_b64 v202, v[156:157], v[158:159] offset0:36 offset1:37
	ds_write2_b64 v202, v[152:153], v[154:155] offset0:38 offset1:39
	ds_write2_b64 v202, v[148:149], v[150:151] offset0:40 offset1:41
	ds_write2_b64 v202, v[144:145], v[146:147] offset0:42 offset1:43
	ds_write2_b64 v202, v[140:141], v[142:143] offset0:44 offset1:45
	ds_write2_b64 v202, v[136:137], v[138:139] offset0:46 offset1:47
	ds_write2_b64 v202, v[132:133], v[134:135] offset0:48 offset1:49
	ds_write2_b64 v202, v[128:129], v[130:131] offset0:50 offset1:51
	ds_write2_b64 v202, v[124:125], v[126:127] offset0:52 offset1:53
	ds_write2_b64 v202, v[120:121], v[122:123] offset0:54 offset1:55
	ds_write2_b64 v202, v[116:117], v[118:119] offset0:56 offset1:57
	ds_write2_b64 v202, v[112:113], v[114:115] offset0:58 offset1:59
	ds_write2_b64 v202, v[108:109], v[110:111] offset0:60 offset1:61
	ds_write2_b64 v202, v[104:105], v[106:107] offset0:62 offset1:63
	ds_write2_b64 v202, v[100:101], v[102:103] offset0:64 offset1:65
	ds_write2_b64 v202, v[96:97], v[98:99] offset0:66 offset1:67
	ds_write2_b64 v202, v[92:93], v[94:95] offset0:68 offset1:69
	ds_write2_b64 v202, v[88:89], v[90:91] offset0:70 offset1:71
	ds_write2_b64 v202, v[84:85], v[86:87] offset0:72 offset1:73
	ds_write2_b64 v202, v[80:81], v[82:83] offset0:74 offset1:75
	ds_write2_b64 v202, v[76:77], v[78:79] offset0:76 offset1:77
	ds_write2_b64 v202, v[72:73], v[74:75] offset0:78 offset1:79
	ds_write2_b64 v202, v[68:69], v[70:71] offset0:80 offset1:81
	ds_write2_b64 v202, v[64:65], v[66:67] offset0:82 offset1:83
	ds_write2_b64 v202, v[60:61], v[62:63] offset0:84 offset1:85
	ds_write2_b64 v202, v[56:57], v[58:59] offset0:86 offset1:87
	ds_write2_b64 v202, v[52:53], v[54:55] offset0:88 offset1:89
	ds_write2_b64 v202, v[48:49], v[50:51] offset0:90 offset1:91
	ds_write2_b64 v202, v[44:45], v[46:47] offset0:92 offset1:93
	ds_write2_b64 v202, v[40:41], v[42:43] offset0:94 offset1:95
	ds_write2_b64 v202, v[36:37], v[38:39] offset0:96 offset1:97
	ds_write2_b64 v202, v[32:33], v[34:35] offset0:98 offset1:99
	ds_write2_b64 v202, v[28:29], v[30:31] offset0:100 offset1:101
	ds_write2_b64 v202, v[24:25], v[26:27] offset0:102 offset1:103
	ds_write2_b64 v202, v[20:21], v[22:23] offset0:104 offset1:105
	ds_write2_b64 v202, v[16:17], v[18:19] offset0:106 offset1:107
	ds_write2_b64 v202, v[12:13], v[14:15] offset0:108 offset1:109
	ds_write2_b64 v202, v[8:9], v[10:11] offset0:110 offset1:111
	ds_write2_b64 v202, v[4:5], v[6:7] offset0:112 offset1:113
	ds_write2_b64 v202, v[0:1], v[2:3] offset0:114 offset1:115
	ds_write2_b64 v202, v[232:233], v[234:235] offset0:116 offset1:117
	ds_read2_b64 v[208:211], v201 offset1:1
	s_waitcnt lgkmcnt(0)
	v_cmp_neq_f64_e32 vcc, 0, v[208:209]
	v_cmp_neq_f64_e64 s[2:3], 0, v[210:211]
	s_or_b64 s[2:3], vcc, s[2:3]
	s_and_b64 exec, exec, s[2:3]
	s_cbranch_execz .LBB117_89
; %bb.84:
	v_cmp_ngt_f64_e64 s[2:3], |v[208:209]|, |v[210:211]|
                                        ; implicit-def: $vgpr204_vgpr205
	s_and_saveexec_b64 s[10:11], s[2:3]
	s_xor_b64 s[2:3], exec, s[10:11]
                                        ; implicit-def: $vgpr206_vgpr207
	s_cbranch_execz .LBB117_86
; %bb.85:
	v_div_scale_f64 v[204:205], s[10:11], v[210:211], v[210:211], v[208:209]
	v_rcp_f64_e32 v[206:207], v[204:205]
	v_div_scale_f64 v[212:213], vcc, v[208:209], v[210:211], v[208:209]
	v_fma_f64 v[214:215], -v[204:205], v[206:207], 1.0
	v_fmac_f64_e32 v[206:207], v[206:207], v[214:215]
	v_fma_f64 v[214:215], -v[204:205], v[206:207], 1.0
	v_fmac_f64_e32 v[206:207], v[206:207], v[214:215]
	v_mul_f64 v[214:215], v[212:213], v[206:207]
	v_fma_f64 v[204:205], -v[204:205], v[214:215], v[212:213]
	v_div_fmas_f64 v[204:205], v[204:205], v[206:207], v[214:215]
	v_div_fixup_f64 v[204:205], v[204:205], v[210:211], v[208:209]
	v_fmac_f64_e32 v[210:211], v[208:209], v[204:205]
	v_div_scale_f64 v[206:207], s[10:11], v[210:211], v[210:211], 1.0
	v_rcp_f64_e32 v[208:209], v[206:207]
	s_nop 0
	v_fma_f64 v[212:213], -v[206:207], v[208:209], 1.0
	v_fmac_f64_e32 v[208:209], v[208:209], v[212:213]
	v_fma_f64 v[212:213], -v[206:207], v[208:209], 1.0
	v_fmac_f64_e32 v[208:209], v[208:209], v[212:213]
	v_div_scale_f64 v[212:213], vcc, 1.0, v[210:211], 1.0
	v_mul_f64 v[214:215], v[212:213], v[208:209]
	v_fma_f64 v[206:207], -v[206:207], v[214:215], v[212:213]
	s_nop 1
	v_div_fmas_f64 v[206:207], v[206:207], v[208:209], v[214:215]
	v_div_fixup_f64 v[206:207], v[206:207], v[210:211], 1.0
	v_mul_f64 v[204:205], v[204:205], v[206:207]
	v_xor_b32_e32 v207, 0x80000000, v207
                                        ; implicit-def: $vgpr208_vgpr209
.LBB117_86:
	s_andn2_saveexec_b64 s[2:3], s[2:3]
	s_cbranch_execz .LBB117_88
; %bb.87:
	v_div_scale_f64 v[204:205], s[10:11], v[208:209], v[208:209], v[210:211]
	v_rcp_f64_e32 v[206:207], v[204:205]
	v_div_scale_f64 v[212:213], vcc, v[210:211], v[208:209], v[210:211]
	v_fma_f64 v[214:215], -v[204:205], v[206:207], 1.0
	v_fmac_f64_e32 v[206:207], v[206:207], v[214:215]
	v_fma_f64 v[214:215], -v[204:205], v[206:207], 1.0
	v_fmac_f64_e32 v[206:207], v[206:207], v[214:215]
	v_mul_f64 v[214:215], v[212:213], v[206:207]
	v_fma_f64 v[204:205], -v[204:205], v[214:215], v[212:213]
	v_div_fmas_f64 v[204:205], v[204:205], v[206:207], v[214:215]
	v_div_fixup_f64 v[206:207], v[204:205], v[208:209], v[210:211]
	v_fmac_f64_e32 v[208:209], v[210:211], v[206:207]
	v_div_scale_f64 v[204:205], s[10:11], v[208:209], v[208:209], 1.0
	v_rcp_f64_e32 v[210:211], v[204:205]
	s_nop 0
	v_fma_f64 v[212:213], -v[204:205], v[210:211], 1.0
	v_fmac_f64_e32 v[210:211], v[210:211], v[212:213]
	v_fma_f64 v[212:213], -v[204:205], v[210:211], 1.0
	v_fmac_f64_e32 v[210:211], v[210:211], v[212:213]
	v_div_scale_f64 v[212:213], vcc, 1.0, v[208:209], 1.0
	v_mul_f64 v[214:215], v[212:213], v[210:211]
	v_fma_f64 v[204:205], -v[204:205], v[214:215], v[212:213]
	s_nop 1
	v_div_fmas_f64 v[204:205], v[204:205], v[210:211], v[214:215]
	v_div_fixup_f64 v[204:205], v[204:205], v[208:209], 1.0
	v_mul_f64 v[206:207], v[206:207], -v[204:205]
.LBB117_88:
	s_or_b64 exec, exec, s[2:3]
	ds_write2_b64 v201, v[204:205], v[206:207] offset1:1
.LBB117_89:
	s_or_b64 exec, exec, s[4:5]
	s_waitcnt lgkmcnt(0)
	s_barrier
	ds_read2_b64 v[192:195], v201 offset1:1
	v_cmp_lt_u32_e32 vcc, 9, v200
	s_waitcnt lgkmcnt(0)
	scratch_store_dwordx4 off, v[192:195], off offset:760 ; 16-byte Folded Spill
	s_and_saveexec_b64 s[2:3], vcc
	s_cbranch_execz .LBB117_91
; %bb.90:
	scratch_load_dwordx4 v[192:195], off, off ; 16-byte Folded Reload
	scratch_load_dwordx4 v[210:213], off, off offset:760 ; 16-byte Folded Reload
	s_waitcnt vmcnt(0)
	v_mul_f64 v[204:205], v[212:213], v[194:195]
	v_fma_f64 v[208:209], v[210:211], v[192:193], -v[204:205]
	ds_read2_b64 v[204:207], v202 offset0:20 offset1:21
	v_mul_f64 v[194:195], v[210:211], v[194:195]
	v_fmac_f64_e32 v[194:195], v[212:213], v[192:193]
	s_waitcnt lgkmcnt(0)
	v_mul_f64 v[192:193], v[206:207], v[194:195]
	v_fma_f64 v[192:193], v[204:205], v[208:209], -v[192:193]
	v_mul_f64 v[204:205], v[204:205], v[194:195]
	v_fmac_f64_e32 v[204:205], v[206:207], v[208:209]
	v_add_f64 v[190:191], v[190:191], -v[204:205]
	ds_read2_b64 v[204:207], v202 offset0:22 offset1:23
	v_add_f64 v[188:189], v[188:189], -v[192:193]
	s_waitcnt lgkmcnt(0)
	v_mul_f64 v[192:193], v[206:207], v[194:195]
	v_fma_f64 v[192:193], v[204:205], v[208:209], -v[192:193]
	v_mul_f64 v[204:205], v[204:205], v[194:195]
	v_fmac_f64_e32 v[204:205], v[206:207], v[208:209]
	v_add_f64 v[186:187], v[186:187], -v[204:205]
	ds_read2_b64 v[204:207], v202 offset0:24 offset1:25
	v_add_f64 v[184:185], v[184:185], -v[192:193]
	;; [unrolled: 8-line block ×48, first 2 shown]
	s_waitcnt lgkmcnt(0)
	v_mul_f64 v[192:193], v[206:207], v[194:195]
	v_fma_f64 v[192:193], v[204:205], v[208:209], -v[192:193]
	v_mul_f64 v[204:205], v[204:205], v[194:195]
	v_fmac_f64_e32 v[204:205], v[206:207], v[208:209]
	v_add_f64 v[232:233], v[232:233], -v[192:193]
	v_add_f64 v[234:235], v[234:235], -v[204:205]
	v_mov_b64_e32 v[192:193], v[208:209]
	scratch_store_dwordx4 off, v[192:195], off ; 16-byte Folded Spill
.LBB117_91:
	s_or_b64 exec, exec, s[2:3]
	v_cmp_eq_u32_e32 vcc, 10, v200
	s_waitcnt vmcnt(63) expcnt(7) lgkmcnt(15)
	s_barrier
	s_and_saveexec_b64 s[4:5], vcc
	s_cbranch_execz .LBB117_98
; %bb.92:
	ds_write2_b64 v201, v[188:189], v[190:191] offset1:1
	ds_write2_b64 v202, v[184:185], v[186:187] offset0:22 offset1:23
	ds_write2_b64 v202, v[180:181], v[182:183] offset0:24 offset1:25
	;; [unrolled: 1-line block ×29, first 2 shown]
	s_waitcnt vmcnt(42)
	ds_write2_b64 v202, v[68:69], v[70:71] offset0:80 offset1:81
	s_waitcnt vmcnt(41)
	ds_write2_b64 v202, v[64:65], v[66:67] offset0:82 offset1:83
	s_waitcnt vmcnt(40)
	ds_write2_b64 v202, v[60:61], v[62:63] offset0:84 offset1:85
	s_waitcnt vmcnt(39)
	ds_write2_b64 v202, v[56:57], v[58:59] offset0:86 offset1:87
	s_waitcnt vmcnt(38)
	ds_write2_b64 v202, v[52:53], v[54:55] offset0:88 offset1:89
	s_waitcnt vmcnt(37)
	ds_write2_b64 v202, v[48:49], v[50:51] offset0:90 offset1:91
	s_waitcnt vmcnt(36)
	ds_write2_b64 v202, v[44:45], v[46:47] offset0:92 offset1:93
	s_waitcnt vmcnt(35)
	ds_write2_b64 v202, v[40:41], v[42:43] offset0:94 offset1:95
	s_waitcnt vmcnt(34)
	ds_write2_b64 v202, v[36:37], v[38:39] offset0:96 offset1:97
	s_waitcnt vmcnt(33)
	ds_write2_b64 v202, v[32:33], v[34:35] offset0:98 offset1:99
	s_waitcnt vmcnt(32)
	ds_write2_b64 v202, v[28:29], v[30:31] offset0:100 offset1:101
	s_waitcnt vmcnt(31)
	ds_write2_b64 v202, v[24:25], v[26:27] offset0:102 offset1:103
	ds_write2_b64 v202, v[20:21], v[22:23] offset0:104 offset1:105
	ds_write2_b64 v202, v[16:17], v[18:19] offset0:106 offset1:107
	;; [unrolled: 1-line block ×5, first 2 shown]
	s_waitcnt vmcnt(30)
	ds_write2_b64 v202, v[0:1], v[2:3] offset0:114 offset1:115
	s_waitcnt vmcnt(27)
	ds_write2_b64 v202, v[232:233], v[234:235] offset0:116 offset1:117
	ds_read2_b64 v[208:211], v201 offset1:1
	s_waitcnt lgkmcnt(0)
	v_cmp_neq_f64_e32 vcc, 0, v[208:209]
	v_cmp_neq_f64_e64 s[2:3], 0, v[210:211]
	s_or_b64 s[2:3], vcc, s[2:3]
	s_and_b64 exec, exec, s[2:3]
	s_cbranch_execz .LBB117_98
; %bb.93:
	v_cmp_ngt_f64_e64 s[2:3], |v[208:209]|, |v[210:211]|
                                        ; implicit-def: $vgpr204_vgpr205
	s_and_saveexec_b64 s[10:11], s[2:3]
	s_xor_b64 s[2:3], exec, s[10:11]
                                        ; implicit-def: $vgpr206_vgpr207
	s_cbranch_execz .LBB117_95
; %bb.94:
	v_div_scale_f64 v[204:205], s[10:11], v[210:211], v[210:211], v[208:209]
	v_rcp_f64_e32 v[206:207], v[204:205]
	v_div_scale_f64 v[212:213], vcc, v[208:209], v[210:211], v[208:209]
	v_fma_f64 v[214:215], -v[204:205], v[206:207], 1.0
	v_fmac_f64_e32 v[206:207], v[206:207], v[214:215]
	v_fma_f64 v[214:215], -v[204:205], v[206:207], 1.0
	v_fmac_f64_e32 v[206:207], v[206:207], v[214:215]
	v_mul_f64 v[214:215], v[212:213], v[206:207]
	v_fma_f64 v[204:205], -v[204:205], v[214:215], v[212:213]
	v_div_fmas_f64 v[204:205], v[204:205], v[206:207], v[214:215]
	v_div_fixup_f64 v[204:205], v[204:205], v[210:211], v[208:209]
	v_fmac_f64_e32 v[210:211], v[208:209], v[204:205]
	v_div_scale_f64 v[206:207], s[10:11], v[210:211], v[210:211], 1.0
	v_rcp_f64_e32 v[208:209], v[206:207]
	s_nop 0
	v_fma_f64 v[212:213], -v[206:207], v[208:209], 1.0
	v_fmac_f64_e32 v[208:209], v[208:209], v[212:213]
	v_fma_f64 v[212:213], -v[206:207], v[208:209], 1.0
	v_fmac_f64_e32 v[208:209], v[208:209], v[212:213]
	v_div_scale_f64 v[212:213], vcc, 1.0, v[210:211], 1.0
	v_mul_f64 v[214:215], v[212:213], v[208:209]
	v_fma_f64 v[206:207], -v[206:207], v[214:215], v[212:213]
	s_nop 1
	v_div_fmas_f64 v[206:207], v[206:207], v[208:209], v[214:215]
	v_div_fixup_f64 v[206:207], v[206:207], v[210:211], 1.0
	v_mul_f64 v[204:205], v[204:205], v[206:207]
	v_xor_b32_e32 v207, 0x80000000, v207
                                        ; implicit-def: $vgpr208_vgpr209
.LBB117_95:
	s_andn2_saveexec_b64 s[2:3], s[2:3]
	s_cbranch_execz .LBB117_97
; %bb.96:
	v_div_scale_f64 v[204:205], s[10:11], v[208:209], v[208:209], v[210:211]
	v_rcp_f64_e32 v[206:207], v[204:205]
	v_div_scale_f64 v[212:213], vcc, v[210:211], v[208:209], v[210:211]
	v_fma_f64 v[214:215], -v[204:205], v[206:207], 1.0
	v_fmac_f64_e32 v[206:207], v[206:207], v[214:215]
	v_fma_f64 v[214:215], -v[204:205], v[206:207], 1.0
	v_fmac_f64_e32 v[206:207], v[206:207], v[214:215]
	v_mul_f64 v[214:215], v[212:213], v[206:207]
	v_fma_f64 v[204:205], -v[204:205], v[214:215], v[212:213]
	v_div_fmas_f64 v[204:205], v[204:205], v[206:207], v[214:215]
	v_div_fixup_f64 v[206:207], v[204:205], v[208:209], v[210:211]
	v_fmac_f64_e32 v[208:209], v[210:211], v[206:207]
	v_div_scale_f64 v[204:205], s[10:11], v[208:209], v[208:209], 1.0
	v_rcp_f64_e32 v[210:211], v[204:205]
	s_nop 0
	v_fma_f64 v[212:213], -v[204:205], v[210:211], 1.0
	v_fmac_f64_e32 v[210:211], v[210:211], v[212:213]
	v_fma_f64 v[212:213], -v[204:205], v[210:211], 1.0
	v_fmac_f64_e32 v[210:211], v[210:211], v[212:213]
	v_div_scale_f64 v[212:213], vcc, 1.0, v[208:209], 1.0
	v_mul_f64 v[214:215], v[212:213], v[210:211]
	v_fma_f64 v[204:205], -v[204:205], v[214:215], v[212:213]
	s_nop 1
	v_div_fmas_f64 v[204:205], v[204:205], v[210:211], v[214:215]
	v_div_fixup_f64 v[204:205], v[204:205], v[208:209], 1.0
	v_mul_f64 v[206:207], v[206:207], -v[204:205]
.LBB117_97:
	s_or_b64 exec, exec, s[2:3]
	ds_write2_b64 v201, v[204:205], v[206:207] offset1:1
.LBB117_98:
	s_or_b64 exec, exec, s[4:5]
	s_waitcnt lgkmcnt(0)
	s_barrier
	ds_read2_b64 v[192:195], v201 offset1:1
	v_cmp_lt_u32_e32 vcc, 10, v200
	s_waitcnt lgkmcnt(0)
	scratch_store_dwordx4 off, v[192:195], off offset:776 ; 16-byte Folded Spill
	s_and_saveexec_b64 s[2:3], vcc
	s_cbranch_execz .LBB117_100
; %bb.99:
	scratch_load_dwordx4 v[192:195], off, off offset:776 ; 16-byte Folded Reload
	s_waitcnt vmcnt(0)
	v_mul_f64 v[204:205], v[194:195], v[190:191]
	v_fma_f64 v[208:209], v[192:193], v[188:189], -v[204:205]
	ds_read2_b64 v[204:207], v202 offset0:22 offset1:23
	v_mul_f64 v[190:191], v[192:193], v[190:191]
	v_fmac_f64_e32 v[190:191], v[194:195], v[188:189]
	s_waitcnt lgkmcnt(0)
	v_mul_f64 v[188:189], v[206:207], v[190:191]
	v_fma_f64 v[188:189], v[204:205], v[208:209], -v[188:189]
	v_mul_f64 v[204:205], v[204:205], v[190:191]
	v_fmac_f64_e32 v[204:205], v[206:207], v[208:209]
	v_add_f64 v[186:187], v[186:187], -v[204:205]
	ds_read2_b64 v[204:207], v202 offset0:24 offset1:25
	v_add_f64 v[184:185], v[184:185], -v[188:189]
	s_waitcnt lgkmcnt(0)
	v_mul_f64 v[188:189], v[206:207], v[190:191]
	v_fma_f64 v[188:189], v[204:205], v[208:209], -v[188:189]
	v_mul_f64 v[204:205], v[204:205], v[190:191]
	v_fmac_f64_e32 v[204:205], v[206:207], v[208:209]
	v_add_f64 v[182:183], v[182:183], -v[204:205]
	ds_read2_b64 v[204:207], v202 offset0:26 offset1:27
	v_add_f64 v[180:181], v[180:181], -v[188:189]
	;; [unrolled: 8-line block ×47, first 2 shown]
	s_waitcnt lgkmcnt(0)
	v_mul_f64 v[188:189], v[206:207], v[190:191]
	v_fma_f64 v[188:189], v[204:205], v[208:209], -v[188:189]
	v_mul_f64 v[204:205], v[204:205], v[190:191]
	v_fmac_f64_e32 v[204:205], v[206:207], v[208:209]
	v_add_f64 v[232:233], v[232:233], -v[188:189]
	v_add_f64 v[234:235], v[234:235], -v[204:205]
	v_mov_b64_e32 v[188:189], v[208:209]
.LBB117_100:
	s_or_b64 exec, exec, s[2:3]
	v_cmp_eq_u32_e32 vcc, 11, v200
	s_waitcnt vmcnt(63) expcnt(7) lgkmcnt(15)
	s_barrier
	s_and_saveexec_b64 s[4:5], vcc
	s_cbranch_execz .LBB117_107
; %bb.101:
	ds_write2_b64 v201, v[184:185], v[186:187] offset1:1
	ds_write2_b64 v202, v[180:181], v[182:183] offset0:24 offset1:25
	ds_write2_b64 v202, v[176:177], v[178:179] offset0:26 offset1:27
	;; [unrolled: 1-line block ×28, first 2 shown]
	s_waitcnt vmcnt(43)
	ds_write2_b64 v202, v[68:69], v[70:71] offset0:80 offset1:81
	s_waitcnt vmcnt(42)
	ds_write2_b64 v202, v[64:65], v[66:67] offset0:82 offset1:83
	;; [unrolled: 2-line block ×12, first 2 shown]
	ds_write2_b64 v202, v[20:21], v[22:23] offset0:104 offset1:105
	ds_write2_b64 v202, v[16:17], v[18:19] offset0:106 offset1:107
	;; [unrolled: 1-line block ×5, first 2 shown]
	s_waitcnt vmcnt(31)
	ds_write2_b64 v202, v[0:1], v[2:3] offset0:114 offset1:115
	s_waitcnt vmcnt(28)
	ds_write2_b64 v202, v[232:233], v[234:235] offset0:116 offset1:117
	ds_read2_b64 v[208:211], v201 offset1:1
	s_waitcnt lgkmcnt(0)
	v_cmp_neq_f64_e32 vcc, 0, v[208:209]
	v_cmp_neq_f64_e64 s[2:3], 0, v[210:211]
	s_or_b64 s[2:3], vcc, s[2:3]
	s_and_b64 exec, exec, s[2:3]
	s_cbranch_execz .LBB117_107
; %bb.102:
	v_cmp_ngt_f64_e64 s[2:3], |v[208:209]|, |v[210:211]|
                                        ; implicit-def: $vgpr204_vgpr205
	s_and_saveexec_b64 s[10:11], s[2:3]
	s_xor_b64 s[2:3], exec, s[10:11]
                                        ; implicit-def: $vgpr206_vgpr207
	s_cbranch_execz .LBB117_104
; %bb.103:
	v_div_scale_f64 v[204:205], s[10:11], v[210:211], v[210:211], v[208:209]
	v_rcp_f64_e32 v[206:207], v[204:205]
	v_div_scale_f64 v[212:213], vcc, v[208:209], v[210:211], v[208:209]
	v_fma_f64 v[214:215], -v[204:205], v[206:207], 1.0
	v_fmac_f64_e32 v[206:207], v[206:207], v[214:215]
	v_fma_f64 v[214:215], -v[204:205], v[206:207], 1.0
	v_fmac_f64_e32 v[206:207], v[206:207], v[214:215]
	v_mul_f64 v[214:215], v[212:213], v[206:207]
	v_fma_f64 v[204:205], -v[204:205], v[214:215], v[212:213]
	v_div_fmas_f64 v[204:205], v[204:205], v[206:207], v[214:215]
	v_div_fixup_f64 v[204:205], v[204:205], v[210:211], v[208:209]
	v_fmac_f64_e32 v[210:211], v[208:209], v[204:205]
	v_div_scale_f64 v[206:207], s[10:11], v[210:211], v[210:211], 1.0
	v_rcp_f64_e32 v[208:209], v[206:207]
	s_nop 0
	v_fma_f64 v[212:213], -v[206:207], v[208:209], 1.0
	v_fmac_f64_e32 v[208:209], v[208:209], v[212:213]
	v_fma_f64 v[212:213], -v[206:207], v[208:209], 1.0
	v_fmac_f64_e32 v[208:209], v[208:209], v[212:213]
	v_div_scale_f64 v[212:213], vcc, 1.0, v[210:211], 1.0
	v_mul_f64 v[214:215], v[212:213], v[208:209]
	v_fma_f64 v[206:207], -v[206:207], v[214:215], v[212:213]
	s_nop 1
	v_div_fmas_f64 v[206:207], v[206:207], v[208:209], v[214:215]
	v_div_fixup_f64 v[206:207], v[206:207], v[210:211], 1.0
	v_mul_f64 v[204:205], v[204:205], v[206:207]
	v_xor_b32_e32 v207, 0x80000000, v207
                                        ; implicit-def: $vgpr208_vgpr209
.LBB117_104:
	s_andn2_saveexec_b64 s[2:3], s[2:3]
	s_cbranch_execz .LBB117_106
; %bb.105:
	v_div_scale_f64 v[204:205], s[10:11], v[208:209], v[208:209], v[210:211]
	v_rcp_f64_e32 v[206:207], v[204:205]
	v_div_scale_f64 v[212:213], vcc, v[210:211], v[208:209], v[210:211]
	v_fma_f64 v[214:215], -v[204:205], v[206:207], 1.0
	v_fmac_f64_e32 v[206:207], v[206:207], v[214:215]
	v_fma_f64 v[214:215], -v[204:205], v[206:207], 1.0
	v_fmac_f64_e32 v[206:207], v[206:207], v[214:215]
	v_mul_f64 v[214:215], v[212:213], v[206:207]
	v_fma_f64 v[204:205], -v[204:205], v[214:215], v[212:213]
	v_div_fmas_f64 v[204:205], v[204:205], v[206:207], v[214:215]
	v_div_fixup_f64 v[206:207], v[204:205], v[208:209], v[210:211]
	v_fmac_f64_e32 v[208:209], v[210:211], v[206:207]
	v_div_scale_f64 v[204:205], s[10:11], v[208:209], v[208:209], 1.0
	v_rcp_f64_e32 v[210:211], v[204:205]
	s_nop 0
	v_fma_f64 v[212:213], -v[204:205], v[210:211], 1.0
	v_fmac_f64_e32 v[210:211], v[210:211], v[212:213]
	v_fma_f64 v[212:213], -v[204:205], v[210:211], 1.0
	v_fmac_f64_e32 v[210:211], v[210:211], v[212:213]
	v_div_scale_f64 v[212:213], vcc, 1.0, v[208:209], 1.0
	v_mul_f64 v[214:215], v[212:213], v[210:211]
	v_fma_f64 v[204:205], -v[204:205], v[214:215], v[212:213]
	s_nop 1
	v_div_fmas_f64 v[204:205], v[204:205], v[210:211], v[214:215]
	v_div_fixup_f64 v[204:205], v[204:205], v[208:209], 1.0
	v_mul_f64 v[206:207], v[206:207], -v[204:205]
.LBB117_106:
	s_or_b64 exec, exec, s[2:3]
	ds_write2_b64 v201, v[204:205], v[206:207] offset1:1
.LBB117_107:
	s_or_b64 exec, exec, s[4:5]
	s_waitcnt lgkmcnt(0)
	s_barrier
	ds_read2_b64 v[192:195], v201 offset1:1
	v_cmp_lt_u32_e32 vcc, 11, v200
	s_waitcnt lgkmcnt(0)
	scratch_store_dwordx4 off, v[192:195], off offset:792 ; 16-byte Folded Spill
	s_and_saveexec_b64 s[2:3], vcc
	s_cbranch_execz .LBB117_109
; %bb.108:
	scratch_load_dwordx4 v[192:195], off, off offset:792 ; 16-byte Folded Reload
	s_waitcnt vmcnt(0)
	v_mul_f64 v[204:205], v[194:195], v[186:187]
	v_fma_f64 v[208:209], v[192:193], v[184:185], -v[204:205]
	ds_read2_b64 v[204:207], v202 offset0:24 offset1:25
	v_mul_f64 v[186:187], v[192:193], v[186:187]
	v_fmac_f64_e32 v[186:187], v[194:195], v[184:185]
	s_waitcnt lgkmcnt(0)
	v_mul_f64 v[184:185], v[206:207], v[186:187]
	v_fma_f64 v[184:185], v[204:205], v[208:209], -v[184:185]
	v_mul_f64 v[204:205], v[204:205], v[186:187]
	v_fmac_f64_e32 v[204:205], v[206:207], v[208:209]
	v_add_f64 v[182:183], v[182:183], -v[204:205]
	ds_read2_b64 v[204:207], v202 offset0:26 offset1:27
	v_add_f64 v[180:181], v[180:181], -v[184:185]
	s_waitcnt lgkmcnt(0)
	v_mul_f64 v[184:185], v[206:207], v[186:187]
	v_fma_f64 v[184:185], v[204:205], v[208:209], -v[184:185]
	v_mul_f64 v[204:205], v[204:205], v[186:187]
	v_fmac_f64_e32 v[204:205], v[206:207], v[208:209]
	v_add_f64 v[178:179], v[178:179], -v[204:205]
	ds_read2_b64 v[204:207], v202 offset0:28 offset1:29
	v_add_f64 v[176:177], v[176:177], -v[184:185]
	;; [unrolled: 8-line block ×46, first 2 shown]
	s_waitcnt lgkmcnt(0)
	v_mul_f64 v[184:185], v[206:207], v[186:187]
	v_fma_f64 v[184:185], v[204:205], v[208:209], -v[184:185]
	v_mul_f64 v[204:205], v[204:205], v[186:187]
	v_fmac_f64_e32 v[204:205], v[206:207], v[208:209]
	v_add_f64 v[232:233], v[232:233], -v[184:185]
	v_add_f64 v[234:235], v[234:235], -v[204:205]
	v_mov_b64_e32 v[184:185], v[208:209]
.LBB117_109:
	s_or_b64 exec, exec, s[2:3]
	v_cmp_eq_u32_e32 vcc, 12, v200
	s_waitcnt vmcnt(63) expcnt(7) lgkmcnt(15)
	s_barrier
	s_and_saveexec_b64 s[4:5], vcc
	s_cbranch_execz .LBB117_116
; %bb.110:
	ds_write2_b64 v201, v[180:181], v[182:183] offset1:1
	ds_write2_b64 v202, v[176:177], v[178:179] offset0:26 offset1:27
	ds_write2_b64 v202, v[172:173], v[174:175] offset0:28 offset1:29
	;; [unrolled: 1-line block ×27, first 2 shown]
	s_waitcnt vmcnt(44)
	ds_write2_b64 v202, v[68:69], v[70:71] offset0:80 offset1:81
	s_waitcnt vmcnt(43)
	ds_write2_b64 v202, v[64:65], v[66:67] offset0:82 offset1:83
	;; [unrolled: 2-line block ×12, first 2 shown]
	ds_write2_b64 v202, v[20:21], v[22:23] offset0:104 offset1:105
	ds_write2_b64 v202, v[16:17], v[18:19] offset0:106 offset1:107
	;; [unrolled: 1-line block ×5, first 2 shown]
	s_waitcnt vmcnt(32)
	ds_write2_b64 v202, v[0:1], v[2:3] offset0:114 offset1:115
	s_waitcnt vmcnt(29)
	ds_write2_b64 v202, v[232:233], v[234:235] offset0:116 offset1:117
	ds_read2_b64 v[208:211], v201 offset1:1
	s_waitcnt lgkmcnt(0)
	v_cmp_neq_f64_e32 vcc, 0, v[208:209]
	v_cmp_neq_f64_e64 s[2:3], 0, v[210:211]
	s_or_b64 s[2:3], vcc, s[2:3]
	s_and_b64 exec, exec, s[2:3]
	s_cbranch_execz .LBB117_116
; %bb.111:
	v_cmp_ngt_f64_e64 s[2:3], |v[208:209]|, |v[210:211]|
                                        ; implicit-def: $vgpr204_vgpr205
	s_and_saveexec_b64 s[10:11], s[2:3]
	s_xor_b64 s[2:3], exec, s[10:11]
                                        ; implicit-def: $vgpr206_vgpr207
	s_cbranch_execz .LBB117_113
; %bb.112:
	v_div_scale_f64 v[204:205], s[10:11], v[210:211], v[210:211], v[208:209]
	v_rcp_f64_e32 v[206:207], v[204:205]
	v_div_scale_f64 v[212:213], vcc, v[208:209], v[210:211], v[208:209]
	v_fma_f64 v[214:215], -v[204:205], v[206:207], 1.0
	v_fmac_f64_e32 v[206:207], v[206:207], v[214:215]
	v_fma_f64 v[214:215], -v[204:205], v[206:207], 1.0
	v_fmac_f64_e32 v[206:207], v[206:207], v[214:215]
	v_mul_f64 v[214:215], v[212:213], v[206:207]
	v_fma_f64 v[204:205], -v[204:205], v[214:215], v[212:213]
	v_div_fmas_f64 v[204:205], v[204:205], v[206:207], v[214:215]
	v_div_fixup_f64 v[204:205], v[204:205], v[210:211], v[208:209]
	v_fmac_f64_e32 v[210:211], v[208:209], v[204:205]
	v_div_scale_f64 v[206:207], s[10:11], v[210:211], v[210:211], 1.0
	v_rcp_f64_e32 v[208:209], v[206:207]
	s_nop 0
	v_fma_f64 v[212:213], -v[206:207], v[208:209], 1.0
	v_fmac_f64_e32 v[208:209], v[208:209], v[212:213]
	v_fma_f64 v[212:213], -v[206:207], v[208:209], 1.0
	v_fmac_f64_e32 v[208:209], v[208:209], v[212:213]
	v_div_scale_f64 v[212:213], vcc, 1.0, v[210:211], 1.0
	v_mul_f64 v[214:215], v[212:213], v[208:209]
	v_fma_f64 v[206:207], -v[206:207], v[214:215], v[212:213]
	s_nop 1
	v_div_fmas_f64 v[206:207], v[206:207], v[208:209], v[214:215]
	v_div_fixup_f64 v[206:207], v[206:207], v[210:211], 1.0
	v_mul_f64 v[204:205], v[204:205], v[206:207]
	v_xor_b32_e32 v207, 0x80000000, v207
                                        ; implicit-def: $vgpr208_vgpr209
.LBB117_113:
	s_andn2_saveexec_b64 s[2:3], s[2:3]
	s_cbranch_execz .LBB117_115
; %bb.114:
	v_div_scale_f64 v[204:205], s[10:11], v[208:209], v[208:209], v[210:211]
	v_rcp_f64_e32 v[206:207], v[204:205]
	v_div_scale_f64 v[212:213], vcc, v[210:211], v[208:209], v[210:211]
	v_fma_f64 v[214:215], -v[204:205], v[206:207], 1.0
	v_fmac_f64_e32 v[206:207], v[206:207], v[214:215]
	v_fma_f64 v[214:215], -v[204:205], v[206:207], 1.0
	v_fmac_f64_e32 v[206:207], v[206:207], v[214:215]
	v_mul_f64 v[214:215], v[212:213], v[206:207]
	v_fma_f64 v[204:205], -v[204:205], v[214:215], v[212:213]
	v_div_fmas_f64 v[204:205], v[204:205], v[206:207], v[214:215]
	v_div_fixup_f64 v[206:207], v[204:205], v[208:209], v[210:211]
	v_fmac_f64_e32 v[208:209], v[210:211], v[206:207]
	v_div_scale_f64 v[204:205], s[10:11], v[208:209], v[208:209], 1.0
	v_rcp_f64_e32 v[210:211], v[204:205]
	s_nop 0
	v_fma_f64 v[212:213], -v[204:205], v[210:211], 1.0
	v_fmac_f64_e32 v[210:211], v[210:211], v[212:213]
	v_fma_f64 v[212:213], -v[204:205], v[210:211], 1.0
	v_fmac_f64_e32 v[210:211], v[210:211], v[212:213]
	v_div_scale_f64 v[212:213], vcc, 1.0, v[208:209], 1.0
	v_mul_f64 v[214:215], v[212:213], v[210:211]
	v_fma_f64 v[204:205], -v[204:205], v[214:215], v[212:213]
	s_nop 1
	v_div_fmas_f64 v[204:205], v[204:205], v[210:211], v[214:215]
	v_div_fixup_f64 v[204:205], v[204:205], v[208:209], 1.0
	v_mul_f64 v[206:207], v[206:207], -v[204:205]
.LBB117_115:
	s_or_b64 exec, exec, s[2:3]
	ds_write2_b64 v201, v[204:205], v[206:207] offset1:1
.LBB117_116:
	s_or_b64 exec, exec, s[4:5]
	s_waitcnt lgkmcnt(0)
	s_barrier
	ds_read2_b64 v[192:195], v201 offset1:1
	v_cmp_lt_u32_e32 vcc, 12, v200
	s_waitcnt lgkmcnt(0)
	scratch_store_dwordx4 off, v[192:195], off offset:808 ; 16-byte Folded Spill
	s_and_saveexec_b64 s[2:3], vcc
	s_cbranch_execz .LBB117_118
; %bb.117:
	scratch_load_dwordx4 v[192:195], off, off offset:808 ; 16-byte Folded Reload
	s_waitcnt vmcnt(0)
	v_mul_f64 v[204:205], v[194:195], v[182:183]
	v_fma_f64 v[208:209], v[192:193], v[180:181], -v[204:205]
	ds_read2_b64 v[204:207], v202 offset0:26 offset1:27
	v_mul_f64 v[182:183], v[192:193], v[182:183]
	v_fmac_f64_e32 v[182:183], v[194:195], v[180:181]
	s_waitcnt lgkmcnt(0)
	v_mul_f64 v[180:181], v[206:207], v[182:183]
	v_fma_f64 v[180:181], v[204:205], v[208:209], -v[180:181]
	v_mul_f64 v[204:205], v[204:205], v[182:183]
	v_fmac_f64_e32 v[204:205], v[206:207], v[208:209]
	v_add_f64 v[178:179], v[178:179], -v[204:205]
	ds_read2_b64 v[204:207], v202 offset0:28 offset1:29
	v_add_f64 v[176:177], v[176:177], -v[180:181]
	s_waitcnt lgkmcnt(0)
	v_mul_f64 v[180:181], v[206:207], v[182:183]
	v_fma_f64 v[180:181], v[204:205], v[208:209], -v[180:181]
	v_mul_f64 v[204:205], v[204:205], v[182:183]
	v_fmac_f64_e32 v[204:205], v[206:207], v[208:209]
	v_add_f64 v[174:175], v[174:175], -v[204:205]
	ds_read2_b64 v[204:207], v202 offset0:30 offset1:31
	v_add_f64 v[172:173], v[172:173], -v[180:181]
	;; [unrolled: 8-line block ×45, first 2 shown]
	s_waitcnt lgkmcnt(0)
	v_mul_f64 v[180:181], v[206:207], v[182:183]
	v_fma_f64 v[180:181], v[204:205], v[208:209], -v[180:181]
	v_mul_f64 v[204:205], v[204:205], v[182:183]
	v_fmac_f64_e32 v[204:205], v[206:207], v[208:209]
	v_add_f64 v[232:233], v[232:233], -v[180:181]
	v_add_f64 v[234:235], v[234:235], -v[204:205]
	v_mov_b64_e32 v[180:181], v[208:209]
.LBB117_118:
	s_or_b64 exec, exec, s[2:3]
	v_cmp_eq_u32_e32 vcc, 13, v200
	s_waitcnt vmcnt(63) expcnt(7) lgkmcnt(15)
	s_barrier
	s_and_saveexec_b64 s[4:5], vcc
	s_cbranch_execz .LBB117_125
; %bb.119:
	ds_write2_b64 v201, v[176:177], v[178:179] offset1:1
	ds_write2_b64 v202, v[172:173], v[174:175] offset0:28 offset1:29
	ds_write2_b64 v202, v[168:169], v[170:171] offset0:30 offset1:31
	;; [unrolled: 1-line block ×26, first 2 shown]
	s_waitcnt vmcnt(45)
	ds_write2_b64 v202, v[68:69], v[70:71] offset0:80 offset1:81
	s_waitcnt vmcnt(44)
	ds_write2_b64 v202, v[64:65], v[66:67] offset0:82 offset1:83
	;; [unrolled: 2-line block ×12, first 2 shown]
	ds_write2_b64 v202, v[20:21], v[22:23] offset0:104 offset1:105
	ds_write2_b64 v202, v[16:17], v[18:19] offset0:106 offset1:107
	ds_write2_b64 v202, v[12:13], v[14:15] offset0:108 offset1:109
	ds_write2_b64 v202, v[8:9], v[10:11] offset0:110 offset1:111
	ds_write2_b64 v202, v[4:5], v[6:7] offset0:112 offset1:113
	s_waitcnt vmcnt(33)
	ds_write2_b64 v202, v[0:1], v[2:3] offset0:114 offset1:115
	s_waitcnt vmcnt(30)
	ds_write2_b64 v202, v[232:233], v[234:235] offset0:116 offset1:117
	ds_read2_b64 v[208:211], v201 offset1:1
	s_waitcnt lgkmcnt(0)
	v_cmp_neq_f64_e32 vcc, 0, v[208:209]
	v_cmp_neq_f64_e64 s[2:3], 0, v[210:211]
	s_or_b64 s[2:3], vcc, s[2:3]
	s_and_b64 exec, exec, s[2:3]
	s_cbranch_execz .LBB117_125
; %bb.120:
	v_cmp_ngt_f64_e64 s[2:3], |v[208:209]|, |v[210:211]|
                                        ; implicit-def: $vgpr204_vgpr205
	s_and_saveexec_b64 s[10:11], s[2:3]
	s_xor_b64 s[2:3], exec, s[10:11]
                                        ; implicit-def: $vgpr206_vgpr207
	s_cbranch_execz .LBB117_122
; %bb.121:
	v_div_scale_f64 v[204:205], s[10:11], v[210:211], v[210:211], v[208:209]
	v_rcp_f64_e32 v[206:207], v[204:205]
	v_div_scale_f64 v[212:213], vcc, v[208:209], v[210:211], v[208:209]
	v_fma_f64 v[214:215], -v[204:205], v[206:207], 1.0
	v_fmac_f64_e32 v[206:207], v[206:207], v[214:215]
	v_fma_f64 v[214:215], -v[204:205], v[206:207], 1.0
	v_fmac_f64_e32 v[206:207], v[206:207], v[214:215]
	v_mul_f64 v[214:215], v[212:213], v[206:207]
	v_fma_f64 v[204:205], -v[204:205], v[214:215], v[212:213]
	v_div_fmas_f64 v[204:205], v[204:205], v[206:207], v[214:215]
	v_div_fixup_f64 v[204:205], v[204:205], v[210:211], v[208:209]
	v_fmac_f64_e32 v[210:211], v[208:209], v[204:205]
	v_div_scale_f64 v[206:207], s[10:11], v[210:211], v[210:211], 1.0
	v_rcp_f64_e32 v[208:209], v[206:207]
	s_nop 0
	v_fma_f64 v[212:213], -v[206:207], v[208:209], 1.0
	v_fmac_f64_e32 v[208:209], v[208:209], v[212:213]
	v_fma_f64 v[212:213], -v[206:207], v[208:209], 1.0
	v_fmac_f64_e32 v[208:209], v[208:209], v[212:213]
	v_div_scale_f64 v[212:213], vcc, 1.0, v[210:211], 1.0
	v_mul_f64 v[214:215], v[212:213], v[208:209]
	v_fma_f64 v[206:207], -v[206:207], v[214:215], v[212:213]
	s_nop 1
	v_div_fmas_f64 v[206:207], v[206:207], v[208:209], v[214:215]
	v_div_fixup_f64 v[206:207], v[206:207], v[210:211], 1.0
	v_mul_f64 v[204:205], v[204:205], v[206:207]
	v_xor_b32_e32 v207, 0x80000000, v207
                                        ; implicit-def: $vgpr208_vgpr209
.LBB117_122:
	s_andn2_saveexec_b64 s[2:3], s[2:3]
	s_cbranch_execz .LBB117_124
; %bb.123:
	v_div_scale_f64 v[204:205], s[10:11], v[208:209], v[208:209], v[210:211]
	v_rcp_f64_e32 v[206:207], v[204:205]
	v_div_scale_f64 v[212:213], vcc, v[210:211], v[208:209], v[210:211]
	v_fma_f64 v[214:215], -v[204:205], v[206:207], 1.0
	v_fmac_f64_e32 v[206:207], v[206:207], v[214:215]
	v_fma_f64 v[214:215], -v[204:205], v[206:207], 1.0
	v_fmac_f64_e32 v[206:207], v[206:207], v[214:215]
	v_mul_f64 v[214:215], v[212:213], v[206:207]
	v_fma_f64 v[204:205], -v[204:205], v[214:215], v[212:213]
	v_div_fmas_f64 v[204:205], v[204:205], v[206:207], v[214:215]
	v_div_fixup_f64 v[206:207], v[204:205], v[208:209], v[210:211]
	v_fmac_f64_e32 v[208:209], v[210:211], v[206:207]
	v_div_scale_f64 v[204:205], s[10:11], v[208:209], v[208:209], 1.0
	v_rcp_f64_e32 v[210:211], v[204:205]
	s_nop 0
	v_fma_f64 v[212:213], -v[204:205], v[210:211], 1.0
	v_fmac_f64_e32 v[210:211], v[210:211], v[212:213]
	v_fma_f64 v[212:213], -v[204:205], v[210:211], 1.0
	v_fmac_f64_e32 v[210:211], v[210:211], v[212:213]
	v_div_scale_f64 v[212:213], vcc, 1.0, v[208:209], 1.0
	v_mul_f64 v[214:215], v[212:213], v[210:211]
	v_fma_f64 v[204:205], -v[204:205], v[214:215], v[212:213]
	s_nop 1
	v_div_fmas_f64 v[204:205], v[204:205], v[210:211], v[214:215]
	v_div_fixup_f64 v[204:205], v[204:205], v[208:209], 1.0
	v_mul_f64 v[206:207], v[206:207], -v[204:205]
.LBB117_124:
	s_or_b64 exec, exec, s[2:3]
	ds_write2_b64 v201, v[204:205], v[206:207] offset1:1
.LBB117_125:
	s_or_b64 exec, exec, s[4:5]
	s_waitcnt lgkmcnt(0)
	s_barrier
	ds_read2_b64 v[192:195], v201 offset1:1
	v_cmp_lt_u32_e32 vcc, 13, v200
	s_waitcnt lgkmcnt(0)
	scratch_store_dwordx4 off, v[192:195], off offset:824 ; 16-byte Folded Spill
	s_and_saveexec_b64 s[2:3], vcc
	s_cbranch_execz .LBB117_127
; %bb.126:
	scratch_load_dwordx4 v[192:195], off, off offset:824 ; 16-byte Folded Reload
	s_waitcnt vmcnt(0)
	v_mul_f64 v[204:205], v[194:195], v[178:179]
	v_fma_f64 v[208:209], v[192:193], v[176:177], -v[204:205]
	ds_read2_b64 v[204:207], v202 offset0:28 offset1:29
	v_mul_f64 v[178:179], v[192:193], v[178:179]
	v_fmac_f64_e32 v[178:179], v[194:195], v[176:177]
	s_waitcnt lgkmcnt(0)
	v_mul_f64 v[176:177], v[206:207], v[178:179]
	v_fma_f64 v[176:177], v[204:205], v[208:209], -v[176:177]
	v_mul_f64 v[204:205], v[204:205], v[178:179]
	v_fmac_f64_e32 v[204:205], v[206:207], v[208:209]
	v_add_f64 v[174:175], v[174:175], -v[204:205]
	ds_read2_b64 v[204:207], v202 offset0:30 offset1:31
	v_add_f64 v[172:173], v[172:173], -v[176:177]
	s_waitcnt lgkmcnt(0)
	v_mul_f64 v[176:177], v[206:207], v[178:179]
	v_fma_f64 v[176:177], v[204:205], v[208:209], -v[176:177]
	v_mul_f64 v[204:205], v[204:205], v[178:179]
	v_fmac_f64_e32 v[204:205], v[206:207], v[208:209]
	v_add_f64 v[170:171], v[170:171], -v[204:205]
	ds_read2_b64 v[204:207], v202 offset0:32 offset1:33
	v_add_f64 v[168:169], v[168:169], -v[176:177]
	;; [unrolled: 8-line block ×44, first 2 shown]
	s_waitcnt lgkmcnt(0)
	v_mul_f64 v[176:177], v[206:207], v[178:179]
	v_fma_f64 v[176:177], v[204:205], v[208:209], -v[176:177]
	v_mul_f64 v[204:205], v[204:205], v[178:179]
	v_fmac_f64_e32 v[204:205], v[206:207], v[208:209]
	v_add_f64 v[232:233], v[232:233], -v[176:177]
	v_add_f64 v[234:235], v[234:235], -v[204:205]
	v_mov_b64_e32 v[176:177], v[208:209]
.LBB117_127:
	s_or_b64 exec, exec, s[2:3]
	v_cmp_eq_u32_e32 vcc, 14, v200
	s_waitcnt vmcnt(63) expcnt(7) lgkmcnt(15)
	s_barrier
	s_and_saveexec_b64 s[4:5], vcc
	s_cbranch_execz .LBB117_134
; %bb.128:
	ds_write2_b64 v201, v[172:173], v[174:175] offset1:1
	ds_write2_b64 v202, v[168:169], v[170:171] offset0:30 offset1:31
	ds_write2_b64 v202, v[164:165], v[166:167] offset0:32 offset1:33
	;; [unrolled: 1-line block ×25, first 2 shown]
	s_waitcnt vmcnt(46)
	ds_write2_b64 v202, v[68:69], v[70:71] offset0:80 offset1:81
	s_waitcnt vmcnt(45)
	ds_write2_b64 v202, v[64:65], v[66:67] offset0:82 offset1:83
	;; [unrolled: 2-line block ×12, first 2 shown]
	ds_write2_b64 v202, v[20:21], v[22:23] offset0:104 offset1:105
	ds_write2_b64 v202, v[16:17], v[18:19] offset0:106 offset1:107
	;; [unrolled: 1-line block ×5, first 2 shown]
	s_waitcnt vmcnt(34)
	ds_write2_b64 v202, v[0:1], v[2:3] offset0:114 offset1:115
	s_waitcnt vmcnt(31)
	ds_write2_b64 v202, v[232:233], v[234:235] offset0:116 offset1:117
	ds_read2_b64 v[208:211], v201 offset1:1
	s_waitcnt lgkmcnt(0)
	v_cmp_neq_f64_e32 vcc, 0, v[208:209]
	v_cmp_neq_f64_e64 s[2:3], 0, v[210:211]
	s_or_b64 s[2:3], vcc, s[2:3]
	s_and_b64 exec, exec, s[2:3]
	s_cbranch_execz .LBB117_134
; %bb.129:
	v_cmp_ngt_f64_e64 s[2:3], |v[208:209]|, |v[210:211]|
                                        ; implicit-def: $vgpr204_vgpr205
	s_and_saveexec_b64 s[10:11], s[2:3]
	s_xor_b64 s[2:3], exec, s[10:11]
                                        ; implicit-def: $vgpr206_vgpr207
	s_cbranch_execz .LBB117_131
; %bb.130:
	v_div_scale_f64 v[204:205], s[10:11], v[210:211], v[210:211], v[208:209]
	v_rcp_f64_e32 v[206:207], v[204:205]
	v_div_scale_f64 v[212:213], vcc, v[208:209], v[210:211], v[208:209]
	v_fma_f64 v[214:215], -v[204:205], v[206:207], 1.0
	v_fmac_f64_e32 v[206:207], v[206:207], v[214:215]
	v_fma_f64 v[214:215], -v[204:205], v[206:207], 1.0
	v_fmac_f64_e32 v[206:207], v[206:207], v[214:215]
	v_mul_f64 v[214:215], v[212:213], v[206:207]
	v_fma_f64 v[204:205], -v[204:205], v[214:215], v[212:213]
	v_div_fmas_f64 v[204:205], v[204:205], v[206:207], v[214:215]
	v_div_fixup_f64 v[204:205], v[204:205], v[210:211], v[208:209]
	v_fmac_f64_e32 v[210:211], v[208:209], v[204:205]
	v_div_scale_f64 v[206:207], s[10:11], v[210:211], v[210:211], 1.0
	v_rcp_f64_e32 v[208:209], v[206:207]
	s_nop 0
	v_fma_f64 v[212:213], -v[206:207], v[208:209], 1.0
	v_fmac_f64_e32 v[208:209], v[208:209], v[212:213]
	v_fma_f64 v[212:213], -v[206:207], v[208:209], 1.0
	v_fmac_f64_e32 v[208:209], v[208:209], v[212:213]
	v_div_scale_f64 v[212:213], vcc, 1.0, v[210:211], 1.0
	v_mul_f64 v[214:215], v[212:213], v[208:209]
	v_fma_f64 v[206:207], -v[206:207], v[214:215], v[212:213]
	s_nop 1
	v_div_fmas_f64 v[206:207], v[206:207], v[208:209], v[214:215]
	v_div_fixup_f64 v[206:207], v[206:207], v[210:211], 1.0
	v_mul_f64 v[204:205], v[204:205], v[206:207]
	v_xor_b32_e32 v207, 0x80000000, v207
                                        ; implicit-def: $vgpr208_vgpr209
.LBB117_131:
	s_andn2_saveexec_b64 s[2:3], s[2:3]
	s_cbranch_execz .LBB117_133
; %bb.132:
	v_div_scale_f64 v[204:205], s[10:11], v[208:209], v[208:209], v[210:211]
	v_rcp_f64_e32 v[206:207], v[204:205]
	v_div_scale_f64 v[212:213], vcc, v[210:211], v[208:209], v[210:211]
	v_fma_f64 v[214:215], -v[204:205], v[206:207], 1.0
	v_fmac_f64_e32 v[206:207], v[206:207], v[214:215]
	v_fma_f64 v[214:215], -v[204:205], v[206:207], 1.0
	v_fmac_f64_e32 v[206:207], v[206:207], v[214:215]
	v_mul_f64 v[214:215], v[212:213], v[206:207]
	v_fma_f64 v[204:205], -v[204:205], v[214:215], v[212:213]
	v_div_fmas_f64 v[204:205], v[204:205], v[206:207], v[214:215]
	v_div_fixup_f64 v[206:207], v[204:205], v[208:209], v[210:211]
	v_fmac_f64_e32 v[208:209], v[210:211], v[206:207]
	v_div_scale_f64 v[204:205], s[10:11], v[208:209], v[208:209], 1.0
	v_rcp_f64_e32 v[210:211], v[204:205]
	s_nop 0
	v_fma_f64 v[212:213], -v[204:205], v[210:211], 1.0
	v_fmac_f64_e32 v[210:211], v[210:211], v[212:213]
	v_fma_f64 v[212:213], -v[204:205], v[210:211], 1.0
	v_fmac_f64_e32 v[210:211], v[210:211], v[212:213]
	v_div_scale_f64 v[212:213], vcc, 1.0, v[208:209], 1.0
	v_mul_f64 v[214:215], v[212:213], v[210:211]
	v_fma_f64 v[204:205], -v[204:205], v[214:215], v[212:213]
	s_nop 1
	v_div_fmas_f64 v[204:205], v[204:205], v[210:211], v[214:215]
	v_div_fixup_f64 v[204:205], v[204:205], v[208:209], 1.0
	v_mul_f64 v[206:207], v[206:207], -v[204:205]
.LBB117_133:
	s_or_b64 exec, exec, s[2:3]
	ds_write2_b64 v201, v[204:205], v[206:207] offset1:1
.LBB117_134:
	s_or_b64 exec, exec, s[4:5]
	s_waitcnt lgkmcnt(0)
	s_barrier
	ds_read2_b64 v[192:195], v201 offset1:1
	v_cmp_lt_u32_e32 vcc, 14, v200
	s_waitcnt lgkmcnt(0)
	scratch_store_dwordx4 off, v[192:195], off offset:840 ; 16-byte Folded Spill
	s_and_saveexec_b64 s[2:3], vcc
	s_cbranch_execz .LBB117_136
; %bb.135:
	scratch_load_dwordx4 v[192:195], off, off offset:840 ; 16-byte Folded Reload
	s_waitcnt vmcnt(0)
	v_mul_f64 v[204:205], v[194:195], v[174:175]
	v_fma_f64 v[208:209], v[192:193], v[172:173], -v[204:205]
	ds_read2_b64 v[204:207], v202 offset0:30 offset1:31
	v_mul_f64 v[174:175], v[192:193], v[174:175]
	v_fmac_f64_e32 v[174:175], v[194:195], v[172:173]
	s_waitcnt lgkmcnt(0)
	v_mul_f64 v[172:173], v[206:207], v[174:175]
	v_fma_f64 v[172:173], v[204:205], v[208:209], -v[172:173]
	v_mul_f64 v[204:205], v[204:205], v[174:175]
	v_fmac_f64_e32 v[204:205], v[206:207], v[208:209]
	v_add_f64 v[170:171], v[170:171], -v[204:205]
	ds_read2_b64 v[204:207], v202 offset0:32 offset1:33
	v_add_f64 v[168:169], v[168:169], -v[172:173]
	s_waitcnt lgkmcnt(0)
	v_mul_f64 v[172:173], v[206:207], v[174:175]
	v_fma_f64 v[172:173], v[204:205], v[208:209], -v[172:173]
	v_mul_f64 v[204:205], v[204:205], v[174:175]
	v_fmac_f64_e32 v[204:205], v[206:207], v[208:209]
	v_add_f64 v[166:167], v[166:167], -v[204:205]
	ds_read2_b64 v[204:207], v202 offset0:34 offset1:35
	v_add_f64 v[164:165], v[164:165], -v[172:173]
	;; [unrolled: 8-line block ×43, first 2 shown]
	s_waitcnt lgkmcnt(0)
	v_mul_f64 v[172:173], v[206:207], v[174:175]
	v_fma_f64 v[172:173], v[204:205], v[208:209], -v[172:173]
	v_mul_f64 v[204:205], v[204:205], v[174:175]
	v_fmac_f64_e32 v[204:205], v[206:207], v[208:209]
	v_add_f64 v[232:233], v[232:233], -v[172:173]
	v_add_f64 v[234:235], v[234:235], -v[204:205]
	v_mov_b64_e32 v[172:173], v[208:209]
.LBB117_136:
	s_or_b64 exec, exec, s[2:3]
	v_cmp_eq_u32_e32 vcc, 15, v200
	s_waitcnt vmcnt(63) expcnt(7) lgkmcnt(15)
	s_barrier
	s_and_saveexec_b64 s[4:5], vcc
	s_cbranch_execz .LBB117_143
; %bb.137:
	ds_write2_b64 v201, v[168:169], v[170:171] offset1:1
	ds_write2_b64 v202, v[164:165], v[166:167] offset0:32 offset1:33
	ds_write2_b64 v202, v[160:161], v[162:163] offset0:34 offset1:35
	;; [unrolled: 1-line block ×24, first 2 shown]
	s_waitcnt vmcnt(47)
	ds_write2_b64 v202, v[68:69], v[70:71] offset0:80 offset1:81
	s_waitcnt vmcnt(46)
	ds_write2_b64 v202, v[64:65], v[66:67] offset0:82 offset1:83
	;; [unrolled: 2-line block ×12, first 2 shown]
	ds_write2_b64 v202, v[20:21], v[22:23] offset0:104 offset1:105
	ds_write2_b64 v202, v[16:17], v[18:19] offset0:106 offset1:107
	;; [unrolled: 1-line block ×5, first 2 shown]
	s_waitcnt vmcnt(35)
	ds_write2_b64 v202, v[0:1], v[2:3] offset0:114 offset1:115
	s_waitcnt vmcnt(32)
	ds_write2_b64 v202, v[232:233], v[234:235] offset0:116 offset1:117
	ds_read2_b64 v[208:211], v201 offset1:1
	s_waitcnt lgkmcnt(0)
	v_cmp_neq_f64_e32 vcc, 0, v[208:209]
	v_cmp_neq_f64_e64 s[2:3], 0, v[210:211]
	s_or_b64 s[2:3], vcc, s[2:3]
	s_and_b64 exec, exec, s[2:3]
	s_cbranch_execz .LBB117_143
; %bb.138:
	v_cmp_ngt_f64_e64 s[2:3], |v[208:209]|, |v[210:211]|
                                        ; implicit-def: $vgpr204_vgpr205
	s_and_saveexec_b64 s[10:11], s[2:3]
	s_xor_b64 s[2:3], exec, s[10:11]
                                        ; implicit-def: $vgpr206_vgpr207
	s_cbranch_execz .LBB117_140
; %bb.139:
	v_div_scale_f64 v[204:205], s[10:11], v[210:211], v[210:211], v[208:209]
	v_rcp_f64_e32 v[206:207], v[204:205]
	v_div_scale_f64 v[212:213], vcc, v[208:209], v[210:211], v[208:209]
	v_fma_f64 v[214:215], -v[204:205], v[206:207], 1.0
	v_fmac_f64_e32 v[206:207], v[206:207], v[214:215]
	v_fma_f64 v[214:215], -v[204:205], v[206:207], 1.0
	v_fmac_f64_e32 v[206:207], v[206:207], v[214:215]
	v_mul_f64 v[214:215], v[212:213], v[206:207]
	v_fma_f64 v[204:205], -v[204:205], v[214:215], v[212:213]
	v_div_fmas_f64 v[204:205], v[204:205], v[206:207], v[214:215]
	v_div_fixup_f64 v[204:205], v[204:205], v[210:211], v[208:209]
	v_fmac_f64_e32 v[210:211], v[208:209], v[204:205]
	v_div_scale_f64 v[206:207], s[10:11], v[210:211], v[210:211], 1.0
	v_rcp_f64_e32 v[208:209], v[206:207]
	s_nop 0
	v_fma_f64 v[212:213], -v[206:207], v[208:209], 1.0
	v_fmac_f64_e32 v[208:209], v[208:209], v[212:213]
	v_fma_f64 v[212:213], -v[206:207], v[208:209], 1.0
	v_fmac_f64_e32 v[208:209], v[208:209], v[212:213]
	v_div_scale_f64 v[212:213], vcc, 1.0, v[210:211], 1.0
	v_mul_f64 v[214:215], v[212:213], v[208:209]
	v_fma_f64 v[206:207], -v[206:207], v[214:215], v[212:213]
	s_nop 1
	v_div_fmas_f64 v[206:207], v[206:207], v[208:209], v[214:215]
	v_div_fixup_f64 v[206:207], v[206:207], v[210:211], 1.0
	v_mul_f64 v[204:205], v[204:205], v[206:207]
	v_xor_b32_e32 v207, 0x80000000, v207
                                        ; implicit-def: $vgpr208_vgpr209
.LBB117_140:
	s_andn2_saveexec_b64 s[2:3], s[2:3]
	s_cbranch_execz .LBB117_142
; %bb.141:
	v_div_scale_f64 v[204:205], s[10:11], v[208:209], v[208:209], v[210:211]
	v_rcp_f64_e32 v[206:207], v[204:205]
	v_div_scale_f64 v[212:213], vcc, v[210:211], v[208:209], v[210:211]
	v_fma_f64 v[214:215], -v[204:205], v[206:207], 1.0
	v_fmac_f64_e32 v[206:207], v[206:207], v[214:215]
	v_fma_f64 v[214:215], -v[204:205], v[206:207], 1.0
	v_fmac_f64_e32 v[206:207], v[206:207], v[214:215]
	v_mul_f64 v[214:215], v[212:213], v[206:207]
	v_fma_f64 v[204:205], -v[204:205], v[214:215], v[212:213]
	v_div_fmas_f64 v[204:205], v[204:205], v[206:207], v[214:215]
	v_div_fixup_f64 v[206:207], v[204:205], v[208:209], v[210:211]
	v_fmac_f64_e32 v[208:209], v[210:211], v[206:207]
	v_div_scale_f64 v[204:205], s[10:11], v[208:209], v[208:209], 1.0
	v_rcp_f64_e32 v[210:211], v[204:205]
	s_nop 0
	v_fma_f64 v[212:213], -v[204:205], v[210:211], 1.0
	v_fmac_f64_e32 v[210:211], v[210:211], v[212:213]
	v_fma_f64 v[212:213], -v[204:205], v[210:211], 1.0
	v_fmac_f64_e32 v[210:211], v[210:211], v[212:213]
	v_div_scale_f64 v[212:213], vcc, 1.0, v[208:209], 1.0
	v_mul_f64 v[214:215], v[212:213], v[210:211]
	v_fma_f64 v[204:205], -v[204:205], v[214:215], v[212:213]
	s_nop 1
	v_div_fmas_f64 v[204:205], v[204:205], v[210:211], v[214:215]
	v_div_fixup_f64 v[204:205], v[204:205], v[208:209], 1.0
	v_mul_f64 v[206:207], v[206:207], -v[204:205]
.LBB117_142:
	s_or_b64 exec, exec, s[2:3]
	ds_write2_b64 v201, v[204:205], v[206:207] offset1:1
.LBB117_143:
	s_or_b64 exec, exec, s[4:5]
	s_waitcnt lgkmcnt(0)
	s_barrier
	ds_read2_b64 v[192:195], v201 offset1:1
	v_cmp_lt_u32_e32 vcc, 15, v200
	s_waitcnt lgkmcnt(0)
	scratch_store_dwordx4 off, v[192:195], off offset:856 ; 16-byte Folded Spill
	s_and_saveexec_b64 s[2:3], vcc
	s_cbranch_execz .LBB117_145
; %bb.144:
	scratch_load_dwordx4 v[192:195], off, off offset:856 ; 16-byte Folded Reload
	s_waitcnt vmcnt(0)
	v_mul_f64 v[204:205], v[194:195], v[170:171]
	v_fma_f64 v[208:209], v[192:193], v[168:169], -v[204:205]
	ds_read2_b64 v[204:207], v202 offset0:32 offset1:33
	v_mul_f64 v[170:171], v[192:193], v[170:171]
	v_fmac_f64_e32 v[170:171], v[194:195], v[168:169]
	s_waitcnt lgkmcnt(0)
	v_mul_f64 v[168:169], v[206:207], v[170:171]
	v_fma_f64 v[168:169], v[204:205], v[208:209], -v[168:169]
	v_mul_f64 v[204:205], v[204:205], v[170:171]
	v_fmac_f64_e32 v[204:205], v[206:207], v[208:209]
	v_add_f64 v[166:167], v[166:167], -v[204:205]
	ds_read2_b64 v[204:207], v202 offset0:34 offset1:35
	v_add_f64 v[164:165], v[164:165], -v[168:169]
	s_waitcnt lgkmcnt(0)
	v_mul_f64 v[168:169], v[206:207], v[170:171]
	v_fma_f64 v[168:169], v[204:205], v[208:209], -v[168:169]
	v_mul_f64 v[204:205], v[204:205], v[170:171]
	v_fmac_f64_e32 v[204:205], v[206:207], v[208:209]
	v_add_f64 v[162:163], v[162:163], -v[204:205]
	ds_read2_b64 v[204:207], v202 offset0:36 offset1:37
	v_add_f64 v[160:161], v[160:161], -v[168:169]
	;; [unrolled: 8-line block ×42, first 2 shown]
	s_waitcnt lgkmcnt(0)
	v_mul_f64 v[168:169], v[206:207], v[170:171]
	v_fma_f64 v[168:169], v[204:205], v[208:209], -v[168:169]
	v_mul_f64 v[204:205], v[204:205], v[170:171]
	v_fmac_f64_e32 v[204:205], v[206:207], v[208:209]
	v_add_f64 v[232:233], v[232:233], -v[168:169]
	v_add_f64 v[234:235], v[234:235], -v[204:205]
	v_mov_b64_e32 v[168:169], v[208:209]
.LBB117_145:
	s_or_b64 exec, exec, s[2:3]
	v_cmp_eq_u32_e32 vcc, 16, v200
	s_waitcnt vmcnt(63) expcnt(7) lgkmcnt(15)
	s_barrier
	s_and_saveexec_b64 s[4:5], vcc
	s_cbranch_execz .LBB117_152
; %bb.146:
	ds_write2_b64 v201, v[164:165], v[166:167] offset1:1
	ds_write2_b64 v202, v[160:161], v[162:163] offset0:34 offset1:35
	ds_write2_b64 v202, v[156:157], v[158:159] offset0:36 offset1:37
	;; [unrolled: 1-line block ×23, first 2 shown]
	s_waitcnt vmcnt(48)
	ds_write2_b64 v202, v[68:69], v[70:71] offset0:80 offset1:81
	s_waitcnt vmcnt(47)
	ds_write2_b64 v202, v[64:65], v[66:67] offset0:82 offset1:83
	s_waitcnt vmcnt(46)
	ds_write2_b64 v202, v[60:61], v[62:63] offset0:84 offset1:85
	s_waitcnt vmcnt(45)
	ds_write2_b64 v202, v[56:57], v[58:59] offset0:86 offset1:87
	s_waitcnt vmcnt(44)
	ds_write2_b64 v202, v[52:53], v[54:55] offset0:88 offset1:89
	s_waitcnt vmcnt(43)
	ds_write2_b64 v202, v[48:49], v[50:51] offset0:90 offset1:91
	s_waitcnt vmcnt(42)
	ds_write2_b64 v202, v[44:45], v[46:47] offset0:92 offset1:93
	s_waitcnt vmcnt(41)
	ds_write2_b64 v202, v[40:41], v[42:43] offset0:94 offset1:95
	s_waitcnt vmcnt(40)
	ds_write2_b64 v202, v[36:37], v[38:39] offset0:96 offset1:97
	s_waitcnt vmcnt(39)
	ds_write2_b64 v202, v[32:33], v[34:35] offset0:98 offset1:99
	s_waitcnt vmcnt(38)
	ds_write2_b64 v202, v[28:29], v[30:31] offset0:100 offset1:101
	s_waitcnt vmcnt(37)
	ds_write2_b64 v202, v[24:25], v[26:27] offset0:102 offset1:103
	ds_write2_b64 v202, v[20:21], v[22:23] offset0:104 offset1:105
	ds_write2_b64 v202, v[16:17], v[18:19] offset0:106 offset1:107
	;; [unrolled: 1-line block ×5, first 2 shown]
	s_waitcnt vmcnt(36)
	ds_write2_b64 v202, v[0:1], v[2:3] offset0:114 offset1:115
	s_waitcnt vmcnt(33)
	ds_write2_b64 v202, v[232:233], v[234:235] offset0:116 offset1:117
	ds_read2_b64 v[208:211], v201 offset1:1
	s_waitcnt lgkmcnt(0)
	v_cmp_neq_f64_e32 vcc, 0, v[208:209]
	v_cmp_neq_f64_e64 s[2:3], 0, v[210:211]
	s_or_b64 s[2:3], vcc, s[2:3]
	s_and_b64 exec, exec, s[2:3]
	s_cbranch_execz .LBB117_152
; %bb.147:
	v_cmp_ngt_f64_e64 s[2:3], |v[208:209]|, |v[210:211]|
                                        ; implicit-def: $vgpr204_vgpr205
	s_and_saveexec_b64 s[10:11], s[2:3]
	s_xor_b64 s[2:3], exec, s[10:11]
                                        ; implicit-def: $vgpr206_vgpr207
	s_cbranch_execz .LBB117_149
; %bb.148:
	v_div_scale_f64 v[204:205], s[10:11], v[210:211], v[210:211], v[208:209]
	v_rcp_f64_e32 v[206:207], v[204:205]
	v_div_scale_f64 v[212:213], vcc, v[208:209], v[210:211], v[208:209]
	v_fma_f64 v[214:215], -v[204:205], v[206:207], 1.0
	v_fmac_f64_e32 v[206:207], v[206:207], v[214:215]
	v_fma_f64 v[214:215], -v[204:205], v[206:207], 1.0
	v_fmac_f64_e32 v[206:207], v[206:207], v[214:215]
	v_mul_f64 v[214:215], v[212:213], v[206:207]
	v_fma_f64 v[204:205], -v[204:205], v[214:215], v[212:213]
	v_div_fmas_f64 v[204:205], v[204:205], v[206:207], v[214:215]
	v_div_fixup_f64 v[204:205], v[204:205], v[210:211], v[208:209]
	v_fmac_f64_e32 v[210:211], v[208:209], v[204:205]
	v_div_scale_f64 v[206:207], s[10:11], v[210:211], v[210:211], 1.0
	v_rcp_f64_e32 v[208:209], v[206:207]
	s_nop 0
	v_fma_f64 v[212:213], -v[206:207], v[208:209], 1.0
	v_fmac_f64_e32 v[208:209], v[208:209], v[212:213]
	v_fma_f64 v[212:213], -v[206:207], v[208:209], 1.0
	v_fmac_f64_e32 v[208:209], v[208:209], v[212:213]
	v_div_scale_f64 v[212:213], vcc, 1.0, v[210:211], 1.0
	v_mul_f64 v[214:215], v[212:213], v[208:209]
	v_fma_f64 v[206:207], -v[206:207], v[214:215], v[212:213]
	s_nop 1
	v_div_fmas_f64 v[206:207], v[206:207], v[208:209], v[214:215]
	v_div_fixup_f64 v[206:207], v[206:207], v[210:211], 1.0
	v_mul_f64 v[204:205], v[204:205], v[206:207]
	v_xor_b32_e32 v207, 0x80000000, v207
                                        ; implicit-def: $vgpr208_vgpr209
.LBB117_149:
	s_andn2_saveexec_b64 s[2:3], s[2:3]
	s_cbranch_execz .LBB117_151
; %bb.150:
	v_div_scale_f64 v[204:205], s[10:11], v[208:209], v[208:209], v[210:211]
	v_rcp_f64_e32 v[206:207], v[204:205]
	v_div_scale_f64 v[212:213], vcc, v[210:211], v[208:209], v[210:211]
	v_fma_f64 v[214:215], -v[204:205], v[206:207], 1.0
	v_fmac_f64_e32 v[206:207], v[206:207], v[214:215]
	v_fma_f64 v[214:215], -v[204:205], v[206:207], 1.0
	v_fmac_f64_e32 v[206:207], v[206:207], v[214:215]
	v_mul_f64 v[214:215], v[212:213], v[206:207]
	v_fma_f64 v[204:205], -v[204:205], v[214:215], v[212:213]
	v_div_fmas_f64 v[204:205], v[204:205], v[206:207], v[214:215]
	v_div_fixup_f64 v[206:207], v[204:205], v[208:209], v[210:211]
	v_fmac_f64_e32 v[208:209], v[210:211], v[206:207]
	v_div_scale_f64 v[204:205], s[10:11], v[208:209], v[208:209], 1.0
	v_rcp_f64_e32 v[210:211], v[204:205]
	s_nop 0
	v_fma_f64 v[212:213], -v[204:205], v[210:211], 1.0
	v_fmac_f64_e32 v[210:211], v[210:211], v[212:213]
	v_fma_f64 v[212:213], -v[204:205], v[210:211], 1.0
	v_fmac_f64_e32 v[210:211], v[210:211], v[212:213]
	v_div_scale_f64 v[212:213], vcc, 1.0, v[208:209], 1.0
	v_mul_f64 v[214:215], v[212:213], v[210:211]
	v_fma_f64 v[204:205], -v[204:205], v[214:215], v[212:213]
	s_nop 1
	v_div_fmas_f64 v[204:205], v[204:205], v[210:211], v[214:215]
	v_div_fixup_f64 v[204:205], v[204:205], v[208:209], 1.0
	v_mul_f64 v[206:207], v[206:207], -v[204:205]
.LBB117_151:
	s_or_b64 exec, exec, s[2:3]
	ds_write2_b64 v201, v[204:205], v[206:207] offset1:1
.LBB117_152:
	s_or_b64 exec, exec, s[4:5]
	s_waitcnt lgkmcnt(0)
	s_barrier
	ds_read2_b64 v[192:195], v201 offset1:1
	v_cmp_lt_u32_e32 vcc, 16, v200
	s_waitcnt lgkmcnt(0)
	scratch_store_dwordx4 off, v[192:195], off offset:872 ; 16-byte Folded Spill
	s_and_saveexec_b64 s[2:3], vcc
	s_cbranch_execz .LBB117_154
; %bb.153:
	scratch_load_dwordx4 v[192:195], off, off offset:872 ; 16-byte Folded Reload
	s_waitcnt vmcnt(0)
	v_mul_f64 v[204:205], v[194:195], v[166:167]
	v_fma_f64 v[208:209], v[192:193], v[164:165], -v[204:205]
	ds_read2_b64 v[204:207], v202 offset0:34 offset1:35
	v_mul_f64 v[166:167], v[192:193], v[166:167]
	v_fmac_f64_e32 v[166:167], v[194:195], v[164:165]
	s_waitcnt lgkmcnt(0)
	v_mul_f64 v[164:165], v[206:207], v[166:167]
	v_fma_f64 v[164:165], v[204:205], v[208:209], -v[164:165]
	v_mul_f64 v[204:205], v[204:205], v[166:167]
	v_fmac_f64_e32 v[204:205], v[206:207], v[208:209]
	v_add_f64 v[162:163], v[162:163], -v[204:205]
	ds_read2_b64 v[204:207], v202 offset0:36 offset1:37
	v_add_f64 v[160:161], v[160:161], -v[164:165]
	s_waitcnt lgkmcnt(0)
	v_mul_f64 v[164:165], v[206:207], v[166:167]
	v_fma_f64 v[164:165], v[204:205], v[208:209], -v[164:165]
	v_mul_f64 v[204:205], v[204:205], v[166:167]
	v_fmac_f64_e32 v[204:205], v[206:207], v[208:209]
	v_add_f64 v[158:159], v[158:159], -v[204:205]
	ds_read2_b64 v[204:207], v202 offset0:38 offset1:39
	v_add_f64 v[156:157], v[156:157], -v[164:165]
	;; [unrolled: 8-line block ×41, first 2 shown]
	s_waitcnt lgkmcnt(0)
	v_mul_f64 v[164:165], v[206:207], v[166:167]
	v_fma_f64 v[164:165], v[204:205], v[208:209], -v[164:165]
	v_mul_f64 v[204:205], v[204:205], v[166:167]
	v_fmac_f64_e32 v[204:205], v[206:207], v[208:209]
	v_add_f64 v[232:233], v[232:233], -v[164:165]
	v_add_f64 v[234:235], v[234:235], -v[204:205]
	v_mov_b64_e32 v[164:165], v[208:209]
.LBB117_154:
	s_or_b64 exec, exec, s[2:3]
	v_cmp_eq_u32_e32 vcc, 17, v200
	s_waitcnt vmcnt(63) expcnt(7) lgkmcnt(15)
	s_barrier
	s_and_saveexec_b64 s[4:5], vcc
	s_cbranch_execz .LBB117_161
; %bb.155:
	ds_write2_b64 v201, v[160:161], v[162:163] offset1:1
	ds_write2_b64 v202, v[156:157], v[158:159] offset0:36 offset1:37
	ds_write2_b64 v202, v[152:153], v[154:155] offset0:38 offset1:39
	ds_write2_b64 v202, v[148:149], v[150:151] offset0:40 offset1:41
	ds_write2_b64 v202, v[144:145], v[146:147] offset0:42 offset1:43
	ds_write2_b64 v202, v[140:141], v[142:143] offset0:44 offset1:45
	ds_write2_b64 v202, v[136:137], v[138:139] offset0:46 offset1:47
	ds_write2_b64 v202, v[132:133], v[134:135] offset0:48 offset1:49
	ds_write2_b64 v202, v[128:129], v[130:131] offset0:50 offset1:51
	ds_write2_b64 v202, v[124:125], v[126:127] offset0:52 offset1:53
	ds_write2_b64 v202, v[120:121], v[122:123] offset0:54 offset1:55
	ds_write2_b64 v202, v[116:117], v[118:119] offset0:56 offset1:57
	ds_write2_b64 v202, v[112:113], v[114:115] offset0:58 offset1:59
	ds_write2_b64 v202, v[108:109], v[110:111] offset0:60 offset1:61
	ds_write2_b64 v202, v[104:105], v[106:107] offset0:62 offset1:63
	ds_write2_b64 v202, v[100:101], v[102:103] offset0:64 offset1:65
	ds_write2_b64 v202, v[96:97], v[98:99] offset0:66 offset1:67
	ds_write2_b64 v202, v[92:93], v[94:95] offset0:68 offset1:69
	ds_write2_b64 v202, v[88:89], v[90:91] offset0:70 offset1:71
	ds_write2_b64 v202, v[84:85], v[86:87] offset0:72 offset1:73
	ds_write2_b64 v202, v[80:81], v[82:83] offset0:74 offset1:75
	ds_write2_b64 v202, v[76:77], v[78:79] offset0:76 offset1:77
	ds_write2_b64 v202, v[72:73], v[74:75] offset0:78 offset1:79
	s_waitcnt vmcnt(49)
	ds_write2_b64 v202, v[68:69], v[70:71] offset0:80 offset1:81
	s_waitcnt vmcnt(48)
	ds_write2_b64 v202, v[64:65], v[66:67] offset0:82 offset1:83
	;; [unrolled: 2-line block ×12, first 2 shown]
	ds_write2_b64 v202, v[20:21], v[22:23] offset0:104 offset1:105
	ds_write2_b64 v202, v[16:17], v[18:19] offset0:106 offset1:107
	;; [unrolled: 1-line block ×5, first 2 shown]
	s_waitcnt vmcnt(37)
	ds_write2_b64 v202, v[0:1], v[2:3] offset0:114 offset1:115
	s_waitcnt vmcnt(34)
	ds_write2_b64 v202, v[232:233], v[234:235] offset0:116 offset1:117
	ds_read2_b64 v[208:211], v201 offset1:1
	s_waitcnt lgkmcnt(0)
	v_cmp_neq_f64_e32 vcc, 0, v[208:209]
	v_cmp_neq_f64_e64 s[2:3], 0, v[210:211]
	s_or_b64 s[2:3], vcc, s[2:3]
	s_and_b64 exec, exec, s[2:3]
	s_cbranch_execz .LBB117_161
; %bb.156:
	v_cmp_ngt_f64_e64 s[2:3], |v[208:209]|, |v[210:211]|
                                        ; implicit-def: $vgpr204_vgpr205
	s_and_saveexec_b64 s[10:11], s[2:3]
	s_xor_b64 s[2:3], exec, s[10:11]
                                        ; implicit-def: $vgpr206_vgpr207
	s_cbranch_execz .LBB117_158
; %bb.157:
	v_div_scale_f64 v[204:205], s[10:11], v[210:211], v[210:211], v[208:209]
	v_rcp_f64_e32 v[206:207], v[204:205]
	v_div_scale_f64 v[212:213], vcc, v[208:209], v[210:211], v[208:209]
	v_fma_f64 v[214:215], -v[204:205], v[206:207], 1.0
	v_fmac_f64_e32 v[206:207], v[206:207], v[214:215]
	v_fma_f64 v[214:215], -v[204:205], v[206:207], 1.0
	v_fmac_f64_e32 v[206:207], v[206:207], v[214:215]
	v_mul_f64 v[214:215], v[212:213], v[206:207]
	v_fma_f64 v[204:205], -v[204:205], v[214:215], v[212:213]
	v_div_fmas_f64 v[204:205], v[204:205], v[206:207], v[214:215]
	v_div_fixup_f64 v[204:205], v[204:205], v[210:211], v[208:209]
	v_fmac_f64_e32 v[210:211], v[208:209], v[204:205]
	v_div_scale_f64 v[206:207], s[10:11], v[210:211], v[210:211], 1.0
	v_rcp_f64_e32 v[208:209], v[206:207]
	s_nop 0
	v_fma_f64 v[212:213], -v[206:207], v[208:209], 1.0
	v_fmac_f64_e32 v[208:209], v[208:209], v[212:213]
	v_fma_f64 v[212:213], -v[206:207], v[208:209], 1.0
	v_fmac_f64_e32 v[208:209], v[208:209], v[212:213]
	v_div_scale_f64 v[212:213], vcc, 1.0, v[210:211], 1.0
	v_mul_f64 v[214:215], v[212:213], v[208:209]
	v_fma_f64 v[206:207], -v[206:207], v[214:215], v[212:213]
	s_nop 1
	v_div_fmas_f64 v[206:207], v[206:207], v[208:209], v[214:215]
	v_div_fixup_f64 v[206:207], v[206:207], v[210:211], 1.0
	v_mul_f64 v[204:205], v[204:205], v[206:207]
	v_xor_b32_e32 v207, 0x80000000, v207
                                        ; implicit-def: $vgpr208_vgpr209
.LBB117_158:
	s_andn2_saveexec_b64 s[2:3], s[2:3]
	s_cbranch_execz .LBB117_160
; %bb.159:
	v_div_scale_f64 v[204:205], s[10:11], v[208:209], v[208:209], v[210:211]
	v_rcp_f64_e32 v[206:207], v[204:205]
	v_div_scale_f64 v[212:213], vcc, v[210:211], v[208:209], v[210:211]
	v_fma_f64 v[214:215], -v[204:205], v[206:207], 1.0
	v_fmac_f64_e32 v[206:207], v[206:207], v[214:215]
	v_fma_f64 v[214:215], -v[204:205], v[206:207], 1.0
	v_fmac_f64_e32 v[206:207], v[206:207], v[214:215]
	v_mul_f64 v[214:215], v[212:213], v[206:207]
	v_fma_f64 v[204:205], -v[204:205], v[214:215], v[212:213]
	v_div_fmas_f64 v[204:205], v[204:205], v[206:207], v[214:215]
	v_div_fixup_f64 v[206:207], v[204:205], v[208:209], v[210:211]
	v_fmac_f64_e32 v[208:209], v[210:211], v[206:207]
	v_div_scale_f64 v[204:205], s[10:11], v[208:209], v[208:209], 1.0
	v_rcp_f64_e32 v[210:211], v[204:205]
	s_nop 0
	v_fma_f64 v[212:213], -v[204:205], v[210:211], 1.0
	v_fmac_f64_e32 v[210:211], v[210:211], v[212:213]
	v_fma_f64 v[212:213], -v[204:205], v[210:211], 1.0
	v_fmac_f64_e32 v[210:211], v[210:211], v[212:213]
	v_div_scale_f64 v[212:213], vcc, 1.0, v[208:209], 1.0
	v_mul_f64 v[214:215], v[212:213], v[210:211]
	v_fma_f64 v[204:205], -v[204:205], v[214:215], v[212:213]
	s_nop 1
	v_div_fmas_f64 v[204:205], v[204:205], v[210:211], v[214:215]
	v_div_fixup_f64 v[204:205], v[204:205], v[208:209], 1.0
	v_mul_f64 v[206:207], v[206:207], -v[204:205]
.LBB117_160:
	s_or_b64 exec, exec, s[2:3]
	ds_write2_b64 v201, v[204:205], v[206:207] offset1:1
.LBB117_161:
	s_or_b64 exec, exec, s[4:5]
	s_waitcnt lgkmcnt(0)
	s_barrier
	ds_read2_b64 v[192:195], v201 offset1:1
	v_cmp_lt_u32_e32 vcc, 17, v200
	s_waitcnt lgkmcnt(0)
	scratch_store_dwordx4 off, v[192:195], off offset:888 ; 16-byte Folded Spill
	s_and_saveexec_b64 s[2:3], vcc
	s_cbranch_execz .LBB117_163
; %bb.162:
	scratch_load_dwordx4 v[192:195], off, off offset:888 ; 16-byte Folded Reload
	s_waitcnt vmcnt(0)
	v_mul_f64 v[204:205], v[194:195], v[162:163]
	v_fma_f64 v[208:209], v[192:193], v[160:161], -v[204:205]
	ds_read2_b64 v[204:207], v202 offset0:36 offset1:37
	v_mul_f64 v[162:163], v[192:193], v[162:163]
	v_fmac_f64_e32 v[162:163], v[194:195], v[160:161]
	s_waitcnt lgkmcnt(0)
	v_mul_f64 v[160:161], v[206:207], v[162:163]
	v_fma_f64 v[160:161], v[204:205], v[208:209], -v[160:161]
	v_mul_f64 v[204:205], v[204:205], v[162:163]
	v_fmac_f64_e32 v[204:205], v[206:207], v[208:209]
	v_add_f64 v[158:159], v[158:159], -v[204:205]
	ds_read2_b64 v[204:207], v202 offset0:38 offset1:39
	v_add_f64 v[156:157], v[156:157], -v[160:161]
	s_waitcnt lgkmcnt(0)
	v_mul_f64 v[160:161], v[206:207], v[162:163]
	v_fma_f64 v[160:161], v[204:205], v[208:209], -v[160:161]
	v_mul_f64 v[204:205], v[204:205], v[162:163]
	v_fmac_f64_e32 v[204:205], v[206:207], v[208:209]
	v_add_f64 v[154:155], v[154:155], -v[204:205]
	ds_read2_b64 v[204:207], v202 offset0:40 offset1:41
	v_add_f64 v[152:153], v[152:153], -v[160:161]
	s_waitcnt lgkmcnt(0)
	v_mul_f64 v[160:161], v[206:207], v[162:163]
	v_fma_f64 v[160:161], v[204:205], v[208:209], -v[160:161]
	v_mul_f64 v[204:205], v[204:205], v[162:163]
	v_fmac_f64_e32 v[204:205], v[206:207], v[208:209]
	v_add_f64 v[150:151], v[150:151], -v[204:205]
	ds_read2_b64 v[204:207], v202 offset0:42 offset1:43
	v_add_f64 v[148:149], v[148:149], -v[160:161]
	s_waitcnt lgkmcnt(0)
	v_mul_f64 v[160:161], v[206:207], v[162:163]
	v_fma_f64 v[160:161], v[204:205], v[208:209], -v[160:161]
	v_mul_f64 v[204:205], v[204:205], v[162:163]
	v_fmac_f64_e32 v[204:205], v[206:207], v[208:209]
	v_add_f64 v[146:147], v[146:147], -v[204:205]
	ds_read2_b64 v[204:207], v202 offset0:44 offset1:45
	v_add_f64 v[144:145], v[144:145], -v[160:161]
	s_waitcnt lgkmcnt(0)
	v_mul_f64 v[160:161], v[206:207], v[162:163]
	v_fma_f64 v[160:161], v[204:205], v[208:209], -v[160:161]
	v_mul_f64 v[204:205], v[204:205], v[162:163]
	v_fmac_f64_e32 v[204:205], v[206:207], v[208:209]
	v_add_f64 v[142:143], v[142:143], -v[204:205]
	ds_read2_b64 v[204:207], v202 offset0:46 offset1:47
	v_add_f64 v[140:141], v[140:141], -v[160:161]
	s_waitcnt lgkmcnt(0)
	v_mul_f64 v[160:161], v[206:207], v[162:163]
	v_fma_f64 v[160:161], v[204:205], v[208:209], -v[160:161]
	v_mul_f64 v[204:205], v[204:205], v[162:163]
	v_fmac_f64_e32 v[204:205], v[206:207], v[208:209]
	v_add_f64 v[138:139], v[138:139], -v[204:205]
	ds_read2_b64 v[204:207], v202 offset0:48 offset1:49
	v_add_f64 v[136:137], v[136:137], -v[160:161]
	s_waitcnt lgkmcnt(0)
	v_mul_f64 v[160:161], v[206:207], v[162:163]
	v_fma_f64 v[160:161], v[204:205], v[208:209], -v[160:161]
	v_mul_f64 v[204:205], v[204:205], v[162:163]
	v_fmac_f64_e32 v[204:205], v[206:207], v[208:209]
	v_add_f64 v[134:135], v[134:135], -v[204:205]
	ds_read2_b64 v[204:207], v202 offset0:50 offset1:51
	v_add_f64 v[132:133], v[132:133], -v[160:161]
	s_waitcnt lgkmcnt(0)
	v_mul_f64 v[160:161], v[206:207], v[162:163]
	v_fma_f64 v[160:161], v[204:205], v[208:209], -v[160:161]
	v_mul_f64 v[204:205], v[204:205], v[162:163]
	v_fmac_f64_e32 v[204:205], v[206:207], v[208:209]
	v_add_f64 v[130:131], v[130:131], -v[204:205]
	ds_read2_b64 v[204:207], v202 offset0:52 offset1:53
	v_add_f64 v[128:129], v[128:129], -v[160:161]
	s_waitcnt lgkmcnt(0)
	v_mul_f64 v[160:161], v[206:207], v[162:163]
	v_fma_f64 v[160:161], v[204:205], v[208:209], -v[160:161]
	v_mul_f64 v[204:205], v[204:205], v[162:163]
	v_fmac_f64_e32 v[204:205], v[206:207], v[208:209]
	v_add_f64 v[126:127], v[126:127], -v[204:205]
	ds_read2_b64 v[204:207], v202 offset0:54 offset1:55
	v_add_f64 v[124:125], v[124:125], -v[160:161]
	s_waitcnt lgkmcnt(0)
	v_mul_f64 v[160:161], v[206:207], v[162:163]
	v_fma_f64 v[160:161], v[204:205], v[208:209], -v[160:161]
	v_mul_f64 v[204:205], v[204:205], v[162:163]
	v_fmac_f64_e32 v[204:205], v[206:207], v[208:209]
	v_add_f64 v[122:123], v[122:123], -v[204:205]
	ds_read2_b64 v[204:207], v202 offset0:56 offset1:57
	v_add_f64 v[120:121], v[120:121], -v[160:161]
	s_waitcnt lgkmcnt(0)
	v_mul_f64 v[160:161], v[206:207], v[162:163]
	v_fma_f64 v[160:161], v[204:205], v[208:209], -v[160:161]
	v_mul_f64 v[204:205], v[204:205], v[162:163]
	v_fmac_f64_e32 v[204:205], v[206:207], v[208:209]
	v_add_f64 v[118:119], v[118:119], -v[204:205]
	ds_read2_b64 v[204:207], v202 offset0:58 offset1:59
	v_add_f64 v[116:117], v[116:117], -v[160:161]
	s_waitcnt lgkmcnt(0)
	v_mul_f64 v[160:161], v[206:207], v[162:163]
	v_fma_f64 v[160:161], v[204:205], v[208:209], -v[160:161]
	v_mul_f64 v[204:205], v[204:205], v[162:163]
	v_fmac_f64_e32 v[204:205], v[206:207], v[208:209]
	v_add_f64 v[114:115], v[114:115], -v[204:205]
	ds_read2_b64 v[204:207], v202 offset0:60 offset1:61
	v_add_f64 v[112:113], v[112:113], -v[160:161]
	s_waitcnt lgkmcnt(0)
	v_mul_f64 v[160:161], v[206:207], v[162:163]
	v_fma_f64 v[160:161], v[204:205], v[208:209], -v[160:161]
	v_mul_f64 v[204:205], v[204:205], v[162:163]
	v_fmac_f64_e32 v[204:205], v[206:207], v[208:209]
	v_add_f64 v[110:111], v[110:111], -v[204:205]
	ds_read2_b64 v[204:207], v202 offset0:62 offset1:63
	v_add_f64 v[108:109], v[108:109], -v[160:161]
	s_waitcnt lgkmcnt(0)
	v_mul_f64 v[160:161], v[206:207], v[162:163]
	v_fma_f64 v[160:161], v[204:205], v[208:209], -v[160:161]
	v_mul_f64 v[204:205], v[204:205], v[162:163]
	v_fmac_f64_e32 v[204:205], v[206:207], v[208:209]
	v_add_f64 v[106:107], v[106:107], -v[204:205]
	ds_read2_b64 v[204:207], v202 offset0:64 offset1:65
	v_add_f64 v[104:105], v[104:105], -v[160:161]
	s_waitcnt lgkmcnt(0)
	v_mul_f64 v[160:161], v[206:207], v[162:163]
	v_fma_f64 v[160:161], v[204:205], v[208:209], -v[160:161]
	v_mul_f64 v[204:205], v[204:205], v[162:163]
	v_fmac_f64_e32 v[204:205], v[206:207], v[208:209]
	v_add_f64 v[102:103], v[102:103], -v[204:205]
	ds_read2_b64 v[204:207], v202 offset0:66 offset1:67
	v_add_f64 v[100:101], v[100:101], -v[160:161]
	s_waitcnt lgkmcnt(0)
	v_mul_f64 v[160:161], v[206:207], v[162:163]
	v_fma_f64 v[160:161], v[204:205], v[208:209], -v[160:161]
	v_mul_f64 v[204:205], v[204:205], v[162:163]
	v_fmac_f64_e32 v[204:205], v[206:207], v[208:209]
	v_add_f64 v[98:99], v[98:99], -v[204:205]
	ds_read2_b64 v[204:207], v202 offset0:68 offset1:69
	v_add_f64 v[96:97], v[96:97], -v[160:161]
	s_waitcnt lgkmcnt(0)
	v_mul_f64 v[160:161], v[206:207], v[162:163]
	v_fma_f64 v[160:161], v[204:205], v[208:209], -v[160:161]
	v_mul_f64 v[204:205], v[204:205], v[162:163]
	v_fmac_f64_e32 v[204:205], v[206:207], v[208:209]
	v_add_f64 v[94:95], v[94:95], -v[204:205]
	ds_read2_b64 v[204:207], v202 offset0:70 offset1:71
	v_add_f64 v[92:93], v[92:93], -v[160:161]
	s_waitcnt lgkmcnt(0)
	v_mul_f64 v[160:161], v[206:207], v[162:163]
	v_fma_f64 v[160:161], v[204:205], v[208:209], -v[160:161]
	v_mul_f64 v[204:205], v[204:205], v[162:163]
	v_fmac_f64_e32 v[204:205], v[206:207], v[208:209]
	v_add_f64 v[90:91], v[90:91], -v[204:205]
	ds_read2_b64 v[204:207], v202 offset0:72 offset1:73
	v_add_f64 v[88:89], v[88:89], -v[160:161]
	s_waitcnt lgkmcnt(0)
	v_mul_f64 v[160:161], v[206:207], v[162:163]
	v_fma_f64 v[160:161], v[204:205], v[208:209], -v[160:161]
	v_mul_f64 v[204:205], v[204:205], v[162:163]
	v_fmac_f64_e32 v[204:205], v[206:207], v[208:209]
	v_add_f64 v[86:87], v[86:87], -v[204:205]
	ds_read2_b64 v[204:207], v202 offset0:74 offset1:75
	v_add_f64 v[84:85], v[84:85], -v[160:161]
	s_waitcnt lgkmcnt(0)
	v_mul_f64 v[160:161], v[206:207], v[162:163]
	v_fma_f64 v[160:161], v[204:205], v[208:209], -v[160:161]
	v_mul_f64 v[204:205], v[204:205], v[162:163]
	v_fmac_f64_e32 v[204:205], v[206:207], v[208:209]
	v_add_f64 v[82:83], v[82:83], -v[204:205]
	ds_read2_b64 v[204:207], v202 offset0:76 offset1:77
	v_add_f64 v[80:81], v[80:81], -v[160:161]
	s_waitcnt lgkmcnt(0)
	v_mul_f64 v[160:161], v[206:207], v[162:163]
	v_fma_f64 v[160:161], v[204:205], v[208:209], -v[160:161]
	v_mul_f64 v[204:205], v[204:205], v[162:163]
	v_fmac_f64_e32 v[204:205], v[206:207], v[208:209]
	v_add_f64 v[78:79], v[78:79], -v[204:205]
	ds_read2_b64 v[204:207], v202 offset0:78 offset1:79
	v_add_f64 v[76:77], v[76:77], -v[160:161]
	s_waitcnt lgkmcnt(0)
	v_mul_f64 v[160:161], v[206:207], v[162:163]
	v_fma_f64 v[160:161], v[204:205], v[208:209], -v[160:161]
	v_mul_f64 v[204:205], v[204:205], v[162:163]
	v_fmac_f64_e32 v[204:205], v[206:207], v[208:209]
	v_add_f64 v[74:75], v[74:75], -v[204:205]
	ds_read2_b64 v[204:207], v202 offset0:80 offset1:81
	v_add_f64 v[72:73], v[72:73], -v[160:161]
	s_waitcnt lgkmcnt(0)
	v_mul_f64 v[160:161], v[206:207], v[162:163]
	v_fma_f64 v[160:161], v[204:205], v[208:209], -v[160:161]
	v_mul_f64 v[204:205], v[204:205], v[162:163]
	v_fmac_f64_e32 v[204:205], v[206:207], v[208:209]
	v_add_f64 v[70:71], v[70:71], -v[204:205]
	ds_read2_b64 v[204:207], v202 offset0:82 offset1:83
	v_add_f64 v[68:69], v[68:69], -v[160:161]
	s_waitcnt lgkmcnt(0)
	v_mul_f64 v[160:161], v[206:207], v[162:163]
	v_fma_f64 v[160:161], v[204:205], v[208:209], -v[160:161]
	v_mul_f64 v[204:205], v[204:205], v[162:163]
	v_fmac_f64_e32 v[204:205], v[206:207], v[208:209]
	v_add_f64 v[66:67], v[66:67], -v[204:205]
	ds_read2_b64 v[204:207], v202 offset0:84 offset1:85
	v_add_f64 v[64:65], v[64:65], -v[160:161]
	s_waitcnt lgkmcnt(0)
	v_mul_f64 v[160:161], v[206:207], v[162:163]
	v_fma_f64 v[160:161], v[204:205], v[208:209], -v[160:161]
	v_mul_f64 v[204:205], v[204:205], v[162:163]
	v_fmac_f64_e32 v[204:205], v[206:207], v[208:209]
	v_add_f64 v[62:63], v[62:63], -v[204:205]
	ds_read2_b64 v[204:207], v202 offset0:86 offset1:87
	v_add_f64 v[60:61], v[60:61], -v[160:161]
	s_waitcnt lgkmcnt(0)
	v_mul_f64 v[160:161], v[206:207], v[162:163]
	v_fma_f64 v[160:161], v[204:205], v[208:209], -v[160:161]
	v_mul_f64 v[204:205], v[204:205], v[162:163]
	v_fmac_f64_e32 v[204:205], v[206:207], v[208:209]
	v_add_f64 v[58:59], v[58:59], -v[204:205]
	ds_read2_b64 v[204:207], v202 offset0:88 offset1:89
	v_add_f64 v[56:57], v[56:57], -v[160:161]
	s_waitcnt lgkmcnt(0)
	v_mul_f64 v[160:161], v[206:207], v[162:163]
	v_fma_f64 v[160:161], v[204:205], v[208:209], -v[160:161]
	v_mul_f64 v[204:205], v[204:205], v[162:163]
	v_fmac_f64_e32 v[204:205], v[206:207], v[208:209]
	v_add_f64 v[54:55], v[54:55], -v[204:205]
	ds_read2_b64 v[204:207], v202 offset0:90 offset1:91
	v_add_f64 v[52:53], v[52:53], -v[160:161]
	s_waitcnt lgkmcnt(0)
	v_mul_f64 v[160:161], v[206:207], v[162:163]
	v_fma_f64 v[160:161], v[204:205], v[208:209], -v[160:161]
	v_mul_f64 v[204:205], v[204:205], v[162:163]
	v_fmac_f64_e32 v[204:205], v[206:207], v[208:209]
	v_add_f64 v[50:51], v[50:51], -v[204:205]
	ds_read2_b64 v[204:207], v202 offset0:92 offset1:93
	v_add_f64 v[48:49], v[48:49], -v[160:161]
	s_waitcnt lgkmcnt(0)
	v_mul_f64 v[160:161], v[206:207], v[162:163]
	v_fma_f64 v[160:161], v[204:205], v[208:209], -v[160:161]
	v_mul_f64 v[204:205], v[204:205], v[162:163]
	v_fmac_f64_e32 v[204:205], v[206:207], v[208:209]
	v_add_f64 v[46:47], v[46:47], -v[204:205]
	ds_read2_b64 v[204:207], v202 offset0:94 offset1:95
	v_add_f64 v[44:45], v[44:45], -v[160:161]
	s_waitcnt lgkmcnt(0)
	v_mul_f64 v[160:161], v[206:207], v[162:163]
	v_fma_f64 v[160:161], v[204:205], v[208:209], -v[160:161]
	v_mul_f64 v[204:205], v[204:205], v[162:163]
	v_fmac_f64_e32 v[204:205], v[206:207], v[208:209]
	v_add_f64 v[42:43], v[42:43], -v[204:205]
	ds_read2_b64 v[204:207], v202 offset0:96 offset1:97
	v_add_f64 v[40:41], v[40:41], -v[160:161]
	s_waitcnt lgkmcnt(0)
	v_mul_f64 v[160:161], v[206:207], v[162:163]
	v_fma_f64 v[160:161], v[204:205], v[208:209], -v[160:161]
	v_mul_f64 v[204:205], v[204:205], v[162:163]
	v_fmac_f64_e32 v[204:205], v[206:207], v[208:209]
	v_add_f64 v[38:39], v[38:39], -v[204:205]
	ds_read2_b64 v[204:207], v202 offset0:98 offset1:99
	v_add_f64 v[36:37], v[36:37], -v[160:161]
	s_waitcnt lgkmcnt(0)
	v_mul_f64 v[160:161], v[206:207], v[162:163]
	v_fma_f64 v[160:161], v[204:205], v[208:209], -v[160:161]
	v_mul_f64 v[204:205], v[204:205], v[162:163]
	v_fmac_f64_e32 v[204:205], v[206:207], v[208:209]
	v_add_f64 v[34:35], v[34:35], -v[204:205]
	ds_read2_b64 v[204:207], v202 offset0:100 offset1:101
	v_add_f64 v[32:33], v[32:33], -v[160:161]
	s_waitcnt lgkmcnt(0)
	v_mul_f64 v[160:161], v[206:207], v[162:163]
	v_fma_f64 v[160:161], v[204:205], v[208:209], -v[160:161]
	v_mul_f64 v[204:205], v[204:205], v[162:163]
	v_fmac_f64_e32 v[204:205], v[206:207], v[208:209]
	v_add_f64 v[30:31], v[30:31], -v[204:205]
	ds_read2_b64 v[204:207], v202 offset0:102 offset1:103
	v_add_f64 v[28:29], v[28:29], -v[160:161]
	s_waitcnt lgkmcnt(0)
	v_mul_f64 v[160:161], v[206:207], v[162:163]
	v_fma_f64 v[160:161], v[204:205], v[208:209], -v[160:161]
	v_mul_f64 v[204:205], v[204:205], v[162:163]
	v_fmac_f64_e32 v[204:205], v[206:207], v[208:209]
	v_add_f64 v[26:27], v[26:27], -v[204:205]
	ds_read2_b64 v[204:207], v202 offset0:104 offset1:105
	v_add_f64 v[24:25], v[24:25], -v[160:161]
	s_waitcnt lgkmcnt(0)
	v_mul_f64 v[160:161], v[206:207], v[162:163]
	v_fma_f64 v[160:161], v[204:205], v[208:209], -v[160:161]
	v_mul_f64 v[204:205], v[204:205], v[162:163]
	v_fmac_f64_e32 v[204:205], v[206:207], v[208:209]
	v_add_f64 v[22:23], v[22:23], -v[204:205]
	ds_read2_b64 v[204:207], v202 offset0:106 offset1:107
	v_add_f64 v[20:21], v[20:21], -v[160:161]
	s_waitcnt lgkmcnt(0)
	v_mul_f64 v[160:161], v[206:207], v[162:163]
	v_fma_f64 v[160:161], v[204:205], v[208:209], -v[160:161]
	v_mul_f64 v[204:205], v[204:205], v[162:163]
	v_fmac_f64_e32 v[204:205], v[206:207], v[208:209]
	v_add_f64 v[18:19], v[18:19], -v[204:205]
	ds_read2_b64 v[204:207], v202 offset0:108 offset1:109
	v_add_f64 v[16:17], v[16:17], -v[160:161]
	s_waitcnt lgkmcnt(0)
	v_mul_f64 v[160:161], v[206:207], v[162:163]
	v_fma_f64 v[160:161], v[204:205], v[208:209], -v[160:161]
	v_mul_f64 v[204:205], v[204:205], v[162:163]
	v_fmac_f64_e32 v[204:205], v[206:207], v[208:209]
	v_add_f64 v[14:15], v[14:15], -v[204:205]
	ds_read2_b64 v[204:207], v202 offset0:110 offset1:111
	v_add_f64 v[12:13], v[12:13], -v[160:161]
	s_waitcnt lgkmcnt(0)
	v_mul_f64 v[160:161], v[206:207], v[162:163]
	v_fma_f64 v[160:161], v[204:205], v[208:209], -v[160:161]
	v_mul_f64 v[204:205], v[204:205], v[162:163]
	v_fmac_f64_e32 v[204:205], v[206:207], v[208:209]
	v_add_f64 v[10:11], v[10:11], -v[204:205]
	ds_read2_b64 v[204:207], v202 offset0:112 offset1:113
	v_add_f64 v[8:9], v[8:9], -v[160:161]
	s_waitcnt lgkmcnt(0)
	v_mul_f64 v[160:161], v[206:207], v[162:163]
	v_fma_f64 v[160:161], v[204:205], v[208:209], -v[160:161]
	v_mul_f64 v[204:205], v[204:205], v[162:163]
	v_fmac_f64_e32 v[204:205], v[206:207], v[208:209]
	v_add_f64 v[6:7], v[6:7], -v[204:205]
	ds_read2_b64 v[204:207], v202 offset0:114 offset1:115
	v_add_f64 v[4:5], v[4:5], -v[160:161]
	s_waitcnt lgkmcnt(0)
	v_mul_f64 v[160:161], v[206:207], v[162:163]
	v_fma_f64 v[160:161], v[204:205], v[208:209], -v[160:161]
	v_mul_f64 v[204:205], v[204:205], v[162:163]
	v_fmac_f64_e32 v[204:205], v[206:207], v[208:209]
	v_add_f64 v[2:3], v[2:3], -v[204:205]
	ds_read2_b64 v[204:207], v202 offset0:116 offset1:117
	v_add_f64 v[0:1], v[0:1], -v[160:161]
	s_waitcnt lgkmcnt(0)
	v_mul_f64 v[160:161], v[206:207], v[162:163]
	v_fma_f64 v[160:161], v[204:205], v[208:209], -v[160:161]
	v_mul_f64 v[204:205], v[204:205], v[162:163]
	v_fmac_f64_e32 v[204:205], v[206:207], v[208:209]
	v_add_f64 v[232:233], v[232:233], -v[160:161]
	v_add_f64 v[234:235], v[234:235], -v[204:205]
	v_mov_b64_e32 v[160:161], v[208:209]
.LBB117_163:
	s_or_b64 exec, exec, s[2:3]
	v_cmp_eq_u32_e32 vcc, 18, v200
	s_waitcnt vmcnt(63) expcnt(7) lgkmcnt(15)
	s_barrier
	s_and_saveexec_b64 s[4:5], vcc
	s_cbranch_execz .LBB117_170
; %bb.164:
	ds_write2_b64 v201, v[156:157], v[158:159] offset1:1
	ds_write2_b64 v202, v[152:153], v[154:155] offset0:38 offset1:39
	ds_write2_b64 v202, v[148:149], v[150:151] offset0:40 offset1:41
	;; [unrolled: 1-line block ×21, first 2 shown]
	s_waitcnt vmcnt(50)
	ds_write2_b64 v202, v[68:69], v[70:71] offset0:80 offset1:81
	s_waitcnt vmcnt(49)
	ds_write2_b64 v202, v[64:65], v[66:67] offset0:82 offset1:83
	;; [unrolled: 2-line block ×12, first 2 shown]
	ds_write2_b64 v202, v[20:21], v[22:23] offset0:104 offset1:105
	ds_write2_b64 v202, v[16:17], v[18:19] offset0:106 offset1:107
	;; [unrolled: 1-line block ×5, first 2 shown]
	s_waitcnt vmcnt(38)
	ds_write2_b64 v202, v[0:1], v[2:3] offset0:114 offset1:115
	s_waitcnt vmcnt(35)
	ds_write2_b64 v202, v[232:233], v[234:235] offset0:116 offset1:117
	ds_read2_b64 v[208:211], v201 offset1:1
	s_waitcnt lgkmcnt(0)
	v_cmp_neq_f64_e32 vcc, 0, v[208:209]
	v_cmp_neq_f64_e64 s[2:3], 0, v[210:211]
	s_or_b64 s[2:3], vcc, s[2:3]
	s_and_b64 exec, exec, s[2:3]
	s_cbranch_execz .LBB117_170
; %bb.165:
	v_cmp_ngt_f64_e64 s[2:3], |v[208:209]|, |v[210:211]|
                                        ; implicit-def: $vgpr204_vgpr205
	s_and_saveexec_b64 s[10:11], s[2:3]
	s_xor_b64 s[2:3], exec, s[10:11]
                                        ; implicit-def: $vgpr206_vgpr207
	s_cbranch_execz .LBB117_167
; %bb.166:
	v_div_scale_f64 v[204:205], s[10:11], v[210:211], v[210:211], v[208:209]
	v_rcp_f64_e32 v[206:207], v[204:205]
	v_div_scale_f64 v[212:213], vcc, v[208:209], v[210:211], v[208:209]
	v_fma_f64 v[214:215], -v[204:205], v[206:207], 1.0
	v_fmac_f64_e32 v[206:207], v[206:207], v[214:215]
	v_fma_f64 v[214:215], -v[204:205], v[206:207], 1.0
	v_fmac_f64_e32 v[206:207], v[206:207], v[214:215]
	v_mul_f64 v[214:215], v[212:213], v[206:207]
	v_fma_f64 v[204:205], -v[204:205], v[214:215], v[212:213]
	v_div_fmas_f64 v[204:205], v[204:205], v[206:207], v[214:215]
	v_div_fixup_f64 v[204:205], v[204:205], v[210:211], v[208:209]
	v_fmac_f64_e32 v[210:211], v[208:209], v[204:205]
	v_div_scale_f64 v[206:207], s[10:11], v[210:211], v[210:211], 1.0
	v_rcp_f64_e32 v[208:209], v[206:207]
	s_nop 0
	v_fma_f64 v[212:213], -v[206:207], v[208:209], 1.0
	v_fmac_f64_e32 v[208:209], v[208:209], v[212:213]
	v_fma_f64 v[212:213], -v[206:207], v[208:209], 1.0
	v_fmac_f64_e32 v[208:209], v[208:209], v[212:213]
	v_div_scale_f64 v[212:213], vcc, 1.0, v[210:211], 1.0
	v_mul_f64 v[214:215], v[212:213], v[208:209]
	v_fma_f64 v[206:207], -v[206:207], v[214:215], v[212:213]
	s_nop 1
	v_div_fmas_f64 v[206:207], v[206:207], v[208:209], v[214:215]
	v_div_fixup_f64 v[206:207], v[206:207], v[210:211], 1.0
	v_mul_f64 v[204:205], v[204:205], v[206:207]
	v_xor_b32_e32 v207, 0x80000000, v207
                                        ; implicit-def: $vgpr208_vgpr209
.LBB117_167:
	s_andn2_saveexec_b64 s[2:3], s[2:3]
	s_cbranch_execz .LBB117_169
; %bb.168:
	v_div_scale_f64 v[204:205], s[10:11], v[208:209], v[208:209], v[210:211]
	v_rcp_f64_e32 v[206:207], v[204:205]
	v_div_scale_f64 v[212:213], vcc, v[210:211], v[208:209], v[210:211]
	v_fma_f64 v[214:215], -v[204:205], v[206:207], 1.0
	v_fmac_f64_e32 v[206:207], v[206:207], v[214:215]
	v_fma_f64 v[214:215], -v[204:205], v[206:207], 1.0
	v_fmac_f64_e32 v[206:207], v[206:207], v[214:215]
	v_mul_f64 v[214:215], v[212:213], v[206:207]
	v_fma_f64 v[204:205], -v[204:205], v[214:215], v[212:213]
	v_div_fmas_f64 v[204:205], v[204:205], v[206:207], v[214:215]
	v_div_fixup_f64 v[206:207], v[204:205], v[208:209], v[210:211]
	v_fmac_f64_e32 v[208:209], v[210:211], v[206:207]
	v_div_scale_f64 v[204:205], s[10:11], v[208:209], v[208:209], 1.0
	v_rcp_f64_e32 v[210:211], v[204:205]
	s_nop 0
	v_fma_f64 v[212:213], -v[204:205], v[210:211], 1.0
	v_fmac_f64_e32 v[210:211], v[210:211], v[212:213]
	v_fma_f64 v[212:213], -v[204:205], v[210:211], 1.0
	v_fmac_f64_e32 v[210:211], v[210:211], v[212:213]
	v_div_scale_f64 v[212:213], vcc, 1.0, v[208:209], 1.0
	v_mul_f64 v[214:215], v[212:213], v[210:211]
	v_fma_f64 v[204:205], -v[204:205], v[214:215], v[212:213]
	s_nop 1
	v_div_fmas_f64 v[204:205], v[204:205], v[210:211], v[214:215]
	v_div_fixup_f64 v[204:205], v[204:205], v[208:209], 1.0
	v_mul_f64 v[206:207], v[206:207], -v[204:205]
.LBB117_169:
	s_or_b64 exec, exec, s[2:3]
	ds_write2_b64 v201, v[204:205], v[206:207] offset1:1
.LBB117_170:
	s_or_b64 exec, exec, s[4:5]
	s_waitcnt lgkmcnt(0)
	s_barrier
	ds_read2_b64 v[192:195], v201 offset1:1
	v_cmp_lt_u32_e32 vcc, 18, v200
	s_waitcnt lgkmcnt(0)
	scratch_store_dwordx4 off, v[192:195], off offset:904 ; 16-byte Folded Spill
	s_and_saveexec_b64 s[2:3], vcc
	s_cbranch_execz .LBB117_172
; %bb.171:
	scratch_load_dwordx4 v[192:195], off, off offset:904 ; 16-byte Folded Reload
	s_waitcnt vmcnt(0)
	v_mul_f64 v[204:205], v[194:195], v[158:159]
	v_fma_f64 v[208:209], v[192:193], v[156:157], -v[204:205]
	ds_read2_b64 v[204:207], v202 offset0:38 offset1:39
	v_mul_f64 v[158:159], v[192:193], v[158:159]
	v_fmac_f64_e32 v[158:159], v[194:195], v[156:157]
	s_waitcnt lgkmcnt(0)
	v_mul_f64 v[156:157], v[206:207], v[158:159]
	v_fma_f64 v[156:157], v[204:205], v[208:209], -v[156:157]
	v_mul_f64 v[204:205], v[204:205], v[158:159]
	v_fmac_f64_e32 v[204:205], v[206:207], v[208:209]
	v_add_f64 v[154:155], v[154:155], -v[204:205]
	ds_read2_b64 v[204:207], v202 offset0:40 offset1:41
	v_add_f64 v[152:153], v[152:153], -v[156:157]
	s_waitcnt lgkmcnt(0)
	v_mul_f64 v[156:157], v[206:207], v[158:159]
	v_fma_f64 v[156:157], v[204:205], v[208:209], -v[156:157]
	v_mul_f64 v[204:205], v[204:205], v[158:159]
	v_fmac_f64_e32 v[204:205], v[206:207], v[208:209]
	v_add_f64 v[150:151], v[150:151], -v[204:205]
	ds_read2_b64 v[204:207], v202 offset0:42 offset1:43
	v_add_f64 v[148:149], v[148:149], -v[156:157]
	;; [unrolled: 8-line block ×39, first 2 shown]
	s_waitcnt lgkmcnt(0)
	v_mul_f64 v[156:157], v[206:207], v[158:159]
	v_fma_f64 v[156:157], v[204:205], v[208:209], -v[156:157]
	v_mul_f64 v[204:205], v[204:205], v[158:159]
	v_fmac_f64_e32 v[204:205], v[206:207], v[208:209]
	v_add_f64 v[232:233], v[232:233], -v[156:157]
	v_add_f64 v[234:235], v[234:235], -v[204:205]
	v_mov_b64_e32 v[156:157], v[208:209]
.LBB117_172:
	s_or_b64 exec, exec, s[2:3]
	v_cmp_eq_u32_e32 vcc, 19, v200
	s_waitcnt vmcnt(63) expcnt(7) lgkmcnt(15)
	s_barrier
	s_and_saveexec_b64 s[4:5], vcc
	s_cbranch_execz .LBB117_179
; %bb.173:
	ds_write2_b64 v201, v[152:153], v[154:155] offset1:1
	ds_write2_b64 v202, v[148:149], v[150:151] offset0:40 offset1:41
	ds_write2_b64 v202, v[144:145], v[146:147] offset0:42 offset1:43
	;; [unrolled: 1-line block ×20, first 2 shown]
	s_waitcnt vmcnt(51)
	ds_write2_b64 v202, v[68:69], v[70:71] offset0:80 offset1:81
	s_waitcnt vmcnt(50)
	ds_write2_b64 v202, v[64:65], v[66:67] offset0:82 offset1:83
	;; [unrolled: 2-line block ×12, first 2 shown]
	ds_write2_b64 v202, v[20:21], v[22:23] offset0:104 offset1:105
	ds_write2_b64 v202, v[16:17], v[18:19] offset0:106 offset1:107
	ds_write2_b64 v202, v[12:13], v[14:15] offset0:108 offset1:109
	ds_write2_b64 v202, v[8:9], v[10:11] offset0:110 offset1:111
	ds_write2_b64 v202, v[4:5], v[6:7] offset0:112 offset1:113
	s_waitcnt vmcnt(39)
	ds_write2_b64 v202, v[0:1], v[2:3] offset0:114 offset1:115
	s_waitcnt vmcnt(36)
	ds_write2_b64 v202, v[232:233], v[234:235] offset0:116 offset1:117
	ds_read2_b64 v[208:211], v201 offset1:1
	s_waitcnt lgkmcnt(0)
	v_cmp_neq_f64_e32 vcc, 0, v[208:209]
	v_cmp_neq_f64_e64 s[2:3], 0, v[210:211]
	s_or_b64 s[2:3], vcc, s[2:3]
	s_and_b64 exec, exec, s[2:3]
	s_cbranch_execz .LBB117_179
; %bb.174:
	v_cmp_ngt_f64_e64 s[2:3], |v[208:209]|, |v[210:211]|
                                        ; implicit-def: $vgpr204_vgpr205
	s_and_saveexec_b64 s[10:11], s[2:3]
	s_xor_b64 s[2:3], exec, s[10:11]
                                        ; implicit-def: $vgpr206_vgpr207
	s_cbranch_execz .LBB117_176
; %bb.175:
	v_div_scale_f64 v[204:205], s[10:11], v[210:211], v[210:211], v[208:209]
	v_rcp_f64_e32 v[206:207], v[204:205]
	v_div_scale_f64 v[212:213], vcc, v[208:209], v[210:211], v[208:209]
	v_fma_f64 v[214:215], -v[204:205], v[206:207], 1.0
	v_fmac_f64_e32 v[206:207], v[206:207], v[214:215]
	v_fma_f64 v[214:215], -v[204:205], v[206:207], 1.0
	v_fmac_f64_e32 v[206:207], v[206:207], v[214:215]
	v_mul_f64 v[214:215], v[212:213], v[206:207]
	v_fma_f64 v[204:205], -v[204:205], v[214:215], v[212:213]
	v_div_fmas_f64 v[204:205], v[204:205], v[206:207], v[214:215]
	v_div_fixup_f64 v[204:205], v[204:205], v[210:211], v[208:209]
	v_fmac_f64_e32 v[210:211], v[208:209], v[204:205]
	v_div_scale_f64 v[206:207], s[10:11], v[210:211], v[210:211], 1.0
	v_rcp_f64_e32 v[208:209], v[206:207]
	s_nop 0
	v_fma_f64 v[212:213], -v[206:207], v[208:209], 1.0
	v_fmac_f64_e32 v[208:209], v[208:209], v[212:213]
	v_fma_f64 v[212:213], -v[206:207], v[208:209], 1.0
	v_fmac_f64_e32 v[208:209], v[208:209], v[212:213]
	v_div_scale_f64 v[212:213], vcc, 1.0, v[210:211], 1.0
	v_mul_f64 v[214:215], v[212:213], v[208:209]
	v_fma_f64 v[206:207], -v[206:207], v[214:215], v[212:213]
	s_nop 1
	v_div_fmas_f64 v[206:207], v[206:207], v[208:209], v[214:215]
	v_div_fixup_f64 v[206:207], v[206:207], v[210:211], 1.0
	v_mul_f64 v[204:205], v[204:205], v[206:207]
	v_xor_b32_e32 v207, 0x80000000, v207
                                        ; implicit-def: $vgpr208_vgpr209
.LBB117_176:
	s_andn2_saveexec_b64 s[2:3], s[2:3]
	s_cbranch_execz .LBB117_178
; %bb.177:
	v_div_scale_f64 v[204:205], s[10:11], v[208:209], v[208:209], v[210:211]
	v_rcp_f64_e32 v[206:207], v[204:205]
	v_div_scale_f64 v[212:213], vcc, v[210:211], v[208:209], v[210:211]
	v_fma_f64 v[214:215], -v[204:205], v[206:207], 1.0
	v_fmac_f64_e32 v[206:207], v[206:207], v[214:215]
	v_fma_f64 v[214:215], -v[204:205], v[206:207], 1.0
	v_fmac_f64_e32 v[206:207], v[206:207], v[214:215]
	v_mul_f64 v[214:215], v[212:213], v[206:207]
	v_fma_f64 v[204:205], -v[204:205], v[214:215], v[212:213]
	v_div_fmas_f64 v[204:205], v[204:205], v[206:207], v[214:215]
	v_div_fixup_f64 v[206:207], v[204:205], v[208:209], v[210:211]
	v_fmac_f64_e32 v[208:209], v[210:211], v[206:207]
	v_div_scale_f64 v[204:205], s[10:11], v[208:209], v[208:209], 1.0
	v_rcp_f64_e32 v[210:211], v[204:205]
	s_nop 0
	v_fma_f64 v[212:213], -v[204:205], v[210:211], 1.0
	v_fmac_f64_e32 v[210:211], v[210:211], v[212:213]
	v_fma_f64 v[212:213], -v[204:205], v[210:211], 1.0
	v_fmac_f64_e32 v[210:211], v[210:211], v[212:213]
	v_div_scale_f64 v[212:213], vcc, 1.0, v[208:209], 1.0
	v_mul_f64 v[214:215], v[212:213], v[210:211]
	v_fma_f64 v[204:205], -v[204:205], v[214:215], v[212:213]
	s_nop 1
	v_div_fmas_f64 v[204:205], v[204:205], v[210:211], v[214:215]
	v_div_fixup_f64 v[204:205], v[204:205], v[208:209], 1.0
	v_mul_f64 v[206:207], v[206:207], -v[204:205]
.LBB117_178:
	s_or_b64 exec, exec, s[2:3]
	ds_write2_b64 v201, v[204:205], v[206:207] offset1:1
.LBB117_179:
	s_or_b64 exec, exec, s[4:5]
	s_waitcnt lgkmcnt(0)
	s_barrier
	ds_read2_b64 v[192:195], v201 offset1:1
	v_cmp_lt_u32_e32 vcc, 19, v200
	s_waitcnt lgkmcnt(0)
	scratch_store_dwordx4 off, v[192:195], off offset:920 ; 16-byte Folded Spill
	s_and_saveexec_b64 s[2:3], vcc
	s_cbranch_execz .LBB117_181
; %bb.180:
	scratch_load_dwordx4 v[192:195], off, off offset:920 ; 16-byte Folded Reload
	s_waitcnt vmcnt(0)
	v_mul_f64 v[204:205], v[194:195], v[154:155]
	v_fma_f64 v[208:209], v[192:193], v[152:153], -v[204:205]
	ds_read2_b64 v[204:207], v202 offset0:40 offset1:41
	v_mul_f64 v[154:155], v[192:193], v[154:155]
	v_fmac_f64_e32 v[154:155], v[194:195], v[152:153]
	s_waitcnt lgkmcnt(0)
	v_mul_f64 v[152:153], v[206:207], v[154:155]
	v_fma_f64 v[152:153], v[204:205], v[208:209], -v[152:153]
	v_mul_f64 v[204:205], v[204:205], v[154:155]
	v_fmac_f64_e32 v[204:205], v[206:207], v[208:209]
	v_add_f64 v[150:151], v[150:151], -v[204:205]
	ds_read2_b64 v[204:207], v202 offset0:42 offset1:43
	v_add_f64 v[148:149], v[148:149], -v[152:153]
	s_waitcnt lgkmcnt(0)
	v_mul_f64 v[152:153], v[206:207], v[154:155]
	v_fma_f64 v[152:153], v[204:205], v[208:209], -v[152:153]
	v_mul_f64 v[204:205], v[204:205], v[154:155]
	v_fmac_f64_e32 v[204:205], v[206:207], v[208:209]
	v_add_f64 v[146:147], v[146:147], -v[204:205]
	ds_read2_b64 v[204:207], v202 offset0:44 offset1:45
	v_add_f64 v[144:145], v[144:145], -v[152:153]
	;; [unrolled: 8-line block ×38, first 2 shown]
	s_waitcnt lgkmcnt(0)
	v_mul_f64 v[152:153], v[206:207], v[154:155]
	v_fma_f64 v[152:153], v[204:205], v[208:209], -v[152:153]
	v_mul_f64 v[204:205], v[204:205], v[154:155]
	v_fmac_f64_e32 v[204:205], v[206:207], v[208:209]
	v_add_f64 v[232:233], v[232:233], -v[152:153]
	v_add_f64 v[234:235], v[234:235], -v[204:205]
	v_mov_b64_e32 v[152:153], v[208:209]
.LBB117_181:
	s_or_b64 exec, exec, s[2:3]
	v_cmp_eq_u32_e32 vcc, 20, v200
	s_waitcnt vmcnt(63) expcnt(7) lgkmcnt(15)
	s_barrier
	s_and_saveexec_b64 s[4:5], vcc
	s_cbranch_execz .LBB117_188
; %bb.182:
	ds_write2_b64 v201, v[148:149], v[150:151] offset1:1
	ds_write2_b64 v202, v[144:145], v[146:147] offset0:42 offset1:43
	ds_write2_b64 v202, v[140:141], v[142:143] offset0:44 offset1:45
	;; [unrolled: 1-line block ×19, first 2 shown]
	s_waitcnt vmcnt(52)
	ds_write2_b64 v202, v[68:69], v[70:71] offset0:80 offset1:81
	s_waitcnt vmcnt(51)
	ds_write2_b64 v202, v[64:65], v[66:67] offset0:82 offset1:83
	;; [unrolled: 2-line block ×12, first 2 shown]
	ds_write2_b64 v202, v[20:21], v[22:23] offset0:104 offset1:105
	ds_write2_b64 v202, v[16:17], v[18:19] offset0:106 offset1:107
	;; [unrolled: 1-line block ×5, first 2 shown]
	s_waitcnt vmcnt(40)
	ds_write2_b64 v202, v[0:1], v[2:3] offset0:114 offset1:115
	s_waitcnt vmcnt(37)
	ds_write2_b64 v202, v[232:233], v[234:235] offset0:116 offset1:117
	ds_read2_b64 v[208:211], v201 offset1:1
	s_waitcnt lgkmcnt(0)
	v_cmp_neq_f64_e32 vcc, 0, v[208:209]
	v_cmp_neq_f64_e64 s[2:3], 0, v[210:211]
	s_or_b64 s[2:3], vcc, s[2:3]
	s_and_b64 exec, exec, s[2:3]
	s_cbranch_execz .LBB117_188
; %bb.183:
	v_cmp_ngt_f64_e64 s[2:3], |v[208:209]|, |v[210:211]|
                                        ; implicit-def: $vgpr204_vgpr205
	s_and_saveexec_b64 s[10:11], s[2:3]
	s_xor_b64 s[2:3], exec, s[10:11]
                                        ; implicit-def: $vgpr206_vgpr207
	s_cbranch_execz .LBB117_185
; %bb.184:
	v_div_scale_f64 v[204:205], s[10:11], v[210:211], v[210:211], v[208:209]
	v_rcp_f64_e32 v[206:207], v[204:205]
	v_div_scale_f64 v[212:213], vcc, v[208:209], v[210:211], v[208:209]
	v_fma_f64 v[214:215], -v[204:205], v[206:207], 1.0
	v_fmac_f64_e32 v[206:207], v[206:207], v[214:215]
	v_fma_f64 v[214:215], -v[204:205], v[206:207], 1.0
	v_fmac_f64_e32 v[206:207], v[206:207], v[214:215]
	v_mul_f64 v[214:215], v[212:213], v[206:207]
	v_fma_f64 v[204:205], -v[204:205], v[214:215], v[212:213]
	v_div_fmas_f64 v[204:205], v[204:205], v[206:207], v[214:215]
	v_div_fixup_f64 v[204:205], v[204:205], v[210:211], v[208:209]
	v_fmac_f64_e32 v[210:211], v[208:209], v[204:205]
	v_div_scale_f64 v[206:207], s[10:11], v[210:211], v[210:211], 1.0
	v_rcp_f64_e32 v[208:209], v[206:207]
	s_nop 0
	v_fma_f64 v[212:213], -v[206:207], v[208:209], 1.0
	v_fmac_f64_e32 v[208:209], v[208:209], v[212:213]
	v_fma_f64 v[212:213], -v[206:207], v[208:209], 1.0
	v_fmac_f64_e32 v[208:209], v[208:209], v[212:213]
	v_div_scale_f64 v[212:213], vcc, 1.0, v[210:211], 1.0
	v_mul_f64 v[214:215], v[212:213], v[208:209]
	v_fma_f64 v[206:207], -v[206:207], v[214:215], v[212:213]
	s_nop 1
	v_div_fmas_f64 v[206:207], v[206:207], v[208:209], v[214:215]
	v_div_fixup_f64 v[206:207], v[206:207], v[210:211], 1.0
	v_mul_f64 v[204:205], v[204:205], v[206:207]
	v_xor_b32_e32 v207, 0x80000000, v207
                                        ; implicit-def: $vgpr208_vgpr209
.LBB117_185:
	s_andn2_saveexec_b64 s[2:3], s[2:3]
	s_cbranch_execz .LBB117_187
; %bb.186:
	v_div_scale_f64 v[204:205], s[10:11], v[208:209], v[208:209], v[210:211]
	v_rcp_f64_e32 v[206:207], v[204:205]
	v_div_scale_f64 v[212:213], vcc, v[210:211], v[208:209], v[210:211]
	v_fma_f64 v[214:215], -v[204:205], v[206:207], 1.0
	v_fmac_f64_e32 v[206:207], v[206:207], v[214:215]
	v_fma_f64 v[214:215], -v[204:205], v[206:207], 1.0
	v_fmac_f64_e32 v[206:207], v[206:207], v[214:215]
	v_mul_f64 v[214:215], v[212:213], v[206:207]
	v_fma_f64 v[204:205], -v[204:205], v[214:215], v[212:213]
	v_div_fmas_f64 v[204:205], v[204:205], v[206:207], v[214:215]
	v_div_fixup_f64 v[206:207], v[204:205], v[208:209], v[210:211]
	v_fmac_f64_e32 v[208:209], v[210:211], v[206:207]
	v_div_scale_f64 v[204:205], s[10:11], v[208:209], v[208:209], 1.0
	v_rcp_f64_e32 v[210:211], v[204:205]
	s_nop 0
	v_fma_f64 v[212:213], -v[204:205], v[210:211], 1.0
	v_fmac_f64_e32 v[210:211], v[210:211], v[212:213]
	v_fma_f64 v[212:213], -v[204:205], v[210:211], 1.0
	v_fmac_f64_e32 v[210:211], v[210:211], v[212:213]
	v_div_scale_f64 v[212:213], vcc, 1.0, v[208:209], 1.0
	v_mul_f64 v[214:215], v[212:213], v[210:211]
	v_fma_f64 v[204:205], -v[204:205], v[214:215], v[212:213]
	s_nop 1
	v_div_fmas_f64 v[204:205], v[204:205], v[210:211], v[214:215]
	v_div_fixup_f64 v[204:205], v[204:205], v[208:209], 1.0
	v_mul_f64 v[206:207], v[206:207], -v[204:205]
.LBB117_187:
	s_or_b64 exec, exec, s[2:3]
	ds_write2_b64 v201, v[204:205], v[206:207] offset1:1
.LBB117_188:
	s_or_b64 exec, exec, s[4:5]
	s_waitcnt lgkmcnt(0)
	s_barrier
	ds_read2_b64 v[192:195], v201 offset1:1
	v_cmp_lt_u32_e32 vcc, 20, v200
	s_waitcnt lgkmcnt(0)
	scratch_store_dwordx4 off, v[192:195], off offset:936 ; 16-byte Folded Spill
	s_and_saveexec_b64 s[2:3], vcc
	s_cbranch_execz .LBB117_190
; %bb.189:
	scratch_load_dwordx4 v[192:195], off, off offset:936 ; 16-byte Folded Reload
	s_waitcnt vmcnt(0)
	v_mul_f64 v[204:205], v[194:195], v[150:151]
	v_fma_f64 v[208:209], v[192:193], v[148:149], -v[204:205]
	ds_read2_b64 v[204:207], v202 offset0:42 offset1:43
	v_mul_f64 v[150:151], v[192:193], v[150:151]
	v_fmac_f64_e32 v[150:151], v[194:195], v[148:149]
	s_waitcnt lgkmcnt(0)
	v_mul_f64 v[148:149], v[206:207], v[150:151]
	v_fma_f64 v[148:149], v[204:205], v[208:209], -v[148:149]
	v_mul_f64 v[204:205], v[204:205], v[150:151]
	v_fmac_f64_e32 v[204:205], v[206:207], v[208:209]
	v_add_f64 v[146:147], v[146:147], -v[204:205]
	ds_read2_b64 v[204:207], v202 offset0:44 offset1:45
	v_add_f64 v[144:145], v[144:145], -v[148:149]
	s_waitcnt lgkmcnt(0)
	v_mul_f64 v[148:149], v[206:207], v[150:151]
	v_fma_f64 v[148:149], v[204:205], v[208:209], -v[148:149]
	v_mul_f64 v[204:205], v[204:205], v[150:151]
	v_fmac_f64_e32 v[204:205], v[206:207], v[208:209]
	v_add_f64 v[142:143], v[142:143], -v[204:205]
	ds_read2_b64 v[204:207], v202 offset0:46 offset1:47
	v_add_f64 v[140:141], v[140:141], -v[148:149]
	;; [unrolled: 8-line block ×37, first 2 shown]
	s_waitcnt lgkmcnt(0)
	v_mul_f64 v[148:149], v[206:207], v[150:151]
	v_fma_f64 v[148:149], v[204:205], v[208:209], -v[148:149]
	v_mul_f64 v[204:205], v[204:205], v[150:151]
	v_fmac_f64_e32 v[204:205], v[206:207], v[208:209]
	v_add_f64 v[232:233], v[232:233], -v[148:149]
	v_add_f64 v[234:235], v[234:235], -v[204:205]
	v_mov_b64_e32 v[148:149], v[208:209]
.LBB117_190:
	s_or_b64 exec, exec, s[2:3]
	v_cmp_eq_u32_e32 vcc, 21, v200
	s_waitcnt vmcnt(63) expcnt(7) lgkmcnt(15)
	s_barrier
	s_and_saveexec_b64 s[4:5], vcc
	s_cbranch_execz .LBB117_197
; %bb.191:
	ds_write2_b64 v201, v[144:145], v[146:147] offset1:1
	ds_write2_b64 v202, v[140:141], v[142:143] offset0:44 offset1:45
	ds_write2_b64 v202, v[136:137], v[138:139] offset0:46 offset1:47
	;; [unrolled: 1-line block ×18, first 2 shown]
	s_waitcnt vmcnt(53)
	ds_write2_b64 v202, v[68:69], v[70:71] offset0:80 offset1:81
	s_waitcnt vmcnt(52)
	ds_write2_b64 v202, v[64:65], v[66:67] offset0:82 offset1:83
	;; [unrolled: 2-line block ×12, first 2 shown]
	ds_write2_b64 v202, v[20:21], v[22:23] offset0:104 offset1:105
	ds_write2_b64 v202, v[16:17], v[18:19] offset0:106 offset1:107
	;; [unrolled: 1-line block ×5, first 2 shown]
	s_waitcnt vmcnt(41)
	ds_write2_b64 v202, v[0:1], v[2:3] offset0:114 offset1:115
	s_waitcnt vmcnt(38)
	ds_write2_b64 v202, v[232:233], v[234:235] offset0:116 offset1:117
	ds_read2_b64 v[208:211], v201 offset1:1
	s_waitcnt lgkmcnt(0)
	v_cmp_neq_f64_e32 vcc, 0, v[208:209]
	v_cmp_neq_f64_e64 s[2:3], 0, v[210:211]
	s_or_b64 s[2:3], vcc, s[2:3]
	s_and_b64 exec, exec, s[2:3]
	s_cbranch_execz .LBB117_197
; %bb.192:
	v_cmp_ngt_f64_e64 s[2:3], |v[208:209]|, |v[210:211]|
                                        ; implicit-def: $vgpr204_vgpr205
	s_and_saveexec_b64 s[10:11], s[2:3]
	s_xor_b64 s[2:3], exec, s[10:11]
                                        ; implicit-def: $vgpr206_vgpr207
	s_cbranch_execz .LBB117_194
; %bb.193:
	v_div_scale_f64 v[204:205], s[10:11], v[210:211], v[210:211], v[208:209]
	v_rcp_f64_e32 v[206:207], v[204:205]
	v_div_scale_f64 v[212:213], vcc, v[208:209], v[210:211], v[208:209]
	v_fma_f64 v[214:215], -v[204:205], v[206:207], 1.0
	v_fmac_f64_e32 v[206:207], v[206:207], v[214:215]
	v_fma_f64 v[214:215], -v[204:205], v[206:207], 1.0
	v_fmac_f64_e32 v[206:207], v[206:207], v[214:215]
	v_mul_f64 v[214:215], v[212:213], v[206:207]
	v_fma_f64 v[204:205], -v[204:205], v[214:215], v[212:213]
	v_div_fmas_f64 v[204:205], v[204:205], v[206:207], v[214:215]
	v_div_fixup_f64 v[204:205], v[204:205], v[210:211], v[208:209]
	v_fmac_f64_e32 v[210:211], v[208:209], v[204:205]
	v_div_scale_f64 v[206:207], s[10:11], v[210:211], v[210:211], 1.0
	v_rcp_f64_e32 v[208:209], v[206:207]
	s_nop 0
	v_fma_f64 v[212:213], -v[206:207], v[208:209], 1.0
	v_fmac_f64_e32 v[208:209], v[208:209], v[212:213]
	v_fma_f64 v[212:213], -v[206:207], v[208:209], 1.0
	v_fmac_f64_e32 v[208:209], v[208:209], v[212:213]
	v_div_scale_f64 v[212:213], vcc, 1.0, v[210:211], 1.0
	v_mul_f64 v[214:215], v[212:213], v[208:209]
	v_fma_f64 v[206:207], -v[206:207], v[214:215], v[212:213]
	s_nop 1
	v_div_fmas_f64 v[206:207], v[206:207], v[208:209], v[214:215]
	v_div_fixup_f64 v[206:207], v[206:207], v[210:211], 1.0
	v_mul_f64 v[204:205], v[204:205], v[206:207]
	v_xor_b32_e32 v207, 0x80000000, v207
                                        ; implicit-def: $vgpr208_vgpr209
.LBB117_194:
	s_andn2_saveexec_b64 s[2:3], s[2:3]
	s_cbranch_execz .LBB117_196
; %bb.195:
	v_div_scale_f64 v[204:205], s[10:11], v[208:209], v[208:209], v[210:211]
	v_rcp_f64_e32 v[206:207], v[204:205]
	v_div_scale_f64 v[212:213], vcc, v[210:211], v[208:209], v[210:211]
	v_fma_f64 v[214:215], -v[204:205], v[206:207], 1.0
	v_fmac_f64_e32 v[206:207], v[206:207], v[214:215]
	v_fma_f64 v[214:215], -v[204:205], v[206:207], 1.0
	v_fmac_f64_e32 v[206:207], v[206:207], v[214:215]
	v_mul_f64 v[214:215], v[212:213], v[206:207]
	v_fma_f64 v[204:205], -v[204:205], v[214:215], v[212:213]
	v_div_fmas_f64 v[204:205], v[204:205], v[206:207], v[214:215]
	v_div_fixup_f64 v[206:207], v[204:205], v[208:209], v[210:211]
	v_fmac_f64_e32 v[208:209], v[210:211], v[206:207]
	v_div_scale_f64 v[204:205], s[10:11], v[208:209], v[208:209], 1.0
	v_rcp_f64_e32 v[210:211], v[204:205]
	s_nop 0
	v_fma_f64 v[212:213], -v[204:205], v[210:211], 1.0
	v_fmac_f64_e32 v[210:211], v[210:211], v[212:213]
	v_fma_f64 v[212:213], -v[204:205], v[210:211], 1.0
	v_fmac_f64_e32 v[210:211], v[210:211], v[212:213]
	v_div_scale_f64 v[212:213], vcc, 1.0, v[208:209], 1.0
	v_mul_f64 v[214:215], v[212:213], v[210:211]
	v_fma_f64 v[204:205], -v[204:205], v[214:215], v[212:213]
	s_nop 1
	v_div_fmas_f64 v[204:205], v[204:205], v[210:211], v[214:215]
	v_div_fixup_f64 v[204:205], v[204:205], v[208:209], 1.0
	v_mul_f64 v[206:207], v[206:207], -v[204:205]
.LBB117_196:
	s_or_b64 exec, exec, s[2:3]
	ds_write2_b64 v201, v[204:205], v[206:207] offset1:1
.LBB117_197:
	s_or_b64 exec, exec, s[4:5]
	s_waitcnt lgkmcnt(0)
	s_barrier
	ds_read2_b64 v[192:195], v201 offset1:1
	v_cmp_lt_u32_e32 vcc, 21, v200
	s_waitcnt lgkmcnt(0)
	scratch_store_dwordx4 off, v[192:195], off offset:952 ; 16-byte Folded Spill
	s_and_saveexec_b64 s[2:3], vcc
	s_cbranch_execz .LBB117_199
; %bb.198:
	scratch_load_dwordx4 v[192:195], off, off offset:952 ; 16-byte Folded Reload
	s_waitcnt vmcnt(0)
	v_mul_f64 v[204:205], v[194:195], v[146:147]
	v_fma_f64 v[208:209], v[192:193], v[144:145], -v[204:205]
	ds_read2_b64 v[204:207], v202 offset0:44 offset1:45
	v_mul_f64 v[146:147], v[192:193], v[146:147]
	v_fmac_f64_e32 v[146:147], v[194:195], v[144:145]
	s_waitcnt lgkmcnt(0)
	v_mul_f64 v[144:145], v[206:207], v[146:147]
	v_fma_f64 v[144:145], v[204:205], v[208:209], -v[144:145]
	v_mul_f64 v[204:205], v[204:205], v[146:147]
	v_fmac_f64_e32 v[204:205], v[206:207], v[208:209]
	v_add_f64 v[142:143], v[142:143], -v[204:205]
	ds_read2_b64 v[204:207], v202 offset0:46 offset1:47
	v_add_f64 v[140:141], v[140:141], -v[144:145]
	s_waitcnt lgkmcnt(0)
	v_mul_f64 v[144:145], v[206:207], v[146:147]
	v_fma_f64 v[144:145], v[204:205], v[208:209], -v[144:145]
	v_mul_f64 v[204:205], v[204:205], v[146:147]
	v_fmac_f64_e32 v[204:205], v[206:207], v[208:209]
	v_add_f64 v[138:139], v[138:139], -v[204:205]
	ds_read2_b64 v[204:207], v202 offset0:48 offset1:49
	v_add_f64 v[136:137], v[136:137], -v[144:145]
	s_waitcnt lgkmcnt(0)
	v_mul_f64 v[144:145], v[206:207], v[146:147]
	v_fma_f64 v[144:145], v[204:205], v[208:209], -v[144:145]
	v_mul_f64 v[204:205], v[204:205], v[146:147]
	v_fmac_f64_e32 v[204:205], v[206:207], v[208:209]
	v_add_f64 v[134:135], v[134:135], -v[204:205]
	ds_read2_b64 v[204:207], v202 offset0:50 offset1:51
	v_add_f64 v[132:133], v[132:133], -v[144:145]
	s_waitcnt lgkmcnt(0)
	v_mul_f64 v[144:145], v[206:207], v[146:147]
	v_fma_f64 v[144:145], v[204:205], v[208:209], -v[144:145]
	v_mul_f64 v[204:205], v[204:205], v[146:147]
	v_fmac_f64_e32 v[204:205], v[206:207], v[208:209]
	v_add_f64 v[130:131], v[130:131], -v[204:205]
	ds_read2_b64 v[204:207], v202 offset0:52 offset1:53
	v_add_f64 v[128:129], v[128:129], -v[144:145]
	s_waitcnt lgkmcnt(0)
	v_mul_f64 v[144:145], v[206:207], v[146:147]
	v_fma_f64 v[144:145], v[204:205], v[208:209], -v[144:145]
	v_mul_f64 v[204:205], v[204:205], v[146:147]
	v_fmac_f64_e32 v[204:205], v[206:207], v[208:209]
	v_add_f64 v[126:127], v[126:127], -v[204:205]
	ds_read2_b64 v[204:207], v202 offset0:54 offset1:55
	v_add_f64 v[124:125], v[124:125], -v[144:145]
	s_waitcnt lgkmcnt(0)
	v_mul_f64 v[144:145], v[206:207], v[146:147]
	v_fma_f64 v[144:145], v[204:205], v[208:209], -v[144:145]
	v_mul_f64 v[204:205], v[204:205], v[146:147]
	v_fmac_f64_e32 v[204:205], v[206:207], v[208:209]
	v_add_f64 v[122:123], v[122:123], -v[204:205]
	ds_read2_b64 v[204:207], v202 offset0:56 offset1:57
	v_add_f64 v[120:121], v[120:121], -v[144:145]
	s_waitcnt lgkmcnt(0)
	v_mul_f64 v[144:145], v[206:207], v[146:147]
	v_fma_f64 v[144:145], v[204:205], v[208:209], -v[144:145]
	v_mul_f64 v[204:205], v[204:205], v[146:147]
	v_fmac_f64_e32 v[204:205], v[206:207], v[208:209]
	v_add_f64 v[118:119], v[118:119], -v[204:205]
	ds_read2_b64 v[204:207], v202 offset0:58 offset1:59
	v_add_f64 v[116:117], v[116:117], -v[144:145]
	s_waitcnt lgkmcnt(0)
	v_mul_f64 v[144:145], v[206:207], v[146:147]
	v_fma_f64 v[144:145], v[204:205], v[208:209], -v[144:145]
	v_mul_f64 v[204:205], v[204:205], v[146:147]
	v_fmac_f64_e32 v[204:205], v[206:207], v[208:209]
	v_add_f64 v[114:115], v[114:115], -v[204:205]
	ds_read2_b64 v[204:207], v202 offset0:60 offset1:61
	v_add_f64 v[112:113], v[112:113], -v[144:145]
	s_waitcnt lgkmcnt(0)
	v_mul_f64 v[144:145], v[206:207], v[146:147]
	v_fma_f64 v[144:145], v[204:205], v[208:209], -v[144:145]
	v_mul_f64 v[204:205], v[204:205], v[146:147]
	v_fmac_f64_e32 v[204:205], v[206:207], v[208:209]
	v_add_f64 v[110:111], v[110:111], -v[204:205]
	ds_read2_b64 v[204:207], v202 offset0:62 offset1:63
	v_add_f64 v[108:109], v[108:109], -v[144:145]
	s_waitcnt lgkmcnt(0)
	v_mul_f64 v[144:145], v[206:207], v[146:147]
	v_fma_f64 v[144:145], v[204:205], v[208:209], -v[144:145]
	v_mul_f64 v[204:205], v[204:205], v[146:147]
	v_fmac_f64_e32 v[204:205], v[206:207], v[208:209]
	v_add_f64 v[106:107], v[106:107], -v[204:205]
	ds_read2_b64 v[204:207], v202 offset0:64 offset1:65
	v_add_f64 v[104:105], v[104:105], -v[144:145]
	s_waitcnt lgkmcnt(0)
	v_mul_f64 v[144:145], v[206:207], v[146:147]
	v_fma_f64 v[144:145], v[204:205], v[208:209], -v[144:145]
	v_mul_f64 v[204:205], v[204:205], v[146:147]
	v_fmac_f64_e32 v[204:205], v[206:207], v[208:209]
	v_add_f64 v[102:103], v[102:103], -v[204:205]
	ds_read2_b64 v[204:207], v202 offset0:66 offset1:67
	v_add_f64 v[100:101], v[100:101], -v[144:145]
	s_waitcnt lgkmcnt(0)
	v_mul_f64 v[144:145], v[206:207], v[146:147]
	v_fma_f64 v[144:145], v[204:205], v[208:209], -v[144:145]
	v_mul_f64 v[204:205], v[204:205], v[146:147]
	v_fmac_f64_e32 v[204:205], v[206:207], v[208:209]
	v_add_f64 v[98:99], v[98:99], -v[204:205]
	ds_read2_b64 v[204:207], v202 offset0:68 offset1:69
	v_add_f64 v[96:97], v[96:97], -v[144:145]
	s_waitcnt lgkmcnt(0)
	v_mul_f64 v[144:145], v[206:207], v[146:147]
	v_fma_f64 v[144:145], v[204:205], v[208:209], -v[144:145]
	v_mul_f64 v[204:205], v[204:205], v[146:147]
	v_fmac_f64_e32 v[204:205], v[206:207], v[208:209]
	v_add_f64 v[94:95], v[94:95], -v[204:205]
	ds_read2_b64 v[204:207], v202 offset0:70 offset1:71
	v_add_f64 v[92:93], v[92:93], -v[144:145]
	s_waitcnt lgkmcnt(0)
	v_mul_f64 v[144:145], v[206:207], v[146:147]
	v_fma_f64 v[144:145], v[204:205], v[208:209], -v[144:145]
	v_mul_f64 v[204:205], v[204:205], v[146:147]
	v_fmac_f64_e32 v[204:205], v[206:207], v[208:209]
	v_add_f64 v[90:91], v[90:91], -v[204:205]
	ds_read2_b64 v[204:207], v202 offset0:72 offset1:73
	v_add_f64 v[88:89], v[88:89], -v[144:145]
	s_waitcnt lgkmcnt(0)
	v_mul_f64 v[144:145], v[206:207], v[146:147]
	v_fma_f64 v[144:145], v[204:205], v[208:209], -v[144:145]
	v_mul_f64 v[204:205], v[204:205], v[146:147]
	v_fmac_f64_e32 v[204:205], v[206:207], v[208:209]
	v_add_f64 v[86:87], v[86:87], -v[204:205]
	ds_read2_b64 v[204:207], v202 offset0:74 offset1:75
	v_add_f64 v[84:85], v[84:85], -v[144:145]
	s_waitcnt lgkmcnt(0)
	v_mul_f64 v[144:145], v[206:207], v[146:147]
	v_fma_f64 v[144:145], v[204:205], v[208:209], -v[144:145]
	v_mul_f64 v[204:205], v[204:205], v[146:147]
	v_fmac_f64_e32 v[204:205], v[206:207], v[208:209]
	v_add_f64 v[82:83], v[82:83], -v[204:205]
	ds_read2_b64 v[204:207], v202 offset0:76 offset1:77
	v_add_f64 v[80:81], v[80:81], -v[144:145]
	s_waitcnt lgkmcnt(0)
	v_mul_f64 v[144:145], v[206:207], v[146:147]
	v_fma_f64 v[144:145], v[204:205], v[208:209], -v[144:145]
	v_mul_f64 v[204:205], v[204:205], v[146:147]
	v_fmac_f64_e32 v[204:205], v[206:207], v[208:209]
	v_add_f64 v[78:79], v[78:79], -v[204:205]
	ds_read2_b64 v[204:207], v202 offset0:78 offset1:79
	v_add_f64 v[76:77], v[76:77], -v[144:145]
	s_waitcnt lgkmcnt(0)
	v_mul_f64 v[144:145], v[206:207], v[146:147]
	v_fma_f64 v[144:145], v[204:205], v[208:209], -v[144:145]
	v_mul_f64 v[204:205], v[204:205], v[146:147]
	v_fmac_f64_e32 v[204:205], v[206:207], v[208:209]
	v_add_f64 v[74:75], v[74:75], -v[204:205]
	ds_read2_b64 v[204:207], v202 offset0:80 offset1:81
	v_add_f64 v[72:73], v[72:73], -v[144:145]
	s_waitcnt lgkmcnt(0)
	v_mul_f64 v[144:145], v[206:207], v[146:147]
	v_fma_f64 v[144:145], v[204:205], v[208:209], -v[144:145]
	v_mul_f64 v[204:205], v[204:205], v[146:147]
	v_fmac_f64_e32 v[204:205], v[206:207], v[208:209]
	v_add_f64 v[70:71], v[70:71], -v[204:205]
	ds_read2_b64 v[204:207], v202 offset0:82 offset1:83
	v_add_f64 v[68:69], v[68:69], -v[144:145]
	s_waitcnt lgkmcnt(0)
	v_mul_f64 v[144:145], v[206:207], v[146:147]
	v_fma_f64 v[144:145], v[204:205], v[208:209], -v[144:145]
	v_mul_f64 v[204:205], v[204:205], v[146:147]
	v_fmac_f64_e32 v[204:205], v[206:207], v[208:209]
	v_add_f64 v[66:67], v[66:67], -v[204:205]
	ds_read2_b64 v[204:207], v202 offset0:84 offset1:85
	v_add_f64 v[64:65], v[64:65], -v[144:145]
	s_waitcnt lgkmcnt(0)
	v_mul_f64 v[144:145], v[206:207], v[146:147]
	v_fma_f64 v[144:145], v[204:205], v[208:209], -v[144:145]
	v_mul_f64 v[204:205], v[204:205], v[146:147]
	v_fmac_f64_e32 v[204:205], v[206:207], v[208:209]
	v_add_f64 v[62:63], v[62:63], -v[204:205]
	ds_read2_b64 v[204:207], v202 offset0:86 offset1:87
	v_add_f64 v[60:61], v[60:61], -v[144:145]
	s_waitcnt lgkmcnt(0)
	v_mul_f64 v[144:145], v[206:207], v[146:147]
	v_fma_f64 v[144:145], v[204:205], v[208:209], -v[144:145]
	v_mul_f64 v[204:205], v[204:205], v[146:147]
	v_fmac_f64_e32 v[204:205], v[206:207], v[208:209]
	v_add_f64 v[58:59], v[58:59], -v[204:205]
	ds_read2_b64 v[204:207], v202 offset0:88 offset1:89
	v_add_f64 v[56:57], v[56:57], -v[144:145]
	s_waitcnt lgkmcnt(0)
	v_mul_f64 v[144:145], v[206:207], v[146:147]
	v_fma_f64 v[144:145], v[204:205], v[208:209], -v[144:145]
	v_mul_f64 v[204:205], v[204:205], v[146:147]
	v_fmac_f64_e32 v[204:205], v[206:207], v[208:209]
	v_add_f64 v[54:55], v[54:55], -v[204:205]
	ds_read2_b64 v[204:207], v202 offset0:90 offset1:91
	v_add_f64 v[52:53], v[52:53], -v[144:145]
	s_waitcnt lgkmcnt(0)
	v_mul_f64 v[144:145], v[206:207], v[146:147]
	v_fma_f64 v[144:145], v[204:205], v[208:209], -v[144:145]
	v_mul_f64 v[204:205], v[204:205], v[146:147]
	v_fmac_f64_e32 v[204:205], v[206:207], v[208:209]
	v_add_f64 v[50:51], v[50:51], -v[204:205]
	ds_read2_b64 v[204:207], v202 offset0:92 offset1:93
	v_add_f64 v[48:49], v[48:49], -v[144:145]
	s_waitcnt lgkmcnt(0)
	v_mul_f64 v[144:145], v[206:207], v[146:147]
	v_fma_f64 v[144:145], v[204:205], v[208:209], -v[144:145]
	v_mul_f64 v[204:205], v[204:205], v[146:147]
	v_fmac_f64_e32 v[204:205], v[206:207], v[208:209]
	v_add_f64 v[46:47], v[46:47], -v[204:205]
	ds_read2_b64 v[204:207], v202 offset0:94 offset1:95
	v_add_f64 v[44:45], v[44:45], -v[144:145]
	s_waitcnt lgkmcnt(0)
	v_mul_f64 v[144:145], v[206:207], v[146:147]
	v_fma_f64 v[144:145], v[204:205], v[208:209], -v[144:145]
	v_mul_f64 v[204:205], v[204:205], v[146:147]
	v_fmac_f64_e32 v[204:205], v[206:207], v[208:209]
	v_add_f64 v[42:43], v[42:43], -v[204:205]
	ds_read2_b64 v[204:207], v202 offset0:96 offset1:97
	v_add_f64 v[40:41], v[40:41], -v[144:145]
	s_waitcnt lgkmcnt(0)
	v_mul_f64 v[144:145], v[206:207], v[146:147]
	v_fma_f64 v[144:145], v[204:205], v[208:209], -v[144:145]
	v_mul_f64 v[204:205], v[204:205], v[146:147]
	v_fmac_f64_e32 v[204:205], v[206:207], v[208:209]
	v_add_f64 v[38:39], v[38:39], -v[204:205]
	ds_read2_b64 v[204:207], v202 offset0:98 offset1:99
	v_add_f64 v[36:37], v[36:37], -v[144:145]
	s_waitcnt lgkmcnt(0)
	v_mul_f64 v[144:145], v[206:207], v[146:147]
	v_fma_f64 v[144:145], v[204:205], v[208:209], -v[144:145]
	v_mul_f64 v[204:205], v[204:205], v[146:147]
	v_fmac_f64_e32 v[204:205], v[206:207], v[208:209]
	v_add_f64 v[34:35], v[34:35], -v[204:205]
	ds_read2_b64 v[204:207], v202 offset0:100 offset1:101
	v_add_f64 v[32:33], v[32:33], -v[144:145]
	s_waitcnt lgkmcnt(0)
	v_mul_f64 v[144:145], v[206:207], v[146:147]
	v_fma_f64 v[144:145], v[204:205], v[208:209], -v[144:145]
	v_mul_f64 v[204:205], v[204:205], v[146:147]
	v_fmac_f64_e32 v[204:205], v[206:207], v[208:209]
	v_add_f64 v[30:31], v[30:31], -v[204:205]
	ds_read2_b64 v[204:207], v202 offset0:102 offset1:103
	v_add_f64 v[28:29], v[28:29], -v[144:145]
	s_waitcnt lgkmcnt(0)
	v_mul_f64 v[144:145], v[206:207], v[146:147]
	v_fma_f64 v[144:145], v[204:205], v[208:209], -v[144:145]
	v_mul_f64 v[204:205], v[204:205], v[146:147]
	v_fmac_f64_e32 v[204:205], v[206:207], v[208:209]
	v_add_f64 v[26:27], v[26:27], -v[204:205]
	ds_read2_b64 v[204:207], v202 offset0:104 offset1:105
	v_add_f64 v[24:25], v[24:25], -v[144:145]
	s_waitcnt lgkmcnt(0)
	v_mul_f64 v[144:145], v[206:207], v[146:147]
	v_fma_f64 v[144:145], v[204:205], v[208:209], -v[144:145]
	v_mul_f64 v[204:205], v[204:205], v[146:147]
	v_fmac_f64_e32 v[204:205], v[206:207], v[208:209]
	v_add_f64 v[22:23], v[22:23], -v[204:205]
	ds_read2_b64 v[204:207], v202 offset0:106 offset1:107
	v_add_f64 v[20:21], v[20:21], -v[144:145]
	s_waitcnt lgkmcnt(0)
	v_mul_f64 v[144:145], v[206:207], v[146:147]
	v_fma_f64 v[144:145], v[204:205], v[208:209], -v[144:145]
	v_mul_f64 v[204:205], v[204:205], v[146:147]
	v_fmac_f64_e32 v[204:205], v[206:207], v[208:209]
	v_add_f64 v[18:19], v[18:19], -v[204:205]
	ds_read2_b64 v[204:207], v202 offset0:108 offset1:109
	v_add_f64 v[16:17], v[16:17], -v[144:145]
	s_waitcnt lgkmcnt(0)
	v_mul_f64 v[144:145], v[206:207], v[146:147]
	v_fma_f64 v[144:145], v[204:205], v[208:209], -v[144:145]
	v_mul_f64 v[204:205], v[204:205], v[146:147]
	v_fmac_f64_e32 v[204:205], v[206:207], v[208:209]
	v_add_f64 v[14:15], v[14:15], -v[204:205]
	ds_read2_b64 v[204:207], v202 offset0:110 offset1:111
	v_add_f64 v[12:13], v[12:13], -v[144:145]
	s_waitcnt lgkmcnt(0)
	v_mul_f64 v[144:145], v[206:207], v[146:147]
	v_fma_f64 v[144:145], v[204:205], v[208:209], -v[144:145]
	v_mul_f64 v[204:205], v[204:205], v[146:147]
	v_fmac_f64_e32 v[204:205], v[206:207], v[208:209]
	v_add_f64 v[10:11], v[10:11], -v[204:205]
	ds_read2_b64 v[204:207], v202 offset0:112 offset1:113
	v_add_f64 v[8:9], v[8:9], -v[144:145]
	s_waitcnt lgkmcnt(0)
	v_mul_f64 v[144:145], v[206:207], v[146:147]
	v_fma_f64 v[144:145], v[204:205], v[208:209], -v[144:145]
	v_mul_f64 v[204:205], v[204:205], v[146:147]
	v_fmac_f64_e32 v[204:205], v[206:207], v[208:209]
	v_add_f64 v[6:7], v[6:7], -v[204:205]
	ds_read2_b64 v[204:207], v202 offset0:114 offset1:115
	v_add_f64 v[4:5], v[4:5], -v[144:145]
	s_waitcnt lgkmcnt(0)
	v_mul_f64 v[144:145], v[206:207], v[146:147]
	v_fma_f64 v[144:145], v[204:205], v[208:209], -v[144:145]
	v_mul_f64 v[204:205], v[204:205], v[146:147]
	v_fmac_f64_e32 v[204:205], v[206:207], v[208:209]
	v_add_f64 v[2:3], v[2:3], -v[204:205]
	ds_read2_b64 v[204:207], v202 offset0:116 offset1:117
	v_add_f64 v[0:1], v[0:1], -v[144:145]
	s_waitcnt lgkmcnt(0)
	v_mul_f64 v[144:145], v[206:207], v[146:147]
	v_fma_f64 v[144:145], v[204:205], v[208:209], -v[144:145]
	v_mul_f64 v[204:205], v[204:205], v[146:147]
	v_fmac_f64_e32 v[204:205], v[206:207], v[208:209]
	v_add_f64 v[232:233], v[232:233], -v[144:145]
	v_add_f64 v[234:235], v[234:235], -v[204:205]
	v_mov_b64_e32 v[144:145], v[208:209]
.LBB117_199:
	s_or_b64 exec, exec, s[2:3]
	v_cmp_eq_u32_e32 vcc, 22, v200
	s_waitcnt vmcnt(63) expcnt(7) lgkmcnt(15)
	s_barrier
	s_and_saveexec_b64 s[4:5], vcc
	s_cbranch_execz .LBB117_206
; %bb.200:
	ds_write2_b64 v201, v[140:141], v[142:143] offset1:1
	ds_write2_b64 v202, v[136:137], v[138:139] offset0:46 offset1:47
	ds_write2_b64 v202, v[132:133], v[134:135] offset0:48 offset1:49
	;; [unrolled: 1-line block ×17, first 2 shown]
	s_waitcnt vmcnt(54)
	ds_write2_b64 v202, v[68:69], v[70:71] offset0:80 offset1:81
	s_waitcnt vmcnt(53)
	ds_write2_b64 v202, v[64:65], v[66:67] offset0:82 offset1:83
	;; [unrolled: 2-line block ×12, first 2 shown]
	ds_write2_b64 v202, v[20:21], v[22:23] offset0:104 offset1:105
	ds_write2_b64 v202, v[16:17], v[18:19] offset0:106 offset1:107
	;; [unrolled: 1-line block ×5, first 2 shown]
	s_waitcnt vmcnt(42)
	ds_write2_b64 v202, v[0:1], v[2:3] offset0:114 offset1:115
	s_waitcnt vmcnt(39)
	ds_write2_b64 v202, v[232:233], v[234:235] offset0:116 offset1:117
	ds_read2_b64 v[208:211], v201 offset1:1
	s_waitcnt lgkmcnt(0)
	v_cmp_neq_f64_e32 vcc, 0, v[208:209]
	v_cmp_neq_f64_e64 s[2:3], 0, v[210:211]
	s_or_b64 s[2:3], vcc, s[2:3]
	s_and_b64 exec, exec, s[2:3]
	s_cbranch_execz .LBB117_206
; %bb.201:
	v_cmp_ngt_f64_e64 s[2:3], |v[208:209]|, |v[210:211]|
                                        ; implicit-def: $vgpr204_vgpr205
	s_and_saveexec_b64 s[10:11], s[2:3]
	s_xor_b64 s[2:3], exec, s[10:11]
                                        ; implicit-def: $vgpr206_vgpr207
	s_cbranch_execz .LBB117_203
; %bb.202:
	v_div_scale_f64 v[204:205], s[10:11], v[210:211], v[210:211], v[208:209]
	v_rcp_f64_e32 v[206:207], v[204:205]
	v_div_scale_f64 v[212:213], vcc, v[208:209], v[210:211], v[208:209]
	v_fma_f64 v[214:215], -v[204:205], v[206:207], 1.0
	v_fmac_f64_e32 v[206:207], v[206:207], v[214:215]
	v_fma_f64 v[214:215], -v[204:205], v[206:207], 1.0
	v_fmac_f64_e32 v[206:207], v[206:207], v[214:215]
	v_mul_f64 v[214:215], v[212:213], v[206:207]
	v_fma_f64 v[204:205], -v[204:205], v[214:215], v[212:213]
	v_div_fmas_f64 v[204:205], v[204:205], v[206:207], v[214:215]
	v_div_fixup_f64 v[204:205], v[204:205], v[210:211], v[208:209]
	v_fmac_f64_e32 v[210:211], v[208:209], v[204:205]
	v_div_scale_f64 v[206:207], s[10:11], v[210:211], v[210:211], 1.0
	v_rcp_f64_e32 v[208:209], v[206:207]
	s_nop 0
	v_fma_f64 v[212:213], -v[206:207], v[208:209], 1.0
	v_fmac_f64_e32 v[208:209], v[208:209], v[212:213]
	v_fma_f64 v[212:213], -v[206:207], v[208:209], 1.0
	v_fmac_f64_e32 v[208:209], v[208:209], v[212:213]
	v_div_scale_f64 v[212:213], vcc, 1.0, v[210:211], 1.0
	v_mul_f64 v[214:215], v[212:213], v[208:209]
	v_fma_f64 v[206:207], -v[206:207], v[214:215], v[212:213]
	s_nop 1
	v_div_fmas_f64 v[206:207], v[206:207], v[208:209], v[214:215]
	v_div_fixup_f64 v[206:207], v[206:207], v[210:211], 1.0
	v_mul_f64 v[204:205], v[204:205], v[206:207]
	v_xor_b32_e32 v207, 0x80000000, v207
                                        ; implicit-def: $vgpr208_vgpr209
.LBB117_203:
	s_andn2_saveexec_b64 s[2:3], s[2:3]
	s_cbranch_execz .LBB117_205
; %bb.204:
	v_div_scale_f64 v[204:205], s[10:11], v[208:209], v[208:209], v[210:211]
	v_rcp_f64_e32 v[206:207], v[204:205]
	v_div_scale_f64 v[212:213], vcc, v[210:211], v[208:209], v[210:211]
	v_fma_f64 v[214:215], -v[204:205], v[206:207], 1.0
	v_fmac_f64_e32 v[206:207], v[206:207], v[214:215]
	v_fma_f64 v[214:215], -v[204:205], v[206:207], 1.0
	v_fmac_f64_e32 v[206:207], v[206:207], v[214:215]
	v_mul_f64 v[214:215], v[212:213], v[206:207]
	v_fma_f64 v[204:205], -v[204:205], v[214:215], v[212:213]
	v_div_fmas_f64 v[204:205], v[204:205], v[206:207], v[214:215]
	v_div_fixup_f64 v[206:207], v[204:205], v[208:209], v[210:211]
	v_fmac_f64_e32 v[208:209], v[210:211], v[206:207]
	v_div_scale_f64 v[204:205], s[10:11], v[208:209], v[208:209], 1.0
	v_rcp_f64_e32 v[210:211], v[204:205]
	s_nop 0
	v_fma_f64 v[212:213], -v[204:205], v[210:211], 1.0
	v_fmac_f64_e32 v[210:211], v[210:211], v[212:213]
	v_fma_f64 v[212:213], -v[204:205], v[210:211], 1.0
	v_fmac_f64_e32 v[210:211], v[210:211], v[212:213]
	v_div_scale_f64 v[212:213], vcc, 1.0, v[208:209], 1.0
	v_mul_f64 v[214:215], v[212:213], v[210:211]
	v_fma_f64 v[204:205], -v[204:205], v[214:215], v[212:213]
	s_nop 1
	v_div_fmas_f64 v[204:205], v[204:205], v[210:211], v[214:215]
	v_div_fixup_f64 v[204:205], v[204:205], v[208:209], 1.0
	v_mul_f64 v[206:207], v[206:207], -v[204:205]
.LBB117_205:
	s_or_b64 exec, exec, s[2:3]
	ds_write2_b64 v201, v[204:205], v[206:207] offset1:1
.LBB117_206:
	s_or_b64 exec, exec, s[4:5]
	s_waitcnt lgkmcnt(0)
	s_barrier
	ds_read2_b64 v[192:195], v201 offset1:1
	v_cmp_lt_u32_e32 vcc, 22, v200
	s_waitcnt lgkmcnt(0)
	scratch_store_dwordx4 off, v[192:195], off offset:968 ; 16-byte Folded Spill
	s_and_saveexec_b64 s[2:3], vcc
	s_cbranch_execz .LBB117_208
; %bb.207:
	scratch_load_dwordx4 v[192:195], off, off offset:968 ; 16-byte Folded Reload
	s_waitcnt vmcnt(0)
	v_mul_f64 v[204:205], v[194:195], v[142:143]
	v_fma_f64 v[208:209], v[192:193], v[140:141], -v[204:205]
	ds_read2_b64 v[204:207], v202 offset0:46 offset1:47
	v_mul_f64 v[142:143], v[192:193], v[142:143]
	v_fmac_f64_e32 v[142:143], v[194:195], v[140:141]
	s_waitcnt lgkmcnt(0)
	v_mul_f64 v[140:141], v[206:207], v[142:143]
	v_fma_f64 v[140:141], v[204:205], v[208:209], -v[140:141]
	v_mul_f64 v[204:205], v[204:205], v[142:143]
	v_fmac_f64_e32 v[204:205], v[206:207], v[208:209]
	v_add_f64 v[138:139], v[138:139], -v[204:205]
	ds_read2_b64 v[204:207], v202 offset0:48 offset1:49
	v_add_f64 v[136:137], v[136:137], -v[140:141]
	s_waitcnt lgkmcnt(0)
	v_mul_f64 v[140:141], v[206:207], v[142:143]
	v_fma_f64 v[140:141], v[204:205], v[208:209], -v[140:141]
	v_mul_f64 v[204:205], v[204:205], v[142:143]
	v_fmac_f64_e32 v[204:205], v[206:207], v[208:209]
	v_add_f64 v[134:135], v[134:135], -v[204:205]
	ds_read2_b64 v[204:207], v202 offset0:50 offset1:51
	v_add_f64 v[132:133], v[132:133], -v[140:141]
	;; [unrolled: 8-line block ×35, first 2 shown]
	s_waitcnt lgkmcnt(0)
	v_mul_f64 v[140:141], v[206:207], v[142:143]
	v_fma_f64 v[140:141], v[204:205], v[208:209], -v[140:141]
	v_mul_f64 v[204:205], v[204:205], v[142:143]
	v_fmac_f64_e32 v[204:205], v[206:207], v[208:209]
	v_add_f64 v[232:233], v[232:233], -v[140:141]
	v_add_f64 v[234:235], v[234:235], -v[204:205]
	v_mov_b64_e32 v[140:141], v[208:209]
.LBB117_208:
	s_or_b64 exec, exec, s[2:3]
	v_cmp_eq_u32_e32 vcc, 23, v200
	s_waitcnt vmcnt(63) expcnt(7) lgkmcnt(15)
	s_barrier
	s_and_saveexec_b64 s[4:5], vcc
	s_cbranch_execz .LBB117_215
; %bb.209:
	ds_write2_b64 v201, v[136:137], v[138:139] offset1:1
	ds_write2_b64 v202, v[132:133], v[134:135] offset0:48 offset1:49
	ds_write2_b64 v202, v[128:129], v[130:131] offset0:50 offset1:51
	;; [unrolled: 1-line block ×16, first 2 shown]
	s_waitcnt vmcnt(55)
	ds_write2_b64 v202, v[68:69], v[70:71] offset0:80 offset1:81
	s_waitcnt vmcnt(54)
	ds_write2_b64 v202, v[64:65], v[66:67] offset0:82 offset1:83
	;; [unrolled: 2-line block ×12, first 2 shown]
	ds_write2_b64 v202, v[20:21], v[22:23] offset0:104 offset1:105
	ds_write2_b64 v202, v[16:17], v[18:19] offset0:106 offset1:107
	ds_write2_b64 v202, v[12:13], v[14:15] offset0:108 offset1:109
	ds_write2_b64 v202, v[8:9], v[10:11] offset0:110 offset1:111
	ds_write2_b64 v202, v[4:5], v[6:7] offset0:112 offset1:113
	s_waitcnt vmcnt(43)
	ds_write2_b64 v202, v[0:1], v[2:3] offset0:114 offset1:115
	s_waitcnt vmcnt(40)
	ds_write2_b64 v202, v[232:233], v[234:235] offset0:116 offset1:117
	ds_read2_b64 v[208:211], v201 offset1:1
	s_waitcnt lgkmcnt(0)
	v_cmp_neq_f64_e32 vcc, 0, v[208:209]
	v_cmp_neq_f64_e64 s[2:3], 0, v[210:211]
	s_or_b64 s[2:3], vcc, s[2:3]
	s_and_b64 exec, exec, s[2:3]
	s_cbranch_execz .LBB117_215
; %bb.210:
	v_cmp_ngt_f64_e64 s[2:3], |v[208:209]|, |v[210:211]|
                                        ; implicit-def: $vgpr204_vgpr205
	s_and_saveexec_b64 s[10:11], s[2:3]
	s_xor_b64 s[2:3], exec, s[10:11]
                                        ; implicit-def: $vgpr206_vgpr207
	s_cbranch_execz .LBB117_212
; %bb.211:
	v_div_scale_f64 v[204:205], s[10:11], v[210:211], v[210:211], v[208:209]
	v_rcp_f64_e32 v[206:207], v[204:205]
	v_div_scale_f64 v[212:213], vcc, v[208:209], v[210:211], v[208:209]
	v_fma_f64 v[214:215], -v[204:205], v[206:207], 1.0
	v_fmac_f64_e32 v[206:207], v[206:207], v[214:215]
	v_fma_f64 v[214:215], -v[204:205], v[206:207], 1.0
	v_fmac_f64_e32 v[206:207], v[206:207], v[214:215]
	v_mul_f64 v[214:215], v[212:213], v[206:207]
	v_fma_f64 v[204:205], -v[204:205], v[214:215], v[212:213]
	v_div_fmas_f64 v[204:205], v[204:205], v[206:207], v[214:215]
	v_div_fixup_f64 v[204:205], v[204:205], v[210:211], v[208:209]
	v_fmac_f64_e32 v[210:211], v[208:209], v[204:205]
	v_div_scale_f64 v[206:207], s[10:11], v[210:211], v[210:211], 1.0
	v_rcp_f64_e32 v[208:209], v[206:207]
	s_nop 0
	v_fma_f64 v[212:213], -v[206:207], v[208:209], 1.0
	v_fmac_f64_e32 v[208:209], v[208:209], v[212:213]
	v_fma_f64 v[212:213], -v[206:207], v[208:209], 1.0
	v_fmac_f64_e32 v[208:209], v[208:209], v[212:213]
	v_div_scale_f64 v[212:213], vcc, 1.0, v[210:211], 1.0
	v_mul_f64 v[214:215], v[212:213], v[208:209]
	v_fma_f64 v[206:207], -v[206:207], v[214:215], v[212:213]
	s_nop 1
	v_div_fmas_f64 v[206:207], v[206:207], v[208:209], v[214:215]
	v_div_fixup_f64 v[206:207], v[206:207], v[210:211], 1.0
	v_mul_f64 v[204:205], v[204:205], v[206:207]
	v_xor_b32_e32 v207, 0x80000000, v207
                                        ; implicit-def: $vgpr208_vgpr209
.LBB117_212:
	s_andn2_saveexec_b64 s[2:3], s[2:3]
	s_cbranch_execz .LBB117_214
; %bb.213:
	v_div_scale_f64 v[204:205], s[10:11], v[208:209], v[208:209], v[210:211]
	v_rcp_f64_e32 v[206:207], v[204:205]
	v_div_scale_f64 v[212:213], vcc, v[210:211], v[208:209], v[210:211]
	v_fma_f64 v[214:215], -v[204:205], v[206:207], 1.0
	v_fmac_f64_e32 v[206:207], v[206:207], v[214:215]
	v_fma_f64 v[214:215], -v[204:205], v[206:207], 1.0
	v_fmac_f64_e32 v[206:207], v[206:207], v[214:215]
	v_mul_f64 v[214:215], v[212:213], v[206:207]
	v_fma_f64 v[204:205], -v[204:205], v[214:215], v[212:213]
	v_div_fmas_f64 v[204:205], v[204:205], v[206:207], v[214:215]
	v_div_fixup_f64 v[206:207], v[204:205], v[208:209], v[210:211]
	v_fmac_f64_e32 v[208:209], v[210:211], v[206:207]
	v_div_scale_f64 v[204:205], s[10:11], v[208:209], v[208:209], 1.0
	v_rcp_f64_e32 v[210:211], v[204:205]
	s_nop 0
	v_fma_f64 v[212:213], -v[204:205], v[210:211], 1.0
	v_fmac_f64_e32 v[210:211], v[210:211], v[212:213]
	v_fma_f64 v[212:213], -v[204:205], v[210:211], 1.0
	v_fmac_f64_e32 v[210:211], v[210:211], v[212:213]
	v_div_scale_f64 v[212:213], vcc, 1.0, v[208:209], 1.0
	v_mul_f64 v[214:215], v[212:213], v[210:211]
	v_fma_f64 v[204:205], -v[204:205], v[214:215], v[212:213]
	s_nop 1
	v_div_fmas_f64 v[204:205], v[204:205], v[210:211], v[214:215]
	v_div_fixup_f64 v[204:205], v[204:205], v[208:209], 1.0
	v_mul_f64 v[206:207], v[206:207], -v[204:205]
.LBB117_214:
	s_or_b64 exec, exec, s[2:3]
	ds_write2_b64 v201, v[204:205], v[206:207] offset1:1
.LBB117_215:
	s_or_b64 exec, exec, s[4:5]
	s_waitcnt lgkmcnt(0)
	s_barrier
	ds_read2_b64 v[192:195], v201 offset1:1
	v_cmp_lt_u32_e32 vcc, 23, v200
	s_waitcnt lgkmcnt(0)
	scratch_store_dwordx4 off, v[192:195], off offset:984 ; 16-byte Folded Spill
	s_and_saveexec_b64 s[2:3], vcc
	s_cbranch_execz .LBB117_217
; %bb.216:
	scratch_load_dwordx4 v[192:195], off, off offset:984 ; 16-byte Folded Reload
	s_waitcnt vmcnt(0)
	v_mul_f64 v[204:205], v[194:195], v[138:139]
	v_fma_f64 v[208:209], v[192:193], v[136:137], -v[204:205]
	ds_read2_b64 v[204:207], v202 offset0:48 offset1:49
	v_mul_f64 v[138:139], v[192:193], v[138:139]
	v_fmac_f64_e32 v[138:139], v[194:195], v[136:137]
	s_waitcnt lgkmcnt(0)
	v_mul_f64 v[136:137], v[206:207], v[138:139]
	v_fma_f64 v[136:137], v[204:205], v[208:209], -v[136:137]
	v_mul_f64 v[204:205], v[204:205], v[138:139]
	v_fmac_f64_e32 v[204:205], v[206:207], v[208:209]
	v_add_f64 v[134:135], v[134:135], -v[204:205]
	ds_read2_b64 v[204:207], v202 offset0:50 offset1:51
	v_add_f64 v[132:133], v[132:133], -v[136:137]
	s_waitcnt lgkmcnt(0)
	v_mul_f64 v[136:137], v[206:207], v[138:139]
	v_fma_f64 v[136:137], v[204:205], v[208:209], -v[136:137]
	v_mul_f64 v[204:205], v[204:205], v[138:139]
	v_fmac_f64_e32 v[204:205], v[206:207], v[208:209]
	v_add_f64 v[130:131], v[130:131], -v[204:205]
	ds_read2_b64 v[204:207], v202 offset0:52 offset1:53
	v_add_f64 v[128:129], v[128:129], -v[136:137]
	;; [unrolled: 8-line block ×34, first 2 shown]
	s_waitcnt lgkmcnt(0)
	v_mul_f64 v[136:137], v[206:207], v[138:139]
	v_fma_f64 v[136:137], v[204:205], v[208:209], -v[136:137]
	v_mul_f64 v[204:205], v[204:205], v[138:139]
	v_fmac_f64_e32 v[204:205], v[206:207], v[208:209]
	v_add_f64 v[232:233], v[232:233], -v[136:137]
	v_add_f64 v[234:235], v[234:235], -v[204:205]
	v_mov_b64_e32 v[136:137], v[208:209]
.LBB117_217:
	s_or_b64 exec, exec, s[2:3]
	v_cmp_eq_u32_e32 vcc, 24, v200
	s_waitcnt vmcnt(63) expcnt(7) lgkmcnt(15)
	s_barrier
	s_and_saveexec_b64 s[4:5], vcc
	s_cbranch_execz .LBB117_224
; %bb.218:
	ds_write2_b64 v201, v[132:133], v[134:135] offset1:1
	ds_write2_b64 v202, v[128:129], v[130:131] offset0:50 offset1:51
	ds_write2_b64 v202, v[124:125], v[126:127] offset0:52 offset1:53
	;; [unrolled: 1-line block ×15, first 2 shown]
	s_waitcnt vmcnt(56)
	ds_write2_b64 v202, v[68:69], v[70:71] offset0:80 offset1:81
	s_waitcnt vmcnt(55)
	ds_write2_b64 v202, v[64:65], v[66:67] offset0:82 offset1:83
	;; [unrolled: 2-line block ×12, first 2 shown]
	ds_write2_b64 v202, v[20:21], v[22:23] offset0:104 offset1:105
	ds_write2_b64 v202, v[16:17], v[18:19] offset0:106 offset1:107
	ds_write2_b64 v202, v[12:13], v[14:15] offset0:108 offset1:109
	ds_write2_b64 v202, v[8:9], v[10:11] offset0:110 offset1:111
	ds_write2_b64 v202, v[4:5], v[6:7] offset0:112 offset1:113
	s_waitcnt vmcnt(44)
	ds_write2_b64 v202, v[0:1], v[2:3] offset0:114 offset1:115
	s_waitcnt vmcnt(41)
	ds_write2_b64 v202, v[232:233], v[234:235] offset0:116 offset1:117
	ds_read2_b64 v[208:211], v201 offset1:1
	s_waitcnt lgkmcnt(0)
	v_cmp_neq_f64_e32 vcc, 0, v[208:209]
	v_cmp_neq_f64_e64 s[2:3], 0, v[210:211]
	s_or_b64 s[2:3], vcc, s[2:3]
	s_and_b64 exec, exec, s[2:3]
	s_cbranch_execz .LBB117_224
; %bb.219:
	v_cmp_ngt_f64_e64 s[2:3], |v[208:209]|, |v[210:211]|
                                        ; implicit-def: $vgpr204_vgpr205
	s_and_saveexec_b64 s[10:11], s[2:3]
	s_xor_b64 s[2:3], exec, s[10:11]
                                        ; implicit-def: $vgpr206_vgpr207
	s_cbranch_execz .LBB117_221
; %bb.220:
	v_div_scale_f64 v[204:205], s[10:11], v[210:211], v[210:211], v[208:209]
	v_rcp_f64_e32 v[206:207], v[204:205]
	v_div_scale_f64 v[212:213], vcc, v[208:209], v[210:211], v[208:209]
	v_fma_f64 v[214:215], -v[204:205], v[206:207], 1.0
	v_fmac_f64_e32 v[206:207], v[206:207], v[214:215]
	v_fma_f64 v[214:215], -v[204:205], v[206:207], 1.0
	v_fmac_f64_e32 v[206:207], v[206:207], v[214:215]
	v_mul_f64 v[214:215], v[212:213], v[206:207]
	v_fma_f64 v[204:205], -v[204:205], v[214:215], v[212:213]
	v_div_fmas_f64 v[204:205], v[204:205], v[206:207], v[214:215]
	v_div_fixup_f64 v[204:205], v[204:205], v[210:211], v[208:209]
	v_fmac_f64_e32 v[210:211], v[208:209], v[204:205]
	v_div_scale_f64 v[206:207], s[10:11], v[210:211], v[210:211], 1.0
	v_rcp_f64_e32 v[208:209], v[206:207]
	s_nop 0
	v_fma_f64 v[212:213], -v[206:207], v[208:209], 1.0
	v_fmac_f64_e32 v[208:209], v[208:209], v[212:213]
	v_fma_f64 v[212:213], -v[206:207], v[208:209], 1.0
	v_fmac_f64_e32 v[208:209], v[208:209], v[212:213]
	v_div_scale_f64 v[212:213], vcc, 1.0, v[210:211], 1.0
	v_mul_f64 v[214:215], v[212:213], v[208:209]
	v_fma_f64 v[206:207], -v[206:207], v[214:215], v[212:213]
	s_nop 1
	v_div_fmas_f64 v[206:207], v[206:207], v[208:209], v[214:215]
	v_div_fixup_f64 v[206:207], v[206:207], v[210:211], 1.0
	v_mul_f64 v[204:205], v[204:205], v[206:207]
	v_xor_b32_e32 v207, 0x80000000, v207
                                        ; implicit-def: $vgpr208_vgpr209
.LBB117_221:
	s_andn2_saveexec_b64 s[2:3], s[2:3]
	s_cbranch_execz .LBB117_223
; %bb.222:
	v_div_scale_f64 v[204:205], s[10:11], v[208:209], v[208:209], v[210:211]
	v_rcp_f64_e32 v[206:207], v[204:205]
	v_div_scale_f64 v[212:213], vcc, v[210:211], v[208:209], v[210:211]
	v_fma_f64 v[214:215], -v[204:205], v[206:207], 1.0
	v_fmac_f64_e32 v[206:207], v[206:207], v[214:215]
	v_fma_f64 v[214:215], -v[204:205], v[206:207], 1.0
	v_fmac_f64_e32 v[206:207], v[206:207], v[214:215]
	v_mul_f64 v[214:215], v[212:213], v[206:207]
	v_fma_f64 v[204:205], -v[204:205], v[214:215], v[212:213]
	v_div_fmas_f64 v[204:205], v[204:205], v[206:207], v[214:215]
	v_div_fixup_f64 v[206:207], v[204:205], v[208:209], v[210:211]
	v_fmac_f64_e32 v[208:209], v[210:211], v[206:207]
	v_div_scale_f64 v[204:205], s[10:11], v[208:209], v[208:209], 1.0
	v_rcp_f64_e32 v[210:211], v[204:205]
	s_nop 0
	v_fma_f64 v[212:213], -v[204:205], v[210:211], 1.0
	v_fmac_f64_e32 v[210:211], v[210:211], v[212:213]
	v_fma_f64 v[212:213], -v[204:205], v[210:211], 1.0
	v_fmac_f64_e32 v[210:211], v[210:211], v[212:213]
	v_div_scale_f64 v[212:213], vcc, 1.0, v[208:209], 1.0
	v_mul_f64 v[214:215], v[212:213], v[210:211]
	v_fma_f64 v[204:205], -v[204:205], v[214:215], v[212:213]
	s_nop 1
	v_div_fmas_f64 v[204:205], v[204:205], v[210:211], v[214:215]
	v_div_fixup_f64 v[204:205], v[204:205], v[208:209], 1.0
	v_mul_f64 v[206:207], v[206:207], -v[204:205]
.LBB117_223:
	s_or_b64 exec, exec, s[2:3]
	ds_write2_b64 v201, v[204:205], v[206:207] offset1:1
.LBB117_224:
	s_or_b64 exec, exec, s[4:5]
	s_waitcnt lgkmcnt(0)
	s_barrier
	ds_read2_b64 v[192:195], v201 offset1:1
	v_cmp_lt_u32_e32 vcc, 24, v200
	s_waitcnt lgkmcnt(0)
	scratch_store_dwordx4 off, v[192:195], off offset:1000 ; 16-byte Folded Spill
	s_and_saveexec_b64 s[2:3], vcc
	s_cbranch_execz .LBB117_226
; %bb.225:
	scratch_load_dwordx4 v[192:195], off, off offset:1000 ; 16-byte Folded Reload
	s_waitcnt vmcnt(0)
	v_mul_f64 v[204:205], v[194:195], v[134:135]
	v_fma_f64 v[208:209], v[192:193], v[132:133], -v[204:205]
	ds_read2_b64 v[204:207], v202 offset0:50 offset1:51
	v_mul_f64 v[134:135], v[192:193], v[134:135]
	v_fmac_f64_e32 v[134:135], v[194:195], v[132:133]
	s_waitcnt lgkmcnt(0)
	v_mul_f64 v[132:133], v[206:207], v[134:135]
	v_fma_f64 v[132:133], v[204:205], v[208:209], -v[132:133]
	v_mul_f64 v[204:205], v[204:205], v[134:135]
	v_fmac_f64_e32 v[204:205], v[206:207], v[208:209]
	v_add_f64 v[130:131], v[130:131], -v[204:205]
	ds_read2_b64 v[204:207], v202 offset0:52 offset1:53
	v_add_f64 v[128:129], v[128:129], -v[132:133]
	s_waitcnt lgkmcnt(0)
	v_mul_f64 v[132:133], v[206:207], v[134:135]
	v_fma_f64 v[132:133], v[204:205], v[208:209], -v[132:133]
	v_mul_f64 v[204:205], v[204:205], v[134:135]
	v_fmac_f64_e32 v[204:205], v[206:207], v[208:209]
	v_add_f64 v[126:127], v[126:127], -v[204:205]
	ds_read2_b64 v[204:207], v202 offset0:54 offset1:55
	v_add_f64 v[124:125], v[124:125], -v[132:133]
	;; [unrolled: 8-line block ×33, first 2 shown]
	s_waitcnt lgkmcnt(0)
	v_mul_f64 v[132:133], v[206:207], v[134:135]
	v_fma_f64 v[132:133], v[204:205], v[208:209], -v[132:133]
	v_mul_f64 v[204:205], v[204:205], v[134:135]
	v_fmac_f64_e32 v[204:205], v[206:207], v[208:209]
	v_add_f64 v[232:233], v[232:233], -v[132:133]
	v_add_f64 v[234:235], v[234:235], -v[204:205]
	v_mov_b64_e32 v[132:133], v[208:209]
.LBB117_226:
	s_or_b64 exec, exec, s[2:3]
	v_cmp_eq_u32_e32 vcc, 25, v200
	s_waitcnt vmcnt(63) expcnt(7) lgkmcnt(15)
	s_barrier
	s_and_saveexec_b64 s[4:5], vcc
	s_cbranch_execz .LBB117_233
; %bb.227:
	ds_write2_b64 v201, v[128:129], v[130:131] offset1:1
	ds_write2_b64 v202, v[124:125], v[126:127] offset0:52 offset1:53
	ds_write2_b64 v202, v[120:121], v[122:123] offset0:54 offset1:55
	;; [unrolled: 1-line block ×14, first 2 shown]
	s_waitcnt vmcnt(57)
	ds_write2_b64 v202, v[68:69], v[70:71] offset0:80 offset1:81
	s_waitcnt vmcnt(56)
	ds_write2_b64 v202, v[64:65], v[66:67] offset0:82 offset1:83
	;; [unrolled: 2-line block ×12, first 2 shown]
	ds_write2_b64 v202, v[20:21], v[22:23] offset0:104 offset1:105
	ds_write2_b64 v202, v[16:17], v[18:19] offset0:106 offset1:107
	;; [unrolled: 1-line block ×5, first 2 shown]
	s_waitcnt vmcnt(45)
	ds_write2_b64 v202, v[0:1], v[2:3] offset0:114 offset1:115
	s_waitcnt vmcnt(42)
	ds_write2_b64 v202, v[232:233], v[234:235] offset0:116 offset1:117
	ds_read2_b64 v[208:211], v201 offset1:1
	s_waitcnt lgkmcnt(0)
	v_cmp_neq_f64_e32 vcc, 0, v[208:209]
	v_cmp_neq_f64_e64 s[2:3], 0, v[210:211]
	s_or_b64 s[2:3], vcc, s[2:3]
	s_and_b64 exec, exec, s[2:3]
	s_cbranch_execz .LBB117_233
; %bb.228:
	v_cmp_ngt_f64_e64 s[2:3], |v[208:209]|, |v[210:211]|
                                        ; implicit-def: $vgpr204_vgpr205
	s_and_saveexec_b64 s[10:11], s[2:3]
	s_xor_b64 s[2:3], exec, s[10:11]
                                        ; implicit-def: $vgpr206_vgpr207
	s_cbranch_execz .LBB117_230
; %bb.229:
	v_div_scale_f64 v[204:205], s[10:11], v[210:211], v[210:211], v[208:209]
	v_rcp_f64_e32 v[206:207], v[204:205]
	v_div_scale_f64 v[212:213], vcc, v[208:209], v[210:211], v[208:209]
	v_fma_f64 v[214:215], -v[204:205], v[206:207], 1.0
	v_fmac_f64_e32 v[206:207], v[206:207], v[214:215]
	v_fma_f64 v[214:215], -v[204:205], v[206:207], 1.0
	v_fmac_f64_e32 v[206:207], v[206:207], v[214:215]
	v_mul_f64 v[214:215], v[212:213], v[206:207]
	v_fma_f64 v[204:205], -v[204:205], v[214:215], v[212:213]
	v_div_fmas_f64 v[204:205], v[204:205], v[206:207], v[214:215]
	v_div_fixup_f64 v[204:205], v[204:205], v[210:211], v[208:209]
	v_fmac_f64_e32 v[210:211], v[208:209], v[204:205]
	v_div_scale_f64 v[206:207], s[10:11], v[210:211], v[210:211], 1.0
	v_rcp_f64_e32 v[208:209], v[206:207]
	s_nop 0
	v_fma_f64 v[212:213], -v[206:207], v[208:209], 1.0
	v_fmac_f64_e32 v[208:209], v[208:209], v[212:213]
	v_fma_f64 v[212:213], -v[206:207], v[208:209], 1.0
	v_fmac_f64_e32 v[208:209], v[208:209], v[212:213]
	v_div_scale_f64 v[212:213], vcc, 1.0, v[210:211], 1.0
	v_mul_f64 v[214:215], v[212:213], v[208:209]
	v_fma_f64 v[206:207], -v[206:207], v[214:215], v[212:213]
	s_nop 1
	v_div_fmas_f64 v[206:207], v[206:207], v[208:209], v[214:215]
	v_div_fixup_f64 v[206:207], v[206:207], v[210:211], 1.0
	v_mul_f64 v[204:205], v[204:205], v[206:207]
	v_xor_b32_e32 v207, 0x80000000, v207
                                        ; implicit-def: $vgpr208_vgpr209
.LBB117_230:
	s_andn2_saveexec_b64 s[2:3], s[2:3]
	s_cbranch_execz .LBB117_232
; %bb.231:
	v_div_scale_f64 v[204:205], s[10:11], v[208:209], v[208:209], v[210:211]
	v_rcp_f64_e32 v[206:207], v[204:205]
	v_div_scale_f64 v[212:213], vcc, v[210:211], v[208:209], v[210:211]
	v_fma_f64 v[214:215], -v[204:205], v[206:207], 1.0
	v_fmac_f64_e32 v[206:207], v[206:207], v[214:215]
	v_fma_f64 v[214:215], -v[204:205], v[206:207], 1.0
	v_fmac_f64_e32 v[206:207], v[206:207], v[214:215]
	v_mul_f64 v[214:215], v[212:213], v[206:207]
	v_fma_f64 v[204:205], -v[204:205], v[214:215], v[212:213]
	v_div_fmas_f64 v[204:205], v[204:205], v[206:207], v[214:215]
	v_div_fixup_f64 v[206:207], v[204:205], v[208:209], v[210:211]
	v_fmac_f64_e32 v[208:209], v[210:211], v[206:207]
	v_div_scale_f64 v[204:205], s[10:11], v[208:209], v[208:209], 1.0
	v_rcp_f64_e32 v[210:211], v[204:205]
	s_nop 0
	v_fma_f64 v[212:213], -v[204:205], v[210:211], 1.0
	v_fmac_f64_e32 v[210:211], v[210:211], v[212:213]
	v_fma_f64 v[212:213], -v[204:205], v[210:211], 1.0
	v_fmac_f64_e32 v[210:211], v[210:211], v[212:213]
	v_div_scale_f64 v[212:213], vcc, 1.0, v[208:209], 1.0
	v_mul_f64 v[214:215], v[212:213], v[210:211]
	v_fma_f64 v[204:205], -v[204:205], v[214:215], v[212:213]
	s_nop 1
	v_div_fmas_f64 v[204:205], v[204:205], v[210:211], v[214:215]
	v_div_fixup_f64 v[204:205], v[204:205], v[208:209], 1.0
	v_mul_f64 v[206:207], v[206:207], -v[204:205]
.LBB117_232:
	s_or_b64 exec, exec, s[2:3]
	ds_write2_b64 v201, v[204:205], v[206:207] offset1:1
.LBB117_233:
	s_or_b64 exec, exec, s[4:5]
	s_waitcnt lgkmcnt(0)
	s_barrier
	ds_read2_b64 v[192:195], v201 offset1:1
	v_cmp_lt_u32_e32 vcc, 25, v200
	s_waitcnt lgkmcnt(0)
	scratch_store_dwordx4 off, v[192:195], off offset:1016 ; 16-byte Folded Spill
	s_and_saveexec_b64 s[2:3], vcc
	s_cbranch_execz .LBB117_235
; %bb.234:
	scratch_load_dwordx4 v[192:195], off, off offset:1016 ; 16-byte Folded Reload
	s_waitcnt vmcnt(0)
	v_mul_f64 v[204:205], v[194:195], v[130:131]
	v_fma_f64 v[208:209], v[192:193], v[128:129], -v[204:205]
	ds_read2_b64 v[204:207], v202 offset0:52 offset1:53
	v_mul_f64 v[130:131], v[192:193], v[130:131]
	v_fmac_f64_e32 v[130:131], v[194:195], v[128:129]
	s_waitcnt lgkmcnt(0)
	v_mul_f64 v[128:129], v[206:207], v[130:131]
	v_fma_f64 v[128:129], v[204:205], v[208:209], -v[128:129]
	v_mul_f64 v[204:205], v[204:205], v[130:131]
	v_fmac_f64_e32 v[204:205], v[206:207], v[208:209]
	v_add_f64 v[126:127], v[126:127], -v[204:205]
	ds_read2_b64 v[204:207], v202 offset0:54 offset1:55
	v_add_f64 v[124:125], v[124:125], -v[128:129]
	s_waitcnt lgkmcnt(0)
	v_mul_f64 v[128:129], v[206:207], v[130:131]
	v_fma_f64 v[128:129], v[204:205], v[208:209], -v[128:129]
	v_mul_f64 v[204:205], v[204:205], v[130:131]
	v_fmac_f64_e32 v[204:205], v[206:207], v[208:209]
	v_add_f64 v[122:123], v[122:123], -v[204:205]
	ds_read2_b64 v[204:207], v202 offset0:56 offset1:57
	v_add_f64 v[120:121], v[120:121], -v[128:129]
	;; [unrolled: 8-line block ×32, first 2 shown]
	s_waitcnt lgkmcnt(0)
	v_mul_f64 v[128:129], v[206:207], v[130:131]
	v_fma_f64 v[128:129], v[204:205], v[208:209], -v[128:129]
	v_mul_f64 v[204:205], v[204:205], v[130:131]
	v_fmac_f64_e32 v[204:205], v[206:207], v[208:209]
	v_add_f64 v[232:233], v[232:233], -v[128:129]
	v_add_f64 v[234:235], v[234:235], -v[204:205]
	v_mov_b64_e32 v[128:129], v[208:209]
.LBB117_235:
	s_or_b64 exec, exec, s[2:3]
	v_cmp_eq_u32_e32 vcc, 26, v200
	s_waitcnt vmcnt(63) expcnt(7) lgkmcnt(15)
	s_barrier
	s_and_saveexec_b64 s[4:5], vcc
	s_cbranch_execz .LBB117_242
; %bb.236:
	ds_write2_b64 v201, v[124:125], v[126:127] offset1:1
	ds_write2_b64 v202, v[120:121], v[122:123] offset0:54 offset1:55
	ds_write2_b64 v202, v[116:117], v[118:119] offset0:56 offset1:57
	ds_write2_b64 v202, v[112:113], v[114:115] offset0:58 offset1:59
	ds_write2_b64 v202, v[108:109], v[110:111] offset0:60 offset1:61
	ds_write2_b64 v202, v[104:105], v[106:107] offset0:62 offset1:63
	ds_write2_b64 v202, v[100:101], v[102:103] offset0:64 offset1:65
	ds_write2_b64 v202, v[96:97], v[98:99] offset0:66 offset1:67
	ds_write2_b64 v202, v[92:93], v[94:95] offset0:68 offset1:69
	ds_write2_b64 v202, v[88:89], v[90:91] offset0:70 offset1:71
	ds_write2_b64 v202, v[84:85], v[86:87] offset0:72 offset1:73
	ds_write2_b64 v202, v[80:81], v[82:83] offset0:74 offset1:75
	ds_write2_b64 v202, v[76:77], v[78:79] offset0:76 offset1:77
	ds_write2_b64 v202, v[72:73], v[74:75] offset0:78 offset1:79
	s_waitcnt vmcnt(58)
	ds_write2_b64 v202, v[68:69], v[70:71] offset0:80 offset1:81
	s_waitcnt vmcnt(57)
	ds_write2_b64 v202, v[64:65], v[66:67] offset0:82 offset1:83
	;; [unrolled: 2-line block ×12, first 2 shown]
	ds_write2_b64 v202, v[20:21], v[22:23] offset0:104 offset1:105
	ds_write2_b64 v202, v[16:17], v[18:19] offset0:106 offset1:107
	;; [unrolled: 1-line block ×5, first 2 shown]
	s_waitcnt vmcnt(46)
	ds_write2_b64 v202, v[0:1], v[2:3] offset0:114 offset1:115
	s_waitcnt vmcnt(43)
	ds_write2_b64 v202, v[232:233], v[234:235] offset0:116 offset1:117
	ds_read2_b64 v[208:211], v201 offset1:1
	s_waitcnt lgkmcnt(0)
	v_cmp_neq_f64_e32 vcc, 0, v[208:209]
	v_cmp_neq_f64_e64 s[2:3], 0, v[210:211]
	s_or_b64 s[2:3], vcc, s[2:3]
	s_and_b64 exec, exec, s[2:3]
	s_cbranch_execz .LBB117_242
; %bb.237:
	v_cmp_ngt_f64_e64 s[2:3], |v[208:209]|, |v[210:211]|
                                        ; implicit-def: $vgpr204_vgpr205
	s_and_saveexec_b64 s[10:11], s[2:3]
	s_xor_b64 s[2:3], exec, s[10:11]
                                        ; implicit-def: $vgpr206_vgpr207
	s_cbranch_execz .LBB117_239
; %bb.238:
	v_div_scale_f64 v[204:205], s[10:11], v[210:211], v[210:211], v[208:209]
	v_rcp_f64_e32 v[206:207], v[204:205]
	v_div_scale_f64 v[212:213], vcc, v[208:209], v[210:211], v[208:209]
	v_fma_f64 v[214:215], -v[204:205], v[206:207], 1.0
	v_fmac_f64_e32 v[206:207], v[206:207], v[214:215]
	v_fma_f64 v[214:215], -v[204:205], v[206:207], 1.0
	v_fmac_f64_e32 v[206:207], v[206:207], v[214:215]
	v_mul_f64 v[214:215], v[212:213], v[206:207]
	v_fma_f64 v[204:205], -v[204:205], v[214:215], v[212:213]
	v_div_fmas_f64 v[204:205], v[204:205], v[206:207], v[214:215]
	v_div_fixup_f64 v[204:205], v[204:205], v[210:211], v[208:209]
	v_fmac_f64_e32 v[210:211], v[208:209], v[204:205]
	v_div_scale_f64 v[206:207], s[10:11], v[210:211], v[210:211], 1.0
	v_rcp_f64_e32 v[208:209], v[206:207]
	s_nop 0
	v_fma_f64 v[212:213], -v[206:207], v[208:209], 1.0
	v_fmac_f64_e32 v[208:209], v[208:209], v[212:213]
	v_fma_f64 v[212:213], -v[206:207], v[208:209], 1.0
	v_fmac_f64_e32 v[208:209], v[208:209], v[212:213]
	v_div_scale_f64 v[212:213], vcc, 1.0, v[210:211], 1.0
	v_mul_f64 v[214:215], v[212:213], v[208:209]
	v_fma_f64 v[206:207], -v[206:207], v[214:215], v[212:213]
	s_nop 1
	v_div_fmas_f64 v[206:207], v[206:207], v[208:209], v[214:215]
	v_div_fixup_f64 v[206:207], v[206:207], v[210:211], 1.0
	v_mul_f64 v[204:205], v[204:205], v[206:207]
	v_xor_b32_e32 v207, 0x80000000, v207
                                        ; implicit-def: $vgpr208_vgpr209
.LBB117_239:
	s_andn2_saveexec_b64 s[2:3], s[2:3]
	s_cbranch_execz .LBB117_241
; %bb.240:
	v_div_scale_f64 v[204:205], s[10:11], v[208:209], v[208:209], v[210:211]
	v_rcp_f64_e32 v[206:207], v[204:205]
	v_div_scale_f64 v[212:213], vcc, v[210:211], v[208:209], v[210:211]
	v_fma_f64 v[214:215], -v[204:205], v[206:207], 1.0
	v_fmac_f64_e32 v[206:207], v[206:207], v[214:215]
	v_fma_f64 v[214:215], -v[204:205], v[206:207], 1.0
	v_fmac_f64_e32 v[206:207], v[206:207], v[214:215]
	v_mul_f64 v[214:215], v[212:213], v[206:207]
	v_fma_f64 v[204:205], -v[204:205], v[214:215], v[212:213]
	v_div_fmas_f64 v[204:205], v[204:205], v[206:207], v[214:215]
	v_div_fixup_f64 v[206:207], v[204:205], v[208:209], v[210:211]
	v_fmac_f64_e32 v[208:209], v[210:211], v[206:207]
	v_div_scale_f64 v[204:205], s[10:11], v[208:209], v[208:209], 1.0
	v_rcp_f64_e32 v[210:211], v[204:205]
	s_nop 0
	v_fma_f64 v[212:213], -v[204:205], v[210:211], 1.0
	v_fmac_f64_e32 v[210:211], v[210:211], v[212:213]
	v_fma_f64 v[212:213], -v[204:205], v[210:211], 1.0
	v_fmac_f64_e32 v[210:211], v[210:211], v[212:213]
	v_div_scale_f64 v[212:213], vcc, 1.0, v[208:209], 1.0
	v_mul_f64 v[214:215], v[212:213], v[210:211]
	v_fma_f64 v[204:205], -v[204:205], v[214:215], v[212:213]
	s_nop 1
	v_div_fmas_f64 v[204:205], v[204:205], v[210:211], v[214:215]
	v_div_fixup_f64 v[204:205], v[204:205], v[208:209], 1.0
	v_mul_f64 v[206:207], v[206:207], -v[204:205]
.LBB117_241:
	s_or_b64 exec, exec, s[2:3]
	ds_write2_b64 v201, v[204:205], v[206:207] offset1:1
.LBB117_242:
	s_or_b64 exec, exec, s[4:5]
	s_waitcnt lgkmcnt(0)
	s_barrier
	ds_read2_b64 v[192:195], v201 offset1:1
	v_cmp_lt_u32_e32 vcc, 26, v200
	s_waitcnt lgkmcnt(0)
	scratch_store_dwordx4 off, v[192:195], off offset:1032 ; 16-byte Folded Spill
	s_and_saveexec_b64 s[2:3], vcc
	s_cbranch_execz .LBB117_244
; %bb.243:
	scratch_load_dwordx4 v[192:195], off, off offset:1032 ; 16-byte Folded Reload
	s_waitcnt vmcnt(0)
	v_mul_f64 v[204:205], v[194:195], v[126:127]
	v_fma_f64 v[208:209], v[192:193], v[124:125], -v[204:205]
	ds_read2_b64 v[204:207], v202 offset0:54 offset1:55
	v_mul_f64 v[126:127], v[192:193], v[126:127]
	v_fmac_f64_e32 v[126:127], v[194:195], v[124:125]
	s_waitcnt lgkmcnt(0)
	v_mul_f64 v[124:125], v[206:207], v[126:127]
	v_fma_f64 v[124:125], v[204:205], v[208:209], -v[124:125]
	v_mul_f64 v[204:205], v[204:205], v[126:127]
	v_fmac_f64_e32 v[204:205], v[206:207], v[208:209]
	v_add_f64 v[122:123], v[122:123], -v[204:205]
	ds_read2_b64 v[204:207], v202 offset0:56 offset1:57
	v_add_f64 v[120:121], v[120:121], -v[124:125]
	s_waitcnt lgkmcnt(0)
	v_mul_f64 v[124:125], v[206:207], v[126:127]
	v_fma_f64 v[124:125], v[204:205], v[208:209], -v[124:125]
	v_mul_f64 v[204:205], v[204:205], v[126:127]
	v_fmac_f64_e32 v[204:205], v[206:207], v[208:209]
	v_add_f64 v[118:119], v[118:119], -v[204:205]
	ds_read2_b64 v[204:207], v202 offset0:58 offset1:59
	v_add_f64 v[116:117], v[116:117], -v[124:125]
	;; [unrolled: 8-line block ×31, first 2 shown]
	s_waitcnt lgkmcnt(0)
	v_mul_f64 v[124:125], v[206:207], v[126:127]
	v_fma_f64 v[124:125], v[204:205], v[208:209], -v[124:125]
	v_mul_f64 v[204:205], v[204:205], v[126:127]
	v_fmac_f64_e32 v[204:205], v[206:207], v[208:209]
	v_add_f64 v[232:233], v[232:233], -v[124:125]
	v_add_f64 v[234:235], v[234:235], -v[204:205]
	v_mov_b64_e32 v[124:125], v[208:209]
.LBB117_244:
	s_or_b64 exec, exec, s[2:3]
	v_cmp_eq_u32_e32 vcc, 27, v200
	s_waitcnt vmcnt(63) expcnt(7) lgkmcnt(15)
	s_barrier
	s_and_saveexec_b64 s[4:5], vcc
	s_cbranch_execz .LBB117_251
; %bb.245:
	ds_write2_b64 v201, v[120:121], v[122:123] offset1:1
	ds_write2_b64 v202, v[116:117], v[118:119] offset0:56 offset1:57
	ds_write2_b64 v202, v[112:113], v[114:115] offset0:58 offset1:59
	;; [unrolled: 1-line block ×12, first 2 shown]
	s_waitcnt vmcnt(59)
	ds_write2_b64 v202, v[68:69], v[70:71] offset0:80 offset1:81
	s_waitcnt vmcnt(58)
	ds_write2_b64 v202, v[64:65], v[66:67] offset0:82 offset1:83
	;; [unrolled: 2-line block ×12, first 2 shown]
	ds_write2_b64 v202, v[20:21], v[22:23] offset0:104 offset1:105
	ds_write2_b64 v202, v[16:17], v[18:19] offset0:106 offset1:107
	;; [unrolled: 1-line block ×5, first 2 shown]
	s_waitcnt vmcnt(47)
	ds_write2_b64 v202, v[0:1], v[2:3] offset0:114 offset1:115
	s_waitcnt vmcnt(44)
	ds_write2_b64 v202, v[232:233], v[234:235] offset0:116 offset1:117
	ds_read2_b64 v[208:211], v201 offset1:1
	s_waitcnt lgkmcnt(0)
	v_cmp_neq_f64_e32 vcc, 0, v[208:209]
	v_cmp_neq_f64_e64 s[2:3], 0, v[210:211]
	s_or_b64 s[2:3], vcc, s[2:3]
	s_and_b64 exec, exec, s[2:3]
	s_cbranch_execz .LBB117_251
; %bb.246:
	v_cmp_ngt_f64_e64 s[2:3], |v[208:209]|, |v[210:211]|
                                        ; implicit-def: $vgpr204_vgpr205
	s_and_saveexec_b64 s[10:11], s[2:3]
	s_xor_b64 s[2:3], exec, s[10:11]
                                        ; implicit-def: $vgpr206_vgpr207
	s_cbranch_execz .LBB117_248
; %bb.247:
	v_div_scale_f64 v[204:205], s[10:11], v[210:211], v[210:211], v[208:209]
	v_rcp_f64_e32 v[206:207], v[204:205]
	v_div_scale_f64 v[212:213], vcc, v[208:209], v[210:211], v[208:209]
	v_fma_f64 v[214:215], -v[204:205], v[206:207], 1.0
	v_fmac_f64_e32 v[206:207], v[206:207], v[214:215]
	v_fma_f64 v[214:215], -v[204:205], v[206:207], 1.0
	v_fmac_f64_e32 v[206:207], v[206:207], v[214:215]
	v_mul_f64 v[214:215], v[212:213], v[206:207]
	v_fma_f64 v[204:205], -v[204:205], v[214:215], v[212:213]
	v_div_fmas_f64 v[204:205], v[204:205], v[206:207], v[214:215]
	v_div_fixup_f64 v[204:205], v[204:205], v[210:211], v[208:209]
	v_fmac_f64_e32 v[210:211], v[208:209], v[204:205]
	v_div_scale_f64 v[206:207], s[10:11], v[210:211], v[210:211], 1.0
	v_rcp_f64_e32 v[208:209], v[206:207]
	s_nop 0
	v_fma_f64 v[212:213], -v[206:207], v[208:209], 1.0
	v_fmac_f64_e32 v[208:209], v[208:209], v[212:213]
	v_fma_f64 v[212:213], -v[206:207], v[208:209], 1.0
	v_fmac_f64_e32 v[208:209], v[208:209], v[212:213]
	v_div_scale_f64 v[212:213], vcc, 1.0, v[210:211], 1.0
	v_mul_f64 v[214:215], v[212:213], v[208:209]
	v_fma_f64 v[206:207], -v[206:207], v[214:215], v[212:213]
	s_nop 1
	v_div_fmas_f64 v[206:207], v[206:207], v[208:209], v[214:215]
	v_div_fixup_f64 v[206:207], v[206:207], v[210:211], 1.0
	v_mul_f64 v[204:205], v[204:205], v[206:207]
	v_xor_b32_e32 v207, 0x80000000, v207
                                        ; implicit-def: $vgpr208_vgpr209
.LBB117_248:
	s_andn2_saveexec_b64 s[2:3], s[2:3]
	s_cbranch_execz .LBB117_250
; %bb.249:
	v_div_scale_f64 v[204:205], s[10:11], v[208:209], v[208:209], v[210:211]
	v_rcp_f64_e32 v[206:207], v[204:205]
	v_div_scale_f64 v[212:213], vcc, v[210:211], v[208:209], v[210:211]
	v_fma_f64 v[214:215], -v[204:205], v[206:207], 1.0
	v_fmac_f64_e32 v[206:207], v[206:207], v[214:215]
	v_fma_f64 v[214:215], -v[204:205], v[206:207], 1.0
	v_fmac_f64_e32 v[206:207], v[206:207], v[214:215]
	v_mul_f64 v[214:215], v[212:213], v[206:207]
	v_fma_f64 v[204:205], -v[204:205], v[214:215], v[212:213]
	v_div_fmas_f64 v[204:205], v[204:205], v[206:207], v[214:215]
	v_div_fixup_f64 v[206:207], v[204:205], v[208:209], v[210:211]
	v_fmac_f64_e32 v[208:209], v[210:211], v[206:207]
	v_div_scale_f64 v[204:205], s[10:11], v[208:209], v[208:209], 1.0
	v_rcp_f64_e32 v[210:211], v[204:205]
	s_nop 0
	v_fma_f64 v[212:213], -v[204:205], v[210:211], 1.0
	v_fmac_f64_e32 v[210:211], v[210:211], v[212:213]
	v_fma_f64 v[212:213], -v[204:205], v[210:211], 1.0
	v_fmac_f64_e32 v[210:211], v[210:211], v[212:213]
	v_div_scale_f64 v[212:213], vcc, 1.0, v[208:209], 1.0
	v_mul_f64 v[214:215], v[212:213], v[210:211]
	v_fma_f64 v[204:205], -v[204:205], v[214:215], v[212:213]
	s_nop 1
	v_div_fmas_f64 v[204:205], v[204:205], v[210:211], v[214:215]
	v_div_fixup_f64 v[204:205], v[204:205], v[208:209], 1.0
	v_mul_f64 v[206:207], v[206:207], -v[204:205]
.LBB117_250:
	s_or_b64 exec, exec, s[2:3]
	ds_write2_b64 v201, v[204:205], v[206:207] offset1:1
.LBB117_251:
	s_or_b64 exec, exec, s[4:5]
	s_waitcnt lgkmcnt(0)
	s_barrier
	ds_read2_b64 v[192:195], v201 offset1:1
	v_cmp_lt_u32_e32 vcc, 27, v200
	s_waitcnt lgkmcnt(0)
	scratch_store_dwordx4 off, v[192:195], off offset:1048 ; 16-byte Folded Spill
	s_and_saveexec_b64 s[2:3], vcc
	s_cbranch_execz .LBB117_253
; %bb.252:
	scratch_load_dwordx4 v[192:195], off, off offset:1048 ; 16-byte Folded Reload
	s_waitcnt vmcnt(0)
	v_mul_f64 v[204:205], v[194:195], v[122:123]
	v_fma_f64 v[208:209], v[192:193], v[120:121], -v[204:205]
	ds_read2_b64 v[204:207], v202 offset0:56 offset1:57
	v_mul_f64 v[122:123], v[192:193], v[122:123]
	v_fmac_f64_e32 v[122:123], v[194:195], v[120:121]
	s_waitcnt lgkmcnt(0)
	v_mul_f64 v[120:121], v[206:207], v[122:123]
	v_fma_f64 v[120:121], v[204:205], v[208:209], -v[120:121]
	v_mul_f64 v[204:205], v[204:205], v[122:123]
	v_fmac_f64_e32 v[204:205], v[206:207], v[208:209]
	v_add_f64 v[118:119], v[118:119], -v[204:205]
	ds_read2_b64 v[204:207], v202 offset0:58 offset1:59
	v_add_f64 v[116:117], v[116:117], -v[120:121]
	s_waitcnt lgkmcnt(0)
	v_mul_f64 v[120:121], v[206:207], v[122:123]
	v_fma_f64 v[120:121], v[204:205], v[208:209], -v[120:121]
	v_mul_f64 v[204:205], v[204:205], v[122:123]
	v_fmac_f64_e32 v[204:205], v[206:207], v[208:209]
	v_add_f64 v[114:115], v[114:115], -v[204:205]
	ds_read2_b64 v[204:207], v202 offset0:60 offset1:61
	v_add_f64 v[112:113], v[112:113], -v[120:121]
	;; [unrolled: 8-line block ×30, first 2 shown]
	s_waitcnt lgkmcnt(0)
	v_mul_f64 v[120:121], v[206:207], v[122:123]
	v_fma_f64 v[120:121], v[204:205], v[208:209], -v[120:121]
	v_mul_f64 v[204:205], v[204:205], v[122:123]
	v_fmac_f64_e32 v[204:205], v[206:207], v[208:209]
	v_add_f64 v[232:233], v[232:233], -v[120:121]
	v_add_f64 v[234:235], v[234:235], -v[204:205]
	v_mov_b64_e32 v[120:121], v[208:209]
.LBB117_253:
	s_or_b64 exec, exec, s[2:3]
	v_cmp_eq_u32_e32 vcc, 28, v200
	s_waitcnt vmcnt(63) expcnt(7) lgkmcnt(15)
	s_barrier
	s_and_saveexec_b64 s[4:5], vcc
	s_cbranch_execz .LBB117_260
; %bb.254:
	ds_write2_b64 v201, v[116:117], v[118:119] offset1:1
	ds_write2_b64 v202, v[112:113], v[114:115] offset0:58 offset1:59
	ds_write2_b64 v202, v[108:109], v[110:111] offset0:60 offset1:61
	;; [unrolled: 1-line block ×11, first 2 shown]
	s_waitcnt vmcnt(60)
	ds_write2_b64 v202, v[68:69], v[70:71] offset0:80 offset1:81
	s_waitcnt vmcnt(59)
	ds_write2_b64 v202, v[64:65], v[66:67] offset0:82 offset1:83
	;; [unrolled: 2-line block ×12, first 2 shown]
	ds_write2_b64 v202, v[20:21], v[22:23] offset0:104 offset1:105
	ds_write2_b64 v202, v[16:17], v[18:19] offset0:106 offset1:107
	;; [unrolled: 1-line block ×5, first 2 shown]
	s_waitcnt vmcnt(48)
	ds_write2_b64 v202, v[0:1], v[2:3] offset0:114 offset1:115
	s_waitcnt vmcnt(45)
	ds_write2_b64 v202, v[232:233], v[234:235] offset0:116 offset1:117
	ds_read2_b64 v[208:211], v201 offset1:1
	s_waitcnt lgkmcnt(0)
	v_cmp_neq_f64_e32 vcc, 0, v[208:209]
	v_cmp_neq_f64_e64 s[2:3], 0, v[210:211]
	s_or_b64 s[2:3], vcc, s[2:3]
	s_and_b64 exec, exec, s[2:3]
	s_cbranch_execz .LBB117_260
; %bb.255:
	v_cmp_ngt_f64_e64 s[2:3], |v[208:209]|, |v[210:211]|
                                        ; implicit-def: $vgpr204_vgpr205
	s_and_saveexec_b64 s[10:11], s[2:3]
	s_xor_b64 s[2:3], exec, s[10:11]
                                        ; implicit-def: $vgpr206_vgpr207
	s_cbranch_execz .LBB117_257
; %bb.256:
	v_div_scale_f64 v[204:205], s[10:11], v[210:211], v[210:211], v[208:209]
	v_rcp_f64_e32 v[206:207], v[204:205]
	v_div_scale_f64 v[212:213], vcc, v[208:209], v[210:211], v[208:209]
	v_fma_f64 v[214:215], -v[204:205], v[206:207], 1.0
	v_fmac_f64_e32 v[206:207], v[206:207], v[214:215]
	v_fma_f64 v[214:215], -v[204:205], v[206:207], 1.0
	v_fmac_f64_e32 v[206:207], v[206:207], v[214:215]
	v_mul_f64 v[214:215], v[212:213], v[206:207]
	v_fma_f64 v[204:205], -v[204:205], v[214:215], v[212:213]
	v_div_fmas_f64 v[204:205], v[204:205], v[206:207], v[214:215]
	v_div_fixup_f64 v[204:205], v[204:205], v[210:211], v[208:209]
	v_fmac_f64_e32 v[210:211], v[208:209], v[204:205]
	v_div_scale_f64 v[206:207], s[10:11], v[210:211], v[210:211], 1.0
	v_rcp_f64_e32 v[208:209], v[206:207]
	s_nop 0
	v_fma_f64 v[212:213], -v[206:207], v[208:209], 1.0
	v_fmac_f64_e32 v[208:209], v[208:209], v[212:213]
	v_fma_f64 v[212:213], -v[206:207], v[208:209], 1.0
	v_fmac_f64_e32 v[208:209], v[208:209], v[212:213]
	v_div_scale_f64 v[212:213], vcc, 1.0, v[210:211], 1.0
	v_mul_f64 v[214:215], v[212:213], v[208:209]
	v_fma_f64 v[206:207], -v[206:207], v[214:215], v[212:213]
	s_nop 1
	v_div_fmas_f64 v[206:207], v[206:207], v[208:209], v[214:215]
	v_div_fixup_f64 v[206:207], v[206:207], v[210:211], 1.0
	v_mul_f64 v[204:205], v[204:205], v[206:207]
	v_xor_b32_e32 v207, 0x80000000, v207
                                        ; implicit-def: $vgpr208_vgpr209
.LBB117_257:
	s_andn2_saveexec_b64 s[2:3], s[2:3]
	s_cbranch_execz .LBB117_259
; %bb.258:
	v_div_scale_f64 v[204:205], s[10:11], v[208:209], v[208:209], v[210:211]
	v_rcp_f64_e32 v[206:207], v[204:205]
	v_div_scale_f64 v[212:213], vcc, v[210:211], v[208:209], v[210:211]
	v_fma_f64 v[214:215], -v[204:205], v[206:207], 1.0
	v_fmac_f64_e32 v[206:207], v[206:207], v[214:215]
	v_fma_f64 v[214:215], -v[204:205], v[206:207], 1.0
	v_fmac_f64_e32 v[206:207], v[206:207], v[214:215]
	v_mul_f64 v[214:215], v[212:213], v[206:207]
	v_fma_f64 v[204:205], -v[204:205], v[214:215], v[212:213]
	v_div_fmas_f64 v[204:205], v[204:205], v[206:207], v[214:215]
	v_div_fixup_f64 v[206:207], v[204:205], v[208:209], v[210:211]
	v_fmac_f64_e32 v[208:209], v[210:211], v[206:207]
	v_div_scale_f64 v[204:205], s[10:11], v[208:209], v[208:209], 1.0
	v_rcp_f64_e32 v[210:211], v[204:205]
	s_nop 0
	v_fma_f64 v[212:213], -v[204:205], v[210:211], 1.0
	v_fmac_f64_e32 v[210:211], v[210:211], v[212:213]
	v_fma_f64 v[212:213], -v[204:205], v[210:211], 1.0
	v_fmac_f64_e32 v[210:211], v[210:211], v[212:213]
	v_div_scale_f64 v[212:213], vcc, 1.0, v[208:209], 1.0
	v_mul_f64 v[214:215], v[212:213], v[210:211]
	v_fma_f64 v[204:205], -v[204:205], v[214:215], v[212:213]
	s_nop 1
	v_div_fmas_f64 v[204:205], v[204:205], v[210:211], v[214:215]
	v_div_fixup_f64 v[204:205], v[204:205], v[208:209], 1.0
	v_mul_f64 v[206:207], v[206:207], -v[204:205]
.LBB117_259:
	s_or_b64 exec, exec, s[2:3]
	ds_write2_b64 v201, v[204:205], v[206:207] offset1:1
.LBB117_260:
	s_or_b64 exec, exec, s[4:5]
	s_waitcnt lgkmcnt(0)
	s_barrier
	ds_read2_b64 v[192:195], v201 offset1:1
	v_cmp_lt_u32_e32 vcc, 28, v200
	s_waitcnt lgkmcnt(0)
	scratch_store_dwordx4 off, v[192:195], off offset:1064 ; 16-byte Folded Spill
	s_and_saveexec_b64 s[2:3], vcc
	s_cbranch_execz .LBB117_262
; %bb.261:
	scratch_load_dwordx4 v[192:195], off, off offset:1064 ; 16-byte Folded Reload
	s_waitcnt vmcnt(0)
	v_mul_f64 v[204:205], v[194:195], v[118:119]
	v_fma_f64 v[208:209], v[192:193], v[116:117], -v[204:205]
	ds_read2_b64 v[204:207], v202 offset0:58 offset1:59
	v_mul_f64 v[118:119], v[192:193], v[118:119]
	v_fmac_f64_e32 v[118:119], v[194:195], v[116:117]
	s_waitcnt lgkmcnt(0)
	v_mul_f64 v[116:117], v[206:207], v[118:119]
	v_fma_f64 v[116:117], v[204:205], v[208:209], -v[116:117]
	v_mul_f64 v[204:205], v[204:205], v[118:119]
	v_fmac_f64_e32 v[204:205], v[206:207], v[208:209]
	v_add_f64 v[114:115], v[114:115], -v[204:205]
	ds_read2_b64 v[204:207], v202 offset0:60 offset1:61
	v_add_f64 v[112:113], v[112:113], -v[116:117]
	s_waitcnt lgkmcnt(0)
	v_mul_f64 v[116:117], v[206:207], v[118:119]
	v_fma_f64 v[116:117], v[204:205], v[208:209], -v[116:117]
	v_mul_f64 v[204:205], v[204:205], v[118:119]
	v_fmac_f64_e32 v[204:205], v[206:207], v[208:209]
	v_add_f64 v[110:111], v[110:111], -v[204:205]
	ds_read2_b64 v[204:207], v202 offset0:62 offset1:63
	v_add_f64 v[108:109], v[108:109], -v[116:117]
	;; [unrolled: 8-line block ×29, first 2 shown]
	s_waitcnt lgkmcnt(0)
	v_mul_f64 v[116:117], v[206:207], v[118:119]
	v_fma_f64 v[116:117], v[204:205], v[208:209], -v[116:117]
	v_mul_f64 v[204:205], v[204:205], v[118:119]
	v_fmac_f64_e32 v[204:205], v[206:207], v[208:209]
	v_add_f64 v[232:233], v[232:233], -v[116:117]
	v_add_f64 v[234:235], v[234:235], -v[204:205]
	v_mov_b64_e32 v[116:117], v[208:209]
.LBB117_262:
	s_or_b64 exec, exec, s[2:3]
	v_cmp_eq_u32_e32 vcc, 29, v200
	s_waitcnt vmcnt(63) expcnt(7) lgkmcnt(15)
	s_barrier
	s_and_saveexec_b64 s[4:5], vcc
	s_cbranch_execz .LBB117_269
; %bb.263:
	ds_write2_b64 v201, v[112:113], v[114:115] offset1:1
	ds_write2_b64 v202, v[108:109], v[110:111] offset0:60 offset1:61
	ds_write2_b64 v202, v[104:105], v[106:107] offset0:62 offset1:63
	;; [unrolled: 1-line block ×10, first 2 shown]
	s_waitcnt vmcnt(61)
	ds_write2_b64 v202, v[68:69], v[70:71] offset0:80 offset1:81
	s_waitcnt vmcnt(60)
	ds_write2_b64 v202, v[64:65], v[66:67] offset0:82 offset1:83
	;; [unrolled: 2-line block ×12, first 2 shown]
	ds_write2_b64 v202, v[20:21], v[22:23] offset0:104 offset1:105
	ds_write2_b64 v202, v[16:17], v[18:19] offset0:106 offset1:107
	;; [unrolled: 1-line block ×5, first 2 shown]
	s_waitcnt vmcnt(49)
	ds_write2_b64 v202, v[0:1], v[2:3] offset0:114 offset1:115
	s_waitcnt vmcnt(46)
	ds_write2_b64 v202, v[232:233], v[234:235] offset0:116 offset1:117
	ds_read2_b64 v[208:211], v201 offset1:1
	s_waitcnt lgkmcnt(0)
	v_cmp_neq_f64_e32 vcc, 0, v[208:209]
	v_cmp_neq_f64_e64 s[2:3], 0, v[210:211]
	s_or_b64 s[2:3], vcc, s[2:3]
	s_and_b64 exec, exec, s[2:3]
	s_cbranch_execz .LBB117_269
; %bb.264:
	v_cmp_ngt_f64_e64 s[2:3], |v[208:209]|, |v[210:211]|
                                        ; implicit-def: $vgpr204_vgpr205
	s_and_saveexec_b64 s[10:11], s[2:3]
	s_xor_b64 s[2:3], exec, s[10:11]
                                        ; implicit-def: $vgpr206_vgpr207
	s_cbranch_execz .LBB117_266
; %bb.265:
	v_div_scale_f64 v[204:205], s[10:11], v[210:211], v[210:211], v[208:209]
	v_rcp_f64_e32 v[206:207], v[204:205]
	v_div_scale_f64 v[212:213], vcc, v[208:209], v[210:211], v[208:209]
	v_fma_f64 v[214:215], -v[204:205], v[206:207], 1.0
	v_fmac_f64_e32 v[206:207], v[206:207], v[214:215]
	v_fma_f64 v[214:215], -v[204:205], v[206:207], 1.0
	v_fmac_f64_e32 v[206:207], v[206:207], v[214:215]
	v_mul_f64 v[214:215], v[212:213], v[206:207]
	v_fma_f64 v[204:205], -v[204:205], v[214:215], v[212:213]
	v_div_fmas_f64 v[204:205], v[204:205], v[206:207], v[214:215]
	v_div_fixup_f64 v[204:205], v[204:205], v[210:211], v[208:209]
	v_fmac_f64_e32 v[210:211], v[208:209], v[204:205]
	v_div_scale_f64 v[206:207], s[10:11], v[210:211], v[210:211], 1.0
	v_rcp_f64_e32 v[208:209], v[206:207]
	s_nop 0
	v_fma_f64 v[212:213], -v[206:207], v[208:209], 1.0
	v_fmac_f64_e32 v[208:209], v[208:209], v[212:213]
	v_fma_f64 v[212:213], -v[206:207], v[208:209], 1.0
	v_fmac_f64_e32 v[208:209], v[208:209], v[212:213]
	v_div_scale_f64 v[212:213], vcc, 1.0, v[210:211], 1.0
	v_mul_f64 v[214:215], v[212:213], v[208:209]
	v_fma_f64 v[206:207], -v[206:207], v[214:215], v[212:213]
	s_nop 1
	v_div_fmas_f64 v[206:207], v[206:207], v[208:209], v[214:215]
	v_div_fixup_f64 v[206:207], v[206:207], v[210:211], 1.0
	v_mul_f64 v[204:205], v[204:205], v[206:207]
	v_xor_b32_e32 v207, 0x80000000, v207
                                        ; implicit-def: $vgpr208_vgpr209
.LBB117_266:
	s_andn2_saveexec_b64 s[2:3], s[2:3]
	s_cbranch_execz .LBB117_268
; %bb.267:
	v_div_scale_f64 v[204:205], s[10:11], v[208:209], v[208:209], v[210:211]
	v_rcp_f64_e32 v[206:207], v[204:205]
	v_div_scale_f64 v[212:213], vcc, v[210:211], v[208:209], v[210:211]
	v_fma_f64 v[214:215], -v[204:205], v[206:207], 1.0
	v_fmac_f64_e32 v[206:207], v[206:207], v[214:215]
	v_fma_f64 v[214:215], -v[204:205], v[206:207], 1.0
	v_fmac_f64_e32 v[206:207], v[206:207], v[214:215]
	v_mul_f64 v[214:215], v[212:213], v[206:207]
	v_fma_f64 v[204:205], -v[204:205], v[214:215], v[212:213]
	v_div_fmas_f64 v[204:205], v[204:205], v[206:207], v[214:215]
	v_div_fixup_f64 v[206:207], v[204:205], v[208:209], v[210:211]
	v_fmac_f64_e32 v[208:209], v[210:211], v[206:207]
	v_div_scale_f64 v[204:205], s[10:11], v[208:209], v[208:209], 1.0
	v_rcp_f64_e32 v[210:211], v[204:205]
	s_nop 0
	v_fma_f64 v[212:213], -v[204:205], v[210:211], 1.0
	v_fmac_f64_e32 v[210:211], v[210:211], v[212:213]
	v_fma_f64 v[212:213], -v[204:205], v[210:211], 1.0
	v_fmac_f64_e32 v[210:211], v[210:211], v[212:213]
	v_div_scale_f64 v[212:213], vcc, 1.0, v[208:209], 1.0
	v_mul_f64 v[214:215], v[212:213], v[210:211]
	v_fma_f64 v[204:205], -v[204:205], v[214:215], v[212:213]
	s_nop 1
	v_div_fmas_f64 v[204:205], v[204:205], v[210:211], v[214:215]
	v_div_fixup_f64 v[204:205], v[204:205], v[208:209], 1.0
	v_mul_f64 v[206:207], v[206:207], -v[204:205]
.LBB117_268:
	s_or_b64 exec, exec, s[2:3]
	ds_write2_b64 v201, v[204:205], v[206:207] offset1:1
.LBB117_269:
	s_or_b64 exec, exec, s[4:5]
	s_waitcnt lgkmcnt(0)
	s_barrier
	ds_read2_b64 v[192:195], v201 offset1:1
	v_cmp_lt_u32_e32 vcc, 29, v200
	s_waitcnt lgkmcnt(0)
	scratch_store_dwordx4 off, v[192:195], off offset:1080 ; 16-byte Folded Spill
	s_and_saveexec_b64 s[2:3], vcc
	s_cbranch_execz .LBB117_271
; %bb.270:
	scratch_load_dwordx4 v[192:195], off, off offset:1080 ; 16-byte Folded Reload
	s_waitcnt vmcnt(0)
	v_mul_f64 v[204:205], v[194:195], v[114:115]
	v_fma_f64 v[208:209], v[192:193], v[112:113], -v[204:205]
	ds_read2_b64 v[204:207], v202 offset0:60 offset1:61
	v_mul_f64 v[114:115], v[192:193], v[114:115]
	v_fmac_f64_e32 v[114:115], v[194:195], v[112:113]
	s_waitcnt lgkmcnt(0)
	v_mul_f64 v[112:113], v[206:207], v[114:115]
	v_fma_f64 v[112:113], v[204:205], v[208:209], -v[112:113]
	v_mul_f64 v[204:205], v[204:205], v[114:115]
	v_fmac_f64_e32 v[204:205], v[206:207], v[208:209]
	v_add_f64 v[110:111], v[110:111], -v[204:205]
	ds_read2_b64 v[204:207], v202 offset0:62 offset1:63
	v_add_f64 v[108:109], v[108:109], -v[112:113]
	s_waitcnt lgkmcnt(0)
	v_mul_f64 v[112:113], v[206:207], v[114:115]
	v_fma_f64 v[112:113], v[204:205], v[208:209], -v[112:113]
	v_mul_f64 v[204:205], v[204:205], v[114:115]
	v_fmac_f64_e32 v[204:205], v[206:207], v[208:209]
	v_add_f64 v[106:107], v[106:107], -v[204:205]
	ds_read2_b64 v[204:207], v202 offset0:64 offset1:65
	v_add_f64 v[104:105], v[104:105], -v[112:113]
	;; [unrolled: 8-line block ×28, first 2 shown]
	s_waitcnt lgkmcnt(0)
	v_mul_f64 v[112:113], v[206:207], v[114:115]
	v_fma_f64 v[112:113], v[204:205], v[208:209], -v[112:113]
	v_mul_f64 v[204:205], v[204:205], v[114:115]
	v_fmac_f64_e32 v[204:205], v[206:207], v[208:209]
	v_add_f64 v[232:233], v[232:233], -v[112:113]
	v_add_f64 v[234:235], v[234:235], -v[204:205]
	v_mov_b64_e32 v[112:113], v[208:209]
.LBB117_271:
	s_or_b64 exec, exec, s[2:3]
	v_cmp_eq_u32_e32 vcc, 30, v200
	s_waitcnt vmcnt(63) expcnt(7) lgkmcnt(15)
	s_barrier
	s_and_saveexec_b64 s[4:5], vcc
	s_cbranch_execz .LBB117_278
; %bb.272:
	ds_write2_b64 v201, v[108:109], v[110:111] offset1:1
	ds_write2_b64 v202, v[104:105], v[106:107] offset0:62 offset1:63
	ds_write2_b64 v202, v[100:101], v[102:103] offset0:64 offset1:65
	;; [unrolled: 1-line block ×9, first 2 shown]
	s_waitcnt vmcnt(62)
	ds_write2_b64 v202, v[68:69], v[70:71] offset0:80 offset1:81
	s_waitcnt vmcnt(61)
	ds_write2_b64 v202, v[64:65], v[66:67] offset0:82 offset1:83
	;; [unrolled: 2-line block ×12, first 2 shown]
	ds_write2_b64 v202, v[20:21], v[22:23] offset0:104 offset1:105
	ds_write2_b64 v202, v[16:17], v[18:19] offset0:106 offset1:107
	;; [unrolled: 1-line block ×5, first 2 shown]
	s_waitcnt vmcnt(50)
	ds_write2_b64 v202, v[0:1], v[2:3] offset0:114 offset1:115
	s_waitcnt vmcnt(47)
	ds_write2_b64 v202, v[232:233], v[234:235] offset0:116 offset1:117
	ds_read2_b64 v[208:211], v201 offset1:1
	s_waitcnt lgkmcnt(0)
	v_cmp_neq_f64_e32 vcc, 0, v[208:209]
	v_cmp_neq_f64_e64 s[2:3], 0, v[210:211]
	s_or_b64 s[2:3], vcc, s[2:3]
	s_and_b64 exec, exec, s[2:3]
	s_cbranch_execz .LBB117_278
; %bb.273:
	v_cmp_ngt_f64_e64 s[2:3], |v[208:209]|, |v[210:211]|
                                        ; implicit-def: $vgpr204_vgpr205
	s_and_saveexec_b64 s[10:11], s[2:3]
	s_xor_b64 s[2:3], exec, s[10:11]
                                        ; implicit-def: $vgpr206_vgpr207
	s_cbranch_execz .LBB117_275
; %bb.274:
	v_div_scale_f64 v[204:205], s[10:11], v[210:211], v[210:211], v[208:209]
	v_rcp_f64_e32 v[206:207], v[204:205]
	v_div_scale_f64 v[212:213], vcc, v[208:209], v[210:211], v[208:209]
	v_fma_f64 v[214:215], -v[204:205], v[206:207], 1.0
	v_fmac_f64_e32 v[206:207], v[206:207], v[214:215]
	v_fma_f64 v[214:215], -v[204:205], v[206:207], 1.0
	v_fmac_f64_e32 v[206:207], v[206:207], v[214:215]
	v_mul_f64 v[214:215], v[212:213], v[206:207]
	v_fma_f64 v[204:205], -v[204:205], v[214:215], v[212:213]
	v_div_fmas_f64 v[204:205], v[204:205], v[206:207], v[214:215]
	v_div_fixup_f64 v[204:205], v[204:205], v[210:211], v[208:209]
	v_fmac_f64_e32 v[210:211], v[208:209], v[204:205]
	v_div_scale_f64 v[206:207], s[10:11], v[210:211], v[210:211], 1.0
	v_rcp_f64_e32 v[208:209], v[206:207]
	s_nop 0
	v_fma_f64 v[212:213], -v[206:207], v[208:209], 1.0
	v_fmac_f64_e32 v[208:209], v[208:209], v[212:213]
	v_fma_f64 v[212:213], -v[206:207], v[208:209], 1.0
	v_fmac_f64_e32 v[208:209], v[208:209], v[212:213]
	v_div_scale_f64 v[212:213], vcc, 1.0, v[210:211], 1.0
	v_mul_f64 v[214:215], v[212:213], v[208:209]
	v_fma_f64 v[206:207], -v[206:207], v[214:215], v[212:213]
	s_nop 1
	v_div_fmas_f64 v[206:207], v[206:207], v[208:209], v[214:215]
	v_div_fixup_f64 v[206:207], v[206:207], v[210:211], 1.0
	v_mul_f64 v[204:205], v[204:205], v[206:207]
	v_xor_b32_e32 v207, 0x80000000, v207
                                        ; implicit-def: $vgpr208_vgpr209
.LBB117_275:
	s_andn2_saveexec_b64 s[2:3], s[2:3]
	s_cbranch_execz .LBB117_277
; %bb.276:
	v_div_scale_f64 v[204:205], s[10:11], v[208:209], v[208:209], v[210:211]
	v_rcp_f64_e32 v[206:207], v[204:205]
	v_div_scale_f64 v[212:213], vcc, v[210:211], v[208:209], v[210:211]
	v_fma_f64 v[214:215], -v[204:205], v[206:207], 1.0
	v_fmac_f64_e32 v[206:207], v[206:207], v[214:215]
	v_fma_f64 v[214:215], -v[204:205], v[206:207], 1.0
	v_fmac_f64_e32 v[206:207], v[206:207], v[214:215]
	v_mul_f64 v[214:215], v[212:213], v[206:207]
	v_fma_f64 v[204:205], -v[204:205], v[214:215], v[212:213]
	v_div_fmas_f64 v[204:205], v[204:205], v[206:207], v[214:215]
	v_div_fixup_f64 v[206:207], v[204:205], v[208:209], v[210:211]
	v_fmac_f64_e32 v[208:209], v[210:211], v[206:207]
	v_div_scale_f64 v[204:205], s[10:11], v[208:209], v[208:209], 1.0
	v_rcp_f64_e32 v[210:211], v[204:205]
	s_nop 0
	v_fma_f64 v[212:213], -v[204:205], v[210:211], 1.0
	v_fmac_f64_e32 v[210:211], v[210:211], v[212:213]
	v_fma_f64 v[212:213], -v[204:205], v[210:211], 1.0
	v_fmac_f64_e32 v[210:211], v[210:211], v[212:213]
	v_div_scale_f64 v[212:213], vcc, 1.0, v[208:209], 1.0
	v_mul_f64 v[214:215], v[212:213], v[210:211]
	v_fma_f64 v[204:205], -v[204:205], v[214:215], v[212:213]
	s_nop 1
	v_div_fmas_f64 v[204:205], v[204:205], v[210:211], v[214:215]
	v_div_fixup_f64 v[204:205], v[204:205], v[208:209], 1.0
	v_mul_f64 v[206:207], v[206:207], -v[204:205]
.LBB117_277:
	s_or_b64 exec, exec, s[2:3]
	ds_write2_b64 v201, v[204:205], v[206:207] offset1:1
.LBB117_278:
	s_or_b64 exec, exec, s[4:5]
	s_waitcnt lgkmcnt(0)
	s_barrier
	ds_read2_b64 v[192:195], v201 offset1:1
	v_cmp_lt_u32_e32 vcc, 30, v200
	s_waitcnt lgkmcnt(0)
	scratch_store_dwordx4 off, v[192:195], off offset:1096 ; 16-byte Folded Spill
	s_and_saveexec_b64 s[2:3], vcc
	s_cbranch_execz .LBB117_280
; %bb.279:
	scratch_load_dwordx4 v[192:195], off, off offset:1096 ; 16-byte Folded Reload
	s_waitcnt vmcnt(0)
	v_mul_f64 v[204:205], v[194:195], v[110:111]
	v_fma_f64 v[208:209], v[192:193], v[108:109], -v[204:205]
	ds_read2_b64 v[204:207], v202 offset0:62 offset1:63
	v_mul_f64 v[110:111], v[192:193], v[110:111]
	v_fmac_f64_e32 v[110:111], v[194:195], v[108:109]
	s_waitcnt lgkmcnt(0)
	v_mul_f64 v[108:109], v[206:207], v[110:111]
	v_fma_f64 v[108:109], v[204:205], v[208:209], -v[108:109]
	v_mul_f64 v[204:205], v[204:205], v[110:111]
	v_fmac_f64_e32 v[204:205], v[206:207], v[208:209]
	v_add_f64 v[106:107], v[106:107], -v[204:205]
	ds_read2_b64 v[204:207], v202 offset0:64 offset1:65
	v_add_f64 v[104:105], v[104:105], -v[108:109]
	s_waitcnt lgkmcnt(0)
	v_mul_f64 v[108:109], v[206:207], v[110:111]
	v_fma_f64 v[108:109], v[204:205], v[208:209], -v[108:109]
	v_mul_f64 v[204:205], v[204:205], v[110:111]
	v_fmac_f64_e32 v[204:205], v[206:207], v[208:209]
	v_add_f64 v[102:103], v[102:103], -v[204:205]
	ds_read2_b64 v[204:207], v202 offset0:66 offset1:67
	v_add_f64 v[100:101], v[100:101], -v[108:109]
	;; [unrolled: 8-line block ×27, first 2 shown]
	s_waitcnt lgkmcnt(0)
	v_mul_f64 v[108:109], v[206:207], v[110:111]
	v_fma_f64 v[108:109], v[204:205], v[208:209], -v[108:109]
	v_mul_f64 v[204:205], v[204:205], v[110:111]
	v_fmac_f64_e32 v[204:205], v[206:207], v[208:209]
	v_add_f64 v[232:233], v[232:233], -v[108:109]
	v_add_f64 v[234:235], v[234:235], -v[204:205]
	v_mov_b64_e32 v[108:109], v[208:209]
.LBB117_280:
	s_or_b64 exec, exec, s[2:3]
	v_cmp_eq_u32_e32 vcc, 31, v200
	s_waitcnt vmcnt(63) expcnt(7) lgkmcnt(15)
	s_barrier
	s_and_saveexec_b64 s[4:5], vcc
	s_cbranch_execz .LBB117_287
; %bb.281:
	ds_write2_b64 v201, v[104:105], v[106:107] offset1:1
	ds_write2_b64 v202, v[100:101], v[102:103] offset0:64 offset1:65
	ds_write2_b64 v202, v[96:97], v[98:99] offset0:66 offset1:67
	;; [unrolled: 1-line block ×9, first 2 shown]
	s_waitcnt vmcnt(62)
	ds_write2_b64 v202, v[64:65], v[66:67] offset0:82 offset1:83
	s_waitcnt vmcnt(61)
	ds_write2_b64 v202, v[60:61], v[62:63] offset0:84 offset1:85
	;; [unrolled: 2-line block ×11, first 2 shown]
	ds_write2_b64 v202, v[20:21], v[22:23] offset0:104 offset1:105
	ds_write2_b64 v202, v[16:17], v[18:19] offset0:106 offset1:107
	;; [unrolled: 1-line block ×5, first 2 shown]
	s_waitcnt vmcnt(51)
	ds_write2_b64 v202, v[0:1], v[2:3] offset0:114 offset1:115
	s_waitcnt vmcnt(48)
	ds_write2_b64 v202, v[232:233], v[234:235] offset0:116 offset1:117
	ds_read2_b64 v[208:211], v201 offset1:1
	s_waitcnt lgkmcnt(0)
	v_cmp_neq_f64_e32 vcc, 0, v[208:209]
	v_cmp_neq_f64_e64 s[2:3], 0, v[210:211]
	s_or_b64 s[2:3], vcc, s[2:3]
	s_and_b64 exec, exec, s[2:3]
	s_cbranch_execz .LBB117_287
; %bb.282:
	v_cmp_ngt_f64_e64 s[2:3], |v[208:209]|, |v[210:211]|
                                        ; implicit-def: $vgpr204_vgpr205
	s_and_saveexec_b64 s[10:11], s[2:3]
	s_xor_b64 s[2:3], exec, s[10:11]
                                        ; implicit-def: $vgpr206_vgpr207
	s_cbranch_execz .LBB117_284
; %bb.283:
	v_div_scale_f64 v[204:205], s[10:11], v[210:211], v[210:211], v[208:209]
	v_rcp_f64_e32 v[206:207], v[204:205]
	v_div_scale_f64 v[212:213], vcc, v[208:209], v[210:211], v[208:209]
	v_fma_f64 v[214:215], -v[204:205], v[206:207], 1.0
	v_fmac_f64_e32 v[206:207], v[206:207], v[214:215]
	v_fma_f64 v[214:215], -v[204:205], v[206:207], 1.0
	v_fmac_f64_e32 v[206:207], v[206:207], v[214:215]
	v_mul_f64 v[214:215], v[212:213], v[206:207]
	v_fma_f64 v[204:205], -v[204:205], v[214:215], v[212:213]
	v_div_fmas_f64 v[204:205], v[204:205], v[206:207], v[214:215]
	v_div_fixup_f64 v[204:205], v[204:205], v[210:211], v[208:209]
	v_fmac_f64_e32 v[210:211], v[208:209], v[204:205]
	v_div_scale_f64 v[206:207], s[10:11], v[210:211], v[210:211], 1.0
	v_rcp_f64_e32 v[208:209], v[206:207]
	s_nop 0
	v_fma_f64 v[212:213], -v[206:207], v[208:209], 1.0
	v_fmac_f64_e32 v[208:209], v[208:209], v[212:213]
	v_fma_f64 v[212:213], -v[206:207], v[208:209], 1.0
	v_fmac_f64_e32 v[208:209], v[208:209], v[212:213]
	v_div_scale_f64 v[212:213], vcc, 1.0, v[210:211], 1.0
	v_mul_f64 v[214:215], v[212:213], v[208:209]
	v_fma_f64 v[206:207], -v[206:207], v[214:215], v[212:213]
	s_nop 1
	v_div_fmas_f64 v[206:207], v[206:207], v[208:209], v[214:215]
	v_div_fixup_f64 v[206:207], v[206:207], v[210:211], 1.0
	v_mul_f64 v[204:205], v[204:205], v[206:207]
	v_xor_b32_e32 v207, 0x80000000, v207
                                        ; implicit-def: $vgpr208_vgpr209
.LBB117_284:
	s_andn2_saveexec_b64 s[2:3], s[2:3]
	s_cbranch_execz .LBB117_286
; %bb.285:
	v_div_scale_f64 v[204:205], s[10:11], v[208:209], v[208:209], v[210:211]
	v_rcp_f64_e32 v[206:207], v[204:205]
	v_div_scale_f64 v[212:213], vcc, v[210:211], v[208:209], v[210:211]
	v_fma_f64 v[214:215], -v[204:205], v[206:207], 1.0
	v_fmac_f64_e32 v[206:207], v[206:207], v[214:215]
	v_fma_f64 v[214:215], -v[204:205], v[206:207], 1.0
	v_fmac_f64_e32 v[206:207], v[206:207], v[214:215]
	v_mul_f64 v[214:215], v[212:213], v[206:207]
	v_fma_f64 v[204:205], -v[204:205], v[214:215], v[212:213]
	v_div_fmas_f64 v[204:205], v[204:205], v[206:207], v[214:215]
	v_div_fixup_f64 v[206:207], v[204:205], v[208:209], v[210:211]
	v_fmac_f64_e32 v[208:209], v[210:211], v[206:207]
	v_div_scale_f64 v[204:205], s[10:11], v[208:209], v[208:209], 1.0
	v_rcp_f64_e32 v[210:211], v[204:205]
	s_nop 0
	v_fma_f64 v[212:213], -v[204:205], v[210:211], 1.0
	v_fmac_f64_e32 v[210:211], v[210:211], v[212:213]
	v_fma_f64 v[212:213], -v[204:205], v[210:211], 1.0
	v_fmac_f64_e32 v[210:211], v[210:211], v[212:213]
	v_div_scale_f64 v[212:213], vcc, 1.0, v[208:209], 1.0
	v_mul_f64 v[214:215], v[212:213], v[210:211]
	v_fma_f64 v[204:205], -v[204:205], v[214:215], v[212:213]
	s_nop 1
	v_div_fmas_f64 v[204:205], v[204:205], v[210:211], v[214:215]
	v_div_fixup_f64 v[204:205], v[204:205], v[208:209], 1.0
	v_mul_f64 v[206:207], v[206:207], -v[204:205]
.LBB117_286:
	s_or_b64 exec, exec, s[2:3]
	ds_write2_b64 v201, v[204:205], v[206:207] offset1:1
.LBB117_287:
	s_or_b64 exec, exec, s[4:5]
	s_waitcnt lgkmcnt(0)
	s_barrier
	ds_read2_b64 v[192:195], v201 offset1:1
	v_cmp_lt_u32_e32 vcc, 31, v200
	s_waitcnt lgkmcnt(0)
	scratch_store_dwordx4 off, v[192:195], off offset:1112 ; 16-byte Folded Spill
	s_and_saveexec_b64 s[2:3], vcc
	s_cbranch_execz .LBB117_289
; %bb.288:
	scratch_load_dwordx4 v[192:195], off, off offset:1112 ; 16-byte Folded Reload
	s_waitcnt vmcnt(0)
	v_mul_f64 v[204:205], v[194:195], v[106:107]
	v_fma_f64 v[208:209], v[192:193], v[104:105], -v[204:205]
	ds_read2_b64 v[204:207], v202 offset0:64 offset1:65
	v_mul_f64 v[106:107], v[192:193], v[106:107]
	v_fmac_f64_e32 v[106:107], v[194:195], v[104:105]
	s_waitcnt lgkmcnt(0)
	v_mul_f64 v[104:105], v[206:207], v[106:107]
	v_fma_f64 v[104:105], v[204:205], v[208:209], -v[104:105]
	v_mul_f64 v[204:205], v[204:205], v[106:107]
	v_fmac_f64_e32 v[204:205], v[206:207], v[208:209]
	v_add_f64 v[102:103], v[102:103], -v[204:205]
	ds_read2_b64 v[204:207], v202 offset0:66 offset1:67
	v_add_f64 v[100:101], v[100:101], -v[104:105]
	s_waitcnt lgkmcnt(0)
	v_mul_f64 v[104:105], v[206:207], v[106:107]
	v_fma_f64 v[104:105], v[204:205], v[208:209], -v[104:105]
	v_mul_f64 v[204:205], v[204:205], v[106:107]
	v_fmac_f64_e32 v[204:205], v[206:207], v[208:209]
	v_add_f64 v[98:99], v[98:99], -v[204:205]
	ds_read2_b64 v[204:207], v202 offset0:68 offset1:69
	v_add_f64 v[96:97], v[96:97], -v[104:105]
	;; [unrolled: 8-line block ×26, first 2 shown]
	s_waitcnt lgkmcnt(0)
	v_mul_f64 v[104:105], v[206:207], v[106:107]
	v_fma_f64 v[104:105], v[204:205], v[208:209], -v[104:105]
	v_mul_f64 v[204:205], v[204:205], v[106:107]
	v_fmac_f64_e32 v[204:205], v[206:207], v[208:209]
	v_add_f64 v[232:233], v[232:233], -v[104:105]
	v_add_f64 v[234:235], v[234:235], -v[204:205]
	v_mov_b64_e32 v[104:105], v[208:209]
.LBB117_289:
	s_or_b64 exec, exec, s[2:3]
	v_cmp_eq_u32_e32 vcc, 32, v200
	s_waitcnt vmcnt(63) expcnt(7) lgkmcnt(15)
	s_barrier
	s_and_saveexec_b64 s[4:5], vcc
	s_cbranch_execz .LBB117_296
; %bb.290:
	ds_write2_b64 v201, v[100:101], v[102:103] offset1:1
	ds_write2_b64 v202, v[96:97], v[98:99] offset0:66 offset1:67
	ds_write2_b64 v202, v[92:93], v[94:95] offset0:68 offset1:69
	;; [unrolled: 1-line block ×9, first 2 shown]
	s_waitcnt vmcnt(62)
	ds_write2_b64 v202, v[60:61], v[62:63] offset0:84 offset1:85
	s_waitcnt vmcnt(61)
	ds_write2_b64 v202, v[56:57], v[58:59] offset0:86 offset1:87
	;; [unrolled: 2-line block ×10, first 2 shown]
	ds_write2_b64 v202, v[20:21], v[22:23] offset0:104 offset1:105
	ds_write2_b64 v202, v[16:17], v[18:19] offset0:106 offset1:107
	;; [unrolled: 1-line block ×5, first 2 shown]
	s_waitcnt vmcnt(52)
	ds_write2_b64 v202, v[0:1], v[2:3] offset0:114 offset1:115
	s_waitcnt vmcnt(49)
	ds_write2_b64 v202, v[232:233], v[234:235] offset0:116 offset1:117
	ds_read2_b64 v[208:211], v201 offset1:1
	s_waitcnt lgkmcnt(0)
	v_cmp_neq_f64_e32 vcc, 0, v[208:209]
	v_cmp_neq_f64_e64 s[2:3], 0, v[210:211]
	s_or_b64 s[2:3], vcc, s[2:3]
	s_and_b64 exec, exec, s[2:3]
	s_cbranch_execz .LBB117_296
; %bb.291:
	v_cmp_ngt_f64_e64 s[2:3], |v[208:209]|, |v[210:211]|
                                        ; implicit-def: $vgpr204_vgpr205
	s_and_saveexec_b64 s[10:11], s[2:3]
	s_xor_b64 s[2:3], exec, s[10:11]
                                        ; implicit-def: $vgpr206_vgpr207
	s_cbranch_execz .LBB117_293
; %bb.292:
	v_div_scale_f64 v[204:205], s[10:11], v[210:211], v[210:211], v[208:209]
	v_rcp_f64_e32 v[206:207], v[204:205]
	v_div_scale_f64 v[212:213], vcc, v[208:209], v[210:211], v[208:209]
	v_fma_f64 v[214:215], -v[204:205], v[206:207], 1.0
	v_fmac_f64_e32 v[206:207], v[206:207], v[214:215]
	v_fma_f64 v[214:215], -v[204:205], v[206:207], 1.0
	v_fmac_f64_e32 v[206:207], v[206:207], v[214:215]
	v_mul_f64 v[214:215], v[212:213], v[206:207]
	v_fma_f64 v[204:205], -v[204:205], v[214:215], v[212:213]
	v_div_fmas_f64 v[204:205], v[204:205], v[206:207], v[214:215]
	v_div_fixup_f64 v[204:205], v[204:205], v[210:211], v[208:209]
	v_fmac_f64_e32 v[210:211], v[208:209], v[204:205]
	v_div_scale_f64 v[206:207], s[10:11], v[210:211], v[210:211], 1.0
	v_rcp_f64_e32 v[208:209], v[206:207]
	s_nop 0
	v_fma_f64 v[212:213], -v[206:207], v[208:209], 1.0
	v_fmac_f64_e32 v[208:209], v[208:209], v[212:213]
	v_fma_f64 v[212:213], -v[206:207], v[208:209], 1.0
	v_fmac_f64_e32 v[208:209], v[208:209], v[212:213]
	v_div_scale_f64 v[212:213], vcc, 1.0, v[210:211], 1.0
	v_mul_f64 v[214:215], v[212:213], v[208:209]
	v_fma_f64 v[206:207], -v[206:207], v[214:215], v[212:213]
	s_nop 1
	v_div_fmas_f64 v[206:207], v[206:207], v[208:209], v[214:215]
	v_div_fixup_f64 v[206:207], v[206:207], v[210:211], 1.0
	v_mul_f64 v[204:205], v[204:205], v[206:207]
	v_xor_b32_e32 v207, 0x80000000, v207
                                        ; implicit-def: $vgpr208_vgpr209
.LBB117_293:
	s_andn2_saveexec_b64 s[2:3], s[2:3]
	s_cbranch_execz .LBB117_295
; %bb.294:
	v_div_scale_f64 v[204:205], s[10:11], v[208:209], v[208:209], v[210:211]
	v_rcp_f64_e32 v[206:207], v[204:205]
	v_div_scale_f64 v[212:213], vcc, v[210:211], v[208:209], v[210:211]
	v_fma_f64 v[214:215], -v[204:205], v[206:207], 1.0
	v_fmac_f64_e32 v[206:207], v[206:207], v[214:215]
	v_fma_f64 v[214:215], -v[204:205], v[206:207], 1.0
	v_fmac_f64_e32 v[206:207], v[206:207], v[214:215]
	v_mul_f64 v[214:215], v[212:213], v[206:207]
	v_fma_f64 v[204:205], -v[204:205], v[214:215], v[212:213]
	v_div_fmas_f64 v[204:205], v[204:205], v[206:207], v[214:215]
	v_div_fixup_f64 v[206:207], v[204:205], v[208:209], v[210:211]
	v_fmac_f64_e32 v[208:209], v[210:211], v[206:207]
	v_div_scale_f64 v[204:205], s[10:11], v[208:209], v[208:209], 1.0
	v_rcp_f64_e32 v[210:211], v[204:205]
	s_nop 0
	v_fma_f64 v[212:213], -v[204:205], v[210:211], 1.0
	v_fmac_f64_e32 v[210:211], v[210:211], v[212:213]
	v_fma_f64 v[212:213], -v[204:205], v[210:211], 1.0
	v_fmac_f64_e32 v[210:211], v[210:211], v[212:213]
	v_div_scale_f64 v[212:213], vcc, 1.0, v[208:209], 1.0
	v_mul_f64 v[214:215], v[212:213], v[210:211]
	v_fma_f64 v[204:205], -v[204:205], v[214:215], v[212:213]
	s_nop 1
	v_div_fmas_f64 v[204:205], v[204:205], v[210:211], v[214:215]
	v_div_fixup_f64 v[204:205], v[204:205], v[208:209], 1.0
	v_mul_f64 v[206:207], v[206:207], -v[204:205]
.LBB117_295:
	s_or_b64 exec, exec, s[2:3]
	ds_write2_b64 v201, v[204:205], v[206:207] offset1:1
.LBB117_296:
	s_or_b64 exec, exec, s[4:5]
	s_waitcnt lgkmcnt(0)
	s_barrier
	ds_read2_b64 v[192:195], v201 offset1:1
	v_cmp_lt_u32_e32 vcc, 32, v200
	s_waitcnt lgkmcnt(0)
	scratch_store_dwordx4 off, v[192:195], off offset:1128 ; 16-byte Folded Spill
	s_and_saveexec_b64 s[2:3], vcc
	s_cbranch_execz .LBB117_298
; %bb.297:
	scratch_load_dwordx4 v[192:195], off, off offset:1128 ; 16-byte Folded Reload
	s_waitcnt vmcnt(0)
	v_mul_f64 v[204:205], v[194:195], v[102:103]
	v_fma_f64 v[208:209], v[192:193], v[100:101], -v[204:205]
	ds_read2_b64 v[204:207], v202 offset0:66 offset1:67
	v_mul_f64 v[102:103], v[192:193], v[102:103]
	v_fmac_f64_e32 v[102:103], v[194:195], v[100:101]
	s_waitcnt lgkmcnt(0)
	v_mul_f64 v[100:101], v[206:207], v[102:103]
	v_fma_f64 v[100:101], v[204:205], v[208:209], -v[100:101]
	v_mul_f64 v[204:205], v[204:205], v[102:103]
	v_fmac_f64_e32 v[204:205], v[206:207], v[208:209]
	v_add_f64 v[98:99], v[98:99], -v[204:205]
	ds_read2_b64 v[204:207], v202 offset0:68 offset1:69
	v_add_f64 v[96:97], v[96:97], -v[100:101]
	s_waitcnt lgkmcnt(0)
	v_mul_f64 v[100:101], v[206:207], v[102:103]
	v_fma_f64 v[100:101], v[204:205], v[208:209], -v[100:101]
	v_mul_f64 v[204:205], v[204:205], v[102:103]
	v_fmac_f64_e32 v[204:205], v[206:207], v[208:209]
	v_add_f64 v[94:95], v[94:95], -v[204:205]
	ds_read2_b64 v[204:207], v202 offset0:70 offset1:71
	v_add_f64 v[92:93], v[92:93], -v[100:101]
	;; [unrolled: 8-line block ×25, first 2 shown]
	s_waitcnt lgkmcnt(0)
	v_mul_f64 v[100:101], v[206:207], v[102:103]
	v_fma_f64 v[100:101], v[204:205], v[208:209], -v[100:101]
	v_mul_f64 v[204:205], v[204:205], v[102:103]
	v_fmac_f64_e32 v[204:205], v[206:207], v[208:209]
	v_add_f64 v[232:233], v[232:233], -v[100:101]
	v_add_f64 v[234:235], v[234:235], -v[204:205]
	v_mov_b64_e32 v[100:101], v[208:209]
.LBB117_298:
	s_or_b64 exec, exec, s[2:3]
	v_cmp_eq_u32_e32 vcc, 33, v200
	s_waitcnt vmcnt(63) expcnt(7) lgkmcnt(15)
	s_barrier
	s_and_saveexec_b64 s[4:5], vcc
	s_cbranch_execz .LBB117_305
; %bb.299:
	ds_write2_b64 v201, v[96:97], v[98:99] offset1:1
	ds_write2_b64 v202, v[92:93], v[94:95] offset0:68 offset1:69
	ds_write2_b64 v202, v[88:89], v[90:91] offset0:70 offset1:71
	;; [unrolled: 1-line block ×9, first 2 shown]
	s_waitcnt vmcnt(62)
	ds_write2_b64 v202, v[56:57], v[58:59] offset0:86 offset1:87
	s_waitcnt vmcnt(61)
	ds_write2_b64 v202, v[52:53], v[54:55] offset0:88 offset1:89
	;; [unrolled: 2-line block ×9, first 2 shown]
	ds_write2_b64 v202, v[20:21], v[22:23] offset0:104 offset1:105
	ds_write2_b64 v202, v[16:17], v[18:19] offset0:106 offset1:107
	;; [unrolled: 1-line block ×5, first 2 shown]
	s_waitcnt vmcnt(53)
	ds_write2_b64 v202, v[0:1], v[2:3] offset0:114 offset1:115
	s_waitcnt vmcnt(50)
	ds_write2_b64 v202, v[232:233], v[234:235] offset0:116 offset1:117
	ds_read2_b64 v[208:211], v201 offset1:1
	s_waitcnt lgkmcnt(0)
	v_cmp_neq_f64_e32 vcc, 0, v[208:209]
	v_cmp_neq_f64_e64 s[2:3], 0, v[210:211]
	s_or_b64 s[2:3], vcc, s[2:3]
	s_and_b64 exec, exec, s[2:3]
	s_cbranch_execz .LBB117_305
; %bb.300:
	v_cmp_ngt_f64_e64 s[2:3], |v[208:209]|, |v[210:211]|
                                        ; implicit-def: $vgpr204_vgpr205
	s_and_saveexec_b64 s[10:11], s[2:3]
	s_xor_b64 s[2:3], exec, s[10:11]
                                        ; implicit-def: $vgpr206_vgpr207
	s_cbranch_execz .LBB117_302
; %bb.301:
	v_div_scale_f64 v[204:205], s[10:11], v[210:211], v[210:211], v[208:209]
	v_rcp_f64_e32 v[206:207], v[204:205]
	v_div_scale_f64 v[212:213], vcc, v[208:209], v[210:211], v[208:209]
	v_fma_f64 v[214:215], -v[204:205], v[206:207], 1.0
	v_fmac_f64_e32 v[206:207], v[206:207], v[214:215]
	v_fma_f64 v[214:215], -v[204:205], v[206:207], 1.0
	v_fmac_f64_e32 v[206:207], v[206:207], v[214:215]
	v_mul_f64 v[214:215], v[212:213], v[206:207]
	v_fma_f64 v[204:205], -v[204:205], v[214:215], v[212:213]
	v_div_fmas_f64 v[204:205], v[204:205], v[206:207], v[214:215]
	v_div_fixup_f64 v[204:205], v[204:205], v[210:211], v[208:209]
	v_fmac_f64_e32 v[210:211], v[208:209], v[204:205]
	v_div_scale_f64 v[206:207], s[10:11], v[210:211], v[210:211], 1.0
	v_rcp_f64_e32 v[208:209], v[206:207]
	s_nop 0
	v_fma_f64 v[212:213], -v[206:207], v[208:209], 1.0
	v_fmac_f64_e32 v[208:209], v[208:209], v[212:213]
	v_fma_f64 v[212:213], -v[206:207], v[208:209], 1.0
	v_fmac_f64_e32 v[208:209], v[208:209], v[212:213]
	v_div_scale_f64 v[212:213], vcc, 1.0, v[210:211], 1.0
	v_mul_f64 v[214:215], v[212:213], v[208:209]
	v_fma_f64 v[206:207], -v[206:207], v[214:215], v[212:213]
	s_nop 1
	v_div_fmas_f64 v[206:207], v[206:207], v[208:209], v[214:215]
	v_div_fixup_f64 v[206:207], v[206:207], v[210:211], 1.0
	v_mul_f64 v[204:205], v[204:205], v[206:207]
	v_xor_b32_e32 v207, 0x80000000, v207
                                        ; implicit-def: $vgpr208_vgpr209
.LBB117_302:
	s_andn2_saveexec_b64 s[2:3], s[2:3]
	s_cbranch_execz .LBB117_304
; %bb.303:
	v_div_scale_f64 v[204:205], s[10:11], v[208:209], v[208:209], v[210:211]
	v_rcp_f64_e32 v[206:207], v[204:205]
	v_div_scale_f64 v[212:213], vcc, v[210:211], v[208:209], v[210:211]
	v_fma_f64 v[214:215], -v[204:205], v[206:207], 1.0
	v_fmac_f64_e32 v[206:207], v[206:207], v[214:215]
	v_fma_f64 v[214:215], -v[204:205], v[206:207], 1.0
	v_fmac_f64_e32 v[206:207], v[206:207], v[214:215]
	v_mul_f64 v[214:215], v[212:213], v[206:207]
	v_fma_f64 v[204:205], -v[204:205], v[214:215], v[212:213]
	v_div_fmas_f64 v[204:205], v[204:205], v[206:207], v[214:215]
	v_div_fixup_f64 v[206:207], v[204:205], v[208:209], v[210:211]
	v_fmac_f64_e32 v[208:209], v[210:211], v[206:207]
	v_div_scale_f64 v[204:205], s[10:11], v[208:209], v[208:209], 1.0
	v_rcp_f64_e32 v[210:211], v[204:205]
	s_nop 0
	v_fma_f64 v[212:213], -v[204:205], v[210:211], 1.0
	v_fmac_f64_e32 v[210:211], v[210:211], v[212:213]
	v_fma_f64 v[212:213], -v[204:205], v[210:211], 1.0
	v_fmac_f64_e32 v[210:211], v[210:211], v[212:213]
	v_div_scale_f64 v[212:213], vcc, 1.0, v[208:209], 1.0
	v_mul_f64 v[214:215], v[212:213], v[210:211]
	v_fma_f64 v[204:205], -v[204:205], v[214:215], v[212:213]
	s_nop 1
	v_div_fmas_f64 v[204:205], v[204:205], v[210:211], v[214:215]
	v_div_fixup_f64 v[204:205], v[204:205], v[208:209], 1.0
	v_mul_f64 v[206:207], v[206:207], -v[204:205]
.LBB117_304:
	s_or_b64 exec, exec, s[2:3]
	ds_write2_b64 v201, v[204:205], v[206:207] offset1:1
.LBB117_305:
	s_or_b64 exec, exec, s[4:5]
	s_waitcnt lgkmcnt(0)
	s_barrier
	ds_read2_b64 v[192:195], v201 offset1:1
	v_cmp_lt_u32_e32 vcc, 33, v200
	s_waitcnt lgkmcnt(0)
	scratch_store_dwordx4 off, v[192:195], off offset:1144 ; 16-byte Folded Spill
	s_and_saveexec_b64 s[2:3], vcc
	s_cbranch_execz .LBB117_307
; %bb.306:
	scratch_load_dwordx4 v[192:195], off, off offset:1144 ; 16-byte Folded Reload
	s_waitcnt vmcnt(0)
	v_mul_f64 v[204:205], v[194:195], v[98:99]
	v_fma_f64 v[208:209], v[192:193], v[96:97], -v[204:205]
	ds_read2_b64 v[204:207], v202 offset0:68 offset1:69
	v_mul_f64 v[98:99], v[192:193], v[98:99]
	v_fmac_f64_e32 v[98:99], v[194:195], v[96:97]
	s_waitcnt lgkmcnt(0)
	v_mul_f64 v[96:97], v[206:207], v[98:99]
	v_fma_f64 v[96:97], v[204:205], v[208:209], -v[96:97]
	v_mul_f64 v[204:205], v[204:205], v[98:99]
	v_fmac_f64_e32 v[204:205], v[206:207], v[208:209]
	v_add_f64 v[94:95], v[94:95], -v[204:205]
	ds_read2_b64 v[204:207], v202 offset0:70 offset1:71
	v_add_f64 v[92:93], v[92:93], -v[96:97]
	s_waitcnt lgkmcnt(0)
	v_mul_f64 v[96:97], v[206:207], v[98:99]
	v_fma_f64 v[96:97], v[204:205], v[208:209], -v[96:97]
	v_mul_f64 v[204:205], v[204:205], v[98:99]
	v_fmac_f64_e32 v[204:205], v[206:207], v[208:209]
	v_add_f64 v[90:91], v[90:91], -v[204:205]
	ds_read2_b64 v[204:207], v202 offset0:72 offset1:73
	v_add_f64 v[88:89], v[88:89], -v[96:97]
	;; [unrolled: 8-line block ×24, first 2 shown]
	s_waitcnt lgkmcnt(0)
	v_mul_f64 v[96:97], v[206:207], v[98:99]
	v_fma_f64 v[96:97], v[204:205], v[208:209], -v[96:97]
	v_mul_f64 v[204:205], v[204:205], v[98:99]
	v_fmac_f64_e32 v[204:205], v[206:207], v[208:209]
	v_add_f64 v[232:233], v[232:233], -v[96:97]
	v_add_f64 v[234:235], v[234:235], -v[204:205]
	v_mov_b64_e32 v[96:97], v[208:209]
.LBB117_307:
	s_or_b64 exec, exec, s[2:3]
	v_cmp_eq_u32_e32 vcc, 34, v200
	s_waitcnt vmcnt(63) expcnt(7) lgkmcnt(15)
	s_barrier
	s_and_saveexec_b64 s[4:5], vcc
	s_cbranch_execz .LBB117_314
; %bb.308:
	ds_write2_b64 v201, v[92:93], v[94:95] offset1:1
	ds_write2_b64 v202, v[88:89], v[90:91] offset0:70 offset1:71
	ds_write2_b64 v202, v[84:85], v[86:87] offset0:72 offset1:73
	;; [unrolled: 1-line block ×9, first 2 shown]
	s_waitcnt vmcnt(62)
	ds_write2_b64 v202, v[52:53], v[54:55] offset0:88 offset1:89
	s_waitcnt vmcnt(61)
	ds_write2_b64 v202, v[48:49], v[50:51] offset0:90 offset1:91
	;; [unrolled: 2-line block ×8, first 2 shown]
	ds_write2_b64 v202, v[20:21], v[22:23] offset0:104 offset1:105
	ds_write2_b64 v202, v[16:17], v[18:19] offset0:106 offset1:107
	ds_write2_b64 v202, v[12:13], v[14:15] offset0:108 offset1:109
	ds_write2_b64 v202, v[8:9], v[10:11] offset0:110 offset1:111
	ds_write2_b64 v202, v[4:5], v[6:7] offset0:112 offset1:113
	s_waitcnt vmcnt(54)
	ds_write2_b64 v202, v[0:1], v[2:3] offset0:114 offset1:115
	s_waitcnt vmcnt(51)
	ds_write2_b64 v202, v[232:233], v[234:235] offset0:116 offset1:117
	ds_read2_b64 v[208:211], v201 offset1:1
	s_waitcnt lgkmcnt(0)
	v_cmp_neq_f64_e32 vcc, 0, v[208:209]
	v_cmp_neq_f64_e64 s[2:3], 0, v[210:211]
	s_or_b64 s[2:3], vcc, s[2:3]
	s_and_b64 exec, exec, s[2:3]
	s_cbranch_execz .LBB117_314
; %bb.309:
	v_cmp_ngt_f64_e64 s[2:3], |v[208:209]|, |v[210:211]|
                                        ; implicit-def: $vgpr204_vgpr205
	s_and_saveexec_b64 s[10:11], s[2:3]
	s_xor_b64 s[2:3], exec, s[10:11]
                                        ; implicit-def: $vgpr206_vgpr207
	s_cbranch_execz .LBB117_311
; %bb.310:
	v_div_scale_f64 v[204:205], s[10:11], v[210:211], v[210:211], v[208:209]
	v_rcp_f64_e32 v[206:207], v[204:205]
	v_div_scale_f64 v[212:213], vcc, v[208:209], v[210:211], v[208:209]
	v_fma_f64 v[214:215], -v[204:205], v[206:207], 1.0
	v_fmac_f64_e32 v[206:207], v[206:207], v[214:215]
	v_fma_f64 v[214:215], -v[204:205], v[206:207], 1.0
	v_fmac_f64_e32 v[206:207], v[206:207], v[214:215]
	v_mul_f64 v[214:215], v[212:213], v[206:207]
	v_fma_f64 v[204:205], -v[204:205], v[214:215], v[212:213]
	v_div_fmas_f64 v[204:205], v[204:205], v[206:207], v[214:215]
	v_div_fixup_f64 v[204:205], v[204:205], v[210:211], v[208:209]
	v_fmac_f64_e32 v[210:211], v[208:209], v[204:205]
	v_div_scale_f64 v[206:207], s[10:11], v[210:211], v[210:211], 1.0
	v_rcp_f64_e32 v[208:209], v[206:207]
	s_nop 0
	v_fma_f64 v[212:213], -v[206:207], v[208:209], 1.0
	v_fmac_f64_e32 v[208:209], v[208:209], v[212:213]
	v_fma_f64 v[212:213], -v[206:207], v[208:209], 1.0
	v_fmac_f64_e32 v[208:209], v[208:209], v[212:213]
	v_div_scale_f64 v[212:213], vcc, 1.0, v[210:211], 1.0
	v_mul_f64 v[214:215], v[212:213], v[208:209]
	v_fma_f64 v[206:207], -v[206:207], v[214:215], v[212:213]
	s_nop 1
	v_div_fmas_f64 v[206:207], v[206:207], v[208:209], v[214:215]
	v_div_fixup_f64 v[206:207], v[206:207], v[210:211], 1.0
	v_mul_f64 v[204:205], v[204:205], v[206:207]
	v_xor_b32_e32 v207, 0x80000000, v207
                                        ; implicit-def: $vgpr208_vgpr209
.LBB117_311:
	s_andn2_saveexec_b64 s[2:3], s[2:3]
	s_cbranch_execz .LBB117_313
; %bb.312:
	v_div_scale_f64 v[204:205], s[10:11], v[208:209], v[208:209], v[210:211]
	v_rcp_f64_e32 v[206:207], v[204:205]
	v_div_scale_f64 v[212:213], vcc, v[210:211], v[208:209], v[210:211]
	v_fma_f64 v[214:215], -v[204:205], v[206:207], 1.0
	v_fmac_f64_e32 v[206:207], v[206:207], v[214:215]
	v_fma_f64 v[214:215], -v[204:205], v[206:207], 1.0
	v_fmac_f64_e32 v[206:207], v[206:207], v[214:215]
	v_mul_f64 v[214:215], v[212:213], v[206:207]
	v_fma_f64 v[204:205], -v[204:205], v[214:215], v[212:213]
	v_div_fmas_f64 v[204:205], v[204:205], v[206:207], v[214:215]
	v_div_fixup_f64 v[206:207], v[204:205], v[208:209], v[210:211]
	v_fmac_f64_e32 v[208:209], v[210:211], v[206:207]
	v_div_scale_f64 v[204:205], s[10:11], v[208:209], v[208:209], 1.0
	v_rcp_f64_e32 v[210:211], v[204:205]
	s_nop 0
	v_fma_f64 v[212:213], -v[204:205], v[210:211], 1.0
	v_fmac_f64_e32 v[210:211], v[210:211], v[212:213]
	v_fma_f64 v[212:213], -v[204:205], v[210:211], 1.0
	v_fmac_f64_e32 v[210:211], v[210:211], v[212:213]
	v_div_scale_f64 v[212:213], vcc, 1.0, v[208:209], 1.0
	v_mul_f64 v[214:215], v[212:213], v[210:211]
	v_fma_f64 v[204:205], -v[204:205], v[214:215], v[212:213]
	s_nop 1
	v_div_fmas_f64 v[204:205], v[204:205], v[210:211], v[214:215]
	v_div_fixup_f64 v[204:205], v[204:205], v[208:209], 1.0
	v_mul_f64 v[206:207], v[206:207], -v[204:205]
.LBB117_313:
	s_or_b64 exec, exec, s[2:3]
	ds_write2_b64 v201, v[204:205], v[206:207] offset1:1
.LBB117_314:
	s_or_b64 exec, exec, s[4:5]
	s_waitcnt lgkmcnt(0)
	s_barrier
	ds_read2_b64 v[192:195], v201 offset1:1
	v_cmp_lt_u32_e32 vcc, 34, v200
	s_waitcnt lgkmcnt(0)
	scratch_store_dwordx4 off, v[192:195], off offset:1160 ; 16-byte Folded Spill
	s_and_saveexec_b64 s[2:3], vcc
	s_cbranch_execz .LBB117_316
; %bb.315:
	scratch_load_dwordx4 v[192:195], off, off offset:1160 ; 16-byte Folded Reload
	s_waitcnt vmcnt(0)
	v_mul_f64 v[204:205], v[194:195], v[94:95]
	v_fma_f64 v[208:209], v[192:193], v[92:93], -v[204:205]
	ds_read2_b64 v[204:207], v202 offset0:70 offset1:71
	v_mul_f64 v[94:95], v[192:193], v[94:95]
	v_fmac_f64_e32 v[94:95], v[194:195], v[92:93]
	s_waitcnt lgkmcnt(0)
	v_mul_f64 v[92:93], v[206:207], v[94:95]
	v_fma_f64 v[92:93], v[204:205], v[208:209], -v[92:93]
	v_mul_f64 v[204:205], v[204:205], v[94:95]
	v_fmac_f64_e32 v[204:205], v[206:207], v[208:209]
	v_add_f64 v[90:91], v[90:91], -v[204:205]
	ds_read2_b64 v[204:207], v202 offset0:72 offset1:73
	v_add_f64 v[88:89], v[88:89], -v[92:93]
	s_waitcnt lgkmcnt(0)
	v_mul_f64 v[92:93], v[206:207], v[94:95]
	v_fma_f64 v[92:93], v[204:205], v[208:209], -v[92:93]
	v_mul_f64 v[204:205], v[204:205], v[94:95]
	v_fmac_f64_e32 v[204:205], v[206:207], v[208:209]
	v_add_f64 v[86:87], v[86:87], -v[204:205]
	ds_read2_b64 v[204:207], v202 offset0:74 offset1:75
	v_add_f64 v[84:85], v[84:85], -v[92:93]
	s_waitcnt lgkmcnt(0)
	v_mul_f64 v[92:93], v[206:207], v[94:95]
	v_fma_f64 v[92:93], v[204:205], v[208:209], -v[92:93]
	v_mul_f64 v[204:205], v[204:205], v[94:95]
	v_fmac_f64_e32 v[204:205], v[206:207], v[208:209]
	v_add_f64 v[82:83], v[82:83], -v[204:205]
	ds_read2_b64 v[204:207], v202 offset0:76 offset1:77
	v_add_f64 v[80:81], v[80:81], -v[92:93]
	s_waitcnt lgkmcnt(0)
	v_mul_f64 v[92:93], v[206:207], v[94:95]
	v_fma_f64 v[92:93], v[204:205], v[208:209], -v[92:93]
	v_mul_f64 v[204:205], v[204:205], v[94:95]
	v_fmac_f64_e32 v[204:205], v[206:207], v[208:209]
	v_add_f64 v[78:79], v[78:79], -v[204:205]
	ds_read2_b64 v[204:207], v202 offset0:78 offset1:79
	v_add_f64 v[76:77], v[76:77], -v[92:93]
	s_waitcnt lgkmcnt(0)
	v_mul_f64 v[92:93], v[206:207], v[94:95]
	v_fma_f64 v[92:93], v[204:205], v[208:209], -v[92:93]
	v_mul_f64 v[204:205], v[204:205], v[94:95]
	v_fmac_f64_e32 v[204:205], v[206:207], v[208:209]
	v_add_f64 v[74:75], v[74:75], -v[204:205]
	ds_read2_b64 v[204:207], v202 offset0:80 offset1:81
	v_add_f64 v[72:73], v[72:73], -v[92:93]
	s_waitcnt lgkmcnt(0)
	v_mul_f64 v[92:93], v[206:207], v[94:95]
	v_fma_f64 v[92:93], v[204:205], v[208:209], -v[92:93]
	v_mul_f64 v[204:205], v[204:205], v[94:95]
	v_fmac_f64_e32 v[204:205], v[206:207], v[208:209]
	v_add_f64 v[70:71], v[70:71], -v[204:205]
	ds_read2_b64 v[204:207], v202 offset0:82 offset1:83
	v_add_f64 v[68:69], v[68:69], -v[92:93]
	s_waitcnt lgkmcnt(0)
	v_mul_f64 v[92:93], v[206:207], v[94:95]
	v_fma_f64 v[92:93], v[204:205], v[208:209], -v[92:93]
	v_mul_f64 v[204:205], v[204:205], v[94:95]
	v_fmac_f64_e32 v[204:205], v[206:207], v[208:209]
	v_add_f64 v[66:67], v[66:67], -v[204:205]
	ds_read2_b64 v[204:207], v202 offset0:84 offset1:85
	v_add_f64 v[64:65], v[64:65], -v[92:93]
	s_waitcnt lgkmcnt(0)
	v_mul_f64 v[92:93], v[206:207], v[94:95]
	v_fma_f64 v[92:93], v[204:205], v[208:209], -v[92:93]
	v_mul_f64 v[204:205], v[204:205], v[94:95]
	v_fmac_f64_e32 v[204:205], v[206:207], v[208:209]
	v_add_f64 v[62:63], v[62:63], -v[204:205]
	ds_read2_b64 v[204:207], v202 offset0:86 offset1:87
	v_add_f64 v[60:61], v[60:61], -v[92:93]
	s_waitcnt lgkmcnt(0)
	v_mul_f64 v[92:93], v[206:207], v[94:95]
	v_fma_f64 v[92:93], v[204:205], v[208:209], -v[92:93]
	v_mul_f64 v[204:205], v[204:205], v[94:95]
	v_fmac_f64_e32 v[204:205], v[206:207], v[208:209]
	v_add_f64 v[58:59], v[58:59], -v[204:205]
	ds_read2_b64 v[204:207], v202 offset0:88 offset1:89
	v_add_f64 v[56:57], v[56:57], -v[92:93]
	s_waitcnt lgkmcnt(0)
	v_mul_f64 v[92:93], v[206:207], v[94:95]
	v_fma_f64 v[92:93], v[204:205], v[208:209], -v[92:93]
	v_mul_f64 v[204:205], v[204:205], v[94:95]
	v_fmac_f64_e32 v[204:205], v[206:207], v[208:209]
	v_add_f64 v[54:55], v[54:55], -v[204:205]
	ds_read2_b64 v[204:207], v202 offset0:90 offset1:91
	v_add_f64 v[52:53], v[52:53], -v[92:93]
	s_waitcnt lgkmcnt(0)
	v_mul_f64 v[92:93], v[206:207], v[94:95]
	v_fma_f64 v[92:93], v[204:205], v[208:209], -v[92:93]
	v_mul_f64 v[204:205], v[204:205], v[94:95]
	v_fmac_f64_e32 v[204:205], v[206:207], v[208:209]
	v_add_f64 v[50:51], v[50:51], -v[204:205]
	ds_read2_b64 v[204:207], v202 offset0:92 offset1:93
	v_add_f64 v[48:49], v[48:49], -v[92:93]
	s_waitcnt lgkmcnt(0)
	v_mul_f64 v[92:93], v[206:207], v[94:95]
	v_fma_f64 v[92:93], v[204:205], v[208:209], -v[92:93]
	v_mul_f64 v[204:205], v[204:205], v[94:95]
	v_fmac_f64_e32 v[204:205], v[206:207], v[208:209]
	v_add_f64 v[46:47], v[46:47], -v[204:205]
	ds_read2_b64 v[204:207], v202 offset0:94 offset1:95
	v_add_f64 v[44:45], v[44:45], -v[92:93]
	s_waitcnt lgkmcnt(0)
	v_mul_f64 v[92:93], v[206:207], v[94:95]
	v_fma_f64 v[92:93], v[204:205], v[208:209], -v[92:93]
	v_mul_f64 v[204:205], v[204:205], v[94:95]
	v_fmac_f64_e32 v[204:205], v[206:207], v[208:209]
	v_add_f64 v[42:43], v[42:43], -v[204:205]
	ds_read2_b64 v[204:207], v202 offset0:96 offset1:97
	v_add_f64 v[40:41], v[40:41], -v[92:93]
	s_waitcnt lgkmcnt(0)
	v_mul_f64 v[92:93], v[206:207], v[94:95]
	v_fma_f64 v[92:93], v[204:205], v[208:209], -v[92:93]
	v_mul_f64 v[204:205], v[204:205], v[94:95]
	v_fmac_f64_e32 v[204:205], v[206:207], v[208:209]
	v_add_f64 v[38:39], v[38:39], -v[204:205]
	ds_read2_b64 v[204:207], v202 offset0:98 offset1:99
	v_add_f64 v[36:37], v[36:37], -v[92:93]
	s_waitcnt lgkmcnt(0)
	v_mul_f64 v[92:93], v[206:207], v[94:95]
	v_fma_f64 v[92:93], v[204:205], v[208:209], -v[92:93]
	v_mul_f64 v[204:205], v[204:205], v[94:95]
	v_fmac_f64_e32 v[204:205], v[206:207], v[208:209]
	v_add_f64 v[34:35], v[34:35], -v[204:205]
	ds_read2_b64 v[204:207], v202 offset0:100 offset1:101
	v_add_f64 v[32:33], v[32:33], -v[92:93]
	s_waitcnt lgkmcnt(0)
	v_mul_f64 v[92:93], v[206:207], v[94:95]
	v_fma_f64 v[92:93], v[204:205], v[208:209], -v[92:93]
	v_mul_f64 v[204:205], v[204:205], v[94:95]
	v_fmac_f64_e32 v[204:205], v[206:207], v[208:209]
	v_add_f64 v[30:31], v[30:31], -v[204:205]
	ds_read2_b64 v[204:207], v202 offset0:102 offset1:103
	v_add_f64 v[28:29], v[28:29], -v[92:93]
	s_waitcnt lgkmcnt(0)
	v_mul_f64 v[92:93], v[206:207], v[94:95]
	v_fma_f64 v[92:93], v[204:205], v[208:209], -v[92:93]
	v_mul_f64 v[204:205], v[204:205], v[94:95]
	v_fmac_f64_e32 v[204:205], v[206:207], v[208:209]
	v_add_f64 v[26:27], v[26:27], -v[204:205]
	ds_read2_b64 v[204:207], v202 offset0:104 offset1:105
	v_add_f64 v[24:25], v[24:25], -v[92:93]
	s_waitcnt lgkmcnt(0)
	v_mul_f64 v[92:93], v[206:207], v[94:95]
	v_fma_f64 v[92:93], v[204:205], v[208:209], -v[92:93]
	v_mul_f64 v[204:205], v[204:205], v[94:95]
	v_fmac_f64_e32 v[204:205], v[206:207], v[208:209]
	v_add_f64 v[22:23], v[22:23], -v[204:205]
	ds_read2_b64 v[204:207], v202 offset0:106 offset1:107
	v_add_f64 v[20:21], v[20:21], -v[92:93]
	s_waitcnt lgkmcnt(0)
	v_mul_f64 v[92:93], v[206:207], v[94:95]
	v_fma_f64 v[92:93], v[204:205], v[208:209], -v[92:93]
	v_mul_f64 v[204:205], v[204:205], v[94:95]
	v_fmac_f64_e32 v[204:205], v[206:207], v[208:209]
	v_add_f64 v[18:19], v[18:19], -v[204:205]
	ds_read2_b64 v[204:207], v202 offset0:108 offset1:109
	v_add_f64 v[16:17], v[16:17], -v[92:93]
	s_waitcnt lgkmcnt(0)
	v_mul_f64 v[92:93], v[206:207], v[94:95]
	v_fma_f64 v[92:93], v[204:205], v[208:209], -v[92:93]
	v_mul_f64 v[204:205], v[204:205], v[94:95]
	v_fmac_f64_e32 v[204:205], v[206:207], v[208:209]
	v_add_f64 v[14:15], v[14:15], -v[204:205]
	ds_read2_b64 v[204:207], v202 offset0:110 offset1:111
	v_add_f64 v[12:13], v[12:13], -v[92:93]
	s_waitcnt lgkmcnt(0)
	v_mul_f64 v[92:93], v[206:207], v[94:95]
	v_fma_f64 v[92:93], v[204:205], v[208:209], -v[92:93]
	v_mul_f64 v[204:205], v[204:205], v[94:95]
	v_fmac_f64_e32 v[204:205], v[206:207], v[208:209]
	v_add_f64 v[10:11], v[10:11], -v[204:205]
	ds_read2_b64 v[204:207], v202 offset0:112 offset1:113
	v_add_f64 v[8:9], v[8:9], -v[92:93]
	s_waitcnt lgkmcnt(0)
	v_mul_f64 v[92:93], v[206:207], v[94:95]
	v_fma_f64 v[92:93], v[204:205], v[208:209], -v[92:93]
	v_mul_f64 v[204:205], v[204:205], v[94:95]
	v_fmac_f64_e32 v[204:205], v[206:207], v[208:209]
	v_add_f64 v[6:7], v[6:7], -v[204:205]
	ds_read2_b64 v[204:207], v202 offset0:114 offset1:115
	v_add_f64 v[4:5], v[4:5], -v[92:93]
	s_waitcnt lgkmcnt(0)
	v_mul_f64 v[92:93], v[206:207], v[94:95]
	v_fma_f64 v[92:93], v[204:205], v[208:209], -v[92:93]
	v_mul_f64 v[204:205], v[204:205], v[94:95]
	v_fmac_f64_e32 v[204:205], v[206:207], v[208:209]
	v_add_f64 v[2:3], v[2:3], -v[204:205]
	ds_read2_b64 v[204:207], v202 offset0:116 offset1:117
	v_add_f64 v[0:1], v[0:1], -v[92:93]
	s_waitcnt lgkmcnt(0)
	v_mul_f64 v[92:93], v[206:207], v[94:95]
	v_fma_f64 v[92:93], v[204:205], v[208:209], -v[92:93]
	v_mul_f64 v[204:205], v[204:205], v[94:95]
	v_fmac_f64_e32 v[204:205], v[206:207], v[208:209]
	v_add_f64 v[232:233], v[232:233], -v[92:93]
	v_add_f64 v[234:235], v[234:235], -v[204:205]
	v_mov_b64_e32 v[92:93], v[208:209]
.LBB117_316:
	s_or_b64 exec, exec, s[2:3]
	v_cmp_eq_u32_e32 vcc, 35, v200
	s_waitcnt vmcnt(63) expcnt(7) lgkmcnt(15)
	s_barrier
	s_and_saveexec_b64 s[4:5], vcc
	s_cbranch_execz .LBB117_323
; %bb.317:
	ds_write2_b64 v201, v[88:89], v[90:91] offset1:1
	ds_write2_b64 v202, v[84:85], v[86:87] offset0:72 offset1:73
	ds_write2_b64 v202, v[80:81], v[82:83] offset0:74 offset1:75
	;; [unrolled: 1-line block ×9, first 2 shown]
	s_waitcnt vmcnt(62)
	ds_write2_b64 v202, v[48:49], v[50:51] offset0:90 offset1:91
	s_waitcnt vmcnt(61)
	ds_write2_b64 v202, v[44:45], v[46:47] offset0:92 offset1:93
	;; [unrolled: 2-line block ×7, first 2 shown]
	ds_write2_b64 v202, v[20:21], v[22:23] offset0:104 offset1:105
	ds_write2_b64 v202, v[16:17], v[18:19] offset0:106 offset1:107
	;; [unrolled: 1-line block ×5, first 2 shown]
	s_waitcnt vmcnt(55)
	ds_write2_b64 v202, v[0:1], v[2:3] offset0:114 offset1:115
	s_waitcnt vmcnt(52)
	ds_write2_b64 v202, v[232:233], v[234:235] offset0:116 offset1:117
	ds_read2_b64 v[208:211], v201 offset1:1
	s_waitcnt lgkmcnt(0)
	v_cmp_neq_f64_e32 vcc, 0, v[208:209]
	v_cmp_neq_f64_e64 s[2:3], 0, v[210:211]
	s_or_b64 s[2:3], vcc, s[2:3]
	s_and_b64 exec, exec, s[2:3]
	s_cbranch_execz .LBB117_323
; %bb.318:
	v_cmp_ngt_f64_e64 s[2:3], |v[208:209]|, |v[210:211]|
                                        ; implicit-def: $vgpr204_vgpr205
	s_and_saveexec_b64 s[10:11], s[2:3]
	s_xor_b64 s[2:3], exec, s[10:11]
                                        ; implicit-def: $vgpr206_vgpr207
	s_cbranch_execz .LBB117_320
; %bb.319:
	v_div_scale_f64 v[204:205], s[10:11], v[210:211], v[210:211], v[208:209]
	v_rcp_f64_e32 v[206:207], v[204:205]
	v_div_scale_f64 v[212:213], vcc, v[208:209], v[210:211], v[208:209]
	v_fma_f64 v[214:215], -v[204:205], v[206:207], 1.0
	v_fmac_f64_e32 v[206:207], v[206:207], v[214:215]
	v_fma_f64 v[214:215], -v[204:205], v[206:207], 1.0
	v_fmac_f64_e32 v[206:207], v[206:207], v[214:215]
	v_mul_f64 v[214:215], v[212:213], v[206:207]
	v_fma_f64 v[204:205], -v[204:205], v[214:215], v[212:213]
	v_div_fmas_f64 v[204:205], v[204:205], v[206:207], v[214:215]
	v_div_fixup_f64 v[204:205], v[204:205], v[210:211], v[208:209]
	v_fmac_f64_e32 v[210:211], v[208:209], v[204:205]
	v_div_scale_f64 v[206:207], s[10:11], v[210:211], v[210:211], 1.0
	v_rcp_f64_e32 v[208:209], v[206:207]
	s_nop 0
	v_fma_f64 v[212:213], -v[206:207], v[208:209], 1.0
	v_fmac_f64_e32 v[208:209], v[208:209], v[212:213]
	v_fma_f64 v[212:213], -v[206:207], v[208:209], 1.0
	v_fmac_f64_e32 v[208:209], v[208:209], v[212:213]
	v_div_scale_f64 v[212:213], vcc, 1.0, v[210:211], 1.0
	v_mul_f64 v[214:215], v[212:213], v[208:209]
	v_fma_f64 v[206:207], -v[206:207], v[214:215], v[212:213]
	s_nop 1
	v_div_fmas_f64 v[206:207], v[206:207], v[208:209], v[214:215]
	v_div_fixup_f64 v[206:207], v[206:207], v[210:211], 1.0
	v_mul_f64 v[204:205], v[204:205], v[206:207]
	v_xor_b32_e32 v207, 0x80000000, v207
                                        ; implicit-def: $vgpr208_vgpr209
.LBB117_320:
	s_andn2_saveexec_b64 s[2:3], s[2:3]
	s_cbranch_execz .LBB117_322
; %bb.321:
	v_div_scale_f64 v[204:205], s[10:11], v[208:209], v[208:209], v[210:211]
	v_rcp_f64_e32 v[206:207], v[204:205]
	v_div_scale_f64 v[212:213], vcc, v[210:211], v[208:209], v[210:211]
	v_fma_f64 v[214:215], -v[204:205], v[206:207], 1.0
	v_fmac_f64_e32 v[206:207], v[206:207], v[214:215]
	v_fma_f64 v[214:215], -v[204:205], v[206:207], 1.0
	v_fmac_f64_e32 v[206:207], v[206:207], v[214:215]
	v_mul_f64 v[214:215], v[212:213], v[206:207]
	v_fma_f64 v[204:205], -v[204:205], v[214:215], v[212:213]
	v_div_fmas_f64 v[204:205], v[204:205], v[206:207], v[214:215]
	v_div_fixup_f64 v[206:207], v[204:205], v[208:209], v[210:211]
	v_fmac_f64_e32 v[208:209], v[210:211], v[206:207]
	v_div_scale_f64 v[204:205], s[10:11], v[208:209], v[208:209], 1.0
	v_rcp_f64_e32 v[210:211], v[204:205]
	s_nop 0
	v_fma_f64 v[212:213], -v[204:205], v[210:211], 1.0
	v_fmac_f64_e32 v[210:211], v[210:211], v[212:213]
	v_fma_f64 v[212:213], -v[204:205], v[210:211], 1.0
	v_fmac_f64_e32 v[210:211], v[210:211], v[212:213]
	v_div_scale_f64 v[212:213], vcc, 1.0, v[208:209], 1.0
	v_mul_f64 v[214:215], v[212:213], v[210:211]
	v_fma_f64 v[204:205], -v[204:205], v[214:215], v[212:213]
	s_nop 1
	v_div_fmas_f64 v[204:205], v[204:205], v[210:211], v[214:215]
	v_div_fixup_f64 v[204:205], v[204:205], v[208:209], 1.0
	v_mul_f64 v[206:207], v[206:207], -v[204:205]
.LBB117_322:
	s_or_b64 exec, exec, s[2:3]
	ds_write2_b64 v201, v[204:205], v[206:207] offset1:1
.LBB117_323:
	s_or_b64 exec, exec, s[4:5]
	s_waitcnt lgkmcnt(0)
	s_barrier
	ds_read2_b64 v[192:195], v201 offset1:1
	v_cmp_lt_u32_e32 vcc, 35, v200
	s_waitcnt lgkmcnt(0)
	scratch_store_dwordx4 off, v[192:195], off offset:1176 ; 16-byte Folded Spill
	s_and_saveexec_b64 s[2:3], vcc
	s_cbranch_execz .LBB117_325
; %bb.324:
	scratch_load_dwordx4 v[192:195], off, off offset:1176 ; 16-byte Folded Reload
	s_waitcnt vmcnt(0)
	v_mul_f64 v[204:205], v[194:195], v[90:91]
	v_fma_f64 v[208:209], v[192:193], v[88:89], -v[204:205]
	ds_read2_b64 v[204:207], v202 offset0:72 offset1:73
	v_mul_f64 v[90:91], v[192:193], v[90:91]
	v_fmac_f64_e32 v[90:91], v[194:195], v[88:89]
	s_waitcnt lgkmcnt(0)
	v_mul_f64 v[88:89], v[206:207], v[90:91]
	v_fma_f64 v[88:89], v[204:205], v[208:209], -v[88:89]
	v_mul_f64 v[204:205], v[204:205], v[90:91]
	v_fmac_f64_e32 v[204:205], v[206:207], v[208:209]
	v_add_f64 v[86:87], v[86:87], -v[204:205]
	ds_read2_b64 v[204:207], v202 offset0:74 offset1:75
	v_add_f64 v[84:85], v[84:85], -v[88:89]
	s_waitcnt lgkmcnt(0)
	v_mul_f64 v[88:89], v[206:207], v[90:91]
	v_fma_f64 v[88:89], v[204:205], v[208:209], -v[88:89]
	v_mul_f64 v[204:205], v[204:205], v[90:91]
	v_fmac_f64_e32 v[204:205], v[206:207], v[208:209]
	v_add_f64 v[82:83], v[82:83], -v[204:205]
	ds_read2_b64 v[204:207], v202 offset0:76 offset1:77
	v_add_f64 v[80:81], v[80:81], -v[88:89]
	;; [unrolled: 8-line block ×22, first 2 shown]
	s_waitcnt lgkmcnt(0)
	v_mul_f64 v[88:89], v[206:207], v[90:91]
	v_fma_f64 v[88:89], v[204:205], v[208:209], -v[88:89]
	v_mul_f64 v[204:205], v[204:205], v[90:91]
	v_fmac_f64_e32 v[204:205], v[206:207], v[208:209]
	v_add_f64 v[232:233], v[232:233], -v[88:89]
	v_add_f64 v[234:235], v[234:235], -v[204:205]
	v_mov_b64_e32 v[88:89], v[208:209]
.LBB117_325:
	s_or_b64 exec, exec, s[2:3]
	v_cmp_eq_u32_e32 vcc, 36, v200
	s_waitcnt vmcnt(63) expcnt(7) lgkmcnt(15)
	s_barrier
	s_and_saveexec_b64 s[4:5], vcc
	s_cbranch_execz .LBB117_332
; %bb.326:
	ds_write2_b64 v201, v[84:85], v[86:87] offset1:1
	ds_write2_b64 v202, v[80:81], v[82:83] offset0:74 offset1:75
	ds_write2_b64 v202, v[76:77], v[78:79] offset0:76 offset1:77
	;; [unrolled: 1-line block ×9, first 2 shown]
	s_waitcnt vmcnt(62)
	ds_write2_b64 v202, v[44:45], v[46:47] offset0:92 offset1:93
	s_waitcnt vmcnt(61)
	ds_write2_b64 v202, v[40:41], v[42:43] offset0:94 offset1:95
	;; [unrolled: 2-line block ×6, first 2 shown]
	ds_write2_b64 v202, v[20:21], v[22:23] offset0:104 offset1:105
	ds_write2_b64 v202, v[16:17], v[18:19] offset0:106 offset1:107
	;; [unrolled: 1-line block ×5, first 2 shown]
	s_waitcnt vmcnt(56)
	ds_write2_b64 v202, v[0:1], v[2:3] offset0:114 offset1:115
	s_waitcnt vmcnt(53)
	ds_write2_b64 v202, v[232:233], v[234:235] offset0:116 offset1:117
	ds_read2_b64 v[208:211], v201 offset1:1
	s_waitcnt lgkmcnt(0)
	v_cmp_neq_f64_e32 vcc, 0, v[208:209]
	v_cmp_neq_f64_e64 s[2:3], 0, v[210:211]
	s_or_b64 s[2:3], vcc, s[2:3]
	s_and_b64 exec, exec, s[2:3]
	s_cbranch_execz .LBB117_332
; %bb.327:
	v_cmp_ngt_f64_e64 s[2:3], |v[208:209]|, |v[210:211]|
                                        ; implicit-def: $vgpr204_vgpr205
	s_and_saveexec_b64 s[10:11], s[2:3]
	s_xor_b64 s[2:3], exec, s[10:11]
                                        ; implicit-def: $vgpr206_vgpr207
	s_cbranch_execz .LBB117_329
; %bb.328:
	v_div_scale_f64 v[204:205], s[10:11], v[210:211], v[210:211], v[208:209]
	v_rcp_f64_e32 v[206:207], v[204:205]
	v_div_scale_f64 v[212:213], vcc, v[208:209], v[210:211], v[208:209]
	v_fma_f64 v[214:215], -v[204:205], v[206:207], 1.0
	v_fmac_f64_e32 v[206:207], v[206:207], v[214:215]
	v_fma_f64 v[214:215], -v[204:205], v[206:207], 1.0
	v_fmac_f64_e32 v[206:207], v[206:207], v[214:215]
	v_mul_f64 v[214:215], v[212:213], v[206:207]
	v_fma_f64 v[204:205], -v[204:205], v[214:215], v[212:213]
	v_div_fmas_f64 v[204:205], v[204:205], v[206:207], v[214:215]
	v_div_fixup_f64 v[204:205], v[204:205], v[210:211], v[208:209]
	v_fmac_f64_e32 v[210:211], v[208:209], v[204:205]
	v_div_scale_f64 v[206:207], s[10:11], v[210:211], v[210:211], 1.0
	v_rcp_f64_e32 v[208:209], v[206:207]
	s_nop 0
	v_fma_f64 v[212:213], -v[206:207], v[208:209], 1.0
	v_fmac_f64_e32 v[208:209], v[208:209], v[212:213]
	v_fma_f64 v[212:213], -v[206:207], v[208:209], 1.0
	v_fmac_f64_e32 v[208:209], v[208:209], v[212:213]
	v_div_scale_f64 v[212:213], vcc, 1.0, v[210:211], 1.0
	v_mul_f64 v[214:215], v[212:213], v[208:209]
	v_fma_f64 v[206:207], -v[206:207], v[214:215], v[212:213]
	s_nop 1
	v_div_fmas_f64 v[206:207], v[206:207], v[208:209], v[214:215]
	v_div_fixup_f64 v[206:207], v[206:207], v[210:211], 1.0
	v_mul_f64 v[204:205], v[204:205], v[206:207]
	v_xor_b32_e32 v207, 0x80000000, v207
                                        ; implicit-def: $vgpr208_vgpr209
.LBB117_329:
	s_andn2_saveexec_b64 s[2:3], s[2:3]
	s_cbranch_execz .LBB117_331
; %bb.330:
	v_div_scale_f64 v[204:205], s[10:11], v[208:209], v[208:209], v[210:211]
	v_rcp_f64_e32 v[206:207], v[204:205]
	v_div_scale_f64 v[212:213], vcc, v[210:211], v[208:209], v[210:211]
	v_fma_f64 v[214:215], -v[204:205], v[206:207], 1.0
	v_fmac_f64_e32 v[206:207], v[206:207], v[214:215]
	v_fma_f64 v[214:215], -v[204:205], v[206:207], 1.0
	v_fmac_f64_e32 v[206:207], v[206:207], v[214:215]
	v_mul_f64 v[214:215], v[212:213], v[206:207]
	v_fma_f64 v[204:205], -v[204:205], v[214:215], v[212:213]
	v_div_fmas_f64 v[204:205], v[204:205], v[206:207], v[214:215]
	v_div_fixup_f64 v[206:207], v[204:205], v[208:209], v[210:211]
	v_fmac_f64_e32 v[208:209], v[210:211], v[206:207]
	v_div_scale_f64 v[204:205], s[10:11], v[208:209], v[208:209], 1.0
	v_rcp_f64_e32 v[210:211], v[204:205]
	s_nop 0
	v_fma_f64 v[212:213], -v[204:205], v[210:211], 1.0
	v_fmac_f64_e32 v[210:211], v[210:211], v[212:213]
	v_fma_f64 v[212:213], -v[204:205], v[210:211], 1.0
	v_fmac_f64_e32 v[210:211], v[210:211], v[212:213]
	v_div_scale_f64 v[212:213], vcc, 1.0, v[208:209], 1.0
	v_mul_f64 v[214:215], v[212:213], v[210:211]
	v_fma_f64 v[204:205], -v[204:205], v[214:215], v[212:213]
	s_nop 1
	v_div_fmas_f64 v[204:205], v[204:205], v[210:211], v[214:215]
	v_div_fixup_f64 v[204:205], v[204:205], v[208:209], 1.0
	v_mul_f64 v[206:207], v[206:207], -v[204:205]
.LBB117_331:
	s_or_b64 exec, exec, s[2:3]
	ds_write2_b64 v201, v[204:205], v[206:207] offset1:1
.LBB117_332:
	s_or_b64 exec, exec, s[4:5]
	s_waitcnt lgkmcnt(0)
	s_barrier
	ds_read2_b64 v[192:195], v201 offset1:1
	v_cmp_lt_u32_e32 vcc, 36, v200
	s_waitcnt lgkmcnt(0)
	scratch_store_dwordx4 off, v[192:195], off offset:1192 ; 16-byte Folded Spill
	s_and_saveexec_b64 s[2:3], vcc
	s_cbranch_execz .LBB117_334
; %bb.333:
	scratch_load_dwordx4 v[192:195], off, off offset:1192 ; 16-byte Folded Reload
	s_waitcnt vmcnt(0)
	v_mul_f64 v[204:205], v[194:195], v[86:87]
	v_fma_f64 v[208:209], v[192:193], v[84:85], -v[204:205]
	ds_read2_b64 v[204:207], v202 offset0:74 offset1:75
	v_mul_f64 v[86:87], v[192:193], v[86:87]
	v_fmac_f64_e32 v[86:87], v[194:195], v[84:85]
	s_waitcnt lgkmcnt(0)
	v_mul_f64 v[84:85], v[206:207], v[86:87]
	v_fma_f64 v[84:85], v[204:205], v[208:209], -v[84:85]
	v_mul_f64 v[204:205], v[204:205], v[86:87]
	v_fmac_f64_e32 v[204:205], v[206:207], v[208:209]
	v_add_f64 v[82:83], v[82:83], -v[204:205]
	ds_read2_b64 v[204:207], v202 offset0:76 offset1:77
	v_add_f64 v[80:81], v[80:81], -v[84:85]
	s_waitcnt lgkmcnt(0)
	v_mul_f64 v[84:85], v[206:207], v[86:87]
	v_fma_f64 v[84:85], v[204:205], v[208:209], -v[84:85]
	v_mul_f64 v[204:205], v[204:205], v[86:87]
	v_fmac_f64_e32 v[204:205], v[206:207], v[208:209]
	v_add_f64 v[78:79], v[78:79], -v[204:205]
	ds_read2_b64 v[204:207], v202 offset0:78 offset1:79
	v_add_f64 v[76:77], v[76:77], -v[84:85]
	s_waitcnt lgkmcnt(0)
	v_mul_f64 v[84:85], v[206:207], v[86:87]
	v_fma_f64 v[84:85], v[204:205], v[208:209], -v[84:85]
	v_mul_f64 v[204:205], v[204:205], v[86:87]
	v_fmac_f64_e32 v[204:205], v[206:207], v[208:209]
	v_add_f64 v[74:75], v[74:75], -v[204:205]
	ds_read2_b64 v[204:207], v202 offset0:80 offset1:81
	v_add_f64 v[72:73], v[72:73], -v[84:85]
	s_waitcnt lgkmcnt(0)
	v_mul_f64 v[84:85], v[206:207], v[86:87]
	v_fma_f64 v[84:85], v[204:205], v[208:209], -v[84:85]
	v_mul_f64 v[204:205], v[204:205], v[86:87]
	v_fmac_f64_e32 v[204:205], v[206:207], v[208:209]
	v_add_f64 v[70:71], v[70:71], -v[204:205]
	ds_read2_b64 v[204:207], v202 offset0:82 offset1:83
	v_add_f64 v[68:69], v[68:69], -v[84:85]
	s_waitcnt lgkmcnt(0)
	v_mul_f64 v[84:85], v[206:207], v[86:87]
	v_fma_f64 v[84:85], v[204:205], v[208:209], -v[84:85]
	v_mul_f64 v[204:205], v[204:205], v[86:87]
	v_fmac_f64_e32 v[204:205], v[206:207], v[208:209]
	v_add_f64 v[66:67], v[66:67], -v[204:205]
	ds_read2_b64 v[204:207], v202 offset0:84 offset1:85
	v_add_f64 v[64:65], v[64:65], -v[84:85]
	s_waitcnt lgkmcnt(0)
	v_mul_f64 v[84:85], v[206:207], v[86:87]
	v_fma_f64 v[84:85], v[204:205], v[208:209], -v[84:85]
	v_mul_f64 v[204:205], v[204:205], v[86:87]
	v_fmac_f64_e32 v[204:205], v[206:207], v[208:209]
	v_add_f64 v[62:63], v[62:63], -v[204:205]
	ds_read2_b64 v[204:207], v202 offset0:86 offset1:87
	v_add_f64 v[60:61], v[60:61], -v[84:85]
	s_waitcnt lgkmcnt(0)
	v_mul_f64 v[84:85], v[206:207], v[86:87]
	v_fma_f64 v[84:85], v[204:205], v[208:209], -v[84:85]
	v_mul_f64 v[204:205], v[204:205], v[86:87]
	v_fmac_f64_e32 v[204:205], v[206:207], v[208:209]
	v_add_f64 v[58:59], v[58:59], -v[204:205]
	ds_read2_b64 v[204:207], v202 offset0:88 offset1:89
	v_add_f64 v[56:57], v[56:57], -v[84:85]
	s_waitcnt lgkmcnt(0)
	v_mul_f64 v[84:85], v[206:207], v[86:87]
	v_fma_f64 v[84:85], v[204:205], v[208:209], -v[84:85]
	v_mul_f64 v[204:205], v[204:205], v[86:87]
	v_fmac_f64_e32 v[204:205], v[206:207], v[208:209]
	v_add_f64 v[54:55], v[54:55], -v[204:205]
	ds_read2_b64 v[204:207], v202 offset0:90 offset1:91
	v_add_f64 v[52:53], v[52:53], -v[84:85]
	s_waitcnt lgkmcnt(0)
	v_mul_f64 v[84:85], v[206:207], v[86:87]
	v_fma_f64 v[84:85], v[204:205], v[208:209], -v[84:85]
	v_mul_f64 v[204:205], v[204:205], v[86:87]
	v_fmac_f64_e32 v[204:205], v[206:207], v[208:209]
	v_add_f64 v[50:51], v[50:51], -v[204:205]
	ds_read2_b64 v[204:207], v202 offset0:92 offset1:93
	v_add_f64 v[48:49], v[48:49], -v[84:85]
	s_waitcnt lgkmcnt(0)
	v_mul_f64 v[84:85], v[206:207], v[86:87]
	v_fma_f64 v[84:85], v[204:205], v[208:209], -v[84:85]
	v_mul_f64 v[204:205], v[204:205], v[86:87]
	v_fmac_f64_e32 v[204:205], v[206:207], v[208:209]
	v_add_f64 v[46:47], v[46:47], -v[204:205]
	ds_read2_b64 v[204:207], v202 offset0:94 offset1:95
	v_add_f64 v[44:45], v[44:45], -v[84:85]
	s_waitcnt lgkmcnt(0)
	v_mul_f64 v[84:85], v[206:207], v[86:87]
	v_fma_f64 v[84:85], v[204:205], v[208:209], -v[84:85]
	v_mul_f64 v[204:205], v[204:205], v[86:87]
	v_fmac_f64_e32 v[204:205], v[206:207], v[208:209]
	v_add_f64 v[42:43], v[42:43], -v[204:205]
	ds_read2_b64 v[204:207], v202 offset0:96 offset1:97
	v_add_f64 v[40:41], v[40:41], -v[84:85]
	s_waitcnt lgkmcnt(0)
	v_mul_f64 v[84:85], v[206:207], v[86:87]
	v_fma_f64 v[84:85], v[204:205], v[208:209], -v[84:85]
	v_mul_f64 v[204:205], v[204:205], v[86:87]
	v_fmac_f64_e32 v[204:205], v[206:207], v[208:209]
	v_add_f64 v[38:39], v[38:39], -v[204:205]
	ds_read2_b64 v[204:207], v202 offset0:98 offset1:99
	v_add_f64 v[36:37], v[36:37], -v[84:85]
	s_waitcnt lgkmcnt(0)
	v_mul_f64 v[84:85], v[206:207], v[86:87]
	v_fma_f64 v[84:85], v[204:205], v[208:209], -v[84:85]
	v_mul_f64 v[204:205], v[204:205], v[86:87]
	v_fmac_f64_e32 v[204:205], v[206:207], v[208:209]
	v_add_f64 v[34:35], v[34:35], -v[204:205]
	ds_read2_b64 v[204:207], v202 offset0:100 offset1:101
	v_add_f64 v[32:33], v[32:33], -v[84:85]
	s_waitcnt lgkmcnt(0)
	v_mul_f64 v[84:85], v[206:207], v[86:87]
	v_fma_f64 v[84:85], v[204:205], v[208:209], -v[84:85]
	v_mul_f64 v[204:205], v[204:205], v[86:87]
	v_fmac_f64_e32 v[204:205], v[206:207], v[208:209]
	v_add_f64 v[30:31], v[30:31], -v[204:205]
	ds_read2_b64 v[204:207], v202 offset0:102 offset1:103
	v_add_f64 v[28:29], v[28:29], -v[84:85]
	s_waitcnt lgkmcnt(0)
	v_mul_f64 v[84:85], v[206:207], v[86:87]
	v_fma_f64 v[84:85], v[204:205], v[208:209], -v[84:85]
	v_mul_f64 v[204:205], v[204:205], v[86:87]
	v_fmac_f64_e32 v[204:205], v[206:207], v[208:209]
	v_add_f64 v[26:27], v[26:27], -v[204:205]
	ds_read2_b64 v[204:207], v202 offset0:104 offset1:105
	v_add_f64 v[24:25], v[24:25], -v[84:85]
	s_waitcnt lgkmcnt(0)
	v_mul_f64 v[84:85], v[206:207], v[86:87]
	v_fma_f64 v[84:85], v[204:205], v[208:209], -v[84:85]
	v_mul_f64 v[204:205], v[204:205], v[86:87]
	v_fmac_f64_e32 v[204:205], v[206:207], v[208:209]
	v_add_f64 v[22:23], v[22:23], -v[204:205]
	ds_read2_b64 v[204:207], v202 offset0:106 offset1:107
	v_add_f64 v[20:21], v[20:21], -v[84:85]
	s_waitcnt lgkmcnt(0)
	v_mul_f64 v[84:85], v[206:207], v[86:87]
	v_fma_f64 v[84:85], v[204:205], v[208:209], -v[84:85]
	v_mul_f64 v[204:205], v[204:205], v[86:87]
	v_fmac_f64_e32 v[204:205], v[206:207], v[208:209]
	v_add_f64 v[18:19], v[18:19], -v[204:205]
	ds_read2_b64 v[204:207], v202 offset0:108 offset1:109
	v_add_f64 v[16:17], v[16:17], -v[84:85]
	s_waitcnt lgkmcnt(0)
	v_mul_f64 v[84:85], v[206:207], v[86:87]
	v_fma_f64 v[84:85], v[204:205], v[208:209], -v[84:85]
	v_mul_f64 v[204:205], v[204:205], v[86:87]
	v_fmac_f64_e32 v[204:205], v[206:207], v[208:209]
	v_add_f64 v[14:15], v[14:15], -v[204:205]
	ds_read2_b64 v[204:207], v202 offset0:110 offset1:111
	v_add_f64 v[12:13], v[12:13], -v[84:85]
	s_waitcnt lgkmcnt(0)
	v_mul_f64 v[84:85], v[206:207], v[86:87]
	v_fma_f64 v[84:85], v[204:205], v[208:209], -v[84:85]
	v_mul_f64 v[204:205], v[204:205], v[86:87]
	v_fmac_f64_e32 v[204:205], v[206:207], v[208:209]
	v_add_f64 v[10:11], v[10:11], -v[204:205]
	ds_read2_b64 v[204:207], v202 offset0:112 offset1:113
	v_add_f64 v[8:9], v[8:9], -v[84:85]
	s_waitcnt lgkmcnt(0)
	v_mul_f64 v[84:85], v[206:207], v[86:87]
	v_fma_f64 v[84:85], v[204:205], v[208:209], -v[84:85]
	v_mul_f64 v[204:205], v[204:205], v[86:87]
	v_fmac_f64_e32 v[204:205], v[206:207], v[208:209]
	v_add_f64 v[6:7], v[6:7], -v[204:205]
	ds_read2_b64 v[204:207], v202 offset0:114 offset1:115
	v_add_f64 v[4:5], v[4:5], -v[84:85]
	s_waitcnt lgkmcnt(0)
	v_mul_f64 v[84:85], v[206:207], v[86:87]
	v_fma_f64 v[84:85], v[204:205], v[208:209], -v[84:85]
	v_mul_f64 v[204:205], v[204:205], v[86:87]
	v_fmac_f64_e32 v[204:205], v[206:207], v[208:209]
	v_add_f64 v[2:3], v[2:3], -v[204:205]
	ds_read2_b64 v[204:207], v202 offset0:116 offset1:117
	v_add_f64 v[0:1], v[0:1], -v[84:85]
	s_waitcnt lgkmcnt(0)
	v_mul_f64 v[84:85], v[206:207], v[86:87]
	v_fma_f64 v[84:85], v[204:205], v[208:209], -v[84:85]
	v_mul_f64 v[204:205], v[204:205], v[86:87]
	v_fmac_f64_e32 v[204:205], v[206:207], v[208:209]
	v_add_f64 v[232:233], v[232:233], -v[84:85]
	v_add_f64 v[234:235], v[234:235], -v[204:205]
	v_mov_b64_e32 v[84:85], v[208:209]
.LBB117_334:
	s_or_b64 exec, exec, s[2:3]
	v_cmp_eq_u32_e32 vcc, 37, v200
	s_waitcnt vmcnt(63) expcnt(7) lgkmcnt(15)
	s_barrier
	s_and_saveexec_b64 s[4:5], vcc
	s_cbranch_execz .LBB117_341
; %bb.335:
	ds_write2_b64 v201, v[80:81], v[82:83] offset1:1
	ds_write2_b64 v202, v[76:77], v[78:79] offset0:76 offset1:77
	ds_write2_b64 v202, v[72:73], v[74:75] offset0:78 offset1:79
	;; [unrolled: 1-line block ×9, first 2 shown]
	s_waitcnt vmcnt(62)
	ds_write2_b64 v202, v[40:41], v[42:43] offset0:94 offset1:95
	s_waitcnt vmcnt(61)
	ds_write2_b64 v202, v[36:37], v[38:39] offset0:96 offset1:97
	;; [unrolled: 2-line block ×5, first 2 shown]
	ds_write2_b64 v202, v[20:21], v[22:23] offset0:104 offset1:105
	ds_write2_b64 v202, v[16:17], v[18:19] offset0:106 offset1:107
	;; [unrolled: 1-line block ×5, first 2 shown]
	s_waitcnt vmcnt(57)
	ds_write2_b64 v202, v[0:1], v[2:3] offset0:114 offset1:115
	s_waitcnt vmcnt(54)
	ds_write2_b64 v202, v[232:233], v[234:235] offset0:116 offset1:117
	ds_read2_b64 v[208:211], v201 offset1:1
	s_waitcnt lgkmcnt(0)
	v_cmp_neq_f64_e32 vcc, 0, v[208:209]
	v_cmp_neq_f64_e64 s[2:3], 0, v[210:211]
	s_or_b64 s[2:3], vcc, s[2:3]
	s_and_b64 exec, exec, s[2:3]
	s_cbranch_execz .LBB117_341
; %bb.336:
	v_cmp_ngt_f64_e64 s[2:3], |v[208:209]|, |v[210:211]|
                                        ; implicit-def: $vgpr204_vgpr205
	s_and_saveexec_b64 s[10:11], s[2:3]
	s_xor_b64 s[2:3], exec, s[10:11]
                                        ; implicit-def: $vgpr206_vgpr207
	s_cbranch_execz .LBB117_338
; %bb.337:
	v_div_scale_f64 v[204:205], s[10:11], v[210:211], v[210:211], v[208:209]
	v_rcp_f64_e32 v[206:207], v[204:205]
	v_div_scale_f64 v[212:213], vcc, v[208:209], v[210:211], v[208:209]
	v_fma_f64 v[214:215], -v[204:205], v[206:207], 1.0
	v_fmac_f64_e32 v[206:207], v[206:207], v[214:215]
	v_fma_f64 v[214:215], -v[204:205], v[206:207], 1.0
	v_fmac_f64_e32 v[206:207], v[206:207], v[214:215]
	v_mul_f64 v[214:215], v[212:213], v[206:207]
	v_fma_f64 v[204:205], -v[204:205], v[214:215], v[212:213]
	v_div_fmas_f64 v[204:205], v[204:205], v[206:207], v[214:215]
	v_div_fixup_f64 v[204:205], v[204:205], v[210:211], v[208:209]
	v_fmac_f64_e32 v[210:211], v[208:209], v[204:205]
	v_div_scale_f64 v[206:207], s[10:11], v[210:211], v[210:211], 1.0
	v_rcp_f64_e32 v[208:209], v[206:207]
	s_nop 0
	v_fma_f64 v[212:213], -v[206:207], v[208:209], 1.0
	v_fmac_f64_e32 v[208:209], v[208:209], v[212:213]
	v_fma_f64 v[212:213], -v[206:207], v[208:209], 1.0
	v_fmac_f64_e32 v[208:209], v[208:209], v[212:213]
	v_div_scale_f64 v[212:213], vcc, 1.0, v[210:211], 1.0
	v_mul_f64 v[214:215], v[212:213], v[208:209]
	v_fma_f64 v[206:207], -v[206:207], v[214:215], v[212:213]
	s_nop 1
	v_div_fmas_f64 v[206:207], v[206:207], v[208:209], v[214:215]
	v_div_fixup_f64 v[206:207], v[206:207], v[210:211], 1.0
	v_mul_f64 v[204:205], v[204:205], v[206:207]
	v_xor_b32_e32 v207, 0x80000000, v207
                                        ; implicit-def: $vgpr208_vgpr209
.LBB117_338:
	s_andn2_saveexec_b64 s[2:3], s[2:3]
	s_cbranch_execz .LBB117_340
; %bb.339:
	v_div_scale_f64 v[204:205], s[10:11], v[208:209], v[208:209], v[210:211]
	v_rcp_f64_e32 v[206:207], v[204:205]
	v_div_scale_f64 v[212:213], vcc, v[210:211], v[208:209], v[210:211]
	v_fma_f64 v[214:215], -v[204:205], v[206:207], 1.0
	v_fmac_f64_e32 v[206:207], v[206:207], v[214:215]
	v_fma_f64 v[214:215], -v[204:205], v[206:207], 1.0
	v_fmac_f64_e32 v[206:207], v[206:207], v[214:215]
	v_mul_f64 v[214:215], v[212:213], v[206:207]
	v_fma_f64 v[204:205], -v[204:205], v[214:215], v[212:213]
	v_div_fmas_f64 v[204:205], v[204:205], v[206:207], v[214:215]
	v_div_fixup_f64 v[206:207], v[204:205], v[208:209], v[210:211]
	v_fmac_f64_e32 v[208:209], v[210:211], v[206:207]
	v_div_scale_f64 v[204:205], s[10:11], v[208:209], v[208:209], 1.0
	v_rcp_f64_e32 v[210:211], v[204:205]
	s_nop 0
	v_fma_f64 v[212:213], -v[204:205], v[210:211], 1.0
	v_fmac_f64_e32 v[210:211], v[210:211], v[212:213]
	v_fma_f64 v[212:213], -v[204:205], v[210:211], 1.0
	v_fmac_f64_e32 v[210:211], v[210:211], v[212:213]
	v_div_scale_f64 v[212:213], vcc, 1.0, v[208:209], 1.0
	v_mul_f64 v[214:215], v[212:213], v[210:211]
	v_fma_f64 v[204:205], -v[204:205], v[214:215], v[212:213]
	s_nop 1
	v_div_fmas_f64 v[204:205], v[204:205], v[210:211], v[214:215]
	v_div_fixup_f64 v[204:205], v[204:205], v[208:209], 1.0
	v_mul_f64 v[206:207], v[206:207], -v[204:205]
.LBB117_340:
	s_or_b64 exec, exec, s[2:3]
	ds_write2_b64 v201, v[204:205], v[206:207] offset1:1
.LBB117_341:
	s_or_b64 exec, exec, s[4:5]
	s_waitcnt lgkmcnt(0)
	s_barrier
	ds_read2_b64 v[192:195], v201 offset1:1
	v_cmp_lt_u32_e32 vcc, 37, v200
	s_waitcnt lgkmcnt(0)
	scratch_store_dwordx4 off, v[192:195], off offset:1208 ; 16-byte Folded Spill
	s_and_saveexec_b64 s[2:3], vcc
	s_cbranch_execz .LBB117_343
; %bb.342:
	scratch_load_dwordx4 v[192:195], off, off offset:1208 ; 16-byte Folded Reload
	s_waitcnt vmcnt(0)
	v_mul_f64 v[204:205], v[194:195], v[82:83]
	v_fma_f64 v[208:209], v[192:193], v[80:81], -v[204:205]
	ds_read2_b64 v[204:207], v202 offset0:76 offset1:77
	v_mul_f64 v[82:83], v[192:193], v[82:83]
	v_fmac_f64_e32 v[82:83], v[194:195], v[80:81]
	s_waitcnt lgkmcnt(0)
	v_mul_f64 v[80:81], v[206:207], v[82:83]
	v_fma_f64 v[80:81], v[204:205], v[208:209], -v[80:81]
	v_mul_f64 v[204:205], v[204:205], v[82:83]
	v_fmac_f64_e32 v[204:205], v[206:207], v[208:209]
	v_add_f64 v[78:79], v[78:79], -v[204:205]
	ds_read2_b64 v[204:207], v202 offset0:78 offset1:79
	v_add_f64 v[76:77], v[76:77], -v[80:81]
	s_waitcnt lgkmcnt(0)
	v_mul_f64 v[80:81], v[206:207], v[82:83]
	v_fma_f64 v[80:81], v[204:205], v[208:209], -v[80:81]
	v_mul_f64 v[204:205], v[204:205], v[82:83]
	v_fmac_f64_e32 v[204:205], v[206:207], v[208:209]
	v_add_f64 v[74:75], v[74:75], -v[204:205]
	ds_read2_b64 v[204:207], v202 offset0:80 offset1:81
	v_add_f64 v[72:73], v[72:73], -v[80:81]
	;; [unrolled: 8-line block ×20, first 2 shown]
	s_waitcnt lgkmcnt(0)
	v_mul_f64 v[80:81], v[206:207], v[82:83]
	v_fma_f64 v[80:81], v[204:205], v[208:209], -v[80:81]
	v_mul_f64 v[204:205], v[204:205], v[82:83]
	v_fmac_f64_e32 v[204:205], v[206:207], v[208:209]
	v_add_f64 v[232:233], v[232:233], -v[80:81]
	v_add_f64 v[234:235], v[234:235], -v[204:205]
	v_mov_b64_e32 v[80:81], v[208:209]
.LBB117_343:
	s_or_b64 exec, exec, s[2:3]
	v_cmp_eq_u32_e32 vcc, 38, v200
	s_waitcnt vmcnt(63) expcnt(7) lgkmcnt(15)
	s_barrier
	s_and_saveexec_b64 s[4:5], vcc
	s_cbranch_execz .LBB117_350
; %bb.344:
	ds_write2_b64 v201, v[76:77], v[78:79] offset1:1
	ds_write2_b64 v202, v[72:73], v[74:75] offset0:78 offset1:79
	ds_write2_b64 v202, v[68:69], v[70:71] offset0:80 offset1:81
	;; [unrolled: 1-line block ×9, first 2 shown]
	s_waitcnt vmcnt(62)
	ds_write2_b64 v202, v[36:37], v[38:39] offset0:96 offset1:97
	s_waitcnt vmcnt(61)
	ds_write2_b64 v202, v[32:33], v[34:35] offset0:98 offset1:99
	;; [unrolled: 2-line block ×4, first 2 shown]
	ds_write2_b64 v202, v[20:21], v[22:23] offset0:104 offset1:105
	ds_write2_b64 v202, v[16:17], v[18:19] offset0:106 offset1:107
	;; [unrolled: 1-line block ×5, first 2 shown]
	s_waitcnt vmcnt(58)
	ds_write2_b64 v202, v[0:1], v[2:3] offset0:114 offset1:115
	s_waitcnt vmcnt(55)
	ds_write2_b64 v202, v[232:233], v[234:235] offset0:116 offset1:117
	ds_read2_b64 v[208:211], v201 offset1:1
	s_waitcnt lgkmcnt(0)
	v_cmp_neq_f64_e32 vcc, 0, v[208:209]
	v_cmp_neq_f64_e64 s[2:3], 0, v[210:211]
	s_or_b64 s[2:3], vcc, s[2:3]
	s_and_b64 exec, exec, s[2:3]
	s_cbranch_execz .LBB117_350
; %bb.345:
	v_cmp_ngt_f64_e64 s[2:3], |v[208:209]|, |v[210:211]|
                                        ; implicit-def: $vgpr204_vgpr205
	s_and_saveexec_b64 s[10:11], s[2:3]
	s_xor_b64 s[2:3], exec, s[10:11]
                                        ; implicit-def: $vgpr206_vgpr207
	s_cbranch_execz .LBB117_347
; %bb.346:
	v_div_scale_f64 v[204:205], s[10:11], v[210:211], v[210:211], v[208:209]
	v_rcp_f64_e32 v[206:207], v[204:205]
	v_div_scale_f64 v[212:213], vcc, v[208:209], v[210:211], v[208:209]
	v_fma_f64 v[214:215], -v[204:205], v[206:207], 1.0
	v_fmac_f64_e32 v[206:207], v[206:207], v[214:215]
	v_fma_f64 v[214:215], -v[204:205], v[206:207], 1.0
	v_fmac_f64_e32 v[206:207], v[206:207], v[214:215]
	v_mul_f64 v[214:215], v[212:213], v[206:207]
	v_fma_f64 v[204:205], -v[204:205], v[214:215], v[212:213]
	v_div_fmas_f64 v[204:205], v[204:205], v[206:207], v[214:215]
	v_div_fixup_f64 v[204:205], v[204:205], v[210:211], v[208:209]
	v_fmac_f64_e32 v[210:211], v[208:209], v[204:205]
	v_div_scale_f64 v[206:207], s[10:11], v[210:211], v[210:211], 1.0
	v_rcp_f64_e32 v[208:209], v[206:207]
	s_nop 0
	v_fma_f64 v[212:213], -v[206:207], v[208:209], 1.0
	v_fmac_f64_e32 v[208:209], v[208:209], v[212:213]
	v_fma_f64 v[212:213], -v[206:207], v[208:209], 1.0
	v_fmac_f64_e32 v[208:209], v[208:209], v[212:213]
	v_div_scale_f64 v[212:213], vcc, 1.0, v[210:211], 1.0
	v_mul_f64 v[214:215], v[212:213], v[208:209]
	v_fma_f64 v[206:207], -v[206:207], v[214:215], v[212:213]
	s_nop 1
	v_div_fmas_f64 v[206:207], v[206:207], v[208:209], v[214:215]
	v_div_fixup_f64 v[206:207], v[206:207], v[210:211], 1.0
	v_mul_f64 v[204:205], v[204:205], v[206:207]
	v_xor_b32_e32 v207, 0x80000000, v207
                                        ; implicit-def: $vgpr208_vgpr209
.LBB117_347:
	s_andn2_saveexec_b64 s[2:3], s[2:3]
	s_cbranch_execz .LBB117_349
; %bb.348:
	v_div_scale_f64 v[204:205], s[10:11], v[208:209], v[208:209], v[210:211]
	v_rcp_f64_e32 v[206:207], v[204:205]
	v_div_scale_f64 v[212:213], vcc, v[210:211], v[208:209], v[210:211]
	v_fma_f64 v[214:215], -v[204:205], v[206:207], 1.0
	v_fmac_f64_e32 v[206:207], v[206:207], v[214:215]
	v_fma_f64 v[214:215], -v[204:205], v[206:207], 1.0
	v_fmac_f64_e32 v[206:207], v[206:207], v[214:215]
	v_mul_f64 v[214:215], v[212:213], v[206:207]
	v_fma_f64 v[204:205], -v[204:205], v[214:215], v[212:213]
	v_div_fmas_f64 v[204:205], v[204:205], v[206:207], v[214:215]
	v_div_fixup_f64 v[206:207], v[204:205], v[208:209], v[210:211]
	v_fmac_f64_e32 v[208:209], v[210:211], v[206:207]
	v_div_scale_f64 v[204:205], s[10:11], v[208:209], v[208:209], 1.0
	v_rcp_f64_e32 v[210:211], v[204:205]
	s_nop 0
	v_fma_f64 v[212:213], -v[204:205], v[210:211], 1.0
	v_fmac_f64_e32 v[210:211], v[210:211], v[212:213]
	v_fma_f64 v[212:213], -v[204:205], v[210:211], 1.0
	v_fmac_f64_e32 v[210:211], v[210:211], v[212:213]
	v_div_scale_f64 v[212:213], vcc, 1.0, v[208:209], 1.0
	v_mul_f64 v[214:215], v[212:213], v[210:211]
	v_fma_f64 v[204:205], -v[204:205], v[214:215], v[212:213]
	s_nop 1
	v_div_fmas_f64 v[204:205], v[204:205], v[210:211], v[214:215]
	v_div_fixup_f64 v[204:205], v[204:205], v[208:209], 1.0
	v_mul_f64 v[206:207], v[206:207], -v[204:205]
.LBB117_349:
	s_or_b64 exec, exec, s[2:3]
	ds_write2_b64 v201, v[204:205], v[206:207] offset1:1
.LBB117_350:
	s_or_b64 exec, exec, s[4:5]
	s_waitcnt lgkmcnt(0)
	s_barrier
	ds_read2_b64 v[192:195], v201 offset1:1
	v_cmp_lt_u32_e32 vcc, 38, v200
	s_waitcnt lgkmcnt(0)
	scratch_store_dwordx4 off, v[192:195], off offset:1224 ; 16-byte Folded Spill
	s_and_saveexec_b64 s[2:3], vcc
	s_cbranch_execz .LBB117_352
; %bb.351:
	scratch_load_dwordx4 v[192:195], off, off offset:1224 ; 16-byte Folded Reload
	s_waitcnt vmcnt(0)
	v_mul_f64 v[204:205], v[194:195], v[78:79]
	v_fma_f64 v[208:209], v[192:193], v[76:77], -v[204:205]
	ds_read2_b64 v[204:207], v202 offset0:78 offset1:79
	v_mul_f64 v[78:79], v[192:193], v[78:79]
	v_fmac_f64_e32 v[78:79], v[194:195], v[76:77]
	s_waitcnt lgkmcnt(0)
	v_mul_f64 v[76:77], v[206:207], v[78:79]
	v_fma_f64 v[76:77], v[204:205], v[208:209], -v[76:77]
	v_mul_f64 v[204:205], v[204:205], v[78:79]
	v_fmac_f64_e32 v[204:205], v[206:207], v[208:209]
	v_add_f64 v[74:75], v[74:75], -v[204:205]
	ds_read2_b64 v[204:207], v202 offset0:80 offset1:81
	v_add_f64 v[72:73], v[72:73], -v[76:77]
	s_waitcnt lgkmcnt(0)
	v_mul_f64 v[76:77], v[206:207], v[78:79]
	v_fma_f64 v[76:77], v[204:205], v[208:209], -v[76:77]
	v_mul_f64 v[204:205], v[204:205], v[78:79]
	v_fmac_f64_e32 v[204:205], v[206:207], v[208:209]
	v_add_f64 v[70:71], v[70:71], -v[204:205]
	ds_read2_b64 v[204:207], v202 offset0:82 offset1:83
	v_add_f64 v[68:69], v[68:69], -v[76:77]
	;; [unrolled: 8-line block ×19, first 2 shown]
	s_waitcnt lgkmcnt(0)
	v_mul_f64 v[76:77], v[206:207], v[78:79]
	v_fma_f64 v[76:77], v[204:205], v[208:209], -v[76:77]
	v_mul_f64 v[204:205], v[204:205], v[78:79]
	v_fmac_f64_e32 v[204:205], v[206:207], v[208:209]
	v_add_f64 v[232:233], v[232:233], -v[76:77]
	v_add_f64 v[234:235], v[234:235], -v[204:205]
	v_mov_b64_e32 v[76:77], v[208:209]
.LBB117_352:
	s_or_b64 exec, exec, s[2:3]
	v_cmp_eq_u32_e32 vcc, 39, v200
	s_waitcnt vmcnt(63) expcnt(7) lgkmcnt(15)
	s_barrier
	s_and_saveexec_b64 s[4:5], vcc
	s_cbranch_execz .LBB117_359
; %bb.353:
	ds_write2_b64 v201, v[72:73], v[74:75] offset1:1
	ds_write2_b64 v202, v[68:69], v[70:71] offset0:80 offset1:81
	ds_write2_b64 v202, v[64:65], v[66:67] offset0:82 offset1:83
	ds_write2_b64 v202, v[60:61], v[62:63] offset0:84 offset1:85
	ds_write2_b64 v202, v[56:57], v[58:59] offset0:86 offset1:87
	ds_write2_b64 v202, v[52:53], v[54:55] offset0:88 offset1:89
	ds_write2_b64 v202, v[48:49], v[50:51] offset0:90 offset1:91
	ds_write2_b64 v202, v[44:45], v[46:47] offset0:92 offset1:93
	ds_write2_b64 v202, v[40:41], v[42:43] offset0:94 offset1:95
	ds_write2_b64 v202, v[36:37], v[38:39] offset0:96 offset1:97
	s_waitcnt vmcnt(62)
	ds_write2_b64 v202, v[32:33], v[34:35] offset0:98 offset1:99
	s_waitcnt vmcnt(61)
	ds_write2_b64 v202, v[28:29], v[30:31] offset0:100 offset1:101
	;; [unrolled: 2-line block ×3, first 2 shown]
	ds_write2_b64 v202, v[20:21], v[22:23] offset0:104 offset1:105
	ds_write2_b64 v202, v[16:17], v[18:19] offset0:106 offset1:107
	;; [unrolled: 1-line block ×5, first 2 shown]
	s_waitcnt vmcnt(59)
	ds_write2_b64 v202, v[0:1], v[2:3] offset0:114 offset1:115
	s_waitcnt vmcnt(56)
	ds_write2_b64 v202, v[232:233], v[234:235] offset0:116 offset1:117
	ds_read2_b64 v[208:211], v201 offset1:1
	s_waitcnt lgkmcnt(0)
	v_cmp_neq_f64_e32 vcc, 0, v[208:209]
	v_cmp_neq_f64_e64 s[2:3], 0, v[210:211]
	s_or_b64 s[2:3], vcc, s[2:3]
	s_and_b64 exec, exec, s[2:3]
	s_cbranch_execz .LBB117_359
; %bb.354:
	v_cmp_ngt_f64_e64 s[2:3], |v[208:209]|, |v[210:211]|
                                        ; implicit-def: $vgpr204_vgpr205
	s_and_saveexec_b64 s[10:11], s[2:3]
	s_xor_b64 s[2:3], exec, s[10:11]
                                        ; implicit-def: $vgpr206_vgpr207
	s_cbranch_execz .LBB117_356
; %bb.355:
	v_div_scale_f64 v[204:205], s[10:11], v[210:211], v[210:211], v[208:209]
	v_rcp_f64_e32 v[206:207], v[204:205]
	v_div_scale_f64 v[212:213], vcc, v[208:209], v[210:211], v[208:209]
	v_fma_f64 v[214:215], -v[204:205], v[206:207], 1.0
	v_fmac_f64_e32 v[206:207], v[206:207], v[214:215]
	v_fma_f64 v[214:215], -v[204:205], v[206:207], 1.0
	v_fmac_f64_e32 v[206:207], v[206:207], v[214:215]
	v_mul_f64 v[214:215], v[212:213], v[206:207]
	v_fma_f64 v[204:205], -v[204:205], v[214:215], v[212:213]
	v_div_fmas_f64 v[204:205], v[204:205], v[206:207], v[214:215]
	v_div_fixup_f64 v[204:205], v[204:205], v[210:211], v[208:209]
	v_fmac_f64_e32 v[210:211], v[208:209], v[204:205]
	v_div_scale_f64 v[206:207], s[10:11], v[210:211], v[210:211], 1.0
	v_rcp_f64_e32 v[208:209], v[206:207]
	s_nop 0
	v_fma_f64 v[212:213], -v[206:207], v[208:209], 1.0
	v_fmac_f64_e32 v[208:209], v[208:209], v[212:213]
	v_fma_f64 v[212:213], -v[206:207], v[208:209], 1.0
	v_fmac_f64_e32 v[208:209], v[208:209], v[212:213]
	v_div_scale_f64 v[212:213], vcc, 1.0, v[210:211], 1.0
	v_mul_f64 v[214:215], v[212:213], v[208:209]
	v_fma_f64 v[206:207], -v[206:207], v[214:215], v[212:213]
	s_nop 1
	v_div_fmas_f64 v[206:207], v[206:207], v[208:209], v[214:215]
	v_div_fixup_f64 v[206:207], v[206:207], v[210:211], 1.0
	v_mul_f64 v[204:205], v[204:205], v[206:207]
	v_xor_b32_e32 v207, 0x80000000, v207
                                        ; implicit-def: $vgpr208_vgpr209
.LBB117_356:
	s_andn2_saveexec_b64 s[2:3], s[2:3]
	s_cbranch_execz .LBB117_358
; %bb.357:
	v_div_scale_f64 v[204:205], s[10:11], v[208:209], v[208:209], v[210:211]
	v_rcp_f64_e32 v[206:207], v[204:205]
	v_div_scale_f64 v[212:213], vcc, v[210:211], v[208:209], v[210:211]
	v_fma_f64 v[214:215], -v[204:205], v[206:207], 1.0
	v_fmac_f64_e32 v[206:207], v[206:207], v[214:215]
	v_fma_f64 v[214:215], -v[204:205], v[206:207], 1.0
	v_fmac_f64_e32 v[206:207], v[206:207], v[214:215]
	v_mul_f64 v[214:215], v[212:213], v[206:207]
	v_fma_f64 v[204:205], -v[204:205], v[214:215], v[212:213]
	v_div_fmas_f64 v[204:205], v[204:205], v[206:207], v[214:215]
	v_div_fixup_f64 v[206:207], v[204:205], v[208:209], v[210:211]
	v_fmac_f64_e32 v[208:209], v[210:211], v[206:207]
	v_div_scale_f64 v[204:205], s[10:11], v[208:209], v[208:209], 1.0
	v_rcp_f64_e32 v[210:211], v[204:205]
	s_nop 0
	v_fma_f64 v[212:213], -v[204:205], v[210:211], 1.0
	v_fmac_f64_e32 v[210:211], v[210:211], v[212:213]
	v_fma_f64 v[212:213], -v[204:205], v[210:211], 1.0
	v_fmac_f64_e32 v[210:211], v[210:211], v[212:213]
	v_div_scale_f64 v[212:213], vcc, 1.0, v[208:209], 1.0
	v_mul_f64 v[214:215], v[212:213], v[210:211]
	v_fma_f64 v[204:205], -v[204:205], v[214:215], v[212:213]
	s_nop 1
	v_div_fmas_f64 v[204:205], v[204:205], v[210:211], v[214:215]
	v_div_fixup_f64 v[204:205], v[204:205], v[208:209], 1.0
	v_mul_f64 v[206:207], v[206:207], -v[204:205]
.LBB117_358:
	s_or_b64 exec, exec, s[2:3]
	ds_write2_b64 v201, v[204:205], v[206:207] offset1:1
.LBB117_359:
	s_or_b64 exec, exec, s[4:5]
	s_waitcnt lgkmcnt(0)
	s_barrier
	ds_read2_b64 v[192:195], v201 offset1:1
	v_cmp_lt_u32_e32 vcc, 39, v200
	s_waitcnt lgkmcnt(0)
	scratch_store_dwordx4 off, v[192:195], off offset:1240 ; 16-byte Folded Spill
	s_and_saveexec_b64 s[2:3], vcc
	s_cbranch_execz .LBB117_361
; %bb.360:
	scratch_load_dwordx4 v[192:195], off, off offset:1240 ; 16-byte Folded Reload
	s_waitcnt vmcnt(0)
	v_mul_f64 v[204:205], v[194:195], v[74:75]
	v_fma_f64 v[208:209], v[192:193], v[72:73], -v[204:205]
	ds_read2_b64 v[204:207], v202 offset0:80 offset1:81
	v_mul_f64 v[74:75], v[192:193], v[74:75]
	v_fmac_f64_e32 v[74:75], v[194:195], v[72:73]
	s_waitcnt lgkmcnt(0)
	v_mul_f64 v[72:73], v[206:207], v[74:75]
	v_fma_f64 v[72:73], v[204:205], v[208:209], -v[72:73]
	v_mul_f64 v[204:205], v[204:205], v[74:75]
	v_fmac_f64_e32 v[204:205], v[206:207], v[208:209]
	v_add_f64 v[70:71], v[70:71], -v[204:205]
	ds_read2_b64 v[204:207], v202 offset0:82 offset1:83
	v_add_f64 v[68:69], v[68:69], -v[72:73]
	s_waitcnt lgkmcnt(0)
	v_mul_f64 v[72:73], v[206:207], v[74:75]
	v_fma_f64 v[72:73], v[204:205], v[208:209], -v[72:73]
	v_mul_f64 v[204:205], v[204:205], v[74:75]
	v_fmac_f64_e32 v[204:205], v[206:207], v[208:209]
	v_add_f64 v[66:67], v[66:67], -v[204:205]
	ds_read2_b64 v[204:207], v202 offset0:84 offset1:85
	v_add_f64 v[64:65], v[64:65], -v[72:73]
	;; [unrolled: 8-line block ×18, first 2 shown]
	s_waitcnt lgkmcnt(0)
	v_mul_f64 v[72:73], v[206:207], v[74:75]
	v_fma_f64 v[72:73], v[204:205], v[208:209], -v[72:73]
	v_mul_f64 v[204:205], v[204:205], v[74:75]
	v_fmac_f64_e32 v[204:205], v[206:207], v[208:209]
	v_add_f64 v[232:233], v[232:233], -v[72:73]
	v_add_f64 v[234:235], v[234:235], -v[204:205]
	v_mov_b64_e32 v[72:73], v[208:209]
.LBB117_361:
	s_or_b64 exec, exec, s[2:3]
	v_cmp_eq_u32_e32 vcc, 40, v200
	s_waitcnt vmcnt(63) expcnt(7) lgkmcnt(15)
	s_barrier
	s_and_saveexec_b64 s[4:5], vcc
	s_cbranch_execz .LBB117_368
; %bb.362:
	ds_write2_b64 v201, v[68:69], v[70:71] offset1:1
	ds_write2_b64 v202, v[64:65], v[66:67] offset0:82 offset1:83
	ds_write2_b64 v202, v[60:61], v[62:63] offset0:84 offset1:85
	;; [unrolled: 1-line block ×9, first 2 shown]
	s_waitcnt vmcnt(62)
	ds_write2_b64 v202, v[28:29], v[30:31] offset0:100 offset1:101
	s_waitcnt vmcnt(61)
	ds_write2_b64 v202, v[24:25], v[26:27] offset0:102 offset1:103
	ds_write2_b64 v202, v[20:21], v[22:23] offset0:104 offset1:105
	;; [unrolled: 1-line block ×6, first 2 shown]
	s_waitcnt vmcnt(60)
	ds_write2_b64 v202, v[0:1], v[2:3] offset0:114 offset1:115
	s_waitcnt vmcnt(57)
	ds_write2_b64 v202, v[232:233], v[234:235] offset0:116 offset1:117
	ds_read2_b64 v[208:211], v201 offset1:1
	s_waitcnt lgkmcnt(0)
	v_cmp_neq_f64_e32 vcc, 0, v[208:209]
	v_cmp_neq_f64_e64 s[2:3], 0, v[210:211]
	s_or_b64 s[2:3], vcc, s[2:3]
	s_and_b64 exec, exec, s[2:3]
	s_cbranch_execz .LBB117_368
; %bb.363:
	v_cmp_ngt_f64_e64 s[2:3], |v[208:209]|, |v[210:211]|
                                        ; implicit-def: $vgpr204_vgpr205
	s_and_saveexec_b64 s[10:11], s[2:3]
	s_xor_b64 s[2:3], exec, s[10:11]
                                        ; implicit-def: $vgpr206_vgpr207
	s_cbranch_execz .LBB117_365
; %bb.364:
	v_div_scale_f64 v[204:205], s[10:11], v[210:211], v[210:211], v[208:209]
	v_rcp_f64_e32 v[206:207], v[204:205]
	v_div_scale_f64 v[212:213], vcc, v[208:209], v[210:211], v[208:209]
	v_fma_f64 v[214:215], -v[204:205], v[206:207], 1.0
	v_fmac_f64_e32 v[206:207], v[206:207], v[214:215]
	v_fma_f64 v[214:215], -v[204:205], v[206:207], 1.0
	v_fmac_f64_e32 v[206:207], v[206:207], v[214:215]
	v_mul_f64 v[214:215], v[212:213], v[206:207]
	v_fma_f64 v[204:205], -v[204:205], v[214:215], v[212:213]
	v_div_fmas_f64 v[204:205], v[204:205], v[206:207], v[214:215]
	v_div_fixup_f64 v[204:205], v[204:205], v[210:211], v[208:209]
	v_fmac_f64_e32 v[210:211], v[208:209], v[204:205]
	v_div_scale_f64 v[206:207], s[10:11], v[210:211], v[210:211], 1.0
	v_rcp_f64_e32 v[208:209], v[206:207]
	s_nop 0
	v_fma_f64 v[212:213], -v[206:207], v[208:209], 1.0
	v_fmac_f64_e32 v[208:209], v[208:209], v[212:213]
	v_fma_f64 v[212:213], -v[206:207], v[208:209], 1.0
	v_fmac_f64_e32 v[208:209], v[208:209], v[212:213]
	v_div_scale_f64 v[212:213], vcc, 1.0, v[210:211], 1.0
	v_mul_f64 v[214:215], v[212:213], v[208:209]
	v_fma_f64 v[206:207], -v[206:207], v[214:215], v[212:213]
	s_nop 1
	v_div_fmas_f64 v[206:207], v[206:207], v[208:209], v[214:215]
	v_div_fixup_f64 v[206:207], v[206:207], v[210:211], 1.0
	v_mul_f64 v[204:205], v[204:205], v[206:207]
	v_xor_b32_e32 v207, 0x80000000, v207
                                        ; implicit-def: $vgpr208_vgpr209
.LBB117_365:
	s_andn2_saveexec_b64 s[2:3], s[2:3]
	s_cbranch_execz .LBB117_367
; %bb.366:
	v_div_scale_f64 v[204:205], s[10:11], v[208:209], v[208:209], v[210:211]
	v_rcp_f64_e32 v[206:207], v[204:205]
	v_div_scale_f64 v[212:213], vcc, v[210:211], v[208:209], v[210:211]
	v_fma_f64 v[214:215], -v[204:205], v[206:207], 1.0
	v_fmac_f64_e32 v[206:207], v[206:207], v[214:215]
	v_fma_f64 v[214:215], -v[204:205], v[206:207], 1.0
	v_fmac_f64_e32 v[206:207], v[206:207], v[214:215]
	v_mul_f64 v[214:215], v[212:213], v[206:207]
	v_fma_f64 v[204:205], -v[204:205], v[214:215], v[212:213]
	v_div_fmas_f64 v[204:205], v[204:205], v[206:207], v[214:215]
	v_div_fixup_f64 v[206:207], v[204:205], v[208:209], v[210:211]
	v_fmac_f64_e32 v[208:209], v[210:211], v[206:207]
	v_div_scale_f64 v[204:205], s[10:11], v[208:209], v[208:209], 1.0
	v_rcp_f64_e32 v[210:211], v[204:205]
	s_nop 0
	v_fma_f64 v[212:213], -v[204:205], v[210:211], 1.0
	v_fmac_f64_e32 v[210:211], v[210:211], v[212:213]
	v_fma_f64 v[212:213], -v[204:205], v[210:211], 1.0
	v_fmac_f64_e32 v[210:211], v[210:211], v[212:213]
	v_div_scale_f64 v[212:213], vcc, 1.0, v[208:209], 1.0
	v_mul_f64 v[214:215], v[212:213], v[210:211]
	v_fma_f64 v[204:205], -v[204:205], v[214:215], v[212:213]
	s_nop 1
	v_div_fmas_f64 v[204:205], v[204:205], v[210:211], v[214:215]
	v_div_fixup_f64 v[204:205], v[204:205], v[208:209], 1.0
	v_mul_f64 v[206:207], v[206:207], -v[204:205]
.LBB117_367:
	s_or_b64 exec, exec, s[2:3]
	ds_write2_b64 v201, v[204:205], v[206:207] offset1:1
.LBB117_368:
	s_or_b64 exec, exec, s[4:5]
	s_waitcnt lgkmcnt(0)
	s_barrier
	ds_read2_b64 v[192:195], v201 offset1:1
	v_cmp_lt_u32_e32 vcc, 40, v200
	s_waitcnt lgkmcnt(0)
	scratch_store_dwordx4 off, v[192:195], off offset:1256 ; 16-byte Folded Spill
	s_and_saveexec_b64 s[2:3], vcc
	s_cbranch_execz .LBB117_370
; %bb.369:
	scratch_load_dwordx4 v[192:195], off, off offset:1256 ; 16-byte Folded Reload
	s_waitcnt vmcnt(0)
	v_mul_f64 v[204:205], v[194:195], v[70:71]
	v_fma_f64 v[208:209], v[192:193], v[68:69], -v[204:205]
	ds_read2_b64 v[204:207], v202 offset0:82 offset1:83
	v_mul_f64 v[70:71], v[192:193], v[70:71]
	v_fmac_f64_e32 v[70:71], v[194:195], v[68:69]
	s_waitcnt lgkmcnt(0)
	v_mul_f64 v[68:69], v[206:207], v[70:71]
	v_fma_f64 v[68:69], v[204:205], v[208:209], -v[68:69]
	v_mul_f64 v[204:205], v[204:205], v[70:71]
	v_fmac_f64_e32 v[204:205], v[206:207], v[208:209]
	v_add_f64 v[66:67], v[66:67], -v[204:205]
	ds_read2_b64 v[204:207], v202 offset0:84 offset1:85
	v_add_f64 v[64:65], v[64:65], -v[68:69]
	s_waitcnt lgkmcnt(0)
	v_mul_f64 v[68:69], v[206:207], v[70:71]
	v_fma_f64 v[68:69], v[204:205], v[208:209], -v[68:69]
	v_mul_f64 v[204:205], v[204:205], v[70:71]
	v_fmac_f64_e32 v[204:205], v[206:207], v[208:209]
	v_add_f64 v[62:63], v[62:63], -v[204:205]
	ds_read2_b64 v[204:207], v202 offset0:86 offset1:87
	v_add_f64 v[60:61], v[60:61], -v[68:69]
	;; [unrolled: 8-line block ×17, first 2 shown]
	s_waitcnt lgkmcnt(0)
	v_mul_f64 v[68:69], v[206:207], v[70:71]
	v_fma_f64 v[68:69], v[204:205], v[208:209], -v[68:69]
	v_mul_f64 v[204:205], v[204:205], v[70:71]
	v_fmac_f64_e32 v[204:205], v[206:207], v[208:209]
	v_add_f64 v[232:233], v[232:233], -v[68:69]
	v_add_f64 v[234:235], v[234:235], -v[204:205]
	v_mov_b64_e32 v[68:69], v[208:209]
.LBB117_370:
	s_or_b64 exec, exec, s[2:3]
	v_cmp_eq_u32_e32 vcc, 41, v200
	s_waitcnt vmcnt(63) expcnt(7) lgkmcnt(15)
	s_barrier
	s_and_saveexec_b64 s[4:5], vcc
	s_cbranch_execz .LBB117_377
; %bb.371:
	ds_write2_b64 v201, v[64:65], v[66:67] offset1:1
	ds_write2_b64 v202, v[60:61], v[62:63] offset0:84 offset1:85
	ds_write2_b64 v202, v[56:57], v[58:59] offset0:86 offset1:87
	;; [unrolled: 1-line block ×9, first 2 shown]
	s_waitcnt vmcnt(62)
	ds_write2_b64 v202, v[24:25], v[26:27] offset0:102 offset1:103
	ds_write2_b64 v202, v[20:21], v[22:23] offset0:104 offset1:105
	;; [unrolled: 1-line block ×6, first 2 shown]
	s_waitcnt vmcnt(61)
	ds_write2_b64 v202, v[0:1], v[2:3] offset0:114 offset1:115
	s_waitcnt vmcnt(58)
	ds_write2_b64 v202, v[232:233], v[234:235] offset0:116 offset1:117
	ds_read2_b64 v[208:211], v201 offset1:1
	s_waitcnt lgkmcnt(0)
	v_cmp_neq_f64_e32 vcc, 0, v[208:209]
	v_cmp_neq_f64_e64 s[2:3], 0, v[210:211]
	s_or_b64 s[2:3], vcc, s[2:3]
	s_and_b64 exec, exec, s[2:3]
	s_cbranch_execz .LBB117_377
; %bb.372:
	v_cmp_ngt_f64_e64 s[2:3], |v[208:209]|, |v[210:211]|
                                        ; implicit-def: $vgpr204_vgpr205
	s_and_saveexec_b64 s[10:11], s[2:3]
	s_xor_b64 s[2:3], exec, s[10:11]
                                        ; implicit-def: $vgpr206_vgpr207
	s_cbranch_execz .LBB117_374
; %bb.373:
	v_div_scale_f64 v[204:205], s[10:11], v[210:211], v[210:211], v[208:209]
	v_rcp_f64_e32 v[206:207], v[204:205]
	v_div_scale_f64 v[212:213], vcc, v[208:209], v[210:211], v[208:209]
	v_fma_f64 v[214:215], -v[204:205], v[206:207], 1.0
	v_fmac_f64_e32 v[206:207], v[206:207], v[214:215]
	v_fma_f64 v[214:215], -v[204:205], v[206:207], 1.0
	v_fmac_f64_e32 v[206:207], v[206:207], v[214:215]
	v_mul_f64 v[214:215], v[212:213], v[206:207]
	v_fma_f64 v[204:205], -v[204:205], v[214:215], v[212:213]
	v_div_fmas_f64 v[204:205], v[204:205], v[206:207], v[214:215]
	v_div_fixup_f64 v[204:205], v[204:205], v[210:211], v[208:209]
	v_fmac_f64_e32 v[210:211], v[208:209], v[204:205]
	v_div_scale_f64 v[206:207], s[10:11], v[210:211], v[210:211], 1.0
	v_rcp_f64_e32 v[208:209], v[206:207]
	s_nop 0
	v_fma_f64 v[212:213], -v[206:207], v[208:209], 1.0
	v_fmac_f64_e32 v[208:209], v[208:209], v[212:213]
	v_fma_f64 v[212:213], -v[206:207], v[208:209], 1.0
	v_fmac_f64_e32 v[208:209], v[208:209], v[212:213]
	v_div_scale_f64 v[212:213], vcc, 1.0, v[210:211], 1.0
	v_mul_f64 v[214:215], v[212:213], v[208:209]
	v_fma_f64 v[206:207], -v[206:207], v[214:215], v[212:213]
	s_nop 1
	v_div_fmas_f64 v[206:207], v[206:207], v[208:209], v[214:215]
	v_div_fixup_f64 v[206:207], v[206:207], v[210:211], 1.0
	v_mul_f64 v[204:205], v[204:205], v[206:207]
	v_xor_b32_e32 v207, 0x80000000, v207
                                        ; implicit-def: $vgpr208_vgpr209
.LBB117_374:
	s_andn2_saveexec_b64 s[2:3], s[2:3]
	s_cbranch_execz .LBB117_376
; %bb.375:
	v_div_scale_f64 v[204:205], s[10:11], v[208:209], v[208:209], v[210:211]
	v_rcp_f64_e32 v[206:207], v[204:205]
	v_div_scale_f64 v[212:213], vcc, v[210:211], v[208:209], v[210:211]
	v_fma_f64 v[214:215], -v[204:205], v[206:207], 1.0
	v_fmac_f64_e32 v[206:207], v[206:207], v[214:215]
	v_fma_f64 v[214:215], -v[204:205], v[206:207], 1.0
	v_fmac_f64_e32 v[206:207], v[206:207], v[214:215]
	v_mul_f64 v[214:215], v[212:213], v[206:207]
	v_fma_f64 v[204:205], -v[204:205], v[214:215], v[212:213]
	v_div_fmas_f64 v[204:205], v[204:205], v[206:207], v[214:215]
	v_div_fixup_f64 v[206:207], v[204:205], v[208:209], v[210:211]
	v_fmac_f64_e32 v[208:209], v[210:211], v[206:207]
	v_div_scale_f64 v[204:205], s[10:11], v[208:209], v[208:209], 1.0
	v_rcp_f64_e32 v[210:211], v[204:205]
	s_nop 0
	v_fma_f64 v[212:213], -v[204:205], v[210:211], 1.0
	v_fmac_f64_e32 v[210:211], v[210:211], v[212:213]
	v_fma_f64 v[212:213], -v[204:205], v[210:211], 1.0
	v_fmac_f64_e32 v[210:211], v[210:211], v[212:213]
	v_div_scale_f64 v[212:213], vcc, 1.0, v[208:209], 1.0
	v_mul_f64 v[214:215], v[212:213], v[210:211]
	v_fma_f64 v[204:205], -v[204:205], v[214:215], v[212:213]
	s_nop 1
	v_div_fmas_f64 v[204:205], v[204:205], v[210:211], v[214:215]
	v_div_fixup_f64 v[204:205], v[204:205], v[208:209], 1.0
	v_mul_f64 v[206:207], v[206:207], -v[204:205]
.LBB117_376:
	s_or_b64 exec, exec, s[2:3]
	ds_write2_b64 v201, v[204:205], v[206:207] offset1:1
.LBB117_377:
	s_or_b64 exec, exec, s[4:5]
	s_waitcnt lgkmcnt(0)
	s_barrier
	ds_read2_b64 v[192:195], v201 offset1:1
	v_cmp_lt_u32_e32 vcc, 41, v200
	s_waitcnt lgkmcnt(0)
	scratch_store_dwordx4 off, v[192:195], off offset:1272 ; 16-byte Folded Spill
	s_and_saveexec_b64 s[2:3], vcc
	s_cbranch_execz .LBB117_379
; %bb.378:
	scratch_load_dwordx4 v[192:195], off, off offset:1272 ; 16-byte Folded Reload
	s_waitcnt vmcnt(0)
	v_mul_f64 v[204:205], v[194:195], v[66:67]
	v_fma_f64 v[208:209], v[192:193], v[64:65], -v[204:205]
	ds_read2_b64 v[204:207], v202 offset0:84 offset1:85
	v_mul_f64 v[66:67], v[192:193], v[66:67]
	v_fmac_f64_e32 v[66:67], v[194:195], v[64:65]
	s_waitcnt lgkmcnt(0)
	v_mul_f64 v[64:65], v[206:207], v[66:67]
	v_fma_f64 v[64:65], v[204:205], v[208:209], -v[64:65]
	v_mul_f64 v[204:205], v[204:205], v[66:67]
	v_fmac_f64_e32 v[204:205], v[206:207], v[208:209]
	v_add_f64 v[62:63], v[62:63], -v[204:205]
	ds_read2_b64 v[204:207], v202 offset0:86 offset1:87
	v_add_f64 v[60:61], v[60:61], -v[64:65]
	s_waitcnt lgkmcnt(0)
	v_mul_f64 v[64:65], v[206:207], v[66:67]
	v_fma_f64 v[64:65], v[204:205], v[208:209], -v[64:65]
	v_mul_f64 v[204:205], v[204:205], v[66:67]
	v_fmac_f64_e32 v[204:205], v[206:207], v[208:209]
	v_add_f64 v[58:59], v[58:59], -v[204:205]
	ds_read2_b64 v[204:207], v202 offset0:88 offset1:89
	v_add_f64 v[56:57], v[56:57], -v[64:65]
	s_waitcnt lgkmcnt(0)
	v_mul_f64 v[64:65], v[206:207], v[66:67]
	v_fma_f64 v[64:65], v[204:205], v[208:209], -v[64:65]
	v_mul_f64 v[204:205], v[204:205], v[66:67]
	v_fmac_f64_e32 v[204:205], v[206:207], v[208:209]
	v_add_f64 v[54:55], v[54:55], -v[204:205]
	ds_read2_b64 v[204:207], v202 offset0:90 offset1:91
	v_add_f64 v[52:53], v[52:53], -v[64:65]
	s_waitcnt lgkmcnt(0)
	v_mul_f64 v[64:65], v[206:207], v[66:67]
	v_fma_f64 v[64:65], v[204:205], v[208:209], -v[64:65]
	v_mul_f64 v[204:205], v[204:205], v[66:67]
	v_fmac_f64_e32 v[204:205], v[206:207], v[208:209]
	v_add_f64 v[50:51], v[50:51], -v[204:205]
	ds_read2_b64 v[204:207], v202 offset0:92 offset1:93
	v_add_f64 v[48:49], v[48:49], -v[64:65]
	s_waitcnt lgkmcnt(0)
	v_mul_f64 v[64:65], v[206:207], v[66:67]
	v_fma_f64 v[64:65], v[204:205], v[208:209], -v[64:65]
	v_mul_f64 v[204:205], v[204:205], v[66:67]
	v_fmac_f64_e32 v[204:205], v[206:207], v[208:209]
	v_add_f64 v[46:47], v[46:47], -v[204:205]
	ds_read2_b64 v[204:207], v202 offset0:94 offset1:95
	v_add_f64 v[44:45], v[44:45], -v[64:65]
	s_waitcnt lgkmcnt(0)
	v_mul_f64 v[64:65], v[206:207], v[66:67]
	v_fma_f64 v[64:65], v[204:205], v[208:209], -v[64:65]
	v_mul_f64 v[204:205], v[204:205], v[66:67]
	v_fmac_f64_e32 v[204:205], v[206:207], v[208:209]
	v_add_f64 v[42:43], v[42:43], -v[204:205]
	ds_read2_b64 v[204:207], v202 offset0:96 offset1:97
	v_add_f64 v[40:41], v[40:41], -v[64:65]
	s_waitcnt lgkmcnt(0)
	v_mul_f64 v[64:65], v[206:207], v[66:67]
	v_fma_f64 v[64:65], v[204:205], v[208:209], -v[64:65]
	v_mul_f64 v[204:205], v[204:205], v[66:67]
	v_fmac_f64_e32 v[204:205], v[206:207], v[208:209]
	v_add_f64 v[38:39], v[38:39], -v[204:205]
	ds_read2_b64 v[204:207], v202 offset0:98 offset1:99
	v_add_f64 v[36:37], v[36:37], -v[64:65]
	s_waitcnt lgkmcnt(0)
	v_mul_f64 v[64:65], v[206:207], v[66:67]
	v_fma_f64 v[64:65], v[204:205], v[208:209], -v[64:65]
	v_mul_f64 v[204:205], v[204:205], v[66:67]
	v_fmac_f64_e32 v[204:205], v[206:207], v[208:209]
	v_add_f64 v[34:35], v[34:35], -v[204:205]
	ds_read2_b64 v[204:207], v202 offset0:100 offset1:101
	v_add_f64 v[32:33], v[32:33], -v[64:65]
	s_waitcnt lgkmcnt(0)
	v_mul_f64 v[64:65], v[206:207], v[66:67]
	v_fma_f64 v[64:65], v[204:205], v[208:209], -v[64:65]
	v_mul_f64 v[204:205], v[204:205], v[66:67]
	v_fmac_f64_e32 v[204:205], v[206:207], v[208:209]
	v_add_f64 v[30:31], v[30:31], -v[204:205]
	ds_read2_b64 v[204:207], v202 offset0:102 offset1:103
	v_add_f64 v[28:29], v[28:29], -v[64:65]
	s_waitcnt lgkmcnt(0)
	v_mul_f64 v[64:65], v[206:207], v[66:67]
	v_fma_f64 v[64:65], v[204:205], v[208:209], -v[64:65]
	v_mul_f64 v[204:205], v[204:205], v[66:67]
	v_fmac_f64_e32 v[204:205], v[206:207], v[208:209]
	v_add_f64 v[26:27], v[26:27], -v[204:205]
	ds_read2_b64 v[204:207], v202 offset0:104 offset1:105
	v_add_f64 v[24:25], v[24:25], -v[64:65]
	s_waitcnt lgkmcnt(0)
	v_mul_f64 v[64:65], v[206:207], v[66:67]
	v_fma_f64 v[64:65], v[204:205], v[208:209], -v[64:65]
	v_mul_f64 v[204:205], v[204:205], v[66:67]
	v_fmac_f64_e32 v[204:205], v[206:207], v[208:209]
	v_add_f64 v[22:23], v[22:23], -v[204:205]
	ds_read2_b64 v[204:207], v202 offset0:106 offset1:107
	v_add_f64 v[20:21], v[20:21], -v[64:65]
	s_waitcnt lgkmcnt(0)
	v_mul_f64 v[64:65], v[206:207], v[66:67]
	v_fma_f64 v[64:65], v[204:205], v[208:209], -v[64:65]
	v_mul_f64 v[204:205], v[204:205], v[66:67]
	v_fmac_f64_e32 v[204:205], v[206:207], v[208:209]
	v_add_f64 v[18:19], v[18:19], -v[204:205]
	ds_read2_b64 v[204:207], v202 offset0:108 offset1:109
	v_add_f64 v[16:17], v[16:17], -v[64:65]
	s_waitcnt lgkmcnt(0)
	v_mul_f64 v[64:65], v[206:207], v[66:67]
	v_fma_f64 v[64:65], v[204:205], v[208:209], -v[64:65]
	v_mul_f64 v[204:205], v[204:205], v[66:67]
	v_fmac_f64_e32 v[204:205], v[206:207], v[208:209]
	v_add_f64 v[14:15], v[14:15], -v[204:205]
	ds_read2_b64 v[204:207], v202 offset0:110 offset1:111
	v_add_f64 v[12:13], v[12:13], -v[64:65]
	s_waitcnt lgkmcnt(0)
	v_mul_f64 v[64:65], v[206:207], v[66:67]
	v_fma_f64 v[64:65], v[204:205], v[208:209], -v[64:65]
	v_mul_f64 v[204:205], v[204:205], v[66:67]
	v_fmac_f64_e32 v[204:205], v[206:207], v[208:209]
	v_add_f64 v[10:11], v[10:11], -v[204:205]
	ds_read2_b64 v[204:207], v202 offset0:112 offset1:113
	v_add_f64 v[8:9], v[8:9], -v[64:65]
	s_waitcnt lgkmcnt(0)
	v_mul_f64 v[64:65], v[206:207], v[66:67]
	v_fma_f64 v[64:65], v[204:205], v[208:209], -v[64:65]
	v_mul_f64 v[204:205], v[204:205], v[66:67]
	v_fmac_f64_e32 v[204:205], v[206:207], v[208:209]
	v_add_f64 v[6:7], v[6:7], -v[204:205]
	ds_read2_b64 v[204:207], v202 offset0:114 offset1:115
	v_add_f64 v[4:5], v[4:5], -v[64:65]
	s_waitcnt lgkmcnt(0)
	v_mul_f64 v[64:65], v[206:207], v[66:67]
	v_fma_f64 v[64:65], v[204:205], v[208:209], -v[64:65]
	v_mul_f64 v[204:205], v[204:205], v[66:67]
	v_fmac_f64_e32 v[204:205], v[206:207], v[208:209]
	v_add_f64 v[2:3], v[2:3], -v[204:205]
	ds_read2_b64 v[204:207], v202 offset0:116 offset1:117
	v_add_f64 v[0:1], v[0:1], -v[64:65]
	s_waitcnt lgkmcnt(0)
	v_mul_f64 v[64:65], v[206:207], v[66:67]
	v_fma_f64 v[64:65], v[204:205], v[208:209], -v[64:65]
	v_mul_f64 v[204:205], v[204:205], v[66:67]
	v_fmac_f64_e32 v[204:205], v[206:207], v[208:209]
	v_add_f64 v[232:233], v[232:233], -v[64:65]
	v_add_f64 v[234:235], v[234:235], -v[204:205]
	v_mov_b64_e32 v[64:65], v[208:209]
.LBB117_379:
	s_or_b64 exec, exec, s[2:3]
	v_cmp_eq_u32_e32 vcc, 42, v200
	s_waitcnt vmcnt(63) expcnt(7) lgkmcnt(15)
	s_barrier
	s_and_saveexec_b64 s[4:5], vcc
	s_cbranch_execz .LBB117_386
; %bb.380:
	ds_write2_b64 v201, v[60:61], v[62:63] offset1:1
	ds_write2_b64 v202, v[56:57], v[58:59] offset0:86 offset1:87
	ds_write2_b64 v202, v[52:53], v[54:55] offset0:88 offset1:89
	ds_write2_b64 v202, v[48:49], v[50:51] offset0:90 offset1:91
	ds_write2_b64 v202, v[44:45], v[46:47] offset0:92 offset1:93
	ds_write2_b64 v202, v[40:41], v[42:43] offset0:94 offset1:95
	ds_write2_b64 v202, v[36:37], v[38:39] offset0:96 offset1:97
	ds_write2_b64 v202, v[32:33], v[34:35] offset0:98 offset1:99
	ds_write2_b64 v202, v[28:29], v[30:31] offset0:100 offset1:101
	ds_write2_b64 v202, v[24:25], v[26:27] offset0:102 offset1:103
	ds_write2_b64 v202, v[20:21], v[22:23] offset0:104 offset1:105
	ds_write2_b64 v202, v[16:17], v[18:19] offset0:106 offset1:107
	ds_write2_b64 v202, v[12:13], v[14:15] offset0:108 offset1:109
	ds_write2_b64 v202, v[8:9], v[10:11] offset0:110 offset1:111
	ds_write2_b64 v202, v[4:5], v[6:7] offset0:112 offset1:113
	s_waitcnt vmcnt(62)
	ds_write2_b64 v202, v[0:1], v[2:3] offset0:114 offset1:115
	s_waitcnt vmcnt(59)
	ds_write2_b64 v202, v[232:233], v[234:235] offset0:116 offset1:117
	ds_read2_b64 v[208:211], v201 offset1:1
	s_waitcnt lgkmcnt(0)
	v_cmp_neq_f64_e32 vcc, 0, v[208:209]
	v_cmp_neq_f64_e64 s[2:3], 0, v[210:211]
	s_or_b64 s[2:3], vcc, s[2:3]
	s_and_b64 exec, exec, s[2:3]
	s_cbranch_execz .LBB117_386
; %bb.381:
	v_cmp_ngt_f64_e64 s[2:3], |v[208:209]|, |v[210:211]|
                                        ; implicit-def: $vgpr204_vgpr205
	s_and_saveexec_b64 s[10:11], s[2:3]
	s_xor_b64 s[2:3], exec, s[10:11]
                                        ; implicit-def: $vgpr206_vgpr207
	s_cbranch_execz .LBB117_383
; %bb.382:
	v_div_scale_f64 v[204:205], s[10:11], v[210:211], v[210:211], v[208:209]
	v_rcp_f64_e32 v[206:207], v[204:205]
	v_div_scale_f64 v[212:213], vcc, v[208:209], v[210:211], v[208:209]
	v_fma_f64 v[214:215], -v[204:205], v[206:207], 1.0
	v_fmac_f64_e32 v[206:207], v[206:207], v[214:215]
	v_fma_f64 v[214:215], -v[204:205], v[206:207], 1.0
	v_fmac_f64_e32 v[206:207], v[206:207], v[214:215]
	v_mul_f64 v[214:215], v[212:213], v[206:207]
	v_fma_f64 v[204:205], -v[204:205], v[214:215], v[212:213]
	v_div_fmas_f64 v[204:205], v[204:205], v[206:207], v[214:215]
	v_div_fixup_f64 v[204:205], v[204:205], v[210:211], v[208:209]
	v_fmac_f64_e32 v[210:211], v[208:209], v[204:205]
	v_div_scale_f64 v[206:207], s[10:11], v[210:211], v[210:211], 1.0
	v_rcp_f64_e32 v[208:209], v[206:207]
	s_nop 0
	v_fma_f64 v[212:213], -v[206:207], v[208:209], 1.0
	v_fmac_f64_e32 v[208:209], v[208:209], v[212:213]
	v_fma_f64 v[212:213], -v[206:207], v[208:209], 1.0
	v_fmac_f64_e32 v[208:209], v[208:209], v[212:213]
	v_div_scale_f64 v[212:213], vcc, 1.0, v[210:211], 1.0
	v_mul_f64 v[214:215], v[212:213], v[208:209]
	v_fma_f64 v[206:207], -v[206:207], v[214:215], v[212:213]
	s_nop 1
	v_div_fmas_f64 v[206:207], v[206:207], v[208:209], v[214:215]
	v_div_fixup_f64 v[206:207], v[206:207], v[210:211], 1.0
	v_mul_f64 v[204:205], v[204:205], v[206:207]
	v_xor_b32_e32 v207, 0x80000000, v207
                                        ; implicit-def: $vgpr208_vgpr209
.LBB117_383:
	s_andn2_saveexec_b64 s[2:3], s[2:3]
	s_cbranch_execz .LBB117_385
; %bb.384:
	v_div_scale_f64 v[204:205], s[10:11], v[208:209], v[208:209], v[210:211]
	v_rcp_f64_e32 v[206:207], v[204:205]
	v_div_scale_f64 v[212:213], vcc, v[210:211], v[208:209], v[210:211]
	v_fma_f64 v[214:215], -v[204:205], v[206:207], 1.0
	v_fmac_f64_e32 v[206:207], v[206:207], v[214:215]
	v_fma_f64 v[214:215], -v[204:205], v[206:207], 1.0
	v_fmac_f64_e32 v[206:207], v[206:207], v[214:215]
	v_mul_f64 v[214:215], v[212:213], v[206:207]
	v_fma_f64 v[204:205], -v[204:205], v[214:215], v[212:213]
	v_div_fmas_f64 v[204:205], v[204:205], v[206:207], v[214:215]
	v_div_fixup_f64 v[206:207], v[204:205], v[208:209], v[210:211]
	v_fmac_f64_e32 v[208:209], v[210:211], v[206:207]
	v_div_scale_f64 v[204:205], s[10:11], v[208:209], v[208:209], 1.0
	v_rcp_f64_e32 v[210:211], v[204:205]
	s_nop 0
	v_fma_f64 v[212:213], -v[204:205], v[210:211], 1.0
	v_fmac_f64_e32 v[210:211], v[210:211], v[212:213]
	v_fma_f64 v[212:213], -v[204:205], v[210:211], 1.0
	v_fmac_f64_e32 v[210:211], v[210:211], v[212:213]
	v_div_scale_f64 v[212:213], vcc, 1.0, v[208:209], 1.0
	v_mul_f64 v[214:215], v[212:213], v[210:211]
	v_fma_f64 v[204:205], -v[204:205], v[214:215], v[212:213]
	s_nop 1
	v_div_fmas_f64 v[204:205], v[204:205], v[210:211], v[214:215]
	v_div_fixup_f64 v[204:205], v[204:205], v[208:209], 1.0
	v_mul_f64 v[206:207], v[206:207], -v[204:205]
.LBB117_385:
	s_or_b64 exec, exec, s[2:3]
	ds_write2_b64 v201, v[204:205], v[206:207] offset1:1
.LBB117_386:
	s_or_b64 exec, exec, s[4:5]
	s_waitcnt lgkmcnt(0)
	s_barrier
	ds_read2_b64 v[192:195], v201 offset1:1
	v_cmp_lt_u32_e32 vcc, 42, v200
	s_waitcnt lgkmcnt(0)
	scratch_store_dwordx4 off, v[192:195], off offset:1288 ; 16-byte Folded Spill
	s_and_saveexec_b64 s[2:3], vcc
	s_cbranch_execz .LBB117_388
; %bb.387:
	scratch_load_dwordx4 v[192:195], off, off offset:1288 ; 16-byte Folded Reload
	ds_read2_b64 v[204:207], v202 offset0:86 offset1:87
	s_waitcnt vmcnt(0)
	v_mul_f64 v[208:209], v[192:193], v[62:63]
	v_fmac_f64_e32 v[208:209], v[194:195], v[60:61]
	v_mul_f64 v[62:63], v[194:195], v[62:63]
	v_fma_f64 v[60:61], v[192:193], v[60:61], -v[62:63]
	s_waitcnt lgkmcnt(0)
	v_mul_f64 v[62:63], v[206:207], v[208:209]
	v_fma_f64 v[62:63], v[204:205], v[60:61], -v[62:63]
	v_mul_f64 v[204:205], v[204:205], v[208:209]
	v_fmac_f64_e32 v[204:205], v[206:207], v[60:61]
	v_add_f64 v[58:59], v[58:59], -v[204:205]
	ds_read2_b64 v[204:207], v202 offset0:88 offset1:89
	v_add_f64 v[56:57], v[56:57], -v[62:63]
	s_waitcnt lgkmcnt(0)
	v_mul_f64 v[62:63], v[206:207], v[208:209]
	v_fma_f64 v[62:63], v[204:205], v[60:61], -v[62:63]
	v_mul_f64 v[204:205], v[204:205], v[208:209]
	v_fmac_f64_e32 v[204:205], v[206:207], v[60:61]
	v_add_f64 v[54:55], v[54:55], -v[204:205]
	ds_read2_b64 v[204:207], v202 offset0:90 offset1:91
	v_add_f64 v[52:53], v[52:53], -v[62:63]
	;; [unrolled: 8-line block ×15, first 2 shown]
	s_waitcnt lgkmcnt(0)
	v_mul_f64 v[62:63], v[206:207], v[208:209]
	v_fma_f64 v[62:63], v[204:205], v[60:61], -v[62:63]
	v_mul_f64 v[204:205], v[204:205], v[208:209]
	v_fmac_f64_e32 v[204:205], v[206:207], v[60:61]
	v_add_f64 v[232:233], v[232:233], -v[62:63]
	v_add_f64 v[234:235], v[234:235], -v[204:205]
	v_mov_b64_e32 v[62:63], v[208:209]
.LBB117_388:
	s_or_b64 exec, exec, s[2:3]
	v_cmp_eq_u32_e32 vcc, 43, v200
	s_waitcnt vmcnt(63) expcnt(7) lgkmcnt(15)
	s_barrier
	s_and_saveexec_b64 s[4:5], vcc
	s_cbranch_execz .LBB117_395
; %bb.389:
	ds_write2_b64 v201, v[56:57], v[58:59] offset1:1
	ds_write2_b64 v202, v[52:53], v[54:55] offset0:88 offset1:89
	ds_write2_b64 v202, v[48:49], v[50:51] offset0:90 offset1:91
	;; [unrolled: 1-line block ×14, first 2 shown]
	s_waitcnt vmcnt(60)
	ds_write2_b64 v202, v[232:233], v[234:235] offset0:116 offset1:117
	ds_read2_b64 v[208:211], v201 offset1:1
	s_waitcnt lgkmcnt(0)
	v_cmp_neq_f64_e32 vcc, 0, v[208:209]
	v_cmp_neq_f64_e64 s[2:3], 0, v[210:211]
	s_or_b64 s[2:3], vcc, s[2:3]
	s_and_b64 exec, exec, s[2:3]
	s_cbranch_execz .LBB117_395
; %bb.390:
	v_cmp_ngt_f64_e64 s[2:3], |v[208:209]|, |v[210:211]|
                                        ; implicit-def: $vgpr204_vgpr205
	s_and_saveexec_b64 s[10:11], s[2:3]
	s_xor_b64 s[2:3], exec, s[10:11]
                                        ; implicit-def: $vgpr206_vgpr207
	s_cbranch_execz .LBB117_392
; %bb.391:
	v_div_scale_f64 v[204:205], s[10:11], v[210:211], v[210:211], v[208:209]
	v_rcp_f64_e32 v[206:207], v[204:205]
	v_div_scale_f64 v[212:213], vcc, v[208:209], v[210:211], v[208:209]
	v_fma_f64 v[214:215], -v[204:205], v[206:207], 1.0
	v_fmac_f64_e32 v[206:207], v[206:207], v[214:215]
	v_fma_f64 v[214:215], -v[204:205], v[206:207], 1.0
	v_fmac_f64_e32 v[206:207], v[206:207], v[214:215]
	v_mul_f64 v[214:215], v[212:213], v[206:207]
	v_fma_f64 v[204:205], -v[204:205], v[214:215], v[212:213]
	v_div_fmas_f64 v[204:205], v[204:205], v[206:207], v[214:215]
	v_div_fixup_f64 v[204:205], v[204:205], v[210:211], v[208:209]
	v_fmac_f64_e32 v[210:211], v[208:209], v[204:205]
	v_div_scale_f64 v[206:207], s[10:11], v[210:211], v[210:211], 1.0
	v_rcp_f64_e32 v[208:209], v[206:207]
	s_nop 0
	v_fma_f64 v[212:213], -v[206:207], v[208:209], 1.0
	v_fmac_f64_e32 v[208:209], v[208:209], v[212:213]
	v_fma_f64 v[212:213], -v[206:207], v[208:209], 1.0
	v_fmac_f64_e32 v[208:209], v[208:209], v[212:213]
	v_div_scale_f64 v[212:213], vcc, 1.0, v[210:211], 1.0
	v_mul_f64 v[214:215], v[212:213], v[208:209]
	v_fma_f64 v[206:207], -v[206:207], v[214:215], v[212:213]
	s_nop 1
	v_div_fmas_f64 v[206:207], v[206:207], v[208:209], v[214:215]
	v_div_fixup_f64 v[206:207], v[206:207], v[210:211], 1.0
	v_mul_f64 v[204:205], v[204:205], v[206:207]
	v_xor_b32_e32 v207, 0x80000000, v207
                                        ; implicit-def: $vgpr208_vgpr209
.LBB117_392:
	s_andn2_saveexec_b64 s[2:3], s[2:3]
	s_cbranch_execz .LBB117_394
; %bb.393:
	v_div_scale_f64 v[204:205], s[10:11], v[208:209], v[208:209], v[210:211]
	v_rcp_f64_e32 v[206:207], v[204:205]
	v_div_scale_f64 v[212:213], vcc, v[210:211], v[208:209], v[210:211]
	v_fma_f64 v[214:215], -v[204:205], v[206:207], 1.0
	v_fmac_f64_e32 v[206:207], v[206:207], v[214:215]
	v_fma_f64 v[214:215], -v[204:205], v[206:207], 1.0
	v_fmac_f64_e32 v[206:207], v[206:207], v[214:215]
	v_mul_f64 v[214:215], v[212:213], v[206:207]
	v_fma_f64 v[204:205], -v[204:205], v[214:215], v[212:213]
	v_div_fmas_f64 v[204:205], v[204:205], v[206:207], v[214:215]
	v_div_fixup_f64 v[206:207], v[204:205], v[208:209], v[210:211]
	v_fmac_f64_e32 v[208:209], v[210:211], v[206:207]
	v_div_scale_f64 v[204:205], s[10:11], v[208:209], v[208:209], 1.0
	v_rcp_f64_e32 v[210:211], v[204:205]
	s_nop 0
	v_fma_f64 v[212:213], -v[204:205], v[210:211], 1.0
	v_fmac_f64_e32 v[210:211], v[210:211], v[212:213]
	v_fma_f64 v[212:213], -v[204:205], v[210:211], 1.0
	v_fmac_f64_e32 v[210:211], v[210:211], v[212:213]
	v_div_scale_f64 v[212:213], vcc, 1.0, v[208:209], 1.0
	v_mul_f64 v[214:215], v[212:213], v[210:211]
	v_fma_f64 v[204:205], -v[204:205], v[214:215], v[212:213]
	s_nop 1
	v_div_fmas_f64 v[204:205], v[204:205], v[210:211], v[214:215]
	v_div_fixup_f64 v[204:205], v[204:205], v[208:209], 1.0
	v_mul_f64 v[206:207], v[206:207], -v[204:205]
.LBB117_394:
	s_or_b64 exec, exec, s[2:3]
	ds_write2_b64 v201, v[204:205], v[206:207] offset1:1
.LBB117_395:
	s_or_b64 exec, exec, s[4:5]
	s_waitcnt lgkmcnt(0)
	s_barrier
	ds_read2_b64 v[192:195], v201 offset1:1
	v_cmp_lt_u32_e32 vcc, 43, v200
	s_waitcnt lgkmcnt(0)
	scratch_store_dwordx4 off, v[192:195], off offset:1304 ; 16-byte Folded Spill
	s_and_saveexec_b64 s[2:3], vcc
	s_cbranch_execz .LBB117_397
; %bb.396:
	scratch_load_dwordx4 v[192:195], off, off offset:1304 ; 16-byte Folded Reload
	ds_read2_b64 v[204:207], v202 offset0:88 offset1:89
	s_waitcnt vmcnt(0)
	v_mul_f64 v[208:209], v[192:193], v[58:59]
	v_fmac_f64_e32 v[208:209], v[194:195], v[56:57]
	v_mul_f64 v[58:59], v[194:195], v[58:59]
	v_fma_f64 v[56:57], v[192:193], v[56:57], -v[58:59]
	s_waitcnt lgkmcnt(0)
	v_mul_f64 v[58:59], v[206:207], v[208:209]
	v_fma_f64 v[58:59], v[204:205], v[56:57], -v[58:59]
	v_mul_f64 v[204:205], v[204:205], v[208:209]
	v_fmac_f64_e32 v[204:205], v[206:207], v[56:57]
	v_add_f64 v[54:55], v[54:55], -v[204:205]
	ds_read2_b64 v[204:207], v202 offset0:90 offset1:91
	v_add_f64 v[52:53], v[52:53], -v[58:59]
	s_waitcnt lgkmcnt(0)
	v_mul_f64 v[58:59], v[206:207], v[208:209]
	v_fma_f64 v[58:59], v[204:205], v[56:57], -v[58:59]
	v_mul_f64 v[204:205], v[204:205], v[208:209]
	v_fmac_f64_e32 v[204:205], v[206:207], v[56:57]
	v_add_f64 v[50:51], v[50:51], -v[204:205]
	ds_read2_b64 v[204:207], v202 offset0:92 offset1:93
	v_add_f64 v[48:49], v[48:49], -v[58:59]
	;; [unrolled: 8-line block ×14, first 2 shown]
	s_waitcnt lgkmcnt(0)
	v_mul_f64 v[58:59], v[206:207], v[208:209]
	v_fma_f64 v[58:59], v[204:205], v[56:57], -v[58:59]
	v_mul_f64 v[204:205], v[204:205], v[208:209]
	v_fmac_f64_e32 v[204:205], v[206:207], v[56:57]
	v_add_f64 v[232:233], v[232:233], -v[58:59]
	v_add_f64 v[234:235], v[234:235], -v[204:205]
	v_mov_b64_e32 v[58:59], v[208:209]
.LBB117_397:
	s_or_b64 exec, exec, s[2:3]
	v_cmp_eq_u32_e32 vcc, 44, v200
	s_waitcnt vmcnt(63) expcnt(7) lgkmcnt(15)
	s_barrier
	s_and_saveexec_b64 s[4:5], vcc
	s_cbranch_execz .LBB117_404
; %bb.398:
	ds_write2_b64 v201, v[52:53], v[54:55] offset1:1
	ds_write2_b64 v202, v[48:49], v[50:51] offset0:90 offset1:91
	ds_write2_b64 v202, v[44:45], v[46:47] offset0:92 offset1:93
	;; [unrolled: 1-line block ×13, first 2 shown]
	s_waitcnt vmcnt(61)
	ds_write2_b64 v202, v[232:233], v[234:235] offset0:116 offset1:117
	ds_read2_b64 v[208:211], v201 offset1:1
	s_waitcnt lgkmcnt(0)
	v_cmp_neq_f64_e32 vcc, 0, v[208:209]
	v_cmp_neq_f64_e64 s[2:3], 0, v[210:211]
	s_or_b64 s[2:3], vcc, s[2:3]
	s_and_b64 exec, exec, s[2:3]
	s_cbranch_execz .LBB117_404
; %bb.399:
	v_cmp_ngt_f64_e64 s[2:3], |v[208:209]|, |v[210:211]|
                                        ; implicit-def: $vgpr204_vgpr205
	s_and_saveexec_b64 s[10:11], s[2:3]
	s_xor_b64 s[2:3], exec, s[10:11]
                                        ; implicit-def: $vgpr206_vgpr207
	s_cbranch_execz .LBB117_401
; %bb.400:
	v_div_scale_f64 v[204:205], s[10:11], v[210:211], v[210:211], v[208:209]
	v_rcp_f64_e32 v[206:207], v[204:205]
	v_div_scale_f64 v[212:213], vcc, v[208:209], v[210:211], v[208:209]
	v_fma_f64 v[214:215], -v[204:205], v[206:207], 1.0
	v_fmac_f64_e32 v[206:207], v[206:207], v[214:215]
	v_fma_f64 v[214:215], -v[204:205], v[206:207], 1.0
	v_fmac_f64_e32 v[206:207], v[206:207], v[214:215]
	v_mul_f64 v[214:215], v[212:213], v[206:207]
	v_fma_f64 v[204:205], -v[204:205], v[214:215], v[212:213]
	v_div_fmas_f64 v[204:205], v[204:205], v[206:207], v[214:215]
	v_div_fixup_f64 v[204:205], v[204:205], v[210:211], v[208:209]
	v_fmac_f64_e32 v[210:211], v[208:209], v[204:205]
	v_div_scale_f64 v[206:207], s[10:11], v[210:211], v[210:211], 1.0
	v_rcp_f64_e32 v[208:209], v[206:207]
	s_nop 0
	v_fma_f64 v[212:213], -v[206:207], v[208:209], 1.0
	v_fmac_f64_e32 v[208:209], v[208:209], v[212:213]
	v_fma_f64 v[212:213], -v[206:207], v[208:209], 1.0
	v_fmac_f64_e32 v[208:209], v[208:209], v[212:213]
	v_div_scale_f64 v[212:213], vcc, 1.0, v[210:211], 1.0
	v_mul_f64 v[214:215], v[212:213], v[208:209]
	v_fma_f64 v[206:207], -v[206:207], v[214:215], v[212:213]
	s_nop 1
	v_div_fmas_f64 v[206:207], v[206:207], v[208:209], v[214:215]
	v_div_fixup_f64 v[206:207], v[206:207], v[210:211], 1.0
	v_mul_f64 v[204:205], v[204:205], v[206:207]
	v_xor_b32_e32 v207, 0x80000000, v207
                                        ; implicit-def: $vgpr208_vgpr209
.LBB117_401:
	s_andn2_saveexec_b64 s[2:3], s[2:3]
	s_cbranch_execz .LBB117_403
; %bb.402:
	v_div_scale_f64 v[204:205], s[10:11], v[208:209], v[208:209], v[210:211]
	v_rcp_f64_e32 v[206:207], v[204:205]
	v_div_scale_f64 v[212:213], vcc, v[210:211], v[208:209], v[210:211]
	v_fma_f64 v[214:215], -v[204:205], v[206:207], 1.0
	v_fmac_f64_e32 v[206:207], v[206:207], v[214:215]
	v_fma_f64 v[214:215], -v[204:205], v[206:207], 1.0
	v_fmac_f64_e32 v[206:207], v[206:207], v[214:215]
	v_mul_f64 v[214:215], v[212:213], v[206:207]
	v_fma_f64 v[204:205], -v[204:205], v[214:215], v[212:213]
	v_div_fmas_f64 v[204:205], v[204:205], v[206:207], v[214:215]
	v_div_fixup_f64 v[206:207], v[204:205], v[208:209], v[210:211]
	v_fmac_f64_e32 v[208:209], v[210:211], v[206:207]
	v_div_scale_f64 v[204:205], s[10:11], v[208:209], v[208:209], 1.0
	v_rcp_f64_e32 v[210:211], v[204:205]
	s_nop 0
	v_fma_f64 v[212:213], -v[204:205], v[210:211], 1.0
	v_fmac_f64_e32 v[210:211], v[210:211], v[212:213]
	v_fma_f64 v[212:213], -v[204:205], v[210:211], 1.0
	v_fmac_f64_e32 v[210:211], v[210:211], v[212:213]
	v_div_scale_f64 v[212:213], vcc, 1.0, v[208:209], 1.0
	v_mul_f64 v[214:215], v[212:213], v[210:211]
	v_fma_f64 v[204:205], -v[204:205], v[214:215], v[212:213]
	s_nop 1
	v_div_fmas_f64 v[204:205], v[204:205], v[210:211], v[214:215]
	v_div_fixup_f64 v[204:205], v[204:205], v[208:209], 1.0
	v_mul_f64 v[206:207], v[206:207], -v[204:205]
.LBB117_403:
	s_or_b64 exec, exec, s[2:3]
	ds_write2_b64 v201, v[204:205], v[206:207] offset1:1
.LBB117_404:
	s_or_b64 exec, exec, s[4:5]
	s_waitcnt lgkmcnt(0)
	s_barrier
	ds_read2_b64 v[192:195], v201 offset1:1
	v_cmp_lt_u32_e32 vcc, 44, v200
	s_waitcnt lgkmcnt(0)
	scratch_store_dwordx4 off, v[192:195], off offset:1320 ; 16-byte Folded Spill
	s_and_saveexec_b64 s[2:3], vcc
	s_cbranch_execz .LBB117_406
; %bb.405:
	scratch_load_dwordx4 v[192:195], off, off offset:1320 ; 16-byte Folded Reload
	ds_read2_b64 v[204:207], v202 offset0:90 offset1:91
	s_waitcnt vmcnt(0)
	v_mul_f64 v[208:209], v[192:193], v[54:55]
	v_fmac_f64_e32 v[208:209], v[194:195], v[52:53]
	v_mul_f64 v[54:55], v[194:195], v[54:55]
	v_fma_f64 v[52:53], v[192:193], v[52:53], -v[54:55]
	s_waitcnt lgkmcnt(0)
	v_mul_f64 v[54:55], v[206:207], v[208:209]
	v_fma_f64 v[54:55], v[204:205], v[52:53], -v[54:55]
	v_mul_f64 v[204:205], v[204:205], v[208:209]
	v_fmac_f64_e32 v[204:205], v[206:207], v[52:53]
	v_add_f64 v[50:51], v[50:51], -v[204:205]
	ds_read2_b64 v[204:207], v202 offset0:92 offset1:93
	v_add_f64 v[48:49], v[48:49], -v[54:55]
	s_waitcnt lgkmcnt(0)
	v_mul_f64 v[54:55], v[206:207], v[208:209]
	v_fma_f64 v[54:55], v[204:205], v[52:53], -v[54:55]
	v_mul_f64 v[204:205], v[204:205], v[208:209]
	v_fmac_f64_e32 v[204:205], v[206:207], v[52:53]
	v_add_f64 v[46:47], v[46:47], -v[204:205]
	ds_read2_b64 v[204:207], v202 offset0:94 offset1:95
	v_add_f64 v[44:45], v[44:45], -v[54:55]
	;; [unrolled: 8-line block ×13, first 2 shown]
	s_waitcnt lgkmcnt(0)
	v_mul_f64 v[54:55], v[206:207], v[208:209]
	v_fma_f64 v[54:55], v[204:205], v[52:53], -v[54:55]
	v_mul_f64 v[204:205], v[204:205], v[208:209]
	v_fmac_f64_e32 v[204:205], v[206:207], v[52:53]
	v_add_f64 v[232:233], v[232:233], -v[54:55]
	v_add_f64 v[234:235], v[234:235], -v[204:205]
	v_mov_b64_e32 v[54:55], v[208:209]
.LBB117_406:
	s_or_b64 exec, exec, s[2:3]
	v_cmp_eq_u32_e32 vcc, 45, v200
	s_waitcnt vmcnt(63) expcnt(7) lgkmcnt(15)
	s_barrier
	s_and_saveexec_b64 s[4:5], vcc
	s_cbranch_execz .LBB117_413
; %bb.407:
	ds_write2_b64 v201, v[48:49], v[50:51] offset1:1
	ds_write2_b64 v202, v[44:45], v[46:47] offset0:92 offset1:93
	ds_write2_b64 v202, v[40:41], v[42:43] offset0:94 offset1:95
	;; [unrolled: 1-line block ×12, first 2 shown]
	s_waitcnt vmcnt(62)
	ds_write2_b64 v202, v[232:233], v[234:235] offset0:116 offset1:117
	ds_read2_b64 v[208:211], v201 offset1:1
	s_waitcnt lgkmcnt(0)
	v_cmp_neq_f64_e32 vcc, 0, v[208:209]
	v_cmp_neq_f64_e64 s[2:3], 0, v[210:211]
	s_or_b64 s[2:3], vcc, s[2:3]
	s_and_b64 exec, exec, s[2:3]
	s_cbranch_execz .LBB117_413
; %bb.408:
	v_cmp_ngt_f64_e64 s[2:3], |v[208:209]|, |v[210:211]|
                                        ; implicit-def: $vgpr204_vgpr205
	s_and_saveexec_b64 s[10:11], s[2:3]
	s_xor_b64 s[2:3], exec, s[10:11]
                                        ; implicit-def: $vgpr206_vgpr207
	s_cbranch_execz .LBB117_410
; %bb.409:
	v_div_scale_f64 v[204:205], s[10:11], v[210:211], v[210:211], v[208:209]
	v_rcp_f64_e32 v[206:207], v[204:205]
	v_div_scale_f64 v[212:213], vcc, v[208:209], v[210:211], v[208:209]
	v_fma_f64 v[214:215], -v[204:205], v[206:207], 1.0
	v_fmac_f64_e32 v[206:207], v[206:207], v[214:215]
	v_fma_f64 v[214:215], -v[204:205], v[206:207], 1.0
	v_fmac_f64_e32 v[206:207], v[206:207], v[214:215]
	v_mul_f64 v[214:215], v[212:213], v[206:207]
	v_fma_f64 v[204:205], -v[204:205], v[214:215], v[212:213]
	v_div_fmas_f64 v[204:205], v[204:205], v[206:207], v[214:215]
	v_div_fixup_f64 v[204:205], v[204:205], v[210:211], v[208:209]
	v_fmac_f64_e32 v[210:211], v[208:209], v[204:205]
	v_div_scale_f64 v[206:207], s[10:11], v[210:211], v[210:211], 1.0
	v_rcp_f64_e32 v[208:209], v[206:207]
	s_nop 0
	v_fma_f64 v[212:213], -v[206:207], v[208:209], 1.0
	v_fmac_f64_e32 v[208:209], v[208:209], v[212:213]
	v_fma_f64 v[212:213], -v[206:207], v[208:209], 1.0
	v_fmac_f64_e32 v[208:209], v[208:209], v[212:213]
	v_div_scale_f64 v[212:213], vcc, 1.0, v[210:211], 1.0
	v_mul_f64 v[214:215], v[212:213], v[208:209]
	v_fma_f64 v[206:207], -v[206:207], v[214:215], v[212:213]
	s_nop 1
	v_div_fmas_f64 v[206:207], v[206:207], v[208:209], v[214:215]
	v_div_fixup_f64 v[206:207], v[206:207], v[210:211], 1.0
	v_mul_f64 v[204:205], v[204:205], v[206:207]
	v_xor_b32_e32 v207, 0x80000000, v207
                                        ; implicit-def: $vgpr208_vgpr209
.LBB117_410:
	s_andn2_saveexec_b64 s[2:3], s[2:3]
	s_cbranch_execz .LBB117_412
; %bb.411:
	v_div_scale_f64 v[204:205], s[10:11], v[208:209], v[208:209], v[210:211]
	v_rcp_f64_e32 v[206:207], v[204:205]
	v_div_scale_f64 v[212:213], vcc, v[210:211], v[208:209], v[210:211]
	v_fma_f64 v[214:215], -v[204:205], v[206:207], 1.0
	v_fmac_f64_e32 v[206:207], v[206:207], v[214:215]
	v_fma_f64 v[214:215], -v[204:205], v[206:207], 1.0
	v_fmac_f64_e32 v[206:207], v[206:207], v[214:215]
	v_mul_f64 v[214:215], v[212:213], v[206:207]
	v_fma_f64 v[204:205], -v[204:205], v[214:215], v[212:213]
	v_div_fmas_f64 v[204:205], v[204:205], v[206:207], v[214:215]
	v_div_fixup_f64 v[206:207], v[204:205], v[208:209], v[210:211]
	v_fmac_f64_e32 v[208:209], v[210:211], v[206:207]
	v_div_scale_f64 v[204:205], s[10:11], v[208:209], v[208:209], 1.0
	v_rcp_f64_e32 v[210:211], v[204:205]
	s_nop 0
	v_fma_f64 v[212:213], -v[204:205], v[210:211], 1.0
	v_fmac_f64_e32 v[210:211], v[210:211], v[212:213]
	v_fma_f64 v[212:213], -v[204:205], v[210:211], 1.0
	v_fmac_f64_e32 v[210:211], v[210:211], v[212:213]
	v_div_scale_f64 v[212:213], vcc, 1.0, v[208:209], 1.0
	v_mul_f64 v[214:215], v[212:213], v[210:211]
	v_fma_f64 v[204:205], -v[204:205], v[214:215], v[212:213]
	s_nop 1
	v_div_fmas_f64 v[204:205], v[204:205], v[210:211], v[214:215]
	v_div_fixup_f64 v[204:205], v[204:205], v[208:209], 1.0
	v_mul_f64 v[206:207], v[206:207], -v[204:205]
.LBB117_412:
	s_or_b64 exec, exec, s[2:3]
	ds_write2_b64 v201, v[204:205], v[206:207] offset1:1
.LBB117_413:
	s_or_b64 exec, exec, s[4:5]
	s_waitcnt lgkmcnt(0)
	s_barrier
	ds_read2_b64 v[192:195], v201 offset1:1
	v_cmp_lt_u32_e32 vcc, 45, v200
	s_waitcnt lgkmcnt(0)
	scratch_store_dwordx4 off, v[192:195], off offset:1336 ; 16-byte Folded Spill
	s_and_saveexec_b64 s[2:3], vcc
	s_cbranch_execz .LBB117_415
; %bb.414:
	scratch_load_dwordx4 v[192:195], off, off offset:1336 ; 16-byte Folded Reload
	ds_read2_b64 v[204:207], v202 offset0:92 offset1:93
	s_waitcnt vmcnt(0)
	v_mul_f64 v[208:209], v[192:193], v[50:51]
	v_fmac_f64_e32 v[208:209], v[194:195], v[48:49]
	v_mul_f64 v[50:51], v[194:195], v[50:51]
	v_fma_f64 v[48:49], v[192:193], v[48:49], -v[50:51]
	s_waitcnt lgkmcnt(0)
	v_mul_f64 v[50:51], v[206:207], v[208:209]
	v_fma_f64 v[50:51], v[204:205], v[48:49], -v[50:51]
	v_mul_f64 v[204:205], v[204:205], v[208:209]
	v_fmac_f64_e32 v[204:205], v[206:207], v[48:49]
	v_add_f64 v[46:47], v[46:47], -v[204:205]
	ds_read2_b64 v[204:207], v202 offset0:94 offset1:95
	v_add_f64 v[44:45], v[44:45], -v[50:51]
	s_waitcnt lgkmcnt(0)
	v_mul_f64 v[50:51], v[206:207], v[208:209]
	v_fma_f64 v[50:51], v[204:205], v[48:49], -v[50:51]
	v_mul_f64 v[204:205], v[204:205], v[208:209]
	v_fmac_f64_e32 v[204:205], v[206:207], v[48:49]
	v_add_f64 v[42:43], v[42:43], -v[204:205]
	ds_read2_b64 v[204:207], v202 offset0:96 offset1:97
	v_add_f64 v[40:41], v[40:41], -v[50:51]
	;; [unrolled: 8-line block ×12, first 2 shown]
	s_waitcnt lgkmcnt(0)
	v_mul_f64 v[50:51], v[206:207], v[208:209]
	v_fma_f64 v[50:51], v[204:205], v[48:49], -v[50:51]
	v_mul_f64 v[204:205], v[204:205], v[208:209]
	v_fmac_f64_e32 v[204:205], v[206:207], v[48:49]
	v_add_f64 v[232:233], v[232:233], -v[50:51]
	v_add_f64 v[234:235], v[234:235], -v[204:205]
	v_mov_b64_e32 v[50:51], v[208:209]
.LBB117_415:
	s_or_b64 exec, exec, s[2:3]
	v_cmp_eq_u32_e32 vcc, 46, v200
	s_waitcnt vmcnt(63) expcnt(7) lgkmcnt(15)
	s_barrier
	s_and_saveexec_b64 s[4:5], vcc
	s_cbranch_execz .LBB117_422
; %bb.416:
	ds_write2_b64 v201, v[44:45], v[46:47] offset1:1
	ds_write2_b64 v202, v[40:41], v[42:43] offset0:94 offset1:95
	ds_write2_b64 v202, v[36:37], v[38:39] offset0:96 offset1:97
	;; [unrolled: 1-line block ×12, first 2 shown]
	ds_read2_b64 v[208:211], v201 offset1:1
	s_waitcnt lgkmcnt(0)
	v_cmp_neq_f64_e32 vcc, 0, v[208:209]
	v_cmp_neq_f64_e64 s[2:3], 0, v[210:211]
	s_or_b64 s[2:3], vcc, s[2:3]
	s_and_b64 exec, exec, s[2:3]
	s_cbranch_execz .LBB117_422
; %bb.417:
	v_cmp_ngt_f64_e64 s[2:3], |v[208:209]|, |v[210:211]|
                                        ; implicit-def: $vgpr204_vgpr205
	s_and_saveexec_b64 s[10:11], s[2:3]
	s_xor_b64 s[2:3], exec, s[10:11]
                                        ; implicit-def: $vgpr206_vgpr207
	s_cbranch_execz .LBB117_419
; %bb.418:
	v_div_scale_f64 v[204:205], s[10:11], v[210:211], v[210:211], v[208:209]
	v_rcp_f64_e32 v[206:207], v[204:205]
	v_div_scale_f64 v[212:213], vcc, v[208:209], v[210:211], v[208:209]
	v_fma_f64 v[214:215], -v[204:205], v[206:207], 1.0
	v_fmac_f64_e32 v[206:207], v[206:207], v[214:215]
	v_fma_f64 v[214:215], -v[204:205], v[206:207], 1.0
	v_fmac_f64_e32 v[206:207], v[206:207], v[214:215]
	v_mul_f64 v[214:215], v[212:213], v[206:207]
	v_fma_f64 v[204:205], -v[204:205], v[214:215], v[212:213]
	v_div_fmas_f64 v[204:205], v[204:205], v[206:207], v[214:215]
	v_div_fixup_f64 v[204:205], v[204:205], v[210:211], v[208:209]
	v_fmac_f64_e32 v[210:211], v[208:209], v[204:205]
	v_div_scale_f64 v[206:207], s[10:11], v[210:211], v[210:211], 1.0
	v_rcp_f64_e32 v[208:209], v[206:207]
	s_nop 0
	v_fma_f64 v[212:213], -v[206:207], v[208:209], 1.0
	v_fmac_f64_e32 v[208:209], v[208:209], v[212:213]
	v_fma_f64 v[212:213], -v[206:207], v[208:209], 1.0
	v_fmac_f64_e32 v[208:209], v[208:209], v[212:213]
	v_div_scale_f64 v[212:213], vcc, 1.0, v[210:211], 1.0
	v_mul_f64 v[214:215], v[212:213], v[208:209]
	v_fma_f64 v[206:207], -v[206:207], v[214:215], v[212:213]
	s_nop 1
	v_div_fmas_f64 v[206:207], v[206:207], v[208:209], v[214:215]
	v_div_fixup_f64 v[206:207], v[206:207], v[210:211], 1.0
	v_mul_f64 v[204:205], v[204:205], v[206:207]
	v_xor_b32_e32 v207, 0x80000000, v207
                                        ; implicit-def: $vgpr208_vgpr209
.LBB117_419:
	s_andn2_saveexec_b64 s[2:3], s[2:3]
	s_cbranch_execz .LBB117_421
; %bb.420:
	v_div_scale_f64 v[204:205], s[10:11], v[208:209], v[208:209], v[210:211]
	v_rcp_f64_e32 v[206:207], v[204:205]
	v_div_scale_f64 v[212:213], vcc, v[210:211], v[208:209], v[210:211]
	v_fma_f64 v[214:215], -v[204:205], v[206:207], 1.0
	v_fmac_f64_e32 v[206:207], v[206:207], v[214:215]
	v_fma_f64 v[214:215], -v[204:205], v[206:207], 1.0
	v_fmac_f64_e32 v[206:207], v[206:207], v[214:215]
	v_mul_f64 v[214:215], v[212:213], v[206:207]
	v_fma_f64 v[204:205], -v[204:205], v[214:215], v[212:213]
	v_div_fmas_f64 v[204:205], v[204:205], v[206:207], v[214:215]
	v_div_fixup_f64 v[206:207], v[204:205], v[208:209], v[210:211]
	v_fmac_f64_e32 v[208:209], v[210:211], v[206:207]
	v_div_scale_f64 v[204:205], s[10:11], v[208:209], v[208:209], 1.0
	v_rcp_f64_e32 v[210:211], v[204:205]
	s_nop 0
	v_fma_f64 v[212:213], -v[204:205], v[210:211], 1.0
	v_fmac_f64_e32 v[210:211], v[210:211], v[212:213]
	v_fma_f64 v[212:213], -v[204:205], v[210:211], 1.0
	v_fmac_f64_e32 v[210:211], v[210:211], v[212:213]
	v_div_scale_f64 v[212:213], vcc, 1.0, v[208:209], 1.0
	v_mul_f64 v[214:215], v[212:213], v[210:211]
	v_fma_f64 v[204:205], -v[204:205], v[214:215], v[212:213]
	s_nop 1
	v_div_fmas_f64 v[204:205], v[204:205], v[210:211], v[214:215]
	v_div_fixup_f64 v[204:205], v[204:205], v[208:209], 1.0
	v_mul_f64 v[206:207], v[206:207], -v[204:205]
.LBB117_421:
	s_or_b64 exec, exec, s[2:3]
	ds_write2_b64 v201, v[204:205], v[206:207] offset1:1
.LBB117_422:
	s_or_b64 exec, exec, s[4:5]
	s_waitcnt lgkmcnt(0)
	s_barrier
	ds_read2_b64 v[192:195], v201 offset1:1
	v_cmp_lt_u32_e32 vcc, 46, v200
	s_waitcnt lgkmcnt(0)
	scratch_store_dwordx4 off, v[192:195], off offset:1352 ; 16-byte Folded Spill
	s_and_saveexec_b64 s[2:3], vcc
	s_cbranch_execz .LBB117_424
; %bb.423:
	scratch_load_dwordx4 v[192:195], off, off offset:1352 ; 16-byte Folded Reload
	ds_read2_b64 v[204:207], v202 offset0:94 offset1:95
	s_waitcnt vmcnt(0)
	v_mul_f64 v[208:209], v[192:193], v[46:47]
	v_fmac_f64_e32 v[208:209], v[194:195], v[44:45]
	v_mul_f64 v[46:47], v[194:195], v[46:47]
	v_fma_f64 v[44:45], v[192:193], v[44:45], -v[46:47]
	s_waitcnt lgkmcnt(0)
	v_mul_f64 v[46:47], v[206:207], v[208:209]
	v_fma_f64 v[46:47], v[204:205], v[44:45], -v[46:47]
	v_mul_f64 v[204:205], v[204:205], v[208:209]
	v_fmac_f64_e32 v[204:205], v[206:207], v[44:45]
	v_add_f64 v[42:43], v[42:43], -v[204:205]
	ds_read2_b64 v[204:207], v202 offset0:96 offset1:97
	v_add_f64 v[40:41], v[40:41], -v[46:47]
	s_waitcnt lgkmcnt(0)
	v_mul_f64 v[46:47], v[206:207], v[208:209]
	v_fma_f64 v[46:47], v[204:205], v[44:45], -v[46:47]
	v_mul_f64 v[204:205], v[204:205], v[208:209]
	v_fmac_f64_e32 v[204:205], v[206:207], v[44:45]
	v_add_f64 v[38:39], v[38:39], -v[204:205]
	ds_read2_b64 v[204:207], v202 offset0:98 offset1:99
	v_add_f64 v[36:37], v[36:37], -v[46:47]
	;; [unrolled: 8-line block ×11, first 2 shown]
	s_waitcnt lgkmcnt(0)
	v_mul_f64 v[46:47], v[206:207], v[208:209]
	v_fma_f64 v[46:47], v[204:205], v[44:45], -v[46:47]
	v_mul_f64 v[204:205], v[204:205], v[208:209]
	v_fmac_f64_e32 v[204:205], v[206:207], v[44:45]
	v_add_f64 v[232:233], v[232:233], -v[46:47]
	v_add_f64 v[234:235], v[234:235], -v[204:205]
	v_mov_b64_e32 v[46:47], v[208:209]
.LBB117_424:
	s_or_b64 exec, exec, s[2:3]
	v_cmp_eq_u32_e32 vcc, 47, v200
	s_waitcnt vmcnt(63) expcnt(7) lgkmcnt(15)
	s_barrier
	s_and_saveexec_b64 s[4:5], vcc
	s_cbranch_execz .LBB117_431
; %bb.425:
	ds_write2_b64 v201, v[40:41], v[42:43] offset1:1
	ds_write2_b64 v202, v[36:37], v[38:39] offset0:96 offset1:97
	ds_write2_b64 v202, v[32:33], v[34:35] offset0:98 offset1:99
	;; [unrolled: 1-line block ×11, first 2 shown]
	ds_read2_b64 v[208:211], v201 offset1:1
	s_waitcnt lgkmcnt(0)
	v_cmp_neq_f64_e32 vcc, 0, v[208:209]
	v_cmp_neq_f64_e64 s[2:3], 0, v[210:211]
	s_or_b64 s[2:3], vcc, s[2:3]
	s_and_b64 exec, exec, s[2:3]
	s_cbranch_execz .LBB117_431
; %bb.426:
	v_cmp_ngt_f64_e64 s[2:3], |v[208:209]|, |v[210:211]|
                                        ; implicit-def: $vgpr204_vgpr205
	s_and_saveexec_b64 s[10:11], s[2:3]
	s_xor_b64 s[2:3], exec, s[10:11]
                                        ; implicit-def: $vgpr206_vgpr207
	s_cbranch_execz .LBB117_428
; %bb.427:
	v_div_scale_f64 v[204:205], s[10:11], v[210:211], v[210:211], v[208:209]
	v_rcp_f64_e32 v[206:207], v[204:205]
	v_div_scale_f64 v[212:213], vcc, v[208:209], v[210:211], v[208:209]
	v_fma_f64 v[214:215], -v[204:205], v[206:207], 1.0
	v_fmac_f64_e32 v[206:207], v[206:207], v[214:215]
	v_fma_f64 v[214:215], -v[204:205], v[206:207], 1.0
	v_fmac_f64_e32 v[206:207], v[206:207], v[214:215]
	v_mul_f64 v[214:215], v[212:213], v[206:207]
	v_fma_f64 v[204:205], -v[204:205], v[214:215], v[212:213]
	v_div_fmas_f64 v[204:205], v[204:205], v[206:207], v[214:215]
	v_div_fixup_f64 v[204:205], v[204:205], v[210:211], v[208:209]
	v_fmac_f64_e32 v[210:211], v[208:209], v[204:205]
	v_div_scale_f64 v[206:207], s[10:11], v[210:211], v[210:211], 1.0
	v_rcp_f64_e32 v[208:209], v[206:207]
	s_nop 0
	v_fma_f64 v[212:213], -v[206:207], v[208:209], 1.0
	v_fmac_f64_e32 v[208:209], v[208:209], v[212:213]
	v_fma_f64 v[212:213], -v[206:207], v[208:209], 1.0
	v_fmac_f64_e32 v[208:209], v[208:209], v[212:213]
	v_div_scale_f64 v[212:213], vcc, 1.0, v[210:211], 1.0
	v_mul_f64 v[214:215], v[212:213], v[208:209]
	v_fma_f64 v[206:207], -v[206:207], v[214:215], v[212:213]
	s_nop 1
	v_div_fmas_f64 v[206:207], v[206:207], v[208:209], v[214:215]
	v_div_fixup_f64 v[206:207], v[206:207], v[210:211], 1.0
	v_mul_f64 v[204:205], v[204:205], v[206:207]
	v_xor_b32_e32 v207, 0x80000000, v207
                                        ; implicit-def: $vgpr208_vgpr209
.LBB117_428:
	s_andn2_saveexec_b64 s[2:3], s[2:3]
	s_cbranch_execz .LBB117_430
; %bb.429:
	v_div_scale_f64 v[204:205], s[10:11], v[208:209], v[208:209], v[210:211]
	v_rcp_f64_e32 v[206:207], v[204:205]
	v_div_scale_f64 v[212:213], vcc, v[210:211], v[208:209], v[210:211]
	v_fma_f64 v[214:215], -v[204:205], v[206:207], 1.0
	v_fmac_f64_e32 v[206:207], v[206:207], v[214:215]
	v_fma_f64 v[214:215], -v[204:205], v[206:207], 1.0
	v_fmac_f64_e32 v[206:207], v[206:207], v[214:215]
	v_mul_f64 v[214:215], v[212:213], v[206:207]
	v_fma_f64 v[204:205], -v[204:205], v[214:215], v[212:213]
	v_div_fmas_f64 v[204:205], v[204:205], v[206:207], v[214:215]
	v_div_fixup_f64 v[206:207], v[204:205], v[208:209], v[210:211]
	v_fmac_f64_e32 v[208:209], v[210:211], v[206:207]
	v_div_scale_f64 v[204:205], s[10:11], v[208:209], v[208:209], 1.0
	v_rcp_f64_e32 v[210:211], v[204:205]
	s_nop 0
	v_fma_f64 v[212:213], -v[204:205], v[210:211], 1.0
	v_fmac_f64_e32 v[210:211], v[210:211], v[212:213]
	v_fma_f64 v[212:213], -v[204:205], v[210:211], 1.0
	v_fmac_f64_e32 v[210:211], v[210:211], v[212:213]
	v_div_scale_f64 v[212:213], vcc, 1.0, v[208:209], 1.0
	v_mul_f64 v[214:215], v[212:213], v[210:211]
	v_fma_f64 v[204:205], -v[204:205], v[214:215], v[212:213]
	s_nop 1
	v_div_fmas_f64 v[204:205], v[204:205], v[210:211], v[214:215]
	v_div_fixup_f64 v[204:205], v[204:205], v[208:209], 1.0
	v_mul_f64 v[206:207], v[206:207], -v[204:205]
.LBB117_430:
	s_or_b64 exec, exec, s[2:3]
	ds_write2_b64 v201, v[204:205], v[206:207] offset1:1
.LBB117_431:
	s_or_b64 exec, exec, s[4:5]
	s_waitcnt lgkmcnt(0)
	s_barrier
	ds_read2_b64 v[248:251], v201 offset1:1
	v_cmp_lt_u32_e32 vcc, 47, v200
	s_and_saveexec_b64 s[2:3], vcc
	s_cbranch_execz .LBB117_433
; %bb.432:
	ds_read2_b64 v[204:207], v202 offset0:96 offset1:97
	s_waitcnt lgkmcnt(1)
	v_mul_f64 v[208:209], v[248:249], v[42:43]
	v_fmac_f64_e32 v[208:209], v[250:251], v[40:41]
	v_mul_f64 v[42:43], v[250:251], v[42:43]
	v_fma_f64 v[40:41], v[248:249], v[40:41], -v[42:43]
	s_waitcnt lgkmcnt(0)
	v_mul_f64 v[42:43], v[206:207], v[208:209]
	v_fma_f64 v[42:43], v[204:205], v[40:41], -v[42:43]
	v_mul_f64 v[204:205], v[204:205], v[208:209]
	v_fmac_f64_e32 v[204:205], v[206:207], v[40:41]
	v_add_f64 v[38:39], v[38:39], -v[204:205]
	ds_read2_b64 v[204:207], v202 offset0:98 offset1:99
	v_add_f64 v[36:37], v[36:37], -v[42:43]
	s_waitcnt lgkmcnt(0)
	v_mul_f64 v[42:43], v[206:207], v[208:209]
	v_fma_f64 v[42:43], v[204:205], v[40:41], -v[42:43]
	v_mul_f64 v[204:205], v[204:205], v[208:209]
	v_fmac_f64_e32 v[204:205], v[206:207], v[40:41]
	v_add_f64 v[34:35], v[34:35], -v[204:205]
	ds_read2_b64 v[204:207], v202 offset0:100 offset1:101
	v_add_f64 v[32:33], v[32:33], -v[42:43]
	;; [unrolled: 8-line block ×10, first 2 shown]
	s_waitcnt lgkmcnt(0)
	v_mul_f64 v[42:43], v[206:207], v[208:209]
	v_fma_f64 v[42:43], v[204:205], v[40:41], -v[42:43]
	v_mul_f64 v[204:205], v[204:205], v[208:209]
	v_fmac_f64_e32 v[204:205], v[206:207], v[40:41]
	v_add_f64 v[232:233], v[232:233], -v[42:43]
	v_add_f64 v[234:235], v[234:235], -v[204:205]
	v_mov_b64_e32 v[42:43], v[208:209]
.LBB117_433:
	s_or_b64 exec, exec, s[2:3]
	v_cmp_eq_u32_e32 vcc, 48, v200
	s_waitcnt lgkmcnt(0)
	s_barrier
	s_and_saveexec_b64 s[4:5], vcc
	s_cbranch_execz .LBB117_440
; %bb.434:
	ds_write2_b64 v201, v[36:37], v[38:39] offset1:1
	ds_write2_b64 v202, v[32:33], v[34:35] offset0:98 offset1:99
	ds_write2_b64 v202, v[28:29], v[30:31] offset0:100 offset1:101
	;; [unrolled: 1-line block ×10, first 2 shown]
	ds_read2_b64 v[208:211], v201 offset1:1
	s_waitcnt lgkmcnt(0)
	v_cmp_neq_f64_e32 vcc, 0, v[208:209]
	v_cmp_neq_f64_e64 s[2:3], 0, v[210:211]
	s_or_b64 s[2:3], vcc, s[2:3]
	s_and_b64 exec, exec, s[2:3]
	s_cbranch_execz .LBB117_440
; %bb.435:
	v_cmp_ngt_f64_e64 s[2:3], |v[208:209]|, |v[210:211]|
                                        ; implicit-def: $vgpr204_vgpr205
	s_and_saveexec_b64 s[10:11], s[2:3]
	s_xor_b64 s[2:3], exec, s[10:11]
                                        ; implicit-def: $vgpr206_vgpr207
	s_cbranch_execz .LBB117_437
; %bb.436:
	v_div_scale_f64 v[204:205], s[10:11], v[210:211], v[210:211], v[208:209]
	v_rcp_f64_e32 v[206:207], v[204:205]
	v_div_scale_f64 v[212:213], vcc, v[208:209], v[210:211], v[208:209]
	v_fma_f64 v[214:215], -v[204:205], v[206:207], 1.0
	v_fmac_f64_e32 v[206:207], v[206:207], v[214:215]
	v_fma_f64 v[214:215], -v[204:205], v[206:207], 1.0
	v_fmac_f64_e32 v[206:207], v[206:207], v[214:215]
	v_mul_f64 v[214:215], v[212:213], v[206:207]
	v_fma_f64 v[204:205], -v[204:205], v[214:215], v[212:213]
	v_div_fmas_f64 v[204:205], v[204:205], v[206:207], v[214:215]
	v_div_fixup_f64 v[204:205], v[204:205], v[210:211], v[208:209]
	v_fmac_f64_e32 v[210:211], v[208:209], v[204:205]
	v_div_scale_f64 v[206:207], s[10:11], v[210:211], v[210:211], 1.0
	v_rcp_f64_e32 v[208:209], v[206:207]
	s_nop 0
	v_fma_f64 v[212:213], -v[206:207], v[208:209], 1.0
	v_fmac_f64_e32 v[208:209], v[208:209], v[212:213]
	v_fma_f64 v[212:213], -v[206:207], v[208:209], 1.0
	v_fmac_f64_e32 v[208:209], v[208:209], v[212:213]
	v_div_scale_f64 v[212:213], vcc, 1.0, v[210:211], 1.0
	v_mul_f64 v[214:215], v[212:213], v[208:209]
	v_fma_f64 v[206:207], -v[206:207], v[214:215], v[212:213]
	s_nop 1
	v_div_fmas_f64 v[206:207], v[206:207], v[208:209], v[214:215]
	v_div_fixup_f64 v[206:207], v[206:207], v[210:211], 1.0
	v_mul_f64 v[204:205], v[204:205], v[206:207]
	v_xor_b32_e32 v207, 0x80000000, v207
                                        ; implicit-def: $vgpr208_vgpr209
.LBB117_437:
	s_andn2_saveexec_b64 s[2:3], s[2:3]
	s_cbranch_execz .LBB117_439
; %bb.438:
	v_div_scale_f64 v[204:205], s[10:11], v[208:209], v[208:209], v[210:211]
	v_rcp_f64_e32 v[206:207], v[204:205]
	v_div_scale_f64 v[212:213], vcc, v[210:211], v[208:209], v[210:211]
	v_fma_f64 v[214:215], -v[204:205], v[206:207], 1.0
	v_fmac_f64_e32 v[206:207], v[206:207], v[214:215]
	v_fma_f64 v[214:215], -v[204:205], v[206:207], 1.0
	v_fmac_f64_e32 v[206:207], v[206:207], v[214:215]
	v_mul_f64 v[214:215], v[212:213], v[206:207]
	v_fma_f64 v[204:205], -v[204:205], v[214:215], v[212:213]
	v_div_fmas_f64 v[204:205], v[204:205], v[206:207], v[214:215]
	v_div_fixup_f64 v[206:207], v[204:205], v[208:209], v[210:211]
	v_fmac_f64_e32 v[208:209], v[210:211], v[206:207]
	v_div_scale_f64 v[204:205], s[10:11], v[208:209], v[208:209], 1.0
	v_rcp_f64_e32 v[210:211], v[204:205]
	s_nop 0
	v_fma_f64 v[212:213], -v[204:205], v[210:211], 1.0
	v_fmac_f64_e32 v[210:211], v[210:211], v[212:213]
	v_fma_f64 v[212:213], -v[204:205], v[210:211], 1.0
	v_fmac_f64_e32 v[210:211], v[210:211], v[212:213]
	v_div_scale_f64 v[212:213], vcc, 1.0, v[208:209], 1.0
	v_mul_f64 v[214:215], v[212:213], v[210:211]
	v_fma_f64 v[204:205], -v[204:205], v[214:215], v[212:213]
	s_nop 1
	v_div_fmas_f64 v[204:205], v[204:205], v[210:211], v[214:215]
	v_div_fixup_f64 v[204:205], v[204:205], v[208:209], 1.0
	v_mul_f64 v[206:207], v[206:207], -v[204:205]
.LBB117_439:
	s_or_b64 exec, exec, s[2:3]
	ds_write2_b64 v201, v[204:205], v[206:207] offset1:1
.LBB117_440:
	s_or_b64 exec, exec, s[4:5]
	s_waitcnt lgkmcnt(0)
	s_barrier
	ds_read2_b64 v[252:255], v201 offset1:1
	v_cmp_lt_u32_e32 vcc, 48, v200
	s_and_saveexec_b64 s[2:3], vcc
	s_cbranch_execz .LBB117_442
; %bb.441:
	ds_read2_b64 v[204:207], v202 offset0:98 offset1:99
	s_waitcnt lgkmcnt(1)
	v_mul_f64 v[208:209], v[252:253], v[38:39]
	v_fmac_f64_e32 v[208:209], v[254:255], v[36:37]
	v_mul_f64 v[38:39], v[254:255], v[38:39]
	v_fma_f64 v[36:37], v[252:253], v[36:37], -v[38:39]
	s_waitcnt lgkmcnt(0)
	v_mul_f64 v[38:39], v[206:207], v[208:209]
	v_fma_f64 v[38:39], v[204:205], v[36:37], -v[38:39]
	v_mul_f64 v[204:205], v[204:205], v[208:209]
	v_fmac_f64_e32 v[204:205], v[206:207], v[36:37]
	v_add_f64 v[34:35], v[34:35], -v[204:205]
	ds_read2_b64 v[204:207], v202 offset0:100 offset1:101
	v_add_f64 v[32:33], v[32:33], -v[38:39]
	s_waitcnt lgkmcnt(0)
	v_mul_f64 v[38:39], v[206:207], v[208:209]
	v_fma_f64 v[38:39], v[204:205], v[36:37], -v[38:39]
	v_mul_f64 v[204:205], v[204:205], v[208:209]
	v_fmac_f64_e32 v[204:205], v[206:207], v[36:37]
	v_add_f64 v[30:31], v[30:31], -v[204:205]
	ds_read2_b64 v[204:207], v202 offset0:102 offset1:103
	v_add_f64 v[28:29], v[28:29], -v[38:39]
	;; [unrolled: 8-line block ×9, first 2 shown]
	s_waitcnt lgkmcnt(0)
	v_mul_f64 v[38:39], v[206:207], v[208:209]
	v_fma_f64 v[38:39], v[204:205], v[36:37], -v[38:39]
	v_mul_f64 v[204:205], v[204:205], v[208:209]
	v_fmac_f64_e32 v[204:205], v[206:207], v[36:37]
	v_add_f64 v[232:233], v[232:233], -v[38:39]
	v_add_f64 v[234:235], v[234:235], -v[204:205]
	v_mov_b64_e32 v[38:39], v[208:209]
.LBB117_442:
	s_or_b64 exec, exec, s[2:3]
	v_cmp_eq_u32_e32 vcc, 49, v200
	s_waitcnt lgkmcnt(0)
	s_barrier
	s_and_saveexec_b64 s[4:5], vcc
	s_cbranch_execz .LBB117_449
; %bb.443:
	ds_write2_b64 v201, v[32:33], v[34:35] offset1:1
	ds_write2_b64 v202, v[28:29], v[30:31] offset0:100 offset1:101
	ds_write2_b64 v202, v[24:25], v[26:27] offset0:102 offset1:103
	;; [unrolled: 1-line block ×9, first 2 shown]
	ds_read2_b64 v[208:211], v201 offset1:1
	s_waitcnt lgkmcnt(0)
	v_cmp_neq_f64_e32 vcc, 0, v[208:209]
	v_cmp_neq_f64_e64 s[2:3], 0, v[210:211]
	s_or_b64 s[2:3], vcc, s[2:3]
	s_and_b64 exec, exec, s[2:3]
	s_cbranch_execz .LBB117_449
; %bb.444:
	v_cmp_ngt_f64_e64 s[2:3], |v[208:209]|, |v[210:211]|
                                        ; implicit-def: $vgpr204_vgpr205
	s_and_saveexec_b64 s[10:11], s[2:3]
	s_xor_b64 s[2:3], exec, s[10:11]
                                        ; implicit-def: $vgpr206_vgpr207
	s_cbranch_execz .LBB117_446
; %bb.445:
	v_div_scale_f64 v[204:205], s[10:11], v[210:211], v[210:211], v[208:209]
	v_rcp_f64_e32 v[206:207], v[204:205]
	v_div_scale_f64 v[212:213], vcc, v[208:209], v[210:211], v[208:209]
	v_fma_f64 v[214:215], -v[204:205], v[206:207], 1.0
	v_fmac_f64_e32 v[206:207], v[206:207], v[214:215]
	v_fma_f64 v[214:215], -v[204:205], v[206:207], 1.0
	v_fmac_f64_e32 v[206:207], v[206:207], v[214:215]
	v_mul_f64 v[214:215], v[212:213], v[206:207]
	v_fma_f64 v[204:205], -v[204:205], v[214:215], v[212:213]
	v_div_fmas_f64 v[204:205], v[204:205], v[206:207], v[214:215]
	v_div_fixup_f64 v[204:205], v[204:205], v[210:211], v[208:209]
	v_fmac_f64_e32 v[210:211], v[208:209], v[204:205]
	v_div_scale_f64 v[206:207], s[10:11], v[210:211], v[210:211], 1.0
	v_rcp_f64_e32 v[208:209], v[206:207]
	s_nop 0
	v_fma_f64 v[212:213], -v[206:207], v[208:209], 1.0
	v_fmac_f64_e32 v[208:209], v[208:209], v[212:213]
	v_fma_f64 v[212:213], -v[206:207], v[208:209], 1.0
	v_fmac_f64_e32 v[208:209], v[208:209], v[212:213]
	v_div_scale_f64 v[212:213], vcc, 1.0, v[210:211], 1.0
	v_mul_f64 v[214:215], v[212:213], v[208:209]
	v_fma_f64 v[206:207], -v[206:207], v[214:215], v[212:213]
	s_nop 1
	v_div_fmas_f64 v[206:207], v[206:207], v[208:209], v[214:215]
	v_div_fixup_f64 v[206:207], v[206:207], v[210:211], 1.0
	v_mul_f64 v[204:205], v[204:205], v[206:207]
	v_xor_b32_e32 v207, 0x80000000, v207
                                        ; implicit-def: $vgpr208_vgpr209
.LBB117_446:
	s_andn2_saveexec_b64 s[2:3], s[2:3]
	s_cbranch_execz .LBB117_448
; %bb.447:
	v_div_scale_f64 v[204:205], s[10:11], v[208:209], v[208:209], v[210:211]
	v_rcp_f64_e32 v[206:207], v[204:205]
	v_div_scale_f64 v[212:213], vcc, v[210:211], v[208:209], v[210:211]
	v_fma_f64 v[214:215], -v[204:205], v[206:207], 1.0
	v_fmac_f64_e32 v[206:207], v[206:207], v[214:215]
	v_fma_f64 v[214:215], -v[204:205], v[206:207], 1.0
	v_fmac_f64_e32 v[206:207], v[206:207], v[214:215]
	v_mul_f64 v[214:215], v[212:213], v[206:207]
	v_fma_f64 v[204:205], -v[204:205], v[214:215], v[212:213]
	v_div_fmas_f64 v[204:205], v[204:205], v[206:207], v[214:215]
	v_div_fixup_f64 v[206:207], v[204:205], v[208:209], v[210:211]
	v_fmac_f64_e32 v[208:209], v[210:211], v[206:207]
	v_div_scale_f64 v[204:205], s[10:11], v[208:209], v[208:209], 1.0
	v_rcp_f64_e32 v[210:211], v[204:205]
	s_nop 0
	v_fma_f64 v[212:213], -v[204:205], v[210:211], 1.0
	v_fmac_f64_e32 v[210:211], v[210:211], v[212:213]
	v_fma_f64 v[212:213], -v[204:205], v[210:211], 1.0
	v_fmac_f64_e32 v[210:211], v[210:211], v[212:213]
	v_div_scale_f64 v[212:213], vcc, 1.0, v[208:209], 1.0
	v_mul_f64 v[214:215], v[212:213], v[210:211]
	v_fma_f64 v[204:205], -v[204:205], v[214:215], v[212:213]
	s_nop 1
	v_div_fmas_f64 v[204:205], v[204:205], v[210:211], v[214:215]
	v_div_fixup_f64 v[204:205], v[204:205], v[208:209], 1.0
	v_mul_f64 v[206:207], v[206:207], -v[204:205]
.LBB117_448:
	s_or_b64 exec, exec, s[2:3]
	ds_write2_b64 v201, v[204:205], v[206:207] offset1:1
.LBB117_449:
	s_or_b64 exec, exec, s[4:5]
	s_waitcnt lgkmcnt(0)
	s_barrier
	ds_read2_b64 v[236:239], v201 offset1:1
	v_cmp_lt_u32_e32 vcc, 49, v200
	s_and_saveexec_b64 s[2:3], vcc
	s_cbranch_execz .LBB117_451
; %bb.450:
	ds_read2_b64 v[204:207], v202 offset0:100 offset1:101
	s_waitcnt lgkmcnt(1)
	v_mul_f64 v[208:209], v[236:237], v[34:35]
	v_fmac_f64_e32 v[208:209], v[238:239], v[32:33]
	v_mul_f64 v[34:35], v[238:239], v[34:35]
	v_fma_f64 v[32:33], v[236:237], v[32:33], -v[34:35]
	s_waitcnt lgkmcnt(0)
	v_mul_f64 v[34:35], v[206:207], v[208:209]
	v_fma_f64 v[34:35], v[204:205], v[32:33], -v[34:35]
	v_mul_f64 v[204:205], v[204:205], v[208:209]
	v_fmac_f64_e32 v[204:205], v[206:207], v[32:33]
	v_add_f64 v[30:31], v[30:31], -v[204:205]
	ds_read2_b64 v[204:207], v202 offset0:102 offset1:103
	v_add_f64 v[28:29], v[28:29], -v[34:35]
	s_waitcnt lgkmcnt(0)
	v_mul_f64 v[34:35], v[206:207], v[208:209]
	v_fma_f64 v[34:35], v[204:205], v[32:33], -v[34:35]
	v_mul_f64 v[204:205], v[204:205], v[208:209]
	v_fmac_f64_e32 v[204:205], v[206:207], v[32:33]
	v_add_f64 v[26:27], v[26:27], -v[204:205]
	ds_read2_b64 v[204:207], v202 offset0:104 offset1:105
	v_add_f64 v[24:25], v[24:25], -v[34:35]
	;; [unrolled: 8-line block ×8, first 2 shown]
	s_waitcnt lgkmcnt(0)
	v_mul_f64 v[34:35], v[206:207], v[208:209]
	v_fma_f64 v[34:35], v[204:205], v[32:33], -v[34:35]
	v_mul_f64 v[204:205], v[204:205], v[208:209]
	v_fmac_f64_e32 v[204:205], v[206:207], v[32:33]
	v_add_f64 v[232:233], v[232:233], -v[34:35]
	v_add_f64 v[234:235], v[234:235], -v[204:205]
	v_mov_b64_e32 v[34:35], v[208:209]
.LBB117_451:
	s_or_b64 exec, exec, s[2:3]
	v_cmp_eq_u32_e32 vcc, 50, v200
	s_waitcnt lgkmcnt(0)
	s_barrier
	s_and_saveexec_b64 s[4:5], vcc
	s_cbranch_execz .LBB117_458
; %bb.452:
	ds_write2_b64 v201, v[28:29], v[30:31] offset1:1
	ds_write2_b64 v202, v[24:25], v[26:27] offset0:102 offset1:103
	ds_write2_b64 v202, v[20:21], v[22:23] offset0:104 offset1:105
	;; [unrolled: 1-line block ×8, first 2 shown]
	ds_read2_b64 v[208:211], v201 offset1:1
	s_waitcnt lgkmcnt(0)
	v_cmp_neq_f64_e32 vcc, 0, v[208:209]
	v_cmp_neq_f64_e64 s[2:3], 0, v[210:211]
	s_or_b64 s[2:3], vcc, s[2:3]
	s_and_b64 exec, exec, s[2:3]
	s_cbranch_execz .LBB117_458
; %bb.453:
	v_cmp_ngt_f64_e64 s[2:3], |v[208:209]|, |v[210:211]|
                                        ; implicit-def: $vgpr204_vgpr205
	s_and_saveexec_b64 s[10:11], s[2:3]
	s_xor_b64 s[2:3], exec, s[10:11]
                                        ; implicit-def: $vgpr206_vgpr207
	s_cbranch_execz .LBB117_455
; %bb.454:
	v_div_scale_f64 v[204:205], s[10:11], v[210:211], v[210:211], v[208:209]
	v_rcp_f64_e32 v[206:207], v[204:205]
	v_div_scale_f64 v[212:213], vcc, v[208:209], v[210:211], v[208:209]
	v_fma_f64 v[214:215], -v[204:205], v[206:207], 1.0
	v_fmac_f64_e32 v[206:207], v[206:207], v[214:215]
	v_fma_f64 v[214:215], -v[204:205], v[206:207], 1.0
	v_fmac_f64_e32 v[206:207], v[206:207], v[214:215]
	v_mul_f64 v[214:215], v[212:213], v[206:207]
	v_fma_f64 v[204:205], -v[204:205], v[214:215], v[212:213]
	v_div_fmas_f64 v[204:205], v[204:205], v[206:207], v[214:215]
	v_div_fixup_f64 v[204:205], v[204:205], v[210:211], v[208:209]
	v_fmac_f64_e32 v[210:211], v[208:209], v[204:205]
	v_div_scale_f64 v[206:207], s[10:11], v[210:211], v[210:211], 1.0
	v_rcp_f64_e32 v[208:209], v[206:207]
	s_nop 0
	v_fma_f64 v[212:213], -v[206:207], v[208:209], 1.0
	v_fmac_f64_e32 v[208:209], v[208:209], v[212:213]
	v_fma_f64 v[212:213], -v[206:207], v[208:209], 1.0
	v_fmac_f64_e32 v[208:209], v[208:209], v[212:213]
	v_div_scale_f64 v[212:213], vcc, 1.0, v[210:211], 1.0
	v_mul_f64 v[214:215], v[212:213], v[208:209]
	v_fma_f64 v[206:207], -v[206:207], v[214:215], v[212:213]
	s_nop 1
	v_div_fmas_f64 v[206:207], v[206:207], v[208:209], v[214:215]
	v_div_fixup_f64 v[206:207], v[206:207], v[210:211], 1.0
	v_mul_f64 v[204:205], v[204:205], v[206:207]
	v_xor_b32_e32 v207, 0x80000000, v207
                                        ; implicit-def: $vgpr208_vgpr209
.LBB117_455:
	s_andn2_saveexec_b64 s[2:3], s[2:3]
	s_cbranch_execz .LBB117_457
; %bb.456:
	v_div_scale_f64 v[204:205], s[10:11], v[208:209], v[208:209], v[210:211]
	v_rcp_f64_e32 v[206:207], v[204:205]
	v_div_scale_f64 v[212:213], vcc, v[210:211], v[208:209], v[210:211]
	v_fma_f64 v[214:215], -v[204:205], v[206:207], 1.0
	v_fmac_f64_e32 v[206:207], v[206:207], v[214:215]
	v_fma_f64 v[214:215], -v[204:205], v[206:207], 1.0
	v_fmac_f64_e32 v[206:207], v[206:207], v[214:215]
	v_mul_f64 v[214:215], v[212:213], v[206:207]
	v_fma_f64 v[204:205], -v[204:205], v[214:215], v[212:213]
	v_div_fmas_f64 v[204:205], v[204:205], v[206:207], v[214:215]
	v_div_fixup_f64 v[206:207], v[204:205], v[208:209], v[210:211]
	v_fmac_f64_e32 v[208:209], v[210:211], v[206:207]
	v_div_scale_f64 v[204:205], s[10:11], v[208:209], v[208:209], 1.0
	v_rcp_f64_e32 v[210:211], v[204:205]
	s_nop 0
	v_fma_f64 v[212:213], -v[204:205], v[210:211], 1.0
	v_fmac_f64_e32 v[210:211], v[210:211], v[212:213]
	v_fma_f64 v[212:213], -v[204:205], v[210:211], 1.0
	v_fmac_f64_e32 v[210:211], v[210:211], v[212:213]
	v_div_scale_f64 v[212:213], vcc, 1.0, v[208:209], 1.0
	v_mul_f64 v[214:215], v[212:213], v[210:211]
	v_fma_f64 v[204:205], -v[204:205], v[214:215], v[212:213]
	s_nop 1
	v_div_fmas_f64 v[204:205], v[204:205], v[210:211], v[214:215]
	v_div_fixup_f64 v[204:205], v[204:205], v[208:209], 1.0
	v_mul_f64 v[206:207], v[206:207], -v[204:205]
.LBB117_457:
	s_or_b64 exec, exec, s[2:3]
	ds_write2_b64 v201, v[204:205], v[206:207] offset1:1
.LBB117_458:
	s_or_b64 exec, exec, s[4:5]
	s_waitcnt lgkmcnt(0)
	s_barrier
	ds_read2_b64 v[192:195], v201 offset1:1
	v_cmp_lt_u32_e32 vcc, 50, v200
	s_waitcnt lgkmcnt(0)
	scratch_store_dwordx4 off, v[192:195], off offset:1368 ; 16-byte Folded Spill
	s_and_saveexec_b64 s[2:3], vcc
	s_cbranch_execz .LBB117_460
; %bb.459:
	scratch_load_dwordx4 v[192:195], off, off offset:1368 ; 16-byte Folded Reload
	ds_read2_b64 v[204:207], v202 offset0:102 offset1:103
	s_waitcnt vmcnt(0)
	v_mul_f64 v[208:209], v[192:193], v[30:31]
	v_fmac_f64_e32 v[208:209], v[194:195], v[28:29]
	v_mul_f64 v[30:31], v[194:195], v[30:31]
	v_fma_f64 v[28:29], v[192:193], v[28:29], -v[30:31]
	s_waitcnt lgkmcnt(0)
	v_mul_f64 v[30:31], v[206:207], v[208:209]
	v_fma_f64 v[30:31], v[204:205], v[28:29], -v[30:31]
	v_mul_f64 v[204:205], v[204:205], v[208:209]
	v_fmac_f64_e32 v[204:205], v[206:207], v[28:29]
	v_add_f64 v[26:27], v[26:27], -v[204:205]
	ds_read2_b64 v[204:207], v202 offset0:104 offset1:105
	v_add_f64 v[24:25], v[24:25], -v[30:31]
	s_waitcnt lgkmcnt(0)
	v_mul_f64 v[30:31], v[206:207], v[208:209]
	v_fma_f64 v[30:31], v[204:205], v[28:29], -v[30:31]
	v_mul_f64 v[204:205], v[204:205], v[208:209]
	v_fmac_f64_e32 v[204:205], v[206:207], v[28:29]
	v_add_f64 v[22:23], v[22:23], -v[204:205]
	ds_read2_b64 v[204:207], v202 offset0:106 offset1:107
	v_add_f64 v[20:21], v[20:21], -v[30:31]
	;; [unrolled: 8-line block ×7, first 2 shown]
	s_waitcnt lgkmcnt(0)
	v_mul_f64 v[30:31], v[206:207], v[208:209]
	v_fma_f64 v[30:31], v[204:205], v[28:29], -v[30:31]
	v_mul_f64 v[204:205], v[204:205], v[208:209]
	v_fmac_f64_e32 v[204:205], v[206:207], v[28:29]
	v_add_f64 v[232:233], v[232:233], -v[30:31]
	v_add_f64 v[234:235], v[234:235], -v[204:205]
	v_mov_b64_e32 v[30:31], v[208:209]
.LBB117_460:
	s_or_b64 exec, exec, s[2:3]
	v_cmp_eq_u32_e32 vcc, 51, v200
	s_waitcnt vmcnt(63) expcnt(7) lgkmcnt(15)
	s_barrier
	s_and_saveexec_b64 s[4:5], vcc
	s_cbranch_execz .LBB117_467
; %bb.461:
	ds_write2_b64 v201, v[24:25], v[26:27] offset1:1
	ds_write2_b64 v202, v[20:21], v[22:23] offset0:104 offset1:105
	ds_write2_b64 v202, v[16:17], v[18:19] offset0:106 offset1:107
	;; [unrolled: 1-line block ×7, first 2 shown]
	ds_read2_b64 v[208:211], v201 offset1:1
	s_waitcnt lgkmcnt(0)
	v_cmp_neq_f64_e32 vcc, 0, v[208:209]
	v_cmp_neq_f64_e64 s[2:3], 0, v[210:211]
	s_or_b64 s[2:3], vcc, s[2:3]
	s_and_b64 exec, exec, s[2:3]
	s_cbranch_execz .LBB117_467
; %bb.462:
	v_cmp_ngt_f64_e64 s[2:3], |v[208:209]|, |v[210:211]|
                                        ; implicit-def: $vgpr204_vgpr205
	s_and_saveexec_b64 s[10:11], s[2:3]
	s_xor_b64 s[2:3], exec, s[10:11]
                                        ; implicit-def: $vgpr206_vgpr207
	s_cbranch_execz .LBB117_464
; %bb.463:
	v_div_scale_f64 v[204:205], s[10:11], v[210:211], v[210:211], v[208:209]
	v_rcp_f64_e32 v[206:207], v[204:205]
	v_div_scale_f64 v[212:213], vcc, v[208:209], v[210:211], v[208:209]
	v_fma_f64 v[214:215], -v[204:205], v[206:207], 1.0
	v_fmac_f64_e32 v[206:207], v[206:207], v[214:215]
	v_fma_f64 v[214:215], -v[204:205], v[206:207], 1.0
	v_fmac_f64_e32 v[206:207], v[206:207], v[214:215]
	v_mul_f64 v[214:215], v[212:213], v[206:207]
	v_fma_f64 v[204:205], -v[204:205], v[214:215], v[212:213]
	v_div_fmas_f64 v[204:205], v[204:205], v[206:207], v[214:215]
	v_div_fixup_f64 v[204:205], v[204:205], v[210:211], v[208:209]
	v_fmac_f64_e32 v[210:211], v[208:209], v[204:205]
	v_div_scale_f64 v[206:207], s[10:11], v[210:211], v[210:211], 1.0
	v_rcp_f64_e32 v[208:209], v[206:207]
	s_nop 0
	v_fma_f64 v[212:213], -v[206:207], v[208:209], 1.0
	v_fmac_f64_e32 v[208:209], v[208:209], v[212:213]
	v_fma_f64 v[212:213], -v[206:207], v[208:209], 1.0
	v_fmac_f64_e32 v[208:209], v[208:209], v[212:213]
	v_div_scale_f64 v[212:213], vcc, 1.0, v[210:211], 1.0
	v_mul_f64 v[214:215], v[212:213], v[208:209]
	v_fma_f64 v[206:207], -v[206:207], v[214:215], v[212:213]
	s_nop 1
	v_div_fmas_f64 v[206:207], v[206:207], v[208:209], v[214:215]
	v_div_fixup_f64 v[206:207], v[206:207], v[210:211], 1.0
	v_mul_f64 v[204:205], v[204:205], v[206:207]
	v_xor_b32_e32 v207, 0x80000000, v207
                                        ; implicit-def: $vgpr208_vgpr209
.LBB117_464:
	s_andn2_saveexec_b64 s[2:3], s[2:3]
	s_cbranch_execz .LBB117_466
; %bb.465:
	v_div_scale_f64 v[204:205], s[10:11], v[208:209], v[208:209], v[210:211]
	v_rcp_f64_e32 v[206:207], v[204:205]
	v_div_scale_f64 v[212:213], vcc, v[210:211], v[208:209], v[210:211]
	v_fma_f64 v[214:215], -v[204:205], v[206:207], 1.0
	v_fmac_f64_e32 v[206:207], v[206:207], v[214:215]
	v_fma_f64 v[214:215], -v[204:205], v[206:207], 1.0
	v_fmac_f64_e32 v[206:207], v[206:207], v[214:215]
	v_mul_f64 v[214:215], v[212:213], v[206:207]
	v_fma_f64 v[204:205], -v[204:205], v[214:215], v[212:213]
	v_div_fmas_f64 v[204:205], v[204:205], v[206:207], v[214:215]
	v_div_fixup_f64 v[206:207], v[204:205], v[208:209], v[210:211]
	v_fmac_f64_e32 v[208:209], v[210:211], v[206:207]
	v_div_scale_f64 v[204:205], s[10:11], v[208:209], v[208:209], 1.0
	v_rcp_f64_e32 v[210:211], v[204:205]
	s_nop 0
	v_fma_f64 v[212:213], -v[204:205], v[210:211], 1.0
	v_fmac_f64_e32 v[210:211], v[210:211], v[212:213]
	v_fma_f64 v[212:213], -v[204:205], v[210:211], 1.0
	v_fmac_f64_e32 v[210:211], v[210:211], v[212:213]
	v_div_scale_f64 v[212:213], vcc, 1.0, v[208:209], 1.0
	v_mul_f64 v[214:215], v[212:213], v[210:211]
	v_fma_f64 v[204:205], -v[204:205], v[214:215], v[212:213]
	s_nop 1
	v_div_fmas_f64 v[204:205], v[204:205], v[210:211], v[214:215]
	v_div_fixup_f64 v[204:205], v[204:205], v[208:209], 1.0
	v_mul_f64 v[206:207], v[206:207], -v[204:205]
.LBB117_466:
	s_or_b64 exec, exec, s[2:3]
	ds_write2_b64 v201, v[204:205], v[206:207] offset1:1
.LBB117_467:
	s_or_b64 exec, exec, s[4:5]
	s_waitcnt lgkmcnt(0)
	s_barrier
	ds_read2_b64 v[240:243], v201 offset1:1
	v_cmp_lt_u32_e32 vcc, 51, v200
	s_and_saveexec_b64 s[2:3], vcc
	s_cbranch_execz .LBB117_469
; %bb.468:
	ds_read2_b64 v[204:207], v202 offset0:104 offset1:105
	s_waitcnt lgkmcnt(1)
	v_mul_f64 v[208:209], v[240:241], v[26:27]
	v_fmac_f64_e32 v[208:209], v[242:243], v[24:25]
	v_mul_f64 v[26:27], v[242:243], v[26:27]
	v_fma_f64 v[24:25], v[240:241], v[24:25], -v[26:27]
	s_waitcnt lgkmcnt(0)
	v_mul_f64 v[26:27], v[206:207], v[208:209]
	v_fma_f64 v[26:27], v[204:205], v[24:25], -v[26:27]
	v_mul_f64 v[204:205], v[204:205], v[208:209]
	v_fmac_f64_e32 v[204:205], v[206:207], v[24:25]
	v_add_f64 v[22:23], v[22:23], -v[204:205]
	ds_read2_b64 v[204:207], v202 offset0:106 offset1:107
	v_add_f64 v[20:21], v[20:21], -v[26:27]
	s_waitcnt lgkmcnt(0)
	v_mul_f64 v[26:27], v[206:207], v[208:209]
	v_fma_f64 v[26:27], v[204:205], v[24:25], -v[26:27]
	v_mul_f64 v[204:205], v[204:205], v[208:209]
	v_fmac_f64_e32 v[204:205], v[206:207], v[24:25]
	v_add_f64 v[18:19], v[18:19], -v[204:205]
	ds_read2_b64 v[204:207], v202 offset0:108 offset1:109
	v_add_f64 v[16:17], v[16:17], -v[26:27]
	;; [unrolled: 8-line block ×6, first 2 shown]
	s_waitcnt lgkmcnt(0)
	v_mul_f64 v[26:27], v[206:207], v[208:209]
	v_fma_f64 v[26:27], v[204:205], v[24:25], -v[26:27]
	v_mul_f64 v[204:205], v[204:205], v[208:209]
	v_fmac_f64_e32 v[204:205], v[206:207], v[24:25]
	v_add_f64 v[232:233], v[232:233], -v[26:27]
	v_add_f64 v[234:235], v[234:235], -v[204:205]
	v_mov_b64_e32 v[26:27], v[208:209]
.LBB117_469:
	s_or_b64 exec, exec, s[2:3]
	v_cmp_eq_u32_e32 vcc, 52, v200
	s_waitcnt lgkmcnt(0)
	s_barrier
	s_and_saveexec_b64 s[4:5], vcc
	s_cbranch_execz .LBB117_476
; %bb.470:
	ds_write2_b64 v201, v[20:21], v[22:23] offset1:1
	ds_write2_b64 v202, v[16:17], v[18:19] offset0:106 offset1:107
	ds_write2_b64 v202, v[12:13], v[14:15] offset0:108 offset1:109
	;; [unrolled: 1-line block ×6, first 2 shown]
	ds_read2_b64 v[208:211], v201 offset1:1
	s_waitcnt lgkmcnt(0)
	v_cmp_neq_f64_e32 vcc, 0, v[208:209]
	v_cmp_neq_f64_e64 s[2:3], 0, v[210:211]
	s_or_b64 s[2:3], vcc, s[2:3]
	s_and_b64 exec, exec, s[2:3]
	s_cbranch_execz .LBB117_476
; %bb.471:
	v_cmp_ngt_f64_e64 s[2:3], |v[208:209]|, |v[210:211]|
                                        ; implicit-def: $vgpr204_vgpr205
	s_and_saveexec_b64 s[10:11], s[2:3]
	s_xor_b64 s[2:3], exec, s[10:11]
                                        ; implicit-def: $vgpr206_vgpr207
	s_cbranch_execz .LBB117_473
; %bb.472:
	v_div_scale_f64 v[204:205], s[10:11], v[210:211], v[210:211], v[208:209]
	v_rcp_f64_e32 v[206:207], v[204:205]
	v_div_scale_f64 v[212:213], vcc, v[208:209], v[210:211], v[208:209]
	v_fma_f64 v[214:215], -v[204:205], v[206:207], 1.0
	v_fmac_f64_e32 v[206:207], v[206:207], v[214:215]
	v_fma_f64 v[214:215], -v[204:205], v[206:207], 1.0
	v_fmac_f64_e32 v[206:207], v[206:207], v[214:215]
	v_mul_f64 v[214:215], v[212:213], v[206:207]
	v_fma_f64 v[204:205], -v[204:205], v[214:215], v[212:213]
	v_div_fmas_f64 v[204:205], v[204:205], v[206:207], v[214:215]
	v_div_fixup_f64 v[204:205], v[204:205], v[210:211], v[208:209]
	v_fmac_f64_e32 v[210:211], v[208:209], v[204:205]
	v_div_scale_f64 v[206:207], s[10:11], v[210:211], v[210:211], 1.0
	v_rcp_f64_e32 v[208:209], v[206:207]
	s_nop 0
	v_fma_f64 v[212:213], -v[206:207], v[208:209], 1.0
	v_fmac_f64_e32 v[208:209], v[208:209], v[212:213]
	v_fma_f64 v[212:213], -v[206:207], v[208:209], 1.0
	v_fmac_f64_e32 v[208:209], v[208:209], v[212:213]
	v_div_scale_f64 v[212:213], vcc, 1.0, v[210:211], 1.0
	v_mul_f64 v[214:215], v[212:213], v[208:209]
	v_fma_f64 v[206:207], -v[206:207], v[214:215], v[212:213]
	s_nop 1
	v_div_fmas_f64 v[206:207], v[206:207], v[208:209], v[214:215]
	v_div_fixup_f64 v[206:207], v[206:207], v[210:211], 1.0
	v_mul_f64 v[204:205], v[204:205], v[206:207]
	v_xor_b32_e32 v207, 0x80000000, v207
                                        ; implicit-def: $vgpr208_vgpr209
.LBB117_473:
	s_andn2_saveexec_b64 s[2:3], s[2:3]
	s_cbranch_execz .LBB117_475
; %bb.474:
	v_div_scale_f64 v[204:205], s[10:11], v[208:209], v[208:209], v[210:211]
	v_rcp_f64_e32 v[206:207], v[204:205]
	v_div_scale_f64 v[212:213], vcc, v[210:211], v[208:209], v[210:211]
	v_fma_f64 v[214:215], -v[204:205], v[206:207], 1.0
	v_fmac_f64_e32 v[206:207], v[206:207], v[214:215]
	v_fma_f64 v[214:215], -v[204:205], v[206:207], 1.0
	v_fmac_f64_e32 v[206:207], v[206:207], v[214:215]
	v_mul_f64 v[214:215], v[212:213], v[206:207]
	v_fma_f64 v[204:205], -v[204:205], v[214:215], v[212:213]
	v_div_fmas_f64 v[204:205], v[204:205], v[206:207], v[214:215]
	v_div_fixup_f64 v[206:207], v[204:205], v[208:209], v[210:211]
	v_fmac_f64_e32 v[208:209], v[210:211], v[206:207]
	v_div_scale_f64 v[204:205], s[10:11], v[208:209], v[208:209], 1.0
	v_rcp_f64_e32 v[210:211], v[204:205]
	s_nop 0
	v_fma_f64 v[212:213], -v[204:205], v[210:211], 1.0
	v_fmac_f64_e32 v[210:211], v[210:211], v[212:213]
	v_fma_f64 v[212:213], -v[204:205], v[210:211], 1.0
	v_fmac_f64_e32 v[210:211], v[210:211], v[212:213]
	v_div_scale_f64 v[212:213], vcc, 1.0, v[208:209], 1.0
	v_mul_f64 v[214:215], v[212:213], v[210:211]
	v_fma_f64 v[204:205], -v[204:205], v[214:215], v[212:213]
	s_nop 1
	v_div_fmas_f64 v[204:205], v[204:205], v[210:211], v[214:215]
	v_div_fixup_f64 v[204:205], v[204:205], v[208:209], 1.0
	v_mul_f64 v[206:207], v[206:207], -v[204:205]
.LBB117_475:
	s_or_b64 exec, exec, s[2:3]
	ds_write2_b64 v201, v[204:205], v[206:207] offset1:1
.LBB117_476:
	s_or_b64 exec, exec, s[4:5]
	s_waitcnt lgkmcnt(0)
	s_barrier
	ds_read2_b64 v[228:231], v201 offset1:1
	v_cmp_lt_u32_e32 vcc, 52, v200
	s_and_saveexec_b64 s[2:3], vcc
	s_cbranch_execz .LBB117_478
; %bb.477:
	ds_read2_b64 v[204:207], v202 offset0:106 offset1:107
	s_waitcnt lgkmcnt(1)
	v_mul_f64 v[208:209], v[228:229], v[22:23]
	v_fmac_f64_e32 v[208:209], v[230:231], v[20:21]
	v_mul_f64 v[22:23], v[230:231], v[22:23]
	v_fma_f64 v[20:21], v[228:229], v[20:21], -v[22:23]
	s_waitcnt lgkmcnt(0)
	v_mul_f64 v[22:23], v[206:207], v[208:209]
	v_fma_f64 v[22:23], v[204:205], v[20:21], -v[22:23]
	v_mul_f64 v[204:205], v[204:205], v[208:209]
	v_fmac_f64_e32 v[204:205], v[206:207], v[20:21]
	v_add_f64 v[18:19], v[18:19], -v[204:205]
	ds_read2_b64 v[204:207], v202 offset0:108 offset1:109
	v_add_f64 v[16:17], v[16:17], -v[22:23]
	s_waitcnt lgkmcnt(0)
	v_mul_f64 v[22:23], v[206:207], v[208:209]
	v_fma_f64 v[22:23], v[204:205], v[20:21], -v[22:23]
	v_mul_f64 v[204:205], v[204:205], v[208:209]
	v_fmac_f64_e32 v[204:205], v[206:207], v[20:21]
	v_add_f64 v[14:15], v[14:15], -v[204:205]
	ds_read2_b64 v[204:207], v202 offset0:110 offset1:111
	v_add_f64 v[12:13], v[12:13], -v[22:23]
	;; [unrolled: 8-line block ×5, first 2 shown]
	s_waitcnt lgkmcnt(0)
	v_mul_f64 v[22:23], v[206:207], v[208:209]
	v_fma_f64 v[22:23], v[204:205], v[20:21], -v[22:23]
	v_mul_f64 v[204:205], v[204:205], v[208:209]
	v_fmac_f64_e32 v[204:205], v[206:207], v[20:21]
	v_add_f64 v[232:233], v[232:233], -v[22:23]
	v_add_f64 v[234:235], v[234:235], -v[204:205]
	v_mov_b64_e32 v[22:23], v[208:209]
.LBB117_478:
	s_or_b64 exec, exec, s[2:3]
	v_cmp_eq_u32_e32 vcc, 53, v200
	s_waitcnt lgkmcnt(0)
	s_barrier
	s_and_saveexec_b64 s[4:5], vcc
	s_cbranch_execz .LBB117_485
; %bb.479:
	ds_write2_b64 v201, v[16:17], v[18:19] offset1:1
	ds_write2_b64 v202, v[12:13], v[14:15] offset0:108 offset1:109
	ds_write2_b64 v202, v[8:9], v[10:11] offset0:110 offset1:111
	;; [unrolled: 1-line block ×5, first 2 shown]
	ds_read2_b64 v[208:211], v201 offset1:1
	s_waitcnt lgkmcnt(0)
	v_cmp_neq_f64_e32 vcc, 0, v[208:209]
	v_cmp_neq_f64_e64 s[2:3], 0, v[210:211]
	s_or_b64 s[2:3], vcc, s[2:3]
	s_and_b64 exec, exec, s[2:3]
	s_cbranch_execz .LBB117_485
; %bb.480:
	v_cmp_ngt_f64_e64 s[2:3], |v[208:209]|, |v[210:211]|
                                        ; implicit-def: $vgpr204_vgpr205
	s_and_saveexec_b64 s[10:11], s[2:3]
	s_xor_b64 s[2:3], exec, s[10:11]
                                        ; implicit-def: $vgpr206_vgpr207
	s_cbranch_execz .LBB117_482
; %bb.481:
	v_div_scale_f64 v[204:205], s[10:11], v[210:211], v[210:211], v[208:209]
	v_rcp_f64_e32 v[206:207], v[204:205]
	v_div_scale_f64 v[212:213], vcc, v[208:209], v[210:211], v[208:209]
	v_fma_f64 v[214:215], -v[204:205], v[206:207], 1.0
	v_fmac_f64_e32 v[206:207], v[206:207], v[214:215]
	v_fma_f64 v[214:215], -v[204:205], v[206:207], 1.0
	v_fmac_f64_e32 v[206:207], v[206:207], v[214:215]
	v_mul_f64 v[214:215], v[212:213], v[206:207]
	v_fma_f64 v[204:205], -v[204:205], v[214:215], v[212:213]
	v_div_fmas_f64 v[204:205], v[204:205], v[206:207], v[214:215]
	v_div_fixup_f64 v[204:205], v[204:205], v[210:211], v[208:209]
	v_fmac_f64_e32 v[210:211], v[208:209], v[204:205]
	v_div_scale_f64 v[206:207], s[10:11], v[210:211], v[210:211], 1.0
	v_rcp_f64_e32 v[208:209], v[206:207]
	s_nop 0
	v_fma_f64 v[212:213], -v[206:207], v[208:209], 1.0
	v_fmac_f64_e32 v[208:209], v[208:209], v[212:213]
	v_fma_f64 v[212:213], -v[206:207], v[208:209], 1.0
	v_fmac_f64_e32 v[208:209], v[208:209], v[212:213]
	v_div_scale_f64 v[212:213], vcc, 1.0, v[210:211], 1.0
	v_mul_f64 v[214:215], v[212:213], v[208:209]
	v_fma_f64 v[206:207], -v[206:207], v[214:215], v[212:213]
	s_nop 1
	v_div_fmas_f64 v[206:207], v[206:207], v[208:209], v[214:215]
	v_div_fixup_f64 v[206:207], v[206:207], v[210:211], 1.0
	v_mul_f64 v[204:205], v[204:205], v[206:207]
	v_xor_b32_e32 v207, 0x80000000, v207
                                        ; implicit-def: $vgpr208_vgpr209
.LBB117_482:
	s_andn2_saveexec_b64 s[2:3], s[2:3]
	s_cbranch_execz .LBB117_484
; %bb.483:
	v_div_scale_f64 v[204:205], s[10:11], v[208:209], v[208:209], v[210:211]
	v_rcp_f64_e32 v[206:207], v[204:205]
	v_div_scale_f64 v[212:213], vcc, v[210:211], v[208:209], v[210:211]
	v_fma_f64 v[214:215], -v[204:205], v[206:207], 1.0
	v_fmac_f64_e32 v[206:207], v[206:207], v[214:215]
	v_fma_f64 v[214:215], -v[204:205], v[206:207], 1.0
	v_fmac_f64_e32 v[206:207], v[206:207], v[214:215]
	v_mul_f64 v[214:215], v[212:213], v[206:207]
	v_fma_f64 v[204:205], -v[204:205], v[214:215], v[212:213]
	v_div_fmas_f64 v[204:205], v[204:205], v[206:207], v[214:215]
	v_div_fixup_f64 v[206:207], v[204:205], v[208:209], v[210:211]
	v_fmac_f64_e32 v[208:209], v[210:211], v[206:207]
	v_div_scale_f64 v[204:205], s[10:11], v[208:209], v[208:209], 1.0
	v_rcp_f64_e32 v[210:211], v[204:205]
	s_nop 0
	v_fma_f64 v[212:213], -v[204:205], v[210:211], 1.0
	v_fmac_f64_e32 v[210:211], v[210:211], v[212:213]
	v_fma_f64 v[212:213], -v[204:205], v[210:211], 1.0
	v_fmac_f64_e32 v[210:211], v[210:211], v[212:213]
	v_div_scale_f64 v[212:213], vcc, 1.0, v[208:209], 1.0
	v_mul_f64 v[214:215], v[212:213], v[210:211]
	v_fma_f64 v[204:205], -v[204:205], v[214:215], v[212:213]
	s_nop 1
	v_div_fmas_f64 v[204:205], v[204:205], v[210:211], v[214:215]
	v_div_fixup_f64 v[204:205], v[204:205], v[208:209], 1.0
	v_mul_f64 v[206:207], v[206:207], -v[204:205]
.LBB117_484:
	s_or_b64 exec, exec, s[2:3]
	ds_write2_b64 v201, v[204:205], v[206:207] offset1:1
.LBB117_485:
	s_or_b64 exec, exec, s[4:5]
	s_waitcnt lgkmcnt(0)
	s_barrier
	ds_read2_b64 v[224:227], v201 offset1:1
	v_cmp_lt_u32_e32 vcc, 53, v200
	s_and_saveexec_b64 s[2:3], vcc
	s_cbranch_execz .LBB117_487
; %bb.486:
	ds_read2_b64 v[204:207], v202 offset0:108 offset1:109
	s_waitcnt lgkmcnt(1)
	v_mul_f64 v[208:209], v[224:225], v[18:19]
	v_fmac_f64_e32 v[208:209], v[226:227], v[16:17]
	v_mul_f64 v[18:19], v[226:227], v[18:19]
	v_fma_f64 v[16:17], v[224:225], v[16:17], -v[18:19]
	s_waitcnt lgkmcnt(0)
	v_mul_f64 v[18:19], v[206:207], v[208:209]
	v_fma_f64 v[18:19], v[204:205], v[16:17], -v[18:19]
	v_mul_f64 v[204:205], v[204:205], v[208:209]
	v_fmac_f64_e32 v[204:205], v[206:207], v[16:17]
	v_add_f64 v[14:15], v[14:15], -v[204:205]
	ds_read2_b64 v[204:207], v202 offset0:110 offset1:111
	v_add_f64 v[12:13], v[12:13], -v[18:19]
	s_waitcnt lgkmcnt(0)
	v_mul_f64 v[18:19], v[206:207], v[208:209]
	v_fma_f64 v[18:19], v[204:205], v[16:17], -v[18:19]
	v_mul_f64 v[204:205], v[204:205], v[208:209]
	v_fmac_f64_e32 v[204:205], v[206:207], v[16:17]
	v_add_f64 v[10:11], v[10:11], -v[204:205]
	ds_read2_b64 v[204:207], v202 offset0:112 offset1:113
	v_add_f64 v[8:9], v[8:9], -v[18:19]
	;; [unrolled: 8-line block ×4, first 2 shown]
	s_waitcnt lgkmcnt(0)
	v_mul_f64 v[18:19], v[206:207], v[208:209]
	v_fma_f64 v[18:19], v[204:205], v[16:17], -v[18:19]
	v_mul_f64 v[204:205], v[204:205], v[208:209]
	v_fmac_f64_e32 v[204:205], v[206:207], v[16:17]
	v_add_f64 v[232:233], v[232:233], -v[18:19]
	v_add_f64 v[234:235], v[234:235], -v[204:205]
	v_mov_b64_e32 v[18:19], v[208:209]
.LBB117_487:
	s_or_b64 exec, exec, s[2:3]
	v_cmp_eq_u32_e32 vcc, 54, v200
	s_waitcnt lgkmcnt(0)
	s_barrier
	s_and_saveexec_b64 s[4:5], vcc
	s_cbranch_execz .LBB117_494
; %bb.488:
	ds_write2_b64 v201, v[12:13], v[14:15] offset1:1
	ds_write2_b64 v202, v[8:9], v[10:11] offset0:110 offset1:111
	ds_write2_b64 v202, v[4:5], v[6:7] offset0:112 offset1:113
	;; [unrolled: 1-line block ×4, first 2 shown]
	ds_read2_b64 v[208:211], v201 offset1:1
	s_waitcnt lgkmcnt(0)
	v_cmp_neq_f64_e32 vcc, 0, v[208:209]
	v_cmp_neq_f64_e64 s[2:3], 0, v[210:211]
	s_or_b64 s[2:3], vcc, s[2:3]
	s_and_b64 exec, exec, s[2:3]
	s_cbranch_execz .LBB117_494
; %bb.489:
	v_cmp_ngt_f64_e64 s[2:3], |v[208:209]|, |v[210:211]|
                                        ; implicit-def: $vgpr204_vgpr205
	s_and_saveexec_b64 s[10:11], s[2:3]
	s_xor_b64 s[2:3], exec, s[10:11]
                                        ; implicit-def: $vgpr206_vgpr207
	s_cbranch_execz .LBB117_491
; %bb.490:
	v_div_scale_f64 v[204:205], s[10:11], v[210:211], v[210:211], v[208:209]
	v_rcp_f64_e32 v[206:207], v[204:205]
	v_div_scale_f64 v[212:213], vcc, v[208:209], v[210:211], v[208:209]
	v_fma_f64 v[214:215], -v[204:205], v[206:207], 1.0
	v_fmac_f64_e32 v[206:207], v[206:207], v[214:215]
	v_fma_f64 v[214:215], -v[204:205], v[206:207], 1.0
	v_fmac_f64_e32 v[206:207], v[206:207], v[214:215]
	v_mul_f64 v[214:215], v[212:213], v[206:207]
	v_fma_f64 v[204:205], -v[204:205], v[214:215], v[212:213]
	v_div_fmas_f64 v[204:205], v[204:205], v[206:207], v[214:215]
	v_div_fixup_f64 v[204:205], v[204:205], v[210:211], v[208:209]
	v_fmac_f64_e32 v[210:211], v[208:209], v[204:205]
	v_div_scale_f64 v[206:207], s[10:11], v[210:211], v[210:211], 1.0
	v_rcp_f64_e32 v[208:209], v[206:207]
	s_nop 0
	v_fma_f64 v[212:213], -v[206:207], v[208:209], 1.0
	v_fmac_f64_e32 v[208:209], v[208:209], v[212:213]
	v_fma_f64 v[212:213], -v[206:207], v[208:209], 1.0
	v_fmac_f64_e32 v[208:209], v[208:209], v[212:213]
	v_div_scale_f64 v[212:213], vcc, 1.0, v[210:211], 1.0
	v_mul_f64 v[214:215], v[212:213], v[208:209]
	v_fma_f64 v[206:207], -v[206:207], v[214:215], v[212:213]
	s_nop 1
	v_div_fmas_f64 v[206:207], v[206:207], v[208:209], v[214:215]
	v_div_fixup_f64 v[206:207], v[206:207], v[210:211], 1.0
	v_mul_f64 v[204:205], v[204:205], v[206:207]
	v_xor_b32_e32 v207, 0x80000000, v207
                                        ; implicit-def: $vgpr208_vgpr209
.LBB117_491:
	s_andn2_saveexec_b64 s[2:3], s[2:3]
	s_cbranch_execz .LBB117_493
; %bb.492:
	v_div_scale_f64 v[204:205], s[10:11], v[208:209], v[208:209], v[210:211]
	v_rcp_f64_e32 v[206:207], v[204:205]
	v_div_scale_f64 v[212:213], vcc, v[210:211], v[208:209], v[210:211]
	v_fma_f64 v[214:215], -v[204:205], v[206:207], 1.0
	v_fmac_f64_e32 v[206:207], v[206:207], v[214:215]
	v_fma_f64 v[214:215], -v[204:205], v[206:207], 1.0
	v_fmac_f64_e32 v[206:207], v[206:207], v[214:215]
	v_mul_f64 v[214:215], v[212:213], v[206:207]
	v_fma_f64 v[204:205], -v[204:205], v[214:215], v[212:213]
	v_div_fmas_f64 v[204:205], v[204:205], v[206:207], v[214:215]
	v_div_fixup_f64 v[206:207], v[204:205], v[208:209], v[210:211]
	v_fmac_f64_e32 v[208:209], v[210:211], v[206:207]
	v_div_scale_f64 v[204:205], s[10:11], v[208:209], v[208:209], 1.0
	v_rcp_f64_e32 v[210:211], v[204:205]
	s_nop 0
	v_fma_f64 v[212:213], -v[204:205], v[210:211], 1.0
	v_fmac_f64_e32 v[210:211], v[210:211], v[212:213]
	v_fma_f64 v[212:213], -v[204:205], v[210:211], 1.0
	v_fmac_f64_e32 v[210:211], v[210:211], v[212:213]
	v_div_scale_f64 v[212:213], vcc, 1.0, v[208:209], 1.0
	v_mul_f64 v[214:215], v[212:213], v[210:211]
	v_fma_f64 v[204:205], -v[204:205], v[214:215], v[212:213]
	s_nop 1
	v_div_fmas_f64 v[204:205], v[204:205], v[210:211], v[214:215]
	v_div_fixup_f64 v[204:205], v[204:205], v[208:209], 1.0
	v_mul_f64 v[206:207], v[206:207], -v[204:205]
.LBB117_493:
	s_or_b64 exec, exec, s[2:3]
	ds_write2_b64 v201, v[204:205], v[206:207] offset1:1
.LBB117_494:
	s_or_b64 exec, exec, s[4:5]
	s_waitcnt lgkmcnt(0)
	s_barrier
	ds_read2_b64 v[220:223], v201 offset1:1
	v_cmp_lt_u32_e32 vcc, 54, v200
	s_and_saveexec_b64 s[2:3], vcc
	s_cbranch_execz .LBB117_496
; %bb.495:
	ds_read2_b64 v[204:207], v202 offset0:110 offset1:111
	s_waitcnt lgkmcnt(1)
	v_mul_f64 v[208:209], v[220:221], v[14:15]
	v_fmac_f64_e32 v[208:209], v[222:223], v[12:13]
	v_mul_f64 v[14:15], v[222:223], v[14:15]
	v_fma_f64 v[12:13], v[220:221], v[12:13], -v[14:15]
	s_waitcnt lgkmcnt(0)
	v_mul_f64 v[14:15], v[206:207], v[208:209]
	v_fma_f64 v[14:15], v[204:205], v[12:13], -v[14:15]
	v_mul_f64 v[204:205], v[204:205], v[208:209]
	v_fmac_f64_e32 v[204:205], v[206:207], v[12:13]
	v_add_f64 v[10:11], v[10:11], -v[204:205]
	ds_read2_b64 v[204:207], v202 offset0:112 offset1:113
	v_add_f64 v[8:9], v[8:9], -v[14:15]
	s_waitcnt lgkmcnt(0)
	v_mul_f64 v[14:15], v[206:207], v[208:209]
	v_fma_f64 v[14:15], v[204:205], v[12:13], -v[14:15]
	v_mul_f64 v[204:205], v[204:205], v[208:209]
	v_fmac_f64_e32 v[204:205], v[206:207], v[12:13]
	v_add_f64 v[6:7], v[6:7], -v[204:205]
	ds_read2_b64 v[204:207], v202 offset0:114 offset1:115
	v_add_f64 v[4:5], v[4:5], -v[14:15]
	;; [unrolled: 8-line block ×3, first 2 shown]
	s_waitcnt lgkmcnt(0)
	v_mul_f64 v[14:15], v[206:207], v[208:209]
	v_fma_f64 v[14:15], v[204:205], v[12:13], -v[14:15]
	v_mul_f64 v[204:205], v[204:205], v[208:209]
	v_fmac_f64_e32 v[204:205], v[206:207], v[12:13]
	v_add_f64 v[232:233], v[232:233], -v[14:15]
	v_add_f64 v[234:235], v[234:235], -v[204:205]
	v_mov_b64_e32 v[14:15], v[208:209]
.LBB117_496:
	s_or_b64 exec, exec, s[2:3]
	v_cmp_eq_u32_e32 vcc, 55, v200
	s_waitcnt lgkmcnt(0)
	s_barrier
	s_and_saveexec_b64 s[4:5], vcc
	s_cbranch_execz .LBB117_503
; %bb.497:
	ds_write2_b64 v201, v[8:9], v[10:11] offset1:1
	ds_write2_b64 v202, v[4:5], v[6:7] offset0:112 offset1:113
	ds_write2_b64 v202, v[0:1], v[2:3] offset0:114 offset1:115
	;; [unrolled: 1-line block ×3, first 2 shown]
	ds_read2_b64 v[208:211], v201 offset1:1
	s_waitcnt lgkmcnt(0)
	v_cmp_neq_f64_e32 vcc, 0, v[208:209]
	v_cmp_neq_f64_e64 s[2:3], 0, v[210:211]
	s_or_b64 s[2:3], vcc, s[2:3]
	s_and_b64 exec, exec, s[2:3]
	s_cbranch_execz .LBB117_503
; %bb.498:
	v_cmp_ngt_f64_e64 s[2:3], |v[208:209]|, |v[210:211]|
                                        ; implicit-def: $vgpr204_vgpr205
	s_and_saveexec_b64 s[10:11], s[2:3]
	s_xor_b64 s[2:3], exec, s[10:11]
                                        ; implicit-def: $vgpr206_vgpr207
	s_cbranch_execz .LBB117_500
; %bb.499:
	v_div_scale_f64 v[204:205], s[10:11], v[210:211], v[210:211], v[208:209]
	v_rcp_f64_e32 v[206:207], v[204:205]
	v_div_scale_f64 v[212:213], vcc, v[208:209], v[210:211], v[208:209]
	v_fma_f64 v[214:215], -v[204:205], v[206:207], 1.0
	v_fmac_f64_e32 v[206:207], v[206:207], v[214:215]
	v_fma_f64 v[214:215], -v[204:205], v[206:207], 1.0
	v_fmac_f64_e32 v[206:207], v[206:207], v[214:215]
	v_mul_f64 v[214:215], v[212:213], v[206:207]
	v_fma_f64 v[204:205], -v[204:205], v[214:215], v[212:213]
	v_div_fmas_f64 v[204:205], v[204:205], v[206:207], v[214:215]
	v_div_fixup_f64 v[204:205], v[204:205], v[210:211], v[208:209]
	v_fmac_f64_e32 v[210:211], v[208:209], v[204:205]
	v_div_scale_f64 v[206:207], s[10:11], v[210:211], v[210:211], 1.0
	v_rcp_f64_e32 v[208:209], v[206:207]
	s_nop 0
	v_fma_f64 v[212:213], -v[206:207], v[208:209], 1.0
	v_fmac_f64_e32 v[208:209], v[208:209], v[212:213]
	v_fma_f64 v[212:213], -v[206:207], v[208:209], 1.0
	v_fmac_f64_e32 v[208:209], v[208:209], v[212:213]
	v_div_scale_f64 v[212:213], vcc, 1.0, v[210:211], 1.0
	v_mul_f64 v[214:215], v[212:213], v[208:209]
	v_fma_f64 v[206:207], -v[206:207], v[214:215], v[212:213]
	s_nop 1
	v_div_fmas_f64 v[206:207], v[206:207], v[208:209], v[214:215]
	v_div_fixup_f64 v[206:207], v[206:207], v[210:211], 1.0
	v_mul_f64 v[204:205], v[204:205], v[206:207]
	v_xor_b32_e32 v207, 0x80000000, v207
                                        ; implicit-def: $vgpr208_vgpr209
.LBB117_500:
	s_andn2_saveexec_b64 s[2:3], s[2:3]
	s_cbranch_execz .LBB117_502
; %bb.501:
	v_div_scale_f64 v[204:205], s[10:11], v[208:209], v[208:209], v[210:211]
	v_rcp_f64_e32 v[206:207], v[204:205]
	v_div_scale_f64 v[212:213], vcc, v[210:211], v[208:209], v[210:211]
	v_fma_f64 v[214:215], -v[204:205], v[206:207], 1.0
	v_fmac_f64_e32 v[206:207], v[206:207], v[214:215]
	v_fma_f64 v[214:215], -v[204:205], v[206:207], 1.0
	v_fmac_f64_e32 v[206:207], v[206:207], v[214:215]
	v_mul_f64 v[214:215], v[212:213], v[206:207]
	v_fma_f64 v[204:205], -v[204:205], v[214:215], v[212:213]
	v_div_fmas_f64 v[204:205], v[204:205], v[206:207], v[214:215]
	v_div_fixup_f64 v[206:207], v[204:205], v[208:209], v[210:211]
	v_fmac_f64_e32 v[208:209], v[210:211], v[206:207]
	v_div_scale_f64 v[204:205], s[10:11], v[208:209], v[208:209], 1.0
	v_rcp_f64_e32 v[210:211], v[204:205]
	s_nop 0
	v_fma_f64 v[212:213], -v[204:205], v[210:211], 1.0
	v_fmac_f64_e32 v[210:211], v[210:211], v[212:213]
	v_fma_f64 v[212:213], -v[204:205], v[210:211], 1.0
	v_fmac_f64_e32 v[210:211], v[210:211], v[212:213]
	v_div_scale_f64 v[212:213], vcc, 1.0, v[208:209], 1.0
	v_mul_f64 v[214:215], v[212:213], v[210:211]
	v_fma_f64 v[204:205], -v[204:205], v[214:215], v[212:213]
	s_nop 1
	v_div_fmas_f64 v[204:205], v[204:205], v[210:211], v[214:215]
	v_div_fixup_f64 v[204:205], v[204:205], v[208:209], 1.0
	v_mul_f64 v[206:207], v[206:207], -v[204:205]
.LBB117_502:
	s_or_b64 exec, exec, s[2:3]
	ds_write2_b64 v201, v[204:205], v[206:207] offset1:1
.LBB117_503:
	s_or_b64 exec, exec, s[4:5]
	s_waitcnt lgkmcnt(0)
	s_barrier
	ds_read2_b64 v[244:247], v201 offset1:1
	v_cmp_lt_u32_e32 vcc, 55, v200
	s_and_saveexec_b64 s[2:3], vcc
	s_cbranch_execz .LBB117_505
; %bb.504:
	ds_read2_b64 v[204:207], v202 offset0:112 offset1:113
	s_waitcnt lgkmcnt(1)
	v_mul_f64 v[208:209], v[244:245], v[10:11]
	v_fmac_f64_e32 v[208:209], v[246:247], v[8:9]
	v_mul_f64 v[10:11], v[246:247], v[10:11]
	v_fma_f64 v[8:9], v[244:245], v[8:9], -v[10:11]
	s_waitcnt lgkmcnt(0)
	v_mul_f64 v[10:11], v[206:207], v[208:209]
	v_fma_f64 v[10:11], v[204:205], v[8:9], -v[10:11]
	v_mul_f64 v[204:205], v[204:205], v[208:209]
	v_fmac_f64_e32 v[204:205], v[206:207], v[8:9]
	v_add_f64 v[6:7], v[6:7], -v[204:205]
	ds_read2_b64 v[204:207], v202 offset0:114 offset1:115
	v_add_f64 v[4:5], v[4:5], -v[10:11]
	s_waitcnt lgkmcnt(0)
	v_mul_f64 v[10:11], v[206:207], v[208:209]
	v_fma_f64 v[10:11], v[204:205], v[8:9], -v[10:11]
	v_mul_f64 v[204:205], v[204:205], v[208:209]
	v_fmac_f64_e32 v[204:205], v[206:207], v[8:9]
	v_add_f64 v[2:3], v[2:3], -v[204:205]
	ds_read2_b64 v[204:207], v202 offset0:116 offset1:117
	v_add_f64 v[0:1], v[0:1], -v[10:11]
	s_waitcnt lgkmcnt(0)
	v_mul_f64 v[10:11], v[206:207], v[208:209]
	v_fma_f64 v[10:11], v[204:205], v[8:9], -v[10:11]
	v_mul_f64 v[204:205], v[204:205], v[208:209]
	v_fmac_f64_e32 v[204:205], v[206:207], v[8:9]
	v_add_f64 v[232:233], v[232:233], -v[10:11]
	v_add_f64 v[234:235], v[234:235], -v[204:205]
	v_mov_b64_e32 v[10:11], v[208:209]
.LBB117_505:
	s_or_b64 exec, exec, s[2:3]
	v_cmp_eq_u32_e32 vcc, 56, v200
	s_waitcnt lgkmcnt(0)
	s_barrier
	s_and_saveexec_b64 s[4:5], vcc
	s_cbranch_execz .LBB117_512
; %bb.506:
	ds_write2_b64 v201, v[4:5], v[6:7] offset1:1
	ds_write2_b64 v202, v[0:1], v[2:3] offset0:114 offset1:115
	ds_write2_b64 v202, v[232:233], v[234:235] offset0:116 offset1:117
	ds_read2_b64 v[208:211], v201 offset1:1
	s_waitcnt lgkmcnt(0)
	v_cmp_neq_f64_e32 vcc, 0, v[208:209]
	v_cmp_neq_f64_e64 s[2:3], 0, v[210:211]
	s_or_b64 s[2:3], vcc, s[2:3]
	s_and_b64 exec, exec, s[2:3]
	s_cbranch_execz .LBB117_512
; %bb.507:
	v_cmp_ngt_f64_e64 s[2:3], |v[208:209]|, |v[210:211]|
                                        ; implicit-def: $vgpr204_vgpr205
	s_and_saveexec_b64 s[10:11], s[2:3]
	s_xor_b64 s[2:3], exec, s[10:11]
                                        ; implicit-def: $vgpr206_vgpr207
	s_cbranch_execz .LBB117_509
; %bb.508:
	v_div_scale_f64 v[204:205], s[10:11], v[210:211], v[210:211], v[208:209]
	v_rcp_f64_e32 v[206:207], v[204:205]
	v_div_scale_f64 v[212:213], vcc, v[208:209], v[210:211], v[208:209]
	v_fma_f64 v[214:215], -v[204:205], v[206:207], 1.0
	v_fmac_f64_e32 v[206:207], v[206:207], v[214:215]
	v_fma_f64 v[214:215], -v[204:205], v[206:207], 1.0
	v_fmac_f64_e32 v[206:207], v[206:207], v[214:215]
	v_mul_f64 v[214:215], v[212:213], v[206:207]
	v_fma_f64 v[204:205], -v[204:205], v[214:215], v[212:213]
	v_div_fmas_f64 v[204:205], v[204:205], v[206:207], v[214:215]
	v_div_fixup_f64 v[204:205], v[204:205], v[210:211], v[208:209]
	v_fmac_f64_e32 v[210:211], v[208:209], v[204:205]
	v_div_scale_f64 v[206:207], s[10:11], v[210:211], v[210:211], 1.0
	v_rcp_f64_e32 v[208:209], v[206:207]
	s_nop 0
	v_fma_f64 v[212:213], -v[206:207], v[208:209], 1.0
	v_fmac_f64_e32 v[208:209], v[208:209], v[212:213]
	v_fma_f64 v[212:213], -v[206:207], v[208:209], 1.0
	v_fmac_f64_e32 v[208:209], v[208:209], v[212:213]
	v_div_scale_f64 v[212:213], vcc, 1.0, v[210:211], 1.0
	v_mul_f64 v[214:215], v[212:213], v[208:209]
	v_fma_f64 v[206:207], -v[206:207], v[214:215], v[212:213]
	s_nop 1
	v_div_fmas_f64 v[206:207], v[206:207], v[208:209], v[214:215]
	v_div_fixup_f64 v[206:207], v[206:207], v[210:211], 1.0
	v_mul_f64 v[204:205], v[204:205], v[206:207]
	v_xor_b32_e32 v207, 0x80000000, v207
                                        ; implicit-def: $vgpr208_vgpr209
.LBB117_509:
	s_andn2_saveexec_b64 s[2:3], s[2:3]
	s_cbranch_execz .LBB117_511
; %bb.510:
	v_div_scale_f64 v[204:205], s[10:11], v[208:209], v[208:209], v[210:211]
	v_rcp_f64_e32 v[206:207], v[204:205]
	v_div_scale_f64 v[212:213], vcc, v[210:211], v[208:209], v[210:211]
	v_fma_f64 v[214:215], -v[204:205], v[206:207], 1.0
	v_fmac_f64_e32 v[206:207], v[206:207], v[214:215]
	v_fma_f64 v[214:215], -v[204:205], v[206:207], 1.0
	v_fmac_f64_e32 v[206:207], v[206:207], v[214:215]
	v_mul_f64 v[214:215], v[212:213], v[206:207]
	v_fma_f64 v[204:205], -v[204:205], v[214:215], v[212:213]
	v_div_fmas_f64 v[204:205], v[204:205], v[206:207], v[214:215]
	v_div_fixup_f64 v[206:207], v[204:205], v[208:209], v[210:211]
	v_fmac_f64_e32 v[208:209], v[210:211], v[206:207]
	v_div_scale_f64 v[204:205], s[10:11], v[208:209], v[208:209], 1.0
	v_rcp_f64_e32 v[210:211], v[204:205]
	s_nop 0
	v_fma_f64 v[212:213], -v[204:205], v[210:211], 1.0
	v_fmac_f64_e32 v[210:211], v[210:211], v[212:213]
	v_fma_f64 v[212:213], -v[204:205], v[210:211], 1.0
	v_fmac_f64_e32 v[210:211], v[210:211], v[212:213]
	v_div_scale_f64 v[212:213], vcc, 1.0, v[208:209], 1.0
	v_mul_f64 v[214:215], v[212:213], v[210:211]
	v_fma_f64 v[204:205], -v[204:205], v[214:215], v[212:213]
	s_nop 1
	v_div_fmas_f64 v[204:205], v[204:205], v[210:211], v[214:215]
	v_div_fixup_f64 v[204:205], v[204:205], v[208:209], 1.0
	v_mul_f64 v[206:207], v[206:207], -v[204:205]
.LBB117_511:
	s_or_b64 exec, exec, s[2:3]
	ds_write2_b64 v201, v[204:205], v[206:207] offset1:1
.LBB117_512:
	s_or_b64 exec, exec, s[4:5]
	s_waitcnt lgkmcnt(0)
	s_barrier
	ds_read2_b64 v[216:219], v201 offset1:1
	v_cmp_lt_u32_e32 vcc, 56, v200
	s_and_saveexec_b64 s[2:3], vcc
	s_cbranch_execz .LBB117_514
; %bb.513:
	ds_read2_b64 v[204:207], v202 offset0:114 offset1:115
	s_waitcnt lgkmcnt(1)
	v_mul_f64 v[208:209], v[216:217], v[6:7]
	v_fmac_f64_e32 v[208:209], v[218:219], v[4:5]
	v_mul_f64 v[6:7], v[218:219], v[6:7]
	v_fma_f64 v[4:5], v[216:217], v[4:5], -v[6:7]
	s_waitcnt lgkmcnt(0)
	v_mul_f64 v[6:7], v[206:207], v[208:209]
	v_fma_f64 v[6:7], v[204:205], v[4:5], -v[6:7]
	v_mul_f64 v[204:205], v[204:205], v[208:209]
	v_fmac_f64_e32 v[204:205], v[206:207], v[4:5]
	v_add_f64 v[2:3], v[2:3], -v[204:205]
	ds_read2_b64 v[204:207], v202 offset0:116 offset1:117
	v_add_f64 v[0:1], v[0:1], -v[6:7]
	s_waitcnt lgkmcnt(0)
	v_mul_f64 v[6:7], v[206:207], v[208:209]
	v_fma_f64 v[6:7], v[204:205], v[4:5], -v[6:7]
	v_mul_f64 v[204:205], v[204:205], v[208:209]
	v_fmac_f64_e32 v[204:205], v[206:207], v[4:5]
	v_add_f64 v[232:233], v[232:233], -v[6:7]
	v_add_f64 v[234:235], v[234:235], -v[204:205]
	v_mov_b64_e32 v[6:7], v[208:209]
.LBB117_514:
	s_or_b64 exec, exec, s[2:3]
	v_cmp_eq_u32_e32 vcc, 57, v200
	s_waitcnt lgkmcnt(0)
	s_barrier
	s_and_saveexec_b64 s[4:5], vcc
	s_cbranch_execz .LBB117_521
; %bb.515:
	ds_write2_b64 v201, v[0:1], v[2:3] offset1:1
	ds_write2_b64 v202, v[232:233], v[234:235] offset0:116 offset1:117
	ds_read2_b64 v[208:211], v201 offset1:1
	s_waitcnt lgkmcnt(0)
	v_cmp_neq_f64_e32 vcc, 0, v[208:209]
	v_cmp_neq_f64_e64 s[2:3], 0, v[210:211]
	s_or_b64 s[2:3], vcc, s[2:3]
	s_and_b64 exec, exec, s[2:3]
	s_cbranch_execz .LBB117_521
; %bb.516:
	v_cmp_ngt_f64_e64 s[2:3], |v[208:209]|, |v[210:211]|
                                        ; implicit-def: $vgpr204_vgpr205
	s_and_saveexec_b64 s[10:11], s[2:3]
	s_xor_b64 s[2:3], exec, s[10:11]
                                        ; implicit-def: $vgpr206_vgpr207
	s_cbranch_execz .LBB117_518
; %bb.517:
	v_div_scale_f64 v[204:205], s[10:11], v[210:211], v[210:211], v[208:209]
	v_rcp_f64_e32 v[206:207], v[204:205]
	v_div_scale_f64 v[212:213], vcc, v[208:209], v[210:211], v[208:209]
	v_fma_f64 v[214:215], -v[204:205], v[206:207], 1.0
	v_fmac_f64_e32 v[206:207], v[206:207], v[214:215]
	v_fma_f64 v[214:215], -v[204:205], v[206:207], 1.0
	v_fmac_f64_e32 v[206:207], v[206:207], v[214:215]
	v_mul_f64 v[214:215], v[212:213], v[206:207]
	v_fma_f64 v[204:205], -v[204:205], v[214:215], v[212:213]
	v_div_fmas_f64 v[204:205], v[204:205], v[206:207], v[214:215]
	v_div_fixup_f64 v[204:205], v[204:205], v[210:211], v[208:209]
	v_fmac_f64_e32 v[210:211], v[208:209], v[204:205]
	v_div_scale_f64 v[206:207], s[10:11], v[210:211], v[210:211], 1.0
	v_rcp_f64_e32 v[208:209], v[206:207]
	s_nop 0
	v_fma_f64 v[212:213], -v[206:207], v[208:209], 1.0
	v_fmac_f64_e32 v[208:209], v[208:209], v[212:213]
	v_fma_f64 v[212:213], -v[206:207], v[208:209], 1.0
	v_fmac_f64_e32 v[208:209], v[208:209], v[212:213]
	v_div_scale_f64 v[212:213], vcc, 1.0, v[210:211], 1.0
	v_mul_f64 v[214:215], v[212:213], v[208:209]
	v_fma_f64 v[206:207], -v[206:207], v[214:215], v[212:213]
	s_nop 1
	v_div_fmas_f64 v[206:207], v[206:207], v[208:209], v[214:215]
	v_div_fixup_f64 v[206:207], v[206:207], v[210:211], 1.0
	v_mul_f64 v[204:205], v[204:205], v[206:207]
	v_xor_b32_e32 v207, 0x80000000, v207
                                        ; implicit-def: $vgpr208_vgpr209
.LBB117_518:
	s_andn2_saveexec_b64 s[2:3], s[2:3]
	s_cbranch_execz .LBB117_520
; %bb.519:
	v_div_scale_f64 v[204:205], s[10:11], v[208:209], v[208:209], v[210:211]
	v_rcp_f64_e32 v[206:207], v[204:205]
	v_div_scale_f64 v[212:213], vcc, v[210:211], v[208:209], v[210:211]
	v_fma_f64 v[214:215], -v[204:205], v[206:207], 1.0
	v_fmac_f64_e32 v[206:207], v[206:207], v[214:215]
	v_fma_f64 v[214:215], -v[204:205], v[206:207], 1.0
	v_fmac_f64_e32 v[206:207], v[206:207], v[214:215]
	v_mul_f64 v[214:215], v[212:213], v[206:207]
	v_fma_f64 v[204:205], -v[204:205], v[214:215], v[212:213]
	v_div_fmas_f64 v[204:205], v[204:205], v[206:207], v[214:215]
	v_div_fixup_f64 v[206:207], v[204:205], v[208:209], v[210:211]
	v_fmac_f64_e32 v[208:209], v[210:211], v[206:207]
	v_div_scale_f64 v[204:205], s[10:11], v[208:209], v[208:209], 1.0
	v_rcp_f64_e32 v[210:211], v[204:205]
	s_nop 0
	v_fma_f64 v[212:213], -v[204:205], v[210:211], 1.0
	v_fmac_f64_e32 v[210:211], v[210:211], v[212:213]
	v_fma_f64 v[212:213], -v[204:205], v[210:211], 1.0
	v_fmac_f64_e32 v[210:211], v[210:211], v[212:213]
	v_div_scale_f64 v[212:213], vcc, 1.0, v[208:209], 1.0
	v_mul_f64 v[214:215], v[212:213], v[210:211]
	v_fma_f64 v[204:205], -v[204:205], v[214:215], v[212:213]
	s_nop 1
	v_div_fmas_f64 v[204:205], v[204:205], v[210:211], v[214:215]
	v_div_fixup_f64 v[204:205], v[204:205], v[208:209], 1.0
	v_mul_f64 v[206:207], v[206:207], -v[204:205]
.LBB117_520:
	s_or_b64 exec, exec, s[2:3]
	ds_write2_b64 v201, v[204:205], v[206:207] offset1:1
.LBB117_521:
	s_or_b64 exec, exec, s[4:5]
	s_waitcnt lgkmcnt(0)
	s_barrier
	ds_read2_b64 v[212:215], v201 offset1:1
	v_cmp_lt_u32_e32 vcc, 57, v200
	s_and_saveexec_b64 s[2:3], vcc
	s_cbranch_execz .LBB117_523
; %bb.522:
	ds_read2_b64 v[202:205], v202 offset0:116 offset1:117
	s_waitcnt lgkmcnt(1)
	v_mul_f64 v[206:207], v[212:213], v[2:3]
	v_mul_f64 v[2:3], v[214:215], v[2:3]
	v_fmac_f64_e32 v[206:207], v[214:215], v[0:1]
	v_fma_f64 v[0:1], v[212:213], v[0:1], -v[2:3]
	s_waitcnt lgkmcnt(0)
	v_mul_f64 v[2:3], v[204:205], v[206:207]
	v_fma_f64 v[2:3], v[202:203], v[0:1], -v[2:3]
	v_mul_f64 v[202:203], v[202:203], v[206:207]
	v_fmac_f64_e32 v[202:203], v[204:205], v[0:1]
	v_add_f64 v[232:233], v[232:233], -v[2:3]
	v_add_f64 v[234:235], v[234:235], -v[202:203]
	v_mov_b64_e32 v[2:3], v[206:207]
.LBB117_523:
	s_or_b64 exec, exec, s[2:3]
	v_cmp_eq_u32_e32 vcc, 58, v200
	s_waitcnt lgkmcnt(0)
	s_barrier
	s_and_saveexec_b64 s[4:5], vcc
	s_cbranch_execz .LBB117_530
; %bb.524:
	v_cmp_neq_f64_e32 vcc, 0, v[232:233]
	v_cmp_neq_f64_e64 s[2:3], 0, v[234:235]
	s_or_b64 s[2:3], vcc, s[2:3]
	ds_write2_b64 v201, v[232:233], v[234:235] offset1:1
	s_and_b64 exec, exec, s[2:3]
	s_cbranch_execz .LBB117_530
; %bb.525:
	v_cmp_ngt_f64_e64 s[2:3], |v[232:233]|, |v[234:235]|
                                        ; implicit-def: $vgpr204_vgpr205
	s_and_saveexec_b64 s[10:11], s[2:3]
	s_xor_b64 s[2:3], exec, s[10:11]
                                        ; implicit-def: $vgpr206_vgpr207
	s_cbranch_execz .LBB117_527
; %bb.526:
	v_div_scale_f64 v[202:203], s[10:11], v[234:235], v[234:235], v[232:233]
	v_rcp_f64_e32 v[204:205], v[202:203]
	v_div_scale_f64 v[206:207], vcc, v[232:233], v[234:235], v[232:233]
	v_mov_b64_e32 v[192:193], v[196:197]
	v_fma_f64 v[208:209], -v[202:203], v[204:205], 1.0
	v_fmac_f64_e32 v[204:205], v[204:205], v[208:209]
	v_fma_f64 v[208:209], -v[202:203], v[204:205], 1.0
	v_fmac_f64_e32 v[204:205], v[204:205], v[208:209]
	v_mul_f64 v[208:209], v[206:207], v[204:205]
	v_fma_f64 v[202:203], -v[202:203], v[208:209], v[206:207]
	v_div_fmas_f64 v[202:203], v[202:203], v[204:205], v[208:209]
	v_div_fixup_f64 v[202:203], v[202:203], v[234:235], v[232:233]
	v_fma_f64 v[204:205], v[232:233], v[202:203], v[234:235]
	v_div_scale_f64 v[206:207], s[10:11], v[204:205], v[204:205], 1.0
	v_rcp_f64_e32 v[208:209], v[206:207]
	v_mov_b64_e32 v[194:195], v[198:199]
	v_fma_f64 v[210:211], -v[206:207], v[208:209], 1.0
	v_fmac_f64_e32 v[208:209], v[208:209], v[210:211]
	v_fma_f64 v[210:211], -v[206:207], v[208:209], 1.0
	v_fmac_f64_e32 v[208:209], v[208:209], v[210:211]
	v_div_scale_f64 v[210:211], vcc, 1.0, v[204:205], 1.0
	v_mul_f64 v[196:197], v[210:211], v[208:209]
	v_fma_f64 v[198:199], -v[206:207], v[196:197], v[210:211]
	s_nop 1
	v_div_fmas_f64 v[196:197], v[198:199], v[208:209], v[196:197]
	v_div_fixup_f64 v[206:207], v[196:197], v[204:205], 1.0
	v_mov_b64_e32 v[198:199], v[194:195]
	v_mov_b64_e32 v[196:197], v[192:193]
	v_mul_f64 v[204:205], v[202:203], v[206:207]
	v_xor_b32_e32 v207, 0x80000000, v207
.LBB117_527:
	s_andn2_saveexec_b64 s[2:3], s[2:3]
	s_cbranch_execz .LBB117_529
; %bb.528:
	v_mov_b64_e32 v[192:193], v[196:197]
	v_mov_b64_e32 v[194:195], v[198:199]
	v_div_scale_f64 v[196:197], s[10:11], v[232:233], v[232:233], v[234:235]
	v_rcp_f64_e32 v[198:199], v[196:197]
	v_div_scale_f64 v[202:203], vcc, v[234:235], v[232:233], v[234:235]
	v_fma_f64 v[204:205], -v[196:197], v[198:199], 1.0
	v_fmac_f64_e32 v[198:199], v[198:199], v[204:205]
	v_fma_f64 v[204:205], -v[196:197], v[198:199], 1.0
	v_fmac_f64_e32 v[198:199], v[198:199], v[204:205]
	v_mul_f64 v[204:205], v[202:203], v[198:199]
	v_fma_f64 v[196:197], -v[196:197], v[204:205], v[202:203]
	v_div_fmas_f64 v[196:197], v[196:197], v[198:199], v[204:205]
	v_div_fixup_f64 v[196:197], v[196:197], v[232:233], v[234:235]
	v_fma_f64 v[198:199], v[234:235], v[196:197], v[232:233]
	v_div_scale_f64 v[202:203], s[10:11], v[198:199], v[198:199], 1.0
	v_rcp_f64_e32 v[204:205], v[202:203]
	s_nop 0
	v_fma_f64 v[206:207], -v[202:203], v[204:205], 1.0
	v_fmac_f64_e32 v[204:205], v[204:205], v[206:207]
	v_fma_f64 v[206:207], -v[202:203], v[204:205], 1.0
	v_fmac_f64_e32 v[204:205], v[204:205], v[206:207]
	v_div_scale_f64 v[206:207], vcc, 1.0, v[198:199], 1.0
	v_mul_f64 v[208:209], v[206:207], v[204:205]
	v_fma_f64 v[202:203], -v[202:203], v[208:209], v[206:207]
	s_nop 1
	v_div_fmas_f64 v[202:203], v[202:203], v[204:205], v[208:209]
	v_div_fixup_f64 v[204:205], v[202:203], v[198:199], 1.0
	v_mul_f64 v[206:207], v[196:197], -v[204:205]
	v_mov_b64_e32 v[198:199], v[194:195]
	v_mov_b64_e32 v[196:197], v[192:193]
.LBB117_529:
	s_or_b64 exec, exec, s[2:3]
	ds_write2_b64 v201, v[204:205], v[206:207] offset1:1
.LBB117_530:
	s_or_b64 exec, exec, s[4:5]
	s_waitcnt lgkmcnt(0)
	s_barrier
	ds_read2_b64 v[208:211], v201 offset1:1
	v_mov_b64_e32 v[192:193], v[196:197]
	v_mov_b64_e32 v[194:195], v[198:199]
	s_waitcnt lgkmcnt(0)
	s_barrier
	s_and_saveexec_b64 s[2:3], s[0:1]
	s_cbranch_execz .LBB117_533
; %bb.531:
	scratch_load_dwordx4 v[196:199], off, off offset:616 ; 16-byte Folded Reload
	scratch_load_dwordx4 v[202:205], off, off offset:632 ; 16-byte Folded Reload
	s_waitcnt vmcnt(1)
	v_cmp_eq_f64_e32 vcc, 0, v[196:197]
	v_cmp_eq_f64_e64 s[0:1], 0, v[198:199]
	s_and_b64 s[4:5], vcc, s[0:1]
	s_waitcnt vmcnt(0)
	v_cmp_neq_f64_e32 vcc, 0, v[202:203]
	v_cmp_neq_f64_e64 s[0:1], 0, v[204:205]
	scratch_load_dwordx4 v[202:205], off, off offset:648 ; 16-byte Folded Reload
	s_or_b64 s[0:1], vcc, s[0:1]
	v_cndmask_b32_e64 v196, 0, 1, s[4:5]
	s_or_b64 vcc, s[0:1], s[4:5]
	v_cndmask_b32_e32 v196, 2, v196, vcc
	v_mov_b32_e32 v197, s7
	s_waitcnt vmcnt(0)
	v_cmp_eq_f64_e32 vcc, 0, v[202:203]
	v_cmp_eq_f64_e64 s[0:1], 0, v[204:205]
	scratch_load_dwordx4 v[202:205], off, off offset:664 ; 16-byte Folded Reload
	s_and_b64 s[0:1], vcc, s[0:1]
	v_cmp_eq_u32_e32 vcc, 0, v196
	s_and_b64 s[0:1], s[0:1], vcc
	v_cndmask_b32_e64 v196, v196, 3, s[0:1]
	s_waitcnt vmcnt(0)
	v_cmp_eq_f64_e32 vcc, 0, v[202:203]
	v_cmp_eq_f64_e64 s[0:1], 0, v[204:205]
	scratch_load_dwordx4 v[202:205], off, off offset:680 ; 16-byte Folded Reload
	s_and_b64 s[0:1], vcc, s[0:1]
	v_cmp_eq_u32_e32 vcc, 0, v196
	s_and_b64 s[0:1], s[0:1], vcc
	v_cndmask_b32_e64 v196, v196, 4, s[0:1]
	;; [unrolled: 8-line block ×43, first 2 shown]
	v_mov_b32_e32 v196, s6
	s_waitcnt vmcnt(0)
	v_cmp_eq_f64_e32 vcc, 0, v[202:203]
	scratch_load_dwordx2 v[202:203], off, off offset:1384 ; 8-byte Folded Reload
	v_cmp_eq_f64_e64 s[0:1], 0, v[204:205]
	s_and_b64 s[0:1], vcc, s[0:1]
	v_cmp_eq_u32_e32 vcc, 0, v198
	s_and_b64 s[0:1], s[0:1], vcc
	s_waitcnt vmcnt(0)
	v_lshl_add_u64 v[204:205], v[202:203], 2, v[196:197]
	v_cndmask_b32_e64 v197, v198, 46, s[0:1]
	v_mov_b32_e32 v202, v200
	v_mov_b64_e32 v[200:201], v[82:83]
	v_mov_b64_e32 v[198:199], v[80:81]
	;; [unrolled: 1-line block ×58, first 2 shown]
	scratch_load_dwordx4 v[248:251], off, off offset:1352 ; 16-byte Folded Reload
	global_load_dword v196, v[204:205], off
	s_waitcnt vmcnt(1)
	v_cmp_eq_f64_e32 vcc, 0, v[248:249]
	v_cmp_eq_f64_e64 s[0:1], 0, v[250:251]
	s_and_b64 s[0:1], vcc, s[0:1]
	v_cmp_eq_u32_e32 vcc, 0, v197
	s_and_b64 s[0:1], s[0:1], vcc
	v_cndmask_b32_e64 v197, v197, 47, s[0:1]
	v_cmp_eq_f64_e32 vcc, 0, v[188:189]
	v_cmp_eq_f64_e64 s[0:1], 0, v[190:191]
	s_and_b64 s[0:1], vcc, s[0:1]
	v_cmp_eq_u32_e32 vcc, 0, v197
	s_and_b64 s[0:1], s[0:1], vcc
	v_cndmask_b32_e64 v197, v197, 48, s[0:1]
	v_cmp_eq_f64_e32 vcc, 0, v[252:253]
	v_cmp_eq_f64_e64 s[0:1], 0, v[254:255]
	s_and_b64 s[0:1], vcc, s[0:1]
	v_cmp_eq_u32_e32 vcc, 0, v197
	s_and_b64 s[0:1], s[0:1], vcc
	v_cndmask_b32_e64 v197, v197, 49, s[0:1]
	v_cmp_eq_f64_e32 vcc, 0, v[236:237]
	v_cmp_eq_f64_e64 s[0:1], 0, v[238:239]
	scratch_load_dwordx4 v[236:239], off, off offset:1368 ; 16-byte Folded Reload
	s_and_b64 s[0:1], vcc, s[0:1]
	v_cmp_eq_u32_e32 vcc, 0, v197
	v_mov_b64_e32 v[190:191], v[186:187]
	s_and_b64 s[0:1], s[0:1], vcc
	v_mov_b64_e32 v[188:189], v[184:185]
	v_mov_b64_e32 v[186:187], v[182:183]
	v_cndmask_b32_e64 v197, v197, 50, s[0:1]
	v_mov_b64_e32 v[184:185], v[180:181]
	v_mov_b64_e32 v[182:183], v[178:179]
	;; [unrolled: 1-line block ×53, first 2 shown]
	v_mov_b32_e32 v200, v202
	s_waitcnt vmcnt(0)
	v_cmp_eq_f64_e32 vcc, 0, v[236:237]
	v_cmp_eq_f64_e64 s[0:1], 0, v[238:239]
	s_and_b64 s[0:1], vcc, s[0:1]
	v_cmp_eq_u32_e32 vcc, 0, v197
	s_and_b64 s[0:1], s[0:1], vcc
	v_cndmask_b32_e64 v197, v197, 51, s[0:1]
	v_cmp_eq_f64_e32 vcc, 0, v[240:241]
	v_cmp_eq_f64_e64 s[0:1], 0, v[242:243]
	s_and_b64 s[0:1], vcc, s[0:1]
	v_cmp_eq_u32_e32 vcc, 0, v197
	s_and_b64 s[0:1], s[0:1], vcc
	v_cndmask_b32_e64 v197, v197, 52, s[0:1]
	;; [unrolled: 6-line block ×9, first 2 shown]
	v_cmp_eq_u32_e32 vcc, 0, v196
	v_cmp_ne_u32_e64 s[0:1], 0, v201
	s_and_b64 s[0:1], vcc, s[0:1]
	s_and_b64 exec, exec, s[0:1]
	s_cbranch_execz .LBB117_533
; %bb.532:
	v_add_u32_e32 v196, s9, v201
	global_store_dword v[204:205], v196, off
.LBB117_533:
	s_or_b64 exec, exec, s[2:3]
	v_mul_f64 v[196:197], v[210:211], v[234:235]
	v_mul_f64 v[198:199], v[208:209], v[234:235]
	v_cmp_lt_u32_e32 vcc, 58, v200
	v_fma_f64 v[196:197], v[208:209], v[232:233], -v[196:197]
	v_fmac_f64_e32 v[198:199], v[210:211], v[232:233]
	v_cndmask_b32_e32 v211, v235, v199, vcc
	v_cndmask_b32_e32 v210, v234, v198, vcc
	;; [unrolled: 1-line block ×4, first 2 shown]
	scratch_load_dwordx2 v[196:197], off, off offset:144 ; 8-byte Folded Reload
	scratch_load_dwordx4 v[198:201], off, off offset:128 ; 16-byte Folded Reload
	s_waitcnt vmcnt(0)
	global_store_dwordx4 v[196:197], v[198:201], off
	scratch_load_dwordx2 v[196:197], off, off offset:608 ; 8-byte Folded Reload
	s_nop 0
	scratch_load_dwordx4 v[198:201], off, off offset:112 ; 16-byte Folded Reload
	s_waitcnt vmcnt(0)
	global_store_dwordx4 v[196:197], v[198:201], off
	scratch_load_dwordx2 v[196:197], off, off offset:152 ; 8-byte Folded Reload
	s_nop 0
	;; [unrolled: 5-line block ×7, first 2 shown]
	scratch_load_dwordx4 v[198:201], off, off offset:16 ; 16-byte Folded Reload
	s_waitcnt vmcnt(0)
	global_store_dwordx4 v[196:197], v[198:201], off
	scratch_load_dwordx2 v[196:197], off, off offset:200 ; 8-byte Folded Reload
	s_waitcnt vmcnt(0)
	global_store_dwordx4 v[196:197], v[192:195], off
	scratch_load_dwordx2 v[196:197], off, off offset:208 ; 8-byte Folded Reload
	s_nop 0
	scratch_load_dwordx4 v[192:195], off, off ; 16-byte Folded Reload
	s_waitcnt vmcnt(0)
	global_store_dwordx4 v[196:197], v[192:195], off
	scratch_load_dwordx2 v[192:193], off, off offset:216 ; 8-byte Folded Reload
	s_waitcnt vmcnt(0)
	global_store_dwordx4 v[192:193], v[188:191], off
	scratch_load_dwordx2 v[188:189], off, off offset:224 ; 8-byte Folded Reload
	;; [unrolled: 3-line block ×49, first 2 shown]
	s_waitcnt vmcnt(0)
	global_store_dwordx4 v[0:1], v[208:211], off
.LBB117_534:
	s_endpgm
	.section	.rodata,"a",@progbits
	.p2align	6, 0x0
	.amdhsa_kernel _ZN9rocsolver6v33100L23getf2_npvt_small_kernelILi59E19rocblas_complex_numIdEiiPS3_EEvT1_T3_lS5_lPT2_S5_S5_
		.amdhsa_group_segment_fixed_size 0
		.amdhsa_private_segment_fixed_size 1396
		.amdhsa_kernarg_size 312
		.amdhsa_user_sgpr_count 2
		.amdhsa_user_sgpr_dispatch_ptr 0
		.amdhsa_user_sgpr_queue_ptr 0
		.amdhsa_user_sgpr_kernarg_segment_ptr 1
		.amdhsa_user_sgpr_dispatch_id 0
		.amdhsa_user_sgpr_kernarg_preload_length 0
		.amdhsa_user_sgpr_kernarg_preload_offset 0
		.amdhsa_user_sgpr_private_segment_size 0
		.amdhsa_uses_dynamic_stack 0
		.amdhsa_enable_private_segment 1
		.amdhsa_system_sgpr_workgroup_id_x 1
		.amdhsa_system_sgpr_workgroup_id_y 1
		.amdhsa_system_sgpr_workgroup_id_z 0
		.amdhsa_system_sgpr_workgroup_info 0
		.amdhsa_system_vgpr_workitem_id 1
		.amdhsa_next_free_vgpr 256
		.amdhsa_next_free_sgpr 18
		.amdhsa_accum_offset 256
		.amdhsa_reserve_vcc 1
		.amdhsa_float_round_mode_32 0
		.amdhsa_float_round_mode_16_64 0
		.amdhsa_float_denorm_mode_32 3
		.amdhsa_float_denorm_mode_16_64 3
		.amdhsa_dx10_clamp 1
		.amdhsa_ieee_mode 1
		.amdhsa_fp16_overflow 0
		.amdhsa_tg_split 0
		.amdhsa_exception_fp_ieee_invalid_op 0
		.amdhsa_exception_fp_denorm_src 0
		.amdhsa_exception_fp_ieee_div_zero 0
		.amdhsa_exception_fp_ieee_overflow 0
		.amdhsa_exception_fp_ieee_underflow 0
		.amdhsa_exception_fp_ieee_inexact 0
		.amdhsa_exception_int_div_zero 0
	.end_amdhsa_kernel
	.section	.text._ZN9rocsolver6v33100L23getf2_npvt_small_kernelILi59E19rocblas_complex_numIdEiiPS3_EEvT1_T3_lS5_lPT2_S5_S5_,"axG",@progbits,_ZN9rocsolver6v33100L23getf2_npvt_small_kernelILi59E19rocblas_complex_numIdEiiPS3_EEvT1_T3_lS5_lPT2_S5_S5_,comdat
.Lfunc_end117:
	.size	_ZN9rocsolver6v33100L23getf2_npvt_small_kernelILi59E19rocblas_complex_numIdEiiPS3_EEvT1_T3_lS5_lPT2_S5_S5_, .Lfunc_end117-_ZN9rocsolver6v33100L23getf2_npvt_small_kernelILi59E19rocblas_complex_numIdEiiPS3_EEvT1_T3_lS5_lPT2_S5_S5_
                                        ; -- End function
	.set _ZN9rocsolver6v33100L23getf2_npvt_small_kernelILi59E19rocblas_complex_numIdEiiPS3_EEvT1_T3_lS5_lPT2_S5_S5_.num_vgpr, 256
	.set _ZN9rocsolver6v33100L23getf2_npvt_small_kernelILi59E19rocblas_complex_numIdEiiPS3_EEvT1_T3_lS5_lPT2_S5_S5_.num_agpr, 0
	.set _ZN9rocsolver6v33100L23getf2_npvt_small_kernelILi59E19rocblas_complex_numIdEiiPS3_EEvT1_T3_lS5_lPT2_S5_S5_.numbered_sgpr, 18
	.set _ZN9rocsolver6v33100L23getf2_npvt_small_kernelILi59E19rocblas_complex_numIdEiiPS3_EEvT1_T3_lS5_lPT2_S5_S5_.num_named_barrier, 0
	.set _ZN9rocsolver6v33100L23getf2_npvt_small_kernelILi59E19rocblas_complex_numIdEiiPS3_EEvT1_T3_lS5_lPT2_S5_S5_.private_seg_size, 1396
	.set _ZN9rocsolver6v33100L23getf2_npvt_small_kernelILi59E19rocblas_complex_numIdEiiPS3_EEvT1_T3_lS5_lPT2_S5_S5_.uses_vcc, 1
	.set _ZN9rocsolver6v33100L23getf2_npvt_small_kernelILi59E19rocblas_complex_numIdEiiPS3_EEvT1_T3_lS5_lPT2_S5_S5_.uses_flat_scratch, 0
	.set _ZN9rocsolver6v33100L23getf2_npvt_small_kernelILi59E19rocblas_complex_numIdEiiPS3_EEvT1_T3_lS5_lPT2_S5_S5_.has_dyn_sized_stack, 0
	.set _ZN9rocsolver6v33100L23getf2_npvt_small_kernelILi59E19rocblas_complex_numIdEiiPS3_EEvT1_T3_lS5_lPT2_S5_S5_.has_recursion, 0
	.set _ZN9rocsolver6v33100L23getf2_npvt_small_kernelILi59E19rocblas_complex_numIdEiiPS3_EEvT1_T3_lS5_lPT2_S5_S5_.has_indirect_call, 0
	.section	.AMDGPU.csdata,"",@progbits
; Kernel info:
; codeLenInByte = 151160
; TotalNumSgprs: 24
; NumVgprs: 256
; NumAgprs: 0
; TotalNumVgprs: 256
; ScratchSize: 1396
; MemoryBound: 1
; FloatMode: 240
; IeeeMode: 1
; LDSByteSize: 0 bytes/workgroup (compile time only)
; SGPRBlocks: 2
; VGPRBlocks: 31
; NumSGPRsForWavesPerEU: 24
; NumVGPRsForWavesPerEU: 256
; AccumOffset: 256
; Occupancy: 2
; WaveLimiterHint : 0
; COMPUTE_PGM_RSRC2:SCRATCH_EN: 1
; COMPUTE_PGM_RSRC2:USER_SGPR: 2
; COMPUTE_PGM_RSRC2:TRAP_HANDLER: 0
; COMPUTE_PGM_RSRC2:TGID_X_EN: 1
; COMPUTE_PGM_RSRC2:TGID_Y_EN: 1
; COMPUTE_PGM_RSRC2:TGID_Z_EN: 0
; COMPUTE_PGM_RSRC2:TIDIG_COMP_CNT: 1
; COMPUTE_PGM_RSRC3_GFX90A:ACCUM_OFFSET: 63
; COMPUTE_PGM_RSRC3_GFX90A:TG_SPLIT: 0
	.section	.text._ZN9rocsolver6v33100L18getf2_small_kernelILi60E19rocblas_complex_numIdEiiPS3_EEvT1_T3_lS5_lPS5_llPT2_S5_S5_S7_l,"axG",@progbits,_ZN9rocsolver6v33100L18getf2_small_kernelILi60E19rocblas_complex_numIdEiiPS3_EEvT1_T3_lS5_lPS5_llPT2_S5_S5_S7_l,comdat
	.globl	_ZN9rocsolver6v33100L18getf2_small_kernelILi60E19rocblas_complex_numIdEiiPS3_EEvT1_T3_lS5_lPS5_llPT2_S5_S5_S7_l ; -- Begin function _ZN9rocsolver6v33100L18getf2_small_kernelILi60E19rocblas_complex_numIdEiiPS3_EEvT1_T3_lS5_lPS5_llPT2_S5_S5_S7_l
	.p2align	8
	.type	_ZN9rocsolver6v33100L18getf2_small_kernelILi60E19rocblas_complex_numIdEiiPS3_EEvT1_T3_lS5_lPS5_llPT2_S5_S5_S7_l,@function
_ZN9rocsolver6v33100L18getf2_small_kernelILi60E19rocblas_complex_numIdEiiPS3_EEvT1_T3_lS5_lPS5_llPT2_S5_S5_S7_l: ; @_ZN9rocsolver6v33100L18getf2_small_kernelILi60E19rocblas_complex_numIdEiiPS3_EEvT1_T3_lS5_lPS5_llPT2_S5_S5_S7_l
; %bb.0:
	s_load_dword s2, s[0:1], 0x6c
	s_load_dwordx2 s[12:13], s[0:1], 0x48
	v_bfe_u32 v240, v0, 10, 10
	s_waitcnt lgkmcnt(0)
	s_lshr_b32 s2, s2, 16
	s_mul_i32 s3, s3, s2
	v_add_u32_e32 v8, s3, v240
	v_cmp_gt_i32_e32 vcc, s12, v8
	s_and_saveexec_b64 s[2:3], vcc
	s_cbranch_execnz .LBB118_1
; %bb.1262:
	s_getpc_b64 s[24:25]
.Lpost_getpc15:
	s_add_u32 s24, s24, (.LBB118_1261-.Lpost_getpc15)&4294967295
	s_addc_u32 s25, s25, (.LBB118_1261-.Lpost_getpc15)>>32
	s_setpc_b64 s[24:25]
.LBB118_1:
	s_load_dwordx4 s[4:7], s[0:1], 0x50
	v_ashrrev_i32_e32 v9, 31, v8
	v_mov_b64_e32 v[2:3], 0
	s_waitcnt lgkmcnt(0)
	s_cmp_eq_u64 s[4:5], 0
	s_cselect_b64 s[14:15], -1, 0
	s_and_b64 vcc, exec, s[14:15]
	s_cbranch_vccnz .LBB118_3
; %bb.2:
	v_mul_lo_u32 v1, s7, v8
	v_mul_lo_u32 v4, s6, v9
	v_mad_u64_u32 v[2:3], s[2:3], s6, v8, 0
	v_add3_u32 v3, v3, v4, v1
	v_lshl_add_u64 v[2:3], v[2:3], 2, s[4:5]
.LBB118_3:
	scratch_store_dwordx2 off, v[2:3], off offset:104 ; 8-byte Folded Spill
	s_load_dwordx4 s[16:19], s[0:1], 0x8
	s_load_dwordx8 s[4:11], s[0:1], 0x20
	s_load_dword s2, s[0:1], 0x18
	s_load_dword s20, s[0:1], 0x0
	v_mov_b32_e32 v251, 0
	s_waitcnt lgkmcnt(0)
	v_mov_b32_e32 v2, s16
	v_mul_lo_u32 v1, s5, v8
	v_mul_lo_u32 v6, s4, v9
	v_mad_u64_u32 v[4:5], s[4:5], s4, v8, 0
	v_mov_b32_e32 v3, s17
	v_add3_u32 v5, v5, v6, v1
	v_lshl_add_u64 v[2:3], v[4:5], 4, v[2:3]
	v_lshl_add_u64 v[78:79], s[18:19], 4, v[2:3]
	v_and_b32_e32 v2, 0x3ff, v0
	v_lshlrev_b32_e32 v250, 4, v2
	v_lshl_add_u64 v[0:1], v[78:79], 0, v[250:251]
	s_ashr_i32 s3, s2, 31
	v_lshl_add_u64 v[10:11], s[2:3], 4, v[0:1]
	global_load_dwordx4 v[204:207], v[0:1], off
	global_load_dwordx4 v[14:17], v[10:11], off
	s_add_i32 s12, s2, s2
	v_mov_b32_e32 v244, v2
	v_add_u32_e32 v2, s12, v2
	v_add_u32_e32 v4, s2, v2
	;; [unrolled: 1-line block ×3, first 2 shown]
	v_mov_b64_e32 v[218:219], v[8:9]
	v_add_u32_e32 v8, s2, v6
	v_ashrrev_i32_e32 v9, 31, v8
	v_add_u32_e32 v12, s2, v8
                                        ; kill: killed $vgpr0_vgpr1
	v_lshl_add_u64 v[0:1], v[8:9], 4, v[78:79]
	v_ashrrev_i32_e32 v13, 31, v12
	v_add_u32_e32 v8, s2, v12
                                        ; kill: killed $vgpr10_vgpr11
	v_lshl_add_u64 v[10:11], v[12:13], 4, v[78:79]
	v_add_u32_e32 v12, s2, v8
	v_ashrrev_i32_e32 v3, 31, v2
	v_ashrrev_i32_e32 v5, 31, v4
	v_lshl_add_u64 v[2:3], v[2:3], 4, v[78:79]
	v_lshl_add_u64 v[4:5], v[4:5], 4, v[78:79]
	v_ashrrev_i32_e32 v7, 31, v6
	v_ashrrev_i32_e32 v9, 31, v8
	;; [unrolled: 1-line block ×3, first 2 shown]
	v_lshl_add_u64 v[6:7], v[6:7], 4, v[78:79]
	v_lshl_add_u64 v[8:9], v[8:9], 4, v[78:79]
	scratch_store_dwordx2 off, v[78:79], off offset:80 ; 8-byte Folded Spill
	s_load_dwordx2 s[4:5], s[0:1], 0x40
	s_max_i32 s0, s20, 60
	s_cmp_lt_i32 s20, 2
	s_waitcnt vmcnt(1)
	scratch_store_dwordx4 off, v[14:17], off offset:48 ; 16-byte Folded Spill
	s_nop 1
	v_add_u32_e32 v14, s2, v12
	v_add_u32_e32 v16, s2, v14
	;; [unrolled: 1-line block ×14, first 2 shown]
	v_ashrrev_i32_e32 v41, 31, v40
	v_lshl_add_u64 v[42:43], v[40:41], 4, v[78:79]
	v_add_u32_e32 v40, s2, v40
	v_ashrrev_i32_e32 v41, 31, v40
	v_lshl_add_u64 v[44:45], v[40:41], 4, v[78:79]
	v_add_u32_e32 v40, s2, v40
	;; [unrolled: 3-line block ×37, first 2 shown]
	v_ashrrev_i32_e32 v15, 31, v14
	v_ashrrev_i32_e32 v17, 31, v16
	;; [unrolled: 1-line block ×14, first 2 shown]
	v_lshl_add_u64 v[12:13], v[12:13], 4, v[78:79]
	v_lshl_add_u64 v[14:15], v[14:15], 4, v[78:79]
	;; [unrolled: 1-line block ×15, first 2 shown]
	global_load_dwordx4 v[78:81], v[2:3], off
	s_nop 0
	global_load_dwordx4 v[2:5], v[4:5], off
	s_waitcnt vmcnt(1)
	scratch_store_dwordx4 off, v[78:81], off offset:32 ; 16-byte Folded Spill
	s_waitcnt vmcnt(1)
	scratch_store_dwordx4 off, v[2:5], off offset:16 ; 16-byte Folded Spill
	global_load_dwordx4 v[2:5], v[6:7], off
	s_waitcnt vmcnt(0)
	scratch_store_dwordx4 off, v[2:5], off offset:88 ; 16-byte Folded Spill
	global_load_dwordx4 v[212:215], v[0:1], off
	s_nop 0
	global_load_dwordx4 v[0:3], v[10:11], off
	global_load_dwordx4 v[4:7], v[8:9], off
	s_nop 0
	global_load_dwordx4 v[8:11], v[12:13], off
	global_load_dwordx4 v[200:203], v[14:15], off
	;; [unrolled: 1-line block ×31, first 2 shown]
	s_nop 0
	global_load_dwordx4 v[76:79], v[76:77], off
	s_nop 0
	global_load_dwordx4 v[72:75], v[164:165], off
	global_load_dwordx4 v[68:71], v[166:167], off
	;; [unrolled: 1-line block ×16, first 2 shown]
	s_nop 0
	global_load_dwordx4 v[230:233], v[226:227], off
	s_nop 0
	global_load_dwordx4 v[224:227], v[220:221], off
	;; [unrolled: 2-line block ×4, first 2 shown]
	v_mul_lo_u32 v156, s0, v240
	v_lshl_add_u32 v252, v156, 4, 0
	v_add_u32_e32 v157, v252, v250
	scratch_store_dwordx4 off, v[204:207], off offset:64 ; 16-byte Folded Spill
	ds_write2_b64 v157, v[204:205], v[206:207] offset1:1
	s_waitcnt lgkmcnt(0)
	s_barrier
	ds_read2_b64 v[240:243], v252 offset1:1
	v_lshlrev_b32_e32 v228, 4, v156
	s_waitcnt vmcnt(52)
	scratch_store_dwordx4 off, v[8:11], off ; 16-byte Folded Spill
	s_cbranch_scc1 .LBB118_6
; %bb.4:
	v_add3_u32 v247, v228, 0, 16
	s_mov_b32 s0, 1
	v_mov_b32_e32 v251, 0
.LBB118_5:                              ; =>This Inner Loop Header: Depth=1
	ds_read2_b64 v[164:167], v247 offset1:1
	s_waitcnt lgkmcnt(1)
	v_cmp_gt_f64_e32 vcc, 0, v[240:241]
	v_xor_b32_e32 v156, 0x80000000, v241
	v_xor_b32_e32 v158, 0x80000000, v243
	v_cndmask_b32_e32 v157, v241, v156, vcc
	v_cmp_gt_f64_e32 vcc, 0, v[242:243]
	v_mov_b32_e32 v156, v240
	s_waitcnt lgkmcnt(0)
	v_xor_b32_e32 v216, 0x80000000, v167
	v_cndmask_b32_e32 v159, v243, v158, vcc
	v_mov_b32_e32 v158, v242
	v_add_f64 v[156:157], v[156:157], v[158:159]
	v_cmp_gt_f64_e32 vcc, 0, v[164:165]
	v_xor_b32_e32 v158, 0x80000000, v165
	v_add_u32_e32 v247, 16, v247
	v_cndmask_b32_e32 v159, v165, v158, vcc
	v_cmp_gt_f64_e32 vcc, 0, v[166:167]
	v_mov_b32_e32 v158, v164
	s_nop 0
	v_cndmask_b32_e32 v217, v167, v216, vcc
	v_mov_b32_e32 v216, v166
	v_add_f64 v[158:159], v[158:159], v[216:217]
	v_cmp_lt_f64_e32 vcc, v[156:157], v[158:159]
	v_mov_b32_e32 v156, s0
	s_add_i32 s0, s0, 1
	v_cndmask_b32_e32 v241, v241, v165, vcc
	v_cndmask_b32_e32 v240, v240, v164, vcc
	;; [unrolled: 1-line block ×5, first 2 shown]
	s_cmp_eq_u32 s20, s0
	s_cbranch_scc0 .LBB118_5
.LBB118_6:
	scratch_load_dwordx2 v[234:235], off, off offset:104 ; 8-byte Folded Reload
	s_waitcnt vmcnt(53)
	v_mov_b64_e32 v[206:207], v[202:203]
	v_mov_b64_e32 v[204:205], v[200:201]
	s_waitcnt vmcnt(52)
	v_mov_b64_e32 v[202:203], v[198:199]
	v_mov_b64_e32 v[10:11], v[6:7]
	v_mov_b64_e32 v[200:201], v[196:197]
	v_mov_b64_e32 v[8:9], v[4:5]
	s_waitcnt lgkmcnt(0)
	v_cmp_neq_f64_e32 vcc, 0, v[240:241]
	v_cmp_neq_f64_e64 s[0:1], 0, v[242:243]
	v_mov_b32_e32 v254, 1
	v_mov_b32_e32 v247, 1
	s_or_b64 s[16:17], vcc, s[0:1]
	s_mov_b64 s[0:1], exec
	v_mov_b64_e32 v[4:5], v[212:213]
	v_mov_b64_e32 v[6:7], v[214:215]
	scratch_load_dwordx4 v[212:215], off, off offset:88 ; 16-byte Folded Reload
	s_waitcnt vmcnt(52)
	v_mov_b64_e32 v[198:199], v[154:155]
	v_mov_b64_e32 v[196:197], v[152:153]
	;; [unrolled: 1-line block ×3, first 2 shown]
	s_and_b64 s[16:17], s[0:1], s[16:17]
	v_mov_b64_e32 v[152:153], v[0:1]
	s_mov_b64 exec, s[16:17]
	s_cbranch_execz .LBB118_12
; %bb.7:
	v_cmp_ngt_f64_e64 s[16:17], |v[240:241]|, |v[242:243]|
	s_and_saveexec_b64 s[18:19], s[16:17]
	s_xor_b64 s[16:17], exec, s[18:19]
	s_cbranch_execz .LBB118_9
; %bb.8:
	v_div_scale_f64 v[156:157], s[18:19], v[242:243], v[242:243], v[240:241]
	v_rcp_f64_e32 v[158:159], v[156:157]
	v_div_scale_f64 v[164:165], vcc, v[240:241], v[242:243], v[240:241]
	v_fma_f64 v[166:167], -v[156:157], v[158:159], 1.0
	v_fmac_f64_e32 v[158:159], v[158:159], v[166:167]
	v_fma_f64 v[166:167], -v[156:157], v[158:159], 1.0
	v_fmac_f64_e32 v[158:159], v[158:159], v[166:167]
	v_mul_f64 v[166:167], v[164:165], v[158:159]
	v_fma_f64 v[156:157], -v[156:157], v[166:167], v[164:165]
	v_div_fmas_f64 v[156:157], v[156:157], v[158:159], v[166:167]
	v_div_fixup_f64 v[156:157], v[156:157], v[242:243], v[240:241]
	v_fmac_f64_e32 v[242:243], v[240:241], v[156:157]
	v_div_scale_f64 v[158:159], s[18:19], v[242:243], v[242:243], 1.0
	v_rcp_f64_e32 v[164:165], v[158:159]
	s_nop 0
	v_fma_f64 v[166:167], -v[158:159], v[164:165], 1.0
	v_fmac_f64_e32 v[164:165], v[164:165], v[166:167]
	v_fma_f64 v[166:167], -v[158:159], v[164:165], 1.0
	v_fmac_f64_e32 v[164:165], v[164:165], v[166:167]
	v_div_scale_f64 v[166:167], vcc, 1.0, v[242:243], 1.0
	v_mul_f64 v[216:217], v[166:167], v[164:165]
	v_fma_f64 v[158:159], -v[158:159], v[216:217], v[166:167]
	s_nop 1
	v_div_fmas_f64 v[158:159], v[158:159], v[164:165], v[216:217]
	v_div_fixup_f64 v[242:243], v[158:159], v[242:243], 1.0
	v_mul_f64 v[240:241], v[156:157], v[242:243]
	v_xor_b32_e32 v243, 0x80000000, v243
.LBB118_9:
	s_andn2_saveexec_b64 s[16:17], s[16:17]
	s_cbranch_execz .LBB118_11
; %bb.10:
	v_div_scale_f64 v[156:157], s[18:19], v[240:241], v[240:241], v[242:243]
	v_rcp_f64_e32 v[158:159], v[156:157]
	v_div_scale_f64 v[164:165], vcc, v[242:243], v[240:241], v[242:243]
	v_fma_f64 v[166:167], -v[156:157], v[158:159], 1.0
	v_fmac_f64_e32 v[158:159], v[158:159], v[166:167]
	v_fma_f64 v[166:167], -v[156:157], v[158:159], 1.0
	v_fmac_f64_e32 v[158:159], v[158:159], v[166:167]
	v_mul_f64 v[166:167], v[164:165], v[158:159]
	v_fma_f64 v[156:157], -v[156:157], v[166:167], v[164:165]
	v_div_fmas_f64 v[156:157], v[156:157], v[158:159], v[166:167]
	v_div_fixup_f64 v[156:157], v[156:157], v[240:241], v[242:243]
	v_fmac_f64_e32 v[240:241], v[242:243], v[156:157]
	v_div_scale_f64 v[158:159], s[18:19], v[240:241], v[240:241], 1.0
	v_rcp_f64_e32 v[164:165], v[158:159]
	s_nop 0
	v_fma_f64 v[166:167], -v[158:159], v[164:165], 1.0
	v_fmac_f64_e32 v[164:165], v[164:165], v[166:167]
	v_fma_f64 v[166:167], -v[158:159], v[164:165], 1.0
	v_fmac_f64_e32 v[164:165], v[164:165], v[166:167]
	v_div_scale_f64 v[166:167], vcc, 1.0, v[240:241], 1.0
	v_mul_f64 v[216:217], v[166:167], v[164:165]
	v_fma_f64 v[158:159], -v[158:159], v[216:217], v[166:167]
	s_nop 1
	v_div_fmas_f64 v[158:159], v[158:159], v[164:165], v[216:217]
	v_div_fixup_f64 v[240:241], v[158:159], v[240:241], 1.0
	v_mul_f64 v[242:243], v[156:157], -v[240:241]
.LBB118_11:
	s_or_b64 exec, exec, s[16:17]
	v_mov_b32_e32 v247, 0
	v_mov_b32_e32 v254, 2
.LBB118_12:
	s_or_b64 exec, exec, s[0:1]
	v_cmp_ne_u32_e32 vcc, v244, v251
	s_and_saveexec_b64 s[0:1], vcc
	s_xor_b64 s[0:1], exec, s[0:1]
	s_cbranch_execz .LBB118_18
; %bb.13:
	v_cmp_eq_u32_e32 vcc, 0, v244
	s_and_saveexec_b64 s[16:17], vcc
	s_cbranch_execz .LBB118_17
; %bb.14:
	v_cmp_ne_u32_e32 vcc, 0, v251
	s_xor_b64 s[18:19], s[14:15], -1
	s_and_b64 s[22:23], s[18:19], vcc
	s_and_saveexec_b64 s[18:19], s[22:23]
	s_cbranch_execz .LBB118_16
; %bb.15:
	v_ashrrev_i32_e32 v157, 31, v251
	v_mov_b32_e32 v156, v251
	s_waitcnt vmcnt(1)
	v_lshl_add_u64 v[156:157], v[156:157], 2, v[234:235]
	global_load_dword v158, v[156:157], off
	global_load_dword v159, v[234:235], off
	s_waitcnt vmcnt(1)
	global_store_dword v[234:235], v158, off
	s_waitcnt vmcnt(1)
	global_store_dword v[156:157], v159, off
.LBB118_16:
	s_or_b64 exec, exec, s[18:19]
	v_mov_b32_e32 v244, v251
.LBB118_17:
	s_or_b64 exec, exec, s[16:17]
.LBB118_18:
	s_or_saveexec_b64 s[0:1], s[0:1]
	v_mov_b32_e32 v253, v244
	s_xor_b64 exec, exec, s[0:1]
	s_cbranch_execz .LBB118_20
; %bb.19:
	scratch_load_dwordx4 v[0:3], off, off offset:48 ; 16-byte Folded Reload
	v_mov_b32_e32 v253, 0
	s_waitcnt vmcnt(0)
	ds_write2_b64 v252, v[0:1], v[2:3] offset0:2 offset1:3
	scratch_load_dwordx4 v[0:3], off, off offset:32 ; 16-byte Folded Reload
	s_waitcnt vmcnt(0)
	ds_write2_b64 v252, v[0:1], v[2:3] offset0:4 offset1:5
	scratch_load_dwordx4 v[0:3], off, off offset:16 ; 16-byte Folded Reload
	s_waitcnt vmcnt(0)
	ds_write2_b64 v252, v[0:1], v[2:3] offset0:6 offset1:7
	ds_write2_b64 v252, v[212:213], v[214:215] offset0:8 offset1:9
	;; [unrolled: 1-line block ×5, first 2 shown]
	scratch_load_dwordx4 v[0:3], off, off   ; 16-byte Folded Reload
	s_waitcnt vmcnt(0)
	ds_write2_b64 v252, v[0:1], v[2:3] offset0:16 offset1:17
	ds_write2_b64 v252, v[204:205], v[206:207] offset0:18 offset1:19
	ds_write2_b64 v252, v[200:201], v[202:203] offset0:20 offset1:21
	ds_write2_b64 v252, v[196:197], v[198:199] offset0:22 offset1:23
	ds_write2_b64 v252, v[192:193], v[194:195] offset0:24 offset1:25
	ds_write2_b64 v252, v[188:189], v[190:191] offset0:26 offset1:27
	ds_write2_b64 v252, v[184:185], v[186:187] offset0:28 offset1:29
	ds_write2_b64 v252, v[180:181], v[182:183] offset0:30 offset1:31
	ds_write2_b64 v252, v[176:177], v[178:179] offset0:32 offset1:33
	ds_write2_b64 v252, v[172:173], v[174:175] offset0:34 offset1:35
	ds_write2_b64 v252, v[168:169], v[170:171] offset0:36 offset1:37
	ds_write2_b64 v252, v[160:161], v[162:163] offset0:38 offset1:39
	ds_write2_b64 v252, v[208:209], v[210:211] offset0:40 offset1:41
	ds_write2_b64 v252, v[148:149], v[150:151] offset0:42 offset1:43
	ds_write2_b64 v252, v[144:145], v[146:147] offset0:44 offset1:45
	ds_write2_b64 v252, v[140:141], v[142:143] offset0:46 offset1:47
	ds_write2_b64 v252, v[136:137], v[138:139] offset0:48 offset1:49
	ds_write2_b64 v252, v[132:133], v[134:135] offset0:50 offset1:51
	ds_write2_b64 v252, v[128:129], v[130:131] offset0:52 offset1:53
	ds_write2_b64 v252, v[124:125], v[126:127] offset0:54 offset1:55
	ds_write2_b64 v252, v[120:121], v[122:123] offset0:56 offset1:57
	ds_write2_b64 v252, v[116:117], v[118:119] offset0:58 offset1:59
	ds_write2_b64 v252, v[112:113], v[114:115] offset0:60 offset1:61
	ds_write2_b64 v252, v[108:109], v[110:111] offset0:62 offset1:63
	ds_write2_b64 v252, v[104:105], v[106:107] offset0:64 offset1:65
	ds_write2_b64 v252, v[100:101], v[102:103] offset0:66 offset1:67
	ds_write2_b64 v252, v[96:97], v[98:99] offset0:68 offset1:69
	ds_write2_b64 v252, v[92:93], v[94:95] offset0:70 offset1:71
	ds_write2_b64 v252, v[88:89], v[90:91] offset0:72 offset1:73
	ds_write2_b64 v252, v[84:85], v[86:87] offset0:74 offset1:75
	ds_write2_b64 v252, v[80:81], v[82:83] offset0:76 offset1:77
	ds_write2_b64 v252, v[76:77], v[78:79] offset0:78 offset1:79
	ds_write2_b64 v252, v[72:73], v[74:75] offset0:80 offset1:81
	ds_write2_b64 v252, v[68:69], v[70:71] offset0:82 offset1:83
	ds_write2_b64 v252, v[64:65], v[66:67] offset0:84 offset1:85
	ds_write2_b64 v252, v[60:61], v[62:63] offset0:86 offset1:87
	ds_write2_b64 v252, v[56:57], v[58:59] offset0:88 offset1:89
	ds_write2_b64 v252, v[52:53], v[54:55] offset0:90 offset1:91
	ds_write2_b64 v252, v[48:49], v[50:51] offset0:92 offset1:93
	ds_write2_b64 v252, v[44:45], v[46:47] offset0:94 offset1:95
	ds_write2_b64 v252, v[40:41], v[42:43] offset0:96 offset1:97
	ds_write2_b64 v252, v[36:37], v[38:39] offset0:98 offset1:99
	ds_write2_b64 v252, v[32:33], v[34:35] offset0:100 offset1:101
	ds_write2_b64 v252, v[28:29], v[30:31] offset0:102 offset1:103
	ds_write2_b64 v252, v[24:25], v[26:27] offset0:104 offset1:105
	ds_write2_b64 v252, v[20:21], v[22:23] offset0:106 offset1:107
	ds_write2_b64 v252, v[16:17], v[18:19] offset0:108 offset1:109
	ds_write2_b64 v252, v[12:13], v[14:15] offset0:110 offset1:111
	ds_write2_b64 v252, v[230:231], v[232:233] offset0:112 offset1:113
	ds_write2_b64 v252, v[224:225], v[226:227] offset0:114 offset1:115
	ds_write2_b64 v252, v[220:221], v[222:223] offset0:116 offset1:117
	ds_write2_b64 v252, v[236:237], v[238:239] offset0:118 offset1:119
.LBB118_20:
	s_or_b64 exec, exec, s[0:1]
	v_cmp_lt_i32_e32 vcc, 0, v253
	s_waitcnt lgkmcnt(0)
	s_barrier
	s_and_saveexec_b64 s[0:1], vcc
	s_cbranch_execz .LBB118_22
; %bb.21:
	scratch_load_dwordx4 v[0:3], off, off offset:64 ; 16-byte Folded Reload
	ds_read2_b64 v[164:167], v252 offset0:2 offset1:3
	s_waitcnt vmcnt(0)
	v_mul_f64 v[156:157], v[242:243], v[2:3]
	v_mul_f64 v[2:3], v[240:241], v[2:3]
	v_fmac_f64_e32 v[2:3], v[242:243], v[0:1]
	v_fma_f64 v[250:251], v[240:241], v[0:1], -v[156:157]
	s_waitcnt lgkmcnt(0)
	v_mul_f64 v[156:157], v[166:167], v[2:3]
	v_mul_f64 v[158:159], v[164:165], v[2:3]
	v_fma_f64 v[156:157], v[164:165], v[250:251], -v[156:157]
	v_fmac_f64_e32 v[158:159], v[166:167], v[250:251]
	scratch_load_dwordx4 v[164:167], off, off offset:48 ; 16-byte Folded Reload
	v_mov_b64_e32 v[0:1], v[250:251]
	scratch_store_dwordx4 off, v[0:3], off offset:64 ; 16-byte Folded Spill
	s_waitcnt vmcnt(1)
	v_add_f64 v[164:165], v[164:165], -v[156:157]
	v_add_f64 v[166:167], v[166:167], -v[158:159]
	scratch_store_dwordx4 off, v[164:167], off offset:48 ; 16-byte Folded Spill
	ds_read2_b64 v[164:167], v252 offset0:4 offset1:5
	s_waitcnt lgkmcnt(0)
	v_mul_f64 v[156:157], v[166:167], v[2:3]
	v_mul_f64 v[158:159], v[164:165], v[2:3]
	v_fma_f64 v[156:157], v[164:165], v[250:251], -v[156:157]
	v_fmac_f64_e32 v[158:159], v[166:167], v[250:251]
	scratch_load_dwordx4 v[164:167], off, off offset:32 ; 16-byte Folded Reload
	s_waitcnt vmcnt(0)
	v_add_f64 v[164:165], v[164:165], -v[156:157]
	v_add_f64 v[166:167], v[166:167], -v[158:159]
	scratch_store_dwordx4 off, v[164:167], off offset:32 ; 16-byte Folded Spill
	ds_read2_b64 v[164:167], v252 offset0:6 offset1:7
	s_waitcnt lgkmcnt(0)
	v_mul_f64 v[156:157], v[166:167], v[2:3]
	v_mul_f64 v[158:159], v[164:165], v[2:3]
	v_fma_f64 v[156:157], v[164:165], v[250:251], -v[156:157]
	v_fmac_f64_e32 v[158:159], v[166:167], v[250:251]
	scratch_load_dwordx4 v[164:167], off, off offset:16 ; 16-byte Folded Reload
	s_waitcnt vmcnt(0)
	v_add_f64 v[164:165], v[164:165], -v[156:157]
	v_add_f64 v[166:167], v[166:167], -v[158:159]
	scratch_store_dwordx4 off, v[164:167], off offset:16 ; 16-byte Folded Spill
	ds_read2_b64 v[164:167], v252 offset0:8 offset1:9
	s_waitcnt lgkmcnt(0)
	v_mul_f64 v[156:157], v[166:167], v[2:3]
	v_mul_f64 v[158:159], v[164:165], v[2:3]
	v_fma_f64 v[156:157], v[164:165], v[250:251], -v[156:157]
	v_fmac_f64_e32 v[158:159], v[166:167], v[250:251]
	ds_read2_b64 v[164:167], v252 offset0:10 offset1:11
	v_add_f64 v[212:213], v[212:213], -v[156:157]
	v_add_f64 v[214:215], v[214:215], -v[158:159]
	s_waitcnt lgkmcnt(0)
	v_mul_f64 v[156:157], v[166:167], v[2:3]
	v_mul_f64 v[158:159], v[164:165], v[2:3]
	v_fma_f64 v[156:157], v[164:165], v[250:251], -v[156:157]
	v_fmac_f64_e32 v[158:159], v[166:167], v[250:251]
	ds_read2_b64 v[164:167], v252 offset0:12 offset1:13
	v_add_f64 v[4:5], v[4:5], -v[156:157]
	v_add_f64 v[6:7], v[6:7], -v[158:159]
	s_waitcnt lgkmcnt(0)
	v_mul_f64 v[156:157], v[166:167], v[2:3]
	v_mul_f64 v[158:159], v[164:165], v[2:3]
	v_fma_f64 v[156:157], v[164:165], v[250:251], -v[156:157]
	v_fmac_f64_e32 v[158:159], v[166:167], v[250:251]
	ds_read2_b64 v[164:167], v252 offset0:14 offset1:15
	v_add_f64 v[152:153], v[152:153], -v[156:157]
	v_add_f64 v[154:155], v[154:155], -v[158:159]
	s_waitcnt lgkmcnt(0)
	v_mul_f64 v[156:157], v[166:167], v[2:3]
	v_mul_f64 v[158:159], v[164:165], v[2:3]
	v_fma_f64 v[156:157], v[164:165], v[250:251], -v[156:157]
	v_fmac_f64_e32 v[158:159], v[166:167], v[250:251]
	ds_read2_b64 v[164:167], v252 offset0:16 offset1:17
	v_add_f64 v[8:9], v[8:9], -v[156:157]
	v_add_f64 v[10:11], v[10:11], -v[158:159]
	s_waitcnt lgkmcnt(0)
	v_mul_f64 v[156:157], v[166:167], v[2:3]
	v_mul_f64 v[158:159], v[164:165], v[2:3]
	v_fma_f64 v[156:157], v[164:165], v[250:251], -v[156:157]
	v_fmac_f64_e32 v[158:159], v[166:167], v[250:251]
	scratch_load_dwordx4 v[164:167], off, off ; 16-byte Folded Reload
	s_waitcnt vmcnt(0)
	v_add_f64 v[164:165], v[164:165], -v[156:157]
	v_add_f64 v[166:167], v[166:167], -v[158:159]
	scratch_store_dwordx4 off, v[164:167], off ; 16-byte Folded Spill
	ds_read2_b64 v[164:167], v252 offset0:18 offset1:19
	s_waitcnt lgkmcnt(0)
	v_mul_f64 v[156:157], v[166:167], v[2:3]
	v_mul_f64 v[158:159], v[164:165], v[2:3]
	v_fma_f64 v[156:157], v[164:165], v[250:251], -v[156:157]
	v_fmac_f64_e32 v[158:159], v[166:167], v[250:251]
	ds_read2_b64 v[164:167], v252 offset0:20 offset1:21
	v_add_f64 v[204:205], v[204:205], -v[156:157]
	v_add_f64 v[206:207], v[206:207], -v[158:159]
	s_waitcnt lgkmcnt(0)
	v_mul_f64 v[156:157], v[166:167], v[2:3]
	v_mul_f64 v[158:159], v[164:165], v[2:3]
	v_fma_f64 v[156:157], v[164:165], v[250:251], -v[156:157]
	v_fmac_f64_e32 v[158:159], v[166:167], v[250:251]
	ds_read2_b64 v[164:167], v252 offset0:22 offset1:23
	v_add_f64 v[200:201], v[200:201], -v[156:157]
	v_add_f64 v[202:203], v[202:203], -v[158:159]
	;; [unrolled: 8-line block ×50, first 2 shown]
	s_waitcnt lgkmcnt(0)
	v_mul_f64 v[156:157], v[166:167], v[2:3]
	v_mul_f64 v[158:159], v[164:165], v[2:3]
	v_fma_f64 v[156:157], v[164:165], v[250:251], -v[156:157]
	v_fmac_f64_e32 v[158:159], v[166:167], v[250:251]
	v_add_f64 v[236:237], v[236:237], -v[156:157]
	v_add_f64 v[238:239], v[238:239], -v[158:159]
.LBB118_22:
	s_or_b64 exec, exec, s[0:1]
	s_barrier
	scratch_load_dwordx4 v[0:3], off, off offset:48 ; 16-byte Folded Reload
	v_lshl_add_u32 v156, v253, 4, v252
	s_cmp_lt_i32 s20, 3
	v_mov_b32_e32 v250, 1
	s_waitcnt vmcnt(0)
	ds_write2_b64 v156, v[0:1], v[2:3] offset1:1
	s_waitcnt lgkmcnt(0)
	s_barrier
	ds_read2_b64 v[240:243], v252 offset0:2 offset1:3
	s_cbranch_scc1 .LBB118_25
; %bb.23:
	v_add3_u32 v251, v228, 0, 32
	s_mov_b32 s0, 2
	v_mov_b32_e32 v250, 1
.LBB118_24:                             ; =>This Inner Loop Header: Depth=1
	ds_read2_b64 v[164:167], v251 offset1:1
	s_waitcnt lgkmcnt(1)
	v_cmp_gt_f64_e32 vcc, 0, v[240:241]
	v_xor_b32_e32 v156, 0x80000000, v241
	v_xor_b32_e32 v158, 0x80000000, v243
	v_cndmask_b32_e32 v157, v241, v156, vcc
	v_cmp_gt_f64_e32 vcc, 0, v[242:243]
	v_mov_b32_e32 v156, v240
	s_waitcnt lgkmcnt(0)
	v_xor_b32_e32 v216, 0x80000000, v167
	v_cndmask_b32_e32 v159, v243, v158, vcc
	v_mov_b32_e32 v158, v242
	v_add_f64 v[156:157], v[156:157], v[158:159]
	v_cmp_gt_f64_e32 vcc, 0, v[164:165]
	v_xor_b32_e32 v158, 0x80000000, v165
	v_add_u32_e32 v251, 16, v251
	v_cndmask_b32_e32 v159, v165, v158, vcc
	v_cmp_gt_f64_e32 vcc, 0, v[166:167]
	v_mov_b32_e32 v158, v164
	s_nop 0
	v_cndmask_b32_e32 v217, v167, v216, vcc
	v_mov_b32_e32 v216, v166
	v_add_f64 v[158:159], v[158:159], v[216:217]
	v_cmp_lt_f64_e32 vcc, v[156:157], v[158:159]
	v_mov_b32_e32 v156, s0
	s_add_i32 s0, s0, 1
	v_cndmask_b32_e32 v241, v241, v165, vcc
	v_cndmask_b32_e32 v240, v240, v164, vcc
	;; [unrolled: 1-line block ×5, first 2 shown]
	s_cmp_lg_u32 s20, s0
	s_cbranch_scc1 .LBB118_24
.LBB118_25:
	s_waitcnt lgkmcnt(0)
	v_cmp_neq_f64_e32 vcc, 0, v[240:241]
	v_cmp_neq_f64_e64 s[0:1], 0, v[242:243]
	s_or_b64 s[16:17], vcc, s[0:1]
	s_and_saveexec_b64 s[0:1], s[16:17]
	s_cbranch_execz .LBB118_31
; %bb.26:
	v_cmp_ngt_f64_e64 s[16:17], |v[240:241]|, |v[242:243]|
	s_and_saveexec_b64 s[18:19], s[16:17]
	s_xor_b64 s[16:17], exec, s[18:19]
	s_cbranch_execz .LBB118_28
; %bb.27:
	v_div_scale_f64 v[156:157], s[18:19], v[242:243], v[242:243], v[240:241]
	v_rcp_f64_e32 v[158:159], v[156:157]
	v_div_scale_f64 v[164:165], vcc, v[240:241], v[242:243], v[240:241]
	v_fma_f64 v[166:167], -v[156:157], v[158:159], 1.0
	v_fmac_f64_e32 v[158:159], v[158:159], v[166:167]
	v_fma_f64 v[166:167], -v[156:157], v[158:159], 1.0
	v_fmac_f64_e32 v[158:159], v[158:159], v[166:167]
	v_mul_f64 v[166:167], v[164:165], v[158:159]
	v_fma_f64 v[156:157], -v[156:157], v[166:167], v[164:165]
	v_div_fmas_f64 v[156:157], v[156:157], v[158:159], v[166:167]
	v_div_fixup_f64 v[156:157], v[156:157], v[242:243], v[240:241]
	v_fmac_f64_e32 v[242:243], v[240:241], v[156:157]
	v_div_scale_f64 v[158:159], s[18:19], v[242:243], v[242:243], 1.0
	v_rcp_f64_e32 v[164:165], v[158:159]
	s_nop 0
	v_fma_f64 v[166:167], -v[158:159], v[164:165], 1.0
	v_fmac_f64_e32 v[164:165], v[164:165], v[166:167]
	v_fma_f64 v[166:167], -v[158:159], v[164:165], 1.0
	v_fmac_f64_e32 v[164:165], v[164:165], v[166:167]
	v_div_scale_f64 v[166:167], vcc, 1.0, v[242:243], 1.0
	v_mul_f64 v[216:217], v[166:167], v[164:165]
	v_fma_f64 v[158:159], -v[158:159], v[216:217], v[166:167]
	s_nop 1
	v_div_fmas_f64 v[158:159], v[158:159], v[164:165], v[216:217]
	v_div_fixup_f64 v[242:243], v[158:159], v[242:243], 1.0
	v_mul_f64 v[240:241], v[156:157], v[242:243]
	v_xor_b32_e32 v243, 0x80000000, v243
.LBB118_28:
	s_andn2_saveexec_b64 s[16:17], s[16:17]
	s_cbranch_execz .LBB118_30
; %bb.29:
	v_div_scale_f64 v[156:157], s[18:19], v[240:241], v[240:241], v[242:243]
	v_rcp_f64_e32 v[158:159], v[156:157]
	v_div_scale_f64 v[164:165], vcc, v[242:243], v[240:241], v[242:243]
	v_fma_f64 v[166:167], -v[156:157], v[158:159], 1.0
	v_fmac_f64_e32 v[158:159], v[158:159], v[166:167]
	v_fma_f64 v[166:167], -v[156:157], v[158:159], 1.0
	v_fmac_f64_e32 v[158:159], v[158:159], v[166:167]
	v_mul_f64 v[166:167], v[164:165], v[158:159]
	v_fma_f64 v[156:157], -v[156:157], v[166:167], v[164:165]
	v_div_fmas_f64 v[156:157], v[156:157], v[158:159], v[166:167]
	v_div_fixup_f64 v[156:157], v[156:157], v[240:241], v[242:243]
	v_fmac_f64_e32 v[240:241], v[242:243], v[156:157]
	v_div_scale_f64 v[158:159], s[18:19], v[240:241], v[240:241], 1.0
	v_rcp_f64_e32 v[164:165], v[158:159]
	s_nop 0
	v_fma_f64 v[166:167], -v[158:159], v[164:165], 1.0
	v_fmac_f64_e32 v[164:165], v[164:165], v[166:167]
	v_fma_f64 v[166:167], -v[158:159], v[164:165], 1.0
	v_fmac_f64_e32 v[164:165], v[164:165], v[166:167]
	v_div_scale_f64 v[166:167], vcc, 1.0, v[240:241], 1.0
	v_mul_f64 v[216:217], v[166:167], v[164:165]
	v_fma_f64 v[158:159], -v[158:159], v[216:217], v[166:167]
	s_nop 1
	v_div_fmas_f64 v[158:159], v[158:159], v[164:165], v[216:217]
	v_div_fixup_f64 v[240:241], v[158:159], v[240:241], 1.0
	v_mul_f64 v[242:243], v[156:157], -v[240:241]
.LBB118_30:
	s_or_b64 exec, exec, s[16:17]
	v_mov_b32_e32 v254, v247
.LBB118_31:
	s_or_b64 exec, exec, s[0:1]
	v_cmp_ne_u32_e32 vcc, v253, v250
	s_and_saveexec_b64 s[0:1], vcc
	s_xor_b64 s[0:1], exec, s[0:1]
	s_cbranch_execz .LBB118_37
; %bb.32:
	v_cmp_eq_u32_e32 vcc, 1, v253
	s_and_saveexec_b64 s[16:17], vcc
	s_cbranch_execz .LBB118_36
; %bb.33:
	v_cmp_ne_u32_e32 vcc, 1, v250
	s_xor_b64 s[18:19], s[14:15], -1
	s_and_b64 s[22:23], s[18:19], vcc
	s_and_saveexec_b64 s[18:19], s[22:23]
	s_cbranch_execz .LBB118_35
; %bb.34:
	v_ashrrev_i32_e32 v251, 31, v250
	v_lshl_add_u64 v[156:157], v[250:251], 2, v[234:235]
	global_load_dword v158, v[156:157], off
	global_load_dword v159, v[234:235], off offset:4
	s_waitcnt vmcnt(1)
	global_store_dword v[234:235], v158, off offset:4
	s_waitcnt vmcnt(1)
	global_store_dword v[156:157], v159, off
.LBB118_35:
	s_or_b64 exec, exec, s[18:19]
	v_mov_b32_e32 v253, v250
	v_mov_b32_e32 v244, v250
.LBB118_36:
	s_or_b64 exec, exec, s[16:17]
.LBB118_37:
	s_andn2_saveexec_b64 s[0:1], s[0:1]
	s_cbranch_execz .LBB118_39
; %bb.38:
	scratch_load_dwordx4 v[0:3], off, off offset:32 ; 16-byte Folded Reload
	v_mov_b32_e32 v253, 1
	s_waitcnt vmcnt(0)
	ds_write2_b64 v252, v[0:1], v[2:3] offset0:4 offset1:5
	scratch_load_dwordx4 v[0:3], off, off offset:16 ; 16-byte Folded Reload
	s_waitcnt vmcnt(0)
	ds_write2_b64 v252, v[0:1], v[2:3] offset0:6 offset1:7
	ds_write2_b64 v252, v[212:213], v[214:215] offset0:8 offset1:9
	ds_write2_b64 v252, v[4:5], v[6:7] offset0:10 offset1:11
	ds_write2_b64 v252, v[152:153], v[154:155] offset0:12 offset1:13
	ds_write2_b64 v252, v[8:9], v[10:11] offset0:14 offset1:15
	scratch_load_dwordx4 v[0:3], off, off   ; 16-byte Folded Reload
	s_waitcnt vmcnt(0)
	ds_write2_b64 v252, v[0:1], v[2:3] offset0:16 offset1:17
	ds_write2_b64 v252, v[204:205], v[206:207] offset0:18 offset1:19
	;; [unrolled: 1-line block ×52, first 2 shown]
.LBB118_39:
	s_or_b64 exec, exec, s[0:1]
	v_cmp_lt_i32_e32 vcc, 1, v253
	s_waitcnt lgkmcnt(0)
	s_barrier
	s_and_saveexec_b64 s[0:1], vcc
	s_cbranch_execz .LBB118_41
; %bb.40:
	scratch_load_dwordx4 v[246:249], off, off offset:48 ; 16-byte Folded Reload
	scratch_load_dwordx4 v[0:3], off, off offset:32 ; 16-byte Folded Reload
	ds_read2_b64 v[164:167], v252 offset0:4 offset1:5
	s_waitcnt vmcnt(1)
	v_mul_f64 v[156:157], v[242:243], v[248:249]
	v_mul_f64 v[248:249], v[240:241], v[248:249]
	v_fmac_f64_e32 v[248:249], v[242:243], v[246:247]
	v_fma_f64 v[250:251], v[240:241], v[246:247], -v[156:157]
	s_waitcnt lgkmcnt(0)
	v_mul_f64 v[156:157], v[166:167], v[248:249]
	v_mul_f64 v[158:159], v[164:165], v[248:249]
	v_fma_f64 v[156:157], v[164:165], v[250:251], -v[156:157]
	v_fmac_f64_e32 v[158:159], v[166:167], v[250:251]
	s_waitcnt vmcnt(0)
	v_add_f64 v[0:1], v[0:1], -v[156:157]
	v_add_f64 v[2:3], v[2:3], -v[158:159]
	scratch_store_dwordx4 off, v[0:3], off offset:32 ; 16-byte Folded Spill
	scratch_load_dwordx4 v[0:3], off, off offset:16 ; 16-byte Folded Reload
	ds_read2_b64 v[164:167], v252 offset0:6 offset1:7
	v_mov_b64_e32 v[246:247], v[250:251]
	scratch_store_dwordx4 off, v[246:249], off offset:48 ; 16-byte Folded Spill
	s_waitcnt lgkmcnt(0)
	v_mul_f64 v[156:157], v[166:167], v[248:249]
	v_mul_f64 v[158:159], v[164:165], v[248:249]
	v_fma_f64 v[156:157], v[164:165], v[250:251], -v[156:157]
	v_fmac_f64_e32 v[158:159], v[166:167], v[250:251]
	ds_read2_b64 v[164:167], v252 offset0:8 offset1:9
	s_waitcnt vmcnt(1)
	v_add_f64 v[0:1], v[0:1], -v[156:157]
	v_add_f64 v[2:3], v[2:3], -v[158:159]
	scratch_store_dwordx4 off, v[0:3], off offset:16 ; 16-byte Folded Spill
	scratch_load_dwordx4 v[0:3], off, off   ; 16-byte Folded Reload
	s_waitcnt lgkmcnt(0)
	v_mul_f64 v[156:157], v[166:167], v[248:249]
	v_mul_f64 v[158:159], v[164:165], v[248:249]
	v_fma_f64 v[156:157], v[164:165], v[250:251], -v[156:157]
	v_fmac_f64_e32 v[158:159], v[166:167], v[250:251]
	ds_read2_b64 v[164:167], v252 offset0:10 offset1:11
	v_add_f64 v[212:213], v[212:213], -v[156:157]
	v_add_f64 v[214:215], v[214:215], -v[158:159]
	s_waitcnt lgkmcnt(0)
	v_mul_f64 v[156:157], v[166:167], v[248:249]
	v_mul_f64 v[158:159], v[164:165], v[248:249]
	v_fma_f64 v[156:157], v[164:165], v[250:251], -v[156:157]
	v_fmac_f64_e32 v[158:159], v[166:167], v[250:251]
	ds_read2_b64 v[164:167], v252 offset0:12 offset1:13
	v_add_f64 v[4:5], v[4:5], -v[156:157]
	v_add_f64 v[6:7], v[6:7], -v[158:159]
	;; [unrolled: 8-line block ×4, first 2 shown]
	s_waitcnt lgkmcnt(0)
	v_mul_f64 v[156:157], v[166:167], v[248:249]
	v_mul_f64 v[158:159], v[164:165], v[248:249]
	v_fma_f64 v[156:157], v[164:165], v[250:251], -v[156:157]
	v_fmac_f64_e32 v[158:159], v[166:167], v[250:251]
	ds_read2_b64 v[164:167], v252 offset0:18 offset1:19
	s_waitcnt vmcnt(0)
	v_add_f64 v[0:1], v[0:1], -v[156:157]
	v_add_f64 v[2:3], v[2:3], -v[158:159]
	s_waitcnt lgkmcnt(0)
	v_mul_f64 v[156:157], v[166:167], v[248:249]
	v_mul_f64 v[158:159], v[164:165], v[248:249]
	v_fma_f64 v[156:157], v[164:165], v[250:251], -v[156:157]
	v_fmac_f64_e32 v[158:159], v[166:167], v[250:251]
	ds_read2_b64 v[164:167], v252 offset0:20 offset1:21
	v_add_f64 v[204:205], v[204:205], -v[156:157]
	v_add_f64 v[206:207], v[206:207], -v[158:159]
	scratch_store_dwordx4 off, v[0:3], off  ; 16-byte Folded Spill
	s_waitcnt lgkmcnt(0)
	v_mul_f64 v[156:157], v[166:167], v[248:249]
	v_mul_f64 v[158:159], v[164:165], v[248:249]
	v_fma_f64 v[156:157], v[164:165], v[250:251], -v[156:157]
	v_fmac_f64_e32 v[158:159], v[166:167], v[250:251]
	ds_read2_b64 v[164:167], v252 offset0:22 offset1:23
	v_add_f64 v[200:201], v[200:201], -v[156:157]
	v_add_f64 v[202:203], v[202:203], -v[158:159]
	s_waitcnt lgkmcnt(0)
	v_mul_f64 v[156:157], v[166:167], v[248:249]
	v_mul_f64 v[158:159], v[164:165], v[248:249]
	v_fma_f64 v[156:157], v[164:165], v[250:251], -v[156:157]
	v_fmac_f64_e32 v[158:159], v[166:167], v[250:251]
	ds_read2_b64 v[164:167], v252 offset0:24 offset1:25
	v_add_f64 v[196:197], v[196:197], -v[156:157]
	v_add_f64 v[198:199], v[198:199], -v[158:159]
	;; [unrolled: 8-line block ×49, first 2 shown]
	s_waitcnt lgkmcnt(0)
	v_mul_f64 v[156:157], v[166:167], v[248:249]
	v_mul_f64 v[158:159], v[164:165], v[248:249]
	v_fma_f64 v[156:157], v[164:165], v[250:251], -v[156:157]
	v_fmac_f64_e32 v[158:159], v[166:167], v[250:251]
	v_add_f64 v[236:237], v[236:237], -v[156:157]
	v_add_f64 v[238:239], v[238:239], -v[158:159]
.LBB118_41:
	s_or_b64 exec, exec, s[0:1]
	s_barrier
	scratch_load_dwordx4 v[0:3], off, off offset:32 ; 16-byte Folded Reload
	v_lshl_add_u32 v156, v253, 4, v252
	s_cmp_lt_i32 s20, 4
	v_mov_b32_e32 v250, 2
	s_waitcnt vmcnt(0)
	ds_write2_b64 v156, v[0:1], v[2:3] offset1:1
	s_waitcnt lgkmcnt(0)
	s_barrier
	ds_read2_b64 v[240:243], v252 offset0:4 offset1:5
	s_cbranch_scc1 .LBB118_44
; %bb.42:
	v_add3_u32 v247, v228, 0, 48
	s_mov_b32 s0, 3
	v_mov_b32_e32 v250, 2
.LBB118_43:                             ; =>This Inner Loop Header: Depth=1
	ds_read2_b64 v[164:167], v247 offset1:1
	s_waitcnt lgkmcnt(1)
	v_cmp_gt_f64_e32 vcc, 0, v[240:241]
	v_xor_b32_e32 v156, 0x80000000, v241
	v_xor_b32_e32 v158, 0x80000000, v243
	v_cndmask_b32_e32 v157, v241, v156, vcc
	v_cmp_gt_f64_e32 vcc, 0, v[242:243]
	v_mov_b32_e32 v156, v240
	s_waitcnt lgkmcnt(0)
	v_xor_b32_e32 v216, 0x80000000, v167
	v_cndmask_b32_e32 v159, v243, v158, vcc
	v_mov_b32_e32 v158, v242
	v_add_f64 v[156:157], v[156:157], v[158:159]
	v_cmp_gt_f64_e32 vcc, 0, v[164:165]
	v_xor_b32_e32 v158, 0x80000000, v165
	v_add_u32_e32 v247, 16, v247
	v_cndmask_b32_e32 v159, v165, v158, vcc
	v_cmp_gt_f64_e32 vcc, 0, v[166:167]
	v_mov_b32_e32 v158, v164
	s_nop 0
	v_cndmask_b32_e32 v217, v167, v216, vcc
	v_mov_b32_e32 v216, v166
	v_add_f64 v[158:159], v[158:159], v[216:217]
	v_cmp_lt_f64_e32 vcc, v[156:157], v[158:159]
	v_mov_b32_e32 v156, s0
	s_add_i32 s0, s0, 1
	v_cndmask_b32_e32 v241, v241, v165, vcc
	v_cndmask_b32_e32 v240, v240, v164, vcc
	;; [unrolled: 1-line block ×5, first 2 shown]
	s_cmp_lg_u32 s20, s0
	s_cbranch_scc1 .LBB118_43
.LBB118_44:
	s_waitcnt lgkmcnt(0)
	v_cmp_eq_f64_e32 vcc, 0, v[240:241]
	v_cmp_eq_f64_e64 s[0:1], 0, v[242:243]
	s_and_b64 s[0:1], vcc, s[0:1]
	s_and_saveexec_b64 s[16:17], s[0:1]
	s_xor_b64 s[0:1], exec, s[16:17]
; %bb.45:
	v_cmp_ne_u32_e32 vcc, 0, v254
	s_nop 1
	v_cndmask_b32_e32 v254, 3, v254, vcc
; %bb.46:
	s_andn2_saveexec_b64 s[0:1], s[0:1]
	s_cbranch_execz .LBB118_52
; %bb.47:
	v_cmp_ngt_f64_e64 s[16:17], |v[240:241]|, |v[242:243]|
	s_and_saveexec_b64 s[18:19], s[16:17]
	s_xor_b64 s[16:17], exec, s[18:19]
	s_cbranch_execz .LBB118_49
; %bb.48:
	v_div_scale_f64 v[156:157], s[18:19], v[242:243], v[242:243], v[240:241]
	v_rcp_f64_e32 v[158:159], v[156:157]
	v_div_scale_f64 v[164:165], vcc, v[240:241], v[242:243], v[240:241]
	v_fma_f64 v[166:167], -v[156:157], v[158:159], 1.0
	v_fmac_f64_e32 v[158:159], v[158:159], v[166:167]
	v_fma_f64 v[166:167], -v[156:157], v[158:159], 1.0
	v_fmac_f64_e32 v[158:159], v[158:159], v[166:167]
	v_mul_f64 v[166:167], v[164:165], v[158:159]
	v_fma_f64 v[156:157], -v[156:157], v[166:167], v[164:165]
	v_div_fmas_f64 v[156:157], v[156:157], v[158:159], v[166:167]
	v_div_fixup_f64 v[156:157], v[156:157], v[242:243], v[240:241]
	v_fmac_f64_e32 v[242:243], v[240:241], v[156:157]
	v_div_scale_f64 v[158:159], s[18:19], v[242:243], v[242:243], 1.0
	v_rcp_f64_e32 v[164:165], v[158:159]
	s_nop 0
	v_fma_f64 v[166:167], -v[158:159], v[164:165], 1.0
	v_fmac_f64_e32 v[164:165], v[164:165], v[166:167]
	v_fma_f64 v[166:167], -v[158:159], v[164:165], 1.0
	v_fmac_f64_e32 v[164:165], v[164:165], v[166:167]
	v_div_scale_f64 v[166:167], vcc, 1.0, v[242:243], 1.0
	v_mul_f64 v[216:217], v[166:167], v[164:165]
	v_fma_f64 v[158:159], -v[158:159], v[216:217], v[166:167]
	s_nop 1
	v_div_fmas_f64 v[158:159], v[158:159], v[164:165], v[216:217]
	v_div_fixup_f64 v[242:243], v[158:159], v[242:243], 1.0
	v_mul_f64 v[240:241], v[156:157], v[242:243]
	v_xor_b32_e32 v243, 0x80000000, v243
.LBB118_49:
	s_andn2_saveexec_b64 s[16:17], s[16:17]
	s_cbranch_execz .LBB118_51
; %bb.50:
	v_div_scale_f64 v[156:157], s[18:19], v[240:241], v[240:241], v[242:243]
	v_rcp_f64_e32 v[158:159], v[156:157]
	v_div_scale_f64 v[164:165], vcc, v[242:243], v[240:241], v[242:243]
	v_fma_f64 v[166:167], -v[156:157], v[158:159], 1.0
	v_fmac_f64_e32 v[158:159], v[158:159], v[166:167]
	v_fma_f64 v[166:167], -v[156:157], v[158:159], 1.0
	v_fmac_f64_e32 v[158:159], v[158:159], v[166:167]
	v_mul_f64 v[166:167], v[164:165], v[158:159]
	v_fma_f64 v[156:157], -v[156:157], v[166:167], v[164:165]
	v_div_fmas_f64 v[156:157], v[156:157], v[158:159], v[166:167]
	v_div_fixup_f64 v[156:157], v[156:157], v[240:241], v[242:243]
	v_fmac_f64_e32 v[240:241], v[242:243], v[156:157]
	v_div_scale_f64 v[158:159], s[18:19], v[240:241], v[240:241], 1.0
	v_rcp_f64_e32 v[164:165], v[158:159]
	s_nop 0
	v_fma_f64 v[166:167], -v[158:159], v[164:165], 1.0
	v_fmac_f64_e32 v[164:165], v[164:165], v[166:167]
	v_fma_f64 v[166:167], -v[158:159], v[164:165], 1.0
	v_fmac_f64_e32 v[164:165], v[164:165], v[166:167]
	v_div_scale_f64 v[166:167], vcc, 1.0, v[240:241], 1.0
	v_mul_f64 v[216:217], v[166:167], v[164:165]
	v_fma_f64 v[158:159], -v[158:159], v[216:217], v[166:167]
	s_nop 1
	v_div_fmas_f64 v[158:159], v[158:159], v[164:165], v[216:217]
	v_div_fixup_f64 v[240:241], v[158:159], v[240:241], 1.0
	v_mul_f64 v[242:243], v[156:157], -v[240:241]
.LBB118_51:
	s_or_b64 exec, exec, s[16:17]
.LBB118_52:
	s_or_b64 exec, exec, s[0:1]
	v_cmp_ne_u32_e32 vcc, v253, v250
	s_and_saveexec_b64 s[0:1], vcc
	s_xor_b64 s[0:1], exec, s[0:1]
	s_cbranch_execz .LBB118_58
; %bb.53:
	v_cmp_eq_u32_e32 vcc, 2, v253
	s_and_saveexec_b64 s[16:17], vcc
	s_cbranch_execz .LBB118_57
; %bb.54:
	v_cmp_ne_u32_e32 vcc, 2, v250
	s_xor_b64 s[18:19], s[14:15], -1
	s_and_b64 s[22:23], s[18:19], vcc
	s_and_saveexec_b64 s[18:19], s[22:23]
	s_cbranch_execz .LBB118_56
; %bb.55:
	v_ashrrev_i32_e32 v251, 31, v250
	v_lshl_add_u64 v[156:157], v[250:251], 2, v[234:235]
	global_load_dword v158, v[156:157], off
	global_load_dword v159, v[234:235], off offset:8
	s_waitcnt vmcnt(1)
	global_store_dword v[234:235], v158, off offset:8
	s_waitcnt vmcnt(1)
	global_store_dword v[156:157], v159, off
.LBB118_56:
	s_or_b64 exec, exec, s[18:19]
	v_mov_b32_e32 v253, v250
	v_mov_b32_e32 v244, v250
.LBB118_57:
	s_or_b64 exec, exec, s[16:17]
.LBB118_58:
	s_andn2_saveexec_b64 s[0:1], s[0:1]
	s_cbranch_execz .LBB118_60
; %bb.59:
	scratch_load_dwordx4 v[0:3], off, off offset:16 ; 16-byte Folded Reload
	v_mov_b32_e32 v253, 2
	s_waitcnt vmcnt(0)
	ds_write2_b64 v252, v[0:1], v[2:3] offset0:6 offset1:7
	ds_write2_b64 v252, v[212:213], v[214:215] offset0:8 offset1:9
	;; [unrolled: 1-line block ×5, first 2 shown]
	scratch_load_dwordx4 v[0:3], off, off   ; 16-byte Folded Reload
	s_waitcnt vmcnt(0)
	ds_write2_b64 v252, v[0:1], v[2:3] offset0:16 offset1:17
	ds_write2_b64 v252, v[204:205], v[206:207] offset0:18 offset1:19
	;; [unrolled: 1-line block ×52, first 2 shown]
.LBB118_60:
	s_or_b64 exec, exec, s[0:1]
	v_cmp_lt_i32_e32 vcc, 2, v253
	s_waitcnt lgkmcnt(0)
	s_barrier
	s_and_saveexec_b64 s[0:1], vcc
	s_cbranch_execz .LBB118_62
; %bb.61:
	scratch_load_dwordx4 v[246:249], off, off offset:32 ; 16-byte Folded Reload
	scratch_load_dwordx4 v[0:3], off, off offset:16 ; 16-byte Folded Reload
	ds_read2_b64 v[164:167], v252 offset0:6 offset1:7
	s_waitcnt vmcnt(1)
	v_mul_f64 v[156:157], v[242:243], v[248:249]
	v_mul_f64 v[248:249], v[240:241], v[248:249]
	v_fmac_f64_e32 v[248:249], v[242:243], v[246:247]
	v_fma_f64 v[250:251], v[240:241], v[246:247], -v[156:157]
	s_waitcnt lgkmcnt(0)
	v_mul_f64 v[156:157], v[166:167], v[248:249]
	v_mul_f64 v[158:159], v[164:165], v[248:249]
	v_fma_f64 v[156:157], v[164:165], v[250:251], -v[156:157]
	v_fmac_f64_e32 v[158:159], v[166:167], v[250:251]
	s_waitcnt vmcnt(0)
	v_add_f64 v[0:1], v[0:1], -v[156:157]
	v_add_f64 v[2:3], v[2:3], -v[158:159]
	scratch_store_dwordx4 off, v[0:3], off offset:16 ; 16-byte Folded Spill
	scratch_load_dwordx4 v[0:3], off, off   ; 16-byte Folded Reload
	ds_read2_b64 v[164:167], v252 offset0:8 offset1:9
	v_mov_b64_e32 v[246:247], v[250:251]
	scratch_store_dwordx4 off, v[246:249], off offset:32 ; 16-byte Folded Spill
	s_waitcnt lgkmcnt(0)
	v_mul_f64 v[156:157], v[166:167], v[248:249]
	v_mul_f64 v[158:159], v[164:165], v[248:249]
	v_fma_f64 v[156:157], v[164:165], v[250:251], -v[156:157]
	v_fmac_f64_e32 v[158:159], v[166:167], v[250:251]
	ds_read2_b64 v[164:167], v252 offset0:10 offset1:11
	v_add_f64 v[212:213], v[212:213], -v[156:157]
	v_add_f64 v[214:215], v[214:215], -v[158:159]
	s_waitcnt lgkmcnt(0)
	v_mul_f64 v[156:157], v[166:167], v[248:249]
	v_mul_f64 v[158:159], v[164:165], v[248:249]
	v_fma_f64 v[156:157], v[164:165], v[250:251], -v[156:157]
	v_fmac_f64_e32 v[158:159], v[166:167], v[250:251]
	ds_read2_b64 v[164:167], v252 offset0:12 offset1:13
	v_add_f64 v[4:5], v[4:5], -v[156:157]
	v_add_f64 v[6:7], v[6:7], -v[158:159]
	;; [unrolled: 8-line block ×4, first 2 shown]
	s_waitcnt lgkmcnt(0)
	v_mul_f64 v[156:157], v[166:167], v[248:249]
	v_mul_f64 v[158:159], v[164:165], v[248:249]
	v_fma_f64 v[156:157], v[164:165], v[250:251], -v[156:157]
	v_fmac_f64_e32 v[158:159], v[166:167], v[250:251]
	ds_read2_b64 v[164:167], v252 offset0:18 offset1:19
	s_waitcnt vmcnt(1)
	v_add_f64 v[0:1], v[0:1], -v[156:157]
	v_add_f64 v[2:3], v[2:3], -v[158:159]
	s_waitcnt lgkmcnt(0)
	v_mul_f64 v[156:157], v[166:167], v[248:249]
	v_mul_f64 v[158:159], v[164:165], v[248:249]
	v_fma_f64 v[156:157], v[164:165], v[250:251], -v[156:157]
	v_fmac_f64_e32 v[158:159], v[166:167], v[250:251]
	ds_read2_b64 v[164:167], v252 offset0:20 offset1:21
	v_add_f64 v[204:205], v[204:205], -v[156:157]
	v_add_f64 v[206:207], v[206:207], -v[158:159]
	scratch_store_dwordx4 off, v[0:3], off  ; 16-byte Folded Spill
	s_waitcnt lgkmcnt(0)
	v_mul_f64 v[156:157], v[166:167], v[248:249]
	v_mul_f64 v[158:159], v[164:165], v[248:249]
	v_fma_f64 v[156:157], v[164:165], v[250:251], -v[156:157]
	v_fmac_f64_e32 v[158:159], v[166:167], v[250:251]
	ds_read2_b64 v[164:167], v252 offset0:22 offset1:23
	v_add_f64 v[200:201], v[200:201], -v[156:157]
	v_add_f64 v[202:203], v[202:203], -v[158:159]
	s_waitcnt lgkmcnt(0)
	v_mul_f64 v[156:157], v[166:167], v[248:249]
	v_mul_f64 v[158:159], v[164:165], v[248:249]
	v_fma_f64 v[156:157], v[164:165], v[250:251], -v[156:157]
	v_fmac_f64_e32 v[158:159], v[166:167], v[250:251]
	ds_read2_b64 v[164:167], v252 offset0:24 offset1:25
	v_add_f64 v[196:197], v[196:197], -v[156:157]
	v_add_f64 v[198:199], v[198:199], -v[158:159]
	;; [unrolled: 8-line block ×49, first 2 shown]
	s_waitcnt lgkmcnt(0)
	v_mul_f64 v[156:157], v[166:167], v[248:249]
	v_mul_f64 v[158:159], v[164:165], v[248:249]
	v_fma_f64 v[156:157], v[164:165], v[250:251], -v[156:157]
	v_fmac_f64_e32 v[158:159], v[166:167], v[250:251]
	v_add_f64 v[236:237], v[236:237], -v[156:157]
	v_add_f64 v[238:239], v[238:239], -v[158:159]
.LBB118_62:
	s_or_b64 exec, exec, s[0:1]
	s_barrier
	scratch_load_dwordx4 v[0:3], off, off offset:16 ; 16-byte Folded Reload
	v_lshl_add_u32 v156, v253, 4, v252
	s_mov_b32 s0, 4
	s_cmp_lt_i32 s20, 5
	v_mov_b32_e32 v250, 3
	s_waitcnt vmcnt(0)
	ds_write2_b64 v156, v[0:1], v[2:3] offset1:1
	s_waitcnt lgkmcnt(0)
	s_barrier
	ds_read2_b64 v[240:243], v252 offset0:6 offset1:7
	s_cbranch_scc1 .LBB118_65
; %bb.63:
	v_add3_u32 v246, v228, 0, 64
	v_mov_b32_e32 v250, 3
.LBB118_64:                             ; =>This Inner Loop Header: Depth=1
	ds_read2_b64 v[164:167], v246 offset1:1
	s_waitcnt lgkmcnt(1)
	v_cmp_gt_f64_e32 vcc, 0, v[240:241]
	v_xor_b32_e32 v156, 0x80000000, v241
	v_xor_b32_e32 v158, 0x80000000, v243
	v_cndmask_b32_e32 v157, v241, v156, vcc
	v_cmp_gt_f64_e32 vcc, 0, v[242:243]
	v_mov_b32_e32 v156, v240
	s_waitcnt lgkmcnt(0)
	v_xor_b32_e32 v216, 0x80000000, v167
	v_cndmask_b32_e32 v159, v243, v158, vcc
	v_mov_b32_e32 v158, v242
	v_add_f64 v[156:157], v[156:157], v[158:159]
	v_cmp_gt_f64_e32 vcc, 0, v[164:165]
	v_xor_b32_e32 v158, 0x80000000, v165
	v_add_u32_e32 v246, 16, v246
	v_cndmask_b32_e32 v159, v165, v158, vcc
	v_cmp_gt_f64_e32 vcc, 0, v[166:167]
	v_mov_b32_e32 v158, v164
	s_nop 0
	v_cndmask_b32_e32 v217, v167, v216, vcc
	v_mov_b32_e32 v216, v166
	v_add_f64 v[158:159], v[158:159], v[216:217]
	v_cmp_lt_f64_e32 vcc, v[156:157], v[158:159]
	v_mov_b32_e32 v156, s0
	s_add_i32 s0, s0, 1
	v_cndmask_b32_e32 v241, v241, v165, vcc
	v_cndmask_b32_e32 v240, v240, v164, vcc
	;; [unrolled: 1-line block ×5, first 2 shown]
	s_cmp_lg_u32 s20, s0
	s_cbranch_scc1 .LBB118_64
.LBB118_65:
	s_waitcnt lgkmcnt(0)
	v_cmp_eq_f64_e32 vcc, 0, v[240:241]
	v_cmp_eq_f64_e64 s[0:1], 0, v[242:243]
	s_and_b64 s[0:1], vcc, s[0:1]
	s_and_saveexec_b64 s[16:17], s[0:1]
	s_xor_b64 s[0:1], exec, s[16:17]
; %bb.66:
	v_cmp_ne_u32_e32 vcc, 0, v254
	s_nop 1
	v_cndmask_b32_e32 v254, 4, v254, vcc
; %bb.67:
	s_andn2_saveexec_b64 s[0:1], s[0:1]
	s_cbranch_execz .LBB118_73
; %bb.68:
	v_cmp_ngt_f64_e64 s[16:17], |v[240:241]|, |v[242:243]|
	s_and_saveexec_b64 s[18:19], s[16:17]
	s_xor_b64 s[16:17], exec, s[18:19]
	s_cbranch_execz .LBB118_70
; %bb.69:
	v_div_scale_f64 v[156:157], s[18:19], v[242:243], v[242:243], v[240:241]
	v_rcp_f64_e32 v[158:159], v[156:157]
	v_div_scale_f64 v[164:165], vcc, v[240:241], v[242:243], v[240:241]
	v_fma_f64 v[166:167], -v[156:157], v[158:159], 1.0
	v_fmac_f64_e32 v[158:159], v[158:159], v[166:167]
	v_fma_f64 v[166:167], -v[156:157], v[158:159], 1.0
	v_fmac_f64_e32 v[158:159], v[158:159], v[166:167]
	v_mul_f64 v[166:167], v[164:165], v[158:159]
	v_fma_f64 v[156:157], -v[156:157], v[166:167], v[164:165]
	v_div_fmas_f64 v[156:157], v[156:157], v[158:159], v[166:167]
	v_div_fixup_f64 v[156:157], v[156:157], v[242:243], v[240:241]
	v_fmac_f64_e32 v[242:243], v[240:241], v[156:157]
	v_div_scale_f64 v[158:159], s[18:19], v[242:243], v[242:243], 1.0
	v_rcp_f64_e32 v[164:165], v[158:159]
	s_nop 0
	v_fma_f64 v[166:167], -v[158:159], v[164:165], 1.0
	v_fmac_f64_e32 v[164:165], v[164:165], v[166:167]
	v_fma_f64 v[166:167], -v[158:159], v[164:165], 1.0
	v_fmac_f64_e32 v[164:165], v[164:165], v[166:167]
	v_div_scale_f64 v[166:167], vcc, 1.0, v[242:243], 1.0
	v_mul_f64 v[216:217], v[166:167], v[164:165]
	v_fma_f64 v[158:159], -v[158:159], v[216:217], v[166:167]
	s_nop 1
	v_div_fmas_f64 v[158:159], v[158:159], v[164:165], v[216:217]
	v_div_fixup_f64 v[242:243], v[158:159], v[242:243], 1.0
	v_mul_f64 v[240:241], v[156:157], v[242:243]
	v_xor_b32_e32 v243, 0x80000000, v243
.LBB118_70:
	s_andn2_saveexec_b64 s[16:17], s[16:17]
	s_cbranch_execz .LBB118_72
; %bb.71:
	v_div_scale_f64 v[156:157], s[18:19], v[240:241], v[240:241], v[242:243]
	v_rcp_f64_e32 v[158:159], v[156:157]
	v_div_scale_f64 v[164:165], vcc, v[242:243], v[240:241], v[242:243]
	v_fma_f64 v[166:167], -v[156:157], v[158:159], 1.0
	v_fmac_f64_e32 v[158:159], v[158:159], v[166:167]
	v_fma_f64 v[166:167], -v[156:157], v[158:159], 1.0
	v_fmac_f64_e32 v[158:159], v[158:159], v[166:167]
	v_mul_f64 v[166:167], v[164:165], v[158:159]
	v_fma_f64 v[156:157], -v[156:157], v[166:167], v[164:165]
	v_div_fmas_f64 v[156:157], v[156:157], v[158:159], v[166:167]
	v_div_fixup_f64 v[156:157], v[156:157], v[240:241], v[242:243]
	v_fmac_f64_e32 v[240:241], v[242:243], v[156:157]
	v_div_scale_f64 v[158:159], s[18:19], v[240:241], v[240:241], 1.0
	v_rcp_f64_e32 v[164:165], v[158:159]
	s_nop 0
	v_fma_f64 v[166:167], -v[158:159], v[164:165], 1.0
	v_fmac_f64_e32 v[164:165], v[164:165], v[166:167]
	v_fma_f64 v[166:167], -v[158:159], v[164:165], 1.0
	v_fmac_f64_e32 v[164:165], v[164:165], v[166:167]
	v_div_scale_f64 v[166:167], vcc, 1.0, v[240:241], 1.0
	v_mul_f64 v[216:217], v[166:167], v[164:165]
	v_fma_f64 v[158:159], -v[158:159], v[216:217], v[166:167]
	s_nop 1
	v_div_fmas_f64 v[158:159], v[158:159], v[164:165], v[216:217]
	v_div_fixup_f64 v[240:241], v[158:159], v[240:241], 1.0
	v_mul_f64 v[242:243], v[156:157], -v[240:241]
.LBB118_72:
	s_or_b64 exec, exec, s[16:17]
.LBB118_73:
	s_or_b64 exec, exec, s[0:1]
	v_cmp_ne_u32_e32 vcc, v253, v250
	s_and_saveexec_b64 s[0:1], vcc
	s_xor_b64 s[0:1], exec, s[0:1]
	s_cbranch_execz .LBB118_79
; %bb.74:
	v_cmp_eq_u32_e32 vcc, 3, v253
	s_and_saveexec_b64 s[16:17], vcc
	s_cbranch_execz .LBB118_78
; %bb.75:
	v_cmp_ne_u32_e32 vcc, 3, v250
	s_xor_b64 s[18:19], s[14:15], -1
	s_and_b64 s[22:23], s[18:19], vcc
	s_and_saveexec_b64 s[18:19], s[22:23]
	s_cbranch_execz .LBB118_77
; %bb.76:
	v_ashrrev_i32_e32 v251, 31, v250
	v_lshl_add_u64 v[156:157], v[250:251], 2, v[234:235]
	global_load_dword v158, v[156:157], off
	global_load_dword v159, v[234:235], off offset:12
	s_waitcnt vmcnt(1)
	global_store_dword v[234:235], v158, off offset:12
	s_waitcnt vmcnt(1)
	global_store_dword v[156:157], v159, off
.LBB118_77:
	s_or_b64 exec, exec, s[18:19]
	v_mov_b32_e32 v253, v250
	v_mov_b32_e32 v244, v250
.LBB118_78:
	s_or_b64 exec, exec, s[16:17]
.LBB118_79:
	s_andn2_saveexec_b64 s[0:1], s[0:1]
	s_cbranch_execz .LBB118_81
; %bb.80:
	ds_write2_b64 v252, v[212:213], v[214:215] offset0:8 offset1:9
	ds_write2_b64 v252, v[4:5], v[6:7] offset0:10 offset1:11
	;; [unrolled: 1-line block ×4, first 2 shown]
	scratch_load_dwordx4 v[0:3], off, off   ; 16-byte Folded Reload
	v_mov_b32_e32 v253, 3
	s_waitcnt vmcnt(0)
	ds_write2_b64 v252, v[0:1], v[2:3] offset0:16 offset1:17
	ds_write2_b64 v252, v[204:205], v[206:207] offset0:18 offset1:19
	;; [unrolled: 1-line block ×52, first 2 shown]
.LBB118_81:
	s_or_b64 exec, exec, s[0:1]
	v_cmp_lt_i32_e32 vcc, 3, v253
	s_waitcnt lgkmcnt(0)
	s_barrier
	s_and_saveexec_b64 s[0:1], vcc
	s_cbranch_execz .LBB118_83
; %bb.82:
	scratch_load_dwordx4 v[0:3], off, off offset:16 ; 16-byte Folded Reload
	ds_read2_b64 v[164:167], v252 offset0:8 offset1:9
	s_waitcnt vmcnt(0)
	v_mul_f64 v[156:157], v[242:243], v[2:3]
	v_mul_f64 v[2:3], v[240:241], v[2:3]
	v_fmac_f64_e32 v[2:3], v[242:243], v[0:1]
	v_fma_f64 v[250:251], v[240:241], v[0:1], -v[156:157]
	s_waitcnt lgkmcnt(0)
	v_mul_f64 v[156:157], v[166:167], v[2:3]
	v_mul_f64 v[158:159], v[164:165], v[2:3]
	v_fma_f64 v[156:157], v[164:165], v[250:251], -v[156:157]
	v_fmac_f64_e32 v[158:159], v[166:167], v[250:251]
	ds_read2_b64 v[164:167], v252 offset0:10 offset1:11
	v_add_f64 v[212:213], v[212:213], -v[156:157]
	v_add_f64 v[214:215], v[214:215], -v[158:159]
	v_mov_b64_e32 v[0:1], v[250:251]
	scratch_store_dwordx4 off, v[0:3], off offset:16 ; 16-byte Folded Spill
	s_waitcnt lgkmcnt(0)
	v_mul_f64 v[156:157], v[166:167], v[2:3]
	v_mul_f64 v[158:159], v[164:165], v[2:3]
	v_fma_f64 v[156:157], v[164:165], v[250:251], -v[156:157]
	v_fmac_f64_e32 v[158:159], v[166:167], v[250:251]
	ds_read2_b64 v[164:167], v252 offset0:12 offset1:13
	v_add_f64 v[4:5], v[4:5], -v[156:157]
	v_add_f64 v[6:7], v[6:7], -v[158:159]
	s_waitcnt lgkmcnt(0)
	v_mul_f64 v[156:157], v[166:167], v[2:3]
	v_mul_f64 v[158:159], v[164:165], v[2:3]
	v_fma_f64 v[156:157], v[164:165], v[250:251], -v[156:157]
	v_fmac_f64_e32 v[158:159], v[166:167], v[250:251]
	ds_read2_b64 v[164:167], v252 offset0:14 offset1:15
	v_add_f64 v[152:153], v[152:153], -v[156:157]
	v_add_f64 v[154:155], v[154:155], -v[158:159]
	;; [unrolled: 8-line block ×3, first 2 shown]
	s_waitcnt lgkmcnt(0)
	v_mul_f64 v[156:157], v[166:167], v[2:3]
	v_mul_f64 v[158:159], v[164:165], v[2:3]
	v_fma_f64 v[156:157], v[164:165], v[250:251], -v[156:157]
	v_fmac_f64_e32 v[158:159], v[166:167], v[250:251]
	scratch_load_dwordx4 v[164:167], off, off ; 16-byte Folded Reload
	s_waitcnt vmcnt(0)
	v_add_f64 v[164:165], v[164:165], -v[156:157]
	v_add_f64 v[166:167], v[166:167], -v[158:159]
	scratch_store_dwordx4 off, v[164:167], off ; 16-byte Folded Spill
	ds_read2_b64 v[164:167], v252 offset0:18 offset1:19
	s_waitcnt lgkmcnt(0)
	v_mul_f64 v[156:157], v[166:167], v[2:3]
	v_mul_f64 v[158:159], v[164:165], v[2:3]
	v_fma_f64 v[156:157], v[164:165], v[250:251], -v[156:157]
	v_fmac_f64_e32 v[158:159], v[166:167], v[250:251]
	ds_read2_b64 v[164:167], v252 offset0:20 offset1:21
	v_add_f64 v[204:205], v[204:205], -v[156:157]
	v_add_f64 v[206:207], v[206:207], -v[158:159]
	s_waitcnt lgkmcnt(0)
	v_mul_f64 v[156:157], v[166:167], v[2:3]
	v_mul_f64 v[158:159], v[164:165], v[2:3]
	v_fma_f64 v[156:157], v[164:165], v[250:251], -v[156:157]
	v_fmac_f64_e32 v[158:159], v[166:167], v[250:251]
	ds_read2_b64 v[164:167], v252 offset0:22 offset1:23
	v_add_f64 v[200:201], v[200:201], -v[156:157]
	v_add_f64 v[202:203], v[202:203], -v[158:159]
	;; [unrolled: 8-line block ×50, first 2 shown]
	s_waitcnt lgkmcnt(0)
	v_mul_f64 v[156:157], v[166:167], v[2:3]
	v_mul_f64 v[158:159], v[164:165], v[2:3]
	v_fma_f64 v[156:157], v[164:165], v[250:251], -v[156:157]
	v_fmac_f64_e32 v[158:159], v[166:167], v[250:251]
	v_add_f64 v[236:237], v[236:237], -v[156:157]
	v_add_f64 v[238:239], v[238:239], -v[158:159]
.LBB118_83:
	s_or_b64 exec, exec, s[0:1]
	v_lshl_add_u32 v156, v253, 4, v252
	s_barrier
	ds_write2_b64 v156, v[212:213], v[214:215] offset1:1
	s_waitcnt lgkmcnt(0)
	s_barrier
	ds_read2_b64 v[240:243], v252 offset0:8 offset1:9
	s_cmp_lt_i32 s20, 6
	v_mov_b32_e32 v250, 4
	s_cbranch_scc1 .LBB118_86
; %bb.84:
	v_mov_b32_e32 v250, 4
	v_add_u32_e32 v246, 0x50, v252
	s_mov_b32 s0, 5
.LBB118_85:                             ; =>This Inner Loop Header: Depth=1
	ds_read2_b64 v[164:167], v246 offset1:1
	s_waitcnt lgkmcnt(1)
	v_cmp_gt_f64_e32 vcc, 0, v[240:241]
	v_xor_b32_e32 v156, 0x80000000, v241
	v_xor_b32_e32 v158, 0x80000000, v243
	v_cndmask_b32_e32 v157, v241, v156, vcc
	v_cmp_gt_f64_e32 vcc, 0, v[242:243]
	v_mov_b32_e32 v156, v240
	s_waitcnt lgkmcnt(0)
	v_xor_b32_e32 v216, 0x80000000, v167
	v_cndmask_b32_e32 v159, v243, v158, vcc
	v_mov_b32_e32 v158, v242
	v_add_f64 v[156:157], v[156:157], v[158:159]
	v_cmp_gt_f64_e32 vcc, 0, v[164:165]
	v_xor_b32_e32 v158, 0x80000000, v165
	v_add_u32_e32 v246, 16, v246
	v_cndmask_b32_e32 v159, v165, v158, vcc
	v_cmp_gt_f64_e32 vcc, 0, v[166:167]
	v_mov_b32_e32 v158, v164
	s_nop 0
	v_cndmask_b32_e32 v217, v167, v216, vcc
	v_mov_b32_e32 v216, v166
	v_add_f64 v[158:159], v[158:159], v[216:217]
	v_cmp_lt_f64_e32 vcc, v[156:157], v[158:159]
	v_mov_b32_e32 v156, s0
	s_add_i32 s0, s0, 1
	v_cndmask_b32_e32 v241, v241, v165, vcc
	v_cndmask_b32_e32 v240, v240, v164, vcc
	;; [unrolled: 1-line block ×5, first 2 shown]
	s_cmp_lg_u32 s20, s0
	s_cbranch_scc1 .LBB118_85
.LBB118_86:
	s_waitcnt lgkmcnt(0)
	v_cmp_eq_f64_e32 vcc, 0, v[240:241]
	v_cmp_eq_f64_e64 s[0:1], 0, v[242:243]
	s_and_b64 s[0:1], vcc, s[0:1]
	s_and_saveexec_b64 s[16:17], s[0:1]
	s_xor_b64 s[0:1], exec, s[16:17]
; %bb.87:
	v_cmp_ne_u32_e32 vcc, 0, v254
	s_nop 1
	v_cndmask_b32_e32 v254, 5, v254, vcc
; %bb.88:
	s_andn2_saveexec_b64 s[0:1], s[0:1]
	s_cbranch_execz .LBB118_94
; %bb.89:
	v_cmp_ngt_f64_e64 s[16:17], |v[240:241]|, |v[242:243]|
	s_and_saveexec_b64 s[18:19], s[16:17]
	s_xor_b64 s[16:17], exec, s[18:19]
	s_cbranch_execz .LBB118_91
; %bb.90:
	v_div_scale_f64 v[156:157], s[18:19], v[242:243], v[242:243], v[240:241]
	v_rcp_f64_e32 v[158:159], v[156:157]
	v_div_scale_f64 v[164:165], vcc, v[240:241], v[242:243], v[240:241]
	v_fma_f64 v[166:167], -v[156:157], v[158:159], 1.0
	v_fmac_f64_e32 v[158:159], v[158:159], v[166:167]
	v_fma_f64 v[166:167], -v[156:157], v[158:159], 1.0
	v_fmac_f64_e32 v[158:159], v[158:159], v[166:167]
	v_mul_f64 v[166:167], v[164:165], v[158:159]
	v_fma_f64 v[156:157], -v[156:157], v[166:167], v[164:165]
	v_div_fmas_f64 v[156:157], v[156:157], v[158:159], v[166:167]
	v_div_fixup_f64 v[156:157], v[156:157], v[242:243], v[240:241]
	v_fmac_f64_e32 v[242:243], v[240:241], v[156:157]
	v_div_scale_f64 v[158:159], s[18:19], v[242:243], v[242:243], 1.0
	v_rcp_f64_e32 v[164:165], v[158:159]
	s_nop 0
	v_fma_f64 v[166:167], -v[158:159], v[164:165], 1.0
	v_fmac_f64_e32 v[164:165], v[164:165], v[166:167]
	v_fma_f64 v[166:167], -v[158:159], v[164:165], 1.0
	v_fmac_f64_e32 v[164:165], v[164:165], v[166:167]
	v_div_scale_f64 v[166:167], vcc, 1.0, v[242:243], 1.0
	v_mul_f64 v[216:217], v[166:167], v[164:165]
	v_fma_f64 v[158:159], -v[158:159], v[216:217], v[166:167]
	s_nop 1
	v_div_fmas_f64 v[158:159], v[158:159], v[164:165], v[216:217]
	v_div_fixup_f64 v[242:243], v[158:159], v[242:243], 1.0
	v_mul_f64 v[240:241], v[156:157], v[242:243]
	v_xor_b32_e32 v243, 0x80000000, v243
.LBB118_91:
	s_andn2_saveexec_b64 s[16:17], s[16:17]
	s_cbranch_execz .LBB118_93
; %bb.92:
	v_div_scale_f64 v[156:157], s[18:19], v[240:241], v[240:241], v[242:243]
	v_rcp_f64_e32 v[158:159], v[156:157]
	v_div_scale_f64 v[164:165], vcc, v[242:243], v[240:241], v[242:243]
	v_fma_f64 v[166:167], -v[156:157], v[158:159], 1.0
	v_fmac_f64_e32 v[158:159], v[158:159], v[166:167]
	v_fma_f64 v[166:167], -v[156:157], v[158:159], 1.0
	v_fmac_f64_e32 v[158:159], v[158:159], v[166:167]
	v_mul_f64 v[166:167], v[164:165], v[158:159]
	v_fma_f64 v[156:157], -v[156:157], v[166:167], v[164:165]
	v_div_fmas_f64 v[156:157], v[156:157], v[158:159], v[166:167]
	v_div_fixup_f64 v[156:157], v[156:157], v[240:241], v[242:243]
	v_fmac_f64_e32 v[240:241], v[242:243], v[156:157]
	v_div_scale_f64 v[158:159], s[18:19], v[240:241], v[240:241], 1.0
	v_rcp_f64_e32 v[164:165], v[158:159]
	s_nop 0
	v_fma_f64 v[166:167], -v[158:159], v[164:165], 1.0
	v_fmac_f64_e32 v[164:165], v[164:165], v[166:167]
	v_fma_f64 v[166:167], -v[158:159], v[164:165], 1.0
	v_fmac_f64_e32 v[164:165], v[164:165], v[166:167]
	v_div_scale_f64 v[166:167], vcc, 1.0, v[240:241], 1.0
	v_mul_f64 v[216:217], v[166:167], v[164:165]
	v_fma_f64 v[158:159], -v[158:159], v[216:217], v[166:167]
	s_nop 1
	v_div_fmas_f64 v[158:159], v[158:159], v[164:165], v[216:217]
	v_div_fixup_f64 v[240:241], v[158:159], v[240:241], 1.0
	v_mul_f64 v[242:243], v[156:157], -v[240:241]
.LBB118_93:
	s_or_b64 exec, exec, s[16:17]
.LBB118_94:
	s_or_b64 exec, exec, s[0:1]
	v_cmp_ne_u32_e32 vcc, v253, v250
	s_and_saveexec_b64 s[0:1], vcc
	s_xor_b64 s[0:1], exec, s[0:1]
	s_cbranch_execz .LBB118_100
; %bb.95:
	v_cmp_eq_u32_e32 vcc, 4, v253
	s_and_saveexec_b64 s[16:17], vcc
	s_cbranch_execz .LBB118_99
; %bb.96:
	v_cmp_ne_u32_e32 vcc, 4, v250
	s_xor_b64 s[18:19], s[14:15], -1
	s_and_b64 s[22:23], s[18:19], vcc
	s_and_saveexec_b64 s[18:19], s[22:23]
	s_cbranch_execz .LBB118_98
; %bb.97:
	v_ashrrev_i32_e32 v251, 31, v250
	v_lshl_add_u64 v[156:157], v[250:251], 2, v[234:235]
	global_load_dword v158, v[156:157], off
	global_load_dword v159, v[234:235], off offset:16
	s_waitcnt vmcnt(1)
	global_store_dword v[234:235], v158, off offset:16
	s_waitcnt vmcnt(1)
	global_store_dword v[156:157], v159, off
.LBB118_98:
	s_or_b64 exec, exec, s[18:19]
	v_mov_b32_e32 v253, v250
	v_mov_b32_e32 v244, v250
.LBB118_99:
	s_or_b64 exec, exec, s[16:17]
.LBB118_100:
	s_andn2_saveexec_b64 s[0:1], s[0:1]
	s_cbranch_execz .LBB118_102
; %bb.101:
	ds_write2_b64 v252, v[4:5], v[6:7] offset0:10 offset1:11
	ds_write2_b64 v252, v[152:153], v[154:155] offset0:12 offset1:13
	;; [unrolled: 1-line block ×3, first 2 shown]
	scratch_load_dwordx4 v[0:3], off, off   ; 16-byte Folded Reload
	v_mov_b32_e32 v253, 4
	s_waitcnt vmcnt(0)
	ds_write2_b64 v252, v[0:1], v[2:3] offset0:16 offset1:17
	ds_write2_b64 v252, v[204:205], v[206:207] offset0:18 offset1:19
	;; [unrolled: 1-line block ×52, first 2 shown]
.LBB118_102:
	s_or_b64 exec, exec, s[0:1]
	v_cmp_lt_i32_e32 vcc, 4, v253
	s_waitcnt lgkmcnt(0)
	s_barrier
	s_and_saveexec_b64 s[0:1], vcc
	s_cbranch_execz .LBB118_104
; %bb.103:
	scratch_load_dwordx4 v[0:3], off, off   ; 16-byte Folded Reload
	ds_read2_b64 v[164:167], v252 offset0:10 offset1:11
	v_mul_f64 v[156:157], v[242:243], v[214:215]
	v_mul_f64 v[214:215], v[240:241], v[214:215]
	v_fmac_f64_e32 v[214:215], v[242:243], v[212:213]
	v_fma_f64 v[250:251], v[240:241], v[212:213], -v[156:157]
	s_waitcnt lgkmcnt(0)
	v_mul_f64 v[156:157], v[166:167], v[214:215]
	v_mul_f64 v[158:159], v[164:165], v[214:215]
	v_fma_f64 v[156:157], v[164:165], v[250:251], -v[156:157]
	v_fmac_f64_e32 v[158:159], v[166:167], v[250:251]
	ds_read2_b64 v[164:167], v252 offset0:12 offset1:13
	v_add_f64 v[4:5], v[4:5], -v[156:157]
	v_add_f64 v[6:7], v[6:7], -v[158:159]
	v_mov_b64_e32 v[212:213], v[250:251]
	s_waitcnt lgkmcnt(0)
	v_mul_f64 v[156:157], v[166:167], v[214:215]
	v_mul_f64 v[158:159], v[164:165], v[214:215]
	v_fma_f64 v[156:157], v[164:165], v[250:251], -v[156:157]
	v_fmac_f64_e32 v[158:159], v[166:167], v[250:251]
	ds_read2_b64 v[164:167], v252 offset0:14 offset1:15
	v_add_f64 v[152:153], v[152:153], -v[156:157]
	v_add_f64 v[154:155], v[154:155], -v[158:159]
	s_waitcnt lgkmcnt(0)
	v_mul_f64 v[156:157], v[166:167], v[214:215]
	v_mul_f64 v[158:159], v[164:165], v[214:215]
	v_fma_f64 v[156:157], v[164:165], v[250:251], -v[156:157]
	v_fmac_f64_e32 v[158:159], v[166:167], v[250:251]
	ds_read2_b64 v[164:167], v252 offset0:16 offset1:17
	v_add_f64 v[8:9], v[8:9], -v[156:157]
	v_add_f64 v[10:11], v[10:11], -v[158:159]
	s_waitcnt lgkmcnt(0)
	v_mul_f64 v[156:157], v[166:167], v[214:215]
	v_mul_f64 v[158:159], v[164:165], v[214:215]
	v_fma_f64 v[156:157], v[164:165], v[250:251], -v[156:157]
	v_fmac_f64_e32 v[158:159], v[166:167], v[250:251]
	ds_read2_b64 v[164:167], v252 offset0:18 offset1:19
	s_waitcnt vmcnt(0)
	v_add_f64 v[0:1], v[0:1], -v[156:157]
	v_add_f64 v[2:3], v[2:3], -v[158:159]
	s_waitcnt lgkmcnt(0)
	v_mul_f64 v[156:157], v[166:167], v[214:215]
	v_mul_f64 v[158:159], v[164:165], v[214:215]
	v_fma_f64 v[156:157], v[164:165], v[250:251], -v[156:157]
	v_fmac_f64_e32 v[158:159], v[166:167], v[250:251]
	ds_read2_b64 v[164:167], v252 offset0:20 offset1:21
	v_add_f64 v[204:205], v[204:205], -v[156:157]
	v_add_f64 v[206:207], v[206:207], -v[158:159]
	scratch_store_dwordx4 off, v[0:3], off  ; 16-byte Folded Spill
	s_waitcnt lgkmcnt(0)
	v_mul_f64 v[156:157], v[166:167], v[214:215]
	v_mul_f64 v[158:159], v[164:165], v[214:215]
	v_fma_f64 v[156:157], v[164:165], v[250:251], -v[156:157]
	v_fmac_f64_e32 v[158:159], v[166:167], v[250:251]
	ds_read2_b64 v[164:167], v252 offset0:22 offset1:23
	v_add_f64 v[200:201], v[200:201], -v[156:157]
	v_add_f64 v[202:203], v[202:203], -v[158:159]
	s_waitcnt lgkmcnt(0)
	v_mul_f64 v[156:157], v[166:167], v[214:215]
	v_mul_f64 v[158:159], v[164:165], v[214:215]
	v_fma_f64 v[156:157], v[164:165], v[250:251], -v[156:157]
	v_fmac_f64_e32 v[158:159], v[166:167], v[250:251]
	ds_read2_b64 v[164:167], v252 offset0:24 offset1:25
	v_add_f64 v[196:197], v[196:197], -v[156:157]
	v_add_f64 v[198:199], v[198:199], -v[158:159]
	;; [unrolled: 8-line block ×49, first 2 shown]
	s_waitcnt lgkmcnt(0)
	v_mul_f64 v[156:157], v[166:167], v[214:215]
	v_mul_f64 v[158:159], v[164:165], v[214:215]
	v_fma_f64 v[156:157], v[164:165], v[250:251], -v[156:157]
	v_fmac_f64_e32 v[158:159], v[166:167], v[250:251]
	v_add_f64 v[236:237], v[236:237], -v[156:157]
	v_add_f64 v[238:239], v[238:239], -v[158:159]
.LBB118_104:
	s_or_b64 exec, exec, s[0:1]
	v_lshl_add_u32 v156, v253, 4, v252
	s_barrier
	ds_write2_b64 v156, v[4:5], v[6:7] offset1:1
	s_waitcnt lgkmcnt(0)
	s_barrier
	ds_read2_b64 v[240:243], v252 offset0:10 offset1:11
	s_cmp_lt_i32 s20, 7
	v_mov_b32_e32 v250, 5
	s_cbranch_scc1 .LBB118_107
; %bb.105:
	v_add_u32_e32 v246, 0x60, v252
	s_mov_b32 s0, 6
	v_mov_b32_e32 v250, 5
.LBB118_106:                            ; =>This Inner Loop Header: Depth=1
	ds_read2_b64 v[164:167], v246 offset1:1
	s_waitcnt lgkmcnt(1)
	v_cmp_gt_f64_e32 vcc, 0, v[240:241]
	v_xor_b32_e32 v156, 0x80000000, v241
	v_xor_b32_e32 v158, 0x80000000, v243
	v_cndmask_b32_e32 v157, v241, v156, vcc
	v_cmp_gt_f64_e32 vcc, 0, v[242:243]
	v_mov_b32_e32 v156, v240
	s_waitcnt lgkmcnt(0)
	v_xor_b32_e32 v216, 0x80000000, v167
	v_cndmask_b32_e32 v159, v243, v158, vcc
	v_mov_b32_e32 v158, v242
	v_add_f64 v[156:157], v[156:157], v[158:159]
	v_cmp_gt_f64_e32 vcc, 0, v[164:165]
	v_xor_b32_e32 v158, 0x80000000, v165
	v_add_u32_e32 v246, 16, v246
	v_cndmask_b32_e32 v159, v165, v158, vcc
	v_cmp_gt_f64_e32 vcc, 0, v[166:167]
	v_mov_b32_e32 v158, v164
	s_nop 0
	v_cndmask_b32_e32 v217, v167, v216, vcc
	v_mov_b32_e32 v216, v166
	v_add_f64 v[158:159], v[158:159], v[216:217]
	v_cmp_lt_f64_e32 vcc, v[156:157], v[158:159]
	v_mov_b32_e32 v156, s0
	s_add_i32 s0, s0, 1
	v_cndmask_b32_e32 v241, v241, v165, vcc
	v_cndmask_b32_e32 v240, v240, v164, vcc
	;; [unrolled: 1-line block ×5, first 2 shown]
	s_cmp_lg_u32 s20, s0
	s_cbranch_scc1 .LBB118_106
.LBB118_107:
	s_waitcnt lgkmcnt(0)
	v_cmp_eq_f64_e32 vcc, 0, v[240:241]
	v_cmp_eq_f64_e64 s[0:1], 0, v[242:243]
	s_and_b64 s[0:1], vcc, s[0:1]
	s_and_saveexec_b64 s[16:17], s[0:1]
	s_xor_b64 s[0:1], exec, s[16:17]
; %bb.108:
	v_cmp_ne_u32_e32 vcc, 0, v254
	s_nop 1
	v_cndmask_b32_e32 v254, 6, v254, vcc
; %bb.109:
	s_andn2_saveexec_b64 s[0:1], s[0:1]
	s_cbranch_execz .LBB118_115
; %bb.110:
	v_cmp_ngt_f64_e64 s[16:17], |v[240:241]|, |v[242:243]|
	s_and_saveexec_b64 s[18:19], s[16:17]
	s_xor_b64 s[16:17], exec, s[18:19]
	s_cbranch_execz .LBB118_112
; %bb.111:
	v_div_scale_f64 v[156:157], s[18:19], v[242:243], v[242:243], v[240:241]
	v_rcp_f64_e32 v[158:159], v[156:157]
	v_div_scale_f64 v[164:165], vcc, v[240:241], v[242:243], v[240:241]
	v_fma_f64 v[166:167], -v[156:157], v[158:159], 1.0
	v_fmac_f64_e32 v[158:159], v[158:159], v[166:167]
	v_fma_f64 v[166:167], -v[156:157], v[158:159], 1.0
	v_fmac_f64_e32 v[158:159], v[158:159], v[166:167]
	v_mul_f64 v[166:167], v[164:165], v[158:159]
	v_fma_f64 v[156:157], -v[156:157], v[166:167], v[164:165]
	v_div_fmas_f64 v[156:157], v[156:157], v[158:159], v[166:167]
	v_div_fixup_f64 v[156:157], v[156:157], v[242:243], v[240:241]
	v_fmac_f64_e32 v[242:243], v[240:241], v[156:157]
	v_div_scale_f64 v[158:159], s[18:19], v[242:243], v[242:243], 1.0
	v_rcp_f64_e32 v[164:165], v[158:159]
	s_nop 0
	v_fma_f64 v[166:167], -v[158:159], v[164:165], 1.0
	v_fmac_f64_e32 v[164:165], v[164:165], v[166:167]
	v_fma_f64 v[166:167], -v[158:159], v[164:165], 1.0
	v_fmac_f64_e32 v[164:165], v[164:165], v[166:167]
	v_div_scale_f64 v[166:167], vcc, 1.0, v[242:243], 1.0
	v_mul_f64 v[216:217], v[166:167], v[164:165]
	v_fma_f64 v[158:159], -v[158:159], v[216:217], v[166:167]
	s_nop 1
	v_div_fmas_f64 v[158:159], v[158:159], v[164:165], v[216:217]
	v_div_fixup_f64 v[242:243], v[158:159], v[242:243], 1.0
	v_mul_f64 v[240:241], v[156:157], v[242:243]
	v_xor_b32_e32 v243, 0x80000000, v243
.LBB118_112:
	s_andn2_saveexec_b64 s[16:17], s[16:17]
	s_cbranch_execz .LBB118_114
; %bb.113:
	v_div_scale_f64 v[156:157], s[18:19], v[240:241], v[240:241], v[242:243]
	v_rcp_f64_e32 v[158:159], v[156:157]
	v_div_scale_f64 v[164:165], vcc, v[242:243], v[240:241], v[242:243]
	v_fma_f64 v[166:167], -v[156:157], v[158:159], 1.0
	v_fmac_f64_e32 v[158:159], v[158:159], v[166:167]
	v_fma_f64 v[166:167], -v[156:157], v[158:159], 1.0
	v_fmac_f64_e32 v[158:159], v[158:159], v[166:167]
	v_mul_f64 v[166:167], v[164:165], v[158:159]
	v_fma_f64 v[156:157], -v[156:157], v[166:167], v[164:165]
	v_div_fmas_f64 v[156:157], v[156:157], v[158:159], v[166:167]
	v_div_fixup_f64 v[156:157], v[156:157], v[240:241], v[242:243]
	v_fmac_f64_e32 v[240:241], v[242:243], v[156:157]
	v_div_scale_f64 v[158:159], s[18:19], v[240:241], v[240:241], 1.0
	v_rcp_f64_e32 v[164:165], v[158:159]
	s_nop 0
	v_fma_f64 v[166:167], -v[158:159], v[164:165], 1.0
	v_fmac_f64_e32 v[164:165], v[164:165], v[166:167]
	v_fma_f64 v[166:167], -v[158:159], v[164:165], 1.0
	v_fmac_f64_e32 v[164:165], v[164:165], v[166:167]
	v_div_scale_f64 v[166:167], vcc, 1.0, v[240:241], 1.0
	v_mul_f64 v[216:217], v[166:167], v[164:165]
	v_fma_f64 v[158:159], -v[158:159], v[216:217], v[166:167]
	s_nop 1
	v_div_fmas_f64 v[158:159], v[158:159], v[164:165], v[216:217]
	v_div_fixup_f64 v[240:241], v[158:159], v[240:241], 1.0
	v_mul_f64 v[242:243], v[156:157], -v[240:241]
.LBB118_114:
	s_or_b64 exec, exec, s[16:17]
.LBB118_115:
	s_or_b64 exec, exec, s[0:1]
	v_cmp_ne_u32_e32 vcc, v253, v250
	s_and_saveexec_b64 s[0:1], vcc
	s_xor_b64 s[0:1], exec, s[0:1]
	s_cbranch_execz .LBB118_121
; %bb.116:
	v_cmp_eq_u32_e32 vcc, 5, v253
	s_and_saveexec_b64 s[16:17], vcc
	s_cbranch_execz .LBB118_120
; %bb.117:
	v_cmp_ne_u32_e32 vcc, 5, v250
	s_xor_b64 s[18:19], s[14:15], -1
	s_and_b64 s[22:23], s[18:19], vcc
	s_and_saveexec_b64 s[18:19], s[22:23]
	s_cbranch_execz .LBB118_119
; %bb.118:
	v_ashrrev_i32_e32 v251, 31, v250
	v_lshl_add_u64 v[156:157], v[250:251], 2, v[234:235]
	global_load_dword v158, v[156:157], off
	global_load_dword v159, v[234:235], off offset:20
	s_waitcnt vmcnt(1)
	global_store_dword v[234:235], v158, off offset:20
	s_waitcnt vmcnt(1)
	global_store_dword v[156:157], v159, off
.LBB118_119:
	s_or_b64 exec, exec, s[18:19]
	v_mov_b32_e32 v253, v250
	v_mov_b32_e32 v244, v250
.LBB118_120:
	s_or_b64 exec, exec, s[16:17]
.LBB118_121:
	s_andn2_saveexec_b64 s[0:1], s[0:1]
	s_cbranch_execz .LBB118_123
; %bb.122:
	ds_write2_b64 v252, v[152:153], v[154:155] offset0:12 offset1:13
	ds_write2_b64 v252, v[8:9], v[10:11] offset0:14 offset1:15
	scratch_load_dwordx4 v[0:3], off, off   ; 16-byte Folded Reload
	v_mov_b32_e32 v253, 5
	s_waitcnt vmcnt(0)
	ds_write2_b64 v252, v[0:1], v[2:3] offset0:16 offset1:17
	ds_write2_b64 v252, v[204:205], v[206:207] offset0:18 offset1:19
	;; [unrolled: 1-line block ×52, first 2 shown]
.LBB118_123:
	s_or_b64 exec, exec, s[0:1]
	v_cmp_lt_i32_e32 vcc, 5, v253
	s_waitcnt lgkmcnt(0)
	s_barrier
	s_and_saveexec_b64 s[0:1], vcc
	s_cbranch_execz .LBB118_125
; %bb.124:
	scratch_load_dwordx4 v[0:3], off, off   ; 16-byte Folded Reload
	ds_read2_b64 v[164:167], v252 offset0:12 offset1:13
	v_mul_f64 v[156:157], v[242:243], v[6:7]
	v_mul_f64 v[6:7], v[240:241], v[6:7]
	v_fmac_f64_e32 v[6:7], v[242:243], v[4:5]
	v_fma_f64 v[250:251], v[240:241], v[4:5], -v[156:157]
	s_waitcnt lgkmcnt(0)
	v_mul_f64 v[156:157], v[166:167], v[6:7]
	v_mul_f64 v[158:159], v[164:165], v[6:7]
	v_fma_f64 v[156:157], v[164:165], v[250:251], -v[156:157]
	v_fmac_f64_e32 v[158:159], v[166:167], v[250:251]
	ds_read2_b64 v[164:167], v252 offset0:14 offset1:15
	v_add_f64 v[152:153], v[152:153], -v[156:157]
	v_add_f64 v[154:155], v[154:155], -v[158:159]
	v_mov_b64_e32 v[4:5], v[250:251]
	s_waitcnt lgkmcnt(0)
	v_mul_f64 v[156:157], v[166:167], v[6:7]
	v_mul_f64 v[158:159], v[164:165], v[6:7]
	v_fma_f64 v[156:157], v[164:165], v[250:251], -v[156:157]
	v_fmac_f64_e32 v[158:159], v[166:167], v[250:251]
	ds_read2_b64 v[164:167], v252 offset0:16 offset1:17
	v_add_f64 v[8:9], v[8:9], -v[156:157]
	v_add_f64 v[10:11], v[10:11], -v[158:159]
	s_waitcnt lgkmcnt(0)
	v_mul_f64 v[156:157], v[166:167], v[6:7]
	v_mul_f64 v[158:159], v[164:165], v[6:7]
	v_fma_f64 v[156:157], v[164:165], v[250:251], -v[156:157]
	v_fmac_f64_e32 v[158:159], v[166:167], v[250:251]
	ds_read2_b64 v[164:167], v252 offset0:18 offset1:19
	s_waitcnt vmcnt(0)
	v_add_f64 v[0:1], v[0:1], -v[156:157]
	v_add_f64 v[2:3], v[2:3], -v[158:159]
	s_waitcnt lgkmcnt(0)
	v_mul_f64 v[156:157], v[166:167], v[6:7]
	v_mul_f64 v[158:159], v[164:165], v[6:7]
	v_fma_f64 v[156:157], v[164:165], v[250:251], -v[156:157]
	v_fmac_f64_e32 v[158:159], v[166:167], v[250:251]
	ds_read2_b64 v[164:167], v252 offset0:20 offset1:21
	v_add_f64 v[204:205], v[204:205], -v[156:157]
	v_add_f64 v[206:207], v[206:207], -v[158:159]
	scratch_store_dwordx4 off, v[0:3], off  ; 16-byte Folded Spill
	s_waitcnt lgkmcnt(0)
	v_mul_f64 v[156:157], v[166:167], v[6:7]
	v_mul_f64 v[158:159], v[164:165], v[6:7]
	v_fma_f64 v[156:157], v[164:165], v[250:251], -v[156:157]
	v_fmac_f64_e32 v[158:159], v[166:167], v[250:251]
	ds_read2_b64 v[164:167], v252 offset0:22 offset1:23
	v_add_f64 v[200:201], v[200:201], -v[156:157]
	v_add_f64 v[202:203], v[202:203], -v[158:159]
	s_waitcnt lgkmcnt(0)
	v_mul_f64 v[156:157], v[166:167], v[6:7]
	v_mul_f64 v[158:159], v[164:165], v[6:7]
	v_fma_f64 v[156:157], v[164:165], v[250:251], -v[156:157]
	v_fmac_f64_e32 v[158:159], v[166:167], v[250:251]
	ds_read2_b64 v[164:167], v252 offset0:24 offset1:25
	v_add_f64 v[196:197], v[196:197], -v[156:157]
	v_add_f64 v[198:199], v[198:199], -v[158:159]
	;; [unrolled: 8-line block ×49, first 2 shown]
	s_waitcnt lgkmcnt(0)
	v_mul_f64 v[156:157], v[166:167], v[6:7]
	v_mul_f64 v[158:159], v[164:165], v[6:7]
	v_fma_f64 v[156:157], v[164:165], v[250:251], -v[156:157]
	v_fmac_f64_e32 v[158:159], v[166:167], v[250:251]
	v_add_f64 v[236:237], v[236:237], -v[156:157]
	v_add_f64 v[238:239], v[238:239], -v[158:159]
.LBB118_125:
	s_or_b64 exec, exec, s[0:1]
	v_lshl_add_u32 v156, v253, 4, v252
	s_barrier
	ds_write2_b64 v156, v[152:153], v[154:155] offset1:1
	s_waitcnt lgkmcnt(0)
	s_barrier
	ds_read2_b64 v[240:243], v252 offset0:12 offset1:13
	s_cmp_lt_i32 s20, 8
	v_mov_b32_e32 v250, 6
	s_cbranch_scc1 .LBB118_128
; %bb.126:
	v_add_u32_e32 v246, 0x70, v252
	s_mov_b32 s0, 7
	v_mov_b32_e32 v250, 6
.LBB118_127:                            ; =>This Inner Loop Header: Depth=1
	ds_read2_b64 v[164:167], v246 offset1:1
	s_waitcnt lgkmcnt(1)
	v_cmp_gt_f64_e32 vcc, 0, v[240:241]
	v_xor_b32_e32 v156, 0x80000000, v241
	v_xor_b32_e32 v158, 0x80000000, v243
	v_cndmask_b32_e32 v157, v241, v156, vcc
	v_cmp_gt_f64_e32 vcc, 0, v[242:243]
	v_mov_b32_e32 v156, v240
	s_waitcnt lgkmcnt(0)
	v_xor_b32_e32 v216, 0x80000000, v167
	v_cndmask_b32_e32 v159, v243, v158, vcc
	v_mov_b32_e32 v158, v242
	v_add_f64 v[156:157], v[156:157], v[158:159]
	v_cmp_gt_f64_e32 vcc, 0, v[164:165]
	v_xor_b32_e32 v158, 0x80000000, v165
	v_add_u32_e32 v246, 16, v246
	v_cndmask_b32_e32 v159, v165, v158, vcc
	v_cmp_gt_f64_e32 vcc, 0, v[166:167]
	v_mov_b32_e32 v158, v164
	s_nop 0
	v_cndmask_b32_e32 v217, v167, v216, vcc
	v_mov_b32_e32 v216, v166
	v_add_f64 v[158:159], v[158:159], v[216:217]
	v_cmp_lt_f64_e32 vcc, v[156:157], v[158:159]
	v_mov_b32_e32 v156, s0
	s_add_i32 s0, s0, 1
	v_cndmask_b32_e32 v241, v241, v165, vcc
	v_cndmask_b32_e32 v240, v240, v164, vcc
	;; [unrolled: 1-line block ×5, first 2 shown]
	s_cmp_lg_u32 s20, s0
	s_cbranch_scc1 .LBB118_127
.LBB118_128:
	s_waitcnt lgkmcnt(0)
	v_cmp_eq_f64_e32 vcc, 0, v[240:241]
	v_cmp_eq_f64_e64 s[0:1], 0, v[242:243]
	s_and_b64 s[0:1], vcc, s[0:1]
	s_and_saveexec_b64 s[16:17], s[0:1]
	s_xor_b64 s[0:1], exec, s[16:17]
; %bb.129:
	v_cmp_ne_u32_e32 vcc, 0, v254
	s_nop 1
	v_cndmask_b32_e32 v254, 7, v254, vcc
; %bb.130:
	s_andn2_saveexec_b64 s[0:1], s[0:1]
	s_cbranch_execz .LBB118_136
; %bb.131:
	v_cmp_ngt_f64_e64 s[16:17], |v[240:241]|, |v[242:243]|
	s_and_saveexec_b64 s[18:19], s[16:17]
	s_xor_b64 s[16:17], exec, s[18:19]
	s_cbranch_execz .LBB118_133
; %bb.132:
	v_div_scale_f64 v[156:157], s[18:19], v[242:243], v[242:243], v[240:241]
	v_rcp_f64_e32 v[158:159], v[156:157]
	v_div_scale_f64 v[164:165], vcc, v[240:241], v[242:243], v[240:241]
	v_fma_f64 v[166:167], -v[156:157], v[158:159], 1.0
	v_fmac_f64_e32 v[158:159], v[158:159], v[166:167]
	v_fma_f64 v[166:167], -v[156:157], v[158:159], 1.0
	v_fmac_f64_e32 v[158:159], v[158:159], v[166:167]
	v_mul_f64 v[166:167], v[164:165], v[158:159]
	v_fma_f64 v[156:157], -v[156:157], v[166:167], v[164:165]
	v_div_fmas_f64 v[156:157], v[156:157], v[158:159], v[166:167]
	v_div_fixup_f64 v[156:157], v[156:157], v[242:243], v[240:241]
	v_fmac_f64_e32 v[242:243], v[240:241], v[156:157]
	v_div_scale_f64 v[158:159], s[18:19], v[242:243], v[242:243], 1.0
	v_rcp_f64_e32 v[164:165], v[158:159]
	s_nop 0
	v_fma_f64 v[166:167], -v[158:159], v[164:165], 1.0
	v_fmac_f64_e32 v[164:165], v[164:165], v[166:167]
	v_fma_f64 v[166:167], -v[158:159], v[164:165], 1.0
	v_fmac_f64_e32 v[164:165], v[164:165], v[166:167]
	v_div_scale_f64 v[166:167], vcc, 1.0, v[242:243], 1.0
	v_mul_f64 v[216:217], v[166:167], v[164:165]
	v_fma_f64 v[158:159], -v[158:159], v[216:217], v[166:167]
	s_nop 1
	v_div_fmas_f64 v[158:159], v[158:159], v[164:165], v[216:217]
	v_div_fixup_f64 v[242:243], v[158:159], v[242:243], 1.0
	v_mul_f64 v[240:241], v[156:157], v[242:243]
	v_xor_b32_e32 v243, 0x80000000, v243
.LBB118_133:
	s_andn2_saveexec_b64 s[16:17], s[16:17]
	s_cbranch_execz .LBB118_135
; %bb.134:
	v_div_scale_f64 v[156:157], s[18:19], v[240:241], v[240:241], v[242:243]
	v_rcp_f64_e32 v[158:159], v[156:157]
	v_div_scale_f64 v[164:165], vcc, v[242:243], v[240:241], v[242:243]
	v_fma_f64 v[166:167], -v[156:157], v[158:159], 1.0
	v_fmac_f64_e32 v[158:159], v[158:159], v[166:167]
	v_fma_f64 v[166:167], -v[156:157], v[158:159], 1.0
	v_fmac_f64_e32 v[158:159], v[158:159], v[166:167]
	v_mul_f64 v[166:167], v[164:165], v[158:159]
	v_fma_f64 v[156:157], -v[156:157], v[166:167], v[164:165]
	v_div_fmas_f64 v[156:157], v[156:157], v[158:159], v[166:167]
	v_div_fixup_f64 v[156:157], v[156:157], v[240:241], v[242:243]
	v_fmac_f64_e32 v[240:241], v[242:243], v[156:157]
	v_div_scale_f64 v[158:159], s[18:19], v[240:241], v[240:241], 1.0
	v_rcp_f64_e32 v[164:165], v[158:159]
	s_nop 0
	v_fma_f64 v[166:167], -v[158:159], v[164:165], 1.0
	v_fmac_f64_e32 v[164:165], v[164:165], v[166:167]
	v_fma_f64 v[166:167], -v[158:159], v[164:165], 1.0
	v_fmac_f64_e32 v[164:165], v[164:165], v[166:167]
	v_div_scale_f64 v[166:167], vcc, 1.0, v[240:241], 1.0
	v_mul_f64 v[216:217], v[166:167], v[164:165]
	v_fma_f64 v[158:159], -v[158:159], v[216:217], v[166:167]
	s_nop 1
	v_div_fmas_f64 v[158:159], v[158:159], v[164:165], v[216:217]
	v_div_fixup_f64 v[240:241], v[158:159], v[240:241], 1.0
	v_mul_f64 v[242:243], v[156:157], -v[240:241]
.LBB118_135:
	s_or_b64 exec, exec, s[16:17]
.LBB118_136:
	s_or_b64 exec, exec, s[0:1]
	v_cmp_ne_u32_e32 vcc, v253, v250
	s_and_saveexec_b64 s[0:1], vcc
	s_xor_b64 s[0:1], exec, s[0:1]
	s_cbranch_execz .LBB118_142
; %bb.137:
	v_cmp_eq_u32_e32 vcc, 6, v253
	s_and_saveexec_b64 s[16:17], vcc
	s_cbranch_execz .LBB118_141
; %bb.138:
	v_cmp_ne_u32_e32 vcc, 6, v250
	s_xor_b64 s[18:19], s[14:15], -1
	s_and_b64 s[22:23], s[18:19], vcc
	s_and_saveexec_b64 s[18:19], s[22:23]
	s_cbranch_execz .LBB118_140
; %bb.139:
	v_ashrrev_i32_e32 v251, 31, v250
	v_lshl_add_u64 v[156:157], v[250:251], 2, v[234:235]
	global_load_dword v158, v[156:157], off
	global_load_dword v159, v[234:235], off offset:24
	s_waitcnt vmcnt(1)
	global_store_dword v[234:235], v158, off offset:24
	s_waitcnt vmcnt(1)
	global_store_dword v[156:157], v159, off
.LBB118_140:
	s_or_b64 exec, exec, s[18:19]
	v_mov_b32_e32 v253, v250
	v_mov_b32_e32 v244, v250
.LBB118_141:
	s_or_b64 exec, exec, s[16:17]
.LBB118_142:
	s_andn2_saveexec_b64 s[0:1], s[0:1]
	s_cbranch_execz .LBB118_144
; %bb.143:
	scratch_load_dwordx4 v[0:3], off, off   ; 16-byte Folded Reload
	v_mov_b32_e32 v253, 6
	ds_write2_b64 v252, v[8:9], v[10:11] offset0:14 offset1:15
	s_waitcnt vmcnt(0)
	ds_write2_b64 v252, v[0:1], v[2:3] offset0:16 offset1:17
	ds_write2_b64 v252, v[204:205], v[206:207] offset0:18 offset1:19
	;; [unrolled: 1-line block ×52, first 2 shown]
.LBB118_144:
	s_or_b64 exec, exec, s[0:1]
	v_cmp_lt_i32_e32 vcc, 6, v253
	s_waitcnt lgkmcnt(0)
	s_barrier
	s_and_saveexec_b64 s[0:1], vcc
	s_cbranch_execz .LBB118_146
; %bb.145:
	scratch_load_dwordx4 v[0:3], off, off   ; 16-byte Folded Reload
	ds_read2_b64 v[164:167], v252 offset0:14 offset1:15
	v_mul_f64 v[156:157], v[242:243], v[154:155]
	v_mul_f64 v[154:155], v[240:241], v[154:155]
	v_fmac_f64_e32 v[154:155], v[242:243], v[152:153]
	v_fma_f64 v[250:251], v[240:241], v[152:153], -v[156:157]
	s_waitcnt lgkmcnt(0)
	v_mul_f64 v[156:157], v[166:167], v[154:155]
	v_mul_f64 v[158:159], v[164:165], v[154:155]
	v_fma_f64 v[156:157], v[164:165], v[250:251], -v[156:157]
	v_fmac_f64_e32 v[158:159], v[166:167], v[250:251]
	ds_read2_b64 v[164:167], v252 offset0:16 offset1:17
	v_add_f64 v[8:9], v[8:9], -v[156:157]
	v_add_f64 v[10:11], v[10:11], -v[158:159]
	v_mov_b64_e32 v[152:153], v[250:251]
	s_waitcnt lgkmcnt(0)
	v_mul_f64 v[156:157], v[166:167], v[154:155]
	v_mul_f64 v[158:159], v[164:165], v[154:155]
	v_fma_f64 v[156:157], v[164:165], v[250:251], -v[156:157]
	v_fmac_f64_e32 v[158:159], v[166:167], v[250:251]
	ds_read2_b64 v[164:167], v252 offset0:18 offset1:19
	s_waitcnt vmcnt(0)
	v_add_f64 v[0:1], v[0:1], -v[156:157]
	v_add_f64 v[2:3], v[2:3], -v[158:159]
	s_waitcnt lgkmcnt(0)
	v_mul_f64 v[156:157], v[166:167], v[154:155]
	v_mul_f64 v[158:159], v[164:165], v[154:155]
	v_fma_f64 v[156:157], v[164:165], v[250:251], -v[156:157]
	v_fmac_f64_e32 v[158:159], v[166:167], v[250:251]
	ds_read2_b64 v[164:167], v252 offset0:20 offset1:21
	v_add_f64 v[204:205], v[204:205], -v[156:157]
	v_add_f64 v[206:207], v[206:207], -v[158:159]
	scratch_store_dwordx4 off, v[0:3], off  ; 16-byte Folded Spill
	s_waitcnt lgkmcnt(0)
	v_mul_f64 v[156:157], v[166:167], v[154:155]
	v_mul_f64 v[158:159], v[164:165], v[154:155]
	v_fma_f64 v[156:157], v[164:165], v[250:251], -v[156:157]
	v_fmac_f64_e32 v[158:159], v[166:167], v[250:251]
	ds_read2_b64 v[164:167], v252 offset0:22 offset1:23
	v_add_f64 v[200:201], v[200:201], -v[156:157]
	v_add_f64 v[202:203], v[202:203], -v[158:159]
	s_waitcnt lgkmcnt(0)
	v_mul_f64 v[156:157], v[166:167], v[154:155]
	v_mul_f64 v[158:159], v[164:165], v[154:155]
	v_fma_f64 v[156:157], v[164:165], v[250:251], -v[156:157]
	v_fmac_f64_e32 v[158:159], v[166:167], v[250:251]
	ds_read2_b64 v[164:167], v252 offset0:24 offset1:25
	v_add_f64 v[196:197], v[196:197], -v[156:157]
	v_add_f64 v[198:199], v[198:199], -v[158:159]
	;; [unrolled: 8-line block ×49, first 2 shown]
	s_waitcnt lgkmcnt(0)
	v_mul_f64 v[156:157], v[166:167], v[154:155]
	v_mul_f64 v[158:159], v[164:165], v[154:155]
	v_fma_f64 v[156:157], v[164:165], v[250:251], -v[156:157]
	v_fmac_f64_e32 v[158:159], v[166:167], v[250:251]
	v_add_f64 v[236:237], v[236:237], -v[156:157]
	v_add_f64 v[238:239], v[238:239], -v[158:159]
.LBB118_146:
	s_or_b64 exec, exec, s[0:1]
	v_lshl_add_u32 v156, v253, 4, v252
	s_barrier
	ds_write2_b64 v156, v[8:9], v[10:11] offset1:1
	s_waitcnt lgkmcnt(0)
	s_barrier
	ds_read2_b64 v[240:243], v252 offset0:14 offset1:15
	s_cmp_lt_i32 s20, 9
	v_mov_b32_e32 v250, 7
	s_cbranch_scc1 .LBB118_149
; %bb.147:
	v_add_u32_e32 v246, 0x80, v252
	s_mov_b32 s0, 8
	v_mov_b32_e32 v250, 7
.LBB118_148:                            ; =>This Inner Loop Header: Depth=1
	ds_read2_b64 v[164:167], v246 offset1:1
	s_waitcnt lgkmcnt(1)
	v_cmp_gt_f64_e32 vcc, 0, v[240:241]
	v_xor_b32_e32 v156, 0x80000000, v241
	v_xor_b32_e32 v158, 0x80000000, v243
	v_cndmask_b32_e32 v157, v241, v156, vcc
	v_cmp_gt_f64_e32 vcc, 0, v[242:243]
	v_mov_b32_e32 v156, v240
	s_waitcnt lgkmcnt(0)
	v_xor_b32_e32 v216, 0x80000000, v167
	v_cndmask_b32_e32 v159, v243, v158, vcc
	v_mov_b32_e32 v158, v242
	v_add_f64 v[156:157], v[156:157], v[158:159]
	v_cmp_gt_f64_e32 vcc, 0, v[164:165]
	v_xor_b32_e32 v158, 0x80000000, v165
	v_add_u32_e32 v246, 16, v246
	v_cndmask_b32_e32 v159, v165, v158, vcc
	v_cmp_gt_f64_e32 vcc, 0, v[166:167]
	v_mov_b32_e32 v158, v164
	s_nop 0
	v_cndmask_b32_e32 v217, v167, v216, vcc
	v_mov_b32_e32 v216, v166
	v_add_f64 v[158:159], v[158:159], v[216:217]
	v_cmp_lt_f64_e32 vcc, v[156:157], v[158:159]
	v_mov_b32_e32 v156, s0
	s_add_i32 s0, s0, 1
	v_cndmask_b32_e32 v241, v241, v165, vcc
	v_cndmask_b32_e32 v240, v240, v164, vcc
	;; [unrolled: 1-line block ×5, first 2 shown]
	s_cmp_lg_u32 s20, s0
	s_cbranch_scc1 .LBB118_148
.LBB118_149:
	s_waitcnt lgkmcnt(0)
	v_cmp_eq_f64_e32 vcc, 0, v[240:241]
	v_cmp_eq_f64_e64 s[0:1], 0, v[242:243]
	s_and_b64 s[0:1], vcc, s[0:1]
	s_and_saveexec_b64 s[16:17], s[0:1]
	s_xor_b64 s[0:1], exec, s[16:17]
; %bb.150:
	v_cmp_ne_u32_e32 vcc, 0, v254
	s_nop 1
	v_cndmask_b32_e32 v254, 8, v254, vcc
; %bb.151:
	s_andn2_saveexec_b64 s[0:1], s[0:1]
	s_cbranch_execz .LBB118_157
; %bb.152:
	v_cmp_ngt_f64_e64 s[16:17], |v[240:241]|, |v[242:243]|
	s_and_saveexec_b64 s[18:19], s[16:17]
	s_xor_b64 s[16:17], exec, s[18:19]
	s_cbranch_execz .LBB118_154
; %bb.153:
	v_div_scale_f64 v[156:157], s[18:19], v[242:243], v[242:243], v[240:241]
	v_rcp_f64_e32 v[158:159], v[156:157]
	v_div_scale_f64 v[164:165], vcc, v[240:241], v[242:243], v[240:241]
	v_fma_f64 v[166:167], -v[156:157], v[158:159], 1.0
	v_fmac_f64_e32 v[158:159], v[158:159], v[166:167]
	v_fma_f64 v[166:167], -v[156:157], v[158:159], 1.0
	v_fmac_f64_e32 v[158:159], v[158:159], v[166:167]
	v_mul_f64 v[166:167], v[164:165], v[158:159]
	v_fma_f64 v[156:157], -v[156:157], v[166:167], v[164:165]
	v_div_fmas_f64 v[156:157], v[156:157], v[158:159], v[166:167]
	v_div_fixup_f64 v[156:157], v[156:157], v[242:243], v[240:241]
	v_fmac_f64_e32 v[242:243], v[240:241], v[156:157]
	v_div_scale_f64 v[158:159], s[18:19], v[242:243], v[242:243], 1.0
	v_rcp_f64_e32 v[164:165], v[158:159]
	s_nop 0
	v_fma_f64 v[166:167], -v[158:159], v[164:165], 1.0
	v_fmac_f64_e32 v[164:165], v[164:165], v[166:167]
	v_fma_f64 v[166:167], -v[158:159], v[164:165], 1.0
	v_fmac_f64_e32 v[164:165], v[164:165], v[166:167]
	v_div_scale_f64 v[166:167], vcc, 1.0, v[242:243], 1.0
	v_mul_f64 v[216:217], v[166:167], v[164:165]
	v_fma_f64 v[158:159], -v[158:159], v[216:217], v[166:167]
	s_nop 1
	v_div_fmas_f64 v[158:159], v[158:159], v[164:165], v[216:217]
	v_div_fixup_f64 v[242:243], v[158:159], v[242:243], 1.0
	v_mul_f64 v[240:241], v[156:157], v[242:243]
	v_xor_b32_e32 v243, 0x80000000, v243
.LBB118_154:
	s_andn2_saveexec_b64 s[16:17], s[16:17]
	s_cbranch_execz .LBB118_156
; %bb.155:
	v_div_scale_f64 v[156:157], s[18:19], v[240:241], v[240:241], v[242:243]
	v_rcp_f64_e32 v[158:159], v[156:157]
	v_div_scale_f64 v[164:165], vcc, v[242:243], v[240:241], v[242:243]
	v_fma_f64 v[166:167], -v[156:157], v[158:159], 1.0
	v_fmac_f64_e32 v[158:159], v[158:159], v[166:167]
	v_fma_f64 v[166:167], -v[156:157], v[158:159], 1.0
	v_fmac_f64_e32 v[158:159], v[158:159], v[166:167]
	v_mul_f64 v[166:167], v[164:165], v[158:159]
	v_fma_f64 v[156:157], -v[156:157], v[166:167], v[164:165]
	v_div_fmas_f64 v[156:157], v[156:157], v[158:159], v[166:167]
	v_div_fixup_f64 v[156:157], v[156:157], v[240:241], v[242:243]
	v_fmac_f64_e32 v[240:241], v[242:243], v[156:157]
	v_div_scale_f64 v[158:159], s[18:19], v[240:241], v[240:241], 1.0
	v_rcp_f64_e32 v[164:165], v[158:159]
	s_nop 0
	v_fma_f64 v[166:167], -v[158:159], v[164:165], 1.0
	v_fmac_f64_e32 v[164:165], v[164:165], v[166:167]
	v_fma_f64 v[166:167], -v[158:159], v[164:165], 1.0
	v_fmac_f64_e32 v[164:165], v[164:165], v[166:167]
	v_div_scale_f64 v[166:167], vcc, 1.0, v[240:241], 1.0
	v_mul_f64 v[216:217], v[166:167], v[164:165]
	v_fma_f64 v[158:159], -v[158:159], v[216:217], v[166:167]
	s_nop 1
	v_div_fmas_f64 v[158:159], v[158:159], v[164:165], v[216:217]
	v_div_fixup_f64 v[240:241], v[158:159], v[240:241], 1.0
	v_mul_f64 v[242:243], v[156:157], -v[240:241]
.LBB118_156:
	s_or_b64 exec, exec, s[16:17]
.LBB118_157:
	s_or_b64 exec, exec, s[0:1]
	v_cmp_ne_u32_e32 vcc, v253, v250
	s_and_saveexec_b64 s[0:1], vcc
	s_xor_b64 s[0:1], exec, s[0:1]
	s_cbranch_execz .LBB118_163
; %bb.158:
	v_cmp_eq_u32_e32 vcc, 7, v253
	s_and_saveexec_b64 s[16:17], vcc
	s_cbranch_execz .LBB118_162
; %bb.159:
	v_cmp_ne_u32_e32 vcc, 7, v250
	s_xor_b64 s[18:19], s[14:15], -1
	s_and_b64 s[22:23], s[18:19], vcc
	s_and_saveexec_b64 s[18:19], s[22:23]
	s_cbranch_execz .LBB118_161
; %bb.160:
	v_ashrrev_i32_e32 v251, 31, v250
	v_lshl_add_u64 v[156:157], v[250:251], 2, v[234:235]
	global_load_dword v158, v[156:157], off
	global_load_dword v159, v[234:235], off offset:28
	s_waitcnt vmcnt(1)
	global_store_dword v[234:235], v158, off offset:28
	s_waitcnt vmcnt(1)
	global_store_dword v[156:157], v159, off
.LBB118_161:
	s_or_b64 exec, exec, s[18:19]
	v_mov_b32_e32 v253, v250
	v_mov_b32_e32 v244, v250
.LBB118_162:
	s_or_b64 exec, exec, s[16:17]
.LBB118_163:
	s_andn2_saveexec_b64 s[0:1], s[0:1]
	s_cbranch_execz .LBB118_165
; %bb.164:
	scratch_load_dwordx4 v[0:3], off, off   ; 16-byte Folded Reload
	v_mov_b32_e32 v253, 7
	s_waitcnt vmcnt(0)
	ds_write2_b64 v252, v[0:1], v[2:3] offset0:16 offset1:17
	ds_write2_b64 v252, v[204:205], v[206:207] offset0:18 offset1:19
	;; [unrolled: 1-line block ×52, first 2 shown]
.LBB118_165:
	s_or_b64 exec, exec, s[0:1]
	v_cmp_lt_i32_e32 vcc, 7, v253
	s_waitcnt lgkmcnt(0)
	s_barrier
	s_and_saveexec_b64 s[0:1], vcc
	s_cbranch_execz .LBB118_167
; %bb.166:
	scratch_load_dwordx4 v[0:3], off, off   ; 16-byte Folded Reload
	ds_read2_b64 v[164:167], v252 offset0:16 offset1:17
	v_mul_f64 v[156:157], v[242:243], v[10:11]
	v_mul_f64 v[10:11], v[240:241], v[10:11]
	v_fmac_f64_e32 v[10:11], v[242:243], v[8:9]
	v_fma_f64 v[250:251], v[240:241], v[8:9], -v[156:157]
	s_waitcnt lgkmcnt(0)
	v_mul_f64 v[156:157], v[166:167], v[10:11]
	v_mul_f64 v[158:159], v[164:165], v[10:11]
	v_fma_f64 v[156:157], v[164:165], v[250:251], -v[156:157]
	v_fmac_f64_e32 v[158:159], v[166:167], v[250:251]
	ds_read2_b64 v[164:167], v252 offset0:18 offset1:19
	v_mov_b64_e32 v[8:9], v[250:251]
	s_waitcnt vmcnt(0)
	v_add_f64 v[0:1], v[0:1], -v[156:157]
	v_add_f64 v[2:3], v[2:3], -v[158:159]
	s_waitcnt lgkmcnt(0)
	v_mul_f64 v[156:157], v[166:167], v[10:11]
	v_mul_f64 v[158:159], v[164:165], v[10:11]
	v_fma_f64 v[156:157], v[164:165], v[250:251], -v[156:157]
	v_fmac_f64_e32 v[158:159], v[166:167], v[250:251]
	ds_read2_b64 v[164:167], v252 offset0:20 offset1:21
	v_add_f64 v[204:205], v[204:205], -v[156:157]
	v_add_f64 v[206:207], v[206:207], -v[158:159]
	scratch_store_dwordx4 off, v[0:3], off  ; 16-byte Folded Spill
	s_waitcnt lgkmcnt(0)
	v_mul_f64 v[156:157], v[166:167], v[10:11]
	v_mul_f64 v[158:159], v[164:165], v[10:11]
	v_fma_f64 v[156:157], v[164:165], v[250:251], -v[156:157]
	v_fmac_f64_e32 v[158:159], v[166:167], v[250:251]
	ds_read2_b64 v[164:167], v252 offset0:22 offset1:23
	v_add_f64 v[200:201], v[200:201], -v[156:157]
	v_add_f64 v[202:203], v[202:203], -v[158:159]
	s_waitcnt lgkmcnt(0)
	v_mul_f64 v[156:157], v[166:167], v[10:11]
	v_mul_f64 v[158:159], v[164:165], v[10:11]
	v_fma_f64 v[156:157], v[164:165], v[250:251], -v[156:157]
	v_fmac_f64_e32 v[158:159], v[166:167], v[250:251]
	ds_read2_b64 v[164:167], v252 offset0:24 offset1:25
	v_add_f64 v[196:197], v[196:197], -v[156:157]
	v_add_f64 v[198:199], v[198:199], -v[158:159]
	;; [unrolled: 8-line block ×49, first 2 shown]
	s_waitcnt lgkmcnt(0)
	v_mul_f64 v[156:157], v[166:167], v[10:11]
	v_mul_f64 v[158:159], v[164:165], v[10:11]
	v_fma_f64 v[156:157], v[164:165], v[250:251], -v[156:157]
	v_fmac_f64_e32 v[158:159], v[166:167], v[250:251]
	v_add_f64 v[236:237], v[236:237], -v[156:157]
	v_add_f64 v[238:239], v[238:239], -v[158:159]
.LBB118_167:
	s_or_b64 exec, exec, s[0:1]
	s_barrier
	scratch_load_dwordx4 v[0:3], off, off   ; 16-byte Folded Reload
	v_lshl_add_u32 v156, v253, 4, v252
	s_cmp_lt_i32 s20, 10
	v_mov_b32_e32 v250, 8
	s_waitcnt vmcnt(0)
	ds_write2_b64 v156, v[0:1], v[2:3] offset1:1
	s_waitcnt lgkmcnt(0)
	s_barrier
	ds_read2_b64 v[240:243], v252 offset0:16 offset1:17
	s_cbranch_scc1 .LBB118_170
; %bb.168:
	v_add_u32_e32 v246, 0x90, v252
	s_mov_b32 s0, 9
	v_mov_b32_e32 v250, 8
.LBB118_169:                            ; =>This Inner Loop Header: Depth=1
	ds_read2_b64 v[164:167], v246 offset1:1
	s_waitcnt lgkmcnt(1)
	v_cmp_gt_f64_e32 vcc, 0, v[240:241]
	v_xor_b32_e32 v156, 0x80000000, v241
	v_xor_b32_e32 v158, 0x80000000, v243
	v_cndmask_b32_e32 v157, v241, v156, vcc
	v_cmp_gt_f64_e32 vcc, 0, v[242:243]
	v_mov_b32_e32 v156, v240
	s_waitcnt lgkmcnt(0)
	v_xor_b32_e32 v216, 0x80000000, v167
	v_cndmask_b32_e32 v159, v243, v158, vcc
	v_mov_b32_e32 v158, v242
	v_add_f64 v[156:157], v[156:157], v[158:159]
	v_cmp_gt_f64_e32 vcc, 0, v[164:165]
	v_xor_b32_e32 v158, 0x80000000, v165
	v_add_u32_e32 v246, 16, v246
	v_cndmask_b32_e32 v159, v165, v158, vcc
	v_cmp_gt_f64_e32 vcc, 0, v[166:167]
	v_mov_b32_e32 v158, v164
	s_nop 0
	v_cndmask_b32_e32 v217, v167, v216, vcc
	v_mov_b32_e32 v216, v166
	v_add_f64 v[158:159], v[158:159], v[216:217]
	v_cmp_lt_f64_e32 vcc, v[156:157], v[158:159]
	v_mov_b32_e32 v156, s0
	s_add_i32 s0, s0, 1
	v_cndmask_b32_e32 v241, v241, v165, vcc
	v_cndmask_b32_e32 v240, v240, v164, vcc
	;; [unrolled: 1-line block ×5, first 2 shown]
	s_cmp_lg_u32 s20, s0
	s_cbranch_scc1 .LBB118_169
.LBB118_170:
	s_waitcnt lgkmcnt(0)
	v_cmp_eq_f64_e32 vcc, 0, v[240:241]
	v_cmp_eq_f64_e64 s[0:1], 0, v[242:243]
	s_and_b64 s[0:1], vcc, s[0:1]
	s_and_saveexec_b64 s[16:17], s[0:1]
	s_xor_b64 s[0:1], exec, s[16:17]
; %bb.171:
	v_cmp_ne_u32_e32 vcc, 0, v254
	s_nop 1
	v_cndmask_b32_e32 v254, 9, v254, vcc
; %bb.172:
	s_andn2_saveexec_b64 s[0:1], s[0:1]
	s_cbranch_execz .LBB118_178
; %bb.173:
	v_cmp_ngt_f64_e64 s[16:17], |v[240:241]|, |v[242:243]|
	s_and_saveexec_b64 s[18:19], s[16:17]
	s_xor_b64 s[16:17], exec, s[18:19]
	s_cbranch_execz .LBB118_175
; %bb.174:
	v_div_scale_f64 v[156:157], s[18:19], v[242:243], v[242:243], v[240:241]
	v_rcp_f64_e32 v[158:159], v[156:157]
	v_div_scale_f64 v[164:165], vcc, v[240:241], v[242:243], v[240:241]
	v_fma_f64 v[166:167], -v[156:157], v[158:159], 1.0
	v_fmac_f64_e32 v[158:159], v[158:159], v[166:167]
	v_fma_f64 v[166:167], -v[156:157], v[158:159], 1.0
	v_fmac_f64_e32 v[158:159], v[158:159], v[166:167]
	v_mul_f64 v[166:167], v[164:165], v[158:159]
	v_fma_f64 v[156:157], -v[156:157], v[166:167], v[164:165]
	v_div_fmas_f64 v[156:157], v[156:157], v[158:159], v[166:167]
	v_div_fixup_f64 v[156:157], v[156:157], v[242:243], v[240:241]
	v_fmac_f64_e32 v[242:243], v[240:241], v[156:157]
	v_div_scale_f64 v[158:159], s[18:19], v[242:243], v[242:243], 1.0
	v_rcp_f64_e32 v[164:165], v[158:159]
	s_nop 0
	v_fma_f64 v[166:167], -v[158:159], v[164:165], 1.0
	v_fmac_f64_e32 v[164:165], v[164:165], v[166:167]
	v_fma_f64 v[166:167], -v[158:159], v[164:165], 1.0
	v_fmac_f64_e32 v[164:165], v[164:165], v[166:167]
	v_div_scale_f64 v[166:167], vcc, 1.0, v[242:243], 1.0
	v_mul_f64 v[216:217], v[166:167], v[164:165]
	v_fma_f64 v[158:159], -v[158:159], v[216:217], v[166:167]
	s_nop 1
	v_div_fmas_f64 v[158:159], v[158:159], v[164:165], v[216:217]
	v_div_fixup_f64 v[242:243], v[158:159], v[242:243], 1.0
	v_mul_f64 v[240:241], v[156:157], v[242:243]
	v_xor_b32_e32 v243, 0x80000000, v243
.LBB118_175:
	s_andn2_saveexec_b64 s[16:17], s[16:17]
	s_cbranch_execz .LBB118_177
; %bb.176:
	v_div_scale_f64 v[156:157], s[18:19], v[240:241], v[240:241], v[242:243]
	v_rcp_f64_e32 v[158:159], v[156:157]
	v_div_scale_f64 v[164:165], vcc, v[242:243], v[240:241], v[242:243]
	v_fma_f64 v[166:167], -v[156:157], v[158:159], 1.0
	v_fmac_f64_e32 v[158:159], v[158:159], v[166:167]
	v_fma_f64 v[166:167], -v[156:157], v[158:159], 1.0
	v_fmac_f64_e32 v[158:159], v[158:159], v[166:167]
	v_mul_f64 v[166:167], v[164:165], v[158:159]
	v_fma_f64 v[156:157], -v[156:157], v[166:167], v[164:165]
	v_div_fmas_f64 v[156:157], v[156:157], v[158:159], v[166:167]
	v_div_fixup_f64 v[156:157], v[156:157], v[240:241], v[242:243]
	v_fmac_f64_e32 v[240:241], v[242:243], v[156:157]
	v_div_scale_f64 v[158:159], s[18:19], v[240:241], v[240:241], 1.0
	v_rcp_f64_e32 v[164:165], v[158:159]
	s_nop 0
	v_fma_f64 v[166:167], -v[158:159], v[164:165], 1.0
	v_fmac_f64_e32 v[164:165], v[164:165], v[166:167]
	v_fma_f64 v[166:167], -v[158:159], v[164:165], 1.0
	v_fmac_f64_e32 v[164:165], v[164:165], v[166:167]
	v_div_scale_f64 v[166:167], vcc, 1.0, v[240:241], 1.0
	v_mul_f64 v[216:217], v[166:167], v[164:165]
	v_fma_f64 v[158:159], -v[158:159], v[216:217], v[166:167]
	s_nop 1
	v_div_fmas_f64 v[158:159], v[158:159], v[164:165], v[216:217]
	v_div_fixup_f64 v[240:241], v[158:159], v[240:241], 1.0
	v_mul_f64 v[242:243], v[156:157], -v[240:241]
.LBB118_177:
	s_or_b64 exec, exec, s[16:17]
.LBB118_178:
	s_or_b64 exec, exec, s[0:1]
	v_cmp_ne_u32_e32 vcc, v253, v250
	s_and_saveexec_b64 s[0:1], vcc
	s_xor_b64 s[0:1], exec, s[0:1]
	s_cbranch_execz .LBB118_184
; %bb.179:
	v_cmp_eq_u32_e32 vcc, 8, v253
	s_and_saveexec_b64 s[16:17], vcc
	s_cbranch_execz .LBB118_183
; %bb.180:
	v_cmp_ne_u32_e32 vcc, 8, v250
	s_xor_b64 s[18:19], s[14:15], -1
	s_and_b64 s[22:23], s[18:19], vcc
	s_and_saveexec_b64 s[18:19], s[22:23]
	s_cbranch_execz .LBB118_182
; %bb.181:
	v_ashrrev_i32_e32 v251, 31, v250
	v_lshl_add_u64 v[156:157], v[250:251], 2, v[234:235]
	global_load_dword v158, v[156:157], off
	global_load_dword v159, v[234:235], off offset:32
	s_waitcnt vmcnt(1)
	global_store_dword v[234:235], v158, off offset:32
	s_waitcnt vmcnt(1)
	global_store_dword v[156:157], v159, off
.LBB118_182:
	s_or_b64 exec, exec, s[18:19]
	v_mov_b32_e32 v253, v250
	v_mov_b32_e32 v244, v250
.LBB118_183:
	s_or_b64 exec, exec, s[16:17]
.LBB118_184:
	s_andn2_saveexec_b64 s[0:1], s[0:1]
	s_cbranch_execz .LBB118_186
; %bb.185:
	v_mov_b32_e32 v253, 8
	ds_write2_b64 v252, v[204:205], v[206:207] offset0:18 offset1:19
	ds_write2_b64 v252, v[200:201], v[202:203] offset0:20 offset1:21
	;; [unrolled: 1-line block ×51, first 2 shown]
.LBB118_186:
	s_or_b64 exec, exec, s[0:1]
	v_cmp_lt_i32_e32 vcc, 8, v253
	s_waitcnt lgkmcnt(0)
	s_barrier
	s_and_saveexec_b64 s[0:1], vcc
	s_cbranch_execz .LBB118_188
; %bb.187:
	scratch_load_dwordx4 v[0:3], off, off   ; 16-byte Folded Reload
	ds_read2_b64 v[164:167], v252 offset0:18 offset1:19
	s_waitcnt vmcnt(0)
	v_mul_f64 v[156:157], v[242:243], v[2:3]
	v_mul_f64 v[2:3], v[240:241], v[2:3]
	v_fmac_f64_e32 v[2:3], v[242:243], v[0:1]
	v_fma_f64 v[250:251], v[240:241], v[0:1], -v[156:157]
	s_waitcnt lgkmcnt(0)
	v_mul_f64 v[156:157], v[166:167], v[2:3]
	v_mul_f64 v[158:159], v[164:165], v[2:3]
	v_fma_f64 v[156:157], v[164:165], v[250:251], -v[156:157]
	v_fmac_f64_e32 v[158:159], v[166:167], v[250:251]
	ds_read2_b64 v[164:167], v252 offset0:20 offset1:21
	v_add_f64 v[204:205], v[204:205], -v[156:157]
	v_add_f64 v[206:207], v[206:207], -v[158:159]
	v_mov_b64_e32 v[0:1], v[250:251]
	scratch_store_dwordx4 off, v[0:3], off  ; 16-byte Folded Spill
	s_waitcnt lgkmcnt(0)
	v_mul_f64 v[156:157], v[166:167], v[2:3]
	v_mul_f64 v[158:159], v[164:165], v[2:3]
	v_fma_f64 v[156:157], v[164:165], v[250:251], -v[156:157]
	v_fmac_f64_e32 v[158:159], v[166:167], v[250:251]
	ds_read2_b64 v[164:167], v252 offset0:22 offset1:23
	v_add_f64 v[200:201], v[200:201], -v[156:157]
	v_add_f64 v[202:203], v[202:203], -v[158:159]
	s_waitcnt lgkmcnt(0)
	v_mul_f64 v[156:157], v[166:167], v[2:3]
	v_mul_f64 v[158:159], v[164:165], v[2:3]
	v_fma_f64 v[156:157], v[164:165], v[250:251], -v[156:157]
	v_fmac_f64_e32 v[158:159], v[166:167], v[250:251]
	ds_read2_b64 v[164:167], v252 offset0:24 offset1:25
	v_add_f64 v[196:197], v[196:197], -v[156:157]
	v_add_f64 v[198:199], v[198:199], -v[158:159]
	;; [unrolled: 8-line block ×49, first 2 shown]
	s_waitcnt lgkmcnt(0)
	v_mul_f64 v[156:157], v[166:167], v[2:3]
	v_mul_f64 v[158:159], v[164:165], v[2:3]
	v_fma_f64 v[156:157], v[164:165], v[250:251], -v[156:157]
	v_fmac_f64_e32 v[158:159], v[166:167], v[250:251]
	v_add_f64 v[236:237], v[236:237], -v[156:157]
	v_add_f64 v[238:239], v[238:239], -v[158:159]
.LBB118_188:
	s_or_b64 exec, exec, s[0:1]
	v_lshl_add_u32 v156, v253, 4, v252
	s_barrier
	ds_write2_b64 v156, v[204:205], v[206:207] offset1:1
	s_waitcnt lgkmcnt(0)
	s_barrier
	ds_read2_b64 v[240:243], v252 offset0:18 offset1:19
	s_cmp_lt_i32 s20, 11
	v_mov_b32_e32 v250, 9
	s_cbranch_scc1 .LBB118_191
; %bb.189:
	v_add_u32_e32 v246, 0xa0, v252
	s_mov_b32 s0, 10
	v_mov_b32_e32 v250, 9
.LBB118_190:                            ; =>This Inner Loop Header: Depth=1
	ds_read2_b64 v[164:167], v246 offset1:1
	s_waitcnt lgkmcnt(1)
	v_cmp_gt_f64_e32 vcc, 0, v[240:241]
	v_xor_b32_e32 v156, 0x80000000, v241
	v_xor_b32_e32 v158, 0x80000000, v243
	v_cndmask_b32_e32 v157, v241, v156, vcc
	v_cmp_gt_f64_e32 vcc, 0, v[242:243]
	v_mov_b32_e32 v156, v240
	s_waitcnt lgkmcnt(0)
	v_xor_b32_e32 v216, 0x80000000, v167
	v_cndmask_b32_e32 v159, v243, v158, vcc
	v_mov_b32_e32 v158, v242
	v_add_f64 v[156:157], v[156:157], v[158:159]
	v_cmp_gt_f64_e32 vcc, 0, v[164:165]
	v_xor_b32_e32 v158, 0x80000000, v165
	v_add_u32_e32 v246, 16, v246
	v_cndmask_b32_e32 v159, v165, v158, vcc
	v_cmp_gt_f64_e32 vcc, 0, v[166:167]
	v_mov_b32_e32 v158, v164
	s_nop 0
	v_cndmask_b32_e32 v217, v167, v216, vcc
	v_mov_b32_e32 v216, v166
	v_add_f64 v[158:159], v[158:159], v[216:217]
	v_cmp_lt_f64_e32 vcc, v[156:157], v[158:159]
	v_mov_b32_e32 v156, s0
	s_add_i32 s0, s0, 1
	v_cndmask_b32_e32 v241, v241, v165, vcc
	v_cndmask_b32_e32 v240, v240, v164, vcc
	;; [unrolled: 1-line block ×5, first 2 shown]
	s_cmp_lg_u32 s20, s0
	s_cbranch_scc1 .LBB118_190
.LBB118_191:
	s_waitcnt lgkmcnt(0)
	v_cmp_eq_f64_e32 vcc, 0, v[240:241]
	v_cmp_eq_f64_e64 s[0:1], 0, v[242:243]
	s_and_b64 s[0:1], vcc, s[0:1]
	s_and_saveexec_b64 s[16:17], s[0:1]
	s_xor_b64 s[0:1], exec, s[16:17]
; %bb.192:
	v_cmp_ne_u32_e32 vcc, 0, v254
	s_nop 1
	v_cndmask_b32_e32 v254, 10, v254, vcc
; %bb.193:
	s_andn2_saveexec_b64 s[0:1], s[0:1]
	s_cbranch_execz .LBB118_199
; %bb.194:
	v_cmp_ngt_f64_e64 s[16:17], |v[240:241]|, |v[242:243]|
	s_and_saveexec_b64 s[18:19], s[16:17]
	s_xor_b64 s[16:17], exec, s[18:19]
	s_cbranch_execz .LBB118_196
; %bb.195:
	v_div_scale_f64 v[156:157], s[18:19], v[242:243], v[242:243], v[240:241]
	v_rcp_f64_e32 v[158:159], v[156:157]
	v_div_scale_f64 v[164:165], vcc, v[240:241], v[242:243], v[240:241]
	v_fma_f64 v[166:167], -v[156:157], v[158:159], 1.0
	v_fmac_f64_e32 v[158:159], v[158:159], v[166:167]
	v_fma_f64 v[166:167], -v[156:157], v[158:159], 1.0
	v_fmac_f64_e32 v[158:159], v[158:159], v[166:167]
	v_mul_f64 v[166:167], v[164:165], v[158:159]
	v_fma_f64 v[156:157], -v[156:157], v[166:167], v[164:165]
	v_div_fmas_f64 v[156:157], v[156:157], v[158:159], v[166:167]
	v_div_fixup_f64 v[156:157], v[156:157], v[242:243], v[240:241]
	v_fmac_f64_e32 v[242:243], v[240:241], v[156:157]
	v_div_scale_f64 v[158:159], s[18:19], v[242:243], v[242:243], 1.0
	v_rcp_f64_e32 v[164:165], v[158:159]
	s_nop 0
	v_fma_f64 v[166:167], -v[158:159], v[164:165], 1.0
	v_fmac_f64_e32 v[164:165], v[164:165], v[166:167]
	v_fma_f64 v[166:167], -v[158:159], v[164:165], 1.0
	v_fmac_f64_e32 v[164:165], v[164:165], v[166:167]
	v_div_scale_f64 v[166:167], vcc, 1.0, v[242:243], 1.0
	v_mul_f64 v[216:217], v[166:167], v[164:165]
	v_fma_f64 v[158:159], -v[158:159], v[216:217], v[166:167]
	s_nop 1
	v_div_fmas_f64 v[158:159], v[158:159], v[164:165], v[216:217]
	v_div_fixup_f64 v[242:243], v[158:159], v[242:243], 1.0
	v_mul_f64 v[240:241], v[156:157], v[242:243]
	v_xor_b32_e32 v243, 0x80000000, v243
.LBB118_196:
	s_andn2_saveexec_b64 s[16:17], s[16:17]
	s_cbranch_execz .LBB118_198
; %bb.197:
	v_div_scale_f64 v[156:157], s[18:19], v[240:241], v[240:241], v[242:243]
	v_rcp_f64_e32 v[158:159], v[156:157]
	v_div_scale_f64 v[164:165], vcc, v[242:243], v[240:241], v[242:243]
	v_fma_f64 v[166:167], -v[156:157], v[158:159], 1.0
	v_fmac_f64_e32 v[158:159], v[158:159], v[166:167]
	v_fma_f64 v[166:167], -v[156:157], v[158:159], 1.0
	v_fmac_f64_e32 v[158:159], v[158:159], v[166:167]
	v_mul_f64 v[166:167], v[164:165], v[158:159]
	v_fma_f64 v[156:157], -v[156:157], v[166:167], v[164:165]
	v_div_fmas_f64 v[156:157], v[156:157], v[158:159], v[166:167]
	v_div_fixup_f64 v[156:157], v[156:157], v[240:241], v[242:243]
	v_fmac_f64_e32 v[240:241], v[242:243], v[156:157]
	v_div_scale_f64 v[158:159], s[18:19], v[240:241], v[240:241], 1.0
	v_rcp_f64_e32 v[164:165], v[158:159]
	s_nop 0
	v_fma_f64 v[166:167], -v[158:159], v[164:165], 1.0
	v_fmac_f64_e32 v[164:165], v[164:165], v[166:167]
	v_fma_f64 v[166:167], -v[158:159], v[164:165], 1.0
	v_fmac_f64_e32 v[164:165], v[164:165], v[166:167]
	v_div_scale_f64 v[166:167], vcc, 1.0, v[240:241], 1.0
	v_mul_f64 v[216:217], v[166:167], v[164:165]
	v_fma_f64 v[158:159], -v[158:159], v[216:217], v[166:167]
	s_nop 1
	v_div_fmas_f64 v[158:159], v[158:159], v[164:165], v[216:217]
	v_div_fixup_f64 v[240:241], v[158:159], v[240:241], 1.0
	v_mul_f64 v[242:243], v[156:157], -v[240:241]
.LBB118_198:
	s_or_b64 exec, exec, s[16:17]
.LBB118_199:
	s_or_b64 exec, exec, s[0:1]
	v_cmp_ne_u32_e32 vcc, v253, v250
	s_and_saveexec_b64 s[0:1], vcc
	s_xor_b64 s[0:1], exec, s[0:1]
	s_cbranch_execz .LBB118_205
; %bb.200:
	v_cmp_eq_u32_e32 vcc, 9, v253
	s_and_saveexec_b64 s[16:17], vcc
	s_cbranch_execz .LBB118_204
; %bb.201:
	v_cmp_ne_u32_e32 vcc, 9, v250
	s_xor_b64 s[18:19], s[14:15], -1
	s_and_b64 s[22:23], s[18:19], vcc
	s_and_saveexec_b64 s[18:19], s[22:23]
	s_cbranch_execz .LBB118_203
; %bb.202:
	v_ashrrev_i32_e32 v251, 31, v250
	v_lshl_add_u64 v[156:157], v[250:251], 2, v[234:235]
	global_load_dword v158, v[156:157], off
	global_load_dword v159, v[234:235], off offset:36
	s_waitcnt vmcnt(1)
	global_store_dword v[234:235], v158, off offset:36
	s_waitcnt vmcnt(1)
	global_store_dword v[156:157], v159, off
.LBB118_203:
	s_or_b64 exec, exec, s[18:19]
	v_mov_b32_e32 v253, v250
	v_mov_b32_e32 v244, v250
.LBB118_204:
	s_or_b64 exec, exec, s[16:17]
.LBB118_205:
	s_andn2_saveexec_b64 s[0:1], s[0:1]
	s_cbranch_execz .LBB118_207
; %bb.206:
	v_mov_b32_e32 v253, 9
	ds_write2_b64 v252, v[200:201], v[202:203] offset0:20 offset1:21
	ds_write2_b64 v252, v[196:197], v[198:199] offset0:22 offset1:23
	;; [unrolled: 1-line block ×50, first 2 shown]
.LBB118_207:
	s_or_b64 exec, exec, s[0:1]
	v_cmp_lt_i32_e32 vcc, 9, v253
	s_waitcnt lgkmcnt(0)
	s_barrier
	s_and_saveexec_b64 s[0:1], vcc
	s_cbranch_execz .LBB118_209
; %bb.208:
	ds_read2_b64 v[164:167], v252 offset0:20 offset1:21
	v_mul_f64 v[156:157], v[242:243], v[206:207]
	v_mul_f64 v[206:207], v[240:241], v[206:207]
	v_fmac_f64_e32 v[206:207], v[242:243], v[204:205]
	v_fma_f64 v[250:251], v[240:241], v[204:205], -v[156:157]
	s_waitcnt lgkmcnt(0)
	v_mul_f64 v[156:157], v[166:167], v[206:207]
	v_mul_f64 v[158:159], v[164:165], v[206:207]
	v_fma_f64 v[156:157], v[164:165], v[250:251], -v[156:157]
	v_fmac_f64_e32 v[158:159], v[166:167], v[250:251]
	ds_read2_b64 v[164:167], v252 offset0:22 offset1:23
	v_add_f64 v[200:201], v[200:201], -v[156:157]
	v_add_f64 v[202:203], v[202:203], -v[158:159]
	v_mov_b64_e32 v[204:205], v[250:251]
	s_waitcnt lgkmcnt(0)
	v_mul_f64 v[156:157], v[166:167], v[206:207]
	v_mul_f64 v[158:159], v[164:165], v[206:207]
	v_fma_f64 v[156:157], v[164:165], v[250:251], -v[156:157]
	v_fmac_f64_e32 v[158:159], v[166:167], v[250:251]
	ds_read2_b64 v[164:167], v252 offset0:24 offset1:25
	v_add_f64 v[196:197], v[196:197], -v[156:157]
	v_add_f64 v[198:199], v[198:199], -v[158:159]
	s_waitcnt lgkmcnt(0)
	v_mul_f64 v[156:157], v[166:167], v[206:207]
	v_mul_f64 v[158:159], v[164:165], v[206:207]
	v_fma_f64 v[156:157], v[164:165], v[250:251], -v[156:157]
	v_fmac_f64_e32 v[158:159], v[166:167], v[250:251]
	ds_read2_b64 v[164:167], v252 offset0:26 offset1:27
	v_add_f64 v[192:193], v[192:193], -v[156:157]
	v_add_f64 v[194:195], v[194:195], -v[158:159]
	;; [unrolled: 8-line block ×48, first 2 shown]
	s_waitcnt lgkmcnt(0)
	v_mul_f64 v[156:157], v[166:167], v[206:207]
	v_mul_f64 v[158:159], v[164:165], v[206:207]
	v_fma_f64 v[156:157], v[164:165], v[250:251], -v[156:157]
	v_fmac_f64_e32 v[158:159], v[166:167], v[250:251]
	v_add_f64 v[236:237], v[236:237], -v[156:157]
	v_add_f64 v[238:239], v[238:239], -v[158:159]
.LBB118_209:
	s_or_b64 exec, exec, s[0:1]
	v_lshl_add_u32 v156, v253, 4, v252
	s_barrier
	ds_write2_b64 v156, v[200:201], v[202:203] offset1:1
	s_waitcnt lgkmcnt(0)
	s_barrier
	ds_read2_b64 v[240:243], v252 offset0:20 offset1:21
	s_cmp_lt_i32 s20, 12
	v_mov_b32_e32 v250, 10
	s_cbranch_scc1 .LBB118_212
; %bb.210:
	v_add_u32_e32 v246, 0xb0, v252
	s_mov_b32 s0, 11
	v_mov_b32_e32 v250, 10
.LBB118_211:                            ; =>This Inner Loop Header: Depth=1
	ds_read2_b64 v[164:167], v246 offset1:1
	s_waitcnt lgkmcnt(1)
	v_cmp_gt_f64_e32 vcc, 0, v[240:241]
	v_xor_b32_e32 v156, 0x80000000, v241
	v_xor_b32_e32 v158, 0x80000000, v243
	v_cndmask_b32_e32 v157, v241, v156, vcc
	v_cmp_gt_f64_e32 vcc, 0, v[242:243]
	v_mov_b32_e32 v156, v240
	s_waitcnt lgkmcnt(0)
	v_xor_b32_e32 v216, 0x80000000, v167
	v_cndmask_b32_e32 v159, v243, v158, vcc
	v_mov_b32_e32 v158, v242
	v_add_f64 v[156:157], v[156:157], v[158:159]
	v_cmp_gt_f64_e32 vcc, 0, v[164:165]
	v_xor_b32_e32 v158, 0x80000000, v165
	v_add_u32_e32 v246, 16, v246
	v_cndmask_b32_e32 v159, v165, v158, vcc
	v_cmp_gt_f64_e32 vcc, 0, v[166:167]
	v_mov_b32_e32 v158, v164
	s_nop 0
	v_cndmask_b32_e32 v217, v167, v216, vcc
	v_mov_b32_e32 v216, v166
	v_add_f64 v[158:159], v[158:159], v[216:217]
	v_cmp_lt_f64_e32 vcc, v[156:157], v[158:159]
	v_mov_b32_e32 v156, s0
	s_add_i32 s0, s0, 1
	v_cndmask_b32_e32 v241, v241, v165, vcc
	v_cndmask_b32_e32 v240, v240, v164, vcc
	;; [unrolled: 1-line block ×5, first 2 shown]
	s_cmp_lg_u32 s20, s0
	s_cbranch_scc1 .LBB118_211
.LBB118_212:
	s_waitcnt lgkmcnt(0)
	v_cmp_eq_f64_e32 vcc, 0, v[240:241]
	v_cmp_eq_f64_e64 s[0:1], 0, v[242:243]
	s_and_b64 s[0:1], vcc, s[0:1]
	s_and_saveexec_b64 s[16:17], s[0:1]
	s_xor_b64 s[0:1], exec, s[16:17]
; %bb.213:
	v_cmp_ne_u32_e32 vcc, 0, v254
	s_nop 1
	v_cndmask_b32_e32 v254, 11, v254, vcc
; %bb.214:
	s_andn2_saveexec_b64 s[0:1], s[0:1]
	s_cbranch_execz .LBB118_220
; %bb.215:
	v_cmp_ngt_f64_e64 s[16:17], |v[240:241]|, |v[242:243]|
	s_and_saveexec_b64 s[18:19], s[16:17]
	s_xor_b64 s[16:17], exec, s[18:19]
	s_cbranch_execz .LBB118_217
; %bb.216:
	v_div_scale_f64 v[156:157], s[18:19], v[242:243], v[242:243], v[240:241]
	v_rcp_f64_e32 v[158:159], v[156:157]
	v_div_scale_f64 v[164:165], vcc, v[240:241], v[242:243], v[240:241]
	v_fma_f64 v[166:167], -v[156:157], v[158:159], 1.0
	v_fmac_f64_e32 v[158:159], v[158:159], v[166:167]
	v_fma_f64 v[166:167], -v[156:157], v[158:159], 1.0
	v_fmac_f64_e32 v[158:159], v[158:159], v[166:167]
	v_mul_f64 v[166:167], v[164:165], v[158:159]
	v_fma_f64 v[156:157], -v[156:157], v[166:167], v[164:165]
	v_div_fmas_f64 v[156:157], v[156:157], v[158:159], v[166:167]
	v_div_fixup_f64 v[156:157], v[156:157], v[242:243], v[240:241]
	v_fmac_f64_e32 v[242:243], v[240:241], v[156:157]
	v_div_scale_f64 v[158:159], s[18:19], v[242:243], v[242:243], 1.0
	v_rcp_f64_e32 v[164:165], v[158:159]
	s_nop 0
	v_fma_f64 v[166:167], -v[158:159], v[164:165], 1.0
	v_fmac_f64_e32 v[164:165], v[164:165], v[166:167]
	v_fma_f64 v[166:167], -v[158:159], v[164:165], 1.0
	v_fmac_f64_e32 v[164:165], v[164:165], v[166:167]
	v_div_scale_f64 v[166:167], vcc, 1.0, v[242:243], 1.0
	v_mul_f64 v[216:217], v[166:167], v[164:165]
	v_fma_f64 v[158:159], -v[158:159], v[216:217], v[166:167]
	s_nop 1
	v_div_fmas_f64 v[158:159], v[158:159], v[164:165], v[216:217]
	v_div_fixup_f64 v[242:243], v[158:159], v[242:243], 1.0
	v_mul_f64 v[240:241], v[156:157], v[242:243]
	v_xor_b32_e32 v243, 0x80000000, v243
.LBB118_217:
	s_andn2_saveexec_b64 s[16:17], s[16:17]
	s_cbranch_execz .LBB118_219
; %bb.218:
	v_div_scale_f64 v[156:157], s[18:19], v[240:241], v[240:241], v[242:243]
	v_rcp_f64_e32 v[158:159], v[156:157]
	v_div_scale_f64 v[164:165], vcc, v[242:243], v[240:241], v[242:243]
	v_fma_f64 v[166:167], -v[156:157], v[158:159], 1.0
	v_fmac_f64_e32 v[158:159], v[158:159], v[166:167]
	v_fma_f64 v[166:167], -v[156:157], v[158:159], 1.0
	v_fmac_f64_e32 v[158:159], v[158:159], v[166:167]
	v_mul_f64 v[166:167], v[164:165], v[158:159]
	v_fma_f64 v[156:157], -v[156:157], v[166:167], v[164:165]
	v_div_fmas_f64 v[156:157], v[156:157], v[158:159], v[166:167]
	v_div_fixup_f64 v[156:157], v[156:157], v[240:241], v[242:243]
	v_fmac_f64_e32 v[240:241], v[242:243], v[156:157]
	v_div_scale_f64 v[158:159], s[18:19], v[240:241], v[240:241], 1.0
	v_rcp_f64_e32 v[164:165], v[158:159]
	s_nop 0
	v_fma_f64 v[166:167], -v[158:159], v[164:165], 1.0
	v_fmac_f64_e32 v[164:165], v[164:165], v[166:167]
	v_fma_f64 v[166:167], -v[158:159], v[164:165], 1.0
	v_fmac_f64_e32 v[164:165], v[164:165], v[166:167]
	v_div_scale_f64 v[166:167], vcc, 1.0, v[240:241], 1.0
	v_mul_f64 v[216:217], v[166:167], v[164:165]
	v_fma_f64 v[158:159], -v[158:159], v[216:217], v[166:167]
	s_nop 1
	v_div_fmas_f64 v[158:159], v[158:159], v[164:165], v[216:217]
	v_div_fixup_f64 v[240:241], v[158:159], v[240:241], 1.0
	v_mul_f64 v[242:243], v[156:157], -v[240:241]
.LBB118_219:
	s_or_b64 exec, exec, s[16:17]
.LBB118_220:
	s_or_b64 exec, exec, s[0:1]
	v_cmp_ne_u32_e32 vcc, v253, v250
	s_and_saveexec_b64 s[0:1], vcc
	s_xor_b64 s[0:1], exec, s[0:1]
	s_cbranch_execz .LBB118_226
; %bb.221:
	v_cmp_eq_u32_e32 vcc, 10, v253
	s_and_saveexec_b64 s[16:17], vcc
	s_cbranch_execz .LBB118_225
; %bb.222:
	v_cmp_ne_u32_e32 vcc, 10, v250
	s_xor_b64 s[18:19], s[14:15], -1
	s_and_b64 s[22:23], s[18:19], vcc
	s_and_saveexec_b64 s[18:19], s[22:23]
	s_cbranch_execz .LBB118_224
; %bb.223:
	v_ashrrev_i32_e32 v251, 31, v250
	v_lshl_add_u64 v[156:157], v[250:251], 2, v[234:235]
	global_load_dword v158, v[156:157], off
	global_load_dword v159, v[234:235], off offset:40
	s_waitcnt vmcnt(1)
	global_store_dword v[234:235], v158, off offset:40
	s_waitcnt vmcnt(1)
	global_store_dword v[156:157], v159, off
.LBB118_224:
	s_or_b64 exec, exec, s[18:19]
	v_mov_b32_e32 v253, v250
	v_mov_b32_e32 v244, v250
.LBB118_225:
	s_or_b64 exec, exec, s[16:17]
.LBB118_226:
	s_andn2_saveexec_b64 s[0:1], s[0:1]
	s_cbranch_execz .LBB118_228
; %bb.227:
	v_mov_b32_e32 v253, 10
	ds_write2_b64 v252, v[196:197], v[198:199] offset0:22 offset1:23
	ds_write2_b64 v252, v[192:193], v[194:195] offset0:24 offset1:25
	;; [unrolled: 1-line block ×49, first 2 shown]
.LBB118_228:
	s_or_b64 exec, exec, s[0:1]
	v_cmp_lt_i32_e32 vcc, 10, v253
	s_waitcnt lgkmcnt(0)
	s_barrier
	s_and_saveexec_b64 s[0:1], vcc
	s_cbranch_execz .LBB118_230
; %bb.229:
	ds_read2_b64 v[164:167], v252 offset0:22 offset1:23
	v_mul_f64 v[156:157], v[242:243], v[202:203]
	v_mul_f64 v[202:203], v[240:241], v[202:203]
	v_fmac_f64_e32 v[202:203], v[242:243], v[200:201]
	v_fma_f64 v[250:251], v[240:241], v[200:201], -v[156:157]
	s_waitcnt lgkmcnt(0)
	v_mul_f64 v[156:157], v[166:167], v[202:203]
	v_mul_f64 v[158:159], v[164:165], v[202:203]
	v_fma_f64 v[156:157], v[164:165], v[250:251], -v[156:157]
	v_fmac_f64_e32 v[158:159], v[166:167], v[250:251]
	ds_read2_b64 v[164:167], v252 offset0:24 offset1:25
	v_add_f64 v[196:197], v[196:197], -v[156:157]
	v_add_f64 v[198:199], v[198:199], -v[158:159]
	v_mov_b64_e32 v[200:201], v[250:251]
	s_waitcnt lgkmcnt(0)
	v_mul_f64 v[156:157], v[166:167], v[202:203]
	v_mul_f64 v[158:159], v[164:165], v[202:203]
	v_fma_f64 v[156:157], v[164:165], v[250:251], -v[156:157]
	v_fmac_f64_e32 v[158:159], v[166:167], v[250:251]
	ds_read2_b64 v[164:167], v252 offset0:26 offset1:27
	v_add_f64 v[192:193], v[192:193], -v[156:157]
	v_add_f64 v[194:195], v[194:195], -v[158:159]
	s_waitcnt lgkmcnt(0)
	v_mul_f64 v[156:157], v[166:167], v[202:203]
	v_mul_f64 v[158:159], v[164:165], v[202:203]
	v_fma_f64 v[156:157], v[164:165], v[250:251], -v[156:157]
	v_fmac_f64_e32 v[158:159], v[166:167], v[250:251]
	ds_read2_b64 v[164:167], v252 offset0:28 offset1:29
	v_add_f64 v[188:189], v[188:189], -v[156:157]
	v_add_f64 v[190:191], v[190:191], -v[158:159]
	;; [unrolled: 8-line block ×47, first 2 shown]
	s_waitcnt lgkmcnt(0)
	v_mul_f64 v[156:157], v[166:167], v[202:203]
	v_mul_f64 v[158:159], v[164:165], v[202:203]
	v_fma_f64 v[156:157], v[164:165], v[250:251], -v[156:157]
	v_fmac_f64_e32 v[158:159], v[166:167], v[250:251]
	v_add_f64 v[236:237], v[236:237], -v[156:157]
	v_add_f64 v[238:239], v[238:239], -v[158:159]
.LBB118_230:
	s_or_b64 exec, exec, s[0:1]
	v_lshl_add_u32 v156, v253, 4, v252
	s_barrier
	ds_write2_b64 v156, v[196:197], v[198:199] offset1:1
	s_waitcnt lgkmcnt(0)
	s_barrier
	ds_read2_b64 v[240:243], v252 offset0:22 offset1:23
	s_cmp_lt_i32 s20, 13
	v_mov_b32_e32 v250, 11
	s_cbranch_scc1 .LBB118_233
; %bb.231:
	v_add_u32_e32 v246, 0xc0, v252
	s_mov_b32 s0, 12
	v_mov_b32_e32 v250, 11
.LBB118_232:                            ; =>This Inner Loop Header: Depth=1
	ds_read2_b64 v[164:167], v246 offset1:1
	s_waitcnt lgkmcnt(1)
	v_cmp_gt_f64_e32 vcc, 0, v[240:241]
	v_xor_b32_e32 v156, 0x80000000, v241
	v_xor_b32_e32 v158, 0x80000000, v243
	v_cndmask_b32_e32 v157, v241, v156, vcc
	v_cmp_gt_f64_e32 vcc, 0, v[242:243]
	v_mov_b32_e32 v156, v240
	s_waitcnt lgkmcnt(0)
	v_xor_b32_e32 v216, 0x80000000, v167
	v_cndmask_b32_e32 v159, v243, v158, vcc
	v_mov_b32_e32 v158, v242
	v_add_f64 v[156:157], v[156:157], v[158:159]
	v_cmp_gt_f64_e32 vcc, 0, v[164:165]
	v_xor_b32_e32 v158, 0x80000000, v165
	v_add_u32_e32 v246, 16, v246
	v_cndmask_b32_e32 v159, v165, v158, vcc
	v_cmp_gt_f64_e32 vcc, 0, v[166:167]
	v_mov_b32_e32 v158, v164
	s_nop 0
	v_cndmask_b32_e32 v217, v167, v216, vcc
	v_mov_b32_e32 v216, v166
	v_add_f64 v[158:159], v[158:159], v[216:217]
	v_cmp_lt_f64_e32 vcc, v[156:157], v[158:159]
	v_mov_b32_e32 v156, s0
	s_add_i32 s0, s0, 1
	v_cndmask_b32_e32 v241, v241, v165, vcc
	v_cndmask_b32_e32 v240, v240, v164, vcc
	;; [unrolled: 1-line block ×5, first 2 shown]
	s_cmp_lg_u32 s20, s0
	s_cbranch_scc1 .LBB118_232
.LBB118_233:
	s_waitcnt lgkmcnt(0)
	v_cmp_eq_f64_e32 vcc, 0, v[240:241]
	v_cmp_eq_f64_e64 s[0:1], 0, v[242:243]
	s_and_b64 s[0:1], vcc, s[0:1]
	s_and_saveexec_b64 s[16:17], s[0:1]
	s_xor_b64 s[0:1], exec, s[16:17]
; %bb.234:
	v_cmp_ne_u32_e32 vcc, 0, v254
	s_nop 1
	v_cndmask_b32_e32 v254, 12, v254, vcc
; %bb.235:
	s_andn2_saveexec_b64 s[0:1], s[0:1]
	s_cbranch_execz .LBB118_241
; %bb.236:
	v_cmp_ngt_f64_e64 s[16:17], |v[240:241]|, |v[242:243]|
	s_and_saveexec_b64 s[18:19], s[16:17]
	s_xor_b64 s[16:17], exec, s[18:19]
	s_cbranch_execz .LBB118_238
; %bb.237:
	v_div_scale_f64 v[156:157], s[18:19], v[242:243], v[242:243], v[240:241]
	v_rcp_f64_e32 v[158:159], v[156:157]
	v_div_scale_f64 v[164:165], vcc, v[240:241], v[242:243], v[240:241]
	v_fma_f64 v[166:167], -v[156:157], v[158:159], 1.0
	v_fmac_f64_e32 v[158:159], v[158:159], v[166:167]
	v_fma_f64 v[166:167], -v[156:157], v[158:159], 1.0
	v_fmac_f64_e32 v[158:159], v[158:159], v[166:167]
	v_mul_f64 v[166:167], v[164:165], v[158:159]
	v_fma_f64 v[156:157], -v[156:157], v[166:167], v[164:165]
	v_div_fmas_f64 v[156:157], v[156:157], v[158:159], v[166:167]
	v_div_fixup_f64 v[156:157], v[156:157], v[242:243], v[240:241]
	v_fmac_f64_e32 v[242:243], v[240:241], v[156:157]
	v_div_scale_f64 v[158:159], s[18:19], v[242:243], v[242:243], 1.0
	v_rcp_f64_e32 v[164:165], v[158:159]
	s_nop 0
	v_fma_f64 v[166:167], -v[158:159], v[164:165], 1.0
	v_fmac_f64_e32 v[164:165], v[164:165], v[166:167]
	v_fma_f64 v[166:167], -v[158:159], v[164:165], 1.0
	v_fmac_f64_e32 v[164:165], v[164:165], v[166:167]
	v_div_scale_f64 v[166:167], vcc, 1.0, v[242:243], 1.0
	v_mul_f64 v[216:217], v[166:167], v[164:165]
	v_fma_f64 v[158:159], -v[158:159], v[216:217], v[166:167]
	s_nop 1
	v_div_fmas_f64 v[158:159], v[158:159], v[164:165], v[216:217]
	v_div_fixup_f64 v[242:243], v[158:159], v[242:243], 1.0
	v_mul_f64 v[240:241], v[156:157], v[242:243]
	v_xor_b32_e32 v243, 0x80000000, v243
.LBB118_238:
	s_andn2_saveexec_b64 s[16:17], s[16:17]
	s_cbranch_execz .LBB118_240
; %bb.239:
	v_div_scale_f64 v[156:157], s[18:19], v[240:241], v[240:241], v[242:243]
	v_rcp_f64_e32 v[158:159], v[156:157]
	v_div_scale_f64 v[164:165], vcc, v[242:243], v[240:241], v[242:243]
	v_fma_f64 v[166:167], -v[156:157], v[158:159], 1.0
	v_fmac_f64_e32 v[158:159], v[158:159], v[166:167]
	v_fma_f64 v[166:167], -v[156:157], v[158:159], 1.0
	v_fmac_f64_e32 v[158:159], v[158:159], v[166:167]
	v_mul_f64 v[166:167], v[164:165], v[158:159]
	v_fma_f64 v[156:157], -v[156:157], v[166:167], v[164:165]
	v_div_fmas_f64 v[156:157], v[156:157], v[158:159], v[166:167]
	v_div_fixup_f64 v[156:157], v[156:157], v[240:241], v[242:243]
	v_fmac_f64_e32 v[240:241], v[242:243], v[156:157]
	v_div_scale_f64 v[158:159], s[18:19], v[240:241], v[240:241], 1.0
	v_rcp_f64_e32 v[164:165], v[158:159]
	s_nop 0
	v_fma_f64 v[166:167], -v[158:159], v[164:165], 1.0
	v_fmac_f64_e32 v[164:165], v[164:165], v[166:167]
	v_fma_f64 v[166:167], -v[158:159], v[164:165], 1.0
	v_fmac_f64_e32 v[164:165], v[164:165], v[166:167]
	v_div_scale_f64 v[166:167], vcc, 1.0, v[240:241], 1.0
	v_mul_f64 v[216:217], v[166:167], v[164:165]
	v_fma_f64 v[158:159], -v[158:159], v[216:217], v[166:167]
	s_nop 1
	v_div_fmas_f64 v[158:159], v[158:159], v[164:165], v[216:217]
	v_div_fixup_f64 v[240:241], v[158:159], v[240:241], 1.0
	v_mul_f64 v[242:243], v[156:157], -v[240:241]
.LBB118_240:
	s_or_b64 exec, exec, s[16:17]
.LBB118_241:
	s_or_b64 exec, exec, s[0:1]
	v_cmp_ne_u32_e32 vcc, v253, v250
	s_and_saveexec_b64 s[0:1], vcc
	s_xor_b64 s[0:1], exec, s[0:1]
	s_cbranch_execz .LBB118_247
; %bb.242:
	v_cmp_eq_u32_e32 vcc, 11, v253
	s_and_saveexec_b64 s[16:17], vcc
	s_cbranch_execz .LBB118_246
; %bb.243:
	v_cmp_ne_u32_e32 vcc, 11, v250
	s_xor_b64 s[18:19], s[14:15], -1
	s_and_b64 s[22:23], s[18:19], vcc
	s_and_saveexec_b64 s[18:19], s[22:23]
	s_cbranch_execz .LBB118_245
; %bb.244:
	v_ashrrev_i32_e32 v251, 31, v250
	v_lshl_add_u64 v[156:157], v[250:251], 2, v[234:235]
	global_load_dword v158, v[156:157], off
	global_load_dword v159, v[234:235], off offset:44
	s_waitcnt vmcnt(1)
	global_store_dword v[234:235], v158, off offset:44
	s_waitcnt vmcnt(1)
	global_store_dword v[156:157], v159, off
.LBB118_245:
	s_or_b64 exec, exec, s[18:19]
	v_mov_b32_e32 v253, v250
	v_mov_b32_e32 v244, v250
.LBB118_246:
	s_or_b64 exec, exec, s[16:17]
.LBB118_247:
	s_andn2_saveexec_b64 s[0:1], s[0:1]
	s_cbranch_execz .LBB118_249
; %bb.248:
	v_mov_b32_e32 v253, 11
	ds_write2_b64 v252, v[192:193], v[194:195] offset0:24 offset1:25
	ds_write2_b64 v252, v[188:189], v[190:191] offset0:26 offset1:27
	;; [unrolled: 1-line block ×48, first 2 shown]
.LBB118_249:
	s_or_b64 exec, exec, s[0:1]
	v_cmp_lt_i32_e32 vcc, 11, v253
	s_waitcnt lgkmcnt(0)
	s_barrier
	s_and_saveexec_b64 s[0:1], vcc
	s_cbranch_execz .LBB118_251
; %bb.250:
	ds_read2_b64 v[164:167], v252 offset0:24 offset1:25
	v_mul_f64 v[156:157], v[242:243], v[198:199]
	v_mul_f64 v[198:199], v[240:241], v[198:199]
	v_fmac_f64_e32 v[198:199], v[242:243], v[196:197]
	v_fma_f64 v[250:251], v[240:241], v[196:197], -v[156:157]
	s_waitcnt lgkmcnt(0)
	v_mul_f64 v[156:157], v[166:167], v[198:199]
	v_mul_f64 v[158:159], v[164:165], v[198:199]
	v_fma_f64 v[156:157], v[164:165], v[250:251], -v[156:157]
	v_fmac_f64_e32 v[158:159], v[166:167], v[250:251]
	ds_read2_b64 v[164:167], v252 offset0:26 offset1:27
	v_add_f64 v[192:193], v[192:193], -v[156:157]
	v_add_f64 v[194:195], v[194:195], -v[158:159]
	v_mov_b64_e32 v[196:197], v[250:251]
	s_waitcnt lgkmcnt(0)
	v_mul_f64 v[156:157], v[166:167], v[198:199]
	v_mul_f64 v[158:159], v[164:165], v[198:199]
	v_fma_f64 v[156:157], v[164:165], v[250:251], -v[156:157]
	v_fmac_f64_e32 v[158:159], v[166:167], v[250:251]
	ds_read2_b64 v[164:167], v252 offset0:28 offset1:29
	v_add_f64 v[188:189], v[188:189], -v[156:157]
	v_add_f64 v[190:191], v[190:191], -v[158:159]
	s_waitcnt lgkmcnt(0)
	v_mul_f64 v[156:157], v[166:167], v[198:199]
	v_mul_f64 v[158:159], v[164:165], v[198:199]
	v_fma_f64 v[156:157], v[164:165], v[250:251], -v[156:157]
	v_fmac_f64_e32 v[158:159], v[166:167], v[250:251]
	ds_read2_b64 v[164:167], v252 offset0:30 offset1:31
	v_add_f64 v[184:185], v[184:185], -v[156:157]
	v_add_f64 v[186:187], v[186:187], -v[158:159]
	;; [unrolled: 8-line block ×46, first 2 shown]
	s_waitcnt lgkmcnt(0)
	v_mul_f64 v[156:157], v[166:167], v[198:199]
	v_mul_f64 v[158:159], v[164:165], v[198:199]
	v_fma_f64 v[156:157], v[164:165], v[250:251], -v[156:157]
	v_fmac_f64_e32 v[158:159], v[166:167], v[250:251]
	v_add_f64 v[236:237], v[236:237], -v[156:157]
	v_add_f64 v[238:239], v[238:239], -v[158:159]
.LBB118_251:
	s_or_b64 exec, exec, s[0:1]
	v_lshl_add_u32 v156, v253, 4, v252
	s_barrier
	ds_write2_b64 v156, v[192:193], v[194:195] offset1:1
	s_waitcnt lgkmcnt(0)
	s_barrier
	ds_read2_b64 v[240:243], v252 offset0:24 offset1:25
	s_cmp_lt_i32 s20, 14
	v_mov_b32_e32 v250, 12
	s_cbranch_scc1 .LBB118_254
; %bb.252:
	v_add_u32_e32 v246, 0xd0, v252
	s_mov_b32 s0, 13
	v_mov_b32_e32 v250, 12
.LBB118_253:                            ; =>This Inner Loop Header: Depth=1
	ds_read2_b64 v[164:167], v246 offset1:1
	s_waitcnt lgkmcnt(1)
	v_cmp_gt_f64_e32 vcc, 0, v[240:241]
	v_xor_b32_e32 v156, 0x80000000, v241
	v_xor_b32_e32 v158, 0x80000000, v243
	v_cndmask_b32_e32 v157, v241, v156, vcc
	v_cmp_gt_f64_e32 vcc, 0, v[242:243]
	v_mov_b32_e32 v156, v240
	s_waitcnt lgkmcnt(0)
	v_xor_b32_e32 v216, 0x80000000, v167
	v_cndmask_b32_e32 v159, v243, v158, vcc
	v_mov_b32_e32 v158, v242
	v_add_f64 v[156:157], v[156:157], v[158:159]
	v_cmp_gt_f64_e32 vcc, 0, v[164:165]
	v_xor_b32_e32 v158, 0x80000000, v165
	v_add_u32_e32 v246, 16, v246
	v_cndmask_b32_e32 v159, v165, v158, vcc
	v_cmp_gt_f64_e32 vcc, 0, v[166:167]
	v_mov_b32_e32 v158, v164
	s_nop 0
	v_cndmask_b32_e32 v217, v167, v216, vcc
	v_mov_b32_e32 v216, v166
	v_add_f64 v[158:159], v[158:159], v[216:217]
	v_cmp_lt_f64_e32 vcc, v[156:157], v[158:159]
	v_mov_b32_e32 v156, s0
	s_add_i32 s0, s0, 1
	v_cndmask_b32_e32 v241, v241, v165, vcc
	v_cndmask_b32_e32 v240, v240, v164, vcc
	;; [unrolled: 1-line block ×5, first 2 shown]
	s_cmp_lg_u32 s20, s0
	s_cbranch_scc1 .LBB118_253
.LBB118_254:
	s_waitcnt lgkmcnt(0)
	v_cmp_eq_f64_e32 vcc, 0, v[240:241]
	v_cmp_eq_f64_e64 s[0:1], 0, v[242:243]
	s_and_b64 s[0:1], vcc, s[0:1]
	s_and_saveexec_b64 s[16:17], s[0:1]
	s_xor_b64 s[0:1], exec, s[16:17]
; %bb.255:
	v_cmp_ne_u32_e32 vcc, 0, v254
	s_nop 1
	v_cndmask_b32_e32 v254, 13, v254, vcc
; %bb.256:
	s_andn2_saveexec_b64 s[0:1], s[0:1]
	s_cbranch_execz .LBB118_262
; %bb.257:
	v_cmp_ngt_f64_e64 s[16:17], |v[240:241]|, |v[242:243]|
	s_and_saveexec_b64 s[18:19], s[16:17]
	s_xor_b64 s[16:17], exec, s[18:19]
	s_cbranch_execz .LBB118_259
; %bb.258:
	v_div_scale_f64 v[156:157], s[18:19], v[242:243], v[242:243], v[240:241]
	v_rcp_f64_e32 v[158:159], v[156:157]
	v_div_scale_f64 v[164:165], vcc, v[240:241], v[242:243], v[240:241]
	v_fma_f64 v[166:167], -v[156:157], v[158:159], 1.0
	v_fmac_f64_e32 v[158:159], v[158:159], v[166:167]
	v_fma_f64 v[166:167], -v[156:157], v[158:159], 1.0
	v_fmac_f64_e32 v[158:159], v[158:159], v[166:167]
	v_mul_f64 v[166:167], v[164:165], v[158:159]
	v_fma_f64 v[156:157], -v[156:157], v[166:167], v[164:165]
	v_div_fmas_f64 v[156:157], v[156:157], v[158:159], v[166:167]
	v_div_fixup_f64 v[156:157], v[156:157], v[242:243], v[240:241]
	v_fmac_f64_e32 v[242:243], v[240:241], v[156:157]
	v_div_scale_f64 v[158:159], s[18:19], v[242:243], v[242:243], 1.0
	v_rcp_f64_e32 v[164:165], v[158:159]
	s_nop 0
	v_fma_f64 v[166:167], -v[158:159], v[164:165], 1.0
	v_fmac_f64_e32 v[164:165], v[164:165], v[166:167]
	v_fma_f64 v[166:167], -v[158:159], v[164:165], 1.0
	v_fmac_f64_e32 v[164:165], v[164:165], v[166:167]
	v_div_scale_f64 v[166:167], vcc, 1.0, v[242:243], 1.0
	v_mul_f64 v[216:217], v[166:167], v[164:165]
	v_fma_f64 v[158:159], -v[158:159], v[216:217], v[166:167]
	s_nop 1
	v_div_fmas_f64 v[158:159], v[158:159], v[164:165], v[216:217]
	v_div_fixup_f64 v[242:243], v[158:159], v[242:243], 1.0
	v_mul_f64 v[240:241], v[156:157], v[242:243]
	v_xor_b32_e32 v243, 0x80000000, v243
.LBB118_259:
	s_andn2_saveexec_b64 s[16:17], s[16:17]
	s_cbranch_execz .LBB118_261
; %bb.260:
	v_div_scale_f64 v[156:157], s[18:19], v[240:241], v[240:241], v[242:243]
	v_rcp_f64_e32 v[158:159], v[156:157]
	v_div_scale_f64 v[164:165], vcc, v[242:243], v[240:241], v[242:243]
	v_fma_f64 v[166:167], -v[156:157], v[158:159], 1.0
	v_fmac_f64_e32 v[158:159], v[158:159], v[166:167]
	v_fma_f64 v[166:167], -v[156:157], v[158:159], 1.0
	v_fmac_f64_e32 v[158:159], v[158:159], v[166:167]
	v_mul_f64 v[166:167], v[164:165], v[158:159]
	v_fma_f64 v[156:157], -v[156:157], v[166:167], v[164:165]
	v_div_fmas_f64 v[156:157], v[156:157], v[158:159], v[166:167]
	v_div_fixup_f64 v[156:157], v[156:157], v[240:241], v[242:243]
	v_fmac_f64_e32 v[240:241], v[242:243], v[156:157]
	v_div_scale_f64 v[158:159], s[18:19], v[240:241], v[240:241], 1.0
	v_rcp_f64_e32 v[164:165], v[158:159]
	s_nop 0
	v_fma_f64 v[166:167], -v[158:159], v[164:165], 1.0
	v_fmac_f64_e32 v[164:165], v[164:165], v[166:167]
	v_fma_f64 v[166:167], -v[158:159], v[164:165], 1.0
	v_fmac_f64_e32 v[164:165], v[164:165], v[166:167]
	v_div_scale_f64 v[166:167], vcc, 1.0, v[240:241], 1.0
	v_mul_f64 v[216:217], v[166:167], v[164:165]
	v_fma_f64 v[158:159], -v[158:159], v[216:217], v[166:167]
	s_nop 1
	v_div_fmas_f64 v[158:159], v[158:159], v[164:165], v[216:217]
	v_div_fixup_f64 v[240:241], v[158:159], v[240:241], 1.0
	v_mul_f64 v[242:243], v[156:157], -v[240:241]
.LBB118_261:
	s_or_b64 exec, exec, s[16:17]
.LBB118_262:
	s_or_b64 exec, exec, s[0:1]
	v_cmp_ne_u32_e32 vcc, v253, v250
	s_and_saveexec_b64 s[0:1], vcc
	s_xor_b64 s[0:1], exec, s[0:1]
	s_cbranch_execz .LBB118_268
; %bb.263:
	v_cmp_eq_u32_e32 vcc, 12, v253
	s_and_saveexec_b64 s[16:17], vcc
	s_cbranch_execz .LBB118_267
; %bb.264:
	v_cmp_ne_u32_e32 vcc, 12, v250
	s_xor_b64 s[18:19], s[14:15], -1
	s_and_b64 s[22:23], s[18:19], vcc
	s_and_saveexec_b64 s[18:19], s[22:23]
	s_cbranch_execz .LBB118_266
; %bb.265:
	v_ashrrev_i32_e32 v251, 31, v250
	v_lshl_add_u64 v[156:157], v[250:251], 2, v[234:235]
	global_load_dword v158, v[156:157], off
	global_load_dword v159, v[234:235], off offset:48
	s_waitcnt vmcnt(1)
	global_store_dword v[234:235], v158, off offset:48
	s_waitcnt vmcnt(1)
	global_store_dword v[156:157], v159, off
.LBB118_266:
	s_or_b64 exec, exec, s[18:19]
	v_mov_b32_e32 v253, v250
	v_mov_b32_e32 v244, v250
.LBB118_267:
	s_or_b64 exec, exec, s[16:17]
.LBB118_268:
	s_andn2_saveexec_b64 s[0:1], s[0:1]
	s_cbranch_execz .LBB118_270
; %bb.269:
	v_mov_b32_e32 v253, 12
	ds_write2_b64 v252, v[188:189], v[190:191] offset0:26 offset1:27
	ds_write2_b64 v252, v[184:185], v[186:187] offset0:28 offset1:29
	;; [unrolled: 1-line block ×47, first 2 shown]
.LBB118_270:
	s_or_b64 exec, exec, s[0:1]
	v_cmp_lt_i32_e32 vcc, 12, v253
	s_waitcnt lgkmcnt(0)
	s_barrier
	s_and_saveexec_b64 s[0:1], vcc
	s_cbranch_execz .LBB118_272
; %bb.271:
	ds_read2_b64 v[164:167], v252 offset0:26 offset1:27
	v_mul_f64 v[156:157], v[242:243], v[194:195]
	v_mul_f64 v[194:195], v[240:241], v[194:195]
	v_fmac_f64_e32 v[194:195], v[242:243], v[192:193]
	v_fma_f64 v[250:251], v[240:241], v[192:193], -v[156:157]
	s_waitcnt lgkmcnt(0)
	v_mul_f64 v[156:157], v[166:167], v[194:195]
	v_mul_f64 v[158:159], v[164:165], v[194:195]
	v_fma_f64 v[156:157], v[164:165], v[250:251], -v[156:157]
	v_fmac_f64_e32 v[158:159], v[166:167], v[250:251]
	ds_read2_b64 v[164:167], v252 offset0:28 offset1:29
	v_add_f64 v[188:189], v[188:189], -v[156:157]
	v_add_f64 v[190:191], v[190:191], -v[158:159]
	v_mov_b64_e32 v[192:193], v[250:251]
	s_waitcnt lgkmcnt(0)
	v_mul_f64 v[156:157], v[166:167], v[194:195]
	v_mul_f64 v[158:159], v[164:165], v[194:195]
	v_fma_f64 v[156:157], v[164:165], v[250:251], -v[156:157]
	v_fmac_f64_e32 v[158:159], v[166:167], v[250:251]
	ds_read2_b64 v[164:167], v252 offset0:30 offset1:31
	v_add_f64 v[184:185], v[184:185], -v[156:157]
	v_add_f64 v[186:187], v[186:187], -v[158:159]
	s_waitcnt lgkmcnt(0)
	v_mul_f64 v[156:157], v[166:167], v[194:195]
	v_mul_f64 v[158:159], v[164:165], v[194:195]
	v_fma_f64 v[156:157], v[164:165], v[250:251], -v[156:157]
	v_fmac_f64_e32 v[158:159], v[166:167], v[250:251]
	ds_read2_b64 v[164:167], v252 offset0:32 offset1:33
	v_add_f64 v[180:181], v[180:181], -v[156:157]
	v_add_f64 v[182:183], v[182:183], -v[158:159]
	;; [unrolled: 8-line block ×45, first 2 shown]
	s_waitcnt lgkmcnt(0)
	v_mul_f64 v[156:157], v[166:167], v[194:195]
	v_mul_f64 v[158:159], v[164:165], v[194:195]
	v_fma_f64 v[156:157], v[164:165], v[250:251], -v[156:157]
	v_fmac_f64_e32 v[158:159], v[166:167], v[250:251]
	v_add_f64 v[236:237], v[236:237], -v[156:157]
	v_add_f64 v[238:239], v[238:239], -v[158:159]
.LBB118_272:
	s_or_b64 exec, exec, s[0:1]
	v_lshl_add_u32 v156, v253, 4, v252
	s_barrier
	ds_write2_b64 v156, v[188:189], v[190:191] offset1:1
	s_waitcnt lgkmcnt(0)
	s_barrier
	ds_read2_b64 v[240:243], v252 offset0:26 offset1:27
	s_cmp_lt_i32 s20, 15
	v_mov_b32_e32 v250, 13
	s_cbranch_scc1 .LBB118_275
; %bb.273:
	v_add_u32_e32 v246, 0xe0, v252
	s_mov_b32 s0, 14
	v_mov_b32_e32 v250, 13
.LBB118_274:                            ; =>This Inner Loop Header: Depth=1
	ds_read2_b64 v[164:167], v246 offset1:1
	s_waitcnt lgkmcnt(1)
	v_cmp_gt_f64_e32 vcc, 0, v[240:241]
	v_xor_b32_e32 v156, 0x80000000, v241
	v_xor_b32_e32 v158, 0x80000000, v243
	v_cndmask_b32_e32 v157, v241, v156, vcc
	v_cmp_gt_f64_e32 vcc, 0, v[242:243]
	v_mov_b32_e32 v156, v240
	s_waitcnt lgkmcnt(0)
	v_xor_b32_e32 v216, 0x80000000, v167
	v_cndmask_b32_e32 v159, v243, v158, vcc
	v_mov_b32_e32 v158, v242
	v_add_f64 v[156:157], v[156:157], v[158:159]
	v_cmp_gt_f64_e32 vcc, 0, v[164:165]
	v_xor_b32_e32 v158, 0x80000000, v165
	v_add_u32_e32 v246, 16, v246
	v_cndmask_b32_e32 v159, v165, v158, vcc
	v_cmp_gt_f64_e32 vcc, 0, v[166:167]
	v_mov_b32_e32 v158, v164
	s_nop 0
	v_cndmask_b32_e32 v217, v167, v216, vcc
	v_mov_b32_e32 v216, v166
	v_add_f64 v[158:159], v[158:159], v[216:217]
	v_cmp_lt_f64_e32 vcc, v[156:157], v[158:159]
	v_mov_b32_e32 v156, s0
	s_add_i32 s0, s0, 1
	v_cndmask_b32_e32 v241, v241, v165, vcc
	v_cndmask_b32_e32 v240, v240, v164, vcc
	;; [unrolled: 1-line block ×5, first 2 shown]
	s_cmp_lg_u32 s20, s0
	s_cbranch_scc1 .LBB118_274
.LBB118_275:
	s_waitcnt lgkmcnt(0)
	v_cmp_eq_f64_e32 vcc, 0, v[240:241]
	v_cmp_eq_f64_e64 s[0:1], 0, v[242:243]
	s_and_b64 s[0:1], vcc, s[0:1]
	s_and_saveexec_b64 s[16:17], s[0:1]
	s_xor_b64 s[0:1], exec, s[16:17]
; %bb.276:
	v_cmp_ne_u32_e32 vcc, 0, v254
	s_nop 1
	v_cndmask_b32_e32 v254, 14, v254, vcc
; %bb.277:
	s_andn2_saveexec_b64 s[0:1], s[0:1]
	s_cbranch_execz .LBB118_283
; %bb.278:
	v_cmp_ngt_f64_e64 s[16:17], |v[240:241]|, |v[242:243]|
	s_and_saveexec_b64 s[18:19], s[16:17]
	s_xor_b64 s[16:17], exec, s[18:19]
	s_cbranch_execz .LBB118_280
; %bb.279:
	v_div_scale_f64 v[156:157], s[18:19], v[242:243], v[242:243], v[240:241]
	v_rcp_f64_e32 v[158:159], v[156:157]
	v_div_scale_f64 v[164:165], vcc, v[240:241], v[242:243], v[240:241]
	v_fma_f64 v[166:167], -v[156:157], v[158:159], 1.0
	v_fmac_f64_e32 v[158:159], v[158:159], v[166:167]
	v_fma_f64 v[166:167], -v[156:157], v[158:159], 1.0
	v_fmac_f64_e32 v[158:159], v[158:159], v[166:167]
	v_mul_f64 v[166:167], v[164:165], v[158:159]
	v_fma_f64 v[156:157], -v[156:157], v[166:167], v[164:165]
	v_div_fmas_f64 v[156:157], v[156:157], v[158:159], v[166:167]
	v_div_fixup_f64 v[156:157], v[156:157], v[242:243], v[240:241]
	v_fmac_f64_e32 v[242:243], v[240:241], v[156:157]
	v_div_scale_f64 v[158:159], s[18:19], v[242:243], v[242:243], 1.0
	v_rcp_f64_e32 v[164:165], v[158:159]
	s_nop 0
	v_fma_f64 v[166:167], -v[158:159], v[164:165], 1.0
	v_fmac_f64_e32 v[164:165], v[164:165], v[166:167]
	v_fma_f64 v[166:167], -v[158:159], v[164:165], 1.0
	v_fmac_f64_e32 v[164:165], v[164:165], v[166:167]
	v_div_scale_f64 v[166:167], vcc, 1.0, v[242:243], 1.0
	v_mul_f64 v[216:217], v[166:167], v[164:165]
	v_fma_f64 v[158:159], -v[158:159], v[216:217], v[166:167]
	s_nop 1
	v_div_fmas_f64 v[158:159], v[158:159], v[164:165], v[216:217]
	v_div_fixup_f64 v[242:243], v[158:159], v[242:243], 1.0
	v_mul_f64 v[240:241], v[156:157], v[242:243]
	v_xor_b32_e32 v243, 0x80000000, v243
.LBB118_280:
	s_andn2_saveexec_b64 s[16:17], s[16:17]
	s_cbranch_execz .LBB118_282
; %bb.281:
	v_div_scale_f64 v[156:157], s[18:19], v[240:241], v[240:241], v[242:243]
	v_rcp_f64_e32 v[158:159], v[156:157]
	v_div_scale_f64 v[164:165], vcc, v[242:243], v[240:241], v[242:243]
	v_fma_f64 v[166:167], -v[156:157], v[158:159], 1.0
	v_fmac_f64_e32 v[158:159], v[158:159], v[166:167]
	v_fma_f64 v[166:167], -v[156:157], v[158:159], 1.0
	v_fmac_f64_e32 v[158:159], v[158:159], v[166:167]
	v_mul_f64 v[166:167], v[164:165], v[158:159]
	v_fma_f64 v[156:157], -v[156:157], v[166:167], v[164:165]
	v_div_fmas_f64 v[156:157], v[156:157], v[158:159], v[166:167]
	v_div_fixup_f64 v[156:157], v[156:157], v[240:241], v[242:243]
	v_fmac_f64_e32 v[240:241], v[242:243], v[156:157]
	v_div_scale_f64 v[158:159], s[18:19], v[240:241], v[240:241], 1.0
	v_rcp_f64_e32 v[164:165], v[158:159]
	s_nop 0
	v_fma_f64 v[166:167], -v[158:159], v[164:165], 1.0
	v_fmac_f64_e32 v[164:165], v[164:165], v[166:167]
	v_fma_f64 v[166:167], -v[158:159], v[164:165], 1.0
	v_fmac_f64_e32 v[164:165], v[164:165], v[166:167]
	v_div_scale_f64 v[166:167], vcc, 1.0, v[240:241], 1.0
	v_mul_f64 v[216:217], v[166:167], v[164:165]
	v_fma_f64 v[158:159], -v[158:159], v[216:217], v[166:167]
	s_nop 1
	v_div_fmas_f64 v[158:159], v[158:159], v[164:165], v[216:217]
	v_div_fixup_f64 v[240:241], v[158:159], v[240:241], 1.0
	v_mul_f64 v[242:243], v[156:157], -v[240:241]
.LBB118_282:
	s_or_b64 exec, exec, s[16:17]
.LBB118_283:
	s_or_b64 exec, exec, s[0:1]
	v_cmp_ne_u32_e32 vcc, v253, v250
	s_and_saveexec_b64 s[0:1], vcc
	s_xor_b64 s[0:1], exec, s[0:1]
	s_cbranch_execz .LBB118_289
; %bb.284:
	v_cmp_eq_u32_e32 vcc, 13, v253
	s_and_saveexec_b64 s[16:17], vcc
	s_cbranch_execz .LBB118_288
; %bb.285:
	v_cmp_ne_u32_e32 vcc, 13, v250
	s_xor_b64 s[18:19], s[14:15], -1
	s_and_b64 s[22:23], s[18:19], vcc
	s_and_saveexec_b64 s[18:19], s[22:23]
	s_cbranch_execz .LBB118_287
; %bb.286:
	v_ashrrev_i32_e32 v251, 31, v250
	v_lshl_add_u64 v[156:157], v[250:251], 2, v[234:235]
	global_load_dword v158, v[156:157], off
	global_load_dword v159, v[234:235], off offset:52
	s_waitcnt vmcnt(1)
	global_store_dword v[234:235], v158, off offset:52
	s_waitcnt vmcnt(1)
	global_store_dword v[156:157], v159, off
.LBB118_287:
	s_or_b64 exec, exec, s[18:19]
	v_mov_b32_e32 v253, v250
	v_mov_b32_e32 v244, v250
.LBB118_288:
	s_or_b64 exec, exec, s[16:17]
.LBB118_289:
	s_andn2_saveexec_b64 s[0:1], s[0:1]
	s_cbranch_execz .LBB118_291
; %bb.290:
	v_mov_b32_e32 v253, 13
	ds_write2_b64 v252, v[184:185], v[186:187] offset0:28 offset1:29
	ds_write2_b64 v252, v[180:181], v[182:183] offset0:30 offset1:31
	;; [unrolled: 1-line block ×46, first 2 shown]
.LBB118_291:
	s_or_b64 exec, exec, s[0:1]
	v_cmp_lt_i32_e32 vcc, 13, v253
	s_waitcnt lgkmcnt(0)
	s_barrier
	s_and_saveexec_b64 s[0:1], vcc
	s_cbranch_execz .LBB118_293
; %bb.292:
	ds_read2_b64 v[164:167], v252 offset0:28 offset1:29
	v_mul_f64 v[156:157], v[242:243], v[190:191]
	v_mul_f64 v[190:191], v[240:241], v[190:191]
	v_fmac_f64_e32 v[190:191], v[242:243], v[188:189]
	v_fma_f64 v[250:251], v[240:241], v[188:189], -v[156:157]
	s_waitcnt lgkmcnt(0)
	v_mul_f64 v[156:157], v[166:167], v[190:191]
	v_mul_f64 v[158:159], v[164:165], v[190:191]
	v_fma_f64 v[156:157], v[164:165], v[250:251], -v[156:157]
	v_fmac_f64_e32 v[158:159], v[166:167], v[250:251]
	ds_read2_b64 v[164:167], v252 offset0:30 offset1:31
	v_add_f64 v[184:185], v[184:185], -v[156:157]
	v_add_f64 v[186:187], v[186:187], -v[158:159]
	v_mov_b64_e32 v[188:189], v[250:251]
	s_waitcnt lgkmcnt(0)
	v_mul_f64 v[156:157], v[166:167], v[190:191]
	v_mul_f64 v[158:159], v[164:165], v[190:191]
	v_fma_f64 v[156:157], v[164:165], v[250:251], -v[156:157]
	v_fmac_f64_e32 v[158:159], v[166:167], v[250:251]
	ds_read2_b64 v[164:167], v252 offset0:32 offset1:33
	v_add_f64 v[180:181], v[180:181], -v[156:157]
	v_add_f64 v[182:183], v[182:183], -v[158:159]
	s_waitcnt lgkmcnt(0)
	v_mul_f64 v[156:157], v[166:167], v[190:191]
	v_mul_f64 v[158:159], v[164:165], v[190:191]
	v_fma_f64 v[156:157], v[164:165], v[250:251], -v[156:157]
	v_fmac_f64_e32 v[158:159], v[166:167], v[250:251]
	ds_read2_b64 v[164:167], v252 offset0:34 offset1:35
	v_add_f64 v[176:177], v[176:177], -v[156:157]
	v_add_f64 v[178:179], v[178:179], -v[158:159]
	;; [unrolled: 8-line block ×44, first 2 shown]
	s_waitcnt lgkmcnt(0)
	v_mul_f64 v[156:157], v[166:167], v[190:191]
	v_mul_f64 v[158:159], v[164:165], v[190:191]
	v_fma_f64 v[156:157], v[164:165], v[250:251], -v[156:157]
	v_fmac_f64_e32 v[158:159], v[166:167], v[250:251]
	v_add_f64 v[236:237], v[236:237], -v[156:157]
	v_add_f64 v[238:239], v[238:239], -v[158:159]
.LBB118_293:
	s_or_b64 exec, exec, s[0:1]
	v_lshl_add_u32 v156, v253, 4, v252
	s_barrier
	ds_write2_b64 v156, v[184:185], v[186:187] offset1:1
	s_waitcnt lgkmcnt(0)
	s_barrier
	ds_read2_b64 v[240:243], v252 offset0:28 offset1:29
	s_cmp_lt_i32 s20, 16
	v_mov_b32_e32 v250, 14
	s_cbranch_scc1 .LBB118_296
; %bb.294:
	v_add_u32_e32 v246, 0xf0, v252
	s_mov_b32 s0, 15
	v_mov_b32_e32 v250, 14
.LBB118_295:                            ; =>This Inner Loop Header: Depth=1
	ds_read2_b64 v[164:167], v246 offset1:1
	s_waitcnt lgkmcnt(1)
	v_cmp_gt_f64_e32 vcc, 0, v[240:241]
	v_xor_b32_e32 v156, 0x80000000, v241
	v_xor_b32_e32 v158, 0x80000000, v243
	v_cndmask_b32_e32 v157, v241, v156, vcc
	v_cmp_gt_f64_e32 vcc, 0, v[242:243]
	v_mov_b32_e32 v156, v240
	s_waitcnt lgkmcnt(0)
	v_xor_b32_e32 v216, 0x80000000, v167
	v_cndmask_b32_e32 v159, v243, v158, vcc
	v_mov_b32_e32 v158, v242
	v_add_f64 v[156:157], v[156:157], v[158:159]
	v_cmp_gt_f64_e32 vcc, 0, v[164:165]
	v_xor_b32_e32 v158, 0x80000000, v165
	v_add_u32_e32 v246, 16, v246
	v_cndmask_b32_e32 v159, v165, v158, vcc
	v_cmp_gt_f64_e32 vcc, 0, v[166:167]
	v_mov_b32_e32 v158, v164
	s_nop 0
	v_cndmask_b32_e32 v217, v167, v216, vcc
	v_mov_b32_e32 v216, v166
	v_add_f64 v[158:159], v[158:159], v[216:217]
	v_cmp_lt_f64_e32 vcc, v[156:157], v[158:159]
	v_mov_b32_e32 v156, s0
	s_add_i32 s0, s0, 1
	v_cndmask_b32_e32 v241, v241, v165, vcc
	v_cndmask_b32_e32 v240, v240, v164, vcc
	;; [unrolled: 1-line block ×5, first 2 shown]
	s_cmp_lg_u32 s20, s0
	s_cbranch_scc1 .LBB118_295
.LBB118_296:
	s_waitcnt lgkmcnt(0)
	v_cmp_eq_f64_e32 vcc, 0, v[240:241]
	v_cmp_eq_f64_e64 s[0:1], 0, v[242:243]
	s_and_b64 s[0:1], vcc, s[0:1]
	s_and_saveexec_b64 s[16:17], s[0:1]
	s_xor_b64 s[0:1], exec, s[16:17]
; %bb.297:
	v_cmp_ne_u32_e32 vcc, 0, v254
	s_nop 1
	v_cndmask_b32_e32 v254, 15, v254, vcc
; %bb.298:
	s_andn2_saveexec_b64 s[0:1], s[0:1]
	s_cbranch_execz .LBB118_304
; %bb.299:
	v_cmp_ngt_f64_e64 s[16:17], |v[240:241]|, |v[242:243]|
	s_and_saveexec_b64 s[18:19], s[16:17]
	s_xor_b64 s[16:17], exec, s[18:19]
	s_cbranch_execz .LBB118_301
; %bb.300:
	v_div_scale_f64 v[156:157], s[18:19], v[242:243], v[242:243], v[240:241]
	v_rcp_f64_e32 v[158:159], v[156:157]
	v_div_scale_f64 v[164:165], vcc, v[240:241], v[242:243], v[240:241]
	v_fma_f64 v[166:167], -v[156:157], v[158:159], 1.0
	v_fmac_f64_e32 v[158:159], v[158:159], v[166:167]
	v_fma_f64 v[166:167], -v[156:157], v[158:159], 1.0
	v_fmac_f64_e32 v[158:159], v[158:159], v[166:167]
	v_mul_f64 v[166:167], v[164:165], v[158:159]
	v_fma_f64 v[156:157], -v[156:157], v[166:167], v[164:165]
	v_div_fmas_f64 v[156:157], v[156:157], v[158:159], v[166:167]
	v_div_fixup_f64 v[156:157], v[156:157], v[242:243], v[240:241]
	v_fmac_f64_e32 v[242:243], v[240:241], v[156:157]
	v_div_scale_f64 v[158:159], s[18:19], v[242:243], v[242:243], 1.0
	v_rcp_f64_e32 v[164:165], v[158:159]
	s_nop 0
	v_fma_f64 v[166:167], -v[158:159], v[164:165], 1.0
	v_fmac_f64_e32 v[164:165], v[164:165], v[166:167]
	v_fma_f64 v[166:167], -v[158:159], v[164:165], 1.0
	v_fmac_f64_e32 v[164:165], v[164:165], v[166:167]
	v_div_scale_f64 v[166:167], vcc, 1.0, v[242:243], 1.0
	v_mul_f64 v[216:217], v[166:167], v[164:165]
	v_fma_f64 v[158:159], -v[158:159], v[216:217], v[166:167]
	s_nop 1
	v_div_fmas_f64 v[158:159], v[158:159], v[164:165], v[216:217]
	v_div_fixup_f64 v[242:243], v[158:159], v[242:243], 1.0
	v_mul_f64 v[240:241], v[156:157], v[242:243]
	v_xor_b32_e32 v243, 0x80000000, v243
.LBB118_301:
	s_andn2_saveexec_b64 s[16:17], s[16:17]
	s_cbranch_execz .LBB118_303
; %bb.302:
	v_div_scale_f64 v[156:157], s[18:19], v[240:241], v[240:241], v[242:243]
	v_rcp_f64_e32 v[158:159], v[156:157]
	v_div_scale_f64 v[164:165], vcc, v[242:243], v[240:241], v[242:243]
	v_fma_f64 v[166:167], -v[156:157], v[158:159], 1.0
	v_fmac_f64_e32 v[158:159], v[158:159], v[166:167]
	v_fma_f64 v[166:167], -v[156:157], v[158:159], 1.0
	v_fmac_f64_e32 v[158:159], v[158:159], v[166:167]
	v_mul_f64 v[166:167], v[164:165], v[158:159]
	v_fma_f64 v[156:157], -v[156:157], v[166:167], v[164:165]
	v_div_fmas_f64 v[156:157], v[156:157], v[158:159], v[166:167]
	v_div_fixup_f64 v[156:157], v[156:157], v[240:241], v[242:243]
	v_fmac_f64_e32 v[240:241], v[242:243], v[156:157]
	v_div_scale_f64 v[158:159], s[18:19], v[240:241], v[240:241], 1.0
	v_rcp_f64_e32 v[164:165], v[158:159]
	s_nop 0
	v_fma_f64 v[166:167], -v[158:159], v[164:165], 1.0
	v_fmac_f64_e32 v[164:165], v[164:165], v[166:167]
	v_fma_f64 v[166:167], -v[158:159], v[164:165], 1.0
	v_fmac_f64_e32 v[164:165], v[164:165], v[166:167]
	v_div_scale_f64 v[166:167], vcc, 1.0, v[240:241], 1.0
	v_mul_f64 v[216:217], v[166:167], v[164:165]
	v_fma_f64 v[158:159], -v[158:159], v[216:217], v[166:167]
	s_nop 1
	v_div_fmas_f64 v[158:159], v[158:159], v[164:165], v[216:217]
	v_div_fixup_f64 v[240:241], v[158:159], v[240:241], 1.0
	v_mul_f64 v[242:243], v[156:157], -v[240:241]
.LBB118_303:
	s_or_b64 exec, exec, s[16:17]
.LBB118_304:
	s_or_b64 exec, exec, s[0:1]
	v_cmp_ne_u32_e32 vcc, v253, v250
	s_and_saveexec_b64 s[0:1], vcc
	s_xor_b64 s[0:1], exec, s[0:1]
	s_cbranch_execz .LBB118_310
; %bb.305:
	v_cmp_eq_u32_e32 vcc, 14, v253
	s_and_saveexec_b64 s[16:17], vcc
	s_cbranch_execz .LBB118_309
; %bb.306:
	v_cmp_ne_u32_e32 vcc, 14, v250
	s_xor_b64 s[18:19], s[14:15], -1
	s_and_b64 s[22:23], s[18:19], vcc
	s_and_saveexec_b64 s[18:19], s[22:23]
	s_cbranch_execz .LBB118_308
; %bb.307:
	v_ashrrev_i32_e32 v251, 31, v250
	v_lshl_add_u64 v[156:157], v[250:251], 2, v[234:235]
	global_load_dword v158, v[156:157], off
	global_load_dword v159, v[234:235], off offset:56
	s_waitcnt vmcnt(1)
	global_store_dword v[234:235], v158, off offset:56
	s_waitcnt vmcnt(1)
	global_store_dword v[156:157], v159, off
.LBB118_308:
	s_or_b64 exec, exec, s[18:19]
	v_mov_b32_e32 v253, v250
	v_mov_b32_e32 v244, v250
.LBB118_309:
	s_or_b64 exec, exec, s[16:17]
.LBB118_310:
	s_andn2_saveexec_b64 s[0:1], s[0:1]
	s_cbranch_execz .LBB118_312
; %bb.311:
	v_mov_b32_e32 v253, 14
	ds_write2_b64 v252, v[180:181], v[182:183] offset0:30 offset1:31
	ds_write2_b64 v252, v[176:177], v[178:179] offset0:32 offset1:33
	;; [unrolled: 1-line block ×45, first 2 shown]
.LBB118_312:
	s_or_b64 exec, exec, s[0:1]
	v_cmp_lt_i32_e32 vcc, 14, v253
	s_waitcnt lgkmcnt(0)
	s_barrier
	s_and_saveexec_b64 s[0:1], vcc
	s_cbranch_execz .LBB118_314
; %bb.313:
	ds_read2_b64 v[164:167], v252 offset0:30 offset1:31
	v_mul_f64 v[156:157], v[242:243], v[186:187]
	v_mul_f64 v[186:187], v[240:241], v[186:187]
	v_fmac_f64_e32 v[186:187], v[242:243], v[184:185]
	v_fma_f64 v[250:251], v[240:241], v[184:185], -v[156:157]
	s_waitcnt lgkmcnt(0)
	v_mul_f64 v[156:157], v[166:167], v[186:187]
	v_mul_f64 v[158:159], v[164:165], v[186:187]
	v_fma_f64 v[156:157], v[164:165], v[250:251], -v[156:157]
	v_fmac_f64_e32 v[158:159], v[166:167], v[250:251]
	ds_read2_b64 v[164:167], v252 offset0:32 offset1:33
	v_add_f64 v[180:181], v[180:181], -v[156:157]
	v_add_f64 v[182:183], v[182:183], -v[158:159]
	v_mov_b64_e32 v[184:185], v[250:251]
	s_waitcnt lgkmcnt(0)
	v_mul_f64 v[156:157], v[166:167], v[186:187]
	v_mul_f64 v[158:159], v[164:165], v[186:187]
	v_fma_f64 v[156:157], v[164:165], v[250:251], -v[156:157]
	v_fmac_f64_e32 v[158:159], v[166:167], v[250:251]
	ds_read2_b64 v[164:167], v252 offset0:34 offset1:35
	v_add_f64 v[176:177], v[176:177], -v[156:157]
	v_add_f64 v[178:179], v[178:179], -v[158:159]
	s_waitcnt lgkmcnt(0)
	v_mul_f64 v[156:157], v[166:167], v[186:187]
	v_mul_f64 v[158:159], v[164:165], v[186:187]
	v_fma_f64 v[156:157], v[164:165], v[250:251], -v[156:157]
	v_fmac_f64_e32 v[158:159], v[166:167], v[250:251]
	ds_read2_b64 v[164:167], v252 offset0:36 offset1:37
	v_add_f64 v[172:173], v[172:173], -v[156:157]
	v_add_f64 v[174:175], v[174:175], -v[158:159]
	;; [unrolled: 8-line block ×43, first 2 shown]
	s_waitcnt lgkmcnt(0)
	v_mul_f64 v[156:157], v[166:167], v[186:187]
	v_mul_f64 v[158:159], v[164:165], v[186:187]
	v_fma_f64 v[156:157], v[164:165], v[250:251], -v[156:157]
	v_fmac_f64_e32 v[158:159], v[166:167], v[250:251]
	v_add_f64 v[236:237], v[236:237], -v[156:157]
	v_add_f64 v[238:239], v[238:239], -v[158:159]
.LBB118_314:
	s_or_b64 exec, exec, s[0:1]
	v_lshl_add_u32 v156, v253, 4, v252
	s_barrier
	ds_write2_b64 v156, v[180:181], v[182:183] offset1:1
	s_waitcnt lgkmcnt(0)
	s_barrier
	ds_read2_b64 v[240:243], v252 offset0:30 offset1:31
	s_cmp_lt_i32 s20, 17
	v_mov_b32_e32 v250, 15
	s_cbranch_scc1 .LBB118_317
; %bb.315:
	v_add_u32_e32 v246, 0x100, v252
	s_mov_b32 s0, 16
	v_mov_b32_e32 v250, 15
.LBB118_316:                            ; =>This Inner Loop Header: Depth=1
	ds_read2_b64 v[164:167], v246 offset1:1
	s_waitcnt lgkmcnt(1)
	v_cmp_gt_f64_e32 vcc, 0, v[240:241]
	v_xor_b32_e32 v156, 0x80000000, v241
	v_xor_b32_e32 v158, 0x80000000, v243
	v_cndmask_b32_e32 v157, v241, v156, vcc
	v_cmp_gt_f64_e32 vcc, 0, v[242:243]
	v_mov_b32_e32 v156, v240
	s_waitcnt lgkmcnt(0)
	v_xor_b32_e32 v216, 0x80000000, v167
	v_cndmask_b32_e32 v159, v243, v158, vcc
	v_mov_b32_e32 v158, v242
	v_add_f64 v[156:157], v[156:157], v[158:159]
	v_cmp_gt_f64_e32 vcc, 0, v[164:165]
	v_xor_b32_e32 v158, 0x80000000, v165
	v_add_u32_e32 v246, 16, v246
	v_cndmask_b32_e32 v159, v165, v158, vcc
	v_cmp_gt_f64_e32 vcc, 0, v[166:167]
	v_mov_b32_e32 v158, v164
	s_nop 0
	v_cndmask_b32_e32 v217, v167, v216, vcc
	v_mov_b32_e32 v216, v166
	v_add_f64 v[158:159], v[158:159], v[216:217]
	v_cmp_lt_f64_e32 vcc, v[156:157], v[158:159]
	v_mov_b32_e32 v156, s0
	s_add_i32 s0, s0, 1
	v_cndmask_b32_e32 v241, v241, v165, vcc
	v_cndmask_b32_e32 v240, v240, v164, vcc
	v_cndmask_b32_e32 v243, v243, v167, vcc
	v_cndmask_b32_e32 v242, v242, v166, vcc
	v_cndmask_b32_e32 v250, v250, v156, vcc
	s_cmp_lg_u32 s20, s0
	s_cbranch_scc1 .LBB118_316
.LBB118_317:
	s_waitcnt lgkmcnt(0)
	v_cmp_eq_f64_e32 vcc, 0, v[240:241]
	v_cmp_eq_f64_e64 s[0:1], 0, v[242:243]
	s_and_b64 s[0:1], vcc, s[0:1]
	s_and_saveexec_b64 s[16:17], s[0:1]
	s_xor_b64 s[0:1], exec, s[16:17]
; %bb.318:
	v_cmp_ne_u32_e32 vcc, 0, v254
	s_nop 1
	v_cndmask_b32_e32 v254, 16, v254, vcc
; %bb.319:
	s_andn2_saveexec_b64 s[0:1], s[0:1]
	s_cbranch_execz .LBB118_325
; %bb.320:
	v_cmp_ngt_f64_e64 s[16:17], |v[240:241]|, |v[242:243]|
	s_and_saveexec_b64 s[18:19], s[16:17]
	s_xor_b64 s[16:17], exec, s[18:19]
	s_cbranch_execz .LBB118_322
; %bb.321:
	v_div_scale_f64 v[156:157], s[18:19], v[242:243], v[242:243], v[240:241]
	v_rcp_f64_e32 v[158:159], v[156:157]
	v_div_scale_f64 v[164:165], vcc, v[240:241], v[242:243], v[240:241]
	v_fma_f64 v[166:167], -v[156:157], v[158:159], 1.0
	v_fmac_f64_e32 v[158:159], v[158:159], v[166:167]
	v_fma_f64 v[166:167], -v[156:157], v[158:159], 1.0
	v_fmac_f64_e32 v[158:159], v[158:159], v[166:167]
	v_mul_f64 v[166:167], v[164:165], v[158:159]
	v_fma_f64 v[156:157], -v[156:157], v[166:167], v[164:165]
	v_div_fmas_f64 v[156:157], v[156:157], v[158:159], v[166:167]
	v_div_fixup_f64 v[156:157], v[156:157], v[242:243], v[240:241]
	v_fmac_f64_e32 v[242:243], v[240:241], v[156:157]
	v_div_scale_f64 v[158:159], s[18:19], v[242:243], v[242:243], 1.0
	v_rcp_f64_e32 v[164:165], v[158:159]
	s_nop 0
	v_fma_f64 v[166:167], -v[158:159], v[164:165], 1.0
	v_fmac_f64_e32 v[164:165], v[164:165], v[166:167]
	v_fma_f64 v[166:167], -v[158:159], v[164:165], 1.0
	v_fmac_f64_e32 v[164:165], v[164:165], v[166:167]
	v_div_scale_f64 v[166:167], vcc, 1.0, v[242:243], 1.0
	v_mul_f64 v[216:217], v[166:167], v[164:165]
	v_fma_f64 v[158:159], -v[158:159], v[216:217], v[166:167]
	s_nop 1
	v_div_fmas_f64 v[158:159], v[158:159], v[164:165], v[216:217]
	v_div_fixup_f64 v[242:243], v[158:159], v[242:243], 1.0
	v_mul_f64 v[240:241], v[156:157], v[242:243]
	v_xor_b32_e32 v243, 0x80000000, v243
.LBB118_322:
	s_andn2_saveexec_b64 s[16:17], s[16:17]
	s_cbranch_execz .LBB118_324
; %bb.323:
	v_div_scale_f64 v[156:157], s[18:19], v[240:241], v[240:241], v[242:243]
	v_rcp_f64_e32 v[158:159], v[156:157]
	v_div_scale_f64 v[164:165], vcc, v[242:243], v[240:241], v[242:243]
	v_fma_f64 v[166:167], -v[156:157], v[158:159], 1.0
	v_fmac_f64_e32 v[158:159], v[158:159], v[166:167]
	v_fma_f64 v[166:167], -v[156:157], v[158:159], 1.0
	v_fmac_f64_e32 v[158:159], v[158:159], v[166:167]
	v_mul_f64 v[166:167], v[164:165], v[158:159]
	v_fma_f64 v[156:157], -v[156:157], v[166:167], v[164:165]
	v_div_fmas_f64 v[156:157], v[156:157], v[158:159], v[166:167]
	v_div_fixup_f64 v[156:157], v[156:157], v[240:241], v[242:243]
	v_fmac_f64_e32 v[240:241], v[242:243], v[156:157]
	v_div_scale_f64 v[158:159], s[18:19], v[240:241], v[240:241], 1.0
	v_rcp_f64_e32 v[164:165], v[158:159]
	s_nop 0
	v_fma_f64 v[166:167], -v[158:159], v[164:165], 1.0
	v_fmac_f64_e32 v[164:165], v[164:165], v[166:167]
	v_fma_f64 v[166:167], -v[158:159], v[164:165], 1.0
	v_fmac_f64_e32 v[164:165], v[164:165], v[166:167]
	v_div_scale_f64 v[166:167], vcc, 1.0, v[240:241], 1.0
	v_mul_f64 v[216:217], v[166:167], v[164:165]
	v_fma_f64 v[158:159], -v[158:159], v[216:217], v[166:167]
	s_nop 1
	v_div_fmas_f64 v[158:159], v[158:159], v[164:165], v[216:217]
	v_div_fixup_f64 v[240:241], v[158:159], v[240:241], 1.0
	v_mul_f64 v[242:243], v[156:157], -v[240:241]
.LBB118_324:
	s_or_b64 exec, exec, s[16:17]
.LBB118_325:
	s_or_b64 exec, exec, s[0:1]
	v_cmp_ne_u32_e32 vcc, v253, v250
	s_and_saveexec_b64 s[0:1], vcc
	s_xor_b64 s[0:1], exec, s[0:1]
	s_cbranch_execz .LBB118_331
; %bb.326:
	v_cmp_eq_u32_e32 vcc, 15, v253
	s_and_saveexec_b64 s[16:17], vcc
	s_cbranch_execz .LBB118_330
; %bb.327:
	v_cmp_ne_u32_e32 vcc, 15, v250
	s_xor_b64 s[18:19], s[14:15], -1
	s_and_b64 s[22:23], s[18:19], vcc
	s_and_saveexec_b64 s[18:19], s[22:23]
	s_cbranch_execz .LBB118_329
; %bb.328:
	v_ashrrev_i32_e32 v251, 31, v250
	v_lshl_add_u64 v[156:157], v[250:251], 2, v[234:235]
	global_load_dword v158, v[156:157], off
	global_load_dword v159, v[234:235], off offset:60
	s_waitcnt vmcnt(1)
	global_store_dword v[234:235], v158, off offset:60
	s_waitcnt vmcnt(1)
	global_store_dword v[156:157], v159, off
.LBB118_329:
	s_or_b64 exec, exec, s[18:19]
	v_mov_b32_e32 v253, v250
	v_mov_b32_e32 v244, v250
.LBB118_330:
	s_or_b64 exec, exec, s[16:17]
.LBB118_331:
	s_andn2_saveexec_b64 s[0:1], s[0:1]
	s_cbranch_execz .LBB118_333
; %bb.332:
	v_mov_b32_e32 v253, 15
	ds_write2_b64 v252, v[176:177], v[178:179] offset0:32 offset1:33
	ds_write2_b64 v252, v[172:173], v[174:175] offset0:34 offset1:35
	;; [unrolled: 1-line block ×44, first 2 shown]
.LBB118_333:
	s_or_b64 exec, exec, s[0:1]
	v_cmp_lt_i32_e32 vcc, 15, v253
	s_waitcnt lgkmcnt(0)
	s_barrier
	s_and_saveexec_b64 s[0:1], vcc
	s_cbranch_execz .LBB118_335
; %bb.334:
	ds_read2_b64 v[164:167], v252 offset0:32 offset1:33
	v_mul_f64 v[156:157], v[242:243], v[182:183]
	v_mul_f64 v[182:183], v[240:241], v[182:183]
	v_fmac_f64_e32 v[182:183], v[242:243], v[180:181]
	v_fma_f64 v[250:251], v[240:241], v[180:181], -v[156:157]
	s_waitcnt lgkmcnt(0)
	v_mul_f64 v[156:157], v[166:167], v[182:183]
	v_mul_f64 v[158:159], v[164:165], v[182:183]
	v_fma_f64 v[156:157], v[164:165], v[250:251], -v[156:157]
	v_fmac_f64_e32 v[158:159], v[166:167], v[250:251]
	ds_read2_b64 v[164:167], v252 offset0:34 offset1:35
	v_add_f64 v[176:177], v[176:177], -v[156:157]
	v_add_f64 v[178:179], v[178:179], -v[158:159]
	v_mov_b64_e32 v[180:181], v[250:251]
	s_waitcnt lgkmcnt(0)
	v_mul_f64 v[156:157], v[166:167], v[182:183]
	v_mul_f64 v[158:159], v[164:165], v[182:183]
	v_fma_f64 v[156:157], v[164:165], v[250:251], -v[156:157]
	v_fmac_f64_e32 v[158:159], v[166:167], v[250:251]
	ds_read2_b64 v[164:167], v252 offset0:36 offset1:37
	v_add_f64 v[172:173], v[172:173], -v[156:157]
	v_add_f64 v[174:175], v[174:175], -v[158:159]
	s_waitcnt lgkmcnt(0)
	v_mul_f64 v[156:157], v[166:167], v[182:183]
	v_mul_f64 v[158:159], v[164:165], v[182:183]
	v_fma_f64 v[156:157], v[164:165], v[250:251], -v[156:157]
	v_fmac_f64_e32 v[158:159], v[166:167], v[250:251]
	ds_read2_b64 v[164:167], v252 offset0:38 offset1:39
	v_add_f64 v[168:169], v[168:169], -v[156:157]
	v_add_f64 v[170:171], v[170:171], -v[158:159]
	;; [unrolled: 8-line block ×42, first 2 shown]
	s_waitcnt lgkmcnt(0)
	v_mul_f64 v[156:157], v[166:167], v[182:183]
	v_mul_f64 v[158:159], v[164:165], v[182:183]
	v_fma_f64 v[156:157], v[164:165], v[250:251], -v[156:157]
	v_fmac_f64_e32 v[158:159], v[166:167], v[250:251]
	v_add_f64 v[236:237], v[236:237], -v[156:157]
	v_add_f64 v[238:239], v[238:239], -v[158:159]
.LBB118_335:
	s_or_b64 exec, exec, s[0:1]
	v_lshl_add_u32 v156, v253, 4, v252
	s_barrier
	ds_write2_b64 v156, v[176:177], v[178:179] offset1:1
	s_waitcnt lgkmcnt(0)
	s_barrier
	ds_read2_b64 v[240:243], v252 offset0:32 offset1:33
	s_cmp_lt_i32 s20, 18
	v_mov_b32_e32 v250, 16
	s_cbranch_scc1 .LBB118_338
; %bb.336:
	v_add_u32_e32 v246, 0x110, v252
	s_mov_b32 s0, 17
	v_mov_b32_e32 v250, 16
.LBB118_337:                            ; =>This Inner Loop Header: Depth=1
	ds_read2_b64 v[164:167], v246 offset1:1
	s_waitcnt lgkmcnt(1)
	v_cmp_gt_f64_e32 vcc, 0, v[240:241]
	v_xor_b32_e32 v156, 0x80000000, v241
	v_xor_b32_e32 v158, 0x80000000, v243
	v_cndmask_b32_e32 v157, v241, v156, vcc
	v_cmp_gt_f64_e32 vcc, 0, v[242:243]
	v_mov_b32_e32 v156, v240
	s_waitcnt lgkmcnt(0)
	v_xor_b32_e32 v216, 0x80000000, v167
	v_cndmask_b32_e32 v159, v243, v158, vcc
	v_mov_b32_e32 v158, v242
	v_add_f64 v[156:157], v[156:157], v[158:159]
	v_cmp_gt_f64_e32 vcc, 0, v[164:165]
	v_xor_b32_e32 v158, 0x80000000, v165
	v_add_u32_e32 v246, 16, v246
	v_cndmask_b32_e32 v159, v165, v158, vcc
	v_cmp_gt_f64_e32 vcc, 0, v[166:167]
	v_mov_b32_e32 v158, v164
	s_nop 0
	v_cndmask_b32_e32 v217, v167, v216, vcc
	v_mov_b32_e32 v216, v166
	v_add_f64 v[158:159], v[158:159], v[216:217]
	v_cmp_lt_f64_e32 vcc, v[156:157], v[158:159]
	v_mov_b32_e32 v156, s0
	s_add_i32 s0, s0, 1
	v_cndmask_b32_e32 v241, v241, v165, vcc
	v_cndmask_b32_e32 v240, v240, v164, vcc
	;; [unrolled: 1-line block ×5, first 2 shown]
	s_cmp_lg_u32 s20, s0
	s_cbranch_scc1 .LBB118_337
.LBB118_338:
	s_waitcnt lgkmcnt(0)
	v_cmp_eq_f64_e32 vcc, 0, v[240:241]
	v_cmp_eq_f64_e64 s[0:1], 0, v[242:243]
	s_and_b64 s[0:1], vcc, s[0:1]
	s_and_saveexec_b64 s[16:17], s[0:1]
	s_xor_b64 s[0:1], exec, s[16:17]
; %bb.339:
	v_cmp_ne_u32_e32 vcc, 0, v254
	s_nop 1
	v_cndmask_b32_e32 v254, 17, v254, vcc
; %bb.340:
	s_andn2_saveexec_b64 s[0:1], s[0:1]
	s_cbranch_execz .LBB118_346
; %bb.341:
	v_cmp_ngt_f64_e64 s[16:17], |v[240:241]|, |v[242:243]|
	s_and_saveexec_b64 s[18:19], s[16:17]
	s_xor_b64 s[16:17], exec, s[18:19]
	s_cbranch_execz .LBB118_343
; %bb.342:
	v_div_scale_f64 v[156:157], s[18:19], v[242:243], v[242:243], v[240:241]
	v_rcp_f64_e32 v[158:159], v[156:157]
	v_div_scale_f64 v[164:165], vcc, v[240:241], v[242:243], v[240:241]
	v_fma_f64 v[166:167], -v[156:157], v[158:159], 1.0
	v_fmac_f64_e32 v[158:159], v[158:159], v[166:167]
	v_fma_f64 v[166:167], -v[156:157], v[158:159], 1.0
	v_fmac_f64_e32 v[158:159], v[158:159], v[166:167]
	v_mul_f64 v[166:167], v[164:165], v[158:159]
	v_fma_f64 v[156:157], -v[156:157], v[166:167], v[164:165]
	v_div_fmas_f64 v[156:157], v[156:157], v[158:159], v[166:167]
	v_div_fixup_f64 v[156:157], v[156:157], v[242:243], v[240:241]
	v_fmac_f64_e32 v[242:243], v[240:241], v[156:157]
	v_div_scale_f64 v[158:159], s[18:19], v[242:243], v[242:243], 1.0
	v_rcp_f64_e32 v[164:165], v[158:159]
	s_nop 0
	v_fma_f64 v[166:167], -v[158:159], v[164:165], 1.0
	v_fmac_f64_e32 v[164:165], v[164:165], v[166:167]
	v_fma_f64 v[166:167], -v[158:159], v[164:165], 1.0
	v_fmac_f64_e32 v[164:165], v[164:165], v[166:167]
	v_div_scale_f64 v[166:167], vcc, 1.0, v[242:243], 1.0
	v_mul_f64 v[216:217], v[166:167], v[164:165]
	v_fma_f64 v[158:159], -v[158:159], v[216:217], v[166:167]
	s_nop 1
	v_div_fmas_f64 v[158:159], v[158:159], v[164:165], v[216:217]
	v_div_fixup_f64 v[242:243], v[158:159], v[242:243], 1.0
	v_mul_f64 v[240:241], v[156:157], v[242:243]
	v_xor_b32_e32 v243, 0x80000000, v243
.LBB118_343:
	s_andn2_saveexec_b64 s[16:17], s[16:17]
	s_cbranch_execz .LBB118_345
; %bb.344:
	v_div_scale_f64 v[156:157], s[18:19], v[240:241], v[240:241], v[242:243]
	v_rcp_f64_e32 v[158:159], v[156:157]
	v_div_scale_f64 v[164:165], vcc, v[242:243], v[240:241], v[242:243]
	v_fma_f64 v[166:167], -v[156:157], v[158:159], 1.0
	v_fmac_f64_e32 v[158:159], v[158:159], v[166:167]
	v_fma_f64 v[166:167], -v[156:157], v[158:159], 1.0
	v_fmac_f64_e32 v[158:159], v[158:159], v[166:167]
	v_mul_f64 v[166:167], v[164:165], v[158:159]
	v_fma_f64 v[156:157], -v[156:157], v[166:167], v[164:165]
	v_div_fmas_f64 v[156:157], v[156:157], v[158:159], v[166:167]
	v_div_fixup_f64 v[156:157], v[156:157], v[240:241], v[242:243]
	v_fmac_f64_e32 v[240:241], v[242:243], v[156:157]
	v_div_scale_f64 v[158:159], s[18:19], v[240:241], v[240:241], 1.0
	v_rcp_f64_e32 v[164:165], v[158:159]
	s_nop 0
	v_fma_f64 v[166:167], -v[158:159], v[164:165], 1.0
	v_fmac_f64_e32 v[164:165], v[164:165], v[166:167]
	v_fma_f64 v[166:167], -v[158:159], v[164:165], 1.0
	v_fmac_f64_e32 v[164:165], v[164:165], v[166:167]
	v_div_scale_f64 v[166:167], vcc, 1.0, v[240:241], 1.0
	v_mul_f64 v[216:217], v[166:167], v[164:165]
	v_fma_f64 v[158:159], -v[158:159], v[216:217], v[166:167]
	s_nop 1
	v_div_fmas_f64 v[158:159], v[158:159], v[164:165], v[216:217]
	v_div_fixup_f64 v[240:241], v[158:159], v[240:241], 1.0
	v_mul_f64 v[242:243], v[156:157], -v[240:241]
.LBB118_345:
	s_or_b64 exec, exec, s[16:17]
.LBB118_346:
	s_or_b64 exec, exec, s[0:1]
	v_cmp_ne_u32_e32 vcc, v253, v250
	s_and_saveexec_b64 s[0:1], vcc
	s_xor_b64 s[0:1], exec, s[0:1]
	s_cbranch_execz .LBB118_352
; %bb.347:
	v_cmp_eq_u32_e32 vcc, 16, v253
	s_and_saveexec_b64 s[16:17], vcc
	s_cbranch_execz .LBB118_351
; %bb.348:
	v_cmp_ne_u32_e32 vcc, 16, v250
	s_xor_b64 s[18:19], s[14:15], -1
	s_and_b64 s[22:23], s[18:19], vcc
	s_and_saveexec_b64 s[18:19], s[22:23]
	s_cbranch_execz .LBB118_350
; %bb.349:
	v_ashrrev_i32_e32 v251, 31, v250
	v_lshl_add_u64 v[156:157], v[250:251], 2, v[234:235]
	global_load_dword v158, v[156:157], off
	global_load_dword v159, v[234:235], off offset:64
	s_waitcnt vmcnt(1)
	global_store_dword v[234:235], v158, off offset:64
	s_waitcnt vmcnt(1)
	global_store_dword v[156:157], v159, off
.LBB118_350:
	s_or_b64 exec, exec, s[18:19]
	v_mov_b32_e32 v253, v250
	v_mov_b32_e32 v244, v250
.LBB118_351:
	s_or_b64 exec, exec, s[16:17]
.LBB118_352:
	s_andn2_saveexec_b64 s[0:1], s[0:1]
	s_cbranch_execz .LBB118_354
; %bb.353:
	v_mov_b32_e32 v253, 16
	ds_write2_b64 v252, v[172:173], v[174:175] offset0:34 offset1:35
	ds_write2_b64 v252, v[168:169], v[170:171] offset0:36 offset1:37
	;; [unrolled: 1-line block ×43, first 2 shown]
.LBB118_354:
	s_or_b64 exec, exec, s[0:1]
	v_cmp_lt_i32_e32 vcc, 16, v253
	s_waitcnt lgkmcnt(0)
	s_barrier
	s_and_saveexec_b64 s[0:1], vcc
	s_cbranch_execz .LBB118_356
; %bb.355:
	ds_read2_b64 v[164:167], v252 offset0:34 offset1:35
	v_mul_f64 v[156:157], v[242:243], v[178:179]
	v_mul_f64 v[178:179], v[240:241], v[178:179]
	v_fmac_f64_e32 v[178:179], v[242:243], v[176:177]
	v_fma_f64 v[250:251], v[240:241], v[176:177], -v[156:157]
	s_waitcnt lgkmcnt(0)
	v_mul_f64 v[156:157], v[166:167], v[178:179]
	v_mul_f64 v[158:159], v[164:165], v[178:179]
	v_fma_f64 v[156:157], v[164:165], v[250:251], -v[156:157]
	v_fmac_f64_e32 v[158:159], v[166:167], v[250:251]
	ds_read2_b64 v[164:167], v252 offset0:36 offset1:37
	v_add_f64 v[172:173], v[172:173], -v[156:157]
	v_add_f64 v[174:175], v[174:175], -v[158:159]
	v_mov_b64_e32 v[176:177], v[250:251]
	s_waitcnt lgkmcnt(0)
	v_mul_f64 v[156:157], v[166:167], v[178:179]
	v_mul_f64 v[158:159], v[164:165], v[178:179]
	v_fma_f64 v[156:157], v[164:165], v[250:251], -v[156:157]
	v_fmac_f64_e32 v[158:159], v[166:167], v[250:251]
	ds_read2_b64 v[164:167], v252 offset0:38 offset1:39
	v_add_f64 v[168:169], v[168:169], -v[156:157]
	v_add_f64 v[170:171], v[170:171], -v[158:159]
	s_waitcnt lgkmcnt(0)
	v_mul_f64 v[156:157], v[166:167], v[178:179]
	v_mul_f64 v[158:159], v[164:165], v[178:179]
	v_fma_f64 v[156:157], v[164:165], v[250:251], -v[156:157]
	v_fmac_f64_e32 v[158:159], v[166:167], v[250:251]
	ds_read2_b64 v[164:167], v252 offset0:40 offset1:41
	v_add_f64 v[160:161], v[160:161], -v[156:157]
	v_add_f64 v[162:163], v[162:163], -v[158:159]
	;; [unrolled: 8-line block ×41, first 2 shown]
	s_waitcnt lgkmcnt(0)
	v_mul_f64 v[156:157], v[166:167], v[178:179]
	v_mul_f64 v[158:159], v[164:165], v[178:179]
	v_fma_f64 v[156:157], v[164:165], v[250:251], -v[156:157]
	v_fmac_f64_e32 v[158:159], v[166:167], v[250:251]
	v_add_f64 v[236:237], v[236:237], -v[156:157]
	v_add_f64 v[238:239], v[238:239], -v[158:159]
.LBB118_356:
	s_or_b64 exec, exec, s[0:1]
	v_lshl_add_u32 v156, v253, 4, v252
	s_barrier
	ds_write2_b64 v156, v[172:173], v[174:175] offset1:1
	s_waitcnt lgkmcnt(0)
	s_barrier
	ds_read2_b64 v[240:243], v252 offset0:34 offset1:35
	s_cmp_lt_i32 s20, 19
	v_mov_b32_e32 v250, 17
	s_cbranch_scc1 .LBB118_359
; %bb.357:
	v_add_u32_e32 v246, 0x120, v252
	s_mov_b32 s0, 18
	v_mov_b32_e32 v250, 17
.LBB118_358:                            ; =>This Inner Loop Header: Depth=1
	ds_read2_b64 v[164:167], v246 offset1:1
	s_waitcnt lgkmcnt(1)
	v_cmp_gt_f64_e32 vcc, 0, v[240:241]
	v_xor_b32_e32 v156, 0x80000000, v241
	v_xor_b32_e32 v158, 0x80000000, v243
	v_cndmask_b32_e32 v157, v241, v156, vcc
	v_cmp_gt_f64_e32 vcc, 0, v[242:243]
	v_mov_b32_e32 v156, v240
	s_waitcnt lgkmcnt(0)
	v_xor_b32_e32 v216, 0x80000000, v167
	v_cndmask_b32_e32 v159, v243, v158, vcc
	v_mov_b32_e32 v158, v242
	v_add_f64 v[156:157], v[156:157], v[158:159]
	v_cmp_gt_f64_e32 vcc, 0, v[164:165]
	v_xor_b32_e32 v158, 0x80000000, v165
	v_add_u32_e32 v246, 16, v246
	v_cndmask_b32_e32 v159, v165, v158, vcc
	v_cmp_gt_f64_e32 vcc, 0, v[166:167]
	v_mov_b32_e32 v158, v164
	s_nop 0
	v_cndmask_b32_e32 v217, v167, v216, vcc
	v_mov_b32_e32 v216, v166
	v_add_f64 v[158:159], v[158:159], v[216:217]
	v_cmp_lt_f64_e32 vcc, v[156:157], v[158:159]
	v_mov_b32_e32 v156, s0
	s_add_i32 s0, s0, 1
	v_cndmask_b32_e32 v241, v241, v165, vcc
	v_cndmask_b32_e32 v240, v240, v164, vcc
	;; [unrolled: 1-line block ×5, first 2 shown]
	s_cmp_lg_u32 s20, s0
	s_cbranch_scc1 .LBB118_358
.LBB118_359:
	s_waitcnt lgkmcnt(0)
	v_cmp_eq_f64_e32 vcc, 0, v[240:241]
	v_cmp_eq_f64_e64 s[0:1], 0, v[242:243]
	s_and_b64 s[0:1], vcc, s[0:1]
	s_and_saveexec_b64 s[16:17], s[0:1]
	s_xor_b64 s[0:1], exec, s[16:17]
; %bb.360:
	v_cmp_ne_u32_e32 vcc, 0, v254
	s_nop 1
	v_cndmask_b32_e32 v254, 18, v254, vcc
; %bb.361:
	s_andn2_saveexec_b64 s[0:1], s[0:1]
	s_cbranch_execz .LBB118_367
; %bb.362:
	v_cmp_ngt_f64_e64 s[16:17], |v[240:241]|, |v[242:243]|
	s_and_saveexec_b64 s[18:19], s[16:17]
	s_xor_b64 s[16:17], exec, s[18:19]
	s_cbranch_execz .LBB118_364
; %bb.363:
	v_div_scale_f64 v[156:157], s[18:19], v[242:243], v[242:243], v[240:241]
	v_rcp_f64_e32 v[158:159], v[156:157]
	v_div_scale_f64 v[164:165], vcc, v[240:241], v[242:243], v[240:241]
	v_fma_f64 v[166:167], -v[156:157], v[158:159], 1.0
	v_fmac_f64_e32 v[158:159], v[158:159], v[166:167]
	v_fma_f64 v[166:167], -v[156:157], v[158:159], 1.0
	v_fmac_f64_e32 v[158:159], v[158:159], v[166:167]
	v_mul_f64 v[166:167], v[164:165], v[158:159]
	v_fma_f64 v[156:157], -v[156:157], v[166:167], v[164:165]
	v_div_fmas_f64 v[156:157], v[156:157], v[158:159], v[166:167]
	v_div_fixup_f64 v[156:157], v[156:157], v[242:243], v[240:241]
	v_fmac_f64_e32 v[242:243], v[240:241], v[156:157]
	v_div_scale_f64 v[158:159], s[18:19], v[242:243], v[242:243], 1.0
	v_rcp_f64_e32 v[164:165], v[158:159]
	s_nop 0
	v_fma_f64 v[166:167], -v[158:159], v[164:165], 1.0
	v_fmac_f64_e32 v[164:165], v[164:165], v[166:167]
	v_fma_f64 v[166:167], -v[158:159], v[164:165], 1.0
	v_fmac_f64_e32 v[164:165], v[164:165], v[166:167]
	v_div_scale_f64 v[166:167], vcc, 1.0, v[242:243], 1.0
	v_mul_f64 v[216:217], v[166:167], v[164:165]
	v_fma_f64 v[158:159], -v[158:159], v[216:217], v[166:167]
	s_nop 1
	v_div_fmas_f64 v[158:159], v[158:159], v[164:165], v[216:217]
	v_div_fixup_f64 v[242:243], v[158:159], v[242:243], 1.0
	v_mul_f64 v[240:241], v[156:157], v[242:243]
	v_xor_b32_e32 v243, 0x80000000, v243
.LBB118_364:
	s_andn2_saveexec_b64 s[16:17], s[16:17]
	s_cbranch_execz .LBB118_366
; %bb.365:
	v_div_scale_f64 v[156:157], s[18:19], v[240:241], v[240:241], v[242:243]
	v_rcp_f64_e32 v[158:159], v[156:157]
	v_div_scale_f64 v[164:165], vcc, v[242:243], v[240:241], v[242:243]
	v_fma_f64 v[166:167], -v[156:157], v[158:159], 1.0
	v_fmac_f64_e32 v[158:159], v[158:159], v[166:167]
	v_fma_f64 v[166:167], -v[156:157], v[158:159], 1.0
	v_fmac_f64_e32 v[158:159], v[158:159], v[166:167]
	v_mul_f64 v[166:167], v[164:165], v[158:159]
	v_fma_f64 v[156:157], -v[156:157], v[166:167], v[164:165]
	v_div_fmas_f64 v[156:157], v[156:157], v[158:159], v[166:167]
	v_div_fixup_f64 v[156:157], v[156:157], v[240:241], v[242:243]
	v_fmac_f64_e32 v[240:241], v[242:243], v[156:157]
	v_div_scale_f64 v[158:159], s[18:19], v[240:241], v[240:241], 1.0
	v_rcp_f64_e32 v[164:165], v[158:159]
	s_nop 0
	v_fma_f64 v[166:167], -v[158:159], v[164:165], 1.0
	v_fmac_f64_e32 v[164:165], v[164:165], v[166:167]
	v_fma_f64 v[166:167], -v[158:159], v[164:165], 1.0
	v_fmac_f64_e32 v[164:165], v[164:165], v[166:167]
	v_div_scale_f64 v[166:167], vcc, 1.0, v[240:241], 1.0
	v_mul_f64 v[216:217], v[166:167], v[164:165]
	v_fma_f64 v[158:159], -v[158:159], v[216:217], v[166:167]
	s_nop 1
	v_div_fmas_f64 v[158:159], v[158:159], v[164:165], v[216:217]
	v_div_fixup_f64 v[240:241], v[158:159], v[240:241], 1.0
	v_mul_f64 v[242:243], v[156:157], -v[240:241]
.LBB118_366:
	s_or_b64 exec, exec, s[16:17]
.LBB118_367:
	s_or_b64 exec, exec, s[0:1]
	v_cmp_ne_u32_e32 vcc, v253, v250
	s_and_saveexec_b64 s[0:1], vcc
	s_xor_b64 s[0:1], exec, s[0:1]
	s_cbranch_execz .LBB118_373
; %bb.368:
	v_cmp_eq_u32_e32 vcc, 17, v253
	s_and_saveexec_b64 s[16:17], vcc
	s_cbranch_execz .LBB118_372
; %bb.369:
	v_cmp_ne_u32_e32 vcc, 17, v250
	s_xor_b64 s[18:19], s[14:15], -1
	s_and_b64 s[22:23], s[18:19], vcc
	s_and_saveexec_b64 s[18:19], s[22:23]
	s_cbranch_execz .LBB118_371
; %bb.370:
	v_ashrrev_i32_e32 v251, 31, v250
	v_lshl_add_u64 v[156:157], v[250:251], 2, v[234:235]
	global_load_dword v158, v[156:157], off
	global_load_dword v159, v[234:235], off offset:68
	s_waitcnt vmcnt(1)
	global_store_dword v[234:235], v158, off offset:68
	s_waitcnt vmcnt(1)
	global_store_dword v[156:157], v159, off
.LBB118_371:
	s_or_b64 exec, exec, s[18:19]
	v_mov_b32_e32 v253, v250
	v_mov_b32_e32 v244, v250
.LBB118_372:
	s_or_b64 exec, exec, s[16:17]
.LBB118_373:
	s_andn2_saveexec_b64 s[0:1], s[0:1]
	s_cbranch_execz .LBB118_375
; %bb.374:
	v_mov_b32_e32 v253, 17
	ds_write2_b64 v252, v[168:169], v[170:171] offset0:36 offset1:37
	ds_write2_b64 v252, v[160:161], v[162:163] offset0:38 offset1:39
	;; [unrolled: 1-line block ×42, first 2 shown]
.LBB118_375:
	s_or_b64 exec, exec, s[0:1]
	v_cmp_lt_i32_e32 vcc, 17, v253
	s_waitcnt lgkmcnt(0)
	s_barrier
	s_and_saveexec_b64 s[0:1], vcc
	s_cbranch_execz .LBB118_377
; %bb.376:
	ds_read2_b64 v[164:167], v252 offset0:36 offset1:37
	v_mul_f64 v[156:157], v[242:243], v[174:175]
	v_mul_f64 v[174:175], v[240:241], v[174:175]
	v_fmac_f64_e32 v[174:175], v[242:243], v[172:173]
	v_fma_f64 v[250:251], v[240:241], v[172:173], -v[156:157]
	s_waitcnt lgkmcnt(0)
	v_mul_f64 v[156:157], v[166:167], v[174:175]
	v_mul_f64 v[158:159], v[164:165], v[174:175]
	v_fma_f64 v[156:157], v[164:165], v[250:251], -v[156:157]
	v_fmac_f64_e32 v[158:159], v[166:167], v[250:251]
	ds_read2_b64 v[164:167], v252 offset0:38 offset1:39
	v_add_f64 v[168:169], v[168:169], -v[156:157]
	v_add_f64 v[170:171], v[170:171], -v[158:159]
	v_mov_b64_e32 v[172:173], v[250:251]
	s_waitcnt lgkmcnt(0)
	v_mul_f64 v[156:157], v[166:167], v[174:175]
	v_mul_f64 v[158:159], v[164:165], v[174:175]
	v_fma_f64 v[156:157], v[164:165], v[250:251], -v[156:157]
	v_fmac_f64_e32 v[158:159], v[166:167], v[250:251]
	ds_read2_b64 v[164:167], v252 offset0:40 offset1:41
	v_add_f64 v[160:161], v[160:161], -v[156:157]
	v_add_f64 v[162:163], v[162:163], -v[158:159]
	s_waitcnt lgkmcnt(0)
	v_mul_f64 v[156:157], v[166:167], v[174:175]
	v_mul_f64 v[158:159], v[164:165], v[174:175]
	v_fma_f64 v[156:157], v[164:165], v[250:251], -v[156:157]
	v_fmac_f64_e32 v[158:159], v[166:167], v[250:251]
	ds_read2_b64 v[164:167], v252 offset0:42 offset1:43
	v_add_f64 v[208:209], v[208:209], -v[156:157]
	v_add_f64 v[210:211], v[210:211], -v[158:159]
	s_waitcnt lgkmcnt(0)
	v_mul_f64 v[156:157], v[166:167], v[174:175]
	v_mul_f64 v[158:159], v[164:165], v[174:175]
	v_fma_f64 v[156:157], v[164:165], v[250:251], -v[156:157]
	v_fmac_f64_e32 v[158:159], v[166:167], v[250:251]
	ds_read2_b64 v[164:167], v252 offset0:44 offset1:45
	v_add_f64 v[148:149], v[148:149], -v[156:157]
	v_add_f64 v[150:151], v[150:151], -v[158:159]
	s_waitcnt lgkmcnt(0)
	v_mul_f64 v[156:157], v[166:167], v[174:175]
	v_mul_f64 v[158:159], v[164:165], v[174:175]
	v_fma_f64 v[156:157], v[164:165], v[250:251], -v[156:157]
	v_fmac_f64_e32 v[158:159], v[166:167], v[250:251]
	ds_read2_b64 v[164:167], v252 offset0:46 offset1:47
	v_add_f64 v[144:145], v[144:145], -v[156:157]
	v_add_f64 v[146:147], v[146:147], -v[158:159]
	s_waitcnt lgkmcnt(0)
	v_mul_f64 v[156:157], v[166:167], v[174:175]
	v_mul_f64 v[158:159], v[164:165], v[174:175]
	v_fma_f64 v[156:157], v[164:165], v[250:251], -v[156:157]
	v_fmac_f64_e32 v[158:159], v[166:167], v[250:251]
	ds_read2_b64 v[164:167], v252 offset0:48 offset1:49
	v_add_f64 v[140:141], v[140:141], -v[156:157]
	v_add_f64 v[142:143], v[142:143], -v[158:159]
	s_waitcnt lgkmcnt(0)
	v_mul_f64 v[156:157], v[166:167], v[174:175]
	v_mul_f64 v[158:159], v[164:165], v[174:175]
	v_fma_f64 v[156:157], v[164:165], v[250:251], -v[156:157]
	v_fmac_f64_e32 v[158:159], v[166:167], v[250:251]
	ds_read2_b64 v[164:167], v252 offset0:50 offset1:51
	v_add_f64 v[136:137], v[136:137], -v[156:157]
	v_add_f64 v[138:139], v[138:139], -v[158:159]
	s_waitcnt lgkmcnt(0)
	v_mul_f64 v[156:157], v[166:167], v[174:175]
	v_mul_f64 v[158:159], v[164:165], v[174:175]
	v_fma_f64 v[156:157], v[164:165], v[250:251], -v[156:157]
	v_fmac_f64_e32 v[158:159], v[166:167], v[250:251]
	ds_read2_b64 v[164:167], v252 offset0:52 offset1:53
	v_add_f64 v[132:133], v[132:133], -v[156:157]
	v_add_f64 v[134:135], v[134:135], -v[158:159]
	s_waitcnt lgkmcnt(0)
	v_mul_f64 v[156:157], v[166:167], v[174:175]
	v_mul_f64 v[158:159], v[164:165], v[174:175]
	v_fma_f64 v[156:157], v[164:165], v[250:251], -v[156:157]
	v_fmac_f64_e32 v[158:159], v[166:167], v[250:251]
	ds_read2_b64 v[164:167], v252 offset0:54 offset1:55
	v_add_f64 v[128:129], v[128:129], -v[156:157]
	v_add_f64 v[130:131], v[130:131], -v[158:159]
	s_waitcnt lgkmcnt(0)
	v_mul_f64 v[156:157], v[166:167], v[174:175]
	v_mul_f64 v[158:159], v[164:165], v[174:175]
	v_fma_f64 v[156:157], v[164:165], v[250:251], -v[156:157]
	v_fmac_f64_e32 v[158:159], v[166:167], v[250:251]
	ds_read2_b64 v[164:167], v252 offset0:56 offset1:57
	v_add_f64 v[124:125], v[124:125], -v[156:157]
	v_add_f64 v[126:127], v[126:127], -v[158:159]
	s_waitcnt lgkmcnt(0)
	v_mul_f64 v[156:157], v[166:167], v[174:175]
	v_mul_f64 v[158:159], v[164:165], v[174:175]
	v_fma_f64 v[156:157], v[164:165], v[250:251], -v[156:157]
	v_fmac_f64_e32 v[158:159], v[166:167], v[250:251]
	ds_read2_b64 v[164:167], v252 offset0:58 offset1:59
	v_add_f64 v[120:121], v[120:121], -v[156:157]
	v_add_f64 v[122:123], v[122:123], -v[158:159]
	s_waitcnt lgkmcnt(0)
	v_mul_f64 v[156:157], v[166:167], v[174:175]
	v_mul_f64 v[158:159], v[164:165], v[174:175]
	v_fma_f64 v[156:157], v[164:165], v[250:251], -v[156:157]
	v_fmac_f64_e32 v[158:159], v[166:167], v[250:251]
	ds_read2_b64 v[164:167], v252 offset0:60 offset1:61
	v_add_f64 v[116:117], v[116:117], -v[156:157]
	v_add_f64 v[118:119], v[118:119], -v[158:159]
	s_waitcnt lgkmcnt(0)
	v_mul_f64 v[156:157], v[166:167], v[174:175]
	v_mul_f64 v[158:159], v[164:165], v[174:175]
	v_fma_f64 v[156:157], v[164:165], v[250:251], -v[156:157]
	v_fmac_f64_e32 v[158:159], v[166:167], v[250:251]
	ds_read2_b64 v[164:167], v252 offset0:62 offset1:63
	v_add_f64 v[112:113], v[112:113], -v[156:157]
	v_add_f64 v[114:115], v[114:115], -v[158:159]
	s_waitcnt lgkmcnt(0)
	v_mul_f64 v[156:157], v[166:167], v[174:175]
	v_mul_f64 v[158:159], v[164:165], v[174:175]
	v_fma_f64 v[156:157], v[164:165], v[250:251], -v[156:157]
	v_fmac_f64_e32 v[158:159], v[166:167], v[250:251]
	ds_read2_b64 v[164:167], v252 offset0:64 offset1:65
	v_add_f64 v[108:109], v[108:109], -v[156:157]
	v_add_f64 v[110:111], v[110:111], -v[158:159]
	s_waitcnt lgkmcnt(0)
	v_mul_f64 v[156:157], v[166:167], v[174:175]
	v_mul_f64 v[158:159], v[164:165], v[174:175]
	v_fma_f64 v[156:157], v[164:165], v[250:251], -v[156:157]
	v_fmac_f64_e32 v[158:159], v[166:167], v[250:251]
	ds_read2_b64 v[164:167], v252 offset0:66 offset1:67
	v_add_f64 v[104:105], v[104:105], -v[156:157]
	v_add_f64 v[106:107], v[106:107], -v[158:159]
	s_waitcnt lgkmcnt(0)
	v_mul_f64 v[156:157], v[166:167], v[174:175]
	v_mul_f64 v[158:159], v[164:165], v[174:175]
	v_fma_f64 v[156:157], v[164:165], v[250:251], -v[156:157]
	v_fmac_f64_e32 v[158:159], v[166:167], v[250:251]
	ds_read2_b64 v[164:167], v252 offset0:68 offset1:69
	v_add_f64 v[100:101], v[100:101], -v[156:157]
	v_add_f64 v[102:103], v[102:103], -v[158:159]
	s_waitcnt lgkmcnt(0)
	v_mul_f64 v[156:157], v[166:167], v[174:175]
	v_mul_f64 v[158:159], v[164:165], v[174:175]
	v_fma_f64 v[156:157], v[164:165], v[250:251], -v[156:157]
	v_fmac_f64_e32 v[158:159], v[166:167], v[250:251]
	ds_read2_b64 v[164:167], v252 offset0:70 offset1:71
	v_add_f64 v[96:97], v[96:97], -v[156:157]
	v_add_f64 v[98:99], v[98:99], -v[158:159]
	s_waitcnt lgkmcnt(0)
	v_mul_f64 v[156:157], v[166:167], v[174:175]
	v_mul_f64 v[158:159], v[164:165], v[174:175]
	v_fma_f64 v[156:157], v[164:165], v[250:251], -v[156:157]
	v_fmac_f64_e32 v[158:159], v[166:167], v[250:251]
	ds_read2_b64 v[164:167], v252 offset0:72 offset1:73
	v_add_f64 v[92:93], v[92:93], -v[156:157]
	v_add_f64 v[94:95], v[94:95], -v[158:159]
	s_waitcnt lgkmcnt(0)
	v_mul_f64 v[156:157], v[166:167], v[174:175]
	v_mul_f64 v[158:159], v[164:165], v[174:175]
	v_fma_f64 v[156:157], v[164:165], v[250:251], -v[156:157]
	v_fmac_f64_e32 v[158:159], v[166:167], v[250:251]
	ds_read2_b64 v[164:167], v252 offset0:74 offset1:75
	v_add_f64 v[88:89], v[88:89], -v[156:157]
	v_add_f64 v[90:91], v[90:91], -v[158:159]
	s_waitcnt lgkmcnt(0)
	v_mul_f64 v[156:157], v[166:167], v[174:175]
	v_mul_f64 v[158:159], v[164:165], v[174:175]
	v_fma_f64 v[156:157], v[164:165], v[250:251], -v[156:157]
	v_fmac_f64_e32 v[158:159], v[166:167], v[250:251]
	ds_read2_b64 v[164:167], v252 offset0:76 offset1:77
	v_add_f64 v[84:85], v[84:85], -v[156:157]
	v_add_f64 v[86:87], v[86:87], -v[158:159]
	s_waitcnt lgkmcnt(0)
	v_mul_f64 v[156:157], v[166:167], v[174:175]
	v_mul_f64 v[158:159], v[164:165], v[174:175]
	v_fma_f64 v[156:157], v[164:165], v[250:251], -v[156:157]
	v_fmac_f64_e32 v[158:159], v[166:167], v[250:251]
	ds_read2_b64 v[164:167], v252 offset0:78 offset1:79
	v_add_f64 v[80:81], v[80:81], -v[156:157]
	v_add_f64 v[82:83], v[82:83], -v[158:159]
	s_waitcnt lgkmcnt(0)
	v_mul_f64 v[156:157], v[166:167], v[174:175]
	v_mul_f64 v[158:159], v[164:165], v[174:175]
	v_fma_f64 v[156:157], v[164:165], v[250:251], -v[156:157]
	v_fmac_f64_e32 v[158:159], v[166:167], v[250:251]
	ds_read2_b64 v[164:167], v252 offset0:80 offset1:81
	v_add_f64 v[76:77], v[76:77], -v[156:157]
	v_add_f64 v[78:79], v[78:79], -v[158:159]
	s_waitcnt lgkmcnt(0)
	v_mul_f64 v[156:157], v[166:167], v[174:175]
	v_mul_f64 v[158:159], v[164:165], v[174:175]
	v_fma_f64 v[156:157], v[164:165], v[250:251], -v[156:157]
	v_fmac_f64_e32 v[158:159], v[166:167], v[250:251]
	ds_read2_b64 v[164:167], v252 offset0:82 offset1:83
	v_add_f64 v[72:73], v[72:73], -v[156:157]
	v_add_f64 v[74:75], v[74:75], -v[158:159]
	s_waitcnt lgkmcnt(0)
	v_mul_f64 v[156:157], v[166:167], v[174:175]
	v_mul_f64 v[158:159], v[164:165], v[174:175]
	v_fma_f64 v[156:157], v[164:165], v[250:251], -v[156:157]
	v_fmac_f64_e32 v[158:159], v[166:167], v[250:251]
	ds_read2_b64 v[164:167], v252 offset0:84 offset1:85
	v_add_f64 v[68:69], v[68:69], -v[156:157]
	v_add_f64 v[70:71], v[70:71], -v[158:159]
	s_waitcnt lgkmcnt(0)
	v_mul_f64 v[156:157], v[166:167], v[174:175]
	v_mul_f64 v[158:159], v[164:165], v[174:175]
	v_fma_f64 v[156:157], v[164:165], v[250:251], -v[156:157]
	v_fmac_f64_e32 v[158:159], v[166:167], v[250:251]
	ds_read2_b64 v[164:167], v252 offset0:86 offset1:87
	v_add_f64 v[64:65], v[64:65], -v[156:157]
	v_add_f64 v[66:67], v[66:67], -v[158:159]
	s_waitcnt lgkmcnt(0)
	v_mul_f64 v[156:157], v[166:167], v[174:175]
	v_mul_f64 v[158:159], v[164:165], v[174:175]
	v_fma_f64 v[156:157], v[164:165], v[250:251], -v[156:157]
	v_fmac_f64_e32 v[158:159], v[166:167], v[250:251]
	ds_read2_b64 v[164:167], v252 offset0:88 offset1:89
	v_add_f64 v[60:61], v[60:61], -v[156:157]
	v_add_f64 v[62:63], v[62:63], -v[158:159]
	s_waitcnt lgkmcnt(0)
	v_mul_f64 v[156:157], v[166:167], v[174:175]
	v_mul_f64 v[158:159], v[164:165], v[174:175]
	v_fma_f64 v[156:157], v[164:165], v[250:251], -v[156:157]
	v_fmac_f64_e32 v[158:159], v[166:167], v[250:251]
	ds_read2_b64 v[164:167], v252 offset0:90 offset1:91
	v_add_f64 v[56:57], v[56:57], -v[156:157]
	v_add_f64 v[58:59], v[58:59], -v[158:159]
	s_waitcnt lgkmcnt(0)
	v_mul_f64 v[156:157], v[166:167], v[174:175]
	v_mul_f64 v[158:159], v[164:165], v[174:175]
	v_fma_f64 v[156:157], v[164:165], v[250:251], -v[156:157]
	v_fmac_f64_e32 v[158:159], v[166:167], v[250:251]
	ds_read2_b64 v[164:167], v252 offset0:92 offset1:93
	v_add_f64 v[52:53], v[52:53], -v[156:157]
	v_add_f64 v[54:55], v[54:55], -v[158:159]
	s_waitcnt lgkmcnt(0)
	v_mul_f64 v[156:157], v[166:167], v[174:175]
	v_mul_f64 v[158:159], v[164:165], v[174:175]
	v_fma_f64 v[156:157], v[164:165], v[250:251], -v[156:157]
	v_fmac_f64_e32 v[158:159], v[166:167], v[250:251]
	ds_read2_b64 v[164:167], v252 offset0:94 offset1:95
	v_add_f64 v[48:49], v[48:49], -v[156:157]
	v_add_f64 v[50:51], v[50:51], -v[158:159]
	s_waitcnt lgkmcnt(0)
	v_mul_f64 v[156:157], v[166:167], v[174:175]
	v_mul_f64 v[158:159], v[164:165], v[174:175]
	v_fma_f64 v[156:157], v[164:165], v[250:251], -v[156:157]
	v_fmac_f64_e32 v[158:159], v[166:167], v[250:251]
	ds_read2_b64 v[164:167], v252 offset0:96 offset1:97
	v_add_f64 v[44:45], v[44:45], -v[156:157]
	v_add_f64 v[46:47], v[46:47], -v[158:159]
	s_waitcnt lgkmcnt(0)
	v_mul_f64 v[156:157], v[166:167], v[174:175]
	v_mul_f64 v[158:159], v[164:165], v[174:175]
	v_fma_f64 v[156:157], v[164:165], v[250:251], -v[156:157]
	v_fmac_f64_e32 v[158:159], v[166:167], v[250:251]
	ds_read2_b64 v[164:167], v252 offset0:98 offset1:99
	v_add_f64 v[40:41], v[40:41], -v[156:157]
	v_add_f64 v[42:43], v[42:43], -v[158:159]
	s_waitcnt lgkmcnt(0)
	v_mul_f64 v[156:157], v[166:167], v[174:175]
	v_mul_f64 v[158:159], v[164:165], v[174:175]
	v_fma_f64 v[156:157], v[164:165], v[250:251], -v[156:157]
	v_fmac_f64_e32 v[158:159], v[166:167], v[250:251]
	ds_read2_b64 v[164:167], v252 offset0:100 offset1:101
	v_add_f64 v[36:37], v[36:37], -v[156:157]
	v_add_f64 v[38:39], v[38:39], -v[158:159]
	s_waitcnt lgkmcnt(0)
	v_mul_f64 v[156:157], v[166:167], v[174:175]
	v_mul_f64 v[158:159], v[164:165], v[174:175]
	v_fma_f64 v[156:157], v[164:165], v[250:251], -v[156:157]
	v_fmac_f64_e32 v[158:159], v[166:167], v[250:251]
	ds_read2_b64 v[164:167], v252 offset0:102 offset1:103
	v_add_f64 v[32:33], v[32:33], -v[156:157]
	v_add_f64 v[34:35], v[34:35], -v[158:159]
	s_waitcnt lgkmcnt(0)
	v_mul_f64 v[156:157], v[166:167], v[174:175]
	v_mul_f64 v[158:159], v[164:165], v[174:175]
	v_fma_f64 v[156:157], v[164:165], v[250:251], -v[156:157]
	v_fmac_f64_e32 v[158:159], v[166:167], v[250:251]
	ds_read2_b64 v[164:167], v252 offset0:104 offset1:105
	v_add_f64 v[28:29], v[28:29], -v[156:157]
	v_add_f64 v[30:31], v[30:31], -v[158:159]
	s_waitcnt lgkmcnt(0)
	v_mul_f64 v[156:157], v[166:167], v[174:175]
	v_mul_f64 v[158:159], v[164:165], v[174:175]
	v_fma_f64 v[156:157], v[164:165], v[250:251], -v[156:157]
	v_fmac_f64_e32 v[158:159], v[166:167], v[250:251]
	ds_read2_b64 v[164:167], v252 offset0:106 offset1:107
	v_add_f64 v[24:25], v[24:25], -v[156:157]
	v_add_f64 v[26:27], v[26:27], -v[158:159]
	s_waitcnt lgkmcnt(0)
	v_mul_f64 v[156:157], v[166:167], v[174:175]
	v_mul_f64 v[158:159], v[164:165], v[174:175]
	v_fma_f64 v[156:157], v[164:165], v[250:251], -v[156:157]
	v_fmac_f64_e32 v[158:159], v[166:167], v[250:251]
	ds_read2_b64 v[164:167], v252 offset0:108 offset1:109
	v_add_f64 v[20:21], v[20:21], -v[156:157]
	v_add_f64 v[22:23], v[22:23], -v[158:159]
	s_waitcnt lgkmcnt(0)
	v_mul_f64 v[156:157], v[166:167], v[174:175]
	v_mul_f64 v[158:159], v[164:165], v[174:175]
	v_fma_f64 v[156:157], v[164:165], v[250:251], -v[156:157]
	v_fmac_f64_e32 v[158:159], v[166:167], v[250:251]
	ds_read2_b64 v[164:167], v252 offset0:110 offset1:111
	v_add_f64 v[16:17], v[16:17], -v[156:157]
	v_add_f64 v[18:19], v[18:19], -v[158:159]
	s_waitcnt lgkmcnt(0)
	v_mul_f64 v[156:157], v[166:167], v[174:175]
	v_mul_f64 v[158:159], v[164:165], v[174:175]
	v_fma_f64 v[156:157], v[164:165], v[250:251], -v[156:157]
	v_fmac_f64_e32 v[158:159], v[166:167], v[250:251]
	ds_read2_b64 v[164:167], v252 offset0:112 offset1:113
	v_add_f64 v[12:13], v[12:13], -v[156:157]
	v_add_f64 v[14:15], v[14:15], -v[158:159]
	s_waitcnt lgkmcnt(0)
	v_mul_f64 v[156:157], v[166:167], v[174:175]
	v_mul_f64 v[158:159], v[164:165], v[174:175]
	v_fma_f64 v[156:157], v[164:165], v[250:251], -v[156:157]
	v_fmac_f64_e32 v[158:159], v[166:167], v[250:251]
	ds_read2_b64 v[164:167], v252 offset0:114 offset1:115
	v_add_f64 v[230:231], v[230:231], -v[156:157]
	v_add_f64 v[232:233], v[232:233], -v[158:159]
	s_waitcnt lgkmcnt(0)
	v_mul_f64 v[156:157], v[166:167], v[174:175]
	v_mul_f64 v[158:159], v[164:165], v[174:175]
	v_fma_f64 v[156:157], v[164:165], v[250:251], -v[156:157]
	v_fmac_f64_e32 v[158:159], v[166:167], v[250:251]
	ds_read2_b64 v[164:167], v252 offset0:116 offset1:117
	v_add_f64 v[224:225], v[224:225], -v[156:157]
	v_add_f64 v[226:227], v[226:227], -v[158:159]
	s_waitcnt lgkmcnt(0)
	v_mul_f64 v[156:157], v[166:167], v[174:175]
	v_mul_f64 v[158:159], v[164:165], v[174:175]
	v_fma_f64 v[156:157], v[164:165], v[250:251], -v[156:157]
	v_fmac_f64_e32 v[158:159], v[166:167], v[250:251]
	ds_read2_b64 v[164:167], v252 offset0:118 offset1:119
	v_add_f64 v[220:221], v[220:221], -v[156:157]
	v_add_f64 v[222:223], v[222:223], -v[158:159]
	s_waitcnt lgkmcnt(0)
	v_mul_f64 v[156:157], v[166:167], v[174:175]
	v_mul_f64 v[158:159], v[164:165], v[174:175]
	v_fma_f64 v[156:157], v[164:165], v[250:251], -v[156:157]
	v_fmac_f64_e32 v[158:159], v[166:167], v[250:251]
	v_add_f64 v[236:237], v[236:237], -v[156:157]
	v_add_f64 v[238:239], v[238:239], -v[158:159]
.LBB118_377:
	s_or_b64 exec, exec, s[0:1]
	v_lshl_add_u32 v156, v253, 4, v252
	s_barrier
	ds_write2_b64 v156, v[168:169], v[170:171] offset1:1
	s_waitcnt lgkmcnt(0)
	s_barrier
	ds_read2_b64 v[240:243], v252 offset0:36 offset1:37
	s_cmp_lt_i32 s20, 20
	v_mov_b32_e32 v250, 18
	s_cbranch_scc1 .LBB118_380
; %bb.378:
	v_add_u32_e32 v246, 0x130, v252
	s_mov_b32 s0, 19
	v_mov_b32_e32 v250, 18
.LBB118_379:                            ; =>This Inner Loop Header: Depth=1
	ds_read2_b64 v[164:167], v246 offset1:1
	s_waitcnt lgkmcnt(1)
	v_cmp_gt_f64_e32 vcc, 0, v[240:241]
	v_xor_b32_e32 v156, 0x80000000, v241
	v_xor_b32_e32 v158, 0x80000000, v243
	v_cndmask_b32_e32 v157, v241, v156, vcc
	v_cmp_gt_f64_e32 vcc, 0, v[242:243]
	v_mov_b32_e32 v156, v240
	s_waitcnt lgkmcnt(0)
	v_xor_b32_e32 v216, 0x80000000, v167
	v_cndmask_b32_e32 v159, v243, v158, vcc
	v_mov_b32_e32 v158, v242
	v_add_f64 v[156:157], v[156:157], v[158:159]
	v_cmp_gt_f64_e32 vcc, 0, v[164:165]
	v_xor_b32_e32 v158, 0x80000000, v165
	v_add_u32_e32 v246, 16, v246
	v_cndmask_b32_e32 v159, v165, v158, vcc
	v_cmp_gt_f64_e32 vcc, 0, v[166:167]
	v_mov_b32_e32 v158, v164
	s_nop 0
	v_cndmask_b32_e32 v217, v167, v216, vcc
	v_mov_b32_e32 v216, v166
	v_add_f64 v[158:159], v[158:159], v[216:217]
	v_cmp_lt_f64_e32 vcc, v[156:157], v[158:159]
	v_mov_b32_e32 v156, s0
	s_add_i32 s0, s0, 1
	v_cndmask_b32_e32 v241, v241, v165, vcc
	v_cndmask_b32_e32 v240, v240, v164, vcc
	;; [unrolled: 1-line block ×5, first 2 shown]
	s_cmp_lg_u32 s20, s0
	s_cbranch_scc1 .LBB118_379
.LBB118_380:
	s_waitcnt lgkmcnt(0)
	v_cmp_eq_f64_e32 vcc, 0, v[240:241]
	v_cmp_eq_f64_e64 s[0:1], 0, v[242:243]
	s_and_b64 s[0:1], vcc, s[0:1]
	s_and_saveexec_b64 s[16:17], s[0:1]
	s_xor_b64 s[0:1], exec, s[16:17]
; %bb.381:
	v_cmp_ne_u32_e32 vcc, 0, v254
	s_nop 1
	v_cndmask_b32_e32 v254, 19, v254, vcc
; %bb.382:
	s_andn2_saveexec_b64 s[0:1], s[0:1]
	s_cbranch_execz .LBB118_388
; %bb.383:
	v_cmp_ngt_f64_e64 s[16:17], |v[240:241]|, |v[242:243]|
	s_and_saveexec_b64 s[18:19], s[16:17]
	s_xor_b64 s[16:17], exec, s[18:19]
	s_cbranch_execz .LBB118_385
; %bb.384:
	v_div_scale_f64 v[156:157], s[18:19], v[242:243], v[242:243], v[240:241]
	v_rcp_f64_e32 v[158:159], v[156:157]
	v_div_scale_f64 v[164:165], vcc, v[240:241], v[242:243], v[240:241]
	v_fma_f64 v[166:167], -v[156:157], v[158:159], 1.0
	v_fmac_f64_e32 v[158:159], v[158:159], v[166:167]
	v_fma_f64 v[166:167], -v[156:157], v[158:159], 1.0
	v_fmac_f64_e32 v[158:159], v[158:159], v[166:167]
	v_mul_f64 v[166:167], v[164:165], v[158:159]
	v_fma_f64 v[156:157], -v[156:157], v[166:167], v[164:165]
	v_div_fmas_f64 v[156:157], v[156:157], v[158:159], v[166:167]
	v_div_fixup_f64 v[156:157], v[156:157], v[242:243], v[240:241]
	v_fmac_f64_e32 v[242:243], v[240:241], v[156:157]
	v_div_scale_f64 v[158:159], s[18:19], v[242:243], v[242:243], 1.0
	v_rcp_f64_e32 v[164:165], v[158:159]
	s_nop 0
	v_fma_f64 v[166:167], -v[158:159], v[164:165], 1.0
	v_fmac_f64_e32 v[164:165], v[164:165], v[166:167]
	v_fma_f64 v[166:167], -v[158:159], v[164:165], 1.0
	v_fmac_f64_e32 v[164:165], v[164:165], v[166:167]
	v_div_scale_f64 v[166:167], vcc, 1.0, v[242:243], 1.0
	v_mul_f64 v[216:217], v[166:167], v[164:165]
	v_fma_f64 v[158:159], -v[158:159], v[216:217], v[166:167]
	s_nop 1
	v_div_fmas_f64 v[158:159], v[158:159], v[164:165], v[216:217]
	v_div_fixup_f64 v[242:243], v[158:159], v[242:243], 1.0
	v_mul_f64 v[240:241], v[156:157], v[242:243]
	v_xor_b32_e32 v243, 0x80000000, v243
.LBB118_385:
	s_andn2_saveexec_b64 s[16:17], s[16:17]
	s_cbranch_execz .LBB118_387
; %bb.386:
	v_div_scale_f64 v[156:157], s[18:19], v[240:241], v[240:241], v[242:243]
	v_rcp_f64_e32 v[158:159], v[156:157]
	v_div_scale_f64 v[164:165], vcc, v[242:243], v[240:241], v[242:243]
	v_fma_f64 v[166:167], -v[156:157], v[158:159], 1.0
	v_fmac_f64_e32 v[158:159], v[158:159], v[166:167]
	v_fma_f64 v[166:167], -v[156:157], v[158:159], 1.0
	v_fmac_f64_e32 v[158:159], v[158:159], v[166:167]
	v_mul_f64 v[166:167], v[164:165], v[158:159]
	v_fma_f64 v[156:157], -v[156:157], v[166:167], v[164:165]
	v_div_fmas_f64 v[156:157], v[156:157], v[158:159], v[166:167]
	v_div_fixup_f64 v[156:157], v[156:157], v[240:241], v[242:243]
	v_fmac_f64_e32 v[240:241], v[242:243], v[156:157]
	v_div_scale_f64 v[158:159], s[18:19], v[240:241], v[240:241], 1.0
	v_rcp_f64_e32 v[164:165], v[158:159]
	s_nop 0
	v_fma_f64 v[166:167], -v[158:159], v[164:165], 1.0
	v_fmac_f64_e32 v[164:165], v[164:165], v[166:167]
	v_fma_f64 v[166:167], -v[158:159], v[164:165], 1.0
	v_fmac_f64_e32 v[164:165], v[164:165], v[166:167]
	v_div_scale_f64 v[166:167], vcc, 1.0, v[240:241], 1.0
	v_mul_f64 v[216:217], v[166:167], v[164:165]
	v_fma_f64 v[158:159], -v[158:159], v[216:217], v[166:167]
	s_nop 1
	v_div_fmas_f64 v[158:159], v[158:159], v[164:165], v[216:217]
	v_div_fixup_f64 v[240:241], v[158:159], v[240:241], 1.0
	v_mul_f64 v[242:243], v[156:157], -v[240:241]
.LBB118_387:
	s_or_b64 exec, exec, s[16:17]
.LBB118_388:
	s_or_b64 exec, exec, s[0:1]
	v_cmp_ne_u32_e32 vcc, v253, v250
	s_and_saveexec_b64 s[0:1], vcc
	s_xor_b64 s[0:1], exec, s[0:1]
	s_cbranch_execz .LBB118_394
; %bb.389:
	v_cmp_eq_u32_e32 vcc, 18, v253
	s_and_saveexec_b64 s[16:17], vcc
	s_cbranch_execz .LBB118_393
; %bb.390:
	v_cmp_ne_u32_e32 vcc, 18, v250
	s_xor_b64 s[18:19], s[14:15], -1
	s_and_b64 s[22:23], s[18:19], vcc
	s_and_saveexec_b64 s[18:19], s[22:23]
	s_cbranch_execz .LBB118_392
; %bb.391:
	v_ashrrev_i32_e32 v251, 31, v250
	v_lshl_add_u64 v[156:157], v[250:251], 2, v[234:235]
	global_load_dword v158, v[156:157], off
	global_load_dword v159, v[234:235], off offset:72
	s_waitcnt vmcnt(1)
	global_store_dword v[234:235], v158, off offset:72
	s_waitcnt vmcnt(1)
	global_store_dword v[156:157], v159, off
.LBB118_392:
	s_or_b64 exec, exec, s[18:19]
	v_mov_b32_e32 v253, v250
	v_mov_b32_e32 v244, v250
.LBB118_393:
	s_or_b64 exec, exec, s[16:17]
.LBB118_394:
	s_andn2_saveexec_b64 s[0:1], s[0:1]
	s_cbranch_execz .LBB118_396
; %bb.395:
	v_mov_b32_e32 v253, 18
	ds_write2_b64 v252, v[160:161], v[162:163] offset0:38 offset1:39
	ds_write2_b64 v252, v[208:209], v[210:211] offset0:40 offset1:41
	ds_write2_b64 v252, v[148:149], v[150:151] offset0:42 offset1:43
	ds_write2_b64 v252, v[144:145], v[146:147] offset0:44 offset1:45
	ds_write2_b64 v252, v[140:141], v[142:143] offset0:46 offset1:47
	ds_write2_b64 v252, v[136:137], v[138:139] offset0:48 offset1:49
	ds_write2_b64 v252, v[132:133], v[134:135] offset0:50 offset1:51
	ds_write2_b64 v252, v[128:129], v[130:131] offset0:52 offset1:53
	ds_write2_b64 v252, v[124:125], v[126:127] offset0:54 offset1:55
	ds_write2_b64 v252, v[120:121], v[122:123] offset0:56 offset1:57
	ds_write2_b64 v252, v[116:117], v[118:119] offset0:58 offset1:59
	ds_write2_b64 v252, v[112:113], v[114:115] offset0:60 offset1:61
	ds_write2_b64 v252, v[108:109], v[110:111] offset0:62 offset1:63
	ds_write2_b64 v252, v[104:105], v[106:107] offset0:64 offset1:65
	ds_write2_b64 v252, v[100:101], v[102:103] offset0:66 offset1:67
	ds_write2_b64 v252, v[96:97], v[98:99] offset0:68 offset1:69
	ds_write2_b64 v252, v[92:93], v[94:95] offset0:70 offset1:71
	ds_write2_b64 v252, v[88:89], v[90:91] offset0:72 offset1:73
	ds_write2_b64 v252, v[84:85], v[86:87] offset0:74 offset1:75
	ds_write2_b64 v252, v[80:81], v[82:83] offset0:76 offset1:77
	ds_write2_b64 v252, v[76:77], v[78:79] offset0:78 offset1:79
	ds_write2_b64 v252, v[72:73], v[74:75] offset0:80 offset1:81
	ds_write2_b64 v252, v[68:69], v[70:71] offset0:82 offset1:83
	ds_write2_b64 v252, v[64:65], v[66:67] offset0:84 offset1:85
	ds_write2_b64 v252, v[60:61], v[62:63] offset0:86 offset1:87
	ds_write2_b64 v252, v[56:57], v[58:59] offset0:88 offset1:89
	ds_write2_b64 v252, v[52:53], v[54:55] offset0:90 offset1:91
	ds_write2_b64 v252, v[48:49], v[50:51] offset0:92 offset1:93
	ds_write2_b64 v252, v[44:45], v[46:47] offset0:94 offset1:95
	ds_write2_b64 v252, v[40:41], v[42:43] offset0:96 offset1:97
	ds_write2_b64 v252, v[36:37], v[38:39] offset0:98 offset1:99
	ds_write2_b64 v252, v[32:33], v[34:35] offset0:100 offset1:101
	ds_write2_b64 v252, v[28:29], v[30:31] offset0:102 offset1:103
	ds_write2_b64 v252, v[24:25], v[26:27] offset0:104 offset1:105
	ds_write2_b64 v252, v[20:21], v[22:23] offset0:106 offset1:107
	ds_write2_b64 v252, v[16:17], v[18:19] offset0:108 offset1:109
	ds_write2_b64 v252, v[12:13], v[14:15] offset0:110 offset1:111
	ds_write2_b64 v252, v[230:231], v[232:233] offset0:112 offset1:113
	ds_write2_b64 v252, v[224:225], v[226:227] offset0:114 offset1:115
	ds_write2_b64 v252, v[220:221], v[222:223] offset0:116 offset1:117
	ds_write2_b64 v252, v[236:237], v[238:239] offset0:118 offset1:119
.LBB118_396:
	s_or_b64 exec, exec, s[0:1]
	v_cmp_lt_i32_e32 vcc, 18, v253
	s_waitcnt lgkmcnt(0)
	s_barrier
	s_and_saveexec_b64 s[0:1], vcc
	s_cbranch_execz .LBB118_398
; %bb.397:
	ds_read2_b64 v[164:167], v252 offset0:38 offset1:39
	v_mul_f64 v[156:157], v[242:243], v[170:171]
	v_mul_f64 v[170:171], v[240:241], v[170:171]
	v_fmac_f64_e32 v[170:171], v[242:243], v[168:169]
	v_fma_f64 v[250:251], v[240:241], v[168:169], -v[156:157]
	s_waitcnt lgkmcnt(0)
	v_mul_f64 v[156:157], v[166:167], v[170:171]
	v_mul_f64 v[158:159], v[164:165], v[170:171]
	v_fma_f64 v[156:157], v[164:165], v[250:251], -v[156:157]
	v_fmac_f64_e32 v[158:159], v[166:167], v[250:251]
	ds_read2_b64 v[164:167], v252 offset0:40 offset1:41
	v_add_f64 v[160:161], v[160:161], -v[156:157]
	v_add_f64 v[162:163], v[162:163], -v[158:159]
	v_mov_b64_e32 v[168:169], v[250:251]
	s_waitcnt lgkmcnt(0)
	v_mul_f64 v[156:157], v[166:167], v[170:171]
	v_mul_f64 v[158:159], v[164:165], v[170:171]
	v_fma_f64 v[156:157], v[164:165], v[250:251], -v[156:157]
	v_fmac_f64_e32 v[158:159], v[166:167], v[250:251]
	ds_read2_b64 v[164:167], v252 offset0:42 offset1:43
	v_add_f64 v[208:209], v[208:209], -v[156:157]
	v_add_f64 v[210:211], v[210:211], -v[158:159]
	s_waitcnt lgkmcnt(0)
	v_mul_f64 v[156:157], v[166:167], v[170:171]
	v_mul_f64 v[158:159], v[164:165], v[170:171]
	v_fma_f64 v[156:157], v[164:165], v[250:251], -v[156:157]
	v_fmac_f64_e32 v[158:159], v[166:167], v[250:251]
	ds_read2_b64 v[164:167], v252 offset0:44 offset1:45
	v_add_f64 v[148:149], v[148:149], -v[156:157]
	v_add_f64 v[150:151], v[150:151], -v[158:159]
	;; [unrolled: 8-line block ×39, first 2 shown]
	s_waitcnt lgkmcnt(0)
	v_mul_f64 v[156:157], v[166:167], v[170:171]
	v_mul_f64 v[158:159], v[164:165], v[170:171]
	v_fma_f64 v[156:157], v[164:165], v[250:251], -v[156:157]
	v_fmac_f64_e32 v[158:159], v[166:167], v[250:251]
	v_add_f64 v[236:237], v[236:237], -v[156:157]
	v_add_f64 v[238:239], v[238:239], -v[158:159]
.LBB118_398:
	s_or_b64 exec, exec, s[0:1]
	v_lshl_add_u32 v156, v253, 4, v252
	s_barrier
	ds_write2_b64 v156, v[160:161], v[162:163] offset1:1
	s_waitcnt lgkmcnt(0)
	s_barrier
	ds_read2_b64 v[240:243], v252 offset0:38 offset1:39
	s_cmp_lt_i32 s20, 21
	v_mov_b32_e32 v250, 19
	s_cbranch_scc1 .LBB118_401
; %bb.399:
	v_add_u32_e32 v246, 0x140, v252
	s_mov_b32 s0, 20
	v_mov_b32_e32 v250, 19
.LBB118_400:                            ; =>This Inner Loop Header: Depth=1
	ds_read2_b64 v[164:167], v246 offset1:1
	s_waitcnt lgkmcnt(1)
	v_cmp_gt_f64_e32 vcc, 0, v[240:241]
	v_xor_b32_e32 v156, 0x80000000, v241
	v_xor_b32_e32 v158, 0x80000000, v243
	v_cndmask_b32_e32 v157, v241, v156, vcc
	v_cmp_gt_f64_e32 vcc, 0, v[242:243]
	v_mov_b32_e32 v156, v240
	s_waitcnt lgkmcnt(0)
	v_xor_b32_e32 v216, 0x80000000, v167
	v_cndmask_b32_e32 v159, v243, v158, vcc
	v_mov_b32_e32 v158, v242
	v_add_f64 v[156:157], v[156:157], v[158:159]
	v_cmp_gt_f64_e32 vcc, 0, v[164:165]
	v_xor_b32_e32 v158, 0x80000000, v165
	v_add_u32_e32 v246, 16, v246
	v_cndmask_b32_e32 v159, v165, v158, vcc
	v_cmp_gt_f64_e32 vcc, 0, v[166:167]
	v_mov_b32_e32 v158, v164
	s_nop 0
	v_cndmask_b32_e32 v217, v167, v216, vcc
	v_mov_b32_e32 v216, v166
	v_add_f64 v[158:159], v[158:159], v[216:217]
	v_cmp_lt_f64_e32 vcc, v[156:157], v[158:159]
	v_mov_b32_e32 v156, s0
	s_add_i32 s0, s0, 1
	v_cndmask_b32_e32 v241, v241, v165, vcc
	v_cndmask_b32_e32 v240, v240, v164, vcc
	;; [unrolled: 1-line block ×5, first 2 shown]
	s_cmp_lg_u32 s20, s0
	s_cbranch_scc1 .LBB118_400
.LBB118_401:
	s_waitcnt lgkmcnt(0)
	v_cmp_eq_f64_e32 vcc, 0, v[240:241]
	v_cmp_eq_f64_e64 s[0:1], 0, v[242:243]
	s_and_b64 s[0:1], vcc, s[0:1]
	s_and_saveexec_b64 s[16:17], s[0:1]
	s_xor_b64 s[0:1], exec, s[16:17]
; %bb.402:
	v_cmp_ne_u32_e32 vcc, 0, v254
	s_nop 1
	v_cndmask_b32_e32 v254, 20, v254, vcc
; %bb.403:
	s_andn2_saveexec_b64 s[0:1], s[0:1]
	s_cbranch_execz .LBB118_409
; %bb.404:
	v_cmp_ngt_f64_e64 s[16:17], |v[240:241]|, |v[242:243]|
	s_and_saveexec_b64 s[18:19], s[16:17]
	s_xor_b64 s[16:17], exec, s[18:19]
	s_cbranch_execz .LBB118_406
; %bb.405:
	v_div_scale_f64 v[156:157], s[18:19], v[242:243], v[242:243], v[240:241]
	v_rcp_f64_e32 v[158:159], v[156:157]
	v_div_scale_f64 v[164:165], vcc, v[240:241], v[242:243], v[240:241]
	v_fma_f64 v[166:167], -v[156:157], v[158:159], 1.0
	v_fmac_f64_e32 v[158:159], v[158:159], v[166:167]
	v_fma_f64 v[166:167], -v[156:157], v[158:159], 1.0
	v_fmac_f64_e32 v[158:159], v[158:159], v[166:167]
	v_mul_f64 v[166:167], v[164:165], v[158:159]
	v_fma_f64 v[156:157], -v[156:157], v[166:167], v[164:165]
	v_div_fmas_f64 v[156:157], v[156:157], v[158:159], v[166:167]
	v_div_fixup_f64 v[156:157], v[156:157], v[242:243], v[240:241]
	v_fmac_f64_e32 v[242:243], v[240:241], v[156:157]
	v_div_scale_f64 v[158:159], s[18:19], v[242:243], v[242:243], 1.0
	v_rcp_f64_e32 v[164:165], v[158:159]
	s_nop 0
	v_fma_f64 v[166:167], -v[158:159], v[164:165], 1.0
	v_fmac_f64_e32 v[164:165], v[164:165], v[166:167]
	v_fma_f64 v[166:167], -v[158:159], v[164:165], 1.0
	v_fmac_f64_e32 v[164:165], v[164:165], v[166:167]
	v_div_scale_f64 v[166:167], vcc, 1.0, v[242:243], 1.0
	v_mul_f64 v[216:217], v[166:167], v[164:165]
	v_fma_f64 v[158:159], -v[158:159], v[216:217], v[166:167]
	s_nop 1
	v_div_fmas_f64 v[158:159], v[158:159], v[164:165], v[216:217]
	v_div_fixup_f64 v[242:243], v[158:159], v[242:243], 1.0
	v_mul_f64 v[240:241], v[156:157], v[242:243]
	v_xor_b32_e32 v243, 0x80000000, v243
.LBB118_406:
	s_andn2_saveexec_b64 s[16:17], s[16:17]
	s_cbranch_execz .LBB118_408
; %bb.407:
	v_div_scale_f64 v[156:157], s[18:19], v[240:241], v[240:241], v[242:243]
	v_rcp_f64_e32 v[158:159], v[156:157]
	v_div_scale_f64 v[164:165], vcc, v[242:243], v[240:241], v[242:243]
	v_fma_f64 v[166:167], -v[156:157], v[158:159], 1.0
	v_fmac_f64_e32 v[158:159], v[158:159], v[166:167]
	v_fma_f64 v[166:167], -v[156:157], v[158:159], 1.0
	v_fmac_f64_e32 v[158:159], v[158:159], v[166:167]
	v_mul_f64 v[166:167], v[164:165], v[158:159]
	v_fma_f64 v[156:157], -v[156:157], v[166:167], v[164:165]
	v_div_fmas_f64 v[156:157], v[156:157], v[158:159], v[166:167]
	v_div_fixup_f64 v[156:157], v[156:157], v[240:241], v[242:243]
	v_fmac_f64_e32 v[240:241], v[242:243], v[156:157]
	v_div_scale_f64 v[158:159], s[18:19], v[240:241], v[240:241], 1.0
	v_rcp_f64_e32 v[164:165], v[158:159]
	s_nop 0
	v_fma_f64 v[166:167], -v[158:159], v[164:165], 1.0
	v_fmac_f64_e32 v[164:165], v[164:165], v[166:167]
	v_fma_f64 v[166:167], -v[158:159], v[164:165], 1.0
	v_fmac_f64_e32 v[164:165], v[164:165], v[166:167]
	v_div_scale_f64 v[166:167], vcc, 1.0, v[240:241], 1.0
	v_mul_f64 v[216:217], v[166:167], v[164:165]
	v_fma_f64 v[158:159], -v[158:159], v[216:217], v[166:167]
	s_nop 1
	v_div_fmas_f64 v[158:159], v[158:159], v[164:165], v[216:217]
	v_div_fixup_f64 v[240:241], v[158:159], v[240:241], 1.0
	v_mul_f64 v[242:243], v[156:157], -v[240:241]
.LBB118_408:
	s_or_b64 exec, exec, s[16:17]
.LBB118_409:
	s_or_b64 exec, exec, s[0:1]
	v_cmp_ne_u32_e32 vcc, v253, v250
	s_and_saveexec_b64 s[0:1], vcc
	s_xor_b64 s[0:1], exec, s[0:1]
	s_cbranch_execz .LBB118_415
; %bb.410:
	v_cmp_eq_u32_e32 vcc, 19, v253
	s_and_saveexec_b64 s[16:17], vcc
	s_cbranch_execz .LBB118_414
; %bb.411:
	v_cmp_ne_u32_e32 vcc, 19, v250
	s_xor_b64 s[18:19], s[14:15], -1
	s_and_b64 s[22:23], s[18:19], vcc
	s_and_saveexec_b64 s[18:19], s[22:23]
	s_cbranch_execz .LBB118_413
; %bb.412:
	v_ashrrev_i32_e32 v251, 31, v250
	v_lshl_add_u64 v[156:157], v[250:251], 2, v[234:235]
	global_load_dword v158, v[156:157], off
	global_load_dword v159, v[234:235], off offset:76
	s_waitcnt vmcnt(1)
	global_store_dword v[234:235], v158, off offset:76
	s_waitcnt vmcnt(1)
	global_store_dword v[156:157], v159, off
.LBB118_413:
	s_or_b64 exec, exec, s[18:19]
	v_mov_b32_e32 v253, v250
	v_mov_b32_e32 v244, v250
.LBB118_414:
	s_or_b64 exec, exec, s[16:17]
.LBB118_415:
	s_andn2_saveexec_b64 s[0:1], s[0:1]
	s_cbranch_execz .LBB118_417
; %bb.416:
	v_mov_b32_e32 v253, 19
	ds_write2_b64 v252, v[208:209], v[210:211] offset0:40 offset1:41
	ds_write2_b64 v252, v[148:149], v[150:151] offset0:42 offset1:43
	;; [unrolled: 1-line block ×40, first 2 shown]
.LBB118_417:
	s_or_b64 exec, exec, s[0:1]
	v_cmp_lt_i32_e32 vcc, 19, v253
	s_waitcnt lgkmcnt(0)
	s_barrier
	s_and_saveexec_b64 s[0:1], vcc
	s_cbranch_execz .LBB118_419
; %bb.418:
	ds_read2_b64 v[164:167], v252 offset0:40 offset1:41
	v_mul_f64 v[156:157], v[242:243], v[162:163]
	v_mul_f64 v[162:163], v[240:241], v[162:163]
	v_fmac_f64_e32 v[162:163], v[242:243], v[160:161]
	v_fma_f64 v[250:251], v[240:241], v[160:161], -v[156:157]
	s_waitcnt lgkmcnt(0)
	v_mul_f64 v[156:157], v[166:167], v[162:163]
	v_mul_f64 v[158:159], v[164:165], v[162:163]
	v_fma_f64 v[156:157], v[164:165], v[250:251], -v[156:157]
	v_fmac_f64_e32 v[158:159], v[166:167], v[250:251]
	ds_read2_b64 v[164:167], v252 offset0:42 offset1:43
	v_add_f64 v[208:209], v[208:209], -v[156:157]
	v_add_f64 v[210:211], v[210:211], -v[158:159]
	v_mov_b64_e32 v[160:161], v[250:251]
	s_waitcnt lgkmcnt(0)
	v_mul_f64 v[156:157], v[166:167], v[162:163]
	v_mul_f64 v[158:159], v[164:165], v[162:163]
	v_fma_f64 v[156:157], v[164:165], v[250:251], -v[156:157]
	v_fmac_f64_e32 v[158:159], v[166:167], v[250:251]
	ds_read2_b64 v[164:167], v252 offset0:44 offset1:45
	v_add_f64 v[148:149], v[148:149], -v[156:157]
	v_add_f64 v[150:151], v[150:151], -v[158:159]
	s_waitcnt lgkmcnt(0)
	v_mul_f64 v[156:157], v[166:167], v[162:163]
	v_mul_f64 v[158:159], v[164:165], v[162:163]
	v_fma_f64 v[156:157], v[164:165], v[250:251], -v[156:157]
	v_fmac_f64_e32 v[158:159], v[166:167], v[250:251]
	ds_read2_b64 v[164:167], v252 offset0:46 offset1:47
	v_add_f64 v[144:145], v[144:145], -v[156:157]
	v_add_f64 v[146:147], v[146:147], -v[158:159]
	;; [unrolled: 8-line block ×38, first 2 shown]
	s_waitcnt lgkmcnt(0)
	v_mul_f64 v[156:157], v[166:167], v[162:163]
	v_mul_f64 v[158:159], v[164:165], v[162:163]
	v_fma_f64 v[156:157], v[164:165], v[250:251], -v[156:157]
	v_fmac_f64_e32 v[158:159], v[166:167], v[250:251]
	v_add_f64 v[236:237], v[236:237], -v[156:157]
	v_add_f64 v[238:239], v[238:239], -v[158:159]
.LBB118_419:
	s_or_b64 exec, exec, s[0:1]
	v_lshl_add_u32 v156, v253, 4, v252
	s_barrier
	ds_write2_b64 v156, v[208:209], v[210:211] offset1:1
	s_waitcnt lgkmcnt(0)
	s_barrier
	ds_read2_b64 v[240:243], v252 offset0:40 offset1:41
	s_cmp_lt_i32 s20, 22
	v_mov_b32_e32 v250, 20
	s_cbranch_scc1 .LBB118_422
; %bb.420:
	v_add_u32_e32 v246, 0x150, v252
	s_mov_b32 s0, 21
	v_mov_b32_e32 v250, 20
.LBB118_421:                            ; =>This Inner Loop Header: Depth=1
	ds_read2_b64 v[164:167], v246 offset1:1
	s_waitcnt lgkmcnt(1)
	v_cmp_gt_f64_e32 vcc, 0, v[240:241]
	v_xor_b32_e32 v156, 0x80000000, v241
	v_xor_b32_e32 v158, 0x80000000, v243
	v_cndmask_b32_e32 v157, v241, v156, vcc
	v_cmp_gt_f64_e32 vcc, 0, v[242:243]
	v_mov_b32_e32 v156, v240
	s_waitcnt lgkmcnt(0)
	v_xor_b32_e32 v216, 0x80000000, v167
	v_cndmask_b32_e32 v159, v243, v158, vcc
	v_mov_b32_e32 v158, v242
	v_add_f64 v[156:157], v[156:157], v[158:159]
	v_cmp_gt_f64_e32 vcc, 0, v[164:165]
	v_xor_b32_e32 v158, 0x80000000, v165
	v_add_u32_e32 v246, 16, v246
	v_cndmask_b32_e32 v159, v165, v158, vcc
	v_cmp_gt_f64_e32 vcc, 0, v[166:167]
	v_mov_b32_e32 v158, v164
	s_nop 0
	v_cndmask_b32_e32 v217, v167, v216, vcc
	v_mov_b32_e32 v216, v166
	v_add_f64 v[158:159], v[158:159], v[216:217]
	v_cmp_lt_f64_e32 vcc, v[156:157], v[158:159]
	v_mov_b32_e32 v156, s0
	s_add_i32 s0, s0, 1
	v_cndmask_b32_e32 v241, v241, v165, vcc
	v_cndmask_b32_e32 v240, v240, v164, vcc
	;; [unrolled: 1-line block ×5, first 2 shown]
	s_cmp_lg_u32 s20, s0
	s_cbranch_scc1 .LBB118_421
.LBB118_422:
	s_waitcnt lgkmcnt(0)
	v_cmp_eq_f64_e32 vcc, 0, v[240:241]
	v_cmp_eq_f64_e64 s[0:1], 0, v[242:243]
	s_and_b64 s[0:1], vcc, s[0:1]
	s_and_saveexec_b64 s[16:17], s[0:1]
	s_xor_b64 s[0:1], exec, s[16:17]
; %bb.423:
	v_cmp_ne_u32_e32 vcc, 0, v254
	s_nop 1
	v_cndmask_b32_e32 v254, 21, v254, vcc
; %bb.424:
	s_andn2_saveexec_b64 s[0:1], s[0:1]
	s_cbranch_execz .LBB118_430
; %bb.425:
	v_cmp_ngt_f64_e64 s[16:17], |v[240:241]|, |v[242:243]|
	s_and_saveexec_b64 s[18:19], s[16:17]
	s_xor_b64 s[16:17], exec, s[18:19]
	s_cbranch_execz .LBB118_427
; %bb.426:
	v_div_scale_f64 v[156:157], s[18:19], v[242:243], v[242:243], v[240:241]
	v_rcp_f64_e32 v[158:159], v[156:157]
	v_div_scale_f64 v[164:165], vcc, v[240:241], v[242:243], v[240:241]
	v_fma_f64 v[166:167], -v[156:157], v[158:159], 1.0
	v_fmac_f64_e32 v[158:159], v[158:159], v[166:167]
	v_fma_f64 v[166:167], -v[156:157], v[158:159], 1.0
	v_fmac_f64_e32 v[158:159], v[158:159], v[166:167]
	v_mul_f64 v[166:167], v[164:165], v[158:159]
	v_fma_f64 v[156:157], -v[156:157], v[166:167], v[164:165]
	v_div_fmas_f64 v[156:157], v[156:157], v[158:159], v[166:167]
	v_div_fixup_f64 v[156:157], v[156:157], v[242:243], v[240:241]
	v_fmac_f64_e32 v[242:243], v[240:241], v[156:157]
	v_div_scale_f64 v[158:159], s[18:19], v[242:243], v[242:243], 1.0
	v_rcp_f64_e32 v[164:165], v[158:159]
	s_nop 0
	v_fma_f64 v[166:167], -v[158:159], v[164:165], 1.0
	v_fmac_f64_e32 v[164:165], v[164:165], v[166:167]
	v_fma_f64 v[166:167], -v[158:159], v[164:165], 1.0
	v_fmac_f64_e32 v[164:165], v[164:165], v[166:167]
	v_div_scale_f64 v[166:167], vcc, 1.0, v[242:243], 1.0
	v_mul_f64 v[216:217], v[166:167], v[164:165]
	v_fma_f64 v[158:159], -v[158:159], v[216:217], v[166:167]
	s_nop 1
	v_div_fmas_f64 v[158:159], v[158:159], v[164:165], v[216:217]
	v_div_fixup_f64 v[242:243], v[158:159], v[242:243], 1.0
	v_mul_f64 v[240:241], v[156:157], v[242:243]
	v_xor_b32_e32 v243, 0x80000000, v243
.LBB118_427:
	s_andn2_saveexec_b64 s[16:17], s[16:17]
	s_cbranch_execz .LBB118_429
; %bb.428:
	v_div_scale_f64 v[156:157], s[18:19], v[240:241], v[240:241], v[242:243]
	v_rcp_f64_e32 v[158:159], v[156:157]
	v_div_scale_f64 v[164:165], vcc, v[242:243], v[240:241], v[242:243]
	v_fma_f64 v[166:167], -v[156:157], v[158:159], 1.0
	v_fmac_f64_e32 v[158:159], v[158:159], v[166:167]
	v_fma_f64 v[166:167], -v[156:157], v[158:159], 1.0
	v_fmac_f64_e32 v[158:159], v[158:159], v[166:167]
	v_mul_f64 v[166:167], v[164:165], v[158:159]
	v_fma_f64 v[156:157], -v[156:157], v[166:167], v[164:165]
	v_div_fmas_f64 v[156:157], v[156:157], v[158:159], v[166:167]
	v_div_fixup_f64 v[156:157], v[156:157], v[240:241], v[242:243]
	v_fmac_f64_e32 v[240:241], v[242:243], v[156:157]
	v_div_scale_f64 v[158:159], s[18:19], v[240:241], v[240:241], 1.0
	v_rcp_f64_e32 v[164:165], v[158:159]
	s_nop 0
	v_fma_f64 v[166:167], -v[158:159], v[164:165], 1.0
	v_fmac_f64_e32 v[164:165], v[164:165], v[166:167]
	v_fma_f64 v[166:167], -v[158:159], v[164:165], 1.0
	v_fmac_f64_e32 v[164:165], v[164:165], v[166:167]
	v_div_scale_f64 v[166:167], vcc, 1.0, v[240:241], 1.0
	v_mul_f64 v[216:217], v[166:167], v[164:165]
	v_fma_f64 v[158:159], -v[158:159], v[216:217], v[166:167]
	s_nop 1
	v_div_fmas_f64 v[158:159], v[158:159], v[164:165], v[216:217]
	v_div_fixup_f64 v[240:241], v[158:159], v[240:241], 1.0
	v_mul_f64 v[242:243], v[156:157], -v[240:241]
.LBB118_429:
	s_or_b64 exec, exec, s[16:17]
.LBB118_430:
	s_or_b64 exec, exec, s[0:1]
	v_cmp_ne_u32_e32 vcc, v253, v250
	s_and_saveexec_b64 s[0:1], vcc
	s_xor_b64 s[0:1], exec, s[0:1]
	s_cbranch_execz .LBB118_436
; %bb.431:
	v_cmp_eq_u32_e32 vcc, 20, v253
	s_and_saveexec_b64 s[16:17], vcc
	s_cbranch_execz .LBB118_435
; %bb.432:
	v_cmp_ne_u32_e32 vcc, 20, v250
	s_xor_b64 s[18:19], s[14:15], -1
	s_and_b64 s[22:23], s[18:19], vcc
	s_and_saveexec_b64 s[18:19], s[22:23]
	s_cbranch_execz .LBB118_434
; %bb.433:
	v_ashrrev_i32_e32 v251, 31, v250
	v_lshl_add_u64 v[156:157], v[250:251], 2, v[234:235]
	global_load_dword v158, v[156:157], off
	global_load_dword v159, v[234:235], off offset:80
	s_waitcnt vmcnt(1)
	global_store_dword v[234:235], v158, off offset:80
	s_waitcnt vmcnt(1)
	global_store_dword v[156:157], v159, off
.LBB118_434:
	s_or_b64 exec, exec, s[18:19]
	v_mov_b32_e32 v253, v250
	v_mov_b32_e32 v244, v250
.LBB118_435:
	s_or_b64 exec, exec, s[16:17]
.LBB118_436:
	s_andn2_saveexec_b64 s[0:1], s[0:1]
	s_cbranch_execz .LBB118_438
; %bb.437:
	v_mov_b32_e32 v253, 20
	ds_write2_b64 v252, v[148:149], v[150:151] offset0:42 offset1:43
	ds_write2_b64 v252, v[144:145], v[146:147] offset0:44 offset1:45
	;; [unrolled: 1-line block ×39, first 2 shown]
.LBB118_438:
	s_or_b64 exec, exec, s[0:1]
	s_waitcnt lgkmcnt(0)
	s_barrier
	v_cmp_lt_i32_e32 vcc, 20, v253
	s_mov_b64 s[0:1], exec
	v_mov_b64_e32 v[0:1], v[4:5]
	s_and_b64 s[16:17], s[0:1], vcc
	v_mov_b64_e32 v[2:3], v[6:7]
	s_mov_b64 exec, s[16:17]
	s_cbranch_execz .LBB118_440
; %bb.439:
	ds_read2_b64 v[164:167], v252 offset0:42 offset1:43
	v_mul_f64 v[156:157], v[242:243], v[210:211]
	v_mul_f64 v[210:211], v[240:241], v[210:211]
	v_fmac_f64_e32 v[210:211], v[242:243], v[208:209]
	v_mov_b64_e32 v[4:5], v[152:153]
	v_fma_f64 v[250:251], v[240:241], v[208:209], -v[156:157]
	v_mov_b64_e32 v[6:7], v[154:155]
	s_waitcnt lgkmcnt(0)
	v_mul_f64 v[152:153], v[166:167], v[210:211]
	v_mul_f64 v[156:157], v[164:165], v[210:211]
	v_fma_f64 v[152:153], v[164:165], v[250:251], -v[152:153]
	v_fmac_f64_e32 v[156:157], v[166:167], v[250:251]
	ds_read2_b64 v[164:167], v252 offset0:44 offset1:45
	v_add_f64 v[148:149], v[148:149], -v[152:153]
	v_add_f64 v[150:151], v[150:151], -v[156:157]
	v_mov_b64_e32 v[208:209], v[250:251]
	s_waitcnt lgkmcnt(0)
	v_mul_f64 v[152:153], v[166:167], v[210:211]
	v_mul_f64 v[156:157], v[164:165], v[210:211]
	v_fma_f64 v[152:153], v[164:165], v[250:251], -v[152:153]
	v_fmac_f64_e32 v[156:157], v[166:167], v[250:251]
	ds_read2_b64 v[164:167], v252 offset0:46 offset1:47
	v_add_f64 v[144:145], v[144:145], -v[152:153]
	v_add_f64 v[146:147], v[146:147], -v[156:157]
	s_waitcnt lgkmcnt(0)
	v_mul_f64 v[152:153], v[166:167], v[210:211]
	v_mul_f64 v[156:157], v[164:165], v[210:211]
	v_fma_f64 v[152:153], v[164:165], v[250:251], -v[152:153]
	v_fmac_f64_e32 v[156:157], v[166:167], v[250:251]
	ds_read2_b64 v[164:167], v252 offset0:48 offset1:49
	v_add_f64 v[140:141], v[140:141], -v[152:153]
	v_add_f64 v[142:143], v[142:143], -v[156:157]
	;; [unrolled: 8-line block ×37, first 2 shown]
	s_waitcnt lgkmcnt(0)
	v_mul_f64 v[152:153], v[166:167], v[210:211]
	v_fma_f64 v[152:153], v[164:165], v[250:251], -v[152:153]
	v_mul_f64 v[156:157], v[164:165], v[210:211]
	v_add_f64 v[236:237], v[236:237], -v[152:153]
	v_mov_b64_e32 v[154:155], v[6:7]
	v_fmac_f64_e32 v[156:157], v[166:167], v[250:251]
	v_mov_b64_e32 v[152:153], v[4:5]
	v_mov_b64_e32 v[6:7], v[2:3]
	;; [unrolled: 1-line block ×3, first 2 shown]
	v_add_f64 v[238:239], v[238:239], -v[156:157]
.LBB118_440:
	s_or_b64 exec, exec, s[0:1]
	v_lshl_add_u32 v156, v253, 4, v252
	s_barrier
	ds_write2_b64 v156, v[148:149], v[150:151] offset1:1
	s_waitcnt lgkmcnt(0)
	s_barrier
	ds_read2_b64 v[240:243], v252 offset0:42 offset1:43
	s_cmp_lt_i32 s20, 23
	v_mov_b32_e32 v250, 21
	s_cbranch_scc1 .LBB118_443
; %bb.441:
	v_add_u32_e32 v246, 0x160, v252
	s_mov_b32 s0, 22
	v_mov_b32_e32 v250, 21
.LBB118_442:                            ; =>This Inner Loop Header: Depth=1
	ds_read2_b64 v[164:167], v246 offset1:1
	s_waitcnt lgkmcnt(1)
	v_cmp_gt_f64_e32 vcc, 0, v[240:241]
	v_xor_b32_e32 v156, 0x80000000, v241
	v_xor_b32_e32 v158, 0x80000000, v243
	v_cndmask_b32_e32 v157, v241, v156, vcc
	v_cmp_gt_f64_e32 vcc, 0, v[242:243]
	v_mov_b32_e32 v156, v240
	s_waitcnt lgkmcnt(0)
	v_xor_b32_e32 v216, 0x80000000, v167
	v_cndmask_b32_e32 v159, v243, v158, vcc
	v_mov_b32_e32 v158, v242
	v_add_f64 v[156:157], v[156:157], v[158:159]
	v_cmp_gt_f64_e32 vcc, 0, v[164:165]
	v_xor_b32_e32 v158, 0x80000000, v165
	v_add_u32_e32 v246, 16, v246
	v_cndmask_b32_e32 v159, v165, v158, vcc
	v_cmp_gt_f64_e32 vcc, 0, v[166:167]
	v_mov_b32_e32 v158, v164
	s_nop 0
	v_cndmask_b32_e32 v217, v167, v216, vcc
	v_mov_b32_e32 v216, v166
	v_add_f64 v[158:159], v[158:159], v[216:217]
	v_cmp_lt_f64_e32 vcc, v[156:157], v[158:159]
	v_mov_b32_e32 v156, s0
	s_add_i32 s0, s0, 1
	v_cndmask_b32_e32 v241, v241, v165, vcc
	v_cndmask_b32_e32 v240, v240, v164, vcc
	;; [unrolled: 1-line block ×5, first 2 shown]
	s_cmp_lg_u32 s20, s0
	s_cbranch_scc1 .LBB118_442
.LBB118_443:
	s_waitcnt lgkmcnt(0)
	v_cmp_eq_f64_e32 vcc, 0, v[240:241]
	v_cmp_eq_f64_e64 s[0:1], 0, v[242:243]
	s_and_b64 s[0:1], vcc, s[0:1]
	s_and_saveexec_b64 s[16:17], s[0:1]
	s_xor_b64 s[0:1], exec, s[16:17]
; %bb.444:
	v_cmp_ne_u32_e32 vcc, 0, v254
	s_nop 1
	v_cndmask_b32_e32 v254, 22, v254, vcc
; %bb.445:
	s_andn2_saveexec_b64 s[0:1], s[0:1]
	s_cbranch_execz .LBB118_451
; %bb.446:
	v_cmp_ngt_f64_e64 s[16:17], |v[240:241]|, |v[242:243]|
	s_and_saveexec_b64 s[18:19], s[16:17]
	s_xor_b64 s[16:17], exec, s[18:19]
	s_cbranch_execz .LBB118_448
; %bb.447:
	v_div_scale_f64 v[156:157], s[18:19], v[242:243], v[242:243], v[240:241]
	v_rcp_f64_e32 v[158:159], v[156:157]
	v_div_scale_f64 v[164:165], vcc, v[240:241], v[242:243], v[240:241]
	v_fma_f64 v[166:167], -v[156:157], v[158:159], 1.0
	v_fmac_f64_e32 v[158:159], v[158:159], v[166:167]
	v_fma_f64 v[166:167], -v[156:157], v[158:159], 1.0
	v_fmac_f64_e32 v[158:159], v[158:159], v[166:167]
	v_mul_f64 v[166:167], v[164:165], v[158:159]
	v_fma_f64 v[156:157], -v[156:157], v[166:167], v[164:165]
	v_div_fmas_f64 v[156:157], v[156:157], v[158:159], v[166:167]
	v_div_fixup_f64 v[156:157], v[156:157], v[242:243], v[240:241]
	v_fmac_f64_e32 v[242:243], v[240:241], v[156:157]
	v_div_scale_f64 v[158:159], s[18:19], v[242:243], v[242:243], 1.0
	v_rcp_f64_e32 v[164:165], v[158:159]
	s_nop 0
	v_fma_f64 v[166:167], -v[158:159], v[164:165], 1.0
	v_fmac_f64_e32 v[164:165], v[164:165], v[166:167]
	v_fma_f64 v[166:167], -v[158:159], v[164:165], 1.0
	v_fmac_f64_e32 v[164:165], v[164:165], v[166:167]
	v_div_scale_f64 v[166:167], vcc, 1.0, v[242:243], 1.0
	v_mul_f64 v[216:217], v[166:167], v[164:165]
	v_fma_f64 v[158:159], -v[158:159], v[216:217], v[166:167]
	s_nop 1
	v_div_fmas_f64 v[158:159], v[158:159], v[164:165], v[216:217]
	v_div_fixup_f64 v[242:243], v[158:159], v[242:243], 1.0
	v_mul_f64 v[240:241], v[156:157], v[242:243]
	v_xor_b32_e32 v243, 0x80000000, v243
.LBB118_448:
	s_andn2_saveexec_b64 s[16:17], s[16:17]
	s_cbranch_execz .LBB118_450
; %bb.449:
	v_div_scale_f64 v[156:157], s[18:19], v[240:241], v[240:241], v[242:243]
	v_rcp_f64_e32 v[158:159], v[156:157]
	v_div_scale_f64 v[164:165], vcc, v[242:243], v[240:241], v[242:243]
	v_fma_f64 v[166:167], -v[156:157], v[158:159], 1.0
	v_fmac_f64_e32 v[158:159], v[158:159], v[166:167]
	v_fma_f64 v[166:167], -v[156:157], v[158:159], 1.0
	v_fmac_f64_e32 v[158:159], v[158:159], v[166:167]
	v_mul_f64 v[166:167], v[164:165], v[158:159]
	v_fma_f64 v[156:157], -v[156:157], v[166:167], v[164:165]
	v_div_fmas_f64 v[156:157], v[156:157], v[158:159], v[166:167]
	v_div_fixup_f64 v[156:157], v[156:157], v[240:241], v[242:243]
	v_fmac_f64_e32 v[240:241], v[242:243], v[156:157]
	v_div_scale_f64 v[158:159], s[18:19], v[240:241], v[240:241], 1.0
	v_rcp_f64_e32 v[164:165], v[158:159]
	s_nop 0
	v_fma_f64 v[166:167], -v[158:159], v[164:165], 1.0
	v_fmac_f64_e32 v[164:165], v[164:165], v[166:167]
	v_fma_f64 v[166:167], -v[158:159], v[164:165], 1.0
	v_fmac_f64_e32 v[164:165], v[164:165], v[166:167]
	v_div_scale_f64 v[166:167], vcc, 1.0, v[240:241], 1.0
	v_mul_f64 v[216:217], v[166:167], v[164:165]
	v_fma_f64 v[158:159], -v[158:159], v[216:217], v[166:167]
	s_nop 1
	v_div_fmas_f64 v[158:159], v[158:159], v[164:165], v[216:217]
	v_div_fixup_f64 v[240:241], v[158:159], v[240:241], 1.0
	v_mul_f64 v[242:243], v[156:157], -v[240:241]
.LBB118_450:
	s_or_b64 exec, exec, s[16:17]
.LBB118_451:
	s_or_b64 exec, exec, s[0:1]
	v_cmp_ne_u32_e32 vcc, v253, v250
	s_and_saveexec_b64 s[0:1], vcc
	s_xor_b64 s[0:1], exec, s[0:1]
	s_cbranch_execz .LBB118_457
; %bb.452:
	v_cmp_eq_u32_e32 vcc, 21, v253
	s_and_saveexec_b64 s[16:17], vcc
	s_cbranch_execz .LBB118_456
; %bb.453:
	v_cmp_ne_u32_e32 vcc, 21, v250
	s_xor_b64 s[18:19], s[14:15], -1
	s_and_b64 s[22:23], s[18:19], vcc
	s_and_saveexec_b64 s[18:19], s[22:23]
	s_cbranch_execz .LBB118_455
; %bb.454:
	v_ashrrev_i32_e32 v251, 31, v250
	v_lshl_add_u64 v[156:157], v[250:251], 2, v[234:235]
	global_load_dword v158, v[156:157], off
	global_load_dword v159, v[234:235], off offset:84
	s_waitcnt vmcnt(1)
	global_store_dword v[234:235], v158, off offset:84
	s_waitcnt vmcnt(1)
	global_store_dword v[156:157], v159, off
.LBB118_455:
	s_or_b64 exec, exec, s[18:19]
	v_mov_b32_e32 v253, v250
	v_mov_b32_e32 v244, v250
.LBB118_456:
	s_or_b64 exec, exec, s[16:17]
.LBB118_457:
	s_andn2_saveexec_b64 s[0:1], s[0:1]
	s_cbranch_execz .LBB118_459
; %bb.458:
	v_mov_b32_e32 v253, 21
	ds_write2_b64 v252, v[144:145], v[146:147] offset0:44 offset1:45
	ds_write2_b64 v252, v[140:141], v[142:143] offset0:46 offset1:47
	ds_write2_b64 v252, v[136:137], v[138:139] offset0:48 offset1:49
	ds_write2_b64 v252, v[132:133], v[134:135] offset0:50 offset1:51
	ds_write2_b64 v252, v[128:129], v[130:131] offset0:52 offset1:53
	ds_write2_b64 v252, v[124:125], v[126:127] offset0:54 offset1:55
	ds_write2_b64 v252, v[120:121], v[122:123] offset0:56 offset1:57
	ds_write2_b64 v252, v[116:117], v[118:119] offset0:58 offset1:59
	ds_write2_b64 v252, v[112:113], v[114:115] offset0:60 offset1:61
	ds_write2_b64 v252, v[108:109], v[110:111] offset0:62 offset1:63
	ds_write2_b64 v252, v[104:105], v[106:107] offset0:64 offset1:65
	ds_write2_b64 v252, v[100:101], v[102:103] offset0:66 offset1:67
	ds_write2_b64 v252, v[96:97], v[98:99] offset0:68 offset1:69
	ds_write2_b64 v252, v[92:93], v[94:95] offset0:70 offset1:71
	ds_write2_b64 v252, v[88:89], v[90:91] offset0:72 offset1:73
	ds_write2_b64 v252, v[84:85], v[86:87] offset0:74 offset1:75
	ds_write2_b64 v252, v[80:81], v[82:83] offset0:76 offset1:77
	ds_write2_b64 v252, v[76:77], v[78:79] offset0:78 offset1:79
	ds_write2_b64 v252, v[72:73], v[74:75] offset0:80 offset1:81
	ds_write2_b64 v252, v[68:69], v[70:71] offset0:82 offset1:83
	ds_write2_b64 v252, v[64:65], v[66:67] offset0:84 offset1:85
	ds_write2_b64 v252, v[60:61], v[62:63] offset0:86 offset1:87
	ds_write2_b64 v252, v[56:57], v[58:59] offset0:88 offset1:89
	ds_write2_b64 v252, v[52:53], v[54:55] offset0:90 offset1:91
	ds_write2_b64 v252, v[48:49], v[50:51] offset0:92 offset1:93
	ds_write2_b64 v252, v[44:45], v[46:47] offset0:94 offset1:95
	ds_write2_b64 v252, v[40:41], v[42:43] offset0:96 offset1:97
	ds_write2_b64 v252, v[36:37], v[38:39] offset0:98 offset1:99
	ds_write2_b64 v252, v[32:33], v[34:35] offset0:100 offset1:101
	ds_write2_b64 v252, v[28:29], v[30:31] offset0:102 offset1:103
	ds_write2_b64 v252, v[24:25], v[26:27] offset0:104 offset1:105
	ds_write2_b64 v252, v[20:21], v[22:23] offset0:106 offset1:107
	ds_write2_b64 v252, v[16:17], v[18:19] offset0:108 offset1:109
	ds_write2_b64 v252, v[12:13], v[14:15] offset0:110 offset1:111
	ds_write2_b64 v252, v[230:231], v[232:233] offset0:112 offset1:113
	ds_write2_b64 v252, v[224:225], v[226:227] offset0:114 offset1:115
	ds_write2_b64 v252, v[220:221], v[222:223] offset0:116 offset1:117
	ds_write2_b64 v252, v[236:237], v[238:239] offset0:118 offset1:119
.LBB118_459:
	s_or_b64 exec, exec, s[0:1]
	v_cmp_lt_i32_e32 vcc, 21, v253
	s_waitcnt lgkmcnt(0)
	s_barrier
	s_and_saveexec_b64 s[0:1], vcc
	s_cbranch_execz .LBB118_461
; %bb.460:
	ds_read2_b64 v[164:167], v252 offset0:44 offset1:45
	v_mul_f64 v[156:157], v[242:243], v[150:151]
	v_mul_f64 v[150:151], v[240:241], v[150:151]
	v_fmac_f64_e32 v[150:151], v[242:243], v[148:149]
	v_fma_f64 v[250:251], v[240:241], v[148:149], -v[156:157]
	s_waitcnt lgkmcnt(0)
	v_mul_f64 v[148:149], v[166:167], v[150:151]
	v_mul_f64 v[156:157], v[164:165], v[150:151]
	v_fma_f64 v[148:149], v[164:165], v[250:251], -v[148:149]
	v_fmac_f64_e32 v[156:157], v[166:167], v[250:251]
	ds_read2_b64 v[164:167], v252 offset0:46 offset1:47
	v_add_f64 v[144:145], v[144:145], -v[148:149]
	v_add_f64 v[146:147], v[146:147], -v[156:157]
	s_waitcnt lgkmcnt(0)
	v_mul_f64 v[148:149], v[166:167], v[150:151]
	v_mul_f64 v[156:157], v[164:165], v[150:151]
	v_fma_f64 v[148:149], v[164:165], v[250:251], -v[148:149]
	v_fmac_f64_e32 v[156:157], v[166:167], v[250:251]
	ds_read2_b64 v[164:167], v252 offset0:48 offset1:49
	v_add_f64 v[140:141], v[140:141], -v[148:149]
	v_add_f64 v[142:143], v[142:143], -v[156:157]
	;; [unrolled: 8-line block ×37, first 2 shown]
	s_waitcnt lgkmcnt(0)
	v_mul_f64 v[148:149], v[166:167], v[150:151]
	v_mul_f64 v[156:157], v[164:165], v[150:151]
	v_fma_f64 v[148:149], v[164:165], v[250:251], -v[148:149]
	v_fmac_f64_e32 v[156:157], v[166:167], v[250:251]
	v_add_f64 v[236:237], v[236:237], -v[148:149]
	v_add_f64 v[238:239], v[238:239], -v[156:157]
	v_mov_b64_e32 v[148:149], v[250:251]
.LBB118_461:
	s_or_b64 exec, exec, s[0:1]
	v_lshl_add_u32 v156, v253, 4, v252
	s_barrier
	ds_write2_b64 v156, v[144:145], v[146:147] offset1:1
	s_waitcnt lgkmcnt(0)
	s_barrier
	ds_read2_b64 v[240:243], v252 offset0:44 offset1:45
	s_cmp_lt_i32 s20, 24
	v_mov_b32_e32 v250, 22
	s_cbranch_scc1 .LBB118_464
; %bb.462:
	v_add_u32_e32 v246, 0x170, v252
	s_mov_b32 s0, 23
	v_mov_b32_e32 v250, 22
.LBB118_463:                            ; =>This Inner Loop Header: Depth=1
	ds_read2_b64 v[164:167], v246 offset1:1
	s_waitcnt lgkmcnt(1)
	v_cmp_gt_f64_e32 vcc, 0, v[240:241]
	v_xor_b32_e32 v156, 0x80000000, v241
	v_xor_b32_e32 v158, 0x80000000, v243
	v_cndmask_b32_e32 v157, v241, v156, vcc
	v_cmp_gt_f64_e32 vcc, 0, v[242:243]
	v_mov_b32_e32 v156, v240
	s_waitcnt lgkmcnt(0)
	v_xor_b32_e32 v216, 0x80000000, v167
	v_cndmask_b32_e32 v159, v243, v158, vcc
	v_mov_b32_e32 v158, v242
	v_add_f64 v[156:157], v[156:157], v[158:159]
	v_cmp_gt_f64_e32 vcc, 0, v[164:165]
	v_xor_b32_e32 v158, 0x80000000, v165
	v_add_u32_e32 v246, 16, v246
	v_cndmask_b32_e32 v159, v165, v158, vcc
	v_cmp_gt_f64_e32 vcc, 0, v[166:167]
	v_mov_b32_e32 v158, v164
	s_nop 0
	v_cndmask_b32_e32 v217, v167, v216, vcc
	v_mov_b32_e32 v216, v166
	v_add_f64 v[158:159], v[158:159], v[216:217]
	v_cmp_lt_f64_e32 vcc, v[156:157], v[158:159]
	v_mov_b32_e32 v156, s0
	s_add_i32 s0, s0, 1
	v_cndmask_b32_e32 v241, v241, v165, vcc
	v_cndmask_b32_e32 v240, v240, v164, vcc
	v_cndmask_b32_e32 v243, v243, v167, vcc
	v_cndmask_b32_e32 v242, v242, v166, vcc
	v_cndmask_b32_e32 v250, v250, v156, vcc
	s_cmp_lg_u32 s20, s0
	s_cbranch_scc1 .LBB118_463
.LBB118_464:
	s_waitcnt lgkmcnt(0)
	v_cmp_eq_f64_e32 vcc, 0, v[240:241]
	v_cmp_eq_f64_e64 s[0:1], 0, v[242:243]
	s_and_b64 s[0:1], vcc, s[0:1]
	s_and_saveexec_b64 s[16:17], s[0:1]
	s_xor_b64 s[0:1], exec, s[16:17]
; %bb.465:
	v_cmp_ne_u32_e32 vcc, 0, v254
	s_nop 1
	v_cndmask_b32_e32 v254, 23, v254, vcc
; %bb.466:
	s_andn2_saveexec_b64 s[0:1], s[0:1]
	s_cbranch_execz .LBB118_472
; %bb.467:
	v_cmp_ngt_f64_e64 s[16:17], |v[240:241]|, |v[242:243]|
	s_and_saveexec_b64 s[18:19], s[16:17]
	s_xor_b64 s[16:17], exec, s[18:19]
	s_cbranch_execz .LBB118_469
; %bb.468:
	v_div_scale_f64 v[156:157], s[18:19], v[242:243], v[242:243], v[240:241]
	v_rcp_f64_e32 v[158:159], v[156:157]
	v_div_scale_f64 v[164:165], vcc, v[240:241], v[242:243], v[240:241]
	v_fma_f64 v[166:167], -v[156:157], v[158:159], 1.0
	v_fmac_f64_e32 v[158:159], v[158:159], v[166:167]
	v_fma_f64 v[166:167], -v[156:157], v[158:159], 1.0
	v_fmac_f64_e32 v[158:159], v[158:159], v[166:167]
	v_mul_f64 v[166:167], v[164:165], v[158:159]
	v_fma_f64 v[156:157], -v[156:157], v[166:167], v[164:165]
	v_div_fmas_f64 v[156:157], v[156:157], v[158:159], v[166:167]
	v_div_fixup_f64 v[156:157], v[156:157], v[242:243], v[240:241]
	v_fmac_f64_e32 v[242:243], v[240:241], v[156:157]
	v_div_scale_f64 v[158:159], s[18:19], v[242:243], v[242:243], 1.0
	v_rcp_f64_e32 v[164:165], v[158:159]
	s_nop 0
	v_fma_f64 v[166:167], -v[158:159], v[164:165], 1.0
	v_fmac_f64_e32 v[164:165], v[164:165], v[166:167]
	v_fma_f64 v[166:167], -v[158:159], v[164:165], 1.0
	v_fmac_f64_e32 v[164:165], v[164:165], v[166:167]
	v_div_scale_f64 v[166:167], vcc, 1.0, v[242:243], 1.0
	v_mul_f64 v[216:217], v[166:167], v[164:165]
	v_fma_f64 v[158:159], -v[158:159], v[216:217], v[166:167]
	s_nop 1
	v_div_fmas_f64 v[158:159], v[158:159], v[164:165], v[216:217]
	v_div_fixup_f64 v[242:243], v[158:159], v[242:243], 1.0
	v_mul_f64 v[240:241], v[156:157], v[242:243]
	v_xor_b32_e32 v243, 0x80000000, v243
.LBB118_469:
	s_andn2_saveexec_b64 s[16:17], s[16:17]
	s_cbranch_execz .LBB118_471
; %bb.470:
	v_div_scale_f64 v[156:157], s[18:19], v[240:241], v[240:241], v[242:243]
	v_rcp_f64_e32 v[158:159], v[156:157]
	v_div_scale_f64 v[164:165], vcc, v[242:243], v[240:241], v[242:243]
	v_fma_f64 v[166:167], -v[156:157], v[158:159], 1.0
	v_fmac_f64_e32 v[158:159], v[158:159], v[166:167]
	v_fma_f64 v[166:167], -v[156:157], v[158:159], 1.0
	v_fmac_f64_e32 v[158:159], v[158:159], v[166:167]
	v_mul_f64 v[166:167], v[164:165], v[158:159]
	v_fma_f64 v[156:157], -v[156:157], v[166:167], v[164:165]
	v_div_fmas_f64 v[156:157], v[156:157], v[158:159], v[166:167]
	v_div_fixup_f64 v[156:157], v[156:157], v[240:241], v[242:243]
	v_fmac_f64_e32 v[240:241], v[242:243], v[156:157]
	v_div_scale_f64 v[158:159], s[18:19], v[240:241], v[240:241], 1.0
	v_rcp_f64_e32 v[164:165], v[158:159]
	s_nop 0
	v_fma_f64 v[166:167], -v[158:159], v[164:165], 1.0
	v_fmac_f64_e32 v[164:165], v[164:165], v[166:167]
	v_fma_f64 v[166:167], -v[158:159], v[164:165], 1.0
	v_fmac_f64_e32 v[164:165], v[164:165], v[166:167]
	v_div_scale_f64 v[166:167], vcc, 1.0, v[240:241], 1.0
	v_mul_f64 v[216:217], v[166:167], v[164:165]
	v_fma_f64 v[158:159], -v[158:159], v[216:217], v[166:167]
	s_nop 1
	v_div_fmas_f64 v[158:159], v[158:159], v[164:165], v[216:217]
	v_div_fixup_f64 v[240:241], v[158:159], v[240:241], 1.0
	v_mul_f64 v[242:243], v[156:157], -v[240:241]
.LBB118_471:
	s_or_b64 exec, exec, s[16:17]
.LBB118_472:
	s_or_b64 exec, exec, s[0:1]
	v_cmp_ne_u32_e32 vcc, v253, v250
	s_and_saveexec_b64 s[0:1], vcc
	s_xor_b64 s[0:1], exec, s[0:1]
	s_cbranch_execz .LBB118_478
; %bb.473:
	v_cmp_eq_u32_e32 vcc, 22, v253
	s_and_saveexec_b64 s[16:17], vcc
	s_cbranch_execz .LBB118_477
; %bb.474:
	v_cmp_ne_u32_e32 vcc, 22, v250
	s_xor_b64 s[18:19], s[14:15], -1
	s_and_b64 s[22:23], s[18:19], vcc
	s_and_saveexec_b64 s[18:19], s[22:23]
	s_cbranch_execz .LBB118_476
; %bb.475:
	v_ashrrev_i32_e32 v251, 31, v250
	v_lshl_add_u64 v[156:157], v[250:251], 2, v[234:235]
	global_load_dword v158, v[156:157], off
	global_load_dword v159, v[234:235], off offset:88
	s_waitcnt vmcnt(1)
	global_store_dword v[234:235], v158, off offset:88
	s_waitcnt vmcnt(1)
	global_store_dword v[156:157], v159, off
.LBB118_476:
	s_or_b64 exec, exec, s[18:19]
	v_mov_b32_e32 v253, v250
	v_mov_b32_e32 v244, v250
.LBB118_477:
	s_or_b64 exec, exec, s[16:17]
.LBB118_478:
	s_andn2_saveexec_b64 s[0:1], s[0:1]
	s_cbranch_execz .LBB118_480
; %bb.479:
	v_mov_b32_e32 v253, 22
	ds_write2_b64 v252, v[140:141], v[142:143] offset0:46 offset1:47
	ds_write2_b64 v252, v[136:137], v[138:139] offset0:48 offset1:49
	;; [unrolled: 1-line block ×37, first 2 shown]
.LBB118_480:
	s_or_b64 exec, exec, s[0:1]
	v_cmp_lt_i32_e32 vcc, 22, v253
	s_waitcnt lgkmcnt(0)
	s_barrier
	s_and_saveexec_b64 s[0:1], vcc
	s_cbranch_execz .LBB118_482
; %bb.481:
	ds_read2_b64 v[164:167], v252 offset0:46 offset1:47
	v_mul_f64 v[156:157], v[242:243], v[146:147]
	v_mul_f64 v[146:147], v[240:241], v[146:147]
	v_fmac_f64_e32 v[146:147], v[242:243], v[144:145]
	v_fma_f64 v[250:251], v[240:241], v[144:145], -v[156:157]
	s_waitcnt lgkmcnt(0)
	v_mul_f64 v[144:145], v[166:167], v[146:147]
	v_mul_f64 v[156:157], v[164:165], v[146:147]
	v_fma_f64 v[144:145], v[164:165], v[250:251], -v[144:145]
	v_fmac_f64_e32 v[156:157], v[166:167], v[250:251]
	ds_read2_b64 v[164:167], v252 offset0:48 offset1:49
	v_add_f64 v[140:141], v[140:141], -v[144:145]
	v_add_f64 v[142:143], v[142:143], -v[156:157]
	s_waitcnt lgkmcnt(0)
	v_mul_f64 v[144:145], v[166:167], v[146:147]
	v_mul_f64 v[156:157], v[164:165], v[146:147]
	v_fma_f64 v[144:145], v[164:165], v[250:251], -v[144:145]
	v_fmac_f64_e32 v[156:157], v[166:167], v[250:251]
	ds_read2_b64 v[164:167], v252 offset0:50 offset1:51
	v_add_f64 v[136:137], v[136:137], -v[144:145]
	v_add_f64 v[138:139], v[138:139], -v[156:157]
	;; [unrolled: 8-line block ×36, first 2 shown]
	s_waitcnt lgkmcnt(0)
	v_mul_f64 v[144:145], v[166:167], v[146:147]
	v_mul_f64 v[156:157], v[164:165], v[146:147]
	v_fma_f64 v[144:145], v[164:165], v[250:251], -v[144:145]
	v_fmac_f64_e32 v[156:157], v[166:167], v[250:251]
	v_add_f64 v[236:237], v[236:237], -v[144:145]
	v_add_f64 v[238:239], v[238:239], -v[156:157]
	v_mov_b64_e32 v[144:145], v[250:251]
.LBB118_482:
	s_or_b64 exec, exec, s[0:1]
	v_lshl_add_u32 v156, v253, 4, v252
	s_barrier
	ds_write2_b64 v156, v[140:141], v[142:143] offset1:1
	s_waitcnt lgkmcnt(0)
	s_barrier
	ds_read2_b64 v[240:243], v252 offset0:46 offset1:47
	s_cmp_lt_i32 s20, 25
	v_mov_b32_e32 v250, 23
	s_cbranch_scc1 .LBB118_485
; %bb.483:
	v_add_u32_e32 v246, 0x180, v252
	s_mov_b32 s0, 24
	v_mov_b32_e32 v250, 23
.LBB118_484:                            ; =>This Inner Loop Header: Depth=1
	ds_read2_b64 v[164:167], v246 offset1:1
	s_waitcnt lgkmcnt(1)
	v_cmp_gt_f64_e32 vcc, 0, v[240:241]
	v_xor_b32_e32 v156, 0x80000000, v241
	v_xor_b32_e32 v158, 0x80000000, v243
	v_cndmask_b32_e32 v157, v241, v156, vcc
	v_cmp_gt_f64_e32 vcc, 0, v[242:243]
	v_mov_b32_e32 v156, v240
	s_waitcnt lgkmcnt(0)
	v_xor_b32_e32 v216, 0x80000000, v167
	v_cndmask_b32_e32 v159, v243, v158, vcc
	v_mov_b32_e32 v158, v242
	v_add_f64 v[156:157], v[156:157], v[158:159]
	v_cmp_gt_f64_e32 vcc, 0, v[164:165]
	v_xor_b32_e32 v158, 0x80000000, v165
	v_add_u32_e32 v246, 16, v246
	v_cndmask_b32_e32 v159, v165, v158, vcc
	v_cmp_gt_f64_e32 vcc, 0, v[166:167]
	v_mov_b32_e32 v158, v164
	s_nop 0
	v_cndmask_b32_e32 v217, v167, v216, vcc
	v_mov_b32_e32 v216, v166
	v_add_f64 v[158:159], v[158:159], v[216:217]
	v_cmp_lt_f64_e32 vcc, v[156:157], v[158:159]
	v_mov_b32_e32 v156, s0
	s_add_i32 s0, s0, 1
	v_cndmask_b32_e32 v241, v241, v165, vcc
	v_cndmask_b32_e32 v240, v240, v164, vcc
	;; [unrolled: 1-line block ×5, first 2 shown]
	s_cmp_lg_u32 s20, s0
	s_cbranch_scc1 .LBB118_484
.LBB118_485:
	s_waitcnt lgkmcnt(0)
	v_cmp_eq_f64_e32 vcc, 0, v[240:241]
	v_cmp_eq_f64_e64 s[0:1], 0, v[242:243]
	s_and_b64 s[0:1], vcc, s[0:1]
	s_and_saveexec_b64 s[16:17], s[0:1]
	s_xor_b64 s[0:1], exec, s[16:17]
; %bb.486:
	v_cmp_ne_u32_e32 vcc, 0, v254
	s_nop 1
	v_cndmask_b32_e32 v254, 24, v254, vcc
; %bb.487:
	s_andn2_saveexec_b64 s[0:1], s[0:1]
	s_cbranch_execz .LBB118_493
; %bb.488:
	v_cmp_ngt_f64_e64 s[16:17], |v[240:241]|, |v[242:243]|
	s_and_saveexec_b64 s[18:19], s[16:17]
	s_xor_b64 s[16:17], exec, s[18:19]
	s_cbranch_execz .LBB118_490
; %bb.489:
	v_div_scale_f64 v[156:157], s[18:19], v[242:243], v[242:243], v[240:241]
	v_rcp_f64_e32 v[158:159], v[156:157]
	v_div_scale_f64 v[164:165], vcc, v[240:241], v[242:243], v[240:241]
	v_fma_f64 v[166:167], -v[156:157], v[158:159], 1.0
	v_fmac_f64_e32 v[158:159], v[158:159], v[166:167]
	v_fma_f64 v[166:167], -v[156:157], v[158:159], 1.0
	v_fmac_f64_e32 v[158:159], v[158:159], v[166:167]
	v_mul_f64 v[166:167], v[164:165], v[158:159]
	v_fma_f64 v[156:157], -v[156:157], v[166:167], v[164:165]
	v_div_fmas_f64 v[156:157], v[156:157], v[158:159], v[166:167]
	v_div_fixup_f64 v[156:157], v[156:157], v[242:243], v[240:241]
	v_fmac_f64_e32 v[242:243], v[240:241], v[156:157]
	v_div_scale_f64 v[158:159], s[18:19], v[242:243], v[242:243], 1.0
	v_rcp_f64_e32 v[164:165], v[158:159]
	s_nop 0
	v_fma_f64 v[166:167], -v[158:159], v[164:165], 1.0
	v_fmac_f64_e32 v[164:165], v[164:165], v[166:167]
	v_fma_f64 v[166:167], -v[158:159], v[164:165], 1.0
	v_fmac_f64_e32 v[164:165], v[164:165], v[166:167]
	v_div_scale_f64 v[166:167], vcc, 1.0, v[242:243], 1.0
	v_mul_f64 v[216:217], v[166:167], v[164:165]
	v_fma_f64 v[158:159], -v[158:159], v[216:217], v[166:167]
	s_nop 1
	v_div_fmas_f64 v[158:159], v[158:159], v[164:165], v[216:217]
	v_div_fixup_f64 v[242:243], v[158:159], v[242:243], 1.0
	v_mul_f64 v[240:241], v[156:157], v[242:243]
	v_xor_b32_e32 v243, 0x80000000, v243
.LBB118_490:
	s_andn2_saveexec_b64 s[16:17], s[16:17]
	s_cbranch_execz .LBB118_492
; %bb.491:
	v_div_scale_f64 v[156:157], s[18:19], v[240:241], v[240:241], v[242:243]
	v_rcp_f64_e32 v[158:159], v[156:157]
	v_div_scale_f64 v[164:165], vcc, v[242:243], v[240:241], v[242:243]
	v_fma_f64 v[166:167], -v[156:157], v[158:159], 1.0
	v_fmac_f64_e32 v[158:159], v[158:159], v[166:167]
	v_fma_f64 v[166:167], -v[156:157], v[158:159], 1.0
	v_fmac_f64_e32 v[158:159], v[158:159], v[166:167]
	v_mul_f64 v[166:167], v[164:165], v[158:159]
	v_fma_f64 v[156:157], -v[156:157], v[166:167], v[164:165]
	v_div_fmas_f64 v[156:157], v[156:157], v[158:159], v[166:167]
	v_div_fixup_f64 v[156:157], v[156:157], v[240:241], v[242:243]
	v_fmac_f64_e32 v[240:241], v[242:243], v[156:157]
	v_div_scale_f64 v[158:159], s[18:19], v[240:241], v[240:241], 1.0
	v_rcp_f64_e32 v[164:165], v[158:159]
	s_nop 0
	v_fma_f64 v[166:167], -v[158:159], v[164:165], 1.0
	v_fmac_f64_e32 v[164:165], v[164:165], v[166:167]
	v_fma_f64 v[166:167], -v[158:159], v[164:165], 1.0
	v_fmac_f64_e32 v[164:165], v[164:165], v[166:167]
	v_div_scale_f64 v[166:167], vcc, 1.0, v[240:241], 1.0
	v_mul_f64 v[216:217], v[166:167], v[164:165]
	v_fma_f64 v[158:159], -v[158:159], v[216:217], v[166:167]
	s_nop 1
	v_div_fmas_f64 v[158:159], v[158:159], v[164:165], v[216:217]
	v_div_fixup_f64 v[240:241], v[158:159], v[240:241], 1.0
	v_mul_f64 v[242:243], v[156:157], -v[240:241]
.LBB118_492:
	s_or_b64 exec, exec, s[16:17]
.LBB118_493:
	s_or_b64 exec, exec, s[0:1]
	v_cmp_ne_u32_e32 vcc, v253, v250
	s_and_saveexec_b64 s[0:1], vcc
	s_xor_b64 s[0:1], exec, s[0:1]
	s_cbranch_execz .LBB118_499
; %bb.494:
	v_cmp_eq_u32_e32 vcc, 23, v253
	s_and_saveexec_b64 s[16:17], vcc
	s_cbranch_execz .LBB118_498
; %bb.495:
	v_cmp_ne_u32_e32 vcc, 23, v250
	s_xor_b64 s[18:19], s[14:15], -1
	s_and_b64 s[22:23], s[18:19], vcc
	s_and_saveexec_b64 s[18:19], s[22:23]
	s_cbranch_execz .LBB118_497
; %bb.496:
	v_ashrrev_i32_e32 v251, 31, v250
	v_lshl_add_u64 v[156:157], v[250:251], 2, v[234:235]
	global_load_dword v158, v[156:157], off
	global_load_dword v159, v[234:235], off offset:92
	s_waitcnt vmcnt(1)
	global_store_dword v[234:235], v158, off offset:92
	s_waitcnt vmcnt(1)
	global_store_dword v[156:157], v159, off
.LBB118_497:
	s_or_b64 exec, exec, s[18:19]
	v_mov_b32_e32 v253, v250
	v_mov_b32_e32 v244, v250
.LBB118_498:
	s_or_b64 exec, exec, s[16:17]
.LBB118_499:
	s_andn2_saveexec_b64 s[0:1], s[0:1]
	s_cbranch_execz .LBB118_501
; %bb.500:
	v_mov_b32_e32 v253, 23
	ds_write2_b64 v252, v[136:137], v[138:139] offset0:48 offset1:49
	ds_write2_b64 v252, v[132:133], v[134:135] offset0:50 offset1:51
	;; [unrolled: 1-line block ×36, first 2 shown]
.LBB118_501:
	s_or_b64 exec, exec, s[0:1]
	v_cmp_lt_i32_e32 vcc, 23, v253
	s_waitcnt lgkmcnt(0)
	s_barrier
	s_and_saveexec_b64 s[0:1], vcc
	s_cbranch_execz .LBB118_503
; %bb.502:
	ds_read2_b64 v[164:167], v252 offset0:48 offset1:49
	v_mul_f64 v[156:157], v[242:243], v[142:143]
	v_mul_f64 v[142:143], v[240:241], v[142:143]
	v_fmac_f64_e32 v[142:143], v[242:243], v[140:141]
	v_fma_f64 v[250:251], v[240:241], v[140:141], -v[156:157]
	s_waitcnt lgkmcnt(0)
	v_mul_f64 v[140:141], v[166:167], v[142:143]
	v_mul_f64 v[156:157], v[164:165], v[142:143]
	v_fma_f64 v[140:141], v[164:165], v[250:251], -v[140:141]
	v_fmac_f64_e32 v[156:157], v[166:167], v[250:251]
	ds_read2_b64 v[164:167], v252 offset0:50 offset1:51
	v_add_f64 v[136:137], v[136:137], -v[140:141]
	v_add_f64 v[138:139], v[138:139], -v[156:157]
	s_waitcnt lgkmcnt(0)
	v_mul_f64 v[140:141], v[166:167], v[142:143]
	v_mul_f64 v[156:157], v[164:165], v[142:143]
	v_fma_f64 v[140:141], v[164:165], v[250:251], -v[140:141]
	v_fmac_f64_e32 v[156:157], v[166:167], v[250:251]
	ds_read2_b64 v[164:167], v252 offset0:52 offset1:53
	v_add_f64 v[132:133], v[132:133], -v[140:141]
	v_add_f64 v[134:135], v[134:135], -v[156:157]
	;; [unrolled: 8-line block ×35, first 2 shown]
	s_waitcnt lgkmcnt(0)
	v_mul_f64 v[140:141], v[166:167], v[142:143]
	v_mul_f64 v[156:157], v[164:165], v[142:143]
	v_fma_f64 v[140:141], v[164:165], v[250:251], -v[140:141]
	v_fmac_f64_e32 v[156:157], v[166:167], v[250:251]
	v_add_f64 v[236:237], v[236:237], -v[140:141]
	v_add_f64 v[238:239], v[238:239], -v[156:157]
	v_mov_b64_e32 v[140:141], v[250:251]
.LBB118_503:
	s_or_b64 exec, exec, s[0:1]
	v_lshl_add_u32 v156, v253, 4, v252
	s_barrier
	ds_write2_b64 v156, v[136:137], v[138:139] offset1:1
	s_waitcnt lgkmcnt(0)
	s_barrier
	ds_read2_b64 v[240:243], v252 offset0:48 offset1:49
	s_cmp_lt_i32 s20, 26
	v_mov_b32_e32 v250, 24
	s_cbranch_scc1 .LBB118_506
; %bb.504:
	v_add_u32_e32 v246, 0x190, v252
	s_mov_b32 s0, 25
	v_mov_b32_e32 v250, 24
.LBB118_505:                            ; =>This Inner Loop Header: Depth=1
	ds_read2_b64 v[164:167], v246 offset1:1
	s_waitcnt lgkmcnt(1)
	v_cmp_gt_f64_e32 vcc, 0, v[240:241]
	v_xor_b32_e32 v156, 0x80000000, v241
	v_xor_b32_e32 v158, 0x80000000, v243
	v_cndmask_b32_e32 v157, v241, v156, vcc
	v_cmp_gt_f64_e32 vcc, 0, v[242:243]
	v_mov_b32_e32 v156, v240
	s_waitcnt lgkmcnt(0)
	v_xor_b32_e32 v216, 0x80000000, v167
	v_cndmask_b32_e32 v159, v243, v158, vcc
	v_mov_b32_e32 v158, v242
	v_add_f64 v[156:157], v[156:157], v[158:159]
	v_cmp_gt_f64_e32 vcc, 0, v[164:165]
	v_xor_b32_e32 v158, 0x80000000, v165
	v_add_u32_e32 v246, 16, v246
	v_cndmask_b32_e32 v159, v165, v158, vcc
	v_cmp_gt_f64_e32 vcc, 0, v[166:167]
	v_mov_b32_e32 v158, v164
	s_nop 0
	v_cndmask_b32_e32 v217, v167, v216, vcc
	v_mov_b32_e32 v216, v166
	v_add_f64 v[158:159], v[158:159], v[216:217]
	v_cmp_lt_f64_e32 vcc, v[156:157], v[158:159]
	v_mov_b32_e32 v156, s0
	s_add_i32 s0, s0, 1
	v_cndmask_b32_e32 v241, v241, v165, vcc
	v_cndmask_b32_e32 v240, v240, v164, vcc
	;; [unrolled: 1-line block ×5, first 2 shown]
	s_cmp_lg_u32 s20, s0
	s_cbranch_scc1 .LBB118_505
.LBB118_506:
	s_waitcnt lgkmcnt(0)
	v_cmp_eq_f64_e32 vcc, 0, v[240:241]
	v_cmp_eq_f64_e64 s[0:1], 0, v[242:243]
	s_and_b64 s[0:1], vcc, s[0:1]
	s_and_saveexec_b64 s[16:17], s[0:1]
	s_xor_b64 s[0:1], exec, s[16:17]
; %bb.507:
	v_cmp_ne_u32_e32 vcc, 0, v254
	s_nop 1
	v_cndmask_b32_e32 v254, 25, v254, vcc
; %bb.508:
	s_andn2_saveexec_b64 s[0:1], s[0:1]
	s_cbranch_execz .LBB118_514
; %bb.509:
	v_cmp_ngt_f64_e64 s[16:17], |v[240:241]|, |v[242:243]|
	s_and_saveexec_b64 s[18:19], s[16:17]
	s_xor_b64 s[16:17], exec, s[18:19]
	s_cbranch_execz .LBB118_511
; %bb.510:
	v_div_scale_f64 v[156:157], s[18:19], v[242:243], v[242:243], v[240:241]
	v_rcp_f64_e32 v[158:159], v[156:157]
	v_div_scale_f64 v[164:165], vcc, v[240:241], v[242:243], v[240:241]
	v_fma_f64 v[166:167], -v[156:157], v[158:159], 1.0
	v_fmac_f64_e32 v[158:159], v[158:159], v[166:167]
	v_fma_f64 v[166:167], -v[156:157], v[158:159], 1.0
	v_fmac_f64_e32 v[158:159], v[158:159], v[166:167]
	v_mul_f64 v[166:167], v[164:165], v[158:159]
	v_fma_f64 v[156:157], -v[156:157], v[166:167], v[164:165]
	v_div_fmas_f64 v[156:157], v[156:157], v[158:159], v[166:167]
	v_div_fixup_f64 v[156:157], v[156:157], v[242:243], v[240:241]
	v_fmac_f64_e32 v[242:243], v[240:241], v[156:157]
	v_div_scale_f64 v[158:159], s[18:19], v[242:243], v[242:243], 1.0
	v_rcp_f64_e32 v[164:165], v[158:159]
	s_nop 0
	v_fma_f64 v[166:167], -v[158:159], v[164:165], 1.0
	v_fmac_f64_e32 v[164:165], v[164:165], v[166:167]
	v_fma_f64 v[166:167], -v[158:159], v[164:165], 1.0
	v_fmac_f64_e32 v[164:165], v[164:165], v[166:167]
	v_div_scale_f64 v[166:167], vcc, 1.0, v[242:243], 1.0
	v_mul_f64 v[216:217], v[166:167], v[164:165]
	v_fma_f64 v[158:159], -v[158:159], v[216:217], v[166:167]
	s_nop 1
	v_div_fmas_f64 v[158:159], v[158:159], v[164:165], v[216:217]
	v_div_fixup_f64 v[242:243], v[158:159], v[242:243], 1.0
	v_mul_f64 v[240:241], v[156:157], v[242:243]
	v_xor_b32_e32 v243, 0x80000000, v243
.LBB118_511:
	s_andn2_saveexec_b64 s[16:17], s[16:17]
	s_cbranch_execz .LBB118_513
; %bb.512:
	v_div_scale_f64 v[156:157], s[18:19], v[240:241], v[240:241], v[242:243]
	v_rcp_f64_e32 v[158:159], v[156:157]
	v_div_scale_f64 v[164:165], vcc, v[242:243], v[240:241], v[242:243]
	v_fma_f64 v[166:167], -v[156:157], v[158:159], 1.0
	v_fmac_f64_e32 v[158:159], v[158:159], v[166:167]
	v_fma_f64 v[166:167], -v[156:157], v[158:159], 1.0
	v_fmac_f64_e32 v[158:159], v[158:159], v[166:167]
	v_mul_f64 v[166:167], v[164:165], v[158:159]
	v_fma_f64 v[156:157], -v[156:157], v[166:167], v[164:165]
	v_div_fmas_f64 v[156:157], v[156:157], v[158:159], v[166:167]
	v_div_fixup_f64 v[156:157], v[156:157], v[240:241], v[242:243]
	v_fmac_f64_e32 v[240:241], v[242:243], v[156:157]
	v_div_scale_f64 v[158:159], s[18:19], v[240:241], v[240:241], 1.0
	v_rcp_f64_e32 v[164:165], v[158:159]
	s_nop 0
	v_fma_f64 v[166:167], -v[158:159], v[164:165], 1.0
	v_fmac_f64_e32 v[164:165], v[164:165], v[166:167]
	v_fma_f64 v[166:167], -v[158:159], v[164:165], 1.0
	v_fmac_f64_e32 v[164:165], v[164:165], v[166:167]
	v_div_scale_f64 v[166:167], vcc, 1.0, v[240:241], 1.0
	v_mul_f64 v[216:217], v[166:167], v[164:165]
	v_fma_f64 v[158:159], -v[158:159], v[216:217], v[166:167]
	s_nop 1
	v_div_fmas_f64 v[158:159], v[158:159], v[164:165], v[216:217]
	v_div_fixup_f64 v[240:241], v[158:159], v[240:241], 1.0
	v_mul_f64 v[242:243], v[156:157], -v[240:241]
.LBB118_513:
	s_or_b64 exec, exec, s[16:17]
.LBB118_514:
	s_or_b64 exec, exec, s[0:1]
	v_cmp_ne_u32_e32 vcc, v253, v250
	s_and_saveexec_b64 s[0:1], vcc
	s_xor_b64 s[0:1], exec, s[0:1]
	s_cbranch_execz .LBB118_520
; %bb.515:
	v_cmp_eq_u32_e32 vcc, 24, v253
	s_and_saveexec_b64 s[16:17], vcc
	s_cbranch_execz .LBB118_519
; %bb.516:
	v_cmp_ne_u32_e32 vcc, 24, v250
	s_xor_b64 s[18:19], s[14:15], -1
	s_and_b64 s[22:23], s[18:19], vcc
	s_and_saveexec_b64 s[18:19], s[22:23]
	s_cbranch_execz .LBB118_518
; %bb.517:
	v_ashrrev_i32_e32 v251, 31, v250
	v_lshl_add_u64 v[156:157], v[250:251], 2, v[234:235]
	global_load_dword v158, v[156:157], off
	global_load_dword v159, v[234:235], off offset:96
	s_waitcnt vmcnt(1)
	global_store_dword v[234:235], v158, off offset:96
	s_waitcnt vmcnt(1)
	global_store_dword v[156:157], v159, off
.LBB118_518:
	s_or_b64 exec, exec, s[18:19]
	v_mov_b32_e32 v253, v250
	v_mov_b32_e32 v244, v250
.LBB118_519:
	s_or_b64 exec, exec, s[16:17]
.LBB118_520:
	s_andn2_saveexec_b64 s[0:1], s[0:1]
	s_cbranch_execz .LBB118_522
; %bb.521:
	v_mov_b32_e32 v253, 24
	ds_write2_b64 v252, v[132:133], v[134:135] offset0:50 offset1:51
	ds_write2_b64 v252, v[128:129], v[130:131] offset0:52 offset1:53
	;; [unrolled: 1-line block ×35, first 2 shown]
.LBB118_522:
	s_or_b64 exec, exec, s[0:1]
	v_cmp_lt_i32_e32 vcc, 24, v253
	s_waitcnt lgkmcnt(0)
	s_barrier
	s_and_saveexec_b64 s[0:1], vcc
	s_cbranch_execz .LBB118_524
; %bb.523:
	ds_read2_b64 v[164:167], v252 offset0:50 offset1:51
	v_mul_f64 v[156:157], v[242:243], v[138:139]
	v_mul_f64 v[138:139], v[240:241], v[138:139]
	v_fmac_f64_e32 v[138:139], v[242:243], v[136:137]
	v_fma_f64 v[250:251], v[240:241], v[136:137], -v[156:157]
	s_waitcnt lgkmcnt(0)
	v_mul_f64 v[136:137], v[166:167], v[138:139]
	v_mul_f64 v[156:157], v[164:165], v[138:139]
	v_fma_f64 v[136:137], v[164:165], v[250:251], -v[136:137]
	v_fmac_f64_e32 v[156:157], v[166:167], v[250:251]
	ds_read2_b64 v[164:167], v252 offset0:52 offset1:53
	v_add_f64 v[132:133], v[132:133], -v[136:137]
	v_add_f64 v[134:135], v[134:135], -v[156:157]
	s_waitcnt lgkmcnt(0)
	v_mul_f64 v[136:137], v[166:167], v[138:139]
	v_mul_f64 v[156:157], v[164:165], v[138:139]
	v_fma_f64 v[136:137], v[164:165], v[250:251], -v[136:137]
	v_fmac_f64_e32 v[156:157], v[166:167], v[250:251]
	ds_read2_b64 v[164:167], v252 offset0:54 offset1:55
	v_add_f64 v[128:129], v[128:129], -v[136:137]
	v_add_f64 v[130:131], v[130:131], -v[156:157]
	;; [unrolled: 8-line block ×34, first 2 shown]
	s_waitcnt lgkmcnt(0)
	v_mul_f64 v[136:137], v[166:167], v[138:139]
	v_mul_f64 v[156:157], v[164:165], v[138:139]
	v_fma_f64 v[136:137], v[164:165], v[250:251], -v[136:137]
	v_fmac_f64_e32 v[156:157], v[166:167], v[250:251]
	v_add_f64 v[236:237], v[236:237], -v[136:137]
	v_add_f64 v[238:239], v[238:239], -v[156:157]
	v_mov_b64_e32 v[136:137], v[250:251]
.LBB118_524:
	s_or_b64 exec, exec, s[0:1]
	v_lshl_add_u32 v156, v253, 4, v252
	s_barrier
	ds_write2_b64 v156, v[132:133], v[134:135] offset1:1
	s_waitcnt lgkmcnt(0)
	s_barrier
	ds_read2_b64 v[240:243], v252 offset0:50 offset1:51
	s_cmp_lt_i32 s20, 27
	v_mov_b32_e32 v250, 25
	s_cbranch_scc1 .LBB118_527
; %bb.525:
	v_add_u32_e32 v246, 0x1a0, v252
	s_mov_b32 s0, 26
	v_mov_b32_e32 v250, 25
.LBB118_526:                            ; =>This Inner Loop Header: Depth=1
	ds_read2_b64 v[164:167], v246 offset1:1
	s_waitcnt lgkmcnt(1)
	v_cmp_gt_f64_e32 vcc, 0, v[240:241]
	v_xor_b32_e32 v156, 0x80000000, v241
	v_xor_b32_e32 v158, 0x80000000, v243
	v_cndmask_b32_e32 v157, v241, v156, vcc
	v_cmp_gt_f64_e32 vcc, 0, v[242:243]
	v_mov_b32_e32 v156, v240
	s_waitcnt lgkmcnt(0)
	v_xor_b32_e32 v216, 0x80000000, v167
	v_cndmask_b32_e32 v159, v243, v158, vcc
	v_mov_b32_e32 v158, v242
	v_add_f64 v[156:157], v[156:157], v[158:159]
	v_cmp_gt_f64_e32 vcc, 0, v[164:165]
	v_xor_b32_e32 v158, 0x80000000, v165
	v_add_u32_e32 v246, 16, v246
	v_cndmask_b32_e32 v159, v165, v158, vcc
	v_cmp_gt_f64_e32 vcc, 0, v[166:167]
	v_mov_b32_e32 v158, v164
	s_nop 0
	v_cndmask_b32_e32 v217, v167, v216, vcc
	v_mov_b32_e32 v216, v166
	v_add_f64 v[158:159], v[158:159], v[216:217]
	v_cmp_lt_f64_e32 vcc, v[156:157], v[158:159]
	v_mov_b32_e32 v156, s0
	s_add_i32 s0, s0, 1
	v_cndmask_b32_e32 v241, v241, v165, vcc
	v_cndmask_b32_e32 v240, v240, v164, vcc
	;; [unrolled: 1-line block ×5, first 2 shown]
	s_cmp_lg_u32 s20, s0
	s_cbranch_scc1 .LBB118_526
.LBB118_527:
	s_waitcnt lgkmcnt(0)
	v_cmp_eq_f64_e32 vcc, 0, v[240:241]
	v_cmp_eq_f64_e64 s[0:1], 0, v[242:243]
	s_and_b64 s[0:1], vcc, s[0:1]
	s_and_saveexec_b64 s[16:17], s[0:1]
	s_xor_b64 s[0:1], exec, s[16:17]
; %bb.528:
	v_cmp_ne_u32_e32 vcc, 0, v254
	s_nop 1
	v_cndmask_b32_e32 v254, 26, v254, vcc
; %bb.529:
	s_andn2_saveexec_b64 s[0:1], s[0:1]
	s_cbranch_execz .LBB118_535
; %bb.530:
	v_cmp_ngt_f64_e64 s[16:17], |v[240:241]|, |v[242:243]|
	s_and_saveexec_b64 s[18:19], s[16:17]
	s_xor_b64 s[16:17], exec, s[18:19]
	s_cbranch_execz .LBB118_532
; %bb.531:
	v_div_scale_f64 v[156:157], s[18:19], v[242:243], v[242:243], v[240:241]
	v_rcp_f64_e32 v[158:159], v[156:157]
	v_div_scale_f64 v[164:165], vcc, v[240:241], v[242:243], v[240:241]
	v_fma_f64 v[166:167], -v[156:157], v[158:159], 1.0
	v_fmac_f64_e32 v[158:159], v[158:159], v[166:167]
	v_fma_f64 v[166:167], -v[156:157], v[158:159], 1.0
	v_fmac_f64_e32 v[158:159], v[158:159], v[166:167]
	v_mul_f64 v[166:167], v[164:165], v[158:159]
	v_fma_f64 v[156:157], -v[156:157], v[166:167], v[164:165]
	v_div_fmas_f64 v[156:157], v[156:157], v[158:159], v[166:167]
	v_div_fixup_f64 v[156:157], v[156:157], v[242:243], v[240:241]
	v_fmac_f64_e32 v[242:243], v[240:241], v[156:157]
	v_div_scale_f64 v[158:159], s[18:19], v[242:243], v[242:243], 1.0
	v_rcp_f64_e32 v[164:165], v[158:159]
	s_nop 0
	v_fma_f64 v[166:167], -v[158:159], v[164:165], 1.0
	v_fmac_f64_e32 v[164:165], v[164:165], v[166:167]
	v_fma_f64 v[166:167], -v[158:159], v[164:165], 1.0
	v_fmac_f64_e32 v[164:165], v[164:165], v[166:167]
	v_div_scale_f64 v[166:167], vcc, 1.0, v[242:243], 1.0
	v_mul_f64 v[216:217], v[166:167], v[164:165]
	v_fma_f64 v[158:159], -v[158:159], v[216:217], v[166:167]
	s_nop 1
	v_div_fmas_f64 v[158:159], v[158:159], v[164:165], v[216:217]
	v_div_fixup_f64 v[242:243], v[158:159], v[242:243], 1.0
	v_mul_f64 v[240:241], v[156:157], v[242:243]
	v_xor_b32_e32 v243, 0x80000000, v243
.LBB118_532:
	s_andn2_saveexec_b64 s[16:17], s[16:17]
	s_cbranch_execz .LBB118_534
; %bb.533:
	v_div_scale_f64 v[156:157], s[18:19], v[240:241], v[240:241], v[242:243]
	v_rcp_f64_e32 v[158:159], v[156:157]
	v_div_scale_f64 v[164:165], vcc, v[242:243], v[240:241], v[242:243]
	v_fma_f64 v[166:167], -v[156:157], v[158:159], 1.0
	v_fmac_f64_e32 v[158:159], v[158:159], v[166:167]
	v_fma_f64 v[166:167], -v[156:157], v[158:159], 1.0
	v_fmac_f64_e32 v[158:159], v[158:159], v[166:167]
	v_mul_f64 v[166:167], v[164:165], v[158:159]
	v_fma_f64 v[156:157], -v[156:157], v[166:167], v[164:165]
	v_div_fmas_f64 v[156:157], v[156:157], v[158:159], v[166:167]
	v_div_fixup_f64 v[156:157], v[156:157], v[240:241], v[242:243]
	v_fmac_f64_e32 v[240:241], v[242:243], v[156:157]
	v_div_scale_f64 v[158:159], s[18:19], v[240:241], v[240:241], 1.0
	v_rcp_f64_e32 v[164:165], v[158:159]
	s_nop 0
	v_fma_f64 v[166:167], -v[158:159], v[164:165], 1.0
	v_fmac_f64_e32 v[164:165], v[164:165], v[166:167]
	v_fma_f64 v[166:167], -v[158:159], v[164:165], 1.0
	v_fmac_f64_e32 v[164:165], v[164:165], v[166:167]
	v_div_scale_f64 v[166:167], vcc, 1.0, v[240:241], 1.0
	v_mul_f64 v[216:217], v[166:167], v[164:165]
	v_fma_f64 v[158:159], -v[158:159], v[216:217], v[166:167]
	s_nop 1
	v_div_fmas_f64 v[158:159], v[158:159], v[164:165], v[216:217]
	v_div_fixup_f64 v[240:241], v[158:159], v[240:241], 1.0
	v_mul_f64 v[242:243], v[156:157], -v[240:241]
.LBB118_534:
	s_or_b64 exec, exec, s[16:17]
.LBB118_535:
	s_or_b64 exec, exec, s[0:1]
	v_cmp_ne_u32_e32 vcc, v253, v250
	s_and_saveexec_b64 s[0:1], vcc
	s_xor_b64 s[0:1], exec, s[0:1]
	s_cbranch_execz .LBB118_541
; %bb.536:
	v_cmp_eq_u32_e32 vcc, 25, v253
	s_and_saveexec_b64 s[16:17], vcc
	s_cbranch_execz .LBB118_540
; %bb.537:
	v_cmp_ne_u32_e32 vcc, 25, v250
	s_xor_b64 s[18:19], s[14:15], -1
	s_and_b64 s[22:23], s[18:19], vcc
	s_and_saveexec_b64 s[18:19], s[22:23]
	s_cbranch_execz .LBB118_539
; %bb.538:
	v_ashrrev_i32_e32 v251, 31, v250
	v_lshl_add_u64 v[156:157], v[250:251], 2, v[234:235]
	global_load_dword v158, v[156:157], off
	global_load_dword v159, v[234:235], off offset:100
	s_waitcnt vmcnt(1)
	global_store_dword v[234:235], v158, off offset:100
	s_waitcnt vmcnt(1)
	global_store_dword v[156:157], v159, off
.LBB118_539:
	s_or_b64 exec, exec, s[18:19]
	v_mov_b32_e32 v253, v250
	v_mov_b32_e32 v244, v250
.LBB118_540:
	s_or_b64 exec, exec, s[16:17]
.LBB118_541:
	s_andn2_saveexec_b64 s[0:1], s[0:1]
	s_cbranch_execz .LBB118_543
; %bb.542:
	v_mov_b32_e32 v253, 25
	ds_write2_b64 v252, v[128:129], v[130:131] offset0:52 offset1:53
	ds_write2_b64 v252, v[124:125], v[126:127] offset0:54 offset1:55
	;; [unrolled: 1-line block ×34, first 2 shown]
.LBB118_543:
	s_or_b64 exec, exec, s[0:1]
	v_cmp_lt_i32_e32 vcc, 25, v253
	s_waitcnt lgkmcnt(0)
	s_barrier
	s_and_saveexec_b64 s[0:1], vcc
	s_cbranch_execz .LBB118_545
; %bb.544:
	ds_read2_b64 v[164:167], v252 offset0:52 offset1:53
	v_mul_f64 v[156:157], v[242:243], v[134:135]
	v_mul_f64 v[134:135], v[240:241], v[134:135]
	v_fmac_f64_e32 v[134:135], v[242:243], v[132:133]
	v_fma_f64 v[250:251], v[240:241], v[132:133], -v[156:157]
	s_waitcnt lgkmcnt(0)
	v_mul_f64 v[132:133], v[166:167], v[134:135]
	v_mul_f64 v[156:157], v[164:165], v[134:135]
	v_fma_f64 v[132:133], v[164:165], v[250:251], -v[132:133]
	v_fmac_f64_e32 v[156:157], v[166:167], v[250:251]
	ds_read2_b64 v[164:167], v252 offset0:54 offset1:55
	v_add_f64 v[128:129], v[128:129], -v[132:133]
	v_add_f64 v[130:131], v[130:131], -v[156:157]
	s_waitcnt lgkmcnt(0)
	v_mul_f64 v[132:133], v[166:167], v[134:135]
	v_mul_f64 v[156:157], v[164:165], v[134:135]
	v_fma_f64 v[132:133], v[164:165], v[250:251], -v[132:133]
	v_fmac_f64_e32 v[156:157], v[166:167], v[250:251]
	ds_read2_b64 v[164:167], v252 offset0:56 offset1:57
	v_add_f64 v[124:125], v[124:125], -v[132:133]
	v_add_f64 v[126:127], v[126:127], -v[156:157]
	;; [unrolled: 8-line block ×33, first 2 shown]
	s_waitcnt lgkmcnt(0)
	v_mul_f64 v[132:133], v[166:167], v[134:135]
	v_mul_f64 v[156:157], v[164:165], v[134:135]
	v_fma_f64 v[132:133], v[164:165], v[250:251], -v[132:133]
	v_fmac_f64_e32 v[156:157], v[166:167], v[250:251]
	v_add_f64 v[236:237], v[236:237], -v[132:133]
	v_add_f64 v[238:239], v[238:239], -v[156:157]
	v_mov_b64_e32 v[132:133], v[250:251]
.LBB118_545:
	s_or_b64 exec, exec, s[0:1]
	v_lshl_add_u32 v156, v253, 4, v252
	s_barrier
	ds_write2_b64 v156, v[128:129], v[130:131] offset1:1
	s_waitcnt lgkmcnt(0)
	s_barrier
	ds_read2_b64 v[240:243], v252 offset0:52 offset1:53
	s_cmp_lt_i32 s20, 28
	v_mov_b32_e32 v250, 26
	s_cbranch_scc1 .LBB118_548
; %bb.546:
	v_add_u32_e32 v246, 0x1b0, v252
	s_mov_b32 s0, 27
	v_mov_b32_e32 v250, 26
.LBB118_547:                            ; =>This Inner Loop Header: Depth=1
	ds_read2_b64 v[164:167], v246 offset1:1
	s_waitcnt lgkmcnt(1)
	v_cmp_gt_f64_e32 vcc, 0, v[240:241]
	v_xor_b32_e32 v156, 0x80000000, v241
	v_xor_b32_e32 v158, 0x80000000, v243
	v_cndmask_b32_e32 v157, v241, v156, vcc
	v_cmp_gt_f64_e32 vcc, 0, v[242:243]
	v_mov_b32_e32 v156, v240
	s_waitcnt lgkmcnt(0)
	v_xor_b32_e32 v216, 0x80000000, v167
	v_cndmask_b32_e32 v159, v243, v158, vcc
	v_mov_b32_e32 v158, v242
	v_add_f64 v[156:157], v[156:157], v[158:159]
	v_cmp_gt_f64_e32 vcc, 0, v[164:165]
	v_xor_b32_e32 v158, 0x80000000, v165
	v_add_u32_e32 v246, 16, v246
	v_cndmask_b32_e32 v159, v165, v158, vcc
	v_cmp_gt_f64_e32 vcc, 0, v[166:167]
	v_mov_b32_e32 v158, v164
	s_nop 0
	v_cndmask_b32_e32 v217, v167, v216, vcc
	v_mov_b32_e32 v216, v166
	v_add_f64 v[158:159], v[158:159], v[216:217]
	v_cmp_lt_f64_e32 vcc, v[156:157], v[158:159]
	v_mov_b32_e32 v156, s0
	s_add_i32 s0, s0, 1
	v_cndmask_b32_e32 v241, v241, v165, vcc
	v_cndmask_b32_e32 v240, v240, v164, vcc
	;; [unrolled: 1-line block ×5, first 2 shown]
	s_cmp_lg_u32 s20, s0
	s_cbranch_scc1 .LBB118_547
.LBB118_548:
	s_waitcnt lgkmcnt(0)
	v_cmp_eq_f64_e32 vcc, 0, v[240:241]
	v_cmp_eq_f64_e64 s[0:1], 0, v[242:243]
	s_and_b64 s[0:1], vcc, s[0:1]
	s_and_saveexec_b64 s[16:17], s[0:1]
	s_xor_b64 s[0:1], exec, s[16:17]
; %bb.549:
	v_cmp_ne_u32_e32 vcc, 0, v254
	s_nop 1
	v_cndmask_b32_e32 v254, 27, v254, vcc
; %bb.550:
	s_andn2_saveexec_b64 s[0:1], s[0:1]
	s_cbranch_execz .LBB118_556
; %bb.551:
	v_cmp_ngt_f64_e64 s[16:17], |v[240:241]|, |v[242:243]|
	s_and_saveexec_b64 s[18:19], s[16:17]
	s_xor_b64 s[16:17], exec, s[18:19]
	s_cbranch_execz .LBB118_553
; %bb.552:
	v_div_scale_f64 v[156:157], s[18:19], v[242:243], v[242:243], v[240:241]
	v_rcp_f64_e32 v[158:159], v[156:157]
	v_div_scale_f64 v[164:165], vcc, v[240:241], v[242:243], v[240:241]
	v_fma_f64 v[166:167], -v[156:157], v[158:159], 1.0
	v_fmac_f64_e32 v[158:159], v[158:159], v[166:167]
	v_fma_f64 v[166:167], -v[156:157], v[158:159], 1.0
	v_fmac_f64_e32 v[158:159], v[158:159], v[166:167]
	v_mul_f64 v[166:167], v[164:165], v[158:159]
	v_fma_f64 v[156:157], -v[156:157], v[166:167], v[164:165]
	v_div_fmas_f64 v[156:157], v[156:157], v[158:159], v[166:167]
	v_div_fixup_f64 v[156:157], v[156:157], v[242:243], v[240:241]
	v_fmac_f64_e32 v[242:243], v[240:241], v[156:157]
	v_div_scale_f64 v[158:159], s[18:19], v[242:243], v[242:243], 1.0
	v_rcp_f64_e32 v[164:165], v[158:159]
	s_nop 0
	v_fma_f64 v[166:167], -v[158:159], v[164:165], 1.0
	v_fmac_f64_e32 v[164:165], v[164:165], v[166:167]
	v_fma_f64 v[166:167], -v[158:159], v[164:165], 1.0
	v_fmac_f64_e32 v[164:165], v[164:165], v[166:167]
	v_div_scale_f64 v[166:167], vcc, 1.0, v[242:243], 1.0
	v_mul_f64 v[216:217], v[166:167], v[164:165]
	v_fma_f64 v[158:159], -v[158:159], v[216:217], v[166:167]
	s_nop 1
	v_div_fmas_f64 v[158:159], v[158:159], v[164:165], v[216:217]
	v_div_fixup_f64 v[242:243], v[158:159], v[242:243], 1.0
	v_mul_f64 v[240:241], v[156:157], v[242:243]
	v_xor_b32_e32 v243, 0x80000000, v243
.LBB118_553:
	s_andn2_saveexec_b64 s[16:17], s[16:17]
	s_cbranch_execz .LBB118_555
; %bb.554:
	v_div_scale_f64 v[156:157], s[18:19], v[240:241], v[240:241], v[242:243]
	v_rcp_f64_e32 v[158:159], v[156:157]
	v_div_scale_f64 v[164:165], vcc, v[242:243], v[240:241], v[242:243]
	v_fma_f64 v[166:167], -v[156:157], v[158:159], 1.0
	v_fmac_f64_e32 v[158:159], v[158:159], v[166:167]
	v_fma_f64 v[166:167], -v[156:157], v[158:159], 1.0
	v_fmac_f64_e32 v[158:159], v[158:159], v[166:167]
	v_mul_f64 v[166:167], v[164:165], v[158:159]
	v_fma_f64 v[156:157], -v[156:157], v[166:167], v[164:165]
	v_div_fmas_f64 v[156:157], v[156:157], v[158:159], v[166:167]
	v_div_fixup_f64 v[156:157], v[156:157], v[240:241], v[242:243]
	v_fmac_f64_e32 v[240:241], v[242:243], v[156:157]
	v_div_scale_f64 v[158:159], s[18:19], v[240:241], v[240:241], 1.0
	v_rcp_f64_e32 v[164:165], v[158:159]
	s_nop 0
	v_fma_f64 v[166:167], -v[158:159], v[164:165], 1.0
	v_fmac_f64_e32 v[164:165], v[164:165], v[166:167]
	v_fma_f64 v[166:167], -v[158:159], v[164:165], 1.0
	v_fmac_f64_e32 v[164:165], v[164:165], v[166:167]
	v_div_scale_f64 v[166:167], vcc, 1.0, v[240:241], 1.0
	v_mul_f64 v[216:217], v[166:167], v[164:165]
	v_fma_f64 v[158:159], -v[158:159], v[216:217], v[166:167]
	s_nop 1
	v_div_fmas_f64 v[158:159], v[158:159], v[164:165], v[216:217]
	v_div_fixup_f64 v[240:241], v[158:159], v[240:241], 1.0
	v_mul_f64 v[242:243], v[156:157], -v[240:241]
.LBB118_555:
	s_or_b64 exec, exec, s[16:17]
.LBB118_556:
	s_or_b64 exec, exec, s[0:1]
	v_cmp_ne_u32_e32 vcc, v253, v250
	s_and_saveexec_b64 s[0:1], vcc
	s_xor_b64 s[0:1], exec, s[0:1]
	s_cbranch_execz .LBB118_562
; %bb.557:
	v_cmp_eq_u32_e32 vcc, 26, v253
	s_and_saveexec_b64 s[16:17], vcc
	s_cbranch_execz .LBB118_561
; %bb.558:
	v_cmp_ne_u32_e32 vcc, 26, v250
	s_xor_b64 s[18:19], s[14:15], -1
	s_and_b64 s[22:23], s[18:19], vcc
	s_and_saveexec_b64 s[18:19], s[22:23]
	s_cbranch_execz .LBB118_560
; %bb.559:
	v_ashrrev_i32_e32 v251, 31, v250
	v_lshl_add_u64 v[156:157], v[250:251], 2, v[234:235]
	global_load_dword v158, v[156:157], off
	global_load_dword v159, v[234:235], off offset:104
	s_waitcnt vmcnt(1)
	global_store_dword v[234:235], v158, off offset:104
	s_waitcnt vmcnt(1)
	global_store_dword v[156:157], v159, off
.LBB118_560:
	s_or_b64 exec, exec, s[18:19]
	v_mov_b32_e32 v253, v250
	v_mov_b32_e32 v244, v250
.LBB118_561:
	s_or_b64 exec, exec, s[16:17]
.LBB118_562:
	s_andn2_saveexec_b64 s[0:1], s[0:1]
	s_cbranch_execz .LBB118_564
; %bb.563:
	v_mov_b32_e32 v253, 26
	ds_write2_b64 v252, v[124:125], v[126:127] offset0:54 offset1:55
	ds_write2_b64 v252, v[120:121], v[122:123] offset0:56 offset1:57
	ds_write2_b64 v252, v[116:117], v[118:119] offset0:58 offset1:59
	ds_write2_b64 v252, v[112:113], v[114:115] offset0:60 offset1:61
	ds_write2_b64 v252, v[108:109], v[110:111] offset0:62 offset1:63
	ds_write2_b64 v252, v[104:105], v[106:107] offset0:64 offset1:65
	ds_write2_b64 v252, v[100:101], v[102:103] offset0:66 offset1:67
	ds_write2_b64 v252, v[96:97], v[98:99] offset0:68 offset1:69
	ds_write2_b64 v252, v[92:93], v[94:95] offset0:70 offset1:71
	ds_write2_b64 v252, v[88:89], v[90:91] offset0:72 offset1:73
	ds_write2_b64 v252, v[84:85], v[86:87] offset0:74 offset1:75
	ds_write2_b64 v252, v[80:81], v[82:83] offset0:76 offset1:77
	ds_write2_b64 v252, v[76:77], v[78:79] offset0:78 offset1:79
	ds_write2_b64 v252, v[72:73], v[74:75] offset0:80 offset1:81
	ds_write2_b64 v252, v[68:69], v[70:71] offset0:82 offset1:83
	ds_write2_b64 v252, v[64:65], v[66:67] offset0:84 offset1:85
	ds_write2_b64 v252, v[60:61], v[62:63] offset0:86 offset1:87
	ds_write2_b64 v252, v[56:57], v[58:59] offset0:88 offset1:89
	ds_write2_b64 v252, v[52:53], v[54:55] offset0:90 offset1:91
	ds_write2_b64 v252, v[48:49], v[50:51] offset0:92 offset1:93
	ds_write2_b64 v252, v[44:45], v[46:47] offset0:94 offset1:95
	ds_write2_b64 v252, v[40:41], v[42:43] offset0:96 offset1:97
	ds_write2_b64 v252, v[36:37], v[38:39] offset0:98 offset1:99
	ds_write2_b64 v252, v[32:33], v[34:35] offset0:100 offset1:101
	ds_write2_b64 v252, v[28:29], v[30:31] offset0:102 offset1:103
	ds_write2_b64 v252, v[24:25], v[26:27] offset0:104 offset1:105
	ds_write2_b64 v252, v[20:21], v[22:23] offset0:106 offset1:107
	ds_write2_b64 v252, v[16:17], v[18:19] offset0:108 offset1:109
	ds_write2_b64 v252, v[12:13], v[14:15] offset0:110 offset1:111
	ds_write2_b64 v252, v[230:231], v[232:233] offset0:112 offset1:113
	ds_write2_b64 v252, v[224:225], v[226:227] offset0:114 offset1:115
	ds_write2_b64 v252, v[220:221], v[222:223] offset0:116 offset1:117
	ds_write2_b64 v252, v[236:237], v[238:239] offset0:118 offset1:119
.LBB118_564:
	s_or_b64 exec, exec, s[0:1]
	v_cmp_lt_i32_e32 vcc, 26, v253
	s_waitcnt lgkmcnt(0)
	s_barrier
	s_and_saveexec_b64 s[0:1], vcc
	s_cbranch_execz .LBB118_566
; %bb.565:
	ds_read2_b64 v[164:167], v252 offset0:54 offset1:55
	v_mul_f64 v[156:157], v[242:243], v[130:131]
	v_mul_f64 v[130:131], v[240:241], v[130:131]
	v_fmac_f64_e32 v[130:131], v[242:243], v[128:129]
	v_fma_f64 v[250:251], v[240:241], v[128:129], -v[156:157]
	s_waitcnt lgkmcnt(0)
	v_mul_f64 v[128:129], v[166:167], v[130:131]
	v_mul_f64 v[156:157], v[164:165], v[130:131]
	v_fma_f64 v[128:129], v[164:165], v[250:251], -v[128:129]
	v_fmac_f64_e32 v[156:157], v[166:167], v[250:251]
	ds_read2_b64 v[164:167], v252 offset0:56 offset1:57
	v_add_f64 v[124:125], v[124:125], -v[128:129]
	v_add_f64 v[126:127], v[126:127], -v[156:157]
	s_waitcnt lgkmcnt(0)
	v_mul_f64 v[128:129], v[166:167], v[130:131]
	v_mul_f64 v[156:157], v[164:165], v[130:131]
	v_fma_f64 v[128:129], v[164:165], v[250:251], -v[128:129]
	v_fmac_f64_e32 v[156:157], v[166:167], v[250:251]
	ds_read2_b64 v[164:167], v252 offset0:58 offset1:59
	v_add_f64 v[120:121], v[120:121], -v[128:129]
	v_add_f64 v[122:123], v[122:123], -v[156:157]
	;; [unrolled: 8-line block ×32, first 2 shown]
	s_waitcnt lgkmcnt(0)
	v_mul_f64 v[128:129], v[166:167], v[130:131]
	v_mul_f64 v[156:157], v[164:165], v[130:131]
	v_fma_f64 v[128:129], v[164:165], v[250:251], -v[128:129]
	v_fmac_f64_e32 v[156:157], v[166:167], v[250:251]
	v_add_f64 v[236:237], v[236:237], -v[128:129]
	v_add_f64 v[238:239], v[238:239], -v[156:157]
	v_mov_b64_e32 v[128:129], v[250:251]
.LBB118_566:
	s_or_b64 exec, exec, s[0:1]
	v_lshl_add_u32 v156, v253, 4, v252
	s_barrier
	ds_write2_b64 v156, v[124:125], v[126:127] offset1:1
	s_waitcnt lgkmcnt(0)
	s_barrier
	ds_read2_b64 v[240:243], v252 offset0:54 offset1:55
	s_cmp_lt_i32 s20, 29
	v_mov_b32_e32 v250, 27
	s_cbranch_scc1 .LBB118_569
; %bb.567:
	v_add_u32_e32 v246, 0x1c0, v252
	s_mov_b32 s0, 28
	v_mov_b32_e32 v250, 27
.LBB118_568:                            ; =>This Inner Loop Header: Depth=1
	ds_read2_b64 v[164:167], v246 offset1:1
	s_waitcnt lgkmcnt(1)
	v_cmp_gt_f64_e32 vcc, 0, v[240:241]
	v_xor_b32_e32 v156, 0x80000000, v241
	v_xor_b32_e32 v158, 0x80000000, v243
	v_cndmask_b32_e32 v157, v241, v156, vcc
	v_cmp_gt_f64_e32 vcc, 0, v[242:243]
	v_mov_b32_e32 v156, v240
	s_waitcnt lgkmcnt(0)
	v_xor_b32_e32 v216, 0x80000000, v167
	v_cndmask_b32_e32 v159, v243, v158, vcc
	v_mov_b32_e32 v158, v242
	v_add_f64 v[156:157], v[156:157], v[158:159]
	v_cmp_gt_f64_e32 vcc, 0, v[164:165]
	v_xor_b32_e32 v158, 0x80000000, v165
	v_add_u32_e32 v246, 16, v246
	v_cndmask_b32_e32 v159, v165, v158, vcc
	v_cmp_gt_f64_e32 vcc, 0, v[166:167]
	v_mov_b32_e32 v158, v164
	s_nop 0
	v_cndmask_b32_e32 v217, v167, v216, vcc
	v_mov_b32_e32 v216, v166
	v_add_f64 v[158:159], v[158:159], v[216:217]
	v_cmp_lt_f64_e32 vcc, v[156:157], v[158:159]
	v_mov_b32_e32 v156, s0
	s_add_i32 s0, s0, 1
	v_cndmask_b32_e32 v241, v241, v165, vcc
	v_cndmask_b32_e32 v240, v240, v164, vcc
	;; [unrolled: 1-line block ×5, first 2 shown]
	s_cmp_lg_u32 s20, s0
	s_cbranch_scc1 .LBB118_568
.LBB118_569:
	s_waitcnt lgkmcnt(0)
	v_cmp_eq_f64_e32 vcc, 0, v[240:241]
	v_cmp_eq_f64_e64 s[0:1], 0, v[242:243]
	s_and_b64 s[0:1], vcc, s[0:1]
	s_and_saveexec_b64 s[16:17], s[0:1]
	s_xor_b64 s[0:1], exec, s[16:17]
; %bb.570:
	v_cmp_ne_u32_e32 vcc, 0, v254
	s_nop 1
	v_cndmask_b32_e32 v254, 28, v254, vcc
; %bb.571:
	s_andn2_saveexec_b64 s[0:1], s[0:1]
	s_cbranch_execz .LBB118_577
; %bb.572:
	v_cmp_ngt_f64_e64 s[16:17], |v[240:241]|, |v[242:243]|
	s_and_saveexec_b64 s[18:19], s[16:17]
	s_xor_b64 s[16:17], exec, s[18:19]
	s_cbranch_execz .LBB118_574
; %bb.573:
	v_div_scale_f64 v[156:157], s[18:19], v[242:243], v[242:243], v[240:241]
	v_rcp_f64_e32 v[158:159], v[156:157]
	v_div_scale_f64 v[164:165], vcc, v[240:241], v[242:243], v[240:241]
	v_fma_f64 v[166:167], -v[156:157], v[158:159], 1.0
	v_fmac_f64_e32 v[158:159], v[158:159], v[166:167]
	v_fma_f64 v[166:167], -v[156:157], v[158:159], 1.0
	v_fmac_f64_e32 v[158:159], v[158:159], v[166:167]
	v_mul_f64 v[166:167], v[164:165], v[158:159]
	v_fma_f64 v[156:157], -v[156:157], v[166:167], v[164:165]
	v_div_fmas_f64 v[156:157], v[156:157], v[158:159], v[166:167]
	v_div_fixup_f64 v[156:157], v[156:157], v[242:243], v[240:241]
	v_fmac_f64_e32 v[242:243], v[240:241], v[156:157]
	v_div_scale_f64 v[158:159], s[18:19], v[242:243], v[242:243], 1.0
	v_rcp_f64_e32 v[164:165], v[158:159]
	s_nop 0
	v_fma_f64 v[166:167], -v[158:159], v[164:165], 1.0
	v_fmac_f64_e32 v[164:165], v[164:165], v[166:167]
	v_fma_f64 v[166:167], -v[158:159], v[164:165], 1.0
	v_fmac_f64_e32 v[164:165], v[164:165], v[166:167]
	v_div_scale_f64 v[166:167], vcc, 1.0, v[242:243], 1.0
	v_mul_f64 v[216:217], v[166:167], v[164:165]
	v_fma_f64 v[158:159], -v[158:159], v[216:217], v[166:167]
	s_nop 1
	v_div_fmas_f64 v[158:159], v[158:159], v[164:165], v[216:217]
	v_div_fixup_f64 v[242:243], v[158:159], v[242:243], 1.0
	v_mul_f64 v[240:241], v[156:157], v[242:243]
	v_xor_b32_e32 v243, 0x80000000, v243
.LBB118_574:
	s_andn2_saveexec_b64 s[16:17], s[16:17]
	s_cbranch_execz .LBB118_576
; %bb.575:
	v_div_scale_f64 v[156:157], s[18:19], v[240:241], v[240:241], v[242:243]
	v_rcp_f64_e32 v[158:159], v[156:157]
	v_div_scale_f64 v[164:165], vcc, v[242:243], v[240:241], v[242:243]
	v_fma_f64 v[166:167], -v[156:157], v[158:159], 1.0
	v_fmac_f64_e32 v[158:159], v[158:159], v[166:167]
	v_fma_f64 v[166:167], -v[156:157], v[158:159], 1.0
	v_fmac_f64_e32 v[158:159], v[158:159], v[166:167]
	v_mul_f64 v[166:167], v[164:165], v[158:159]
	v_fma_f64 v[156:157], -v[156:157], v[166:167], v[164:165]
	v_div_fmas_f64 v[156:157], v[156:157], v[158:159], v[166:167]
	v_div_fixup_f64 v[156:157], v[156:157], v[240:241], v[242:243]
	v_fmac_f64_e32 v[240:241], v[242:243], v[156:157]
	v_div_scale_f64 v[158:159], s[18:19], v[240:241], v[240:241], 1.0
	v_rcp_f64_e32 v[164:165], v[158:159]
	s_nop 0
	v_fma_f64 v[166:167], -v[158:159], v[164:165], 1.0
	v_fmac_f64_e32 v[164:165], v[164:165], v[166:167]
	v_fma_f64 v[166:167], -v[158:159], v[164:165], 1.0
	v_fmac_f64_e32 v[164:165], v[164:165], v[166:167]
	v_div_scale_f64 v[166:167], vcc, 1.0, v[240:241], 1.0
	v_mul_f64 v[216:217], v[166:167], v[164:165]
	v_fma_f64 v[158:159], -v[158:159], v[216:217], v[166:167]
	s_nop 1
	v_div_fmas_f64 v[158:159], v[158:159], v[164:165], v[216:217]
	v_div_fixup_f64 v[240:241], v[158:159], v[240:241], 1.0
	v_mul_f64 v[242:243], v[156:157], -v[240:241]
.LBB118_576:
	s_or_b64 exec, exec, s[16:17]
.LBB118_577:
	s_or_b64 exec, exec, s[0:1]
	v_cmp_ne_u32_e32 vcc, v253, v250
	s_and_saveexec_b64 s[0:1], vcc
	s_xor_b64 s[0:1], exec, s[0:1]
	s_cbranch_execz .LBB118_583
; %bb.578:
	v_cmp_eq_u32_e32 vcc, 27, v253
	s_and_saveexec_b64 s[16:17], vcc
	s_cbranch_execz .LBB118_582
; %bb.579:
	v_cmp_ne_u32_e32 vcc, 27, v250
	s_xor_b64 s[18:19], s[14:15], -1
	s_and_b64 s[22:23], s[18:19], vcc
	s_and_saveexec_b64 s[18:19], s[22:23]
	s_cbranch_execz .LBB118_581
; %bb.580:
	v_ashrrev_i32_e32 v251, 31, v250
	v_lshl_add_u64 v[156:157], v[250:251], 2, v[234:235]
	global_load_dword v158, v[156:157], off
	global_load_dword v159, v[234:235], off offset:108
	s_waitcnt vmcnt(1)
	global_store_dword v[234:235], v158, off offset:108
	s_waitcnt vmcnt(1)
	global_store_dword v[156:157], v159, off
.LBB118_581:
	s_or_b64 exec, exec, s[18:19]
	v_mov_b32_e32 v253, v250
	v_mov_b32_e32 v244, v250
.LBB118_582:
	s_or_b64 exec, exec, s[16:17]
.LBB118_583:
	s_andn2_saveexec_b64 s[0:1], s[0:1]
	s_cbranch_execz .LBB118_585
; %bb.584:
	v_mov_b32_e32 v253, 27
	ds_write2_b64 v252, v[120:121], v[122:123] offset0:56 offset1:57
	ds_write2_b64 v252, v[116:117], v[118:119] offset0:58 offset1:59
	;; [unrolled: 1-line block ×32, first 2 shown]
.LBB118_585:
	s_or_b64 exec, exec, s[0:1]
	v_cmp_lt_i32_e32 vcc, 27, v253
	s_waitcnt lgkmcnt(0)
	s_barrier
	s_and_saveexec_b64 s[0:1], vcc
	s_cbranch_execz .LBB118_587
; %bb.586:
	ds_read2_b64 v[164:167], v252 offset0:56 offset1:57
	v_mul_f64 v[156:157], v[242:243], v[126:127]
	v_mul_f64 v[126:127], v[240:241], v[126:127]
	v_fmac_f64_e32 v[126:127], v[242:243], v[124:125]
	v_fma_f64 v[250:251], v[240:241], v[124:125], -v[156:157]
	s_waitcnt lgkmcnt(0)
	v_mul_f64 v[124:125], v[166:167], v[126:127]
	v_mul_f64 v[156:157], v[164:165], v[126:127]
	v_fma_f64 v[124:125], v[164:165], v[250:251], -v[124:125]
	v_fmac_f64_e32 v[156:157], v[166:167], v[250:251]
	ds_read2_b64 v[164:167], v252 offset0:58 offset1:59
	v_add_f64 v[120:121], v[120:121], -v[124:125]
	v_add_f64 v[122:123], v[122:123], -v[156:157]
	s_waitcnt lgkmcnt(0)
	v_mul_f64 v[124:125], v[166:167], v[126:127]
	v_mul_f64 v[156:157], v[164:165], v[126:127]
	v_fma_f64 v[124:125], v[164:165], v[250:251], -v[124:125]
	v_fmac_f64_e32 v[156:157], v[166:167], v[250:251]
	ds_read2_b64 v[164:167], v252 offset0:60 offset1:61
	v_add_f64 v[116:117], v[116:117], -v[124:125]
	v_add_f64 v[118:119], v[118:119], -v[156:157]
	;; [unrolled: 8-line block ×31, first 2 shown]
	s_waitcnt lgkmcnt(0)
	v_mul_f64 v[124:125], v[166:167], v[126:127]
	v_mul_f64 v[156:157], v[164:165], v[126:127]
	v_fma_f64 v[124:125], v[164:165], v[250:251], -v[124:125]
	v_fmac_f64_e32 v[156:157], v[166:167], v[250:251]
	v_add_f64 v[236:237], v[236:237], -v[124:125]
	v_add_f64 v[238:239], v[238:239], -v[156:157]
	v_mov_b64_e32 v[124:125], v[250:251]
.LBB118_587:
	s_or_b64 exec, exec, s[0:1]
	v_lshl_add_u32 v156, v253, 4, v252
	s_barrier
	ds_write2_b64 v156, v[120:121], v[122:123] offset1:1
	s_waitcnt lgkmcnt(0)
	s_barrier
	ds_read2_b64 v[240:243], v252 offset0:56 offset1:57
	s_cmp_lt_i32 s20, 30
	v_mov_b32_e32 v250, 28
	s_cbranch_scc1 .LBB118_590
; %bb.588:
	v_add_u32_e32 v246, 0x1d0, v252
	s_mov_b32 s0, 29
	v_mov_b32_e32 v250, 28
.LBB118_589:                            ; =>This Inner Loop Header: Depth=1
	ds_read2_b64 v[164:167], v246 offset1:1
	s_waitcnt lgkmcnt(1)
	v_cmp_gt_f64_e32 vcc, 0, v[240:241]
	v_xor_b32_e32 v156, 0x80000000, v241
	v_xor_b32_e32 v158, 0x80000000, v243
	v_cndmask_b32_e32 v157, v241, v156, vcc
	v_cmp_gt_f64_e32 vcc, 0, v[242:243]
	v_mov_b32_e32 v156, v240
	s_waitcnt lgkmcnt(0)
	v_xor_b32_e32 v216, 0x80000000, v167
	v_cndmask_b32_e32 v159, v243, v158, vcc
	v_mov_b32_e32 v158, v242
	v_add_f64 v[156:157], v[156:157], v[158:159]
	v_cmp_gt_f64_e32 vcc, 0, v[164:165]
	v_xor_b32_e32 v158, 0x80000000, v165
	v_add_u32_e32 v246, 16, v246
	v_cndmask_b32_e32 v159, v165, v158, vcc
	v_cmp_gt_f64_e32 vcc, 0, v[166:167]
	v_mov_b32_e32 v158, v164
	s_nop 0
	v_cndmask_b32_e32 v217, v167, v216, vcc
	v_mov_b32_e32 v216, v166
	v_add_f64 v[158:159], v[158:159], v[216:217]
	v_cmp_lt_f64_e32 vcc, v[156:157], v[158:159]
	v_mov_b32_e32 v156, s0
	s_add_i32 s0, s0, 1
	v_cndmask_b32_e32 v241, v241, v165, vcc
	v_cndmask_b32_e32 v240, v240, v164, vcc
	;; [unrolled: 1-line block ×5, first 2 shown]
	s_cmp_lg_u32 s20, s0
	s_cbranch_scc1 .LBB118_589
.LBB118_590:
	s_waitcnt lgkmcnt(0)
	v_cmp_eq_f64_e32 vcc, 0, v[240:241]
	v_cmp_eq_f64_e64 s[0:1], 0, v[242:243]
	s_and_b64 s[0:1], vcc, s[0:1]
	s_and_saveexec_b64 s[16:17], s[0:1]
	s_xor_b64 s[0:1], exec, s[16:17]
; %bb.591:
	v_cmp_ne_u32_e32 vcc, 0, v254
	s_nop 1
	v_cndmask_b32_e32 v254, 29, v254, vcc
; %bb.592:
	s_andn2_saveexec_b64 s[0:1], s[0:1]
	s_cbranch_execz .LBB118_598
; %bb.593:
	v_cmp_ngt_f64_e64 s[16:17], |v[240:241]|, |v[242:243]|
	s_and_saveexec_b64 s[18:19], s[16:17]
	s_xor_b64 s[16:17], exec, s[18:19]
	s_cbranch_execz .LBB118_595
; %bb.594:
	v_div_scale_f64 v[156:157], s[18:19], v[242:243], v[242:243], v[240:241]
	v_rcp_f64_e32 v[158:159], v[156:157]
	v_div_scale_f64 v[164:165], vcc, v[240:241], v[242:243], v[240:241]
	v_fma_f64 v[166:167], -v[156:157], v[158:159], 1.0
	v_fmac_f64_e32 v[158:159], v[158:159], v[166:167]
	v_fma_f64 v[166:167], -v[156:157], v[158:159], 1.0
	v_fmac_f64_e32 v[158:159], v[158:159], v[166:167]
	v_mul_f64 v[166:167], v[164:165], v[158:159]
	v_fma_f64 v[156:157], -v[156:157], v[166:167], v[164:165]
	v_div_fmas_f64 v[156:157], v[156:157], v[158:159], v[166:167]
	v_div_fixup_f64 v[156:157], v[156:157], v[242:243], v[240:241]
	v_fmac_f64_e32 v[242:243], v[240:241], v[156:157]
	v_div_scale_f64 v[158:159], s[18:19], v[242:243], v[242:243], 1.0
	v_rcp_f64_e32 v[164:165], v[158:159]
	s_nop 0
	v_fma_f64 v[166:167], -v[158:159], v[164:165], 1.0
	v_fmac_f64_e32 v[164:165], v[164:165], v[166:167]
	v_fma_f64 v[166:167], -v[158:159], v[164:165], 1.0
	v_fmac_f64_e32 v[164:165], v[164:165], v[166:167]
	v_div_scale_f64 v[166:167], vcc, 1.0, v[242:243], 1.0
	v_mul_f64 v[216:217], v[166:167], v[164:165]
	v_fma_f64 v[158:159], -v[158:159], v[216:217], v[166:167]
	s_nop 1
	v_div_fmas_f64 v[158:159], v[158:159], v[164:165], v[216:217]
	v_div_fixup_f64 v[242:243], v[158:159], v[242:243], 1.0
	v_mul_f64 v[240:241], v[156:157], v[242:243]
	v_xor_b32_e32 v243, 0x80000000, v243
.LBB118_595:
	s_andn2_saveexec_b64 s[16:17], s[16:17]
	s_cbranch_execz .LBB118_597
; %bb.596:
	v_div_scale_f64 v[156:157], s[18:19], v[240:241], v[240:241], v[242:243]
	v_rcp_f64_e32 v[158:159], v[156:157]
	v_div_scale_f64 v[164:165], vcc, v[242:243], v[240:241], v[242:243]
	v_fma_f64 v[166:167], -v[156:157], v[158:159], 1.0
	v_fmac_f64_e32 v[158:159], v[158:159], v[166:167]
	v_fma_f64 v[166:167], -v[156:157], v[158:159], 1.0
	v_fmac_f64_e32 v[158:159], v[158:159], v[166:167]
	v_mul_f64 v[166:167], v[164:165], v[158:159]
	v_fma_f64 v[156:157], -v[156:157], v[166:167], v[164:165]
	v_div_fmas_f64 v[156:157], v[156:157], v[158:159], v[166:167]
	v_div_fixup_f64 v[156:157], v[156:157], v[240:241], v[242:243]
	v_fmac_f64_e32 v[240:241], v[242:243], v[156:157]
	v_div_scale_f64 v[158:159], s[18:19], v[240:241], v[240:241], 1.0
	v_rcp_f64_e32 v[164:165], v[158:159]
	s_nop 0
	v_fma_f64 v[166:167], -v[158:159], v[164:165], 1.0
	v_fmac_f64_e32 v[164:165], v[164:165], v[166:167]
	v_fma_f64 v[166:167], -v[158:159], v[164:165], 1.0
	v_fmac_f64_e32 v[164:165], v[164:165], v[166:167]
	v_div_scale_f64 v[166:167], vcc, 1.0, v[240:241], 1.0
	v_mul_f64 v[216:217], v[166:167], v[164:165]
	v_fma_f64 v[158:159], -v[158:159], v[216:217], v[166:167]
	s_nop 1
	v_div_fmas_f64 v[158:159], v[158:159], v[164:165], v[216:217]
	v_div_fixup_f64 v[240:241], v[158:159], v[240:241], 1.0
	v_mul_f64 v[242:243], v[156:157], -v[240:241]
.LBB118_597:
	s_or_b64 exec, exec, s[16:17]
.LBB118_598:
	s_or_b64 exec, exec, s[0:1]
	v_cmp_ne_u32_e32 vcc, v253, v250
	s_and_saveexec_b64 s[0:1], vcc
	s_xor_b64 s[0:1], exec, s[0:1]
	s_cbranch_execz .LBB118_604
; %bb.599:
	v_cmp_eq_u32_e32 vcc, 28, v253
	s_and_saveexec_b64 s[16:17], vcc
	s_cbranch_execz .LBB118_603
; %bb.600:
	v_cmp_ne_u32_e32 vcc, 28, v250
	s_xor_b64 s[18:19], s[14:15], -1
	s_and_b64 s[22:23], s[18:19], vcc
	s_and_saveexec_b64 s[18:19], s[22:23]
	s_cbranch_execz .LBB118_602
; %bb.601:
	v_ashrrev_i32_e32 v251, 31, v250
	v_lshl_add_u64 v[156:157], v[250:251], 2, v[234:235]
	global_load_dword v158, v[156:157], off
	global_load_dword v159, v[234:235], off offset:112
	s_waitcnt vmcnt(1)
	global_store_dword v[234:235], v158, off offset:112
	s_waitcnt vmcnt(1)
	global_store_dword v[156:157], v159, off
.LBB118_602:
	s_or_b64 exec, exec, s[18:19]
	v_mov_b32_e32 v253, v250
	v_mov_b32_e32 v244, v250
.LBB118_603:
	s_or_b64 exec, exec, s[16:17]
.LBB118_604:
	s_andn2_saveexec_b64 s[0:1], s[0:1]
	s_cbranch_execz .LBB118_606
; %bb.605:
	v_mov_b32_e32 v253, 28
	ds_write2_b64 v252, v[116:117], v[118:119] offset0:58 offset1:59
	ds_write2_b64 v252, v[112:113], v[114:115] offset0:60 offset1:61
	;; [unrolled: 1-line block ×31, first 2 shown]
.LBB118_606:
	s_or_b64 exec, exec, s[0:1]
	v_cmp_lt_i32_e32 vcc, 28, v253
	s_waitcnt lgkmcnt(0)
	s_barrier
	s_and_saveexec_b64 s[0:1], vcc
	s_cbranch_execz .LBB118_608
; %bb.607:
	ds_read2_b64 v[164:167], v252 offset0:58 offset1:59
	v_mul_f64 v[156:157], v[242:243], v[122:123]
	v_mul_f64 v[122:123], v[240:241], v[122:123]
	v_fmac_f64_e32 v[122:123], v[242:243], v[120:121]
	v_fma_f64 v[250:251], v[240:241], v[120:121], -v[156:157]
	s_waitcnt lgkmcnt(0)
	v_mul_f64 v[120:121], v[166:167], v[122:123]
	v_mul_f64 v[156:157], v[164:165], v[122:123]
	v_fma_f64 v[120:121], v[164:165], v[250:251], -v[120:121]
	v_fmac_f64_e32 v[156:157], v[166:167], v[250:251]
	ds_read2_b64 v[164:167], v252 offset0:60 offset1:61
	v_add_f64 v[116:117], v[116:117], -v[120:121]
	v_add_f64 v[118:119], v[118:119], -v[156:157]
	s_waitcnt lgkmcnt(0)
	v_mul_f64 v[120:121], v[166:167], v[122:123]
	v_mul_f64 v[156:157], v[164:165], v[122:123]
	v_fma_f64 v[120:121], v[164:165], v[250:251], -v[120:121]
	v_fmac_f64_e32 v[156:157], v[166:167], v[250:251]
	ds_read2_b64 v[164:167], v252 offset0:62 offset1:63
	v_add_f64 v[112:113], v[112:113], -v[120:121]
	v_add_f64 v[114:115], v[114:115], -v[156:157]
	;; [unrolled: 8-line block ×30, first 2 shown]
	s_waitcnt lgkmcnt(0)
	v_mul_f64 v[120:121], v[166:167], v[122:123]
	v_mul_f64 v[156:157], v[164:165], v[122:123]
	v_fma_f64 v[120:121], v[164:165], v[250:251], -v[120:121]
	v_fmac_f64_e32 v[156:157], v[166:167], v[250:251]
	v_add_f64 v[236:237], v[236:237], -v[120:121]
	v_add_f64 v[238:239], v[238:239], -v[156:157]
	v_mov_b64_e32 v[120:121], v[250:251]
.LBB118_608:
	s_or_b64 exec, exec, s[0:1]
	v_lshl_add_u32 v156, v253, 4, v252
	s_barrier
	ds_write2_b64 v156, v[116:117], v[118:119] offset1:1
	s_waitcnt lgkmcnt(0)
	s_barrier
	ds_read2_b64 v[240:243], v252 offset0:58 offset1:59
	s_cmp_lt_i32 s20, 31
	v_mov_b32_e32 v250, 29
	s_cbranch_scc1 .LBB118_611
; %bb.609:
	v_add_u32_e32 v246, 0x1e0, v252
	s_mov_b32 s0, 30
	v_mov_b32_e32 v250, 29
.LBB118_610:                            ; =>This Inner Loop Header: Depth=1
	ds_read2_b64 v[164:167], v246 offset1:1
	s_waitcnt lgkmcnt(1)
	v_cmp_gt_f64_e32 vcc, 0, v[240:241]
	v_xor_b32_e32 v156, 0x80000000, v241
	v_xor_b32_e32 v158, 0x80000000, v243
	v_cndmask_b32_e32 v157, v241, v156, vcc
	v_cmp_gt_f64_e32 vcc, 0, v[242:243]
	v_mov_b32_e32 v156, v240
	s_waitcnt lgkmcnt(0)
	v_xor_b32_e32 v216, 0x80000000, v167
	v_cndmask_b32_e32 v159, v243, v158, vcc
	v_mov_b32_e32 v158, v242
	v_add_f64 v[156:157], v[156:157], v[158:159]
	v_cmp_gt_f64_e32 vcc, 0, v[164:165]
	v_xor_b32_e32 v158, 0x80000000, v165
	v_add_u32_e32 v246, 16, v246
	v_cndmask_b32_e32 v159, v165, v158, vcc
	v_cmp_gt_f64_e32 vcc, 0, v[166:167]
	v_mov_b32_e32 v158, v164
	s_nop 0
	v_cndmask_b32_e32 v217, v167, v216, vcc
	v_mov_b32_e32 v216, v166
	v_add_f64 v[158:159], v[158:159], v[216:217]
	v_cmp_lt_f64_e32 vcc, v[156:157], v[158:159]
	v_mov_b32_e32 v156, s0
	s_add_i32 s0, s0, 1
	v_cndmask_b32_e32 v241, v241, v165, vcc
	v_cndmask_b32_e32 v240, v240, v164, vcc
	;; [unrolled: 1-line block ×5, first 2 shown]
	s_cmp_lg_u32 s20, s0
	s_cbranch_scc1 .LBB118_610
.LBB118_611:
	s_waitcnt lgkmcnt(0)
	v_cmp_eq_f64_e32 vcc, 0, v[240:241]
	v_cmp_eq_f64_e64 s[0:1], 0, v[242:243]
	s_and_b64 s[0:1], vcc, s[0:1]
	s_and_saveexec_b64 s[16:17], s[0:1]
	s_xor_b64 s[0:1], exec, s[16:17]
; %bb.612:
	v_cmp_ne_u32_e32 vcc, 0, v254
	s_nop 1
	v_cndmask_b32_e32 v254, 30, v254, vcc
; %bb.613:
	s_andn2_saveexec_b64 s[0:1], s[0:1]
	s_cbranch_execz .LBB118_619
; %bb.614:
	v_cmp_ngt_f64_e64 s[16:17], |v[240:241]|, |v[242:243]|
	s_and_saveexec_b64 s[18:19], s[16:17]
	s_xor_b64 s[16:17], exec, s[18:19]
	s_cbranch_execz .LBB118_616
; %bb.615:
	v_div_scale_f64 v[156:157], s[18:19], v[242:243], v[242:243], v[240:241]
	v_rcp_f64_e32 v[158:159], v[156:157]
	v_div_scale_f64 v[164:165], vcc, v[240:241], v[242:243], v[240:241]
	v_fma_f64 v[166:167], -v[156:157], v[158:159], 1.0
	v_fmac_f64_e32 v[158:159], v[158:159], v[166:167]
	v_fma_f64 v[166:167], -v[156:157], v[158:159], 1.0
	v_fmac_f64_e32 v[158:159], v[158:159], v[166:167]
	v_mul_f64 v[166:167], v[164:165], v[158:159]
	v_fma_f64 v[156:157], -v[156:157], v[166:167], v[164:165]
	v_div_fmas_f64 v[156:157], v[156:157], v[158:159], v[166:167]
	v_div_fixup_f64 v[156:157], v[156:157], v[242:243], v[240:241]
	v_fmac_f64_e32 v[242:243], v[240:241], v[156:157]
	v_div_scale_f64 v[158:159], s[18:19], v[242:243], v[242:243], 1.0
	v_rcp_f64_e32 v[164:165], v[158:159]
	s_nop 0
	v_fma_f64 v[166:167], -v[158:159], v[164:165], 1.0
	v_fmac_f64_e32 v[164:165], v[164:165], v[166:167]
	v_fma_f64 v[166:167], -v[158:159], v[164:165], 1.0
	v_fmac_f64_e32 v[164:165], v[164:165], v[166:167]
	v_div_scale_f64 v[166:167], vcc, 1.0, v[242:243], 1.0
	v_mul_f64 v[216:217], v[166:167], v[164:165]
	v_fma_f64 v[158:159], -v[158:159], v[216:217], v[166:167]
	s_nop 1
	v_div_fmas_f64 v[158:159], v[158:159], v[164:165], v[216:217]
	v_div_fixup_f64 v[242:243], v[158:159], v[242:243], 1.0
	v_mul_f64 v[240:241], v[156:157], v[242:243]
	v_xor_b32_e32 v243, 0x80000000, v243
.LBB118_616:
	s_andn2_saveexec_b64 s[16:17], s[16:17]
	s_cbranch_execz .LBB118_618
; %bb.617:
	v_div_scale_f64 v[156:157], s[18:19], v[240:241], v[240:241], v[242:243]
	v_rcp_f64_e32 v[158:159], v[156:157]
	v_div_scale_f64 v[164:165], vcc, v[242:243], v[240:241], v[242:243]
	v_fma_f64 v[166:167], -v[156:157], v[158:159], 1.0
	v_fmac_f64_e32 v[158:159], v[158:159], v[166:167]
	v_fma_f64 v[166:167], -v[156:157], v[158:159], 1.0
	v_fmac_f64_e32 v[158:159], v[158:159], v[166:167]
	v_mul_f64 v[166:167], v[164:165], v[158:159]
	v_fma_f64 v[156:157], -v[156:157], v[166:167], v[164:165]
	v_div_fmas_f64 v[156:157], v[156:157], v[158:159], v[166:167]
	v_div_fixup_f64 v[156:157], v[156:157], v[240:241], v[242:243]
	v_fmac_f64_e32 v[240:241], v[242:243], v[156:157]
	v_div_scale_f64 v[158:159], s[18:19], v[240:241], v[240:241], 1.0
	v_rcp_f64_e32 v[164:165], v[158:159]
	s_nop 0
	v_fma_f64 v[166:167], -v[158:159], v[164:165], 1.0
	v_fmac_f64_e32 v[164:165], v[164:165], v[166:167]
	v_fma_f64 v[166:167], -v[158:159], v[164:165], 1.0
	v_fmac_f64_e32 v[164:165], v[164:165], v[166:167]
	v_div_scale_f64 v[166:167], vcc, 1.0, v[240:241], 1.0
	v_mul_f64 v[216:217], v[166:167], v[164:165]
	v_fma_f64 v[158:159], -v[158:159], v[216:217], v[166:167]
	s_nop 1
	v_div_fmas_f64 v[158:159], v[158:159], v[164:165], v[216:217]
	v_div_fixup_f64 v[240:241], v[158:159], v[240:241], 1.0
	v_mul_f64 v[242:243], v[156:157], -v[240:241]
.LBB118_618:
	s_or_b64 exec, exec, s[16:17]
.LBB118_619:
	s_or_b64 exec, exec, s[0:1]
	v_cmp_ne_u32_e32 vcc, v253, v250
	s_and_saveexec_b64 s[0:1], vcc
	s_xor_b64 s[0:1], exec, s[0:1]
	s_cbranch_execz .LBB118_625
; %bb.620:
	v_cmp_eq_u32_e32 vcc, 29, v253
	s_and_saveexec_b64 s[16:17], vcc
	s_cbranch_execz .LBB118_624
; %bb.621:
	v_cmp_ne_u32_e32 vcc, 29, v250
	s_xor_b64 s[18:19], s[14:15], -1
	s_and_b64 s[22:23], s[18:19], vcc
	s_and_saveexec_b64 s[18:19], s[22:23]
	s_cbranch_execz .LBB118_623
; %bb.622:
	v_ashrrev_i32_e32 v251, 31, v250
	v_lshl_add_u64 v[156:157], v[250:251], 2, v[234:235]
	global_load_dword v158, v[156:157], off
	global_load_dword v159, v[234:235], off offset:116
	s_waitcnt vmcnt(1)
	global_store_dword v[234:235], v158, off offset:116
	s_waitcnt vmcnt(1)
	global_store_dword v[156:157], v159, off
.LBB118_623:
	s_or_b64 exec, exec, s[18:19]
	v_mov_b32_e32 v253, v250
	v_mov_b32_e32 v244, v250
.LBB118_624:
	s_or_b64 exec, exec, s[16:17]
.LBB118_625:
	s_andn2_saveexec_b64 s[0:1], s[0:1]
	s_cbranch_execz .LBB118_627
; %bb.626:
	v_mov_b32_e32 v253, 29
	ds_write2_b64 v252, v[112:113], v[114:115] offset0:60 offset1:61
	ds_write2_b64 v252, v[108:109], v[110:111] offset0:62 offset1:63
	;; [unrolled: 1-line block ×30, first 2 shown]
.LBB118_627:
	s_or_b64 exec, exec, s[0:1]
	v_cmp_lt_i32_e32 vcc, 29, v253
	s_waitcnt lgkmcnt(0)
	s_barrier
	s_and_saveexec_b64 s[0:1], vcc
	s_cbranch_execz .LBB118_629
; %bb.628:
	ds_read2_b64 v[164:167], v252 offset0:60 offset1:61
	v_mul_f64 v[156:157], v[242:243], v[118:119]
	v_mul_f64 v[118:119], v[240:241], v[118:119]
	v_fmac_f64_e32 v[118:119], v[242:243], v[116:117]
	v_fma_f64 v[250:251], v[240:241], v[116:117], -v[156:157]
	s_waitcnt lgkmcnt(0)
	v_mul_f64 v[116:117], v[166:167], v[118:119]
	v_mul_f64 v[156:157], v[164:165], v[118:119]
	v_fma_f64 v[116:117], v[164:165], v[250:251], -v[116:117]
	v_fmac_f64_e32 v[156:157], v[166:167], v[250:251]
	ds_read2_b64 v[164:167], v252 offset0:62 offset1:63
	v_add_f64 v[112:113], v[112:113], -v[116:117]
	v_add_f64 v[114:115], v[114:115], -v[156:157]
	s_waitcnt lgkmcnt(0)
	v_mul_f64 v[116:117], v[166:167], v[118:119]
	v_mul_f64 v[156:157], v[164:165], v[118:119]
	v_fma_f64 v[116:117], v[164:165], v[250:251], -v[116:117]
	v_fmac_f64_e32 v[156:157], v[166:167], v[250:251]
	ds_read2_b64 v[164:167], v252 offset0:64 offset1:65
	v_add_f64 v[108:109], v[108:109], -v[116:117]
	v_add_f64 v[110:111], v[110:111], -v[156:157]
	;; [unrolled: 8-line block ×29, first 2 shown]
	s_waitcnt lgkmcnt(0)
	v_mul_f64 v[116:117], v[166:167], v[118:119]
	v_mul_f64 v[156:157], v[164:165], v[118:119]
	v_fma_f64 v[116:117], v[164:165], v[250:251], -v[116:117]
	v_fmac_f64_e32 v[156:157], v[166:167], v[250:251]
	v_add_f64 v[236:237], v[236:237], -v[116:117]
	v_add_f64 v[238:239], v[238:239], -v[156:157]
	v_mov_b64_e32 v[116:117], v[250:251]
.LBB118_629:
	s_or_b64 exec, exec, s[0:1]
	v_lshl_add_u32 v156, v253, 4, v252
	s_barrier
	ds_write2_b64 v156, v[112:113], v[114:115] offset1:1
	s_waitcnt lgkmcnt(0)
	s_barrier
	ds_read2_b64 v[240:243], v252 offset0:60 offset1:61
	s_cmp_lt_i32 s20, 32
	v_mov_b32_e32 v250, 30
	s_cbranch_scc1 .LBB118_632
; %bb.630:
	v_add_u32_e32 v246, 0x1f0, v252
	s_mov_b32 s0, 31
	v_mov_b32_e32 v250, 30
.LBB118_631:                            ; =>This Inner Loop Header: Depth=1
	ds_read2_b64 v[164:167], v246 offset1:1
	s_waitcnt lgkmcnt(1)
	v_cmp_gt_f64_e32 vcc, 0, v[240:241]
	v_xor_b32_e32 v156, 0x80000000, v241
	v_xor_b32_e32 v158, 0x80000000, v243
	v_cndmask_b32_e32 v157, v241, v156, vcc
	v_cmp_gt_f64_e32 vcc, 0, v[242:243]
	v_mov_b32_e32 v156, v240
	s_waitcnt lgkmcnt(0)
	v_xor_b32_e32 v216, 0x80000000, v167
	v_cndmask_b32_e32 v159, v243, v158, vcc
	v_mov_b32_e32 v158, v242
	v_add_f64 v[156:157], v[156:157], v[158:159]
	v_cmp_gt_f64_e32 vcc, 0, v[164:165]
	v_xor_b32_e32 v158, 0x80000000, v165
	v_add_u32_e32 v246, 16, v246
	v_cndmask_b32_e32 v159, v165, v158, vcc
	v_cmp_gt_f64_e32 vcc, 0, v[166:167]
	v_mov_b32_e32 v158, v164
	s_nop 0
	v_cndmask_b32_e32 v217, v167, v216, vcc
	v_mov_b32_e32 v216, v166
	v_add_f64 v[158:159], v[158:159], v[216:217]
	v_cmp_lt_f64_e32 vcc, v[156:157], v[158:159]
	v_mov_b32_e32 v156, s0
	s_add_i32 s0, s0, 1
	v_cndmask_b32_e32 v241, v241, v165, vcc
	v_cndmask_b32_e32 v240, v240, v164, vcc
	;; [unrolled: 1-line block ×5, first 2 shown]
	s_cmp_lg_u32 s20, s0
	s_cbranch_scc1 .LBB118_631
.LBB118_632:
	s_waitcnt lgkmcnt(0)
	v_cmp_eq_f64_e32 vcc, 0, v[240:241]
	v_cmp_eq_f64_e64 s[0:1], 0, v[242:243]
	s_and_b64 s[0:1], vcc, s[0:1]
	s_and_saveexec_b64 s[16:17], s[0:1]
	s_xor_b64 s[0:1], exec, s[16:17]
; %bb.633:
	v_cmp_ne_u32_e32 vcc, 0, v254
	s_nop 1
	v_cndmask_b32_e32 v254, 31, v254, vcc
; %bb.634:
	s_andn2_saveexec_b64 s[0:1], s[0:1]
	s_cbranch_execz .LBB118_640
; %bb.635:
	v_cmp_ngt_f64_e64 s[16:17], |v[240:241]|, |v[242:243]|
	s_and_saveexec_b64 s[18:19], s[16:17]
	s_xor_b64 s[16:17], exec, s[18:19]
	s_cbranch_execz .LBB118_637
; %bb.636:
	v_div_scale_f64 v[156:157], s[18:19], v[242:243], v[242:243], v[240:241]
	v_rcp_f64_e32 v[158:159], v[156:157]
	v_div_scale_f64 v[164:165], vcc, v[240:241], v[242:243], v[240:241]
	v_fma_f64 v[166:167], -v[156:157], v[158:159], 1.0
	v_fmac_f64_e32 v[158:159], v[158:159], v[166:167]
	v_fma_f64 v[166:167], -v[156:157], v[158:159], 1.0
	v_fmac_f64_e32 v[158:159], v[158:159], v[166:167]
	v_mul_f64 v[166:167], v[164:165], v[158:159]
	v_fma_f64 v[156:157], -v[156:157], v[166:167], v[164:165]
	v_div_fmas_f64 v[156:157], v[156:157], v[158:159], v[166:167]
	v_div_fixup_f64 v[156:157], v[156:157], v[242:243], v[240:241]
	v_fmac_f64_e32 v[242:243], v[240:241], v[156:157]
	v_div_scale_f64 v[158:159], s[18:19], v[242:243], v[242:243], 1.0
	v_rcp_f64_e32 v[164:165], v[158:159]
	s_nop 0
	v_fma_f64 v[166:167], -v[158:159], v[164:165], 1.0
	v_fmac_f64_e32 v[164:165], v[164:165], v[166:167]
	v_fma_f64 v[166:167], -v[158:159], v[164:165], 1.0
	v_fmac_f64_e32 v[164:165], v[164:165], v[166:167]
	v_div_scale_f64 v[166:167], vcc, 1.0, v[242:243], 1.0
	v_mul_f64 v[216:217], v[166:167], v[164:165]
	v_fma_f64 v[158:159], -v[158:159], v[216:217], v[166:167]
	s_nop 1
	v_div_fmas_f64 v[158:159], v[158:159], v[164:165], v[216:217]
	v_div_fixup_f64 v[242:243], v[158:159], v[242:243], 1.0
	v_mul_f64 v[240:241], v[156:157], v[242:243]
	v_xor_b32_e32 v243, 0x80000000, v243
.LBB118_637:
	s_andn2_saveexec_b64 s[16:17], s[16:17]
	s_cbranch_execz .LBB118_639
; %bb.638:
	v_div_scale_f64 v[156:157], s[18:19], v[240:241], v[240:241], v[242:243]
	v_rcp_f64_e32 v[158:159], v[156:157]
	v_div_scale_f64 v[164:165], vcc, v[242:243], v[240:241], v[242:243]
	v_fma_f64 v[166:167], -v[156:157], v[158:159], 1.0
	v_fmac_f64_e32 v[158:159], v[158:159], v[166:167]
	v_fma_f64 v[166:167], -v[156:157], v[158:159], 1.0
	v_fmac_f64_e32 v[158:159], v[158:159], v[166:167]
	v_mul_f64 v[166:167], v[164:165], v[158:159]
	v_fma_f64 v[156:157], -v[156:157], v[166:167], v[164:165]
	v_div_fmas_f64 v[156:157], v[156:157], v[158:159], v[166:167]
	v_div_fixup_f64 v[156:157], v[156:157], v[240:241], v[242:243]
	v_fmac_f64_e32 v[240:241], v[242:243], v[156:157]
	v_div_scale_f64 v[158:159], s[18:19], v[240:241], v[240:241], 1.0
	v_rcp_f64_e32 v[164:165], v[158:159]
	s_nop 0
	v_fma_f64 v[166:167], -v[158:159], v[164:165], 1.0
	v_fmac_f64_e32 v[164:165], v[164:165], v[166:167]
	v_fma_f64 v[166:167], -v[158:159], v[164:165], 1.0
	v_fmac_f64_e32 v[164:165], v[164:165], v[166:167]
	v_div_scale_f64 v[166:167], vcc, 1.0, v[240:241], 1.0
	v_mul_f64 v[216:217], v[166:167], v[164:165]
	v_fma_f64 v[158:159], -v[158:159], v[216:217], v[166:167]
	s_nop 1
	v_div_fmas_f64 v[158:159], v[158:159], v[164:165], v[216:217]
	v_div_fixup_f64 v[240:241], v[158:159], v[240:241], 1.0
	v_mul_f64 v[242:243], v[156:157], -v[240:241]
.LBB118_639:
	s_or_b64 exec, exec, s[16:17]
.LBB118_640:
	s_or_b64 exec, exec, s[0:1]
	v_cmp_ne_u32_e32 vcc, v253, v250
	s_and_saveexec_b64 s[0:1], vcc
	s_xor_b64 s[0:1], exec, s[0:1]
	s_cbranch_execz .LBB118_646
; %bb.641:
	v_cmp_eq_u32_e32 vcc, 30, v253
	s_and_saveexec_b64 s[16:17], vcc
	s_cbranch_execz .LBB118_645
; %bb.642:
	v_cmp_ne_u32_e32 vcc, 30, v250
	s_xor_b64 s[18:19], s[14:15], -1
	s_and_b64 s[22:23], s[18:19], vcc
	s_and_saveexec_b64 s[18:19], s[22:23]
	s_cbranch_execz .LBB118_644
; %bb.643:
	v_ashrrev_i32_e32 v251, 31, v250
	v_lshl_add_u64 v[156:157], v[250:251], 2, v[234:235]
	global_load_dword v158, v[156:157], off
	global_load_dword v159, v[234:235], off offset:120
	s_waitcnt vmcnt(1)
	global_store_dword v[234:235], v158, off offset:120
	s_waitcnt vmcnt(1)
	global_store_dword v[156:157], v159, off
.LBB118_644:
	s_or_b64 exec, exec, s[18:19]
	v_mov_b32_e32 v253, v250
	v_mov_b32_e32 v244, v250
.LBB118_645:
	s_or_b64 exec, exec, s[16:17]
.LBB118_646:
	s_andn2_saveexec_b64 s[0:1], s[0:1]
	s_cbranch_execz .LBB118_648
; %bb.647:
	v_mov_b32_e32 v253, 30
	ds_write2_b64 v252, v[108:109], v[110:111] offset0:62 offset1:63
	ds_write2_b64 v252, v[104:105], v[106:107] offset0:64 offset1:65
	;; [unrolled: 1-line block ×29, first 2 shown]
.LBB118_648:
	s_or_b64 exec, exec, s[0:1]
	v_cmp_lt_i32_e32 vcc, 30, v253
	s_waitcnt lgkmcnt(0)
	s_barrier
	s_and_saveexec_b64 s[0:1], vcc
	s_cbranch_execz .LBB118_650
; %bb.649:
	ds_read2_b64 v[164:167], v252 offset0:62 offset1:63
	v_mul_f64 v[156:157], v[242:243], v[114:115]
	v_mul_f64 v[114:115], v[240:241], v[114:115]
	v_fmac_f64_e32 v[114:115], v[242:243], v[112:113]
	v_fma_f64 v[250:251], v[240:241], v[112:113], -v[156:157]
	s_waitcnt lgkmcnt(0)
	v_mul_f64 v[112:113], v[166:167], v[114:115]
	v_mul_f64 v[156:157], v[164:165], v[114:115]
	v_fma_f64 v[112:113], v[164:165], v[250:251], -v[112:113]
	v_fmac_f64_e32 v[156:157], v[166:167], v[250:251]
	ds_read2_b64 v[164:167], v252 offset0:64 offset1:65
	v_add_f64 v[108:109], v[108:109], -v[112:113]
	v_add_f64 v[110:111], v[110:111], -v[156:157]
	s_waitcnt lgkmcnt(0)
	v_mul_f64 v[112:113], v[166:167], v[114:115]
	v_mul_f64 v[156:157], v[164:165], v[114:115]
	v_fma_f64 v[112:113], v[164:165], v[250:251], -v[112:113]
	v_fmac_f64_e32 v[156:157], v[166:167], v[250:251]
	ds_read2_b64 v[164:167], v252 offset0:66 offset1:67
	v_add_f64 v[104:105], v[104:105], -v[112:113]
	v_add_f64 v[106:107], v[106:107], -v[156:157]
	;; [unrolled: 8-line block ×28, first 2 shown]
	s_waitcnt lgkmcnt(0)
	v_mul_f64 v[112:113], v[166:167], v[114:115]
	v_mul_f64 v[156:157], v[164:165], v[114:115]
	v_fma_f64 v[112:113], v[164:165], v[250:251], -v[112:113]
	v_fmac_f64_e32 v[156:157], v[166:167], v[250:251]
	v_add_f64 v[236:237], v[236:237], -v[112:113]
	v_add_f64 v[238:239], v[238:239], -v[156:157]
	v_mov_b64_e32 v[112:113], v[250:251]
.LBB118_650:
	s_or_b64 exec, exec, s[0:1]
	v_lshl_add_u32 v156, v253, 4, v252
	s_barrier
	ds_write2_b64 v156, v[108:109], v[110:111] offset1:1
	s_waitcnt lgkmcnt(0)
	s_barrier
	ds_read2_b64 v[240:243], v252 offset0:62 offset1:63
	s_cmp_lt_i32 s20, 33
	v_mov_b32_e32 v250, 31
	s_cbranch_scc1 .LBB118_653
; %bb.651:
	v_add_u32_e32 v246, 0x200, v252
	s_mov_b32 s0, 32
	v_mov_b32_e32 v250, 31
.LBB118_652:                            ; =>This Inner Loop Header: Depth=1
	ds_read2_b64 v[164:167], v246 offset1:1
	s_waitcnt lgkmcnt(1)
	v_cmp_gt_f64_e32 vcc, 0, v[240:241]
	v_xor_b32_e32 v156, 0x80000000, v241
	v_xor_b32_e32 v158, 0x80000000, v243
	v_cndmask_b32_e32 v157, v241, v156, vcc
	v_cmp_gt_f64_e32 vcc, 0, v[242:243]
	v_mov_b32_e32 v156, v240
	s_waitcnt lgkmcnt(0)
	v_xor_b32_e32 v216, 0x80000000, v167
	v_cndmask_b32_e32 v159, v243, v158, vcc
	v_mov_b32_e32 v158, v242
	v_add_f64 v[156:157], v[156:157], v[158:159]
	v_cmp_gt_f64_e32 vcc, 0, v[164:165]
	v_xor_b32_e32 v158, 0x80000000, v165
	v_add_u32_e32 v246, 16, v246
	v_cndmask_b32_e32 v159, v165, v158, vcc
	v_cmp_gt_f64_e32 vcc, 0, v[166:167]
	v_mov_b32_e32 v158, v164
	s_nop 0
	v_cndmask_b32_e32 v217, v167, v216, vcc
	v_mov_b32_e32 v216, v166
	v_add_f64 v[158:159], v[158:159], v[216:217]
	v_cmp_lt_f64_e32 vcc, v[156:157], v[158:159]
	v_mov_b32_e32 v156, s0
	s_add_i32 s0, s0, 1
	v_cndmask_b32_e32 v241, v241, v165, vcc
	v_cndmask_b32_e32 v240, v240, v164, vcc
	;; [unrolled: 1-line block ×5, first 2 shown]
	s_cmp_lg_u32 s20, s0
	s_cbranch_scc1 .LBB118_652
.LBB118_653:
	s_waitcnt lgkmcnt(0)
	v_cmp_eq_f64_e32 vcc, 0, v[240:241]
	v_cmp_eq_f64_e64 s[0:1], 0, v[242:243]
	s_and_b64 s[0:1], vcc, s[0:1]
	s_and_saveexec_b64 s[16:17], s[0:1]
	s_xor_b64 s[0:1], exec, s[16:17]
; %bb.654:
	v_cmp_ne_u32_e32 vcc, 0, v254
	s_nop 1
	v_cndmask_b32_e32 v254, 32, v254, vcc
; %bb.655:
	s_andn2_saveexec_b64 s[0:1], s[0:1]
	s_cbranch_execz .LBB118_661
; %bb.656:
	v_cmp_ngt_f64_e64 s[16:17], |v[240:241]|, |v[242:243]|
	s_and_saveexec_b64 s[18:19], s[16:17]
	s_xor_b64 s[16:17], exec, s[18:19]
	s_cbranch_execz .LBB118_658
; %bb.657:
	v_div_scale_f64 v[156:157], s[18:19], v[242:243], v[242:243], v[240:241]
	v_rcp_f64_e32 v[158:159], v[156:157]
	v_div_scale_f64 v[164:165], vcc, v[240:241], v[242:243], v[240:241]
	v_fma_f64 v[166:167], -v[156:157], v[158:159], 1.0
	v_fmac_f64_e32 v[158:159], v[158:159], v[166:167]
	v_fma_f64 v[166:167], -v[156:157], v[158:159], 1.0
	v_fmac_f64_e32 v[158:159], v[158:159], v[166:167]
	v_mul_f64 v[166:167], v[164:165], v[158:159]
	v_fma_f64 v[156:157], -v[156:157], v[166:167], v[164:165]
	v_div_fmas_f64 v[156:157], v[156:157], v[158:159], v[166:167]
	v_div_fixup_f64 v[156:157], v[156:157], v[242:243], v[240:241]
	v_fmac_f64_e32 v[242:243], v[240:241], v[156:157]
	v_div_scale_f64 v[158:159], s[18:19], v[242:243], v[242:243], 1.0
	v_rcp_f64_e32 v[164:165], v[158:159]
	s_nop 0
	v_fma_f64 v[166:167], -v[158:159], v[164:165], 1.0
	v_fmac_f64_e32 v[164:165], v[164:165], v[166:167]
	v_fma_f64 v[166:167], -v[158:159], v[164:165], 1.0
	v_fmac_f64_e32 v[164:165], v[164:165], v[166:167]
	v_div_scale_f64 v[166:167], vcc, 1.0, v[242:243], 1.0
	v_mul_f64 v[216:217], v[166:167], v[164:165]
	v_fma_f64 v[158:159], -v[158:159], v[216:217], v[166:167]
	s_nop 1
	v_div_fmas_f64 v[158:159], v[158:159], v[164:165], v[216:217]
	v_div_fixup_f64 v[242:243], v[158:159], v[242:243], 1.0
	v_mul_f64 v[240:241], v[156:157], v[242:243]
	v_xor_b32_e32 v243, 0x80000000, v243
.LBB118_658:
	s_andn2_saveexec_b64 s[16:17], s[16:17]
	s_cbranch_execz .LBB118_660
; %bb.659:
	v_div_scale_f64 v[156:157], s[18:19], v[240:241], v[240:241], v[242:243]
	v_rcp_f64_e32 v[158:159], v[156:157]
	v_div_scale_f64 v[164:165], vcc, v[242:243], v[240:241], v[242:243]
	v_fma_f64 v[166:167], -v[156:157], v[158:159], 1.0
	v_fmac_f64_e32 v[158:159], v[158:159], v[166:167]
	v_fma_f64 v[166:167], -v[156:157], v[158:159], 1.0
	v_fmac_f64_e32 v[158:159], v[158:159], v[166:167]
	v_mul_f64 v[166:167], v[164:165], v[158:159]
	v_fma_f64 v[156:157], -v[156:157], v[166:167], v[164:165]
	v_div_fmas_f64 v[156:157], v[156:157], v[158:159], v[166:167]
	v_div_fixup_f64 v[156:157], v[156:157], v[240:241], v[242:243]
	v_fmac_f64_e32 v[240:241], v[242:243], v[156:157]
	v_div_scale_f64 v[158:159], s[18:19], v[240:241], v[240:241], 1.0
	v_rcp_f64_e32 v[164:165], v[158:159]
	s_nop 0
	v_fma_f64 v[166:167], -v[158:159], v[164:165], 1.0
	v_fmac_f64_e32 v[164:165], v[164:165], v[166:167]
	v_fma_f64 v[166:167], -v[158:159], v[164:165], 1.0
	v_fmac_f64_e32 v[164:165], v[164:165], v[166:167]
	v_div_scale_f64 v[166:167], vcc, 1.0, v[240:241], 1.0
	v_mul_f64 v[216:217], v[166:167], v[164:165]
	v_fma_f64 v[158:159], -v[158:159], v[216:217], v[166:167]
	s_nop 1
	v_div_fmas_f64 v[158:159], v[158:159], v[164:165], v[216:217]
	v_div_fixup_f64 v[240:241], v[158:159], v[240:241], 1.0
	v_mul_f64 v[242:243], v[156:157], -v[240:241]
.LBB118_660:
	s_or_b64 exec, exec, s[16:17]
.LBB118_661:
	s_or_b64 exec, exec, s[0:1]
	v_cmp_ne_u32_e32 vcc, v253, v250
	s_and_saveexec_b64 s[0:1], vcc
	s_xor_b64 s[0:1], exec, s[0:1]
	s_cbranch_execz .LBB118_667
; %bb.662:
	v_cmp_eq_u32_e32 vcc, 31, v253
	s_and_saveexec_b64 s[16:17], vcc
	s_cbranch_execz .LBB118_666
; %bb.663:
	v_cmp_ne_u32_e32 vcc, 31, v250
	s_xor_b64 s[18:19], s[14:15], -1
	s_and_b64 s[22:23], s[18:19], vcc
	s_and_saveexec_b64 s[18:19], s[22:23]
	s_cbranch_execz .LBB118_665
; %bb.664:
	v_ashrrev_i32_e32 v251, 31, v250
	v_lshl_add_u64 v[156:157], v[250:251], 2, v[234:235]
	global_load_dword v158, v[156:157], off
	global_load_dword v159, v[234:235], off offset:124
	s_waitcnt vmcnt(1)
	global_store_dword v[234:235], v158, off offset:124
	s_waitcnt vmcnt(1)
	global_store_dword v[156:157], v159, off
.LBB118_665:
	s_or_b64 exec, exec, s[18:19]
	v_mov_b32_e32 v253, v250
	v_mov_b32_e32 v244, v250
.LBB118_666:
	s_or_b64 exec, exec, s[16:17]
.LBB118_667:
	s_andn2_saveexec_b64 s[0:1], s[0:1]
	s_cbranch_execz .LBB118_669
; %bb.668:
	v_mov_b32_e32 v253, 31
	ds_write2_b64 v252, v[104:105], v[106:107] offset0:64 offset1:65
	ds_write2_b64 v252, v[100:101], v[102:103] offset0:66 offset1:67
	;; [unrolled: 1-line block ×28, first 2 shown]
.LBB118_669:
	s_or_b64 exec, exec, s[0:1]
	v_cmp_lt_i32_e32 vcc, 31, v253
	s_waitcnt lgkmcnt(0)
	s_barrier
	s_and_saveexec_b64 s[0:1], vcc
	s_cbranch_execz .LBB118_671
; %bb.670:
	ds_read2_b64 v[164:167], v252 offset0:64 offset1:65
	v_mul_f64 v[156:157], v[242:243], v[110:111]
	v_mul_f64 v[110:111], v[240:241], v[110:111]
	v_fmac_f64_e32 v[110:111], v[242:243], v[108:109]
	v_fma_f64 v[250:251], v[240:241], v[108:109], -v[156:157]
	s_waitcnt lgkmcnt(0)
	v_mul_f64 v[108:109], v[166:167], v[110:111]
	v_mul_f64 v[156:157], v[164:165], v[110:111]
	v_fma_f64 v[108:109], v[164:165], v[250:251], -v[108:109]
	v_fmac_f64_e32 v[156:157], v[166:167], v[250:251]
	ds_read2_b64 v[164:167], v252 offset0:66 offset1:67
	v_add_f64 v[104:105], v[104:105], -v[108:109]
	v_add_f64 v[106:107], v[106:107], -v[156:157]
	s_waitcnt lgkmcnt(0)
	v_mul_f64 v[108:109], v[166:167], v[110:111]
	v_mul_f64 v[156:157], v[164:165], v[110:111]
	v_fma_f64 v[108:109], v[164:165], v[250:251], -v[108:109]
	v_fmac_f64_e32 v[156:157], v[166:167], v[250:251]
	ds_read2_b64 v[164:167], v252 offset0:68 offset1:69
	v_add_f64 v[100:101], v[100:101], -v[108:109]
	v_add_f64 v[102:103], v[102:103], -v[156:157]
	;; [unrolled: 8-line block ×27, first 2 shown]
	s_waitcnt lgkmcnt(0)
	v_mul_f64 v[108:109], v[166:167], v[110:111]
	v_mul_f64 v[156:157], v[164:165], v[110:111]
	v_fma_f64 v[108:109], v[164:165], v[250:251], -v[108:109]
	v_fmac_f64_e32 v[156:157], v[166:167], v[250:251]
	v_add_f64 v[236:237], v[236:237], -v[108:109]
	v_add_f64 v[238:239], v[238:239], -v[156:157]
	v_mov_b64_e32 v[108:109], v[250:251]
.LBB118_671:
	s_or_b64 exec, exec, s[0:1]
	v_lshl_add_u32 v156, v253, 4, v252
	s_barrier
	ds_write2_b64 v156, v[104:105], v[106:107] offset1:1
	s_waitcnt lgkmcnt(0)
	s_barrier
	ds_read2_b64 v[240:243], v252 offset0:64 offset1:65
	s_cmp_lt_i32 s20, 34
	v_mov_b32_e32 v250, 32
	s_cbranch_scc1 .LBB118_674
; %bb.672:
	v_add_u32_e32 v246, 0x210, v252
	s_mov_b32 s0, 33
	v_mov_b32_e32 v250, 32
.LBB118_673:                            ; =>This Inner Loop Header: Depth=1
	ds_read2_b64 v[164:167], v246 offset1:1
	s_waitcnt lgkmcnt(1)
	v_cmp_gt_f64_e32 vcc, 0, v[240:241]
	v_xor_b32_e32 v156, 0x80000000, v241
	v_xor_b32_e32 v158, 0x80000000, v243
	v_cndmask_b32_e32 v157, v241, v156, vcc
	v_cmp_gt_f64_e32 vcc, 0, v[242:243]
	v_mov_b32_e32 v156, v240
	s_waitcnt lgkmcnt(0)
	v_xor_b32_e32 v216, 0x80000000, v167
	v_cndmask_b32_e32 v159, v243, v158, vcc
	v_mov_b32_e32 v158, v242
	v_add_f64 v[156:157], v[156:157], v[158:159]
	v_cmp_gt_f64_e32 vcc, 0, v[164:165]
	v_xor_b32_e32 v158, 0x80000000, v165
	v_add_u32_e32 v246, 16, v246
	v_cndmask_b32_e32 v159, v165, v158, vcc
	v_cmp_gt_f64_e32 vcc, 0, v[166:167]
	v_mov_b32_e32 v158, v164
	s_nop 0
	v_cndmask_b32_e32 v217, v167, v216, vcc
	v_mov_b32_e32 v216, v166
	v_add_f64 v[158:159], v[158:159], v[216:217]
	v_cmp_lt_f64_e32 vcc, v[156:157], v[158:159]
	v_mov_b32_e32 v156, s0
	s_add_i32 s0, s0, 1
	v_cndmask_b32_e32 v241, v241, v165, vcc
	v_cndmask_b32_e32 v240, v240, v164, vcc
	;; [unrolled: 1-line block ×5, first 2 shown]
	s_cmp_lg_u32 s20, s0
	s_cbranch_scc1 .LBB118_673
.LBB118_674:
	s_waitcnt lgkmcnt(0)
	v_cmp_eq_f64_e32 vcc, 0, v[240:241]
	v_cmp_eq_f64_e64 s[0:1], 0, v[242:243]
	s_and_b64 s[0:1], vcc, s[0:1]
	s_and_saveexec_b64 s[16:17], s[0:1]
	s_xor_b64 s[0:1], exec, s[16:17]
; %bb.675:
	v_cmp_ne_u32_e32 vcc, 0, v254
	s_nop 1
	v_cndmask_b32_e32 v254, 33, v254, vcc
; %bb.676:
	s_andn2_saveexec_b64 s[0:1], s[0:1]
	s_cbranch_execz .LBB118_682
; %bb.677:
	v_cmp_ngt_f64_e64 s[16:17], |v[240:241]|, |v[242:243]|
	s_and_saveexec_b64 s[18:19], s[16:17]
	s_xor_b64 s[16:17], exec, s[18:19]
	s_cbranch_execz .LBB118_679
; %bb.678:
	v_div_scale_f64 v[156:157], s[18:19], v[242:243], v[242:243], v[240:241]
	v_rcp_f64_e32 v[158:159], v[156:157]
	v_div_scale_f64 v[164:165], vcc, v[240:241], v[242:243], v[240:241]
	v_fma_f64 v[166:167], -v[156:157], v[158:159], 1.0
	v_fmac_f64_e32 v[158:159], v[158:159], v[166:167]
	v_fma_f64 v[166:167], -v[156:157], v[158:159], 1.0
	v_fmac_f64_e32 v[158:159], v[158:159], v[166:167]
	v_mul_f64 v[166:167], v[164:165], v[158:159]
	v_fma_f64 v[156:157], -v[156:157], v[166:167], v[164:165]
	v_div_fmas_f64 v[156:157], v[156:157], v[158:159], v[166:167]
	v_div_fixup_f64 v[156:157], v[156:157], v[242:243], v[240:241]
	v_fmac_f64_e32 v[242:243], v[240:241], v[156:157]
	v_div_scale_f64 v[158:159], s[18:19], v[242:243], v[242:243], 1.0
	v_rcp_f64_e32 v[164:165], v[158:159]
	s_nop 0
	v_fma_f64 v[166:167], -v[158:159], v[164:165], 1.0
	v_fmac_f64_e32 v[164:165], v[164:165], v[166:167]
	v_fma_f64 v[166:167], -v[158:159], v[164:165], 1.0
	v_fmac_f64_e32 v[164:165], v[164:165], v[166:167]
	v_div_scale_f64 v[166:167], vcc, 1.0, v[242:243], 1.0
	v_mul_f64 v[216:217], v[166:167], v[164:165]
	v_fma_f64 v[158:159], -v[158:159], v[216:217], v[166:167]
	s_nop 1
	v_div_fmas_f64 v[158:159], v[158:159], v[164:165], v[216:217]
	v_div_fixup_f64 v[242:243], v[158:159], v[242:243], 1.0
	v_mul_f64 v[240:241], v[156:157], v[242:243]
	v_xor_b32_e32 v243, 0x80000000, v243
.LBB118_679:
	s_andn2_saveexec_b64 s[16:17], s[16:17]
	s_cbranch_execz .LBB118_681
; %bb.680:
	v_div_scale_f64 v[156:157], s[18:19], v[240:241], v[240:241], v[242:243]
	v_rcp_f64_e32 v[158:159], v[156:157]
	v_div_scale_f64 v[164:165], vcc, v[242:243], v[240:241], v[242:243]
	v_fma_f64 v[166:167], -v[156:157], v[158:159], 1.0
	v_fmac_f64_e32 v[158:159], v[158:159], v[166:167]
	v_fma_f64 v[166:167], -v[156:157], v[158:159], 1.0
	v_fmac_f64_e32 v[158:159], v[158:159], v[166:167]
	v_mul_f64 v[166:167], v[164:165], v[158:159]
	v_fma_f64 v[156:157], -v[156:157], v[166:167], v[164:165]
	v_div_fmas_f64 v[156:157], v[156:157], v[158:159], v[166:167]
	v_div_fixup_f64 v[156:157], v[156:157], v[240:241], v[242:243]
	v_fmac_f64_e32 v[240:241], v[242:243], v[156:157]
	v_div_scale_f64 v[158:159], s[18:19], v[240:241], v[240:241], 1.0
	v_rcp_f64_e32 v[164:165], v[158:159]
	s_nop 0
	v_fma_f64 v[166:167], -v[158:159], v[164:165], 1.0
	v_fmac_f64_e32 v[164:165], v[164:165], v[166:167]
	v_fma_f64 v[166:167], -v[158:159], v[164:165], 1.0
	v_fmac_f64_e32 v[164:165], v[164:165], v[166:167]
	v_div_scale_f64 v[166:167], vcc, 1.0, v[240:241], 1.0
	v_mul_f64 v[216:217], v[166:167], v[164:165]
	v_fma_f64 v[158:159], -v[158:159], v[216:217], v[166:167]
	s_nop 1
	v_div_fmas_f64 v[158:159], v[158:159], v[164:165], v[216:217]
	v_div_fixup_f64 v[240:241], v[158:159], v[240:241], 1.0
	v_mul_f64 v[242:243], v[156:157], -v[240:241]
.LBB118_681:
	s_or_b64 exec, exec, s[16:17]
.LBB118_682:
	s_or_b64 exec, exec, s[0:1]
	v_cmp_ne_u32_e32 vcc, v253, v250
	s_and_saveexec_b64 s[0:1], vcc
	s_xor_b64 s[0:1], exec, s[0:1]
	s_cbranch_execz .LBB118_688
; %bb.683:
	v_cmp_eq_u32_e32 vcc, 32, v253
	s_and_saveexec_b64 s[16:17], vcc
	s_cbranch_execz .LBB118_687
; %bb.684:
	v_cmp_ne_u32_e32 vcc, 32, v250
	s_xor_b64 s[18:19], s[14:15], -1
	s_and_b64 s[22:23], s[18:19], vcc
	s_and_saveexec_b64 s[18:19], s[22:23]
	s_cbranch_execz .LBB118_686
; %bb.685:
	v_ashrrev_i32_e32 v251, 31, v250
	v_lshl_add_u64 v[156:157], v[250:251], 2, v[234:235]
	global_load_dword v158, v[156:157], off
	global_load_dword v159, v[234:235], off offset:128
	s_waitcnt vmcnt(1)
	global_store_dword v[234:235], v158, off offset:128
	s_waitcnt vmcnt(1)
	global_store_dword v[156:157], v159, off
.LBB118_686:
	s_or_b64 exec, exec, s[18:19]
	v_mov_b32_e32 v253, v250
	v_mov_b32_e32 v244, v250
.LBB118_687:
	s_or_b64 exec, exec, s[16:17]
.LBB118_688:
	s_andn2_saveexec_b64 s[0:1], s[0:1]
	s_cbranch_execz .LBB118_690
; %bb.689:
	v_mov_b32_e32 v253, 32
	ds_write2_b64 v252, v[100:101], v[102:103] offset0:66 offset1:67
	ds_write2_b64 v252, v[96:97], v[98:99] offset0:68 offset1:69
	;; [unrolled: 1-line block ×27, first 2 shown]
.LBB118_690:
	s_or_b64 exec, exec, s[0:1]
	v_cmp_lt_i32_e32 vcc, 32, v253
	s_waitcnt lgkmcnt(0)
	s_barrier
	s_and_saveexec_b64 s[0:1], vcc
	s_cbranch_execz .LBB118_692
; %bb.691:
	ds_read2_b64 v[164:167], v252 offset0:66 offset1:67
	v_mul_f64 v[156:157], v[242:243], v[106:107]
	v_mul_f64 v[106:107], v[240:241], v[106:107]
	v_fmac_f64_e32 v[106:107], v[242:243], v[104:105]
	v_fma_f64 v[250:251], v[240:241], v[104:105], -v[156:157]
	s_waitcnt lgkmcnt(0)
	v_mul_f64 v[104:105], v[166:167], v[106:107]
	v_mul_f64 v[156:157], v[164:165], v[106:107]
	v_fma_f64 v[104:105], v[164:165], v[250:251], -v[104:105]
	v_fmac_f64_e32 v[156:157], v[166:167], v[250:251]
	ds_read2_b64 v[164:167], v252 offset0:68 offset1:69
	v_add_f64 v[100:101], v[100:101], -v[104:105]
	v_add_f64 v[102:103], v[102:103], -v[156:157]
	s_waitcnt lgkmcnt(0)
	v_mul_f64 v[104:105], v[166:167], v[106:107]
	v_mul_f64 v[156:157], v[164:165], v[106:107]
	v_fma_f64 v[104:105], v[164:165], v[250:251], -v[104:105]
	v_fmac_f64_e32 v[156:157], v[166:167], v[250:251]
	ds_read2_b64 v[164:167], v252 offset0:70 offset1:71
	v_add_f64 v[96:97], v[96:97], -v[104:105]
	v_add_f64 v[98:99], v[98:99], -v[156:157]
	;; [unrolled: 8-line block ×26, first 2 shown]
	s_waitcnt lgkmcnt(0)
	v_mul_f64 v[104:105], v[166:167], v[106:107]
	v_mul_f64 v[156:157], v[164:165], v[106:107]
	v_fma_f64 v[104:105], v[164:165], v[250:251], -v[104:105]
	v_fmac_f64_e32 v[156:157], v[166:167], v[250:251]
	v_add_f64 v[236:237], v[236:237], -v[104:105]
	v_add_f64 v[238:239], v[238:239], -v[156:157]
	v_mov_b64_e32 v[104:105], v[250:251]
.LBB118_692:
	s_or_b64 exec, exec, s[0:1]
	v_lshl_add_u32 v156, v253, 4, v252
	s_barrier
	ds_write2_b64 v156, v[100:101], v[102:103] offset1:1
	s_waitcnt lgkmcnt(0)
	s_barrier
	ds_read2_b64 v[240:243], v252 offset0:66 offset1:67
	s_cmp_lt_i32 s20, 35
	v_mov_b32_e32 v250, 33
	s_cbranch_scc1 .LBB118_695
; %bb.693:
	v_add_u32_e32 v246, 0x220, v252
	s_mov_b32 s0, 34
	v_mov_b32_e32 v250, 33
.LBB118_694:                            ; =>This Inner Loop Header: Depth=1
	ds_read2_b64 v[164:167], v246 offset1:1
	s_waitcnt lgkmcnt(1)
	v_cmp_gt_f64_e32 vcc, 0, v[240:241]
	v_xor_b32_e32 v156, 0x80000000, v241
	v_xor_b32_e32 v158, 0x80000000, v243
	v_cndmask_b32_e32 v157, v241, v156, vcc
	v_cmp_gt_f64_e32 vcc, 0, v[242:243]
	v_mov_b32_e32 v156, v240
	s_waitcnt lgkmcnt(0)
	v_xor_b32_e32 v216, 0x80000000, v167
	v_cndmask_b32_e32 v159, v243, v158, vcc
	v_mov_b32_e32 v158, v242
	v_add_f64 v[156:157], v[156:157], v[158:159]
	v_cmp_gt_f64_e32 vcc, 0, v[164:165]
	v_xor_b32_e32 v158, 0x80000000, v165
	v_add_u32_e32 v246, 16, v246
	v_cndmask_b32_e32 v159, v165, v158, vcc
	v_cmp_gt_f64_e32 vcc, 0, v[166:167]
	v_mov_b32_e32 v158, v164
	s_nop 0
	v_cndmask_b32_e32 v217, v167, v216, vcc
	v_mov_b32_e32 v216, v166
	v_add_f64 v[158:159], v[158:159], v[216:217]
	v_cmp_lt_f64_e32 vcc, v[156:157], v[158:159]
	v_mov_b32_e32 v156, s0
	s_add_i32 s0, s0, 1
	v_cndmask_b32_e32 v241, v241, v165, vcc
	v_cndmask_b32_e32 v240, v240, v164, vcc
	;; [unrolled: 1-line block ×5, first 2 shown]
	s_cmp_lg_u32 s20, s0
	s_cbranch_scc1 .LBB118_694
.LBB118_695:
	s_waitcnt lgkmcnt(0)
	v_cmp_eq_f64_e32 vcc, 0, v[240:241]
	v_cmp_eq_f64_e64 s[0:1], 0, v[242:243]
	s_and_b64 s[0:1], vcc, s[0:1]
	s_and_saveexec_b64 s[16:17], s[0:1]
	s_xor_b64 s[0:1], exec, s[16:17]
; %bb.696:
	v_cmp_ne_u32_e32 vcc, 0, v254
	s_nop 1
	v_cndmask_b32_e32 v254, 34, v254, vcc
; %bb.697:
	s_andn2_saveexec_b64 s[0:1], s[0:1]
	s_cbranch_execz .LBB118_703
; %bb.698:
	v_cmp_ngt_f64_e64 s[16:17], |v[240:241]|, |v[242:243]|
	s_and_saveexec_b64 s[18:19], s[16:17]
	s_xor_b64 s[16:17], exec, s[18:19]
	s_cbranch_execz .LBB118_700
; %bb.699:
	v_div_scale_f64 v[156:157], s[18:19], v[242:243], v[242:243], v[240:241]
	v_rcp_f64_e32 v[158:159], v[156:157]
	v_div_scale_f64 v[164:165], vcc, v[240:241], v[242:243], v[240:241]
	v_fma_f64 v[166:167], -v[156:157], v[158:159], 1.0
	v_fmac_f64_e32 v[158:159], v[158:159], v[166:167]
	v_fma_f64 v[166:167], -v[156:157], v[158:159], 1.0
	v_fmac_f64_e32 v[158:159], v[158:159], v[166:167]
	v_mul_f64 v[166:167], v[164:165], v[158:159]
	v_fma_f64 v[156:157], -v[156:157], v[166:167], v[164:165]
	v_div_fmas_f64 v[156:157], v[156:157], v[158:159], v[166:167]
	v_div_fixup_f64 v[156:157], v[156:157], v[242:243], v[240:241]
	v_fmac_f64_e32 v[242:243], v[240:241], v[156:157]
	v_div_scale_f64 v[158:159], s[18:19], v[242:243], v[242:243], 1.0
	v_rcp_f64_e32 v[164:165], v[158:159]
	s_nop 0
	v_fma_f64 v[166:167], -v[158:159], v[164:165], 1.0
	v_fmac_f64_e32 v[164:165], v[164:165], v[166:167]
	v_fma_f64 v[166:167], -v[158:159], v[164:165], 1.0
	v_fmac_f64_e32 v[164:165], v[164:165], v[166:167]
	v_div_scale_f64 v[166:167], vcc, 1.0, v[242:243], 1.0
	v_mul_f64 v[216:217], v[166:167], v[164:165]
	v_fma_f64 v[158:159], -v[158:159], v[216:217], v[166:167]
	s_nop 1
	v_div_fmas_f64 v[158:159], v[158:159], v[164:165], v[216:217]
	v_div_fixup_f64 v[242:243], v[158:159], v[242:243], 1.0
	v_mul_f64 v[240:241], v[156:157], v[242:243]
	v_xor_b32_e32 v243, 0x80000000, v243
.LBB118_700:
	s_andn2_saveexec_b64 s[16:17], s[16:17]
	s_cbranch_execz .LBB118_702
; %bb.701:
	v_div_scale_f64 v[156:157], s[18:19], v[240:241], v[240:241], v[242:243]
	v_rcp_f64_e32 v[158:159], v[156:157]
	v_div_scale_f64 v[164:165], vcc, v[242:243], v[240:241], v[242:243]
	v_fma_f64 v[166:167], -v[156:157], v[158:159], 1.0
	v_fmac_f64_e32 v[158:159], v[158:159], v[166:167]
	v_fma_f64 v[166:167], -v[156:157], v[158:159], 1.0
	v_fmac_f64_e32 v[158:159], v[158:159], v[166:167]
	v_mul_f64 v[166:167], v[164:165], v[158:159]
	v_fma_f64 v[156:157], -v[156:157], v[166:167], v[164:165]
	v_div_fmas_f64 v[156:157], v[156:157], v[158:159], v[166:167]
	v_div_fixup_f64 v[156:157], v[156:157], v[240:241], v[242:243]
	v_fmac_f64_e32 v[240:241], v[242:243], v[156:157]
	v_div_scale_f64 v[158:159], s[18:19], v[240:241], v[240:241], 1.0
	v_rcp_f64_e32 v[164:165], v[158:159]
	s_nop 0
	v_fma_f64 v[166:167], -v[158:159], v[164:165], 1.0
	v_fmac_f64_e32 v[164:165], v[164:165], v[166:167]
	v_fma_f64 v[166:167], -v[158:159], v[164:165], 1.0
	v_fmac_f64_e32 v[164:165], v[164:165], v[166:167]
	v_div_scale_f64 v[166:167], vcc, 1.0, v[240:241], 1.0
	v_mul_f64 v[216:217], v[166:167], v[164:165]
	v_fma_f64 v[158:159], -v[158:159], v[216:217], v[166:167]
	s_nop 1
	v_div_fmas_f64 v[158:159], v[158:159], v[164:165], v[216:217]
	v_div_fixup_f64 v[240:241], v[158:159], v[240:241], 1.0
	v_mul_f64 v[242:243], v[156:157], -v[240:241]
.LBB118_702:
	s_or_b64 exec, exec, s[16:17]
.LBB118_703:
	s_or_b64 exec, exec, s[0:1]
	v_cmp_ne_u32_e32 vcc, v253, v250
	s_and_saveexec_b64 s[0:1], vcc
	s_xor_b64 s[0:1], exec, s[0:1]
	s_cbranch_execz .LBB118_709
; %bb.704:
	v_cmp_eq_u32_e32 vcc, 33, v253
	s_and_saveexec_b64 s[16:17], vcc
	s_cbranch_execz .LBB118_708
; %bb.705:
	v_cmp_ne_u32_e32 vcc, 33, v250
	s_xor_b64 s[18:19], s[14:15], -1
	s_and_b64 s[22:23], s[18:19], vcc
	s_and_saveexec_b64 s[18:19], s[22:23]
	s_cbranch_execz .LBB118_707
; %bb.706:
	v_ashrrev_i32_e32 v251, 31, v250
	v_lshl_add_u64 v[156:157], v[250:251], 2, v[234:235]
	global_load_dword v158, v[156:157], off
	global_load_dword v159, v[234:235], off offset:132
	s_waitcnt vmcnt(1)
	global_store_dword v[234:235], v158, off offset:132
	s_waitcnt vmcnt(1)
	global_store_dword v[156:157], v159, off
.LBB118_707:
	s_or_b64 exec, exec, s[18:19]
	v_mov_b32_e32 v253, v250
	v_mov_b32_e32 v244, v250
.LBB118_708:
	s_or_b64 exec, exec, s[16:17]
.LBB118_709:
	s_andn2_saveexec_b64 s[0:1], s[0:1]
	s_cbranch_execz .LBB118_711
; %bb.710:
	v_mov_b32_e32 v253, 33
	ds_write2_b64 v252, v[96:97], v[98:99] offset0:68 offset1:69
	ds_write2_b64 v252, v[92:93], v[94:95] offset0:70 offset1:71
	;; [unrolled: 1-line block ×26, first 2 shown]
.LBB118_711:
	s_or_b64 exec, exec, s[0:1]
	v_cmp_lt_i32_e32 vcc, 33, v253
	s_waitcnt lgkmcnt(0)
	s_barrier
	s_and_saveexec_b64 s[0:1], vcc
	s_cbranch_execz .LBB118_713
; %bb.712:
	ds_read2_b64 v[164:167], v252 offset0:68 offset1:69
	v_mul_f64 v[156:157], v[242:243], v[102:103]
	v_mul_f64 v[102:103], v[240:241], v[102:103]
	v_fmac_f64_e32 v[102:103], v[242:243], v[100:101]
	v_fma_f64 v[250:251], v[240:241], v[100:101], -v[156:157]
	s_waitcnt lgkmcnt(0)
	v_mul_f64 v[100:101], v[166:167], v[102:103]
	v_mul_f64 v[156:157], v[164:165], v[102:103]
	v_fma_f64 v[100:101], v[164:165], v[250:251], -v[100:101]
	v_fmac_f64_e32 v[156:157], v[166:167], v[250:251]
	ds_read2_b64 v[164:167], v252 offset0:70 offset1:71
	v_add_f64 v[96:97], v[96:97], -v[100:101]
	v_add_f64 v[98:99], v[98:99], -v[156:157]
	s_waitcnt lgkmcnt(0)
	v_mul_f64 v[100:101], v[166:167], v[102:103]
	v_mul_f64 v[156:157], v[164:165], v[102:103]
	v_fma_f64 v[100:101], v[164:165], v[250:251], -v[100:101]
	v_fmac_f64_e32 v[156:157], v[166:167], v[250:251]
	ds_read2_b64 v[164:167], v252 offset0:72 offset1:73
	v_add_f64 v[92:93], v[92:93], -v[100:101]
	v_add_f64 v[94:95], v[94:95], -v[156:157]
	s_waitcnt lgkmcnt(0)
	v_mul_f64 v[100:101], v[166:167], v[102:103]
	v_mul_f64 v[156:157], v[164:165], v[102:103]
	v_fma_f64 v[100:101], v[164:165], v[250:251], -v[100:101]
	v_fmac_f64_e32 v[156:157], v[166:167], v[250:251]
	ds_read2_b64 v[164:167], v252 offset0:74 offset1:75
	v_add_f64 v[88:89], v[88:89], -v[100:101]
	v_add_f64 v[90:91], v[90:91], -v[156:157]
	s_waitcnt lgkmcnt(0)
	v_mul_f64 v[100:101], v[166:167], v[102:103]
	v_mul_f64 v[156:157], v[164:165], v[102:103]
	v_fma_f64 v[100:101], v[164:165], v[250:251], -v[100:101]
	v_fmac_f64_e32 v[156:157], v[166:167], v[250:251]
	ds_read2_b64 v[164:167], v252 offset0:76 offset1:77
	v_add_f64 v[84:85], v[84:85], -v[100:101]
	v_add_f64 v[86:87], v[86:87], -v[156:157]
	s_waitcnt lgkmcnt(0)
	v_mul_f64 v[100:101], v[166:167], v[102:103]
	v_mul_f64 v[156:157], v[164:165], v[102:103]
	v_fma_f64 v[100:101], v[164:165], v[250:251], -v[100:101]
	v_fmac_f64_e32 v[156:157], v[166:167], v[250:251]
	ds_read2_b64 v[164:167], v252 offset0:78 offset1:79
	v_add_f64 v[80:81], v[80:81], -v[100:101]
	v_add_f64 v[82:83], v[82:83], -v[156:157]
	s_waitcnt lgkmcnt(0)
	v_mul_f64 v[100:101], v[166:167], v[102:103]
	v_mul_f64 v[156:157], v[164:165], v[102:103]
	v_fma_f64 v[100:101], v[164:165], v[250:251], -v[100:101]
	v_fmac_f64_e32 v[156:157], v[166:167], v[250:251]
	ds_read2_b64 v[164:167], v252 offset0:80 offset1:81
	v_add_f64 v[76:77], v[76:77], -v[100:101]
	v_add_f64 v[78:79], v[78:79], -v[156:157]
	s_waitcnt lgkmcnt(0)
	v_mul_f64 v[100:101], v[166:167], v[102:103]
	v_mul_f64 v[156:157], v[164:165], v[102:103]
	v_fma_f64 v[100:101], v[164:165], v[250:251], -v[100:101]
	v_fmac_f64_e32 v[156:157], v[166:167], v[250:251]
	ds_read2_b64 v[164:167], v252 offset0:82 offset1:83
	v_add_f64 v[72:73], v[72:73], -v[100:101]
	v_add_f64 v[74:75], v[74:75], -v[156:157]
	s_waitcnt lgkmcnt(0)
	v_mul_f64 v[100:101], v[166:167], v[102:103]
	v_mul_f64 v[156:157], v[164:165], v[102:103]
	v_fma_f64 v[100:101], v[164:165], v[250:251], -v[100:101]
	v_fmac_f64_e32 v[156:157], v[166:167], v[250:251]
	ds_read2_b64 v[164:167], v252 offset0:84 offset1:85
	v_add_f64 v[68:69], v[68:69], -v[100:101]
	v_add_f64 v[70:71], v[70:71], -v[156:157]
	s_waitcnt lgkmcnt(0)
	v_mul_f64 v[100:101], v[166:167], v[102:103]
	v_mul_f64 v[156:157], v[164:165], v[102:103]
	v_fma_f64 v[100:101], v[164:165], v[250:251], -v[100:101]
	v_fmac_f64_e32 v[156:157], v[166:167], v[250:251]
	ds_read2_b64 v[164:167], v252 offset0:86 offset1:87
	v_add_f64 v[64:65], v[64:65], -v[100:101]
	v_add_f64 v[66:67], v[66:67], -v[156:157]
	s_waitcnt lgkmcnt(0)
	v_mul_f64 v[100:101], v[166:167], v[102:103]
	v_mul_f64 v[156:157], v[164:165], v[102:103]
	v_fma_f64 v[100:101], v[164:165], v[250:251], -v[100:101]
	v_fmac_f64_e32 v[156:157], v[166:167], v[250:251]
	ds_read2_b64 v[164:167], v252 offset0:88 offset1:89
	v_add_f64 v[60:61], v[60:61], -v[100:101]
	v_add_f64 v[62:63], v[62:63], -v[156:157]
	s_waitcnt lgkmcnt(0)
	v_mul_f64 v[100:101], v[166:167], v[102:103]
	v_mul_f64 v[156:157], v[164:165], v[102:103]
	v_fma_f64 v[100:101], v[164:165], v[250:251], -v[100:101]
	v_fmac_f64_e32 v[156:157], v[166:167], v[250:251]
	ds_read2_b64 v[164:167], v252 offset0:90 offset1:91
	v_add_f64 v[56:57], v[56:57], -v[100:101]
	v_add_f64 v[58:59], v[58:59], -v[156:157]
	s_waitcnt lgkmcnt(0)
	v_mul_f64 v[100:101], v[166:167], v[102:103]
	v_mul_f64 v[156:157], v[164:165], v[102:103]
	v_fma_f64 v[100:101], v[164:165], v[250:251], -v[100:101]
	v_fmac_f64_e32 v[156:157], v[166:167], v[250:251]
	ds_read2_b64 v[164:167], v252 offset0:92 offset1:93
	v_add_f64 v[52:53], v[52:53], -v[100:101]
	v_add_f64 v[54:55], v[54:55], -v[156:157]
	s_waitcnt lgkmcnt(0)
	v_mul_f64 v[100:101], v[166:167], v[102:103]
	v_mul_f64 v[156:157], v[164:165], v[102:103]
	v_fma_f64 v[100:101], v[164:165], v[250:251], -v[100:101]
	v_fmac_f64_e32 v[156:157], v[166:167], v[250:251]
	ds_read2_b64 v[164:167], v252 offset0:94 offset1:95
	v_add_f64 v[48:49], v[48:49], -v[100:101]
	v_add_f64 v[50:51], v[50:51], -v[156:157]
	s_waitcnt lgkmcnt(0)
	v_mul_f64 v[100:101], v[166:167], v[102:103]
	v_mul_f64 v[156:157], v[164:165], v[102:103]
	v_fma_f64 v[100:101], v[164:165], v[250:251], -v[100:101]
	v_fmac_f64_e32 v[156:157], v[166:167], v[250:251]
	ds_read2_b64 v[164:167], v252 offset0:96 offset1:97
	v_add_f64 v[44:45], v[44:45], -v[100:101]
	v_add_f64 v[46:47], v[46:47], -v[156:157]
	s_waitcnt lgkmcnt(0)
	v_mul_f64 v[100:101], v[166:167], v[102:103]
	v_mul_f64 v[156:157], v[164:165], v[102:103]
	v_fma_f64 v[100:101], v[164:165], v[250:251], -v[100:101]
	v_fmac_f64_e32 v[156:157], v[166:167], v[250:251]
	ds_read2_b64 v[164:167], v252 offset0:98 offset1:99
	v_add_f64 v[40:41], v[40:41], -v[100:101]
	v_add_f64 v[42:43], v[42:43], -v[156:157]
	s_waitcnt lgkmcnt(0)
	v_mul_f64 v[100:101], v[166:167], v[102:103]
	v_mul_f64 v[156:157], v[164:165], v[102:103]
	v_fma_f64 v[100:101], v[164:165], v[250:251], -v[100:101]
	v_fmac_f64_e32 v[156:157], v[166:167], v[250:251]
	ds_read2_b64 v[164:167], v252 offset0:100 offset1:101
	v_add_f64 v[36:37], v[36:37], -v[100:101]
	v_add_f64 v[38:39], v[38:39], -v[156:157]
	s_waitcnt lgkmcnt(0)
	v_mul_f64 v[100:101], v[166:167], v[102:103]
	v_mul_f64 v[156:157], v[164:165], v[102:103]
	v_fma_f64 v[100:101], v[164:165], v[250:251], -v[100:101]
	v_fmac_f64_e32 v[156:157], v[166:167], v[250:251]
	ds_read2_b64 v[164:167], v252 offset0:102 offset1:103
	v_add_f64 v[32:33], v[32:33], -v[100:101]
	v_add_f64 v[34:35], v[34:35], -v[156:157]
	s_waitcnt lgkmcnt(0)
	v_mul_f64 v[100:101], v[166:167], v[102:103]
	v_mul_f64 v[156:157], v[164:165], v[102:103]
	v_fma_f64 v[100:101], v[164:165], v[250:251], -v[100:101]
	v_fmac_f64_e32 v[156:157], v[166:167], v[250:251]
	ds_read2_b64 v[164:167], v252 offset0:104 offset1:105
	v_add_f64 v[28:29], v[28:29], -v[100:101]
	v_add_f64 v[30:31], v[30:31], -v[156:157]
	s_waitcnt lgkmcnt(0)
	v_mul_f64 v[100:101], v[166:167], v[102:103]
	v_mul_f64 v[156:157], v[164:165], v[102:103]
	v_fma_f64 v[100:101], v[164:165], v[250:251], -v[100:101]
	v_fmac_f64_e32 v[156:157], v[166:167], v[250:251]
	ds_read2_b64 v[164:167], v252 offset0:106 offset1:107
	v_add_f64 v[24:25], v[24:25], -v[100:101]
	v_add_f64 v[26:27], v[26:27], -v[156:157]
	s_waitcnt lgkmcnt(0)
	v_mul_f64 v[100:101], v[166:167], v[102:103]
	v_mul_f64 v[156:157], v[164:165], v[102:103]
	v_fma_f64 v[100:101], v[164:165], v[250:251], -v[100:101]
	v_fmac_f64_e32 v[156:157], v[166:167], v[250:251]
	ds_read2_b64 v[164:167], v252 offset0:108 offset1:109
	v_add_f64 v[20:21], v[20:21], -v[100:101]
	v_add_f64 v[22:23], v[22:23], -v[156:157]
	s_waitcnt lgkmcnt(0)
	v_mul_f64 v[100:101], v[166:167], v[102:103]
	v_mul_f64 v[156:157], v[164:165], v[102:103]
	v_fma_f64 v[100:101], v[164:165], v[250:251], -v[100:101]
	v_fmac_f64_e32 v[156:157], v[166:167], v[250:251]
	ds_read2_b64 v[164:167], v252 offset0:110 offset1:111
	v_add_f64 v[16:17], v[16:17], -v[100:101]
	v_add_f64 v[18:19], v[18:19], -v[156:157]
	s_waitcnt lgkmcnt(0)
	v_mul_f64 v[100:101], v[166:167], v[102:103]
	v_mul_f64 v[156:157], v[164:165], v[102:103]
	v_fma_f64 v[100:101], v[164:165], v[250:251], -v[100:101]
	v_fmac_f64_e32 v[156:157], v[166:167], v[250:251]
	ds_read2_b64 v[164:167], v252 offset0:112 offset1:113
	v_add_f64 v[12:13], v[12:13], -v[100:101]
	v_add_f64 v[14:15], v[14:15], -v[156:157]
	s_waitcnt lgkmcnt(0)
	v_mul_f64 v[100:101], v[166:167], v[102:103]
	v_mul_f64 v[156:157], v[164:165], v[102:103]
	v_fma_f64 v[100:101], v[164:165], v[250:251], -v[100:101]
	v_fmac_f64_e32 v[156:157], v[166:167], v[250:251]
	ds_read2_b64 v[164:167], v252 offset0:114 offset1:115
	v_add_f64 v[230:231], v[230:231], -v[100:101]
	v_add_f64 v[232:233], v[232:233], -v[156:157]
	s_waitcnt lgkmcnt(0)
	v_mul_f64 v[100:101], v[166:167], v[102:103]
	v_mul_f64 v[156:157], v[164:165], v[102:103]
	v_fma_f64 v[100:101], v[164:165], v[250:251], -v[100:101]
	v_fmac_f64_e32 v[156:157], v[166:167], v[250:251]
	ds_read2_b64 v[164:167], v252 offset0:116 offset1:117
	v_add_f64 v[224:225], v[224:225], -v[100:101]
	v_add_f64 v[226:227], v[226:227], -v[156:157]
	s_waitcnt lgkmcnt(0)
	v_mul_f64 v[100:101], v[166:167], v[102:103]
	v_mul_f64 v[156:157], v[164:165], v[102:103]
	v_fma_f64 v[100:101], v[164:165], v[250:251], -v[100:101]
	v_fmac_f64_e32 v[156:157], v[166:167], v[250:251]
	ds_read2_b64 v[164:167], v252 offset0:118 offset1:119
	v_add_f64 v[220:221], v[220:221], -v[100:101]
	v_add_f64 v[222:223], v[222:223], -v[156:157]
	s_waitcnt lgkmcnt(0)
	v_mul_f64 v[100:101], v[166:167], v[102:103]
	v_mul_f64 v[156:157], v[164:165], v[102:103]
	v_fma_f64 v[100:101], v[164:165], v[250:251], -v[100:101]
	v_fmac_f64_e32 v[156:157], v[166:167], v[250:251]
	v_add_f64 v[236:237], v[236:237], -v[100:101]
	v_add_f64 v[238:239], v[238:239], -v[156:157]
	v_mov_b64_e32 v[100:101], v[250:251]
.LBB118_713:
	s_or_b64 exec, exec, s[0:1]
	v_lshl_add_u32 v156, v253, 4, v252
	s_barrier
	ds_write2_b64 v156, v[96:97], v[98:99] offset1:1
	s_waitcnt lgkmcnt(0)
	s_barrier
	ds_read2_b64 v[240:243], v252 offset0:68 offset1:69
	s_cmp_lt_i32 s20, 36
	v_mov_b32_e32 v250, 34
	s_cbranch_scc1 .LBB118_716
; %bb.714:
	v_add_u32_e32 v246, 0x230, v252
	s_mov_b32 s0, 35
	v_mov_b32_e32 v250, 34
.LBB118_715:                            ; =>This Inner Loop Header: Depth=1
	ds_read2_b64 v[164:167], v246 offset1:1
	s_waitcnt lgkmcnt(1)
	v_cmp_gt_f64_e32 vcc, 0, v[240:241]
	v_xor_b32_e32 v156, 0x80000000, v241
	v_xor_b32_e32 v158, 0x80000000, v243
	v_cndmask_b32_e32 v157, v241, v156, vcc
	v_cmp_gt_f64_e32 vcc, 0, v[242:243]
	v_mov_b32_e32 v156, v240
	s_waitcnt lgkmcnt(0)
	v_xor_b32_e32 v216, 0x80000000, v167
	v_cndmask_b32_e32 v159, v243, v158, vcc
	v_mov_b32_e32 v158, v242
	v_add_f64 v[156:157], v[156:157], v[158:159]
	v_cmp_gt_f64_e32 vcc, 0, v[164:165]
	v_xor_b32_e32 v158, 0x80000000, v165
	v_add_u32_e32 v246, 16, v246
	v_cndmask_b32_e32 v159, v165, v158, vcc
	v_cmp_gt_f64_e32 vcc, 0, v[166:167]
	v_mov_b32_e32 v158, v164
	s_nop 0
	v_cndmask_b32_e32 v217, v167, v216, vcc
	v_mov_b32_e32 v216, v166
	v_add_f64 v[158:159], v[158:159], v[216:217]
	v_cmp_lt_f64_e32 vcc, v[156:157], v[158:159]
	v_mov_b32_e32 v156, s0
	s_add_i32 s0, s0, 1
	v_cndmask_b32_e32 v241, v241, v165, vcc
	v_cndmask_b32_e32 v240, v240, v164, vcc
	;; [unrolled: 1-line block ×5, first 2 shown]
	s_cmp_lg_u32 s20, s0
	s_cbranch_scc1 .LBB118_715
.LBB118_716:
	s_waitcnt lgkmcnt(0)
	v_cmp_eq_f64_e32 vcc, 0, v[240:241]
	v_cmp_eq_f64_e64 s[0:1], 0, v[242:243]
	s_and_b64 s[0:1], vcc, s[0:1]
	s_and_saveexec_b64 s[16:17], s[0:1]
	s_xor_b64 s[0:1], exec, s[16:17]
; %bb.717:
	v_cmp_ne_u32_e32 vcc, 0, v254
	s_nop 1
	v_cndmask_b32_e32 v254, 35, v254, vcc
; %bb.718:
	s_andn2_saveexec_b64 s[0:1], s[0:1]
	s_cbranch_execz .LBB118_724
; %bb.719:
	v_cmp_ngt_f64_e64 s[16:17], |v[240:241]|, |v[242:243]|
	s_and_saveexec_b64 s[18:19], s[16:17]
	s_xor_b64 s[16:17], exec, s[18:19]
	s_cbranch_execz .LBB118_721
; %bb.720:
	v_div_scale_f64 v[156:157], s[18:19], v[242:243], v[242:243], v[240:241]
	v_rcp_f64_e32 v[158:159], v[156:157]
	v_div_scale_f64 v[164:165], vcc, v[240:241], v[242:243], v[240:241]
	v_fma_f64 v[166:167], -v[156:157], v[158:159], 1.0
	v_fmac_f64_e32 v[158:159], v[158:159], v[166:167]
	v_fma_f64 v[166:167], -v[156:157], v[158:159], 1.0
	v_fmac_f64_e32 v[158:159], v[158:159], v[166:167]
	v_mul_f64 v[166:167], v[164:165], v[158:159]
	v_fma_f64 v[156:157], -v[156:157], v[166:167], v[164:165]
	v_div_fmas_f64 v[156:157], v[156:157], v[158:159], v[166:167]
	v_div_fixup_f64 v[156:157], v[156:157], v[242:243], v[240:241]
	v_fmac_f64_e32 v[242:243], v[240:241], v[156:157]
	v_div_scale_f64 v[158:159], s[18:19], v[242:243], v[242:243], 1.0
	v_rcp_f64_e32 v[164:165], v[158:159]
	s_nop 0
	v_fma_f64 v[166:167], -v[158:159], v[164:165], 1.0
	v_fmac_f64_e32 v[164:165], v[164:165], v[166:167]
	v_fma_f64 v[166:167], -v[158:159], v[164:165], 1.0
	v_fmac_f64_e32 v[164:165], v[164:165], v[166:167]
	v_div_scale_f64 v[166:167], vcc, 1.0, v[242:243], 1.0
	v_mul_f64 v[216:217], v[166:167], v[164:165]
	v_fma_f64 v[158:159], -v[158:159], v[216:217], v[166:167]
	s_nop 1
	v_div_fmas_f64 v[158:159], v[158:159], v[164:165], v[216:217]
	v_div_fixup_f64 v[242:243], v[158:159], v[242:243], 1.0
	v_mul_f64 v[240:241], v[156:157], v[242:243]
	v_xor_b32_e32 v243, 0x80000000, v243
.LBB118_721:
	s_andn2_saveexec_b64 s[16:17], s[16:17]
	s_cbranch_execz .LBB118_723
; %bb.722:
	v_div_scale_f64 v[156:157], s[18:19], v[240:241], v[240:241], v[242:243]
	v_rcp_f64_e32 v[158:159], v[156:157]
	v_div_scale_f64 v[164:165], vcc, v[242:243], v[240:241], v[242:243]
	v_fma_f64 v[166:167], -v[156:157], v[158:159], 1.0
	v_fmac_f64_e32 v[158:159], v[158:159], v[166:167]
	v_fma_f64 v[166:167], -v[156:157], v[158:159], 1.0
	v_fmac_f64_e32 v[158:159], v[158:159], v[166:167]
	v_mul_f64 v[166:167], v[164:165], v[158:159]
	v_fma_f64 v[156:157], -v[156:157], v[166:167], v[164:165]
	v_div_fmas_f64 v[156:157], v[156:157], v[158:159], v[166:167]
	v_div_fixup_f64 v[156:157], v[156:157], v[240:241], v[242:243]
	v_fmac_f64_e32 v[240:241], v[242:243], v[156:157]
	v_div_scale_f64 v[158:159], s[18:19], v[240:241], v[240:241], 1.0
	v_rcp_f64_e32 v[164:165], v[158:159]
	s_nop 0
	v_fma_f64 v[166:167], -v[158:159], v[164:165], 1.0
	v_fmac_f64_e32 v[164:165], v[164:165], v[166:167]
	v_fma_f64 v[166:167], -v[158:159], v[164:165], 1.0
	v_fmac_f64_e32 v[164:165], v[164:165], v[166:167]
	v_div_scale_f64 v[166:167], vcc, 1.0, v[240:241], 1.0
	v_mul_f64 v[216:217], v[166:167], v[164:165]
	v_fma_f64 v[158:159], -v[158:159], v[216:217], v[166:167]
	s_nop 1
	v_div_fmas_f64 v[158:159], v[158:159], v[164:165], v[216:217]
	v_div_fixup_f64 v[240:241], v[158:159], v[240:241], 1.0
	v_mul_f64 v[242:243], v[156:157], -v[240:241]
.LBB118_723:
	s_or_b64 exec, exec, s[16:17]
.LBB118_724:
	s_or_b64 exec, exec, s[0:1]
	v_cmp_ne_u32_e32 vcc, v253, v250
	s_and_saveexec_b64 s[0:1], vcc
	s_xor_b64 s[0:1], exec, s[0:1]
	s_cbranch_execz .LBB118_730
; %bb.725:
	v_cmp_eq_u32_e32 vcc, 34, v253
	s_and_saveexec_b64 s[16:17], vcc
	s_cbranch_execz .LBB118_729
; %bb.726:
	v_cmp_ne_u32_e32 vcc, 34, v250
	s_xor_b64 s[18:19], s[14:15], -1
	s_and_b64 s[22:23], s[18:19], vcc
	s_and_saveexec_b64 s[18:19], s[22:23]
	s_cbranch_execz .LBB118_728
; %bb.727:
	v_ashrrev_i32_e32 v251, 31, v250
	v_lshl_add_u64 v[156:157], v[250:251], 2, v[234:235]
	global_load_dword v158, v[156:157], off
	global_load_dword v159, v[234:235], off offset:136
	s_waitcnt vmcnt(1)
	global_store_dword v[234:235], v158, off offset:136
	s_waitcnt vmcnt(1)
	global_store_dword v[156:157], v159, off
.LBB118_728:
	s_or_b64 exec, exec, s[18:19]
	v_mov_b32_e32 v253, v250
	v_mov_b32_e32 v244, v250
.LBB118_729:
	s_or_b64 exec, exec, s[16:17]
.LBB118_730:
	s_andn2_saveexec_b64 s[0:1], s[0:1]
	s_cbranch_execz .LBB118_732
; %bb.731:
	v_mov_b32_e32 v253, 34
	ds_write2_b64 v252, v[92:93], v[94:95] offset0:70 offset1:71
	ds_write2_b64 v252, v[88:89], v[90:91] offset0:72 offset1:73
	;; [unrolled: 1-line block ×25, first 2 shown]
.LBB118_732:
	s_or_b64 exec, exec, s[0:1]
	v_cmp_lt_i32_e32 vcc, 34, v253
	s_waitcnt lgkmcnt(0)
	s_barrier
	s_and_saveexec_b64 s[0:1], vcc
	s_cbranch_execz .LBB118_734
; %bb.733:
	ds_read2_b64 v[164:167], v252 offset0:70 offset1:71
	v_mul_f64 v[156:157], v[242:243], v[98:99]
	v_mul_f64 v[98:99], v[240:241], v[98:99]
	v_fmac_f64_e32 v[98:99], v[242:243], v[96:97]
	v_fma_f64 v[250:251], v[240:241], v[96:97], -v[156:157]
	s_waitcnt lgkmcnt(0)
	v_mul_f64 v[96:97], v[166:167], v[98:99]
	v_mul_f64 v[156:157], v[164:165], v[98:99]
	v_fma_f64 v[96:97], v[164:165], v[250:251], -v[96:97]
	v_fmac_f64_e32 v[156:157], v[166:167], v[250:251]
	ds_read2_b64 v[164:167], v252 offset0:72 offset1:73
	v_add_f64 v[92:93], v[92:93], -v[96:97]
	v_add_f64 v[94:95], v[94:95], -v[156:157]
	s_waitcnt lgkmcnt(0)
	v_mul_f64 v[96:97], v[166:167], v[98:99]
	v_mul_f64 v[156:157], v[164:165], v[98:99]
	v_fma_f64 v[96:97], v[164:165], v[250:251], -v[96:97]
	v_fmac_f64_e32 v[156:157], v[166:167], v[250:251]
	ds_read2_b64 v[164:167], v252 offset0:74 offset1:75
	v_add_f64 v[88:89], v[88:89], -v[96:97]
	v_add_f64 v[90:91], v[90:91], -v[156:157]
	;; [unrolled: 8-line block ×24, first 2 shown]
	s_waitcnt lgkmcnt(0)
	v_mul_f64 v[96:97], v[166:167], v[98:99]
	v_mul_f64 v[156:157], v[164:165], v[98:99]
	v_fma_f64 v[96:97], v[164:165], v[250:251], -v[96:97]
	v_fmac_f64_e32 v[156:157], v[166:167], v[250:251]
	v_add_f64 v[236:237], v[236:237], -v[96:97]
	v_add_f64 v[238:239], v[238:239], -v[156:157]
	v_mov_b64_e32 v[96:97], v[250:251]
.LBB118_734:
	s_or_b64 exec, exec, s[0:1]
	v_lshl_add_u32 v156, v253, 4, v252
	s_barrier
	ds_write2_b64 v156, v[92:93], v[94:95] offset1:1
	s_waitcnt lgkmcnt(0)
	s_barrier
	ds_read2_b64 v[240:243], v252 offset0:70 offset1:71
	s_cmp_lt_i32 s20, 37
	v_mov_b32_e32 v250, 35
	s_cbranch_scc1 .LBB118_737
; %bb.735:
	v_add_u32_e32 v246, 0x240, v252
	s_mov_b32 s0, 36
	v_mov_b32_e32 v250, 35
.LBB118_736:                            ; =>This Inner Loop Header: Depth=1
	ds_read2_b64 v[164:167], v246 offset1:1
	s_waitcnt lgkmcnt(1)
	v_cmp_gt_f64_e32 vcc, 0, v[240:241]
	v_xor_b32_e32 v156, 0x80000000, v241
	v_xor_b32_e32 v158, 0x80000000, v243
	v_cndmask_b32_e32 v157, v241, v156, vcc
	v_cmp_gt_f64_e32 vcc, 0, v[242:243]
	v_mov_b32_e32 v156, v240
	s_waitcnt lgkmcnt(0)
	v_xor_b32_e32 v216, 0x80000000, v167
	v_cndmask_b32_e32 v159, v243, v158, vcc
	v_mov_b32_e32 v158, v242
	v_add_f64 v[156:157], v[156:157], v[158:159]
	v_cmp_gt_f64_e32 vcc, 0, v[164:165]
	v_xor_b32_e32 v158, 0x80000000, v165
	v_add_u32_e32 v246, 16, v246
	v_cndmask_b32_e32 v159, v165, v158, vcc
	v_cmp_gt_f64_e32 vcc, 0, v[166:167]
	v_mov_b32_e32 v158, v164
	s_nop 0
	v_cndmask_b32_e32 v217, v167, v216, vcc
	v_mov_b32_e32 v216, v166
	v_add_f64 v[158:159], v[158:159], v[216:217]
	v_cmp_lt_f64_e32 vcc, v[156:157], v[158:159]
	v_mov_b32_e32 v156, s0
	s_add_i32 s0, s0, 1
	v_cndmask_b32_e32 v241, v241, v165, vcc
	v_cndmask_b32_e32 v240, v240, v164, vcc
	;; [unrolled: 1-line block ×5, first 2 shown]
	s_cmp_lg_u32 s20, s0
	s_cbranch_scc1 .LBB118_736
.LBB118_737:
	s_waitcnt lgkmcnt(0)
	v_cmp_eq_f64_e32 vcc, 0, v[240:241]
	v_cmp_eq_f64_e64 s[0:1], 0, v[242:243]
	s_and_b64 s[0:1], vcc, s[0:1]
	s_and_saveexec_b64 s[16:17], s[0:1]
	s_xor_b64 s[0:1], exec, s[16:17]
; %bb.738:
	v_cmp_ne_u32_e32 vcc, 0, v254
	s_nop 1
	v_cndmask_b32_e32 v254, 36, v254, vcc
; %bb.739:
	s_andn2_saveexec_b64 s[0:1], s[0:1]
	s_cbranch_execz .LBB118_745
; %bb.740:
	v_cmp_ngt_f64_e64 s[16:17], |v[240:241]|, |v[242:243]|
	s_and_saveexec_b64 s[18:19], s[16:17]
	s_xor_b64 s[16:17], exec, s[18:19]
	s_cbranch_execz .LBB118_742
; %bb.741:
	v_div_scale_f64 v[156:157], s[18:19], v[242:243], v[242:243], v[240:241]
	v_rcp_f64_e32 v[158:159], v[156:157]
	v_div_scale_f64 v[164:165], vcc, v[240:241], v[242:243], v[240:241]
	v_fma_f64 v[166:167], -v[156:157], v[158:159], 1.0
	v_fmac_f64_e32 v[158:159], v[158:159], v[166:167]
	v_fma_f64 v[166:167], -v[156:157], v[158:159], 1.0
	v_fmac_f64_e32 v[158:159], v[158:159], v[166:167]
	v_mul_f64 v[166:167], v[164:165], v[158:159]
	v_fma_f64 v[156:157], -v[156:157], v[166:167], v[164:165]
	v_div_fmas_f64 v[156:157], v[156:157], v[158:159], v[166:167]
	v_div_fixup_f64 v[156:157], v[156:157], v[242:243], v[240:241]
	v_fmac_f64_e32 v[242:243], v[240:241], v[156:157]
	v_div_scale_f64 v[158:159], s[18:19], v[242:243], v[242:243], 1.0
	v_rcp_f64_e32 v[164:165], v[158:159]
	s_nop 0
	v_fma_f64 v[166:167], -v[158:159], v[164:165], 1.0
	v_fmac_f64_e32 v[164:165], v[164:165], v[166:167]
	v_fma_f64 v[166:167], -v[158:159], v[164:165], 1.0
	v_fmac_f64_e32 v[164:165], v[164:165], v[166:167]
	v_div_scale_f64 v[166:167], vcc, 1.0, v[242:243], 1.0
	v_mul_f64 v[216:217], v[166:167], v[164:165]
	v_fma_f64 v[158:159], -v[158:159], v[216:217], v[166:167]
	s_nop 1
	v_div_fmas_f64 v[158:159], v[158:159], v[164:165], v[216:217]
	v_div_fixup_f64 v[242:243], v[158:159], v[242:243], 1.0
	v_mul_f64 v[240:241], v[156:157], v[242:243]
	v_xor_b32_e32 v243, 0x80000000, v243
.LBB118_742:
	s_andn2_saveexec_b64 s[16:17], s[16:17]
	s_cbranch_execz .LBB118_744
; %bb.743:
	v_div_scale_f64 v[156:157], s[18:19], v[240:241], v[240:241], v[242:243]
	v_rcp_f64_e32 v[158:159], v[156:157]
	v_div_scale_f64 v[164:165], vcc, v[242:243], v[240:241], v[242:243]
	v_fma_f64 v[166:167], -v[156:157], v[158:159], 1.0
	v_fmac_f64_e32 v[158:159], v[158:159], v[166:167]
	v_fma_f64 v[166:167], -v[156:157], v[158:159], 1.0
	v_fmac_f64_e32 v[158:159], v[158:159], v[166:167]
	v_mul_f64 v[166:167], v[164:165], v[158:159]
	v_fma_f64 v[156:157], -v[156:157], v[166:167], v[164:165]
	v_div_fmas_f64 v[156:157], v[156:157], v[158:159], v[166:167]
	v_div_fixup_f64 v[156:157], v[156:157], v[240:241], v[242:243]
	v_fmac_f64_e32 v[240:241], v[242:243], v[156:157]
	v_div_scale_f64 v[158:159], s[18:19], v[240:241], v[240:241], 1.0
	v_rcp_f64_e32 v[164:165], v[158:159]
	s_nop 0
	v_fma_f64 v[166:167], -v[158:159], v[164:165], 1.0
	v_fmac_f64_e32 v[164:165], v[164:165], v[166:167]
	v_fma_f64 v[166:167], -v[158:159], v[164:165], 1.0
	v_fmac_f64_e32 v[164:165], v[164:165], v[166:167]
	v_div_scale_f64 v[166:167], vcc, 1.0, v[240:241], 1.0
	v_mul_f64 v[216:217], v[166:167], v[164:165]
	v_fma_f64 v[158:159], -v[158:159], v[216:217], v[166:167]
	s_nop 1
	v_div_fmas_f64 v[158:159], v[158:159], v[164:165], v[216:217]
	v_div_fixup_f64 v[240:241], v[158:159], v[240:241], 1.0
	v_mul_f64 v[242:243], v[156:157], -v[240:241]
.LBB118_744:
	s_or_b64 exec, exec, s[16:17]
.LBB118_745:
	s_or_b64 exec, exec, s[0:1]
	v_cmp_ne_u32_e32 vcc, v253, v250
	s_and_saveexec_b64 s[0:1], vcc
	s_xor_b64 s[0:1], exec, s[0:1]
	s_cbranch_execz .LBB118_751
; %bb.746:
	v_cmp_eq_u32_e32 vcc, 35, v253
	s_and_saveexec_b64 s[16:17], vcc
	s_cbranch_execz .LBB118_750
; %bb.747:
	v_cmp_ne_u32_e32 vcc, 35, v250
	s_xor_b64 s[18:19], s[14:15], -1
	s_and_b64 s[22:23], s[18:19], vcc
	s_and_saveexec_b64 s[18:19], s[22:23]
	s_cbranch_execz .LBB118_749
; %bb.748:
	v_ashrrev_i32_e32 v251, 31, v250
	v_lshl_add_u64 v[156:157], v[250:251], 2, v[234:235]
	global_load_dword v158, v[156:157], off
	global_load_dword v159, v[234:235], off offset:140
	s_waitcnt vmcnt(1)
	global_store_dword v[234:235], v158, off offset:140
	s_waitcnt vmcnt(1)
	global_store_dword v[156:157], v159, off
.LBB118_749:
	s_or_b64 exec, exec, s[18:19]
	v_mov_b32_e32 v253, v250
	v_mov_b32_e32 v244, v250
.LBB118_750:
	s_or_b64 exec, exec, s[16:17]
.LBB118_751:
	s_andn2_saveexec_b64 s[0:1], s[0:1]
	s_cbranch_execz .LBB118_753
; %bb.752:
	v_mov_b32_e32 v253, 35
	ds_write2_b64 v252, v[88:89], v[90:91] offset0:72 offset1:73
	ds_write2_b64 v252, v[84:85], v[86:87] offset0:74 offset1:75
	;; [unrolled: 1-line block ×24, first 2 shown]
.LBB118_753:
	s_or_b64 exec, exec, s[0:1]
	v_cmp_lt_i32_e32 vcc, 35, v253
	s_waitcnt lgkmcnt(0)
	s_barrier
	s_and_saveexec_b64 s[0:1], vcc
	s_cbranch_execz .LBB118_755
; %bb.754:
	ds_read2_b64 v[164:167], v252 offset0:72 offset1:73
	v_mul_f64 v[156:157], v[242:243], v[94:95]
	v_mul_f64 v[94:95], v[240:241], v[94:95]
	v_fmac_f64_e32 v[94:95], v[242:243], v[92:93]
	v_fma_f64 v[250:251], v[240:241], v[92:93], -v[156:157]
	s_waitcnt lgkmcnt(0)
	v_mul_f64 v[92:93], v[166:167], v[94:95]
	v_mul_f64 v[156:157], v[164:165], v[94:95]
	v_fma_f64 v[92:93], v[164:165], v[250:251], -v[92:93]
	v_fmac_f64_e32 v[156:157], v[166:167], v[250:251]
	ds_read2_b64 v[164:167], v252 offset0:74 offset1:75
	v_add_f64 v[88:89], v[88:89], -v[92:93]
	v_add_f64 v[90:91], v[90:91], -v[156:157]
	s_waitcnt lgkmcnt(0)
	v_mul_f64 v[92:93], v[166:167], v[94:95]
	v_mul_f64 v[156:157], v[164:165], v[94:95]
	v_fma_f64 v[92:93], v[164:165], v[250:251], -v[92:93]
	v_fmac_f64_e32 v[156:157], v[166:167], v[250:251]
	ds_read2_b64 v[164:167], v252 offset0:76 offset1:77
	v_add_f64 v[84:85], v[84:85], -v[92:93]
	v_add_f64 v[86:87], v[86:87], -v[156:157]
	;; [unrolled: 8-line block ×23, first 2 shown]
	s_waitcnt lgkmcnt(0)
	v_mul_f64 v[92:93], v[166:167], v[94:95]
	v_mul_f64 v[156:157], v[164:165], v[94:95]
	v_fma_f64 v[92:93], v[164:165], v[250:251], -v[92:93]
	v_fmac_f64_e32 v[156:157], v[166:167], v[250:251]
	v_add_f64 v[236:237], v[236:237], -v[92:93]
	v_add_f64 v[238:239], v[238:239], -v[156:157]
	v_mov_b64_e32 v[92:93], v[250:251]
.LBB118_755:
	s_or_b64 exec, exec, s[0:1]
	v_lshl_add_u32 v156, v253, 4, v252
	s_barrier
	ds_write2_b64 v156, v[88:89], v[90:91] offset1:1
	s_waitcnt lgkmcnt(0)
	s_barrier
	ds_read2_b64 v[240:243], v252 offset0:72 offset1:73
	s_cmp_lt_i32 s20, 38
	v_mov_b32_e32 v250, 36
	s_cbranch_scc1 .LBB118_758
; %bb.756:
	v_add_u32_e32 v246, 0x250, v252
	s_mov_b32 s0, 37
	v_mov_b32_e32 v250, 36
.LBB118_757:                            ; =>This Inner Loop Header: Depth=1
	ds_read2_b64 v[164:167], v246 offset1:1
	s_waitcnt lgkmcnt(1)
	v_cmp_gt_f64_e32 vcc, 0, v[240:241]
	v_xor_b32_e32 v156, 0x80000000, v241
	v_xor_b32_e32 v158, 0x80000000, v243
	v_cndmask_b32_e32 v157, v241, v156, vcc
	v_cmp_gt_f64_e32 vcc, 0, v[242:243]
	v_mov_b32_e32 v156, v240
	s_waitcnt lgkmcnt(0)
	v_xor_b32_e32 v216, 0x80000000, v167
	v_cndmask_b32_e32 v159, v243, v158, vcc
	v_mov_b32_e32 v158, v242
	v_add_f64 v[156:157], v[156:157], v[158:159]
	v_cmp_gt_f64_e32 vcc, 0, v[164:165]
	v_xor_b32_e32 v158, 0x80000000, v165
	v_add_u32_e32 v246, 16, v246
	v_cndmask_b32_e32 v159, v165, v158, vcc
	v_cmp_gt_f64_e32 vcc, 0, v[166:167]
	v_mov_b32_e32 v158, v164
	s_nop 0
	v_cndmask_b32_e32 v217, v167, v216, vcc
	v_mov_b32_e32 v216, v166
	v_add_f64 v[158:159], v[158:159], v[216:217]
	v_cmp_lt_f64_e32 vcc, v[156:157], v[158:159]
	v_mov_b32_e32 v156, s0
	s_add_i32 s0, s0, 1
	v_cndmask_b32_e32 v241, v241, v165, vcc
	v_cndmask_b32_e32 v240, v240, v164, vcc
	;; [unrolled: 1-line block ×5, first 2 shown]
	s_cmp_lg_u32 s20, s0
	s_cbranch_scc1 .LBB118_757
.LBB118_758:
	s_waitcnt lgkmcnt(0)
	v_cmp_eq_f64_e32 vcc, 0, v[240:241]
	v_cmp_eq_f64_e64 s[0:1], 0, v[242:243]
	s_and_b64 s[0:1], vcc, s[0:1]
	s_and_saveexec_b64 s[16:17], s[0:1]
	s_xor_b64 s[0:1], exec, s[16:17]
; %bb.759:
	v_cmp_ne_u32_e32 vcc, 0, v254
	s_nop 1
	v_cndmask_b32_e32 v254, 37, v254, vcc
; %bb.760:
	s_andn2_saveexec_b64 s[0:1], s[0:1]
	s_cbranch_execz .LBB118_766
; %bb.761:
	v_cmp_ngt_f64_e64 s[16:17], |v[240:241]|, |v[242:243]|
	s_and_saveexec_b64 s[18:19], s[16:17]
	s_xor_b64 s[16:17], exec, s[18:19]
	s_cbranch_execz .LBB118_763
; %bb.762:
	v_div_scale_f64 v[156:157], s[18:19], v[242:243], v[242:243], v[240:241]
	v_rcp_f64_e32 v[158:159], v[156:157]
	v_div_scale_f64 v[164:165], vcc, v[240:241], v[242:243], v[240:241]
	v_fma_f64 v[166:167], -v[156:157], v[158:159], 1.0
	v_fmac_f64_e32 v[158:159], v[158:159], v[166:167]
	v_fma_f64 v[166:167], -v[156:157], v[158:159], 1.0
	v_fmac_f64_e32 v[158:159], v[158:159], v[166:167]
	v_mul_f64 v[166:167], v[164:165], v[158:159]
	v_fma_f64 v[156:157], -v[156:157], v[166:167], v[164:165]
	v_div_fmas_f64 v[156:157], v[156:157], v[158:159], v[166:167]
	v_div_fixup_f64 v[156:157], v[156:157], v[242:243], v[240:241]
	v_fmac_f64_e32 v[242:243], v[240:241], v[156:157]
	v_div_scale_f64 v[158:159], s[18:19], v[242:243], v[242:243], 1.0
	v_rcp_f64_e32 v[164:165], v[158:159]
	s_nop 0
	v_fma_f64 v[166:167], -v[158:159], v[164:165], 1.0
	v_fmac_f64_e32 v[164:165], v[164:165], v[166:167]
	v_fma_f64 v[166:167], -v[158:159], v[164:165], 1.0
	v_fmac_f64_e32 v[164:165], v[164:165], v[166:167]
	v_div_scale_f64 v[166:167], vcc, 1.0, v[242:243], 1.0
	v_mul_f64 v[216:217], v[166:167], v[164:165]
	v_fma_f64 v[158:159], -v[158:159], v[216:217], v[166:167]
	s_nop 1
	v_div_fmas_f64 v[158:159], v[158:159], v[164:165], v[216:217]
	v_div_fixup_f64 v[242:243], v[158:159], v[242:243], 1.0
	v_mul_f64 v[240:241], v[156:157], v[242:243]
	v_xor_b32_e32 v243, 0x80000000, v243
.LBB118_763:
	s_andn2_saveexec_b64 s[16:17], s[16:17]
	s_cbranch_execz .LBB118_765
; %bb.764:
	v_div_scale_f64 v[156:157], s[18:19], v[240:241], v[240:241], v[242:243]
	v_rcp_f64_e32 v[158:159], v[156:157]
	v_div_scale_f64 v[164:165], vcc, v[242:243], v[240:241], v[242:243]
	v_fma_f64 v[166:167], -v[156:157], v[158:159], 1.0
	v_fmac_f64_e32 v[158:159], v[158:159], v[166:167]
	v_fma_f64 v[166:167], -v[156:157], v[158:159], 1.0
	v_fmac_f64_e32 v[158:159], v[158:159], v[166:167]
	v_mul_f64 v[166:167], v[164:165], v[158:159]
	v_fma_f64 v[156:157], -v[156:157], v[166:167], v[164:165]
	v_div_fmas_f64 v[156:157], v[156:157], v[158:159], v[166:167]
	v_div_fixup_f64 v[156:157], v[156:157], v[240:241], v[242:243]
	v_fmac_f64_e32 v[240:241], v[242:243], v[156:157]
	v_div_scale_f64 v[158:159], s[18:19], v[240:241], v[240:241], 1.0
	v_rcp_f64_e32 v[164:165], v[158:159]
	s_nop 0
	v_fma_f64 v[166:167], -v[158:159], v[164:165], 1.0
	v_fmac_f64_e32 v[164:165], v[164:165], v[166:167]
	v_fma_f64 v[166:167], -v[158:159], v[164:165], 1.0
	v_fmac_f64_e32 v[164:165], v[164:165], v[166:167]
	v_div_scale_f64 v[166:167], vcc, 1.0, v[240:241], 1.0
	v_mul_f64 v[216:217], v[166:167], v[164:165]
	v_fma_f64 v[158:159], -v[158:159], v[216:217], v[166:167]
	s_nop 1
	v_div_fmas_f64 v[158:159], v[158:159], v[164:165], v[216:217]
	v_div_fixup_f64 v[240:241], v[158:159], v[240:241], 1.0
	v_mul_f64 v[242:243], v[156:157], -v[240:241]
.LBB118_765:
	s_or_b64 exec, exec, s[16:17]
.LBB118_766:
	s_or_b64 exec, exec, s[0:1]
	v_cmp_ne_u32_e32 vcc, v253, v250
	s_and_saveexec_b64 s[0:1], vcc
	s_xor_b64 s[0:1], exec, s[0:1]
	s_cbranch_execz .LBB118_772
; %bb.767:
	v_cmp_eq_u32_e32 vcc, 36, v253
	s_and_saveexec_b64 s[16:17], vcc
	s_cbranch_execz .LBB118_771
; %bb.768:
	v_cmp_ne_u32_e32 vcc, 36, v250
	s_xor_b64 s[18:19], s[14:15], -1
	s_and_b64 s[22:23], s[18:19], vcc
	s_and_saveexec_b64 s[18:19], s[22:23]
	s_cbranch_execz .LBB118_770
; %bb.769:
	v_ashrrev_i32_e32 v251, 31, v250
	v_lshl_add_u64 v[156:157], v[250:251], 2, v[234:235]
	global_load_dword v158, v[156:157], off
	global_load_dword v159, v[234:235], off offset:144
	s_waitcnt vmcnt(1)
	global_store_dword v[234:235], v158, off offset:144
	s_waitcnt vmcnt(1)
	global_store_dword v[156:157], v159, off
.LBB118_770:
	s_or_b64 exec, exec, s[18:19]
	v_mov_b32_e32 v253, v250
	v_mov_b32_e32 v244, v250
.LBB118_771:
	s_or_b64 exec, exec, s[16:17]
.LBB118_772:
	s_andn2_saveexec_b64 s[0:1], s[0:1]
	s_cbranch_execz .LBB118_774
; %bb.773:
	v_mov_b32_e32 v253, 36
	ds_write2_b64 v252, v[84:85], v[86:87] offset0:74 offset1:75
	ds_write2_b64 v252, v[80:81], v[82:83] offset0:76 offset1:77
	;; [unrolled: 1-line block ×23, first 2 shown]
.LBB118_774:
	s_or_b64 exec, exec, s[0:1]
	v_cmp_lt_i32_e32 vcc, 36, v253
	s_waitcnt lgkmcnt(0)
	s_barrier
	s_and_saveexec_b64 s[0:1], vcc
	s_cbranch_execz .LBB118_776
; %bb.775:
	ds_read2_b64 v[164:167], v252 offset0:74 offset1:75
	v_mul_f64 v[156:157], v[242:243], v[90:91]
	v_mul_f64 v[90:91], v[240:241], v[90:91]
	v_fmac_f64_e32 v[90:91], v[242:243], v[88:89]
	v_fma_f64 v[250:251], v[240:241], v[88:89], -v[156:157]
	s_waitcnt lgkmcnt(0)
	v_mul_f64 v[88:89], v[166:167], v[90:91]
	v_mul_f64 v[156:157], v[164:165], v[90:91]
	v_fma_f64 v[88:89], v[164:165], v[250:251], -v[88:89]
	v_fmac_f64_e32 v[156:157], v[166:167], v[250:251]
	ds_read2_b64 v[164:167], v252 offset0:76 offset1:77
	v_add_f64 v[84:85], v[84:85], -v[88:89]
	v_add_f64 v[86:87], v[86:87], -v[156:157]
	s_waitcnt lgkmcnt(0)
	v_mul_f64 v[88:89], v[166:167], v[90:91]
	v_mul_f64 v[156:157], v[164:165], v[90:91]
	v_fma_f64 v[88:89], v[164:165], v[250:251], -v[88:89]
	v_fmac_f64_e32 v[156:157], v[166:167], v[250:251]
	ds_read2_b64 v[164:167], v252 offset0:78 offset1:79
	v_add_f64 v[80:81], v[80:81], -v[88:89]
	v_add_f64 v[82:83], v[82:83], -v[156:157]
	;; [unrolled: 8-line block ×22, first 2 shown]
	s_waitcnt lgkmcnt(0)
	v_mul_f64 v[88:89], v[166:167], v[90:91]
	v_mul_f64 v[156:157], v[164:165], v[90:91]
	v_fma_f64 v[88:89], v[164:165], v[250:251], -v[88:89]
	v_fmac_f64_e32 v[156:157], v[166:167], v[250:251]
	v_add_f64 v[236:237], v[236:237], -v[88:89]
	v_add_f64 v[238:239], v[238:239], -v[156:157]
	v_mov_b64_e32 v[88:89], v[250:251]
.LBB118_776:
	s_or_b64 exec, exec, s[0:1]
	v_lshl_add_u32 v156, v253, 4, v252
	s_barrier
	ds_write2_b64 v156, v[84:85], v[86:87] offset1:1
	s_waitcnt lgkmcnt(0)
	s_barrier
	ds_read2_b64 v[240:243], v252 offset0:74 offset1:75
	s_cmp_lt_i32 s20, 39
	v_mov_b32_e32 v250, 37
	s_cbranch_scc1 .LBB118_779
; %bb.777:
	v_add_u32_e32 v246, 0x260, v252
	s_mov_b32 s0, 38
	v_mov_b32_e32 v250, 37
.LBB118_778:                            ; =>This Inner Loop Header: Depth=1
	ds_read2_b64 v[164:167], v246 offset1:1
	s_waitcnt lgkmcnt(1)
	v_cmp_gt_f64_e32 vcc, 0, v[240:241]
	v_xor_b32_e32 v156, 0x80000000, v241
	v_xor_b32_e32 v158, 0x80000000, v243
	v_cndmask_b32_e32 v157, v241, v156, vcc
	v_cmp_gt_f64_e32 vcc, 0, v[242:243]
	v_mov_b32_e32 v156, v240
	s_waitcnt lgkmcnt(0)
	v_xor_b32_e32 v216, 0x80000000, v167
	v_cndmask_b32_e32 v159, v243, v158, vcc
	v_mov_b32_e32 v158, v242
	v_add_f64 v[156:157], v[156:157], v[158:159]
	v_cmp_gt_f64_e32 vcc, 0, v[164:165]
	v_xor_b32_e32 v158, 0x80000000, v165
	v_add_u32_e32 v246, 16, v246
	v_cndmask_b32_e32 v159, v165, v158, vcc
	v_cmp_gt_f64_e32 vcc, 0, v[166:167]
	v_mov_b32_e32 v158, v164
	s_nop 0
	v_cndmask_b32_e32 v217, v167, v216, vcc
	v_mov_b32_e32 v216, v166
	v_add_f64 v[158:159], v[158:159], v[216:217]
	v_cmp_lt_f64_e32 vcc, v[156:157], v[158:159]
	v_mov_b32_e32 v156, s0
	s_add_i32 s0, s0, 1
	v_cndmask_b32_e32 v241, v241, v165, vcc
	v_cndmask_b32_e32 v240, v240, v164, vcc
	;; [unrolled: 1-line block ×5, first 2 shown]
	s_cmp_lg_u32 s20, s0
	s_cbranch_scc1 .LBB118_778
.LBB118_779:
	s_waitcnt lgkmcnt(0)
	v_cmp_eq_f64_e32 vcc, 0, v[240:241]
	v_cmp_eq_f64_e64 s[0:1], 0, v[242:243]
	s_and_b64 s[0:1], vcc, s[0:1]
	s_and_saveexec_b64 s[16:17], s[0:1]
	s_xor_b64 s[0:1], exec, s[16:17]
; %bb.780:
	v_cmp_ne_u32_e32 vcc, 0, v254
	s_nop 1
	v_cndmask_b32_e32 v254, 38, v254, vcc
; %bb.781:
	s_andn2_saveexec_b64 s[0:1], s[0:1]
	s_cbranch_execz .LBB118_787
; %bb.782:
	v_cmp_ngt_f64_e64 s[16:17], |v[240:241]|, |v[242:243]|
	s_and_saveexec_b64 s[18:19], s[16:17]
	s_xor_b64 s[16:17], exec, s[18:19]
	s_cbranch_execz .LBB118_784
; %bb.783:
	v_div_scale_f64 v[156:157], s[18:19], v[242:243], v[242:243], v[240:241]
	v_rcp_f64_e32 v[158:159], v[156:157]
	v_div_scale_f64 v[164:165], vcc, v[240:241], v[242:243], v[240:241]
	v_fma_f64 v[166:167], -v[156:157], v[158:159], 1.0
	v_fmac_f64_e32 v[158:159], v[158:159], v[166:167]
	v_fma_f64 v[166:167], -v[156:157], v[158:159], 1.0
	v_fmac_f64_e32 v[158:159], v[158:159], v[166:167]
	v_mul_f64 v[166:167], v[164:165], v[158:159]
	v_fma_f64 v[156:157], -v[156:157], v[166:167], v[164:165]
	v_div_fmas_f64 v[156:157], v[156:157], v[158:159], v[166:167]
	v_div_fixup_f64 v[156:157], v[156:157], v[242:243], v[240:241]
	v_fmac_f64_e32 v[242:243], v[240:241], v[156:157]
	v_div_scale_f64 v[158:159], s[18:19], v[242:243], v[242:243], 1.0
	v_rcp_f64_e32 v[164:165], v[158:159]
	s_nop 0
	v_fma_f64 v[166:167], -v[158:159], v[164:165], 1.0
	v_fmac_f64_e32 v[164:165], v[164:165], v[166:167]
	v_fma_f64 v[166:167], -v[158:159], v[164:165], 1.0
	v_fmac_f64_e32 v[164:165], v[164:165], v[166:167]
	v_div_scale_f64 v[166:167], vcc, 1.0, v[242:243], 1.0
	v_mul_f64 v[216:217], v[166:167], v[164:165]
	v_fma_f64 v[158:159], -v[158:159], v[216:217], v[166:167]
	s_nop 1
	v_div_fmas_f64 v[158:159], v[158:159], v[164:165], v[216:217]
	v_div_fixup_f64 v[242:243], v[158:159], v[242:243], 1.0
	v_mul_f64 v[240:241], v[156:157], v[242:243]
	v_xor_b32_e32 v243, 0x80000000, v243
.LBB118_784:
	s_andn2_saveexec_b64 s[16:17], s[16:17]
	s_cbranch_execz .LBB118_786
; %bb.785:
	v_div_scale_f64 v[156:157], s[18:19], v[240:241], v[240:241], v[242:243]
	v_rcp_f64_e32 v[158:159], v[156:157]
	v_div_scale_f64 v[164:165], vcc, v[242:243], v[240:241], v[242:243]
	v_fma_f64 v[166:167], -v[156:157], v[158:159], 1.0
	v_fmac_f64_e32 v[158:159], v[158:159], v[166:167]
	v_fma_f64 v[166:167], -v[156:157], v[158:159], 1.0
	v_fmac_f64_e32 v[158:159], v[158:159], v[166:167]
	v_mul_f64 v[166:167], v[164:165], v[158:159]
	v_fma_f64 v[156:157], -v[156:157], v[166:167], v[164:165]
	v_div_fmas_f64 v[156:157], v[156:157], v[158:159], v[166:167]
	v_div_fixup_f64 v[156:157], v[156:157], v[240:241], v[242:243]
	v_fmac_f64_e32 v[240:241], v[242:243], v[156:157]
	v_div_scale_f64 v[158:159], s[18:19], v[240:241], v[240:241], 1.0
	v_rcp_f64_e32 v[164:165], v[158:159]
	s_nop 0
	v_fma_f64 v[166:167], -v[158:159], v[164:165], 1.0
	v_fmac_f64_e32 v[164:165], v[164:165], v[166:167]
	v_fma_f64 v[166:167], -v[158:159], v[164:165], 1.0
	v_fmac_f64_e32 v[164:165], v[164:165], v[166:167]
	v_div_scale_f64 v[166:167], vcc, 1.0, v[240:241], 1.0
	v_mul_f64 v[216:217], v[166:167], v[164:165]
	v_fma_f64 v[158:159], -v[158:159], v[216:217], v[166:167]
	s_nop 1
	v_div_fmas_f64 v[158:159], v[158:159], v[164:165], v[216:217]
	v_div_fixup_f64 v[240:241], v[158:159], v[240:241], 1.0
	v_mul_f64 v[242:243], v[156:157], -v[240:241]
.LBB118_786:
	s_or_b64 exec, exec, s[16:17]
.LBB118_787:
	s_or_b64 exec, exec, s[0:1]
	v_cmp_ne_u32_e32 vcc, v253, v250
	s_and_saveexec_b64 s[0:1], vcc
	s_xor_b64 s[0:1], exec, s[0:1]
	s_cbranch_execz .LBB118_793
; %bb.788:
	v_cmp_eq_u32_e32 vcc, 37, v253
	s_and_saveexec_b64 s[16:17], vcc
	s_cbranch_execz .LBB118_792
; %bb.789:
	v_cmp_ne_u32_e32 vcc, 37, v250
	s_xor_b64 s[18:19], s[14:15], -1
	s_and_b64 s[22:23], s[18:19], vcc
	s_and_saveexec_b64 s[18:19], s[22:23]
	s_cbranch_execz .LBB118_791
; %bb.790:
	v_ashrrev_i32_e32 v251, 31, v250
	v_lshl_add_u64 v[156:157], v[250:251], 2, v[234:235]
	global_load_dword v158, v[156:157], off
	global_load_dword v159, v[234:235], off offset:148
	s_waitcnt vmcnt(1)
	global_store_dword v[234:235], v158, off offset:148
	s_waitcnt vmcnt(1)
	global_store_dword v[156:157], v159, off
.LBB118_791:
	s_or_b64 exec, exec, s[18:19]
	v_mov_b32_e32 v253, v250
	v_mov_b32_e32 v244, v250
.LBB118_792:
	s_or_b64 exec, exec, s[16:17]
.LBB118_793:
	s_andn2_saveexec_b64 s[0:1], s[0:1]
	s_cbranch_execz .LBB118_795
; %bb.794:
	v_mov_b32_e32 v253, 37
	ds_write2_b64 v252, v[80:81], v[82:83] offset0:76 offset1:77
	ds_write2_b64 v252, v[76:77], v[78:79] offset0:78 offset1:79
	;; [unrolled: 1-line block ×22, first 2 shown]
.LBB118_795:
	s_or_b64 exec, exec, s[0:1]
	v_cmp_lt_i32_e32 vcc, 37, v253
	s_waitcnt lgkmcnt(0)
	s_barrier
	s_and_saveexec_b64 s[0:1], vcc
	s_cbranch_execz .LBB118_797
; %bb.796:
	ds_read2_b64 v[164:167], v252 offset0:76 offset1:77
	v_mul_f64 v[156:157], v[242:243], v[86:87]
	v_mul_f64 v[86:87], v[240:241], v[86:87]
	v_fmac_f64_e32 v[86:87], v[242:243], v[84:85]
	v_fma_f64 v[250:251], v[240:241], v[84:85], -v[156:157]
	s_waitcnt lgkmcnt(0)
	v_mul_f64 v[84:85], v[166:167], v[86:87]
	v_mul_f64 v[156:157], v[164:165], v[86:87]
	v_fma_f64 v[84:85], v[164:165], v[250:251], -v[84:85]
	v_fmac_f64_e32 v[156:157], v[166:167], v[250:251]
	ds_read2_b64 v[164:167], v252 offset0:78 offset1:79
	v_add_f64 v[80:81], v[80:81], -v[84:85]
	v_add_f64 v[82:83], v[82:83], -v[156:157]
	s_waitcnt lgkmcnt(0)
	v_mul_f64 v[84:85], v[166:167], v[86:87]
	v_mul_f64 v[156:157], v[164:165], v[86:87]
	v_fma_f64 v[84:85], v[164:165], v[250:251], -v[84:85]
	v_fmac_f64_e32 v[156:157], v[166:167], v[250:251]
	ds_read2_b64 v[164:167], v252 offset0:80 offset1:81
	v_add_f64 v[76:77], v[76:77], -v[84:85]
	v_add_f64 v[78:79], v[78:79], -v[156:157]
	;; [unrolled: 8-line block ×21, first 2 shown]
	s_waitcnt lgkmcnt(0)
	v_mul_f64 v[84:85], v[166:167], v[86:87]
	v_mul_f64 v[156:157], v[164:165], v[86:87]
	v_fma_f64 v[84:85], v[164:165], v[250:251], -v[84:85]
	v_fmac_f64_e32 v[156:157], v[166:167], v[250:251]
	v_add_f64 v[236:237], v[236:237], -v[84:85]
	v_add_f64 v[238:239], v[238:239], -v[156:157]
	v_mov_b64_e32 v[84:85], v[250:251]
.LBB118_797:
	s_or_b64 exec, exec, s[0:1]
	v_lshl_add_u32 v156, v253, 4, v252
	s_barrier
	ds_write2_b64 v156, v[80:81], v[82:83] offset1:1
	s_waitcnt lgkmcnt(0)
	s_barrier
	ds_read2_b64 v[240:243], v252 offset0:76 offset1:77
	s_cmp_lt_i32 s20, 40
	v_mov_b32_e32 v250, 38
	s_cbranch_scc1 .LBB118_800
; %bb.798:
	v_add_u32_e32 v246, 0x270, v252
	s_mov_b32 s0, 39
	v_mov_b32_e32 v250, 38
.LBB118_799:                            ; =>This Inner Loop Header: Depth=1
	ds_read2_b64 v[164:167], v246 offset1:1
	s_waitcnt lgkmcnt(1)
	v_cmp_gt_f64_e32 vcc, 0, v[240:241]
	v_xor_b32_e32 v156, 0x80000000, v241
	v_xor_b32_e32 v158, 0x80000000, v243
	v_cndmask_b32_e32 v157, v241, v156, vcc
	v_cmp_gt_f64_e32 vcc, 0, v[242:243]
	v_mov_b32_e32 v156, v240
	s_waitcnt lgkmcnt(0)
	v_xor_b32_e32 v216, 0x80000000, v167
	v_cndmask_b32_e32 v159, v243, v158, vcc
	v_mov_b32_e32 v158, v242
	v_add_f64 v[156:157], v[156:157], v[158:159]
	v_cmp_gt_f64_e32 vcc, 0, v[164:165]
	v_xor_b32_e32 v158, 0x80000000, v165
	v_add_u32_e32 v246, 16, v246
	v_cndmask_b32_e32 v159, v165, v158, vcc
	v_cmp_gt_f64_e32 vcc, 0, v[166:167]
	v_mov_b32_e32 v158, v164
	s_nop 0
	v_cndmask_b32_e32 v217, v167, v216, vcc
	v_mov_b32_e32 v216, v166
	v_add_f64 v[158:159], v[158:159], v[216:217]
	v_cmp_lt_f64_e32 vcc, v[156:157], v[158:159]
	v_mov_b32_e32 v156, s0
	s_add_i32 s0, s0, 1
	v_cndmask_b32_e32 v241, v241, v165, vcc
	v_cndmask_b32_e32 v240, v240, v164, vcc
	v_cndmask_b32_e32 v243, v243, v167, vcc
	v_cndmask_b32_e32 v242, v242, v166, vcc
	v_cndmask_b32_e32 v250, v250, v156, vcc
	s_cmp_lg_u32 s20, s0
	s_cbranch_scc1 .LBB118_799
.LBB118_800:
	s_waitcnt lgkmcnt(0)
	v_cmp_eq_f64_e32 vcc, 0, v[240:241]
	v_cmp_eq_f64_e64 s[0:1], 0, v[242:243]
	s_and_b64 s[0:1], vcc, s[0:1]
	s_and_saveexec_b64 s[16:17], s[0:1]
	s_xor_b64 s[0:1], exec, s[16:17]
; %bb.801:
	v_cmp_ne_u32_e32 vcc, 0, v254
	s_nop 1
	v_cndmask_b32_e32 v254, 39, v254, vcc
; %bb.802:
	s_andn2_saveexec_b64 s[0:1], s[0:1]
	s_cbranch_execz .LBB118_808
; %bb.803:
	v_cmp_ngt_f64_e64 s[16:17], |v[240:241]|, |v[242:243]|
	s_and_saveexec_b64 s[18:19], s[16:17]
	s_xor_b64 s[16:17], exec, s[18:19]
	s_cbranch_execz .LBB118_805
; %bb.804:
	v_div_scale_f64 v[156:157], s[18:19], v[242:243], v[242:243], v[240:241]
	v_rcp_f64_e32 v[158:159], v[156:157]
	v_div_scale_f64 v[164:165], vcc, v[240:241], v[242:243], v[240:241]
	v_fma_f64 v[166:167], -v[156:157], v[158:159], 1.0
	v_fmac_f64_e32 v[158:159], v[158:159], v[166:167]
	v_fma_f64 v[166:167], -v[156:157], v[158:159], 1.0
	v_fmac_f64_e32 v[158:159], v[158:159], v[166:167]
	v_mul_f64 v[166:167], v[164:165], v[158:159]
	v_fma_f64 v[156:157], -v[156:157], v[166:167], v[164:165]
	v_div_fmas_f64 v[156:157], v[156:157], v[158:159], v[166:167]
	v_div_fixup_f64 v[156:157], v[156:157], v[242:243], v[240:241]
	v_fmac_f64_e32 v[242:243], v[240:241], v[156:157]
	v_div_scale_f64 v[158:159], s[18:19], v[242:243], v[242:243], 1.0
	v_rcp_f64_e32 v[164:165], v[158:159]
	s_nop 0
	v_fma_f64 v[166:167], -v[158:159], v[164:165], 1.0
	v_fmac_f64_e32 v[164:165], v[164:165], v[166:167]
	v_fma_f64 v[166:167], -v[158:159], v[164:165], 1.0
	v_fmac_f64_e32 v[164:165], v[164:165], v[166:167]
	v_div_scale_f64 v[166:167], vcc, 1.0, v[242:243], 1.0
	v_mul_f64 v[216:217], v[166:167], v[164:165]
	v_fma_f64 v[158:159], -v[158:159], v[216:217], v[166:167]
	s_nop 1
	v_div_fmas_f64 v[158:159], v[158:159], v[164:165], v[216:217]
	v_div_fixup_f64 v[242:243], v[158:159], v[242:243], 1.0
	v_mul_f64 v[240:241], v[156:157], v[242:243]
	v_xor_b32_e32 v243, 0x80000000, v243
.LBB118_805:
	s_andn2_saveexec_b64 s[16:17], s[16:17]
	s_cbranch_execz .LBB118_807
; %bb.806:
	v_div_scale_f64 v[156:157], s[18:19], v[240:241], v[240:241], v[242:243]
	v_rcp_f64_e32 v[158:159], v[156:157]
	v_div_scale_f64 v[164:165], vcc, v[242:243], v[240:241], v[242:243]
	v_fma_f64 v[166:167], -v[156:157], v[158:159], 1.0
	v_fmac_f64_e32 v[158:159], v[158:159], v[166:167]
	v_fma_f64 v[166:167], -v[156:157], v[158:159], 1.0
	v_fmac_f64_e32 v[158:159], v[158:159], v[166:167]
	v_mul_f64 v[166:167], v[164:165], v[158:159]
	v_fma_f64 v[156:157], -v[156:157], v[166:167], v[164:165]
	v_div_fmas_f64 v[156:157], v[156:157], v[158:159], v[166:167]
	v_div_fixup_f64 v[156:157], v[156:157], v[240:241], v[242:243]
	v_fmac_f64_e32 v[240:241], v[242:243], v[156:157]
	v_div_scale_f64 v[158:159], s[18:19], v[240:241], v[240:241], 1.0
	v_rcp_f64_e32 v[164:165], v[158:159]
	s_nop 0
	v_fma_f64 v[166:167], -v[158:159], v[164:165], 1.0
	v_fmac_f64_e32 v[164:165], v[164:165], v[166:167]
	v_fma_f64 v[166:167], -v[158:159], v[164:165], 1.0
	v_fmac_f64_e32 v[164:165], v[164:165], v[166:167]
	v_div_scale_f64 v[166:167], vcc, 1.0, v[240:241], 1.0
	v_mul_f64 v[216:217], v[166:167], v[164:165]
	v_fma_f64 v[158:159], -v[158:159], v[216:217], v[166:167]
	s_nop 1
	v_div_fmas_f64 v[158:159], v[158:159], v[164:165], v[216:217]
	v_div_fixup_f64 v[240:241], v[158:159], v[240:241], 1.0
	v_mul_f64 v[242:243], v[156:157], -v[240:241]
.LBB118_807:
	s_or_b64 exec, exec, s[16:17]
.LBB118_808:
	s_or_b64 exec, exec, s[0:1]
	v_cmp_ne_u32_e32 vcc, v253, v250
	s_and_saveexec_b64 s[0:1], vcc
	s_xor_b64 s[0:1], exec, s[0:1]
	s_cbranch_execz .LBB118_814
; %bb.809:
	v_cmp_eq_u32_e32 vcc, 38, v253
	s_and_saveexec_b64 s[16:17], vcc
	s_cbranch_execz .LBB118_813
; %bb.810:
	v_cmp_ne_u32_e32 vcc, 38, v250
	s_xor_b64 s[18:19], s[14:15], -1
	s_and_b64 s[22:23], s[18:19], vcc
	s_and_saveexec_b64 s[18:19], s[22:23]
	s_cbranch_execz .LBB118_812
; %bb.811:
	v_ashrrev_i32_e32 v251, 31, v250
	v_lshl_add_u64 v[156:157], v[250:251], 2, v[234:235]
	global_load_dword v158, v[156:157], off
	global_load_dword v159, v[234:235], off offset:152
	s_waitcnt vmcnt(1)
	global_store_dword v[234:235], v158, off offset:152
	s_waitcnt vmcnt(1)
	global_store_dword v[156:157], v159, off
.LBB118_812:
	s_or_b64 exec, exec, s[18:19]
	v_mov_b32_e32 v253, v250
	v_mov_b32_e32 v244, v250
.LBB118_813:
	s_or_b64 exec, exec, s[16:17]
.LBB118_814:
	s_andn2_saveexec_b64 s[0:1], s[0:1]
	s_cbranch_execz .LBB118_816
; %bb.815:
	v_mov_b32_e32 v253, 38
	ds_write2_b64 v252, v[76:77], v[78:79] offset0:78 offset1:79
	ds_write2_b64 v252, v[72:73], v[74:75] offset0:80 offset1:81
	;; [unrolled: 1-line block ×21, first 2 shown]
.LBB118_816:
	s_or_b64 exec, exec, s[0:1]
	v_cmp_lt_i32_e32 vcc, 38, v253
	s_waitcnt lgkmcnt(0)
	s_barrier
	s_and_saveexec_b64 s[0:1], vcc
	s_cbranch_execz .LBB118_818
; %bb.817:
	ds_read2_b64 v[164:167], v252 offset0:78 offset1:79
	v_mul_f64 v[156:157], v[242:243], v[82:83]
	v_mul_f64 v[82:83], v[240:241], v[82:83]
	v_fmac_f64_e32 v[82:83], v[242:243], v[80:81]
	v_fma_f64 v[250:251], v[240:241], v[80:81], -v[156:157]
	s_waitcnt lgkmcnt(0)
	v_mul_f64 v[80:81], v[166:167], v[82:83]
	v_mul_f64 v[156:157], v[164:165], v[82:83]
	v_fma_f64 v[80:81], v[164:165], v[250:251], -v[80:81]
	v_fmac_f64_e32 v[156:157], v[166:167], v[250:251]
	ds_read2_b64 v[164:167], v252 offset0:80 offset1:81
	v_add_f64 v[76:77], v[76:77], -v[80:81]
	v_add_f64 v[78:79], v[78:79], -v[156:157]
	s_waitcnt lgkmcnt(0)
	v_mul_f64 v[80:81], v[166:167], v[82:83]
	v_mul_f64 v[156:157], v[164:165], v[82:83]
	v_fma_f64 v[80:81], v[164:165], v[250:251], -v[80:81]
	v_fmac_f64_e32 v[156:157], v[166:167], v[250:251]
	ds_read2_b64 v[164:167], v252 offset0:82 offset1:83
	v_add_f64 v[72:73], v[72:73], -v[80:81]
	v_add_f64 v[74:75], v[74:75], -v[156:157]
	;; [unrolled: 8-line block ×20, first 2 shown]
	s_waitcnt lgkmcnt(0)
	v_mul_f64 v[80:81], v[166:167], v[82:83]
	v_mul_f64 v[156:157], v[164:165], v[82:83]
	v_fma_f64 v[80:81], v[164:165], v[250:251], -v[80:81]
	v_fmac_f64_e32 v[156:157], v[166:167], v[250:251]
	v_add_f64 v[236:237], v[236:237], -v[80:81]
	v_add_f64 v[238:239], v[238:239], -v[156:157]
	v_mov_b64_e32 v[80:81], v[250:251]
.LBB118_818:
	s_or_b64 exec, exec, s[0:1]
	v_lshl_add_u32 v156, v253, 4, v252
	s_barrier
	ds_write2_b64 v156, v[76:77], v[78:79] offset1:1
	s_waitcnt lgkmcnt(0)
	s_barrier
	ds_read2_b64 v[240:243], v252 offset0:78 offset1:79
	s_cmp_lt_i32 s20, 41
	v_mov_b32_e32 v250, 39
	s_cbranch_scc1 .LBB118_821
; %bb.819:
	v_add_u32_e32 v246, 0x280, v252
	s_mov_b32 s0, 40
	v_mov_b32_e32 v250, 39
.LBB118_820:                            ; =>This Inner Loop Header: Depth=1
	ds_read2_b64 v[164:167], v246 offset1:1
	s_waitcnt lgkmcnt(1)
	v_cmp_gt_f64_e32 vcc, 0, v[240:241]
	v_xor_b32_e32 v156, 0x80000000, v241
	v_xor_b32_e32 v158, 0x80000000, v243
	v_cndmask_b32_e32 v157, v241, v156, vcc
	v_cmp_gt_f64_e32 vcc, 0, v[242:243]
	v_mov_b32_e32 v156, v240
	s_waitcnt lgkmcnt(0)
	v_xor_b32_e32 v216, 0x80000000, v167
	v_cndmask_b32_e32 v159, v243, v158, vcc
	v_mov_b32_e32 v158, v242
	v_add_f64 v[156:157], v[156:157], v[158:159]
	v_cmp_gt_f64_e32 vcc, 0, v[164:165]
	v_xor_b32_e32 v158, 0x80000000, v165
	v_add_u32_e32 v246, 16, v246
	v_cndmask_b32_e32 v159, v165, v158, vcc
	v_cmp_gt_f64_e32 vcc, 0, v[166:167]
	v_mov_b32_e32 v158, v164
	s_nop 0
	v_cndmask_b32_e32 v217, v167, v216, vcc
	v_mov_b32_e32 v216, v166
	v_add_f64 v[158:159], v[158:159], v[216:217]
	v_cmp_lt_f64_e32 vcc, v[156:157], v[158:159]
	v_mov_b32_e32 v156, s0
	s_add_i32 s0, s0, 1
	v_cndmask_b32_e32 v241, v241, v165, vcc
	v_cndmask_b32_e32 v240, v240, v164, vcc
	;; [unrolled: 1-line block ×5, first 2 shown]
	s_cmp_lg_u32 s20, s0
	s_cbranch_scc1 .LBB118_820
.LBB118_821:
	s_waitcnt lgkmcnt(0)
	v_cmp_eq_f64_e32 vcc, 0, v[240:241]
	v_cmp_eq_f64_e64 s[0:1], 0, v[242:243]
	s_and_b64 s[0:1], vcc, s[0:1]
	s_and_saveexec_b64 s[16:17], s[0:1]
	s_xor_b64 s[0:1], exec, s[16:17]
; %bb.822:
	v_cmp_ne_u32_e32 vcc, 0, v254
	s_nop 1
	v_cndmask_b32_e32 v254, 40, v254, vcc
; %bb.823:
	s_andn2_saveexec_b64 s[0:1], s[0:1]
	s_cbranch_execz .LBB118_829
; %bb.824:
	v_cmp_ngt_f64_e64 s[16:17], |v[240:241]|, |v[242:243]|
	s_and_saveexec_b64 s[18:19], s[16:17]
	s_xor_b64 s[16:17], exec, s[18:19]
	s_cbranch_execz .LBB118_826
; %bb.825:
	v_div_scale_f64 v[156:157], s[18:19], v[242:243], v[242:243], v[240:241]
	v_rcp_f64_e32 v[158:159], v[156:157]
	v_div_scale_f64 v[164:165], vcc, v[240:241], v[242:243], v[240:241]
	v_fma_f64 v[166:167], -v[156:157], v[158:159], 1.0
	v_fmac_f64_e32 v[158:159], v[158:159], v[166:167]
	v_fma_f64 v[166:167], -v[156:157], v[158:159], 1.0
	v_fmac_f64_e32 v[158:159], v[158:159], v[166:167]
	v_mul_f64 v[166:167], v[164:165], v[158:159]
	v_fma_f64 v[156:157], -v[156:157], v[166:167], v[164:165]
	v_div_fmas_f64 v[156:157], v[156:157], v[158:159], v[166:167]
	v_div_fixup_f64 v[156:157], v[156:157], v[242:243], v[240:241]
	v_fmac_f64_e32 v[242:243], v[240:241], v[156:157]
	v_div_scale_f64 v[158:159], s[18:19], v[242:243], v[242:243], 1.0
	v_rcp_f64_e32 v[164:165], v[158:159]
	s_nop 0
	v_fma_f64 v[166:167], -v[158:159], v[164:165], 1.0
	v_fmac_f64_e32 v[164:165], v[164:165], v[166:167]
	v_fma_f64 v[166:167], -v[158:159], v[164:165], 1.0
	v_fmac_f64_e32 v[164:165], v[164:165], v[166:167]
	v_div_scale_f64 v[166:167], vcc, 1.0, v[242:243], 1.0
	v_mul_f64 v[216:217], v[166:167], v[164:165]
	v_fma_f64 v[158:159], -v[158:159], v[216:217], v[166:167]
	s_nop 1
	v_div_fmas_f64 v[158:159], v[158:159], v[164:165], v[216:217]
	v_div_fixup_f64 v[242:243], v[158:159], v[242:243], 1.0
	v_mul_f64 v[240:241], v[156:157], v[242:243]
	v_xor_b32_e32 v243, 0x80000000, v243
.LBB118_826:
	s_andn2_saveexec_b64 s[16:17], s[16:17]
	s_cbranch_execz .LBB118_828
; %bb.827:
	v_div_scale_f64 v[156:157], s[18:19], v[240:241], v[240:241], v[242:243]
	v_rcp_f64_e32 v[158:159], v[156:157]
	v_div_scale_f64 v[164:165], vcc, v[242:243], v[240:241], v[242:243]
	v_fma_f64 v[166:167], -v[156:157], v[158:159], 1.0
	v_fmac_f64_e32 v[158:159], v[158:159], v[166:167]
	v_fma_f64 v[166:167], -v[156:157], v[158:159], 1.0
	v_fmac_f64_e32 v[158:159], v[158:159], v[166:167]
	v_mul_f64 v[166:167], v[164:165], v[158:159]
	v_fma_f64 v[156:157], -v[156:157], v[166:167], v[164:165]
	v_div_fmas_f64 v[156:157], v[156:157], v[158:159], v[166:167]
	v_div_fixup_f64 v[156:157], v[156:157], v[240:241], v[242:243]
	v_fmac_f64_e32 v[240:241], v[242:243], v[156:157]
	v_div_scale_f64 v[158:159], s[18:19], v[240:241], v[240:241], 1.0
	v_rcp_f64_e32 v[164:165], v[158:159]
	s_nop 0
	v_fma_f64 v[166:167], -v[158:159], v[164:165], 1.0
	v_fmac_f64_e32 v[164:165], v[164:165], v[166:167]
	v_fma_f64 v[166:167], -v[158:159], v[164:165], 1.0
	v_fmac_f64_e32 v[164:165], v[164:165], v[166:167]
	v_div_scale_f64 v[166:167], vcc, 1.0, v[240:241], 1.0
	v_mul_f64 v[216:217], v[166:167], v[164:165]
	v_fma_f64 v[158:159], -v[158:159], v[216:217], v[166:167]
	s_nop 1
	v_div_fmas_f64 v[158:159], v[158:159], v[164:165], v[216:217]
	v_div_fixup_f64 v[240:241], v[158:159], v[240:241], 1.0
	v_mul_f64 v[242:243], v[156:157], -v[240:241]
.LBB118_828:
	s_or_b64 exec, exec, s[16:17]
.LBB118_829:
	s_or_b64 exec, exec, s[0:1]
	v_cmp_ne_u32_e32 vcc, v253, v250
	s_and_saveexec_b64 s[0:1], vcc
	s_xor_b64 s[0:1], exec, s[0:1]
	s_cbranch_execz .LBB118_835
; %bb.830:
	v_cmp_eq_u32_e32 vcc, 39, v253
	s_and_saveexec_b64 s[16:17], vcc
	s_cbranch_execz .LBB118_834
; %bb.831:
	v_cmp_ne_u32_e32 vcc, 39, v250
	s_xor_b64 s[18:19], s[14:15], -1
	s_and_b64 s[22:23], s[18:19], vcc
	s_and_saveexec_b64 s[18:19], s[22:23]
	s_cbranch_execz .LBB118_833
; %bb.832:
	v_ashrrev_i32_e32 v251, 31, v250
	v_lshl_add_u64 v[156:157], v[250:251], 2, v[234:235]
	global_load_dword v158, v[156:157], off
	global_load_dword v159, v[234:235], off offset:156
	s_waitcnt vmcnt(1)
	global_store_dword v[234:235], v158, off offset:156
	s_waitcnt vmcnt(1)
	global_store_dword v[156:157], v159, off
.LBB118_833:
	s_or_b64 exec, exec, s[18:19]
	v_mov_b32_e32 v253, v250
	v_mov_b32_e32 v244, v250
.LBB118_834:
	s_or_b64 exec, exec, s[16:17]
.LBB118_835:
	s_andn2_saveexec_b64 s[0:1], s[0:1]
	s_cbranch_execz .LBB118_837
; %bb.836:
	v_mov_b32_e32 v253, 39
	ds_write2_b64 v252, v[72:73], v[74:75] offset0:80 offset1:81
	ds_write2_b64 v252, v[68:69], v[70:71] offset0:82 offset1:83
	;; [unrolled: 1-line block ×20, first 2 shown]
.LBB118_837:
	s_or_b64 exec, exec, s[0:1]
	v_cmp_lt_i32_e32 vcc, 39, v253
	s_waitcnt lgkmcnt(0)
	s_barrier
	s_and_saveexec_b64 s[0:1], vcc
	s_cbranch_execz .LBB118_839
; %bb.838:
	ds_read2_b64 v[164:167], v252 offset0:80 offset1:81
	v_mul_f64 v[156:157], v[242:243], v[78:79]
	v_mul_f64 v[78:79], v[240:241], v[78:79]
	v_fmac_f64_e32 v[78:79], v[242:243], v[76:77]
	v_fma_f64 v[250:251], v[240:241], v[76:77], -v[156:157]
	s_waitcnt lgkmcnt(0)
	v_mul_f64 v[76:77], v[166:167], v[78:79]
	v_mul_f64 v[156:157], v[164:165], v[78:79]
	v_fma_f64 v[76:77], v[164:165], v[250:251], -v[76:77]
	v_fmac_f64_e32 v[156:157], v[166:167], v[250:251]
	ds_read2_b64 v[164:167], v252 offset0:82 offset1:83
	v_add_f64 v[72:73], v[72:73], -v[76:77]
	v_add_f64 v[74:75], v[74:75], -v[156:157]
	s_waitcnt lgkmcnt(0)
	v_mul_f64 v[76:77], v[166:167], v[78:79]
	v_mul_f64 v[156:157], v[164:165], v[78:79]
	v_fma_f64 v[76:77], v[164:165], v[250:251], -v[76:77]
	v_fmac_f64_e32 v[156:157], v[166:167], v[250:251]
	ds_read2_b64 v[164:167], v252 offset0:84 offset1:85
	v_add_f64 v[68:69], v[68:69], -v[76:77]
	v_add_f64 v[70:71], v[70:71], -v[156:157]
	;; [unrolled: 8-line block ×19, first 2 shown]
	s_waitcnt lgkmcnt(0)
	v_mul_f64 v[76:77], v[166:167], v[78:79]
	v_mul_f64 v[156:157], v[164:165], v[78:79]
	v_fma_f64 v[76:77], v[164:165], v[250:251], -v[76:77]
	v_fmac_f64_e32 v[156:157], v[166:167], v[250:251]
	v_add_f64 v[236:237], v[236:237], -v[76:77]
	v_add_f64 v[238:239], v[238:239], -v[156:157]
	v_mov_b64_e32 v[76:77], v[250:251]
.LBB118_839:
	s_or_b64 exec, exec, s[0:1]
	v_lshl_add_u32 v156, v253, 4, v252
	s_barrier
	ds_write2_b64 v156, v[72:73], v[74:75] offset1:1
	s_waitcnt lgkmcnt(0)
	s_barrier
	ds_read2_b64 v[240:243], v252 offset0:80 offset1:81
	s_cmp_lt_i32 s20, 42
	v_mov_b32_e32 v250, 40
	s_cbranch_scc1 .LBB118_842
; %bb.840:
	v_add_u32_e32 v246, 0x290, v252
	s_mov_b32 s0, 41
	v_mov_b32_e32 v250, 40
.LBB118_841:                            ; =>This Inner Loop Header: Depth=1
	ds_read2_b64 v[164:167], v246 offset1:1
	s_waitcnt lgkmcnt(1)
	v_cmp_gt_f64_e32 vcc, 0, v[240:241]
	v_xor_b32_e32 v156, 0x80000000, v241
	v_xor_b32_e32 v158, 0x80000000, v243
	v_cndmask_b32_e32 v157, v241, v156, vcc
	v_cmp_gt_f64_e32 vcc, 0, v[242:243]
	v_mov_b32_e32 v156, v240
	s_waitcnt lgkmcnt(0)
	v_xor_b32_e32 v216, 0x80000000, v167
	v_cndmask_b32_e32 v159, v243, v158, vcc
	v_mov_b32_e32 v158, v242
	v_add_f64 v[156:157], v[156:157], v[158:159]
	v_cmp_gt_f64_e32 vcc, 0, v[164:165]
	v_xor_b32_e32 v158, 0x80000000, v165
	v_add_u32_e32 v246, 16, v246
	v_cndmask_b32_e32 v159, v165, v158, vcc
	v_cmp_gt_f64_e32 vcc, 0, v[166:167]
	v_mov_b32_e32 v158, v164
	s_nop 0
	v_cndmask_b32_e32 v217, v167, v216, vcc
	v_mov_b32_e32 v216, v166
	v_add_f64 v[158:159], v[158:159], v[216:217]
	v_cmp_lt_f64_e32 vcc, v[156:157], v[158:159]
	v_mov_b32_e32 v156, s0
	s_add_i32 s0, s0, 1
	v_cndmask_b32_e32 v241, v241, v165, vcc
	v_cndmask_b32_e32 v240, v240, v164, vcc
	v_cndmask_b32_e32 v243, v243, v167, vcc
	v_cndmask_b32_e32 v242, v242, v166, vcc
	v_cndmask_b32_e32 v250, v250, v156, vcc
	s_cmp_lg_u32 s20, s0
	s_cbranch_scc1 .LBB118_841
.LBB118_842:
	s_waitcnt lgkmcnt(0)
	v_cmp_eq_f64_e32 vcc, 0, v[240:241]
	v_cmp_eq_f64_e64 s[0:1], 0, v[242:243]
	s_and_b64 s[0:1], vcc, s[0:1]
	s_and_saveexec_b64 s[16:17], s[0:1]
	s_xor_b64 s[0:1], exec, s[16:17]
; %bb.843:
	v_cmp_ne_u32_e32 vcc, 0, v254
	s_nop 1
	v_cndmask_b32_e32 v254, 41, v254, vcc
; %bb.844:
	s_andn2_saveexec_b64 s[0:1], s[0:1]
	s_cbranch_execz .LBB118_850
; %bb.845:
	v_cmp_ngt_f64_e64 s[16:17], |v[240:241]|, |v[242:243]|
	s_and_saveexec_b64 s[18:19], s[16:17]
	s_xor_b64 s[16:17], exec, s[18:19]
	s_cbranch_execz .LBB118_847
; %bb.846:
	v_div_scale_f64 v[156:157], s[18:19], v[242:243], v[242:243], v[240:241]
	v_rcp_f64_e32 v[158:159], v[156:157]
	v_div_scale_f64 v[164:165], vcc, v[240:241], v[242:243], v[240:241]
	v_fma_f64 v[166:167], -v[156:157], v[158:159], 1.0
	v_fmac_f64_e32 v[158:159], v[158:159], v[166:167]
	v_fma_f64 v[166:167], -v[156:157], v[158:159], 1.0
	v_fmac_f64_e32 v[158:159], v[158:159], v[166:167]
	v_mul_f64 v[166:167], v[164:165], v[158:159]
	v_fma_f64 v[156:157], -v[156:157], v[166:167], v[164:165]
	v_div_fmas_f64 v[156:157], v[156:157], v[158:159], v[166:167]
	v_div_fixup_f64 v[156:157], v[156:157], v[242:243], v[240:241]
	v_fmac_f64_e32 v[242:243], v[240:241], v[156:157]
	v_div_scale_f64 v[158:159], s[18:19], v[242:243], v[242:243], 1.0
	v_rcp_f64_e32 v[164:165], v[158:159]
	s_nop 0
	v_fma_f64 v[166:167], -v[158:159], v[164:165], 1.0
	v_fmac_f64_e32 v[164:165], v[164:165], v[166:167]
	v_fma_f64 v[166:167], -v[158:159], v[164:165], 1.0
	v_fmac_f64_e32 v[164:165], v[164:165], v[166:167]
	v_div_scale_f64 v[166:167], vcc, 1.0, v[242:243], 1.0
	v_mul_f64 v[216:217], v[166:167], v[164:165]
	v_fma_f64 v[158:159], -v[158:159], v[216:217], v[166:167]
	s_nop 1
	v_div_fmas_f64 v[158:159], v[158:159], v[164:165], v[216:217]
	v_div_fixup_f64 v[242:243], v[158:159], v[242:243], 1.0
	v_mul_f64 v[240:241], v[156:157], v[242:243]
	v_xor_b32_e32 v243, 0x80000000, v243
.LBB118_847:
	s_andn2_saveexec_b64 s[16:17], s[16:17]
	s_cbranch_execz .LBB118_849
; %bb.848:
	v_div_scale_f64 v[156:157], s[18:19], v[240:241], v[240:241], v[242:243]
	v_rcp_f64_e32 v[158:159], v[156:157]
	v_div_scale_f64 v[164:165], vcc, v[242:243], v[240:241], v[242:243]
	v_fma_f64 v[166:167], -v[156:157], v[158:159], 1.0
	v_fmac_f64_e32 v[158:159], v[158:159], v[166:167]
	v_fma_f64 v[166:167], -v[156:157], v[158:159], 1.0
	v_fmac_f64_e32 v[158:159], v[158:159], v[166:167]
	v_mul_f64 v[166:167], v[164:165], v[158:159]
	v_fma_f64 v[156:157], -v[156:157], v[166:167], v[164:165]
	v_div_fmas_f64 v[156:157], v[156:157], v[158:159], v[166:167]
	v_div_fixup_f64 v[156:157], v[156:157], v[240:241], v[242:243]
	v_fmac_f64_e32 v[240:241], v[242:243], v[156:157]
	v_div_scale_f64 v[158:159], s[18:19], v[240:241], v[240:241], 1.0
	v_rcp_f64_e32 v[164:165], v[158:159]
	s_nop 0
	v_fma_f64 v[166:167], -v[158:159], v[164:165], 1.0
	v_fmac_f64_e32 v[164:165], v[164:165], v[166:167]
	v_fma_f64 v[166:167], -v[158:159], v[164:165], 1.0
	v_fmac_f64_e32 v[164:165], v[164:165], v[166:167]
	v_div_scale_f64 v[166:167], vcc, 1.0, v[240:241], 1.0
	v_mul_f64 v[216:217], v[166:167], v[164:165]
	v_fma_f64 v[158:159], -v[158:159], v[216:217], v[166:167]
	s_nop 1
	v_div_fmas_f64 v[158:159], v[158:159], v[164:165], v[216:217]
	v_div_fixup_f64 v[240:241], v[158:159], v[240:241], 1.0
	v_mul_f64 v[242:243], v[156:157], -v[240:241]
.LBB118_849:
	s_or_b64 exec, exec, s[16:17]
.LBB118_850:
	s_or_b64 exec, exec, s[0:1]
	v_cmp_ne_u32_e32 vcc, v253, v250
	s_and_saveexec_b64 s[0:1], vcc
	s_xor_b64 s[0:1], exec, s[0:1]
	s_cbranch_execz .LBB118_856
; %bb.851:
	v_cmp_eq_u32_e32 vcc, 40, v253
	s_and_saveexec_b64 s[16:17], vcc
	s_cbranch_execz .LBB118_855
; %bb.852:
	v_cmp_ne_u32_e32 vcc, 40, v250
	s_xor_b64 s[18:19], s[14:15], -1
	s_and_b64 s[22:23], s[18:19], vcc
	s_and_saveexec_b64 s[18:19], s[22:23]
	s_cbranch_execz .LBB118_854
; %bb.853:
	v_ashrrev_i32_e32 v251, 31, v250
	v_lshl_add_u64 v[156:157], v[250:251], 2, v[234:235]
	global_load_dword v158, v[156:157], off
	global_load_dword v159, v[234:235], off offset:160
	s_waitcnt vmcnt(1)
	global_store_dword v[234:235], v158, off offset:160
	s_waitcnt vmcnt(1)
	global_store_dword v[156:157], v159, off
.LBB118_854:
	s_or_b64 exec, exec, s[18:19]
	v_mov_b32_e32 v253, v250
	v_mov_b32_e32 v244, v250
.LBB118_855:
	s_or_b64 exec, exec, s[16:17]
.LBB118_856:
	s_andn2_saveexec_b64 s[0:1], s[0:1]
	s_cbranch_execz .LBB118_858
; %bb.857:
	v_mov_b32_e32 v253, 40
	ds_write2_b64 v252, v[68:69], v[70:71] offset0:82 offset1:83
	ds_write2_b64 v252, v[64:65], v[66:67] offset0:84 offset1:85
	;; [unrolled: 1-line block ×19, first 2 shown]
.LBB118_858:
	s_or_b64 exec, exec, s[0:1]
	v_cmp_lt_i32_e32 vcc, 40, v253
	s_waitcnt lgkmcnt(0)
	s_barrier
	s_and_saveexec_b64 s[0:1], vcc
	s_cbranch_execz .LBB118_860
; %bb.859:
	ds_read2_b64 v[164:167], v252 offset0:82 offset1:83
	v_mul_f64 v[156:157], v[242:243], v[74:75]
	v_mul_f64 v[74:75], v[240:241], v[74:75]
	v_fmac_f64_e32 v[74:75], v[242:243], v[72:73]
	v_fma_f64 v[250:251], v[240:241], v[72:73], -v[156:157]
	s_waitcnt lgkmcnt(0)
	v_mul_f64 v[72:73], v[166:167], v[74:75]
	v_mul_f64 v[156:157], v[164:165], v[74:75]
	v_fma_f64 v[72:73], v[164:165], v[250:251], -v[72:73]
	v_fmac_f64_e32 v[156:157], v[166:167], v[250:251]
	ds_read2_b64 v[164:167], v252 offset0:84 offset1:85
	v_add_f64 v[68:69], v[68:69], -v[72:73]
	v_add_f64 v[70:71], v[70:71], -v[156:157]
	s_waitcnt lgkmcnt(0)
	v_mul_f64 v[72:73], v[166:167], v[74:75]
	v_mul_f64 v[156:157], v[164:165], v[74:75]
	v_fma_f64 v[72:73], v[164:165], v[250:251], -v[72:73]
	v_fmac_f64_e32 v[156:157], v[166:167], v[250:251]
	ds_read2_b64 v[164:167], v252 offset0:86 offset1:87
	v_add_f64 v[64:65], v[64:65], -v[72:73]
	v_add_f64 v[66:67], v[66:67], -v[156:157]
	;; [unrolled: 8-line block ×18, first 2 shown]
	s_waitcnt lgkmcnt(0)
	v_mul_f64 v[72:73], v[166:167], v[74:75]
	v_mul_f64 v[156:157], v[164:165], v[74:75]
	v_fma_f64 v[72:73], v[164:165], v[250:251], -v[72:73]
	v_fmac_f64_e32 v[156:157], v[166:167], v[250:251]
	v_add_f64 v[236:237], v[236:237], -v[72:73]
	v_add_f64 v[238:239], v[238:239], -v[156:157]
	v_mov_b64_e32 v[72:73], v[250:251]
.LBB118_860:
	s_or_b64 exec, exec, s[0:1]
	v_lshl_add_u32 v156, v253, 4, v252
	s_barrier
	ds_write2_b64 v156, v[68:69], v[70:71] offset1:1
	s_waitcnt lgkmcnt(0)
	s_barrier
	ds_read2_b64 v[240:243], v252 offset0:82 offset1:83
	s_cmp_lt_i32 s20, 43
	v_mov_b32_e32 v250, 41
	s_cbranch_scc1 .LBB118_863
; %bb.861:
	v_add_u32_e32 v246, 0x2a0, v252
	s_mov_b32 s0, 42
	v_mov_b32_e32 v250, 41
.LBB118_862:                            ; =>This Inner Loop Header: Depth=1
	ds_read2_b64 v[164:167], v246 offset1:1
	s_waitcnt lgkmcnt(1)
	v_cmp_gt_f64_e32 vcc, 0, v[240:241]
	v_xor_b32_e32 v156, 0x80000000, v241
	v_xor_b32_e32 v158, 0x80000000, v243
	v_cndmask_b32_e32 v157, v241, v156, vcc
	v_cmp_gt_f64_e32 vcc, 0, v[242:243]
	v_mov_b32_e32 v156, v240
	s_waitcnt lgkmcnt(0)
	v_xor_b32_e32 v216, 0x80000000, v167
	v_cndmask_b32_e32 v159, v243, v158, vcc
	v_mov_b32_e32 v158, v242
	v_add_f64 v[156:157], v[156:157], v[158:159]
	v_cmp_gt_f64_e32 vcc, 0, v[164:165]
	v_xor_b32_e32 v158, 0x80000000, v165
	v_add_u32_e32 v246, 16, v246
	v_cndmask_b32_e32 v159, v165, v158, vcc
	v_cmp_gt_f64_e32 vcc, 0, v[166:167]
	v_mov_b32_e32 v158, v164
	s_nop 0
	v_cndmask_b32_e32 v217, v167, v216, vcc
	v_mov_b32_e32 v216, v166
	v_add_f64 v[158:159], v[158:159], v[216:217]
	v_cmp_lt_f64_e32 vcc, v[156:157], v[158:159]
	v_mov_b32_e32 v156, s0
	s_add_i32 s0, s0, 1
	v_cndmask_b32_e32 v241, v241, v165, vcc
	v_cndmask_b32_e32 v240, v240, v164, vcc
	;; [unrolled: 1-line block ×5, first 2 shown]
	s_cmp_lg_u32 s20, s0
	s_cbranch_scc1 .LBB118_862
.LBB118_863:
	s_waitcnt lgkmcnt(0)
	v_cmp_eq_f64_e32 vcc, 0, v[240:241]
	v_cmp_eq_f64_e64 s[0:1], 0, v[242:243]
	s_and_b64 s[0:1], vcc, s[0:1]
	s_and_saveexec_b64 s[16:17], s[0:1]
	s_xor_b64 s[0:1], exec, s[16:17]
; %bb.864:
	v_cmp_ne_u32_e32 vcc, 0, v254
	s_nop 1
	v_cndmask_b32_e32 v254, 42, v254, vcc
; %bb.865:
	s_andn2_saveexec_b64 s[0:1], s[0:1]
	s_cbranch_execz .LBB118_871
; %bb.866:
	v_cmp_ngt_f64_e64 s[16:17], |v[240:241]|, |v[242:243]|
	s_and_saveexec_b64 s[18:19], s[16:17]
	s_xor_b64 s[16:17], exec, s[18:19]
	s_cbranch_execz .LBB118_868
; %bb.867:
	v_div_scale_f64 v[156:157], s[18:19], v[242:243], v[242:243], v[240:241]
	v_rcp_f64_e32 v[158:159], v[156:157]
	v_div_scale_f64 v[164:165], vcc, v[240:241], v[242:243], v[240:241]
	v_fma_f64 v[166:167], -v[156:157], v[158:159], 1.0
	v_fmac_f64_e32 v[158:159], v[158:159], v[166:167]
	v_fma_f64 v[166:167], -v[156:157], v[158:159], 1.0
	v_fmac_f64_e32 v[158:159], v[158:159], v[166:167]
	v_mul_f64 v[166:167], v[164:165], v[158:159]
	v_fma_f64 v[156:157], -v[156:157], v[166:167], v[164:165]
	v_div_fmas_f64 v[156:157], v[156:157], v[158:159], v[166:167]
	v_div_fixup_f64 v[156:157], v[156:157], v[242:243], v[240:241]
	v_fmac_f64_e32 v[242:243], v[240:241], v[156:157]
	v_div_scale_f64 v[158:159], s[18:19], v[242:243], v[242:243], 1.0
	v_rcp_f64_e32 v[164:165], v[158:159]
	s_nop 0
	v_fma_f64 v[166:167], -v[158:159], v[164:165], 1.0
	v_fmac_f64_e32 v[164:165], v[164:165], v[166:167]
	v_fma_f64 v[166:167], -v[158:159], v[164:165], 1.0
	v_fmac_f64_e32 v[164:165], v[164:165], v[166:167]
	v_div_scale_f64 v[166:167], vcc, 1.0, v[242:243], 1.0
	v_mul_f64 v[216:217], v[166:167], v[164:165]
	v_fma_f64 v[158:159], -v[158:159], v[216:217], v[166:167]
	s_nop 1
	v_div_fmas_f64 v[158:159], v[158:159], v[164:165], v[216:217]
	v_div_fixup_f64 v[242:243], v[158:159], v[242:243], 1.0
	v_mul_f64 v[240:241], v[156:157], v[242:243]
	v_xor_b32_e32 v243, 0x80000000, v243
.LBB118_868:
	s_andn2_saveexec_b64 s[16:17], s[16:17]
	s_cbranch_execz .LBB118_870
; %bb.869:
	v_div_scale_f64 v[156:157], s[18:19], v[240:241], v[240:241], v[242:243]
	v_rcp_f64_e32 v[158:159], v[156:157]
	v_div_scale_f64 v[164:165], vcc, v[242:243], v[240:241], v[242:243]
	v_fma_f64 v[166:167], -v[156:157], v[158:159], 1.0
	v_fmac_f64_e32 v[158:159], v[158:159], v[166:167]
	v_fma_f64 v[166:167], -v[156:157], v[158:159], 1.0
	v_fmac_f64_e32 v[158:159], v[158:159], v[166:167]
	v_mul_f64 v[166:167], v[164:165], v[158:159]
	v_fma_f64 v[156:157], -v[156:157], v[166:167], v[164:165]
	v_div_fmas_f64 v[156:157], v[156:157], v[158:159], v[166:167]
	v_div_fixup_f64 v[156:157], v[156:157], v[240:241], v[242:243]
	v_fmac_f64_e32 v[240:241], v[242:243], v[156:157]
	v_div_scale_f64 v[158:159], s[18:19], v[240:241], v[240:241], 1.0
	v_rcp_f64_e32 v[164:165], v[158:159]
	s_nop 0
	v_fma_f64 v[166:167], -v[158:159], v[164:165], 1.0
	v_fmac_f64_e32 v[164:165], v[164:165], v[166:167]
	v_fma_f64 v[166:167], -v[158:159], v[164:165], 1.0
	v_fmac_f64_e32 v[164:165], v[164:165], v[166:167]
	v_div_scale_f64 v[166:167], vcc, 1.0, v[240:241], 1.0
	v_mul_f64 v[216:217], v[166:167], v[164:165]
	v_fma_f64 v[158:159], -v[158:159], v[216:217], v[166:167]
	s_nop 1
	v_div_fmas_f64 v[158:159], v[158:159], v[164:165], v[216:217]
	v_div_fixup_f64 v[240:241], v[158:159], v[240:241], 1.0
	v_mul_f64 v[242:243], v[156:157], -v[240:241]
.LBB118_870:
	s_or_b64 exec, exec, s[16:17]
.LBB118_871:
	s_or_b64 exec, exec, s[0:1]
	v_cmp_ne_u32_e32 vcc, v253, v250
	s_and_saveexec_b64 s[0:1], vcc
	s_xor_b64 s[0:1], exec, s[0:1]
	s_cbranch_execz .LBB118_877
; %bb.872:
	v_cmp_eq_u32_e32 vcc, 41, v253
	s_and_saveexec_b64 s[16:17], vcc
	s_cbranch_execz .LBB118_876
; %bb.873:
	v_cmp_ne_u32_e32 vcc, 41, v250
	s_xor_b64 s[18:19], s[14:15], -1
	s_and_b64 s[22:23], s[18:19], vcc
	s_and_saveexec_b64 s[18:19], s[22:23]
	s_cbranch_execz .LBB118_875
; %bb.874:
	v_ashrrev_i32_e32 v251, 31, v250
	v_lshl_add_u64 v[156:157], v[250:251], 2, v[234:235]
	global_load_dword v158, v[156:157], off
	global_load_dword v159, v[234:235], off offset:164
	s_waitcnt vmcnt(1)
	global_store_dword v[234:235], v158, off offset:164
	s_waitcnt vmcnt(1)
	global_store_dword v[156:157], v159, off
.LBB118_875:
	s_or_b64 exec, exec, s[18:19]
	v_mov_b32_e32 v253, v250
	v_mov_b32_e32 v244, v250
.LBB118_876:
	s_or_b64 exec, exec, s[16:17]
.LBB118_877:
	s_andn2_saveexec_b64 s[0:1], s[0:1]
	s_cbranch_execz .LBB118_879
; %bb.878:
	v_mov_b32_e32 v253, 41
	ds_write2_b64 v252, v[64:65], v[66:67] offset0:84 offset1:85
	ds_write2_b64 v252, v[60:61], v[62:63] offset0:86 offset1:87
	;; [unrolled: 1-line block ×18, first 2 shown]
.LBB118_879:
	s_or_b64 exec, exec, s[0:1]
	v_cmp_lt_i32_e32 vcc, 41, v253
	s_waitcnt lgkmcnt(0)
	s_barrier
	s_and_saveexec_b64 s[0:1], vcc
	s_cbranch_execz .LBB118_881
; %bb.880:
	ds_read2_b64 v[164:167], v252 offset0:84 offset1:85
	v_mul_f64 v[156:157], v[242:243], v[70:71]
	v_mul_f64 v[70:71], v[240:241], v[70:71]
	v_fmac_f64_e32 v[70:71], v[242:243], v[68:69]
	v_fma_f64 v[250:251], v[240:241], v[68:69], -v[156:157]
	s_waitcnt lgkmcnt(0)
	v_mul_f64 v[68:69], v[166:167], v[70:71]
	v_mul_f64 v[156:157], v[164:165], v[70:71]
	v_fma_f64 v[68:69], v[164:165], v[250:251], -v[68:69]
	v_fmac_f64_e32 v[156:157], v[166:167], v[250:251]
	ds_read2_b64 v[164:167], v252 offset0:86 offset1:87
	v_add_f64 v[64:65], v[64:65], -v[68:69]
	v_add_f64 v[66:67], v[66:67], -v[156:157]
	s_waitcnt lgkmcnt(0)
	v_mul_f64 v[68:69], v[166:167], v[70:71]
	v_mul_f64 v[156:157], v[164:165], v[70:71]
	v_fma_f64 v[68:69], v[164:165], v[250:251], -v[68:69]
	v_fmac_f64_e32 v[156:157], v[166:167], v[250:251]
	ds_read2_b64 v[164:167], v252 offset0:88 offset1:89
	v_add_f64 v[60:61], v[60:61], -v[68:69]
	v_add_f64 v[62:63], v[62:63], -v[156:157]
	;; [unrolled: 8-line block ×17, first 2 shown]
	s_waitcnt lgkmcnt(0)
	v_mul_f64 v[68:69], v[166:167], v[70:71]
	v_mul_f64 v[156:157], v[164:165], v[70:71]
	v_fma_f64 v[68:69], v[164:165], v[250:251], -v[68:69]
	v_fmac_f64_e32 v[156:157], v[166:167], v[250:251]
	v_add_f64 v[236:237], v[236:237], -v[68:69]
	v_add_f64 v[238:239], v[238:239], -v[156:157]
	v_mov_b64_e32 v[68:69], v[250:251]
.LBB118_881:
	s_or_b64 exec, exec, s[0:1]
	v_lshl_add_u32 v156, v253, 4, v252
	s_barrier
	ds_write2_b64 v156, v[64:65], v[66:67] offset1:1
	s_waitcnt lgkmcnt(0)
	s_barrier
	ds_read2_b64 v[240:243], v252 offset0:84 offset1:85
	s_cmp_lt_i32 s20, 44
	v_mov_b32_e32 v250, 42
	s_cbranch_scc1 .LBB118_884
; %bb.882:
	v_add_u32_e32 v246, 0x2b0, v252
	s_mov_b32 s0, 43
	v_mov_b32_e32 v250, 42
.LBB118_883:                            ; =>This Inner Loop Header: Depth=1
	ds_read2_b64 v[164:167], v246 offset1:1
	s_waitcnt lgkmcnt(1)
	v_cmp_gt_f64_e32 vcc, 0, v[240:241]
	v_xor_b32_e32 v156, 0x80000000, v241
	v_xor_b32_e32 v158, 0x80000000, v243
	v_cndmask_b32_e32 v157, v241, v156, vcc
	v_cmp_gt_f64_e32 vcc, 0, v[242:243]
	v_mov_b32_e32 v156, v240
	s_waitcnt lgkmcnt(0)
	v_xor_b32_e32 v216, 0x80000000, v167
	v_cndmask_b32_e32 v159, v243, v158, vcc
	v_mov_b32_e32 v158, v242
	v_add_f64 v[156:157], v[156:157], v[158:159]
	v_cmp_gt_f64_e32 vcc, 0, v[164:165]
	v_xor_b32_e32 v158, 0x80000000, v165
	v_add_u32_e32 v246, 16, v246
	v_cndmask_b32_e32 v159, v165, v158, vcc
	v_cmp_gt_f64_e32 vcc, 0, v[166:167]
	v_mov_b32_e32 v158, v164
	s_nop 0
	v_cndmask_b32_e32 v217, v167, v216, vcc
	v_mov_b32_e32 v216, v166
	v_add_f64 v[158:159], v[158:159], v[216:217]
	v_cmp_lt_f64_e32 vcc, v[156:157], v[158:159]
	v_mov_b32_e32 v156, s0
	s_add_i32 s0, s0, 1
	v_cndmask_b32_e32 v241, v241, v165, vcc
	v_cndmask_b32_e32 v240, v240, v164, vcc
	;; [unrolled: 1-line block ×5, first 2 shown]
	s_cmp_lg_u32 s20, s0
	s_cbranch_scc1 .LBB118_883
.LBB118_884:
	s_waitcnt lgkmcnt(0)
	v_cmp_eq_f64_e32 vcc, 0, v[240:241]
	v_cmp_eq_f64_e64 s[0:1], 0, v[242:243]
	s_and_b64 s[0:1], vcc, s[0:1]
	s_and_saveexec_b64 s[16:17], s[0:1]
	s_xor_b64 s[0:1], exec, s[16:17]
; %bb.885:
	v_cmp_ne_u32_e32 vcc, 0, v254
	s_nop 1
	v_cndmask_b32_e32 v254, 43, v254, vcc
; %bb.886:
	s_andn2_saveexec_b64 s[0:1], s[0:1]
	s_cbranch_execz .LBB118_892
; %bb.887:
	v_cmp_ngt_f64_e64 s[16:17], |v[240:241]|, |v[242:243]|
	s_and_saveexec_b64 s[18:19], s[16:17]
	s_xor_b64 s[16:17], exec, s[18:19]
	s_cbranch_execz .LBB118_889
; %bb.888:
	v_div_scale_f64 v[156:157], s[18:19], v[242:243], v[242:243], v[240:241]
	v_rcp_f64_e32 v[158:159], v[156:157]
	v_div_scale_f64 v[164:165], vcc, v[240:241], v[242:243], v[240:241]
	v_fma_f64 v[166:167], -v[156:157], v[158:159], 1.0
	v_fmac_f64_e32 v[158:159], v[158:159], v[166:167]
	v_fma_f64 v[166:167], -v[156:157], v[158:159], 1.0
	v_fmac_f64_e32 v[158:159], v[158:159], v[166:167]
	v_mul_f64 v[166:167], v[164:165], v[158:159]
	v_fma_f64 v[156:157], -v[156:157], v[166:167], v[164:165]
	v_div_fmas_f64 v[156:157], v[156:157], v[158:159], v[166:167]
	v_div_fixup_f64 v[156:157], v[156:157], v[242:243], v[240:241]
	v_fmac_f64_e32 v[242:243], v[240:241], v[156:157]
	v_div_scale_f64 v[158:159], s[18:19], v[242:243], v[242:243], 1.0
	v_rcp_f64_e32 v[164:165], v[158:159]
	s_nop 0
	v_fma_f64 v[166:167], -v[158:159], v[164:165], 1.0
	v_fmac_f64_e32 v[164:165], v[164:165], v[166:167]
	v_fma_f64 v[166:167], -v[158:159], v[164:165], 1.0
	v_fmac_f64_e32 v[164:165], v[164:165], v[166:167]
	v_div_scale_f64 v[166:167], vcc, 1.0, v[242:243], 1.0
	v_mul_f64 v[216:217], v[166:167], v[164:165]
	v_fma_f64 v[158:159], -v[158:159], v[216:217], v[166:167]
	s_nop 1
	v_div_fmas_f64 v[158:159], v[158:159], v[164:165], v[216:217]
	v_div_fixup_f64 v[242:243], v[158:159], v[242:243], 1.0
	v_mul_f64 v[240:241], v[156:157], v[242:243]
	v_xor_b32_e32 v243, 0x80000000, v243
.LBB118_889:
	s_andn2_saveexec_b64 s[16:17], s[16:17]
	s_cbranch_execz .LBB118_891
; %bb.890:
	v_div_scale_f64 v[156:157], s[18:19], v[240:241], v[240:241], v[242:243]
	v_rcp_f64_e32 v[158:159], v[156:157]
	v_div_scale_f64 v[164:165], vcc, v[242:243], v[240:241], v[242:243]
	v_fma_f64 v[166:167], -v[156:157], v[158:159], 1.0
	v_fmac_f64_e32 v[158:159], v[158:159], v[166:167]
	v_fma_f64 v[166:167], -v[156:157], v[158:159], 1.0
	v_fmac_f64_e32 v[158:159], v[158:159], v[166:167]
	v_mul_f64 v[166:167], v[164:165], v[158:159]
	v_fma_f64 v[156:157], -v[156:157], v[166:167], v[164:165]
	v_div_fmas_f64 v[156:157], v[156:157], v[158:159], v[166:167]
	v_div_fixup_f64 v[156:157], v[156:157], v[240:241], v[242:243]
	v_fmac_f64_e32 v[240:241], v[242:243], v[156:157]
	v_div_scale_f64 v[158:159], s[18:19], v[240:241], v[240:241], 1.0
	v_rcp_f64_e32 v[164:165], v[158:159]
	s_nop 0
	v_fma_f64 v[166:167], -v[158:159], v[164:165], 1.0
	v_fmac_f64_e32 v[164:165], v[164:165], v[166:167]
	v_fma_f64 v[166:167], -v[158:159], v[164:165], 1.0
	v_fmac_f64_e32 v[164:165], v[164:165], v[166:167]
	v_div_scale_f64 v[166:167], vcc, 1.0, v[240:241], 1.0
	v_mul_f64 v[216:217], v[166:167], v[164:165]
	v_fma_f64 v[158:159], -v[158:159], v[216:217], v[166:167]
	s_nop 1
	v_div_fmas_f64 v[158:159], v[158:159], v[164:165], v[216:217]
	v_div_fixup_f64 v[240:241], v[158:159], v[240:241], 1.0
	v_mul_f64 v[242:243], v[156:157], -v[240:241]
.LBB118_891:
	s_or_b64 exec, exec, s[16:17]
.LBB118_892:
	s_or_b64 exec, exec, s[0:1]
	v_cmp_ne_u32_e32 vcc, v253, v250
	s_and_saveexec_b64 s[0:1], vcc
	s_xor_b64 s[0:1], exec, s[0:1]
	s_cbranch_execz .LBB118_898
; %bb.893:
	v_cmp_eq_u32_e32 vcc, 42, v253
	s_and_saveexec_b64 s[16:17], vcc
	s_cbranch_execz .LBB118_897
; %bb.894:
	v_cmp_ne_u32_e32 vcc, 42, v250
	s_xor_b64 s[18:19], s[14:15], -1
	s_and_b64 s[22:23], s[18:19], vcc
	s_and_saveexec_b64 s[18:19], s[22:23]
	s_cbranch_execz .LBB118_896
; %bb.895:
	v_ashrrev_i32_e32 v251, 31, v250
	v_lshl_add_u64 v[156:157], v[250:251], 2, v[234:235]
	global_load_dword v158, v[156:157], off
	global_load_dword v159, v[234:235], off offset:168
	s_waitcnt vmcnt(1)
	global_store_dword v[234:235], v158, off offset:168
	s_waitcnt vmcnt(1)
	global_store_dword v[156:157], v159, off
.LBB118_896:
	s_or_b64 exec, exec, s[18:19]
	v_mov_b32_e32 v253, v250
	v_mov_b32_e32 v244, v250
.LBB118_897:
	s_or_b64 exec, exec, s[16:17]
.LBB118_898:
	s_andn2_saveexec_b64 s[0:1], s[0:1]
	s_cbranch_execz .LBB118_900
; %bb.899:
	v_mov_b32_e32 v253, 42
	ds_write2_b64 v252, v[60:61], v[62:63] offset0:86 offset1:87
	ds_write2_b64 v252, v[56:57], v[58:59] offset0:88 offset1:89
	ds_write2_b64 v252, v[52:53], v[54:55] offset0:90 offset1:91
	ds_write2_b64 v252, v[48:49], v[50:51] offset0:92 offset1:93
	ds_write2_b64 v252, v[44:45], v[46:47] offset0:94 offset1:95
	ds_write2_b64 v252, v[40:41], v[42:43] offset0:96 offset1:97
	ds_write2_b64 v252, v[36:37], v[38:39] offset0:98 offset1:99
	ds_write2_b64 v252, v[32:33], v[34:35] offset0:100 offset1:101
	ds_write2_b64 v252, v[28:29], v[30:31] offset0:102 offset1:103
	ds_write2_b64 v252, v[24:25], v[26:27] offset0:104 offset1:105
	ds_write2_b64 v252, v[20:21], v[22:23] offset0:106 offset1:107
	ds_write2_b64 v252, v[16:17], v[18:19] offset0:108 offset1:109
	ds_write2_b64 v252, v[12:13], v[14:15] offset0:110 offset1:111
	ds_write2_b64 v252, v[230:231], v[232:233] offset0:112 offset1:113
	ds_write2_b64 v252, v[224:225], v[226:227] offset0:114 offset1:115
	ds_write2_b64 v252, v[220:221], v[222:223] offset0:116 offset1:117
	ds_write2_b64 v252, v[236:237], v[238:239] offset0:118 offset1:119
.LBB118_900:
	s_or_b64 exec, exec, s[0:1]
	v_cmp_lt_i32_e32 vcc, 42, v253
	s_waitcnt lgkmcnt(0)
	s_barrier
	s_and_saveexec_b64 s[0:1], vcc
	s_cbranch_execz .LBB118_902
; %bb.901:
	ds_read2_b64 v[164:167], v252 offset0:86 offset1:87
	v_mul_f64 v[156:157], v[242:243], v[66:67]
	v_mul_f64 v[66:67], v[240:241], v[66:67]
	v_fmac_f64_e32 v[66:67], v[242:243], v[64:65]
	v_fma_f64 v[250:251], v[240:241], v[64:65], -v[156:157]
	s_waitcnt lgkmcnt(0)
	v_mul_f64 v[64:65], v[166:167], v[66:67]
	v_mul_f64 v[156:157], v[164:165], v[66:67]
	v_fma_f64 v[64:65], v[164:165], v[250:251], -v[64:65]
	v_fmac_f64_e32 v[156:157], v[166:167], v[250:251]
	ds_read2_b64 v[164:167], v252 offset0:88 offset1:89
	v_add_f64 v[60:61], v[60:61], -v[64:65]
	v_add_f64 v[62:63], v[62:63], -v[156:157]
	s_waitcnt lgkmcnt(0)
	v_mul_f64 v[64:65], v[166:167], v[66:67]
	v_mul_f64 v[156:157], v[164:165], v[66:67]
	v_fma_f64 v[64:65], v[164:165], v[250:251], -v[64:65]
	v_fmac_f64_e32 v[156:157], v[166:167], v[250:251]
	ds_read2_b64 v[164:167], v252 offset0:90 offset1:91
	v_add_f64 v[56:57], v[56:57], -v[64:65]
	v_add_f64 v[58:59], v[58:59], -v[156:157]
	s_waitcnt lgkmcnt(0)
	v_mul_f64 v[64:65], v[166:167], v[66:67]
	v_mul_f64 v[156:157], v[164:165], v[66:67]
	v_fma_f64 v[64:65], v[164:165], v[250:251], -v[64:65]
	v_fmac_f64_e32 v[156:157], v[166:167], v[250:251]
	ds_read2_b64 v[164:167], v252 offset0:92 offset1:93
	v_add_f64 v[52:53], v[52:53], -v[64:65]
	v_add_f64 v[54:55], v[54:55], -v[156:157]
	s_waitcnt lgkmcnt(0)
	v_mul_f64 v[64:65], v[166:167], v[66:67]
	v_mul_f64 v[156:157], v[164:165], v[66:67]
	v_fma_f64 v[64:65], v[164:165], v[250:251], -v[64:65]
	v_fmac_f64_e32 v[156:157], v[166:167], v[250:251]
	ds_read2_b64 v[164:167], v252 offset0:94 offset1:95
	v_add_f64 v[48:49], v[48:49], -v[64:65]
	v_add_f64 v[50:51], v[50:51], -v[156:157]
	s_waitcnt lgkmcnt(0)
	v_mul_f64 v[64:65], v[166:167], v[66:67]
	v_mul_f64 v[156:157], v[164:165], v[66:67]
	v_fma_f64 v[64:65], v[164:165], v[250:251], -v[64:65]
	v_fmac_f64_e32 v[156:157], v[166:167], v[250:251]
	ds_read2_b64 v[164:167], v252 offset0:96 offset1:97
	v_add_f64 v[44:45], v[44:45], -v[64:65]
	v_add_f64 v[46:47], v[46:47], -v[156:157]
	s_waitcnt lgkmcnt(0)
	v_mul_f64 v[64:65], v[166:167], v[66:67]
	v_mul_f64 v[156:157], v[164:165], v[66:67]
	v_fma_f64 v[64:65], v[164:165], v[250:251], -v[64:65]
	v_fmac_f64_e32 v[156:157], v[166:167], v[250:251]
	ds_read2_b64 v[164:167], v252 offset0:98 offset1:99
	v_add_f64 v[40:41], v[40:41], -v[64:65]
	v_add_f64 v[42:43], v[42:43], -v[156:157]
	s_waitcnt lgkmcnt(0)
	v_mul_f64 v[64:65], v[166:167], v[66:67]
	v_mul_f64 v[156:157], v[164:165], v[66:67]
	v_fma_f64 v[64:65], v[164:165], v[250:251], -v[64:65]
	v_fmac_f64_e32 v[156:157], v[166:167], v[250:251]
	ds_read2_b64 v[164:167], v252 offset0:100 offset1:101
	v_add_f64 v[36:37], v[36:37], -v[64:65]
	v_add_f64 v[38:39], v[38:39], -v[156:157]
	s_waitcnt lgkmcnt(0)
	v_mul_f64 v[64:65], v[166:167], v[66:67]
	v_mul_f64 v[156:157], v[164:165], v[66:67]
	v_fma_f64 v[64:65], v[164:165], v[250:251], -v[64:65]
	v_fmac_f64_e32 v[156:157], v[166:167], v[250:251]
	ds_read2_b64 v[164:167], v252 offset0:102 offset1:103
	v_add_f64 v[32:33], v[32:33], -v[64:65]
	v_add_f64 v[34:35], v[34:35], -v[156:157]
	s_waitcnt lgkmcnt(0)
	v_mul_f64 v[64:65], v[166:167], v[66:67]
	v_mul_f64 v[156:157], v[164:165], v[66:67]
	v_fma_f64 v[64:65], v[164:165], v[250:251], -v[64:65]
	v_fmac_f64_e32 v[156:157], v[166:167], v[250:251]
	ds_read2_b64 v[164:167], v252 offset0:104 offset1:105
	v_add_f64 v[28:29], v[28:29], -v[64:65]
	v_add_f64 v[30:31], v[30:31], -v[156:157]
	s_waitcnt lgkmcnt(0)
	v_mul_f64 v[64:65], v[166:167], v[66:67]
	v_mul_f64 v[156:157], v[164:165], v[66:67]
	v_fma_f64 v[64:65], v[164:165], v[250:251], -v[64:65]
	v_fmac_f64_e32 v[156:157], v[166:167], v[250:251]
	ds_read2_b64 v[164:167], v252 offset0:106 offset1:107
	v_add_f64 v[24:25], v[24:25], -v[64:65]
	v_add_f64 v[26:27], v[26:27], -v[156:157]
	s_waitcnt lgkmcnt(0)
	v_mul_f64 v[64:65], v[166:167], v[66:67]
	v_mul_f64 v[156:157], v[164:165], v[66:67]
	v_fma_f64 v[64:65], v[164:165], v[250:251], -v[64:65]
	v_fmac_f64_e32 v[156:157], v[166:167], v[250:251]
	ds_read2_b64 v[164:167], v252 offset0:108 offset1:109
	v_add_f64 v[20:21], v[20:21], -v[64:65]
	v_add_f64 v[22:23], v[22:23], -v[156:157]
	s_waitcnt lgkmcnt(0)
	v_mul_f64 v[64:65], v[166:167], v[66:67]
	v_mul_f64 v[156:157], v[164:165], v[66:67]
	v_fma_f64 v[64:65], v[164:165], v[250:251], -v[64:65]
	v_fmac_f64_e32 v[156:157], v[166:167], v[250:251]
	ds_read2_b64 v[164:167], v252 offset0:110 offset1:111
	v_add_f64 v[16:17], v[16:17], -v[64:65]
	v_add_f64 v[18:19], v[18:19], -v[156:157]
	s_waitcnt lgkmcnt(0)
	v_mul_f64 v[64:65], v[166:167], v[66:67]
	v_mul_f64 v[156:157], v[164:165], v[66:67]
	v_fma_f64 v[64:65], v[164:165], v[250:251], -v[64:65]
	v_fmac_f64_e32 v[156:157], v[166:167], v[250:251]
	ds_read2_b64 v[164:167], v252 offset0:112 offset1:113
	v_add_f64 v[12:13], v[12:13], -v[64:65]
	v_add_f64 v[14:15], v[14:15], -v[156:157]
	s_waitcnt lgkmcnt(0)
	v_mul_f64 v[64:65], v[166:167], v[66:67]
	v_mul_f64 v[156:157], v[164:165], v[66:67]
	v_fma_f64 v[64:65], v[164:165], v[250:251], -v[64:65]
	v_fmac_f64_e32 v[156:157], v[166:167], v[250:251]
	ds_read2_b64 v[164:167], v252 offset0:114 offset1:115
	v_add_f64 v[230:231], v[230:231], -v[64:65]
	v_add_f64 v[232:233], v[232:233], -v[156:157]
	s_waitcnt lgkmcnt(0)
	v_mul_f64 v[64:65], v[166:167], v[66:67]
	v_mul_f64 v[156:157], v[164:165], v[66:67]
	v_fma_f64 v[64:65], v[164:165], v[250:251], -v[64:65]
	v_fmac_f64_e32 v[156:157], v[166:167], v[250:251]
	ds_read2_b64 v[164:167], v252 offset0:116 offset1:117
	v_add_f64 v[224:225], v[224:225], -v[64:65]
	v_add_f64 v[226:227], v[226:227], -v[156:157]
	s_waitcnt lgkmcnt(0)
	v_mul_f64 v[64:65], v[166:167], v[66:67]
	v_mul_f64 v[156:157], v[164:165], v[66:67]
	v_fma_f64 v[64:65], v[164:165], v[250:251], -v[64:65]
	v_fmac_f64_e32 v[156:157], v[166:167], v[250:251]
	ds_read2_b64 v[164:167], v252 offset0:118 offset1:119
	v_add_f64 v[220:221], v[220:221], -v[64:65]
	v_add_f64 v[222:223], v[222:223], -v[156:157]
	s_waitcnt lgkmcnt(0)
	v_mul_f64 v[64:65], v[166:167], v[66:67]
	v_mul_f64 v[156:157], v[164:165], v[66:67]
	v_fma_f64 v[64:65], v[164:165], v[250:251], -v[64:65]
	v_fmac_f64_e32 v[156:157], v[166:167], v[250:251]
	v_add_f64 v[236:237], v[236:237], -v[64:65]
	v_add_f64 v[238:239], v[238:239], -v[156:157]
	v_mov_b64_e32 v[64:65], v[250:251]
.LBB118_902:
	s_or_b64 exec, exec, s[0:1]
	v_lshl_add_u32 v156, v253, 4, v252
	s_barrier
	ds_write2_b64 v156, v[60:61], v[62:63] offset1:1
	s_waitcnt lgkmcnt(0)
	s_barrier
	ds_read2_b64 v[240:243], v252 offset0:86 offset1:87
	s_cmp_lt_i32 s20, 45
	v_mov_b32_e32 v250, 43
	s_cbranch_scc1 .LBB118_905
; %bb.903:
	v_add_u32_e32 v246, 0x2c0, v252
	s_mov_b32 s0, 44
	v_mov_b32_e32 v250, 43
.LBB118_904:                            ; =>This Inner Loop Header: Depth=1
	ds_read2_b64 v[164:167], v246 offset1:1
	s_waitcnt lgkmcnt(1)
	v_cmp_gt_f64_e32 vcc, 0, v[240:241]
	v_xor_b32_e32 v156, 0x80000000, v241
	v_xor_b32_e32 v158, 0x80000000, v243
	v_cndmask_b32_e32 v157, v241, v156, vcc
	v_cmp_gt_f64_e32 vcc, 0, v[242:243]
	v_mov_b32_e32 v156, v240
	s_waitcnt lgkmcnt(0)
	v_xor_b32_e32 v216, 0x80000000, v167
	v_cndmask_b32_e32 v159, v243, v158, vcc
	v_mov_b32_e32 v158, v242
	v_add_f64 v[156:157], v[156:157], v[158:159]
	v_cmp_gt_f64_e32 vcc, 0, v[164:165]
	v_xor_b32_e32 v158, 0x80000000, v165
	v_add_u32_e32 v246, 16, v246
	v_cndmask_b32_e32 v159, v165, v158, vcc
	v_cmp_gt_f64_e32 vcc, 0, v[166:167]
	v_mov_b32_e32 v158, v164
	s_nop 0
	v_cndmask_b32_e32 v217, v167, v216, vcc
	v_mov_b32_e32 v216, v166
	v_add_f64 v[158:159], v[158:159], v[216:217]
	v_cmp_lt_f64_e32 vcc, v[156:157], v[158:159]
	v_mov_b32_e32 v156, s0
	s_add_i32 s0, s0, 1
	v_cndmask_b32_e32 v241, v241, v165, vcc
	v_cndmask_b32_e32 v240, v240, v164, vcc
	;; [unrolled: 1-line block ×5, first 2 shown]
	s_cmp_lg_u32 s20, s0
	s_cbranch_scc1 .LBB118_904
.LBB118_905:
	s_waitcnt lgkmcnt(0)
	v_cmp_eq_f64_e32 vcc, 0, v[240:241]
	v_cmp_eq_f64_e64 s[0:1], 0, v[242:243]
	s_and_b64 s[0:1], vcc, s[0:1]
	s_and_saveexec_b64 s[16:17], s[0:1]
	s_xor_b64 s[0:1], exec, s[16:17]
; %bb.906:
	v_cmp_ne_u32_e32 vcc, 0, v254
	s_nop 1
	v_cndmask_b32_e32 v254, 44, v254, vcc
; %bb.907:
	s_andn2_saveexec_b64 s[0:1], s[0:1]
	s_cbranch_execz .LBB118_913
; %bb.908:
	v_cmp_ngt_f64_e64 s[16:17], |v[240:241]|, |v[242:243]|
	s_and_saveexec_b64 s[18:19], s[16:17]
	s_xor_b64 s[16:17], exec, s[18:19]
	s_cbranch_execz .LBB118_910
; %bb.909:
	v_div_scale_f64 v[156:157], s[18:19], v[242:243], v[242:243], v[240:241]
	v_rcp_f64_e32 v[158:159], v[156:157]
	v_div_scale_f64 v[164:165], vcc, v[240:241], v[242:243], v[240:241]
	v_fma_f64 v[166:167], -v[156:157], v[158:159], 1.0
	v_fmac_f64_e32 v[158:159], v[158:159], v[166:167]
	v_fma_f64 v[166:167], -v[156:157], v[158:159], 1.0
	v_fmac_f64_e32 v[158:159], v[158:159], v[166:167]
	v_mul_f64 v[166:167], v[164:165], v[158:159]
	v_fma_f64 v[156:157], -v[156:157], v[166:167], v[164:165]
	v_div_fmas_f64 v[156:157], v[156:157], v[158:159], v[166:167]
	v_div_fixup_f64 v[156:157], v[156:157], v[242:243], v[240:241]
	v_fmac_f64_e32 v[242:243], v[240:241], v[156:157]
	v_div_scale_f64 v[158:159], s[18:19], v[242:243], v[242:243], 1.0
	v_rcp_f64_e32 v[164:165], v[158:159]
	s_nop 0
	v_fma_f64 v[166:167], -v[158:159], v[164:165], 1.0
	v_fmac_f64_e32 v[164:165], v[164:165], v[166:167]
	v_fma_f64 v[166:167], -v[158:159], v[164:165], 1.0
	v_fmac_f64_e32 v[164:165], v[164:165], v[166:167]
	v_div_scale_f64 v[166:167], vcc, 1.0, v[242:243], 1.0
	v_mul_f64 v[216:217], v[166:167], v[164:165]
	v_fma_f64 v[158:159], -v[158:159], v[216:217], v[166:167]
	s_nop 1
	v_div_fmas_f64 v[158:159], v[158:159], v[164:165], v[216:217]
	v_div_fixup_f64 v[242:243], v[158:159], v[242:243], 1.0
	v_mul_f64 v[240:241], v[156:157], v[242:243]
	v_xor_b32_e32 v243, 0x80000000, v243
.LBB118_910:
	s_andn2_saveexec_b64 s[16:17], s[16:17]
	s_cbranch_execz .LBB118_912
; %bb.911:
	v_div_scale_f64 v[156:157], s[18:19], v[240:241], v[240:241], v[242:243]
	v_rcp_f64_e32 v[158:159], v[156:157]
	v_div_scale_f64 v[164:165], vcc, v[242:243], v[240:241], v[242:243]
	v_fma_f64 v[166:167], -v[156:157], v[158:159], 1.0
	v_fmac_f64_e32 v[158:159], v[158:159], v[166:167]
	v_fma_f64 v[166:167], -v[156:157], v[158:159], 1.0
	v_fmac_f64_e32 v[158:159], v[158:159], v[166:167]
	v_mul_f64 v[166:167], v[164:165], v[158:159]
	v_fma_f64 v[156:157], -v[156:157], v[166:167], v[164:165]
	v_div_fmas_f64 v[156:157], v[156:157], v[158:159], v[166:167]
	v_div_fixup_f64 v[156:157], v[156:157], v[240:241], v[242:243]
	v_fmac_f64_e32 v[240:241], v[242:243], v[156:157]
	v_div_scale_f64 v[158:159], s[18:19], v[240:241], v[240:241], 1.0
	v_rcp_f64_e32 v[164:165], v[158:159]
	s_nop 0
	v_fma_f64 v[166:167], -v[158:159], v[164:165], 1.0
	v_fmac_f64_e32 v[164:165], v[164:165], v[166:167]
	v_fma_f64 v[166:167], -v[158:159], v[164:165], 1.0
	v_fmac_f64_e32 v[164:165], v[164:165], v[166:167]
	v_div_scale_f64 v[166:167], vcc, 1.0, v[240:241], 1.0
	v_mul_f64 v[216:217], v[166:167], v[164:165]
	v_fma_f64 v[158:159], -v[158:159], v[216:217], v[166:167]
	s_nop 1
	v_div_fmas_f64 v[158:159], v[158:159], v[164:165], v[216:217]
	v_div_fixup_f64 v[240:241], v[158:159], v[240:241], 1.0
	v_mul_f64 v[242:243], v[156:157], -v[240:241]
.LBB118_912:
	s_or_b64 exec, exec, s[16:17]
.LBB118_913:
	s_or_b64 exec, exec, s[0:1]
	v_cmp_ne_u32_e32 vcc, v253, v250
	s_and_saveexec_b64 s[0:1], vcc
	s_xor_b64 s[0:1], exec, s[0:1]
	s_cbranch_execz .LBB118_919
; %bb.914:
	v_cmp_eq_u32_e32 vcc, 43, v253
	s_and_saveexec_b64 s[16:17], vcc
	s_cbranch_execz .LBB118_918
; %bb.915:
	v_cmp_ne_u32_e32 vcc, 43, v250
	s_xor_b64 s[18:19], s[14:15], -1
	s_and_b64 s[22:23], s[18:19], vcc
	s_and_saveexec_b64 s[18:19], s[22:23]
	s_cbranch_execz .LBB118_917
; %bb.916:
	v_ashrrev_i32_e32 v251, 31, v250
	v_lshl_add_u64 v[156:157], v[250:251], 2, v[234:235]
	global_load_dword v158, v[156:157], off
	global_load_dword v159, v[234:235], off offset:172
	s_waitcnt vmcnt(1)
	global_store_dword v[234:235], v158, off offset:172
	s_waitcnt vmcnt(1)
	global_store_dword v[156:157], v159, off
.LBB118_917:
	s_or_b64 exec, exec, s[18:19]
	v_mov_b32_e32 v253, v250
	v_mov_b32_e32 v244, v250
.LBB118_918:
	s_or_b64 exec, exec, s[16:17]
.LBB118_919:
	s_andn2_saveexec_b64 s[0:1], s[0:1]
	s_cbranch_execz .LBB118_921
; %bb.920:
	v_mov_b32_e32 v253, 43
	ds_write2_b64 v252, v[56:57], v[58:59] offset0:88 offset1:89
	ds_write2_b64 v252, v[52:53], v[54:55] offset0:90 offset1:91
	;; [unrolled: 1-line block ×16, first 2 shown]
.LBB118_921:
	s_or_b64 exec, exec, s[0:1]
	v_cmp_lt_i32_e32 vcc, 43, v253
	s_waitcnt lgkmcnt(0)
	s_barrier
	s_and_saveexec_b64 s[0:1], vcc
	s_cbranch_execz .LBB118_923
; %bb.922:
	ds_read2_b64 v[164:167], v252 offset0:88 offset1:89
	v_mul_f64 v[250:251], v[240:241], v[62:63]
	v_fmac_f64_e32 v[250:251], v[242:243], v[60:61]
	v_mul_f64 v[62:63], v[242:243], v[62:63]
	v_fma_f64 v[60:61], v[240:241], v[60:61], -v[62:63]
	s_waitcnt lgkmcnt(0)
	v_mul_f64 v[62:63], v[166:167], v[250:251]
	v_mul_f64 v[156:157], v[164:165], v[250:251]
	v_fma_f64 v[62:63], v[164:165], v[60:61], -v[62:63]
	v_fmac_f64_e32 v[156:157], v[166:167], v[60:61]
	ds_read2_b64 v[164:167], v252 offset0:90 offset1:91
	v_add_f64 v[56:57], v[56:57], -v[62:63]
	v_add_f64 v[58:59], v[58:59], -v[156:157]
	s_waitcnt lgkmcnt(0)
	v_mul_f64 v[62:63], v[166:167], v[250:251]
	v_mul_f64 v[156:157], v[164:165], v[250:251]
	v_fma_f64 v[62:63], v[164:165], v[60:61], -v[62:63]
	v_fmac_f64_e32 v[156:157], v[166:167], v[60:61]
	ds_read2_b64 v[164:167], v252 offset0:92 offset1:93
	v_add_f64 v[52:53], v[52:53], -v[62:63]
	v_add_f64 v[54:55], v[54:55], -v[156:157]
	;; [unrolled: 8-line block ×15, first 2 shown]
	s_waitcnt lgkmcnt(0)
	v_mul_f64 v[62:63], v[166:167], v[250:251]
	v_mul_f64 v[156:157], v[164:165], v[250:251]
	v_fma_f64 v[62:63], v[164:165], v[60:61], -v[62:63]
	v_fmac_f64_e32 v[156:157], v[166:167], v[60:61]
	v_add_f64 v[236:237], v[236:237], -v[62:63]
	v_add_f64 v[238:239], v[238:239], -v[156:157]
	v_mov_b64_e32 v[62:63], v[250:251]
.LBB118_923:
	s_or_b64 exec, exec, s[0:1]
	v_lshl_add_u32 v156, v253, 4, v252
	s_barrier
	ds_write2_b64 v156, v[56:57], v[58:59] offset1:1
	s_waitcnt lgkmcnt(0)
	s_barrier
	ds_read2_b64 v[240:243], v252 offset0:88 offset1:89
	s_cmp_lt_i32 s20, 46
	v_mov_b32_e32 v250, 44
	s_cbranch_scc1 .LBB118_926
; %bb.924:
	v_add_u32_e32 v246, 0x2d0, v252
	s_mov_b32 s0, 45
	v_mov_b32_e32 v250, 44
.LBB118_925:                            ; =>This Inner Loop Header: Depth=1
	ds_read2_b64 v[164:167], v246 offset1:1
	s_waitcnt lgkmcnt(1)
	v_cmp_gt_f64_e32 vcc, 0, v[240:241]
	v_xor_b32_e32 v156, 0x80000000, v241
	v_xor_b32_e32 v158, 0x80000000, v243
	v_cndmask_b32_e32 v157, v241, v156, vcc
	v_cmp_gt_f64_e32 vcc, 0, v[242:243]
	v_mov_b32_e32 v156, v240
	s_waitcnt lgkmcnt(0)
	v_xor_b32_e32 v216, 0x80000000, v167
	v_cndmask_b32_e32 v159, v243, v158, vcc
	v_mov_b32_e32 v158, v242
	v_add_f64 v[156:157], v[156:157], v[158:159]
	v_cmp_gt_f64_e32 vcc, 0, v[164:165]
	v_xor_b32_e32 v158, 0x80000000, v165
	v_add_u32_e32 v246, 16, v246
	v_cndmask_b32_e32 v159, v165, v158, vcc
	v_cmp_gt_f64_e32 vcc, 0, v[166:167]
	v_mov_b32_e32 v158, v164
	s_nop 0
	v_cndmask_b32_e32 v217, v167, v216, vcc
	v_mov_b32_e32 v216, v166
	v_add_f64 v[158:159], v[158:159], v[216:217]
	v_cmp_lt_f64_e32 vcc, v[156:157], v[158:159]
	v_mov_b32_e32 v156, s0
	s_add_i32 s0, s0, 1
	v_cndmask_b32_e32 v241, v241, v165, vcc
	v_cndmask_b32_e32 v240, v240, v164, vcc
	;; [unrolled: 1-line block ×5, first 2 shown]
	s_cmp_lg_u32 s20, s0
	s_cbranch_scc1 .LBB118_925
.LBB118_926:
	s_waitcnt lgkmcnt(0)
	v_cmp_eq_f64_e32 vcc, 0, v[240:241]
	v_cmp_eq_f64_e64 s[0:1], 0, v[242:243]
	s_and_b64 s[0:1], vcc, s[0:1]
	s_and_saveexec_b64 s[16:17], s[0:1]
	s_xor_b64 s[0:1], exec, s[16:17]
; %bb.927:
	v_cmp_ne_u32_e32 vcc, 0, v254
	s_nop 1
	v_cndmask_b32_e32 v254, 45, v254, vcc
; %bb.928:
	s_andn2_saveexec_b64 s[0:1], s[0:1]
	s_cbranch_execz .LBB118_934
; %bb.929:
	v_cmp_ngt_f64_e64 s[16:17], |v[240:241]|, |v[242:243]|
	s_and_saveexec_b64 s[18:19], s[16:17]
	s_xor_b64 s[16:17], exec, s[18:19]
	s_cbranch_execz .LBB118_931
; %bb.930:
	v_div_scale_f64 v[156:157], s[18:19], v[242:243], v[242:243], v[240:241]
	v_rcp_f64_e32 v[158:159], v[156:157]
	v_div_scale_f64 v[164:165], vcc, v[240:241], v[242:243], v[240:241]
	v_fma_f64 v[166:167], -v[156:157], v[158:159], 1.0
	v_fmac_f64_e32 v[158:159], v[158:159], v[166:167]
	v_fma_f64 v[166:167], -v[156:157], v[158:159], 1.0
	v_fmac_f64_e32 v[158:159], v[158:159], v[166:167]
	v_mul_f64 v[166:167], v[164:165], v[158:159]
	v_fma_f64 v[156:157], -v[156:157], v[166:167], v[164:165]
	v_div_fmas_f64 v[156:157], v[156:157], v[158:159], v[166:167]
	v_div_fixup_f64 v[156:157], v[156:157], v[242:243], v[240:241]
	v_fmac_f64_e32 v[242:243], v[240:241], v[156:157]
	v_div_scale_f64 v[158:159], s[18:19], v[242:243], v[242:243], 1.0
	v_rcp_f64_e32 v[164:165], v[158:159]
	s_nop 0
	v_fma_f64 v[166:167], -v[158:159], v[164:165], 1.0
	v_fmac_f64_e32 v[164:165], v[164:165], v[166:167]
	v_fma_f64 v[166:167], -v[158:159], v[164:165], 1.0
	v_fmac_f64_e32 v[164:165], v[164:165], v[166:167]
	v_div_scale_f64 v[166:167], vcc, 1.0, v[242:243], 1.0
	v_mul_f64 v[216:217], v[166:167], v[164:165]
	v_fma_f64 v[158:159], -v[158:159], v[216:217], v[166:167]
	s_nop 1
	v_div_fmas_f64 v[158:159], v[158:159], v[164:165], v[216:217]
	v_div_fixup_f64 v[242:243], v[158:159], v[242:243], 1.0
	v_mul_f64 v[240:241], v[156:157], v[242:243]
	v_xor_b32_e32 v243, 0x80000000, v243
.LBB118_931:
	s_andn2_saveexec_b64 s[16:17], s[16:17]
	s_cbranch_execz .LBB118_933
; %bb.932:
	v_div_scale_f64 v[156:157], s[18:19], v[240:241], v[240:241], v[242:243]
	v_rcp_f64_e32 v[158:159], v[156:157]
	v_div_scale_f64 v[164:165], vcc, v[242:243], v[240:241], v[242:243]
	v_fma_f64 v[166:167], -v[156:157], v[158:159], 1.0
	v_fmac_f64_e32 v[158:159], v[158:159], v[166:167]
	v_fma_f64 v[166:167], -v[156:157], v[158:159], 1.0
	v_fmac_f64_e32 v[158:159], v[158:159], v[166:167]
	v_mul_f64 v[166:167], v[164:165], v[158:159]
	v_fma_f64 v[156:157], -v[156:157], v[166:167], v[164:165]
	v_div_fmas_f64 v[156:157], v[156:157], v[158:159], v[166:167]
	v_div_fixup_f64 v[156:157], v[156:157], v[240:241], v[242:243]
	v_fmac_f64_e32 v[240:241], v[242:243], v[156:157]
	v_div_scale_f64 v[158:159], s[18:19], v[240:241], v[240:241], 1.0
	v_rcp_f64_e32 v[164:165], v[158:159]
	s_nop 0
	v_fma_f64 v[166:167], -v[158:159], v[164:165], 1.0
	v_fmac_f64_e32 v[164:165], v[164:165], v[166:167]
	v_fma_f64 v[166:167], -v[158:159], v[164:165], 1.0
	v_fmac_f64_e32 v[164:165], v[164:165], v[166:167]
	v_div_scale_f64 v[166:167], vcc, 1.0, v[240:241], 1.0
	v_mul_f64 v[216:217], v[166:167], v[164:165]
	v_fma_f64 v[158:159], -v[158:159], v[216:217], v[166:167]
	s_nop 1
	v_div_fmas_f64 v[158:159], v[158:159], v[164:165], v[216:217]
	v_div_fixup_f64 v[240:241], v[158:159], v[240:241], 1.0
	v_mul_f64 v[242:243], v[156:157], -v[240:241]
.LBB118_933:
	s_or_b64 exec, exec, s[16:17]
.LBB118_934:
	s_or_b64 exec, exec, s[0:1]
	v_cmp_ne_u32_e32 vcc, v253, v250
	s_and_saveexec_b64 s[0:1], vcc
	s_xor_b64 s[0:1], exec, s[0:1]
	s_cbranch_execz .LBB118_940
; %bb.935:
	v_cmp_eq_u32_e32 vcc, 44, v253
	s_and_saveexec_b64 s[16:17], vcc
	s_cbranch_execz .LBB118_939
; %bb.936:
	v_cmp_ne_u32_e32 vcc, 44, v250
	s_xor_b64 s[18:19], s[14:15], -1
	s_and_b64 s[22:23], s[18:19], vcc
	s_and_saveexec_b64 s[18:19], s[22:23]
	s_cbranch_execz .LBB118_938
; %bb.937:
	v_ashrrev_i32_e32 v251, 31, v250
	v_lshl_add_u64 v[156:157], v[250:251], 2, v[234:235]
	global_load_dword v158, v[156:157], off
	global_load_dword v159, v[234:235], off offset:176
	s_waitcnt vmcnt(1)
	global_store_dword v[234:235], v158, off offset:176
	s_waitcnt vmcnt(1)
	global_store_dword v[156:157], v159, off
.LBB118_938:
	s_or_b64 exec, exec, s[18:19]
	v_mov_b32_e32 v253, v250
	v_mov_b32_e32 v244, v250
.LBB118_939:
	s_or_b64 exec, exec, s[16:17]
.LBB118_940:
	s_andn2_saveexec_b64 s[0:1], s[0:1]
	s_cbranch_execz .LBB118_942
; %bb.941:
	v_mov_b32_e32 v253, 44
	ds_write2_b64 v252, v[52:53], v[54:55] offset0:90 offset1:91
	ds_write2_b64 v252, v[48:49], v[50:51] offset0:92 offset1:93
	;; [unrolled: 1-line block ×15, first 2 shown]
.LBB118_942:
	s_or_b64 exec, exec, s[0:1]
	v_cmp_lt_i32_e32 vcc, 44, v253
	s_waitcnt lgkmcnt(0)
	s_barrier
	s_and_saveexec_b64 s[0:1], vcc
	s_cbranch_execz .LBB118_944
; %bb.943:
	ds_read2_b64 v[164:167], v252 offset0:90 offset1:91
	v_mul_f64 v[250:251], v[240:241], v[58:59]
	v_fmac_f64_e32 v[250:251], v[242:243], v[56:57]
	v_mul_f64 v[58:59], v[242:243], v[58:59]
	v_fma_f64 v[56:57], v[240:241], v[56:57], -v[58:59]
	s_waitcnt lgkmcnt(0)
	v_mul_f64 v[58:59], v[166:167], v[250:251]
	v_mul_f64 v[156:157], v[164:165], v[250:251]
	v_fma_f64 v[58:59], v[164:165], v[56:57], -v[58:59]
	v_fmac_f64_e32 v[156:157], v[166:167], v[56:57]
	ds_read2_b64 v[164:167], v252 offset0:92 offset1:93
	v_add_f64 v[52:53], v[52:53], -v[58:59]
	v_add_f64 v[54:55], v[54:55], -v[156:157]
	s_waitcnt lgkmcnt(0)
	v_mul_f64 v[58:59], v[166:167], v[250:251]
	v_mul_f64 v[156:157], v[164:165], v[250:251]
	v_fma_f64 v[58:59], v[164:165], v[56:57], -v[58:59]
	v_fmac_f64_e32 v[156:157], v[166:167], v[56:57]
	ds_read2_b64 v[164:167], v252 offset0:94 offset1:95
	v_add_f64 v[48:49], v[48:49], -v[58:59]
	v_add_f64 v[50:51], v[50:51], -v[156:157]
	;; [unrolled: 8-line block ×14, first 2 shown]
	s_waitcnt lgkmcnt(0)
	v_mul_f64 v[58:59], v[166:167], v[250:251]
	v_mul_f64 v[156:157], v[164:165], v[250:251]
	v_fma_f64 v[58:59], v[164:165], v[56:57], -v[58:59]
	v_fmac_f64_e32 v[156:157], v[166:167], v[56:57]
	v_add_f64 v[236:237], v[236:237], -v[58:59]
	v_add_f64 v[238:239], v[238:239], -v[156:157]
	v_mov_b64_e32 v[58:59], v[250:251]
.LBB118_944:
	s_or_b64 exec, exec, s[0:1]
	v_lshl_add_u32 v156, v253, 4, v252
	s_barrier
	ds_write2_b64 v156, v[52:53], v[54:55] offset1:1
	s_waitcnt lgkmcnt(0)
	s_barrier
	ds_read2_b64 v[240:243], v252 offset0:90 offset1:91
	s_cmp_lt_i32 s20, 47
	v_mov_b32_e32 v250, 45
	s_cbranch_scc1 .LBB118_947
; %bb.945:
	v_add_u32_e32 v246, 0x2e0, v252
	s_mov_b32 s0, 46
	v_mov_b32_e32 v250, 45
.LBB118_946:                            ; =>This Inner Loop Header: Depth=1
	ds_read2_b64 v[164:167], v246 offset1:1
	s_waitcnt lgkmcnt(1)
	v_cmp_gt_f64_e32 vcc, 0, v[240:241]
	v_xor_b32_e32 v156, 0x80000000, v241
	v_xor_b32_e32 v158, 0x80000000, v243
	v_cndmask_b32_e32 v157, v241, v156, vcc
	v_cmp_gt_f64_e32 vcc, 0, v[242:243]
	v_mov_b32_e32 v156, v240
	s_waitcnt lgkmcnt(0)
	v_xor_b32_e32 v216, 0x80000000, v167
	v_cndmask_b32_e32 v159, v243, v158, vcc
	v_mov_b32_e32 v158, v242
	v_add_f64 v[156:157], v[156:157], v[158:159]
	v_cmp_gt_f64_e32 vcc, 0, v[164:165]
	v_xor_b32_e32 v158, 0x80000000, v165
	v_add_u32_e32 v246, 16, v246
	v_cndmask_b32_e32 v159, v165, v158, vcc
	v_cmp_gt_f64_e32 vcc, 0, v[166:167]
	v_mov_b32_e32 v158, v164
	s_nop 0
	v_cndmask_b32_e32 v217, v167, v216, vcc
	v_mov_b32_e32 v216, v166
	v_add_f64 v[158:159], v[158:159], v[216:217]
	v_cmp_lt_f64_e32 vcc, v[156:157], v[158:159]
	v_mov_b32_e32 v156, s0
	s_add_i32 s0, s0, 1
	v_cndmask_b32_e32 v241, v241, v165, vcc
	v_cndmask_b32_e32 v240, v240, v164, vcc
	;; [unrolled: 1-line block ×5, first 2 shown]
	s_cmp_lg_u32 s20, s0
	s_cbranch_scc1 .LBB118_946
.LBB118_947:
	s_waitcnt lgkmcnt(0)
	v_cmp_eq_f64_e32 vcc, 0, v[240:241]
	v_cmp_eq_f64_e64 s[0:1], 0, v[242:243]
	s_and_b64 s[0:1], vcc, s[0:1]
	s_and_saveexec_b64 s[16:17], s[0:1]
	s_xor_b64 s[0:1], exec, s[16:17]
; %bb.948:
	v_cmp_ne_u32_e32 vcc, 0, v254
	s_nop 1
	v_cndmask_b32_e32 v254, 46, v254, vcc
; %bb.949:
	s_andn2_saveexec_b64 s[0:1], s[0:1]
	s_cbranch_execz .LBB118_955
; %bb.950:
	v_cmp_ngt_f64_e64 s[16:17], |v[240:241]|, |v[242:243]|
	s_and_saveexec_b64 s[18:19], s[16:17]
	s_xor_b64 s[16:17], exec, s[18:19]
	s_cbranch_execz .LBB118_952
; %bb.951:
	v_div_scale_f64 v[156:157], s[18:19], v[242:243], v[242:243], v[240:241]
	v_rcp_f64_e32 v[158:159], v[156:157]
	v_div_scale_f64 v[164:165], vcc, v[240:241], v[242:243], v[240:241]
	v_fma_f64 v[166:167], -v[156:157], v[158:159], 1.0
	v_fmac_f64_e32 v[158:159], v[158:159], v[166:167]
	v_fma_f64 v[166:167], -v[156:157], v[158:159], 1.0
	v_fmac_f64_e32 v[158:159], v[158:159], v[166:167]
	v_mul_f64 v[166:167], v[164:165], v[158:159]
	v_fma_f64 v[156:157], -v[156:157], v[166:167], v[164:165]
	v_div_fmas_f64 v[156:157], v[156:157], v[158:159], v[166:167]
	v_div_fixup_f64 v[156:157], v[156:157], v[242:243], v[240:241]
	v_fmac_f64_e32 v[242:243], v[240:241], v[156:157]
	v_div_scale_f64 v[158:159], s[18:19], v[242:243], v[242:243], 1.0
	v_rcp_f64_e32 v[164:165], v[158:159]
	s_nop 0
	v_fma_f64 v[166:167], -v[158:159], v[164:165], 1.0
	v_fmac_f64_e32 v[164:165], v[164:165], v[166:167]
	v_fma_f64 v[166:167], -v[158:159], v[164:165], 1.0
	v_fmac_f64_e32 v[164:165], v[164:165], v[166:167]
	v_div_scale_f64 v[166:167], vcc, 1.0, v[242:243], 1.0
	v_mul_f64 v[216:217], v[166:167], v[164:165]
	v_fma_f64 v[158:159], -v[158:159], v[216:217], v[166:167]
	s_nop 1
	v_div_fmas_f64 v[158:159], v[158:159], v[164:165], v[216:217]
	v_div_fixup_f64 v[242:243], v[158:159], v[242:243], 1.0
	v_mul_f64 v[240:241], v[156:157], v[242:243]
	v_xor_b32_e32 v243, 0x80000000, v243
.LBB118_952:
	s_andn2_saveexec_b64 s[16:17], s[16:17]
	s_cbranch_execz .LBB118_954
; %bb.953:
	v_div_scale_f64 v[156:157], s[18:19], v[240:241], v[240:241], v[242:243]
	v_rcp_f64_e32 v[158:159], v[156:157]
	v_div_scale_f64 v[164:165], vcc, v[242:243], v[240:241], v[242:243]
	v_fma_f64 v[166:167], -v[156:157], v[158:159], 1.0
	v_fmac_f64_e32 v[158:159], v[158:159], v[166:167]
	v_fma_f64 v[166:167], -v[156:157], v[158:159], 1.0
	v_fmac_f64_e32 v[158:159], v[158:159], v[166:167]
	v_mul_f64 v[166:167], v[164:165], v[158:159]
	v_fma_f64 v[156:157], -v[156:157], v[166:167], v[164:165]
	v_div_fmas_f64 v[156:157], v[156:157], v[158:159], v[166:167]
	v_div_fixup_f64 v[156:157], v[156:157], v[240:241], v[242:243]
	v_fmac_f64_e32 v[240:241], v[242:243], v[156:157]
	v_div_scale_f64 v[158:159], s[18:19], v[240:241], v[240:241], 1.0
	v_rcp_f64_e32 v[164:165], v[158:159]
	s_nop 0
	v_fma_f64 v[166:167], -v[158:159], v[164:165], 1.0
	v_fmac_f64_e32 v[164:165], v[164:165], v[166:167]
	v_fma_f64 v[166:167], -v[158:159], v[164:165], 1.0
	v_fmac_f64_e32 v[164:165], v[164:165], v[166:167]
	v_div_scale_f64 v[166:167], vcc, 1.0, v[240:241], 1.0
	v_mul_f64 v[216:217], v[166:167], v[164:165]
	v_fma_f64 v[158:159], -v[158:159], v[216:217], v[166:167]
	s_nop 1
	v_div_fmas_f64 v[158:159], v[158:159], v[164:165], v[216:217]
	v_div_fixup_f64 v[240:241], v[158:159], v[240:241], 1.0
	v_mul_f64 v[242:243], v[156:157], -v[240:241]
.LBB118_954:
	s_or_b64 exec, exec, s[16:17]
.LBB118_955:
	s_or_b64 exec, exec, s[0:1]
	v_cmp_ne_u32_e32 vcc, v253, v250
	s_and_saveexec_b64 s[0:1], vcc
	s_xor_b64 s[0:1], exec, s[0:1]
	s_cbranch_execz .LBB118_961
; %bb.956:
	v_cmp_eq_u32_e32 vcc, 45, v253
	s_and_saveexec_b64 s[16:17], vcc
	s_cbranch_execz .LBB118_960
; %bb.957:
	v_cmp_ne_u32_e32 vcc, 45, v250
	s_xor_b64 s[18:19], s[14:15], -1
	s_and_b64 s[22:23], s[18:19], vcc
	s_and_saveexec_b64 s[18:19], s[22:23]
	s_cbranch_execz .LBB118_959
; %bb.958:
	v_ashrrev_i32_e32 v251, 31, v250
	v_lshl_add_u64 v[156:157], v[250:251], 2, v[234:235]
	global_load_dword v158, v[156:157], off
	global_load_dword v159, v[234:235], off offset:180
	s_waitcnt vmcnt(1)
	global_store_dword v[234:235], v158, off offset:180
	s_waitcnt vmcnt(1)
	global_store_dword v[156:157], v159, off
.LBB118_959:
	s_or_b64 exec, exec, s[18:19]
	v_mov_b32_e32 v253, v250
	v_mov_b32_e32 v244, v250
.LBB118_960:
	s_or_b64 exec, exec, s[16:17]
.LBB118_961:
	s_andn2_saveexec_b64 s[0:1], s[0:1]
	s_cbranch_execz .LBB118_963
; %bb.962:
	v_mov_b32_e32 v253, 45
	ds_write2_b64 v252, v[48:49], v[50:51] offset0:92 offset1:93
	ds_write2_b64 v252, v[44:45], v[46:47] offset0:94 offset1:95
	;; [unrolled: 1-line block ×14, first 2 shown]
.LBB118_963:
	s_or_b64 exec, exec, s[0:1]
	v_cmp_lt_i32_e32 vcc, 45, v253
	s_waitcnt lgkmcnt(0)
	s_barrier
	s_and_saveexec_b64 s[0:1], vcc
	s_cbranch_execz .LBB118_965
; %bb.964:
	ds_read2_b64 v[164:167], v252 offset0:92 offset1:93
	v_mul_f64 v[250:251], v[240:241], v[54:55]
	v_fmac_f64_e32 v[250:251], v[242:243], v[52:53]
	v_mul_f64 v[54:55], v[242:243], v[54:55]
	v_fma_f64 v[52:53], v[240:241], v[52:53], -v[54:55]
	s_waitcnt lgkmcnt(0)
	v_mul_f64 v[54:55], v[166:167], v[250:251]
	v_mul_f64 v[156:157], v[164:165], v[250:251]
	v_fma_f64 v[54:55], v[164:165], v[52:53], -v[54:55]
	v_fmac_f64_e32 v[156:157], v[166:167], v[52:53]
	ds_read2_b64 v[164:167], v252 offset0:94 offset1:95
	v_add_f64 v[48:49], v[48:49], -v[54:55]
	v_add_f64 v[50:51], v[50:51], -v[156:157]
	s_waitcnt lgkmcnt(0)
	v_mul_f64 v[54:55], v[166:167], v[250:251]
	v_mul_f64 v[156:157], v[164:165], v[250:251]
	v_fma_f64 v[54:55], v[164:165], v[52:53], -v[54:55]
	v_fmac_f64_e32 v[156:157], v[166:167], v[52:53]
	ds_read2_b64 v[164:167], v252 offset0:96 offset1:97
	v_add_f64 v[44:45], v[44:45], -v[54:55]
	v_add_f64 v[46:47], v[46:47], -v[156:157]
	;; [unrolled: 8-line block ×13, first 2 shown]
	s_waitcnt lgkmcnt(0)
	v_mul_f64 v[54:55], v[166:167], v[250:251]
	v_mul_f64 v[156:157], v[164:165], v[250:251]
	v_fma_f64 v[54:55], v[164:165], v[52:53], -v[54:55]
	v_fmac_f64_e32 v[156:157], v[166:167], v[52:53]
	v_add_f64 v[236:237], v[236:237], -v[54:55]
	v_add_f64 v[238:239], v[238:239], -v[156:157]
	v_mov_b64_e32 v[54:55], v[250:251]
.LBB118_965:
	s_or_b64 exec, exec, s[0:1]
	v_lshl_add_u32 v156, v253, 4, v252
	s_barrier
	ds_write2_b64 v156, v[48:49], v[50:51] offset1:1
	s_waitcnt lgkmcnt(0)
	s_barrier
	ds_read2_b64 v[240:243], v252 offset0:92 offset1:93
	s_cmp_lt_i32 s20, 48
	v_mov_b32_e32 v250, 46
	s_cbranch_scc1 .LBB118_968
; %bb.966:
	v_add_u32_e32 v246, 0x2f0, v252
	s_mov_b32 s0, 47
	v_mov_b32_e32 v250, 46
.LBB118_967:                            ; =>This Inner Loop Header: Depth=1
	ds_read2_b64 v[164:167], v246 offset1:1
	s_waitcnt lgkmcnt(1)
	v_cmp_gt_f64_e32 vcc, 0, v[240:241]
	v_xor_b32_e32 v156, 0x80000000, v241
	v_xor_b32_e32 v158, 0x80000000, v243
	v_cndmask_b32_e32 v157, v241, v156, vcc
	v_cmp_gt_f64_e32 vcc, 0, v[242:243]
	v_mov_b32_e32 v156, v240
	s_waitcnt lgkmcnt(0)
	v_xor_b32_e32 v216, 0x80000000, v167
	v_cndmask_b32_e32 v159, v243, v158, vcc
	v_mov_b32_e32 v158, v242
	v_add_f64 v[156:157], v[156:157], v[158:159]
	v_cmp_gt_f64_e32 vcc, 0, v[164:165]
	v_xor_b32_e32 v158, 0x80000000, v165
	v_add_u32_e32 v246, 16, v246
	v_cndmask_b32_e32 v159, v165, v158, vcc
	v_cmp_gt_f64_e32 vcc, 0, v[166:167]
	v_mov_b32_e32 v158, v164
	s_nop 0
	v_cndmask_b32_e32 v217, v167, v216, vcc
	v_mov_b32_e32 v216, v166
	v_add_f64 v[158:159], v[158:159], v[216:217]
	v_cmp_lt_f64_e32 vcc, v[156:157], v[158:159]
	v_mov_b32_e32 v156, s0
	s_add_i32 s0, s0, 1
	v_cndmask_b32_e32 v241, v241, v165, vcc
	v_cndmask_b32_e32 v240, v240, v164, vcc
	;; [unrolled: 1-line block ×5, first 2 shown]
	s_cmp_lg_u32 s20, s0
	s_cbranch_scc1 .LBB118_967
.LBB118_968:
	s_waitcnt lgkmcnt(0)
	v_cmp_eq_f64_e32 vcc, 0, v[240:241]
	v_cmp_eq_f64_e64 s[0:1], 0, v[242:243]
	s_and_b64 s[0:1], vcc, s[0:1]
	s_and_saveexec_b64 s[16:17], s[0:1]
	s_xor_b64 s[0:1], exec, s[16:17]
; %bb.969:
	v_cmp_ne_u32_e32 vcc, 0, v254
	s_nop 1
	v_cndmask_b32_e32 v254, 47, v254, vcc
; %bb.970:
	s_andn2_saveexec_b64 s[0:1], s[0:1]
	s_cbranch_execz .LBB118_976
; %bb.971:
	v_cmp_ngt_f64_e64 s[16:17], |v[240:241]|, |v[242:243]|
	s_and_saveexec_b64 s[18:19], s[16:17]
	s_xor_b64 s[16:17], exec, s[18:19]
	s_cbranch_execz .LBB118_973
; %bb.972:
	v_div_scale_f64 v[156:157], s[18:19], v[242:243], v[242:243], v[240:241]
	v_rcp_f64_e32 v[158:159], v[156:157]
	v_div_scale_f64 v[164:165], vcc, v[240:241], v[242:243], v[240:241]
	v_fma_f64 v[166:167], -v[156:157], v[158:159], 1.0
	v_fmac_f64_e32 v[158:159], v[158:159], v[166:167]
	v_fma_f64 v[166:167], -v[156:157], v[158:159], 1.0
	v_fmac_f64_e32 v[158:159], v[158:159], v[166:167]
	v_mul_f64 v[166:167], v[164:165], v[158:159]
	v_fma_f64 v[156:157], -v[156:157], v[166:167], v[164:165]
	v_div_fmas_f64 v[156:157], v[156:157], v[158:159], v[166:167]
	v_div_fixup_f64 v[156:157], v[156:157], v[242:243], v[240:241]
	v_fmac_f64_e32 v[242:243], v[240:241], v[156:157]
	v_div_scale_f64 v[158:159], s[18:19], v[242:243], v[242:243], 1.0
	v_rcp_f64_e32 v[164:165], v[158:159]
	s_nop 0
	v_fma_f64 v[166:167], -v[158:159], v[164:165], 1.0
	v_fmac_f64_e32 v[164:165], v[164:165], v[166:167]
	v_fma_f64 v[166:167], -v[158:159], v[164:165], 1.0
	v_fmac_f64_e32 v[164:165], v[164:165], v[166:167]
	v_div_scale_f64 v[166:167], vcc, 1.0, v[242:243], 1.0
	v_mul_f64 v[216:217], v[166:167], v[164:165]
	v_fma_f64 v[158:159], -v[158:159], v[216:217], v[166:167]
	s_nop 1
	v_div_fmas_f64 v[158:159], v[158:159], v[164:165], v[216:217]
	v_div_fixup_f64 v[242:243], v[158:159], v[242:243], 1.0
	v_mul_f64 v[240:241], v[156:157], v[242:243]
	v_xor_b32_e32 v243, 0x80000000, v243
.LBB118_973:
	s_andn2_saveexec_b64 s[16:17], s[16:17]
	s_cbranch_execz .LBB118_975
; %bb.974:
	v_div_scale_f64 v[156:157], s[18:19], v[240:241], v[240:241], v[242:243]
	v_rcp_f64_e32 v[158:159], v[156:157]
	v_div_scale_f64 v[164:165], vcc, v[242:243], v[240:241], v[242:243]
	v_fma_f64 v[166:167], -v[156:157], v[158:159], 1.0
	v_fmac_f64_e32 v[158:159], v[158:159], v[166:167]
	v_fma_f64 v[166:167], -v[156:157], v[158:159], 1.0
	v_fmac_f64_e32 v[158:159], v[158:159], v[166:167]
	v_mul_f64 v[166:167], v[164:165], v[158:159]
	v_fma_f64 v[156:157], -v[156:157], v[166:167], v[164:165]
	v_div_fmas_f64 v[156:157], v[156:157], v[158:159], v[166:167]
	v_div_fixup_f64 v[156:157], v[156:157], v[240:241], v[242:243]
	v_fmac_f64_e32 v[240:241], v[242:243], v[156:157]
	v_div_scale_f64 v[158:159], s[18:19], v[240:241], v[240:241], 1.0
	v_rcp_f64_e32 v[164:165], v[158:159]
	s_nop 0
	v_fma_f64 v[166:167], -v[158:159], v[164:165], 1.0
	v_fmac_f64_e32 v[164:165], v[164:165], v[166:167]
	v_fma_f64 v[166:167], -v[158:159], v[164:165], 1.0
	v_fmac_f64_e32 v[164:165], v[164:165], v[166:167]
	v_div_scale_f64 v[166:167], vcc, 1.0, v[240:241], 1.0
	v_mul_f64 v[216:217], v[166:167], v[164:165]
	v_fma_f64 v[158:159], -v[158:159], v[216:217], v[166:167]
	s_nop 1
	v_div_fmas_f64 v[158:159], v[158:159], v[164:165], v[216:217]
	v_div_fixup_f64 v[240:241], v[158:159], v[240:241], 1.0
	v_mul_f64 v[242:243], v[156:157], -v[240:241]
.LBB118_975:
	s_or_b64 exec, exec, s[16:17]
.LBB118_976:
	s_or_b64 exec, exec, s[0:1]
	v_cmp_ne_u32_e32 vcc, v253, v250
	s_and_saveexec_b64 s[0:1], vcc
	s_xor_b64 s[0:1], exec, s[0:1]
	s_cbranch_execz .LBB118_982
; %bb.977:
	v_cmp_eq_u32_e32 vcc, 46, v253
	s_and_saveexec_b64 s[16:17], vcc
	s_cbranch_execz .LBB118_981
; %bb.978:
	v_cmp_ne_u32_e32 vcc, 46, v250
	s_xor_b64 s[18:19], s[14:15], -1
	s_and_b64 s[22:23], s[18:19], vcc
	s_and_saveexec_b64 s[18:19], s[22:23]
	s_cbranch_execz .LBB118_980
; %bb.979:
	v_ashrrev_i32_e32 v251, 31, v250
	v_lshl_add_u64 v[156:157], v[250:251], 2, v[234:235]
	global_load_dword v158, v[156:157], off
	global_load_dword v159, v[234:235], off offset:184
	s_waitcnt vmcnt(1)
	global_store_dword v[234:235], v158, off offset:184
	s_waitcnt vmcnt(1)
	global_store_dword v[156:157], v159, off
.LBB118_980:
	s_or_b64 exec, exec, s[18:19]
	v_mov_b32_e32 v253, v250
	v_mov_b32_e32 v244, v250
.LBB118_981:
	s_or_b64 exec, exec, s[16:17]
.LBB118_982:
	s_andn2_saveexec_b64 s[0:1], s[0:1]
	s_cbranch_execz .LBB118_984
; %bb.983:
	v_mov_b32_e32 v253, 46
	ds_write2_b64 v252, v[44:45], v[46:47] offset0:94 offset1:95
	ds_write2_b64 v252, v[40:41], v[42:43] offset0:96 offset1:97
	ds_write2_b64 v252, v[36:37], v[38:39] offset0:98 offset1:99
	ds_write2_b64 v252, v[32:33], v[34:35] offset0:100 offset1:101
	ds_write2_b64 v252, v[28:29], v[30:31] offset0:102 offset1:103
	ds_write2_b64 v252, v[24:25], v[26:27] offset0:104 offset1:105
	ds_write2_b64 v252, v[20:21], v[22:23] offset0:106 offset1:107
	ds_write2_b64 v252, v[16:17], v[18:19] offset0:108 offset1:109
	ds_write2_b64 v252, v[12:13], v[14:15] offset0:110 offset1:111
	ds_write2_b64 v252, v[230:231], v[232:233] offset0:112 offset1:113
	ds_write2_b64 v252, v[224:225], v[226:227] offset0:114 offset1:115
	ds_write2_b64 v252, v[220:221], v[222:223] offset0:116 offset1:117
	ds_write2_b64 v252, v[236:237], v[238:239] offset0:118 offset1:119
.LBB118_984:
	s_or_b64 exec, exec, s[0:1]
	v_cmp_lt_i32_e32 vcc, 46, v253
	s_waitcnt lgkmcnt(0)
	s_barrier
	s_and_saveexec_b64 s[0:1], vcc
	s_cbranch_execz .LBB118_986
; %bb.985:
	ds_read2_b64 v[164:167], v252 offset0:94 offset1:95
	v_mul_f64 v[250:251], v[240:241], v[50:51]
	v_fmac_f64_e32 v[250:251], v[242:243], v[48:49]
	v_mul_f64 v[50:51], v[242:243], v[50:51]
	v_fma_f64 v[48:49], v[240:241], v[48:49], -v[50:51]
	s_waitcnt lgkmcnt(0)
	v_mul_f64 v[50:51], v[166:167], v[250:251]
	v_mul_f64 v[156:157], v[164:165], v[250:251]
	v_fma_f64 v[50:51], v[164:165], v[48:49], -v[50:51]
	v_fmac_f64_e32 v[156:157], v[166:167], v[48:49]
	ds_read2_b64 v[164:167], v252 offset0:96 offset1:97
	v_add_f64 v[44:45], v[44:45], -v[50:51]
	v_add_f64 v[46:47], v[46:47], -v[156:157]
	s_waitcnt lgkmcnt(0)
	v_mul_f64 v[50:51], v[166:167], v[250:251]
	v_mul_f64 v[156:157], v[164:165], v[250:251]
	v_fma_f64 v[50:51], v[164:165], v[48:49], -v[50:51]
	v_fmac_f64_e32 v[156:157], v[166:167], v[48:49]
	ds_read2_b64 v[164:167], v252 offset0:98 offset1:99
	v_add_f64 v[40:41], v[40:41], -v[50:51]
	v_add_f64 v[42:43], v[42:43], -v[156:157]
	;; [unrolled: 8-line block ×12, first 2 shown]
	s_waitcnt lgkmcnt(0)
	v_mul_f64 v[50:51], v[166:167], v[250:251]
	v_mul_f64 v[156:157], v[164:165], v[250:251]
	v_fma_f64 v[50:51], v[164:165], v[48:49], -v[50:51]
	v_fmac_f64_e32 v[156:157], v[166:167], v[48:49]
	v_add_f64 v[236:237], v[236:237], -v[50:51]
	v_add_f64 v[238:239], v[238:239], -v[156:157]
	v_mov_b64_e32 v[50:51], v[250:251]
.LBB118_986:
	s_or_b64 exec, exec, s[0:1]
	v_lshl_add_u32 v156, v253, 4, v252
	s_barrier
	ds_write2_b64 v156, v[44:45], v[46:47] offset1:1
	s_waitcnt lgkmcnt(0)
	s_barrier
	ds_read2_b64 v[240:243], v252 offset0:94 offset1:95
	s_cmp_lt_i32 s20, 49
	v_mov_b32_e32 v250, 47
	s_cbranch_scc1 .LBB118_989
; %bb.987:
	v_add_u32_e32 v246, 0x300, v252
	s_mov_b32 s0, 48
	v_mov_b32_e32 v250, 47
.LBB118_988:                            ; =>This Inner Loop Header: Depth=1
	ds_read2_b64 v[164:167], v246 offset1:1
	s_waitcnt lgkmcnt(1)
	v_cmp_gt_f64_e32 vcc, 0, v[240:241]
	v_xor_b32_e32 v156, 0x80000000, v241
	v_xor_b32_e32 v158, 0x80000000, v243
	v_cndmask_b32_e32 v157, v241, v156, vcc
	v_cmp_gt_f64_e32 vcc, 0, v[242:243]
	v_mov_b32_e32 v156, v240
	s_waitcnt lgkmcnt(0)
	v_xor_b32_e32 v216, 0x80000000, v167
	v_cndmask_b32_e32 v159, v243, v158, vcc
	v_mov_b32_e32 v158, v242
	v_add_f64 v[156:157], v[156:157], v[158:159]
	v_cmp_gt_f64_e32 vcc, 0, v[164:165]
	v_xor_b32_e32 v158, 0x80000000, v165
	v_add_u32_e32 v246, 16, v246
	v_cndmask_b32_e32 v159, v165, v158, vcc
	v_cmp_gt_f64_e32 vcc, 0, v[166:167]
	v_mov_b32_e32 v158, v164
	s_nop 0
	v_cndmask_b32_e32 v217, v167, v216, vcc
	v_mov_b32_e32 v216, v166
	v_add_f64 v[158:159], v[158:159], v[216:217]
	v_cmp_lt_f64_e32 vcc, v[156:157], v[158:159]
	v_mov_b32_e32 v156, s0
	s_add_i32 s0, s0, 1
	v_cndmask_b32_e32 v241, v241, v165, vcc
	v_cndmask_b32_e32 v240, v240, v164, vcc
	;; [unrolled: 1-line block ×5, first 2 shown]
	s_cmp_lg_u32 s20, s0
	s_cbranch_scc1 .LBB118_988
.LBB118_989:
	s_waitcnt lgkmcnt(0)
	v_cmp_eq_f64_e32 vcc, 0, v[240:241]
	v_cmp_eq_f64_e64 s[0:1], 0, v[242:243]
	s_and_b64 s[0:1], vcc, s[0:1]
	s_and_saveexec_b64 s[16:17], s[0:1]
	s_xor_b64 s[0:1], exec, s[16:17]
; %bb.990:
	v_cmp_ne_u32_e32 vcc, 0, v254
	s_nop 1
	v_cndmask_b32_e32 v254, 48, v254, vcc
; %bb.991:
	s_andn2_saveexec_b64 s[0:1], s[0:1]
	s_cbranch_execz .LBB118_997
; %bb.992:
	v_cmp_ngt_f64_e64 s[16:17], |v[240:241]|, |v[242:243]|
	s_and_saveexec_b64 s[18:19], s[16:17]
	s_xor_b64 s[16:17], exec, s[18:19]
	s_cbranch_execz .LBB118_994
; %bb.993:
	v_div_scale_f64 v[156:157], s[18:19], v[242:243], v[242:243], v[240:241]
	v_rcp_f64_e32 v[158:159], v[156:157]
	v_div_scale_f64 v[164:165], vcc, v[240:241], v[242:243], v[240:241]
	v_fma_f64 v[166:167], -v[156:157], v[158:159], 1.0
	v_fmac_f64_e32 v[158:159], v[158:159], v[166:167]
	v_fma_f64 v[166:167], -v[156:157], v[158:159], 1.0
	v_fmac_f64_e32 v[158:159], v[158:159], v[166:167]
	v_mul_f64 v[166:167], v[164:165], v[158:159]
	v_fma_f64 v[156:157], -v[156:157], v[166:167], v[164:165]
	v_div_fmas_f64 v[156:157], v[156:157], v[158:159], v[166:167]
	v_div_fixup_f64 v[156:157], v[156:157], v[242:243], v[240:241]
	v_fmac_f64_e32 v[242:243], v[240:241], v[156:157]
	v_div_scale_f64 v[158:159], s[18:19], v[242:243], v[242:243], 1.0
	v_rcp_f64_e32 v[164:165], v[158:159]
	s_nop 0
	v_fma_f64 v[166:167], -v[158:159], v[164:165], 1.0
	v_fmac_f64_e32 v[164:165], v[164:165], v[166:167]
	v_fma_f64 v[166:167], -v[158:159], v[164:165], 1.0
	v_fmac_f64_e32 v[164:165], v[164:165], v[166:167]
	v_div_scale_f64 v[166:167], vcc, 1.0, v[242:243], 1.0
	v_mul_f64 v[216:217], v[166:167], v[164:165]
	v_fma_f64 v[158:159], -v[158:159], v[216:217], v[166:167]
	s_nop 1
	v_div_fmas_f64 v[158:159], v[158:159], v[164:165], v[216:217]
	v_div_fixup_f64 v[242:243], v[158:159], v[242:243], 1.0
	v_mul_f64 v[240:241], v[156:157], v[242:243]
	v_xor_b32_e32 v243, 0x80000000, v243
.LBB118_994:
	s_andn2_saveexec_b64 s[16:17], s[16:17]
	s_cbranch_execz .LBB118_996
; %bb.995:
	v_div_scale_f64 v[156:157], s[18:19], v[240:241], v[240:241], v[242:243]
	v_rcp_f64_e32 v[158:159], v[156:157]
	v_div_scale_f64 v[164:165], vcc, v[242:243], v[240:241], v[242:243]
	v_fma_f64 v[166:167], -v[156:157], v[158:159], 1.0
	v_fmac_f64_e32 v[158:159], v[158:159], v[166:167]
	v_fma_f64 v[166:167], -v[156:157], v[158:159], 1.0
	v_fmac_f64_e32 v[158:159], v[158:159], v[166:167]
	v_mul_f64 v[166:167], v[164:165], v[158:159]
	v_fma_f64 v[156:157], -v[156:157], v[166:167], v[164:165]
	v_div_fmas_f64 v[156:157], v[156:157], v[158:159], v[166:167]
	v_div_fixup_f64 v[156:157], v[156:157], v[240:241], v[242:243]
	v_fmac_f64_e32 v[240:241], v[242:243], v[156:157]
	v_div_scale_f64 v[158:159], s[18:19], v[240:241], v[240:241], 1.0
	v_rcp_f64_e32 v[164:165], v[158:159]
	s_nop 0
	v_fma_f64 v[166:167], -v[158:159], v[164:165], 1.0
	v_fmac_f64_e32 v[164:165], v[164:165], v[166:167]
	v_fma_f64 v[166:167], -v[158:159], v[164:165], 1.0
	v_fmac_f64_e32 v[164:165], v[164:165], v[166:167]
	v_div_scale_f64 v[166:167], vcc, 1.0, v[240:241], 1.0
	v_mul_f64 v[216:217], v[166:167], v[164:165]
	v_fma_f64 v[158:159], -v[158:159], v[216:217], v[166:167]
	s_nop 1
	v_div_fmas_f64 v[158:159], v[158:159], v[164:165], v[216:217]
	v_div_fixup_f64 v[240:241], v[158:159], v[240:241], 1.0
	v_mul_f64 v[242:243], v[156:157], -v[240:241]
.LBB118_996:
	s_or_b64 exec, exec, s[16:17]
.LBB118_997:
	s_or_b64 exec, exec, s[0:1]
	v_cmp_ne_u32_e32 vcc, v253, v250
	s_and_saveexec_b64 s[0:1], vcc
	s_xor_b64 s[0:1], exec, s[0:1]
	s_cbranch_execz .LBB118_1003
; %bb.998:
	v_cmp_eq_u32_e32 vcc, 47, v253
	s_and_saveexec_b64 s[16:17], vcc
	s_cbranch_execz .LBB118_1002
; %bb.999:
	v_cmp_ne_u32_e32 vcc, 47, v250
	s_xor_b64 s[18:19], s[14:15], -1
	s_and_b64 s[22:23], s[18:19], vcc
	s_and_saveexec_b64 s[18:19], s[22:23]
	s_cbranch_execz .LBB118_1001
; %bb.1000:
	v_ashrrev_i32_e32 v251, 31, v250
	v_lshl_add_u64 v[156:157], v[250:251], 2, v[234:235]
	global_load_dword v158, v[156:157], off
	global_load_dword v159, v[234:235], off offset:188
	s_waitcnt vmcnt(1)
	global_store_dword v[234:235], v158, off offset:188
	s_waitcnt vmcnt(1)
	global_store_dword v[156:157], v159, off
.LBB118_1001:
	s_or_b64 exec, exec, s[18:19]
	v_mov_b32_e32 v253, v250
	v_mov_b32_e32 v244, v250
.LBB118_1002:
	s_or_b64 exec, exec, s[16:17]
.LBB118_1003:
	s_andn2_saveexec_b64 s[0:1], s[0:1]
	s_cbranch_execz .LBB118_1005
; %bb.1004:
	v_mov_b32_e32 v253, 47
	ds_write2_b64 v252, v[40:41], v[42:43] offset0:96 offset1:97
	ds_write2_b64 v252, v[36:37], v[38:39] offset0:98 offset1:99
	;; [unrolled: 1-line block ×12, first 2 shown]
.LBB118_1005:
	s_or_b64 exec, exec, s[0:1]
	v_cmp_lt_i32_e32 vcc, 47, v253
	s_waitcnt lgkmcnt(0)
	s_barrier
	s_and_saveexec_b64 s[0:1], vcc
	s_cbranch_execz .LBB118_1007
; %bb.1006:
	ds_read2_b64 v[164:167], v252 offset0:96 offset1:97
	v_mul_f64 v[250:251], v[240:241], v[46:47]
	v_fmac_f64_e32 v[250:251], v[242:243], v[44:45]
	v_mul_f64 v[46:47], v[242:243], v[46:47]
	v_fma_f64 v[44:45], v[240:241], v[44:45], -v[46:47]
	s_waitcnt lgkmcnt(0)
	v_mul_f64 v[46:47], v[166:167], v[250:251]
	v_mul_f64 v[156:157], v[164:165], v[250:251]
	v_fma_f64 v[46:47], v[164:165], v[44:45], -v[46:47]
	v_fmac_f64_e32 v[156:157], v[166:167], v[44:45]
	ds_read2_b64 v[164:167], v252 offset0:98 offset1:99
	v_add_f64 v[40:41], v[40:41], -v[46:47]
	v_add_f64 v[42:43], v[42:43], -v[156:157]
	s_waitcnt lgkmcnt(0)
	v_mul_f64 v[46:47], v[166:167], v[250:251]
	v_mul_f64 v[156:157], v[164:165], v[250:251]
	v_fma_f64 v[46:47], v[164:165], v[44:45], -v[46:47]
	v_fmac_f64_e32 v[156:157], v[166:167], v[44:45]
	ds_read2_b64 v[164:167], v252 offset0:100 offset1:101
	v_add_f64 v[36:37], v[36:37], -v[46:47]
	v_add_f64 v[38:39], v[38:39], -v[156:157]
	s_waitcnt lgkmcnt(0)
	v_mul_f64 v[46:47], v[166:167], v[250:251]
	v_mul_f64 v[156:157], v[164:165], v[250:251]
	v_fma_f64 v[46:47], v[164:165], v[44:45], -v[46:47]
	v_fmac_f64_e32 v[156:157], v[166:167], v[44:45]
	ds_read2_b64 v[164:167], v252 offset0:102 offset1:103
	v_add_f64 v[32:33], v[32:33], -v[46:47]
	v_add_f64 v[34:35], v[34:35], -v[156:157]
	s_waitcnt lgkmcnt(0)
	v_mul_f64 v[46:47], v[166:167], v[250:251]
	v_mul_f64 v[156:157], v[164:165], v[250:251]
	v_fma_f64 v[46:47], v[164:165], v[44:45], -v[46:47]
	v_fmac_f64_e32 v[156:157], v[166:167], v[44:45]
	ds_read2_b64 v[164:167], v252 offset0:104 offset1:105
	v_add_f64 v[28:29], v[28:29], -v[46:47]
	v_add_f64 v[30:31], v[30:31], -v[156:157]
	s_waitcnt lgkmcnt(0)
	v_mul_f64 v[46:47], v[166:167], v[250:251]
	v_mul_f64 v[156:157], v[164:165], v[250:251]
	v_fma_f64 v[46:47], v[164:165], v[44:45], -v[46:47]
	v_fmac_f64_e32 v[156:157], v[166:167], v[44:45]
	ds_read2_b64 v[164:167], v252 offset0:106 offset1:107
	v_add_f64 v[24:25], v[24:25], -v[46:47]
	v_add_f64 v[26:27], v[26:27], -v[156:157]
	s_waitcnt lgkmcnt(0)
	v_mul_f64 v[46:47], v[166:167], v[250:251]
	v_mul_f64 v[156:157], v[164:165], v[250:251]
	v_fma_f64 v[46:47], v[164:165], v[44:45], -v[46:47]
	v_fmac_f64_e32 v[156:157], v[166:167], v[44:45]
	ds_read2_b64 v[164:167], v252 offset0:108 offset1:109
	v_add_f64 v[20:21], v[20:21], -v[46:47]
	v_add_f64 v[22:23], v[22:23], -v[156:157]
	s_waitcnt lgkmcnt(0)
	v_mul_f64 v[46:47], v[166:167], v[250:251]
	v_mul_f64 v[156:157], v[164:165], v[250:251]
	v_fma_f64 v[46:47], v[164:165], v[44:45], -v[46:47]
	v_fmac_f64_e32 v[156:157], v[166:167], v[44:45]
	ds_read2_b64 v[164:167], v252 offset0:110 offset1:111
	v_add_f64 v[16:17], v[16:17], -v[46:47]
	v_add_f64 v[18:19], v[18:19], -v[156:157]
	s_waitcnt lgkmcnt(0)
	v_mul_f64 v[46:47], v[166:167], v[250:251]
	v_mul_f64 v[156:157], v[164:165], v[250:251]
	v_fma_f64 v[46:47], v[164:165], v[44:45], -v[46:47]
	v_fmac_f64_e32 v[156:157], v[166:167], v[44:45]
	ds_read2_b64 v[164:167], v252 offset0:112 offset1:113
	v_add_f64 v[12:13], v[12:13], -v[46:47]
	v_add_f64 v[14:15], v[14:15], -v[156:157]
	s_waitcnt lgkmcnt(0)
	v_mul_f64 v[46:47], v[166:167], v[250:251]
	v_mul_f64 v[156:157], v[164:165], v[250:251]
	v_fma_f64 v[46:47], v[164:165], v[44:45], -v[46:47]
	v_fmac_f64_e32 v[156:157], v[166:167], v[44:45]
	ds_read2_b64 v[164:167], v252 offset0:114 offset1:115
	v_add_f64 v[230:231], v[230:231], -v[46:47]
	v_add_f64 v[232:233], v[232:233], -v[156:157]
	s_waitcnt lgkmcnt(0)
	v_mul_f64 v[46:47], v[166:167], v[250:251]
	v_mul_f64 v[156:157], v[164:165], v[250:251]
	v_fma_f64 v[46:47], v[164:165], v[44:45], -v[46:47]
	v_fmac_f64_e32 v[156:157], v[166:167], v[44:45]
	ds_read2_b64 v[164:167], v252 offset0:116 offset1:117
	v_add_f64 v[224:225], v[224:225], -v[46:47]
	v_add_f64 v[226:227], v[226:227], -v[156:157]
	s_waitcnt lgkmcnt(0)
	v_mul_f64 v[46:47], v[166:167], v[250:251]
	v_mul_f64 v[156:157], v[164:165], v[250:251]
	v_fma_f64 v[46:47], v[164:165], v[44:45], -v[46:47]
	v_fmac_f64_e32 v[156:157], v[166:167], v[44:45]
	ds_read2_b64 v[164:167], v252 offset0:118 offset1:119
	v_add_f64 v[220:221], v[220:221], -v[46:47]
	v_add_f64 v[222:223], v[222:223], -v[156:157]
	s_waitcnt lgkmcnt(0)
	v_mul_f64 v[46:47], v[166:167], v[250:251]
	v_mul_f64 v[156:157], v[164:165], v[250:251]
	v_fma_f64 v[46:47], v[164:165], v[44:45], -v[46:47]
	v_fmac_f64_e32 v[156:157], v[166:167], v[44:45]
	v_add_f64 v[236:237], v[236:237], -v[46:47]
	v_add_f64 v[238:239], v[238:239], -v[156:157]
	v_mov_b64_e32 v[46:47], v[250:251]
.LBB118_1007:
	s_or_b64 exec, exec, s[0:1]
	v_lshl_add_u32 v156, v253, 4, v252
	s_barrier
	ds_write2_b64 v156, v[40:41], v[42:43] offset1:1
	s_waitcnt lgkmcnt(0)
	s_barrier
	ds_read2_b64 v[240:243], v252 offset0:96 offset1:97
	s_cmp_lt_i32 s20, 50
	v_mov_b32_e32 v250, 48
	s_cbranch_scc1 .LBB118_1010
; %bb.1008:
	v_add_u32_e32 v246, 0x310, v252
	s_mov_b32 s0, 49
	v_mov_b32_e32 v250, 48
.LBB118_1009:                           ; =>This Inner Loop Header: Depth=1
	ds_read2_b64 v[164:167], v246 offset1:1
	s_waitcnt lgkmcnt(1)
	v_cmp_gt_f64_e32 vcc, 0, v[240:241]
	v_xor_b32_e32 v156, 0x80000000, v241
	v_xor_b32_e32 v158, 0x80000000, v243
	v_cndmask_b32_e32 v157, v241, v156, vcc
	v_cmp_gt_f64_e32 vcc, 0, v[242:243]
	v_mov_b32_e32 v156, v240
	s_waitcnt lgkmcnt(0)
	v_xor_b32_e32 v216, 0x80000000, v167
	v_cndmask_b32_e32 v159, v243, v158, vcc
	v_mov_b32_e32 v158, v242
	v_add_f64 v[156:157], v[156:157], v[158:159]
	v_cmp_gt_f64_e32 vcc, 0, v[164:165]
	v_xor_b32_e32 v158, 0x80000000, v165
	v_add_u32_e32 v246, 16, v246
	v_cndmask_b32_e32 v159, v165, v158, vcc
	v_cmp_gt_f64_e32 vcc, 0, v[166:167]
	v_mov_b32_e32 v158, v164
	s_nop 0
	v_cndmask_b32_e32 v217, v167, v216, vcc
	v_mov_b32_e32 v216, v166
	v_add_f64 v[158:159], v[158:159], v[216:217]
	v_cmp_lt_f64_e32 vcc, v[156:157], v[158:159]
	v_mov_b32_e32 v156, s0
	s_add_i32 s0, s0, 1
	v_cndmask_b32_e32 v241, v241, v165, vcc
	v_cndmask_b32_e32 v240, v240, v164, vcc
	;; [unrolled: 1-line block ×5, first 2 shown]
	s_cmp_lg_u32 s20, s0
	s_cbranch_scc1 .LBB118_1009
.LBB118_1010:
	s_waitcnt lgkmcnt(0)
	v_cmp_eq_f64_e32 vcc, 0, v[240:241]
	v_cmp_eq_f64_e64 s[0:1], 0, v[242:243]
	s_and_b64 s[0:1], vcc, s[0:1]
	s_and_saveexec_b64 s[16:17], s[0:1]
	s_xor_b64 s[0:1], exec, s[16:17]
; %bb.1011:
	v_cmp_ne_u32_e32 vcc, 0, v254
	s_nop 1
	v_cndmask_b32_e32 v254, 49, v254, vcc
; %bb.1012:
	s_andn2_saveexec_b64 s[0:1], s[0:1]
	s_cbranch_execz .LBB118_1018
; %bb.1013:
	v_cmp_ngt_f64_e64 s[16:17], |v[240:241]|, |v[242:243]|
	s_and_saveexec_b64 s[18:19], s[16:17]
	s_xor_b64 s[16:17], exec, s[18:19]
	s_cbranch_execz .LBB118_1015
; %bb.1014:
	v_div_scale_f64 v[156:157], s[18:19], v[242:243], v[242:243], v[240:241]
	v_rcp_f64_e32 v[158:159], v[156:157]
	v_div_scale_f64 v[164:165], vcc, v[240:241], v[242:243], v[240:241]
	v_fma_f64 v[166:167], -v[156:157], v[158:159], 1.0
	v_fmac_f64_e32 v[158:159], v[158:159], v[166:167]
	v_fma_f64 v[166:167], -v[156:157], v[158:159], 1.0
	v_fmac_f64_e32 v[158:159], v[158:159], v[166:167]
	v_mul_f64 v[166:167], v[164:165], v[158:159]
	v_fma_f64 v[156:157], -v[156:157], v[166:167], v[164:165]
	v_div_fmas_f64 v[156:157], v[156:157], v[158:159], v[166:167]
	v_div_fixup_f64 v[156:157], v[156:157], v[242:243], v[240:241]
	v_fmac_f64_e32 v[242:243], v[240:241], v[156:157]
	v_div_scale_f64 v[158:159], s[18:19], v[242:243], v[242:243], 1.0
	v_rcp_f64_e32 v[164:165], v[158:159]
	s_nop 0
	v_fma_f64 v[166:167], -v[158:159], v[164:165], 1.0
	v_fmac_f64_e32 v[164:165], v[164:165], v[166:167]
	v_fma_f64 v[166:167], -v[158:159], v[164:165], 1.0
	v_fmac_f64_e32 v[164:165], v[164:165], v[166:167]
	v_div_scale_f64 v[166:167], vcc, 1.0, v[242:243], 1.0
	v_mul_f64 v[216:217], v[166:167], v[164:165]
	v_fma_f64 v[158:159], -v[158:159], v[216:217], v[166:167]
	s_nop 1
	v_div_fmas_f64 v[158:159], v[158:159], v[164:165], v[216:217]
	v_div_fixup_f64 v[242:243], v[158:159], v[242:243], 1.0
	v_mul_f64 v[240:241], v[156:157], v[242:243]
	v_xor_b32_e32 v243, 0x80000000, v243
.LBB118_1015:
	s_andn2_saveexec_b64 s[16:17], s[16:17]
	s_cbranch_execz .LBB118_1017
; %bb.1016:
	v_div_scale_f64 v[156:157], s[18:19], v[240:241], v[240:241], v[242:243]
	v_rcp_f64_e32 v[158:159], v[156:157]
	v_div_scale_f64 v[164:165], vcc, v[242:243], v[240:241], v[242:243]
	v_fma_f64 v[166:167], -v[156:157], v[158:159], 1.0
	v_fmac_f64_e32 v[158:159], v[158:159], v[166:167]
	v_fma_f64 v[166:167], -v[156:157], v[158:159], 1.0
	v_fmac_f64_e32 v[158:159], v[158:159], v[166:167]
	v_mul_f64 v[166:167], v[164:165], v[158:159]
	v_fma_f64 v[156:157], -v[156:157], v[166:167], v[164:165]
	v_div_fmas_f64 v[156:157], v[156:157], v[158:159], v[166:167]
	v_div_fixup_f64 v[156:157], v[156:157], v[240:241], v[242:243]
	v_fmac_f64_e32 v[240:241], v[242:243], v[156:157]
	v_div_scale_f64 v[158:159], s[18:19], v[240:241], v[240:241], 1.0
	v_rcp_f64_e32 v[164:165], v[158:159]
	s_nop 0
	v_fma_f64 v[166:167], -v[158:159], v[164:165], 1.0
	v_fmac_f64_e32 v[164:165], v[164:165], v[166:167]
	v_fma_f64 v[166:167], -v[158:159], v[164:165], 1.0
	v_fmac_f64_e32 v[164:165], v[164:165], v[166:167]
	v_div_scale_f64 v[166:167], vcc, 1.0, v[240:241], 1.0
	v_mul_f64 v[216:217], v[166:167], v[164:165]
	v_fma_f64 v[158:159], -v[158:159], v[216:217], v[166:167]
	s_nop 1
	v_div_fmas_f64 v[158:159], v[158:159], v[164:165], v[216:217]
	v_div_fixup_f64 v[240:241], v[158:159], v[240:241], 1.0
	v_mul_f64 v[242:243], v[156:157], -v[240:241]
.LBB118_1017:
	s_or_b64 exec, exec, s[16:17]
.LBB118_1018:
	s_or_b64 exec, exec, s[0:1]
	v_cmp_ne_u32_e32 vcc, v253, v250
	s_and_saveexec_b64 s[0:1], vcc
	s_xor_b64 s[0:1], exec, s[0:1]
	s_cbranch_execz .LBB118_1024
; %bb.1019:
	v_cmp_eq_u32_e32 vcc, 48, v253
	s_and_saveexec_b64 s[16:17], vcc
	s_cbranch_execz .LBB118_1023
; %bb.1020:
	v_cmp_ne_u32_e32 vcc, 48, v250
	s_xor_b64 s[18:19], s[14:15], -1
	s_and_b64 s[22:23], s[18:19], vcc
	s_and_saveexec_b64 s[18:19], s[22:23]
	s_cbranch_execz .LBB118_1022
; %bb.1021:
	v_ashrrev_i32_e32 v251, 31, v250
	v_lshl_add_u64 v[156:157], v[250:251], 2, v[234:235]
	global_load_dword v158, v[156:157], off
	global_load_dword v159, v[234:235], off offset:192
	s_waitcnt vmcnt(1)
	global_store_dword v[234:235], v158, off offset:192
	s_waitcnt vmcnt(1)
	global_store_dword v[156:157], v159, off
.LBB118_1022:
	s_or_b64 exec, exec, s[18:19]
	v_mov_b32_e32 v253, v250
	v_mov_b32_e32 v244, v250
.LBB118_1023:
	s_or_b64 exec, exec, s[16:17]
.LBB118_1024:
	s_andn2_saveexec_b64 s[0:1], s[0:1]
	s_cbranch_execz .LBB118_1026
; %bb.1025:
	v_mov_b32_e32 v253, 48
	ds_write2_b64 v252, v[36:37], v[38:39] offset0:98 offset1:99
	ds_write2_b64 v252, v[32:33], v[34:35] offset0:100 offset1:101
	;; [unrolled: 1-line block ×11, first 2 shown]
.LBB118_1026:
	s_or_b64 exec, exec, s[0:1]
	v_cmp_lt_i32_e32 vcc, 48, v253
	s_waitcnt lgkmcnt(0)
	s_barrier
	s_and_saveexec_b64 s[0:1], vcc
	s_cbranch_execz .LBB118_1028
; %bb.1027:
	ds_read2_b64 v[164:167], v252 offset0:98 offset1:99
	v_mul_f64 v[250:251], v[240:241], v[42:43]
	v_fmac_f64_e32 v[250:251], v[242:243], v[40:41]
	v_mul_f64 v[42:43], v[242:243], v[42:43]
	v_fma_f64 v[40:41], v[240:241], v[40:41], -v[42:43]
	s_waitcnt lgkmcnt(0)
	v_mul_f64 v[42:43], v[166:167], v[250:251]
	v_mul_f64 v[156:157], v[164:165], v[250:251]
	v_fma_f64 v[42:43], v[164:165], v[40:41], -v[42:43]
	v_fmac_f64_e32 v[156:157], v[166:167], v[40:41]
	ds_read2_b64 v[164:167], v252 offset0:100 offset1:101
	v_add_f64 v[36:37], v[36:37], -v[42:43]
	v_add_f64 v[38:39], v[38:39], -v[156:157]
	s_waitcnt lgkmcnt(0)
	v_mul_f64 v[42:43], v[166:167], v[250:251]
	v_mul_f64 v[156:157], v[164:165], v[250:251]
	v_fma_f64 v[42:43], v[164:165], v[40:41], -v[42:43]
	v_fmac_f64_e32 v[156:157], v[166:167], v[40:41]
	ds_read2_b64 v[164:167], v252 offset0:102 offset1:103
	v_add_f64 v[32:33], v[32:33], -v[42:43]
	v_add_f64 v[34:35], v[34:35], -v[156:157]
	;; [unrolled: 8-line block ×10, first 2 shown]
	s_waitcnt lgkmcnt(0)
	v_mul_f64 v[42:43], v[166:167], v[250:251]
	v_mul_f64 v[156:157], v[164:165], v[250:251]
	v_fma_f64 v[42:43], v[164:165], v[40:41], -v[42:43]
	v_fmac_f64_e32 v[156:157], v[166:167], v[40:41]
	v_add_f64 v[236:237], v[236:237], -v[42:43]
	v_add_f64 v[238:239], v[238:239], -v[156:157]
	v_mov_b64_e32 v[42:43], v[250:251]
.LBB118_1028:
	s_or_b64 exec, exec, s[0:1]
	v_lshl_add_u32 v156, v253, 4, v252
	s_barrier
	ds_write2_b64 v156, v[36:37], v[38:39] offset1:1
	s_waitcnt lgkmcnt(0)
	s_barrier
	ds_read2_b64 v[240:243], v252 offset0:98 offset1:99
	s_cmp_lt_i32 s20, 51
	v_mov_b32_e32 v250, 49
	s_cbranch_scc1 .LBB118_1031
; %bb.1029:
	v_add_u32_e32 v246, 0x320, v252
	s_mov_b32 s0, 50
	v_mov_b32_e32 v250, 49
.LBB118_1030:                           ; =>This Inner Loop Header: Depth=1
	ds_read2_b64 v[164:167], v246 offset1:1
	s_waitcnt lgkmcnt(1)
	v_cmp_gt_f64_e32 vcc, 0, v[240:241]
	v_xor_b32_e32 v156, 0x80000000, v241
	v_xor_b32_e32 v158, 0x80000000, v243
	v_cndmask_b32_e32 v157, v241, v156, vcc
	v_cmp_gt_f64_e32 vcc, 0, v[242:243]
	v_mov_b32_e32 v156, v240
	s_waitcnt lgkmcnt(0)
	v_xor_b32_e32 v216, 0x80000000, v167
	v_cndmask_b32_e32 v159, v243, v158, vcc
	v_mov_b32_e32 v158, v242
	v_add_f64 v[156:157], v[156:157], v[158:159]
	v_cmp_gt_f64_e32 vcc, 0, v[164:165]
	v_xor_b32_e32 v158, 0x80000000, v165
	v_add_u32_e32 v246, 16, v246
	v_cndmask_b32_e32 v159, v165, v158, vcc
	v_cmp_gt_f64_e32 vcc, 0, v[166:167]
	v_mov_b32_e32 v158, v164
	s_nop 0
	v_cndmask_b32_e32 v217, v167, v216, vcc
	v_mov_b32_e32 v216, v166
	v_add_f64 v[158:159], v[158:159], v[216:217]
	v_cmp_lt_f64_e32 vcc, v[156:157], v[158:159]
	v_mov_b32_e32 v156, s0
	s_add_i32 s0, s0, 1
	v_cndmask_b32_e32 v241, v241, v165, vcc
	v_cndmask_b32_e32 v240, v240, v164, vcc
	;; [unrolled: 1-line block ×5, first 2 shown]
	s_cmp_lg_u32 s20, s0
	s_cbranch_scc1 .LBB118_1030
.LBB118_1031:
	s_waitcnt lgkmcnt(0)
	v_cmp_eq_f64_e32 vcc, 0, v[240:241]
	v_cmp_eq_f64_e64 s[0:1], 0, v[242:243]
	s_and_b64 s[0:1], vcc, s[0:1]
	s_and_saveexec_b64 s[16:17], s[0:1]
	s_xor_b64 s[0:1], exec, s[16:17]
; %bb.1032:
	v_cmp_ne_u32_e32 vcc, 0, v254
	s_nop 1
	v_cndmask_b32_e32 v254, 50, v254, vcc
; %bb.1033:
	s_andn2_saveexec_b64 s[0:1], s[0:1]
	s_cbranch_execz .LBB118_1039
; %bb.1034:
	v_cmp_ngt_f64_e64 s[16:17], |v[240:241]|, |v[242:243]|
	s_and_saveexec_b64 s[18:19], s[16:17]
	s_xor_b64 s[16:17], exec, s[18:19]
	s_cbranch_execz .LBB118_1036
; %bb.1035:
	v_div_scale_f64 v[156:157], s[18:19], v[242:243], v[242:243], v[240:241]
	v_rcp_f64_e32 v[158:159], v[156:157]
	v_div_scale_f64 v[164:165], vcc, v[240:241], v[242:243], v[240:241]
	v_fma_f64 v[166:167], -v[156:157], v[158:159], 1.0
	v_fmac_f64_e32 v[158:159], v[158:159], v[166:167]
	v_fma_f64 v[166:167], -v[156:157], v[158:159], 1.0
	v_fmac_f64_e32 v[158:159], v[158:159], v[166:167]
	v_mul_f64 v[166:167], v[164:165], v[158:159]
	v_fma_f64 v[156:157], -v[156:157], v[166:167], v[164:165]
	v_div_fmas_f64 v[156:157], v[156:157], v[158:159], v[166:167]
	v_div_fixup_f64 v[156:157], v[156:157], v[242:243], v[240:241]
	v_fmac_f64_e32 v[242:243], v[240:241], v[156:157]
	v_div_scale_f64 v[158:159], s[18:19], v[242:243], v[242:243], 1.0
	v_rcp_f64_e32 v[164:165], v[158:159]
	s_nop 0
	v_fma_f64 v[166:167], -v[158:159], v[164:165], 1.0
	v_fmac_f64_e32 v[164:165], v[164:165], v[166:167]
	v_fma_f64 v[166:167], -v[158:159], v[164:165], 1.0
	v_fmac_f64_e32 v[164:165], v[164:165], v[166:167]
	v_div_scale_f64 v[166:167], vcc, 1.0, v[242:243], 1.0
	v_mul_f64 v[216:217], v[166:167], v[164:165]
	v_fma_f64 v[158:159], -v[158:159], v[216:217], v[166:167]
	s_nop 1
	v_div_fmas_f64 v[158:159], v[158:159], v[164:165], v[216:217]
	v_div_fixup_f64 v[242:243], v[158:159], v[242:243], 1.0
	v_mul_f64 v[240:241], v[156:157], v[242:243]
	v_xor_b32_e32 v243, 0x80000000, v243
.LBB118_1036:
	s_andn2_saveexec_b64 s[16:17], s[16:17]
	s_cbranch_execz .LBB118_1038
; %bb.1037:
	v_div_scale_f64 v[156:157], s[18:19], v[240:241], v[240:241], v[242:243]
	v_rcp_f64_e32 v[158:159], v[156:157]
	v_div_scale_f64 v[164:165], vcc, v[242:243], v[240:241], v[242:243]
	v_fma_f64 v[166:167], -v[156:157], v[158:159], 1.0
	v_fmac_f64_e32 v[158:159], v[158:159], v[166:167]
	v_fma_f64 v[166:167], -v[156:157], v[158:159], 1.0
	v_fmac_f64_e32 v[158:159], v[158:159], v[166:167]
	v_mul_f64 v[166:167], v[164:165], v[158:159]
	v_fma_f64 v[156:157], -v[156:157], v[166:167], v[164:165]
	v_div_fmas_f64 v[156:157], v[156:157], v[158:159], v[166:167]
	v_div_fixup_f64 v[156:157], v[156:157], v[240:241], v[242:243]
	v_fmac_f64_e32 v[240:241], v[242:243], v[156:157]
	v_div_scale_f64 v[158:159], s[18:19], v[240:241], v[240:241], 1.0
	v_rcp_f64_e32 v[164:165], v[158:159]
	s_nop 0
	v_fma_f64 v[166:167], -v[158:159], v[164:165], 1.0
	v_fmac_f64_e32 v[164:165], v[164:165], v[166:167]
	v_fma_f64 v[166:167], -v[158:159], v[164:165], 1.0
	v_fmac_f64_e32 v[164:165], v[164:165], v[166:167]
	v_div_scale_f64 v[166:167], vcc, 1.0, v[240:241], 1.0
	v_mul_f64 v[216:217], v[166:167], v[164:165]
	v_fma_f64 v[158:159], -v[158:159], v[216:217], v[166:167]
	s_nop 1
	v_div_fmas_f64 v[158:159], v[158:159], v[164:165], v[216:217]
	v_div_fixup_f64 v[240:241], v[158:159], v[240:241], 1.0
	v_mul_f64 v[242:243], v[156:157], -v[240:241]
.LBB118_1038:
	s_or_b64 exec, exec, s[16:17]
.LBB118_1039:
	s_or_b64 exec, exec, s[0:1]
	v_cmp_ne_u32_e32 vcc, v253, v250
	s_and_saveexec_b64 s[0:1], vcc
	s_xor_b64 s[0:1], exec, s[0:1]
	s_cbranch_execz .LBB118_1045
; %bb.1040:
	v_cmp_eq_u32_e32 vcc, 49, v253
	s_and_saveexec_b64 s[16:17], vcc
	s_cbranch_execz .LBB118_1044
; %bb.1041:
	v_cmp_ne_u32_e32 vcc, 49, v250
	s_xor_b64 s[18:19], s[14:15], -1
	s_and_b64 s[22:23], s[18:19], vcc
	s_and_saveexec_b64 s[18:19], s[22:23]
	s_cbranch_execz .LBB118_1043
; %bb.1042:
	v_ashrrev_i32_e32 v251, 31, v250
	v_lshl_add_u64 v[156:157], v[250:251], 2, v[234:235]
	global_load_dword v158, v[156:157], off
	global_load_dword v159, v[234:235], off offset:196
	s_waitcnt vmcnt(1)
	global_store_dword v[234:235], v158, off offset:196
	s_waitcnt vmcnt(1)
	global_store_dword v[156:157], v159, off
.LBB118_1043:
	s_or_b64 exec, exec, s[18:19]
	v_mov_b32_e32 v253, v250
	v_mov_b32_e32 v244, v250
.LBB118_1044:
	s_or_b64 exec, exec, s[16:17]
.LBB118_1045:
	s_andn2_saveexec_b64 s[0:1], s[0:1]
	s_cbranch_execz .LBB118_1047
; %bb.1046:
	v_mov_b32_e32 v253, 49
	ds_write2_b64 v252, v[32:33], v[34:35] offset0:100 offset1:101
	ds_write2_b64 v252, v[28:29], v[30:31] offset0:102 offset1:103
	;; [unrolled: 1-line block ×10, first 2 shown]
.LBB118_1047:
	s_or_b64 exec, exec, s[0:1]
	v_cmp_lt_i32_e32 vcc, 49, v253
	s_waitcnt lgkmcnt(0)
	s_barrier
	s_and_saveexec_b64 s[0:1], vcc
	s_cbranch_execz .LBB118_1049
; %bb.1048:
	ds_read2_b64 v[164:167], v252 offset0:100 offset1:101
	v_mul_f64 v[250:251], v[240:241], v[38:39]
	v_fmac_f64_e32 v[250:251], v[242:243], v[36:37]
	v_mul_f64 v[38:39], v[242:243], v[38:39]
	v_fma_f64 v[36:37], v[240:241], v[36:37], -v[38:39]
	s_waitcnt lgkmcnt(0)
	v_mul_f64 v[38:39], v[166:167], v[250:251]
	v_mul_f64 v[156:157], v[164:165], v[250:251]
	v_fma_f64 v[38:39], v[164:165], v[36:37], -v[38:39]
	v_fmac_f64_e32 v[156:157], v[166:167], v[36:37]
	ds_read2_b64 v[164:167], v252 offset0:102 offset1:103
	v_add_f64 v[32:33], v[32:33], -v[38:39]
	v_add_f64 v[34:35], v[34:35], -v[156:157]
	s_waitcnt lgkmcnt(0)
	v_mul_f64 v[38:39], v[166:167], v[250:251]
	v_mul_f64 v[156:157], v[164:165], v[250:251]
	v_fma_f64 v[38:39], v[164:165], v[36:37], -v[38:39]
	v_fmac_f64_e32 v[156:157], v[166:167], v[36:37]
	ds_read2_b64 v[164:167], v252 offset0:104 offset1:105
	v_add_f64 v[28:29], v[28:29], -v[38:39]
	v_add_f64 v[30:31], v[30:31], -v[156:157]
	s_waitcnt lgkmcnt(0)
	v_mul_f64 v[38:39], v[166:167], v[250:251]
	v_mul_f64 v[156:157], v[164:165], v[250:251]
	v_fma_f64 v[38:39], v[164:165], v[36:37], -v[38:39]
	v_fmac_f64_e32 v[156:157], v[166:167], v[36:37]
	ds_read2_b64 v[164:167], v252 offset0:106 offset1:107
	v_add_f64 v[24:25], v[24:25], -v[38:39]
	v_add_f64 v[26:27], v[26:27], -v[156:157]
	s_waitcnt lgkmcnt(0)
	v_mul_f64 v[38:39], v[166:167], v[250:251]
	v_mul_f64 v[156:157], v[164:165], v[250:251]
	v_fma_f64 v[38:39], v[164:165], v[36:37], -v[38:39]
	v_fmac_f64_e32 v[156:157], v[166:167], v[36:37]
	ds_read2_b64 v[164:167], v252 offset0:108 offset1:109
	v_add_f64 v[20:21], v[20:21], -v[38:39]
	v_add_f64 v[22:23], v[22:23], -v[156:157]
	s_waitcnt lgkmcnt(0)
	v_mul_f64 v[38:39], v[166:167], v[250:251]
	v_mul_f64 v[156:157], v[164:165], v[250:251]
	v_fma_f64 v[38:39], v[164:165], v[36:37], -v[38:39]
	v_fmac_f64_e32 v[156:157], v[166:167], v[36:37]
	ds_read2_b64 v[164:167], v252 offset0:110 offset1:111
	v_add_f64 v[16:17], v[16:17], -v[38:39]
	v_add_f64 v[18:19], v[18:19], -v[156:157]
	s_waitcnt lgkmcnt(0)
	v_mul_f64 v[38:39], v[166:167], v[250:251]
	v_mul_f64 v[156:157], v[164:165], v[250:251]
	v_fma_f64 v[38:39], v[164:165], v[36:37], -v[38:39]
	v_fmac_f64_e32 v[156:157], v[166:167], v[36:37]
	ds_read2_b64 v[164:167], v252 offset0:112 offset1:113
	v_add_f64 v[12:13], v[12:13], -v[38:39]
	v_add_f64 v[14:15], v[14:15], -v[156:157]
	s_waitcnt lgkmcnt(0)
	v_mul_f64 v[38:39], v[166:167], v[250:251]
	v_mul_f64 v[156:157], v[164:165], v[250:251]
	v_fma_f64 v[38:39], v[164:165], v[36:37], -v[38:39]
	v_fmac_f64_e32 v[156:157], v[166:167], v[36:37]
	ds_read2_b64 v[164:167], v252 offset0:114 offset1:115
	v_add_f64 v[230:231], v[230:231], -v[38:39]
	v_add_f64 v[232:233], v[232:233], -v[156:157]
	s_waitcnt lgkmcnt(0)
	v_mul_f64 v[38:39], v[166:167], v[250:251]
	v_mul_f64 v[156:157], v[164:165], v[250:251]
	v_fma_f64 v[38:39], v[164:165], v[36:37], -v[38:39]
	v_fmac_f64_e32 v[156:157], v[166:167], v[36:37]
	ds_read2_b64 v[164:167], v252 offset0:116 offset1:117
	v_add_f64 v[224:225], v[224:225], -v[38:39]
	v_add_f64 v[226:227], v[226:227], -v[156:157]
	s_waitcnt lgkmcnt(0)
	v_mul_f64 v[38:39], v[166:167], v[250:251]
	v_mul_f64 v[156:157], v[164:165], v[250:251]
	v_fma_f64 v[38:39], v[164:165], v[36:37], -v[38:39]
	v_fmac_f64_e32 v[156:157], v[166:167], v[36:37]
	ds_read2_b64 v[164:167], v252 offset0:118 offset1:119
	v_add_f64 v[220:221], v[220:221], -v[38:39]
	v_add_f64 v[222:223], v[222:223], -v[156:157]
	s_waitcnt lgkmcnt(0)
	v_mul_f64 v[38:39], v[166:167], v[250:251]
	v_mul_f64 v[156:157], v[164:165], v[250:251]
	v_fma_f64 v[38:39], v[164:165], v[36:37], -v[38:39]
	v_fmac_f64_e32 v[156:157], v[166:167], v[36:37]
	v_add_f64 v[236:237], v[236:237], -v[38:39]
	v_add_f64 v[238:239], v[238:239], -v[156:157]
	v_mov_b64_e32 v[38:39], v[250:251]
.LBB118_1049:
	s_or_b64 exec, exec, s[0:1]
	v_lshl_add_u32 v156, v253, 4, v252
	s_barrier
	ds_write2_b64 v156, v[32:33], v[34:35] offset1:1
	s_waitcnt lgkmcnt(0)
	s_barrier
	ds_read2_b64 v[240:243], v252 offset0:100 offset1:101
	s_cmp_lt_i32 s20, 52
	v_mov_b32_e32 v250, 50
	s_cbranch_scc1 .LBB118_1052
; %bb.1050:
	v_add_u32_e32 v246, 0x330, v252
	s_mov_b32 s0, 51
	v_mov_b32_e32 v250, 50
.LBB118_1051:                           ; =>This Inner Loop Header: Depth=1
	ds_read2_b64 v[164:167], v246 offset1:1
	s_waitcnt lgkmcnt(1)
	v_cmp_gt_f64_e32 vcc, 0, v[240:241]
	v_xor_b32_e32 v156, 0x80000000, v241
	v_xor_b32_e32 v158, 0x80000000, v243
	v_cndmask_b32_e32 v157, v241, v156, vcc
	v_cmp_gt_f64_e32 vcc, 0, v[242:243]
	v_mov_b32_e32 v156, v240
	s_waitcnt lgkmcnt(0)
	v_xor_b32_e32 v216, 0x80000000, v167
	v_cndmask_b32_e32 v159, v243, v158, vcc
	v_mov_b32_e32 v158, v242
	v_add_f64 v[156:157], v[156:157], v[158:159]
	v_cmp_gt_f64_e32 vcc, 0, v[164:165]
	v_xor_b32_e32 v158, 0x80000000, v165
	v_add_u32_e32 v246, 16, v246
	v_cndmask_b32_e32 v159, v165, v158, vcc
	v_cmp_gt_f64_e32 vcc, 0, v[166:167]
	v_mov_b32_e32 v158, v164
	s_nop 0
	v_cndmask_b32_e32 v217, v167, v216, vcc
	v_mov_b32_e32 v216, v166
	v_add_f64 v[158:159], v[158:159], v[216:217]
	v_cmp_lt_f64_e32 vcc, v[156:157], v[158:159]
	v_mov_b32_e32 v156, s0
	s_add_i32 s0, s0, 1
	v_cndmask_b32_e32 v241, v241, v165, vcc
	v_cndmask_b32_e32 v240, v240, v164, vcc
	;; [unrolled: 1-line block ×5, first 2 shown]
	s_cmp_lg_u32 s20, s0
	s_cbranch_scc1 .LBB118_1051
.LBB118_1052:
	s_waitcnt lgkmcnt(0)
	v_cmp_eq_f64_e32 vcc, 0, v[240:241]
	v_cmp_eq_f64_e64 s[0:1], 0, v[242:243]
	s_and_b64 s[0:1], vcc, s[0:1]
	s_and_saveexec_b64 s[16:17], s[0:1]
	s_xor_b64 s[0:1], exec, s[16:17]
; %bb.1053:
	v_cmp_ne_u32_e32 vcc, 0, v254
	s_nop 1
	v_cndmask_b32_e32 v254, 51, v254, vcc
; %bb.1054:
	s_andn2_saveexec_b64 s[0:1], s[0:1]
	s_cbranch_execz .LBB118_1060
; %bb.1055:
	v_cmp_ngt_f64_e64 s[16:17], |v[240:241]|, |v[242:243]|
	s_and_saveexec_b64 s[18:19], s[16:17]
	s_xor_b64 s[16:17], exec, s[18:19]
	s_cbranch_execz .LBB118_1057
; %bb.1056:
	v_div_scale_f64 v[156:157], s[18:19], v[242:243], v[242:243], v[240:241]
	v_rcp_f64_e32 v[158:159], v[156:157]
	v_div_scale_f64 v[164:165], vcc, v[240:241], v[242:243], v[240:241]
	v_fma_f64 v[166:167], -v[156:157], v[158:159], 1.0
	v_fmac_f64_e32 v[158:159], v[158:159], v[166:167]
	v_fma_f64 v[166:167], -v[156:157], v[158:159], 1.0
	v_fmac_f64_e32 v[158:159], v[158:159], v[166:167]
	v_mul_f64 v[166:167], v[164:165], v[158:159]
	v_fma_f64 v[156:157], -v[156:157], v[166:167], v[164:165]
	v_div_fmas_f64 v[156:157], v[156:157], v[158:159], v[166:167]
	v_div_fixup_f64 v[156:157], v[156:157], v[242:243], v[240:241]
	v_fmac_f64_e32 v[242:243], v[240:241], v[156:157]
	v_div_scale_f64 v[158:159], s[18:19], v[242:243], v[242:243], 1.0
	v_rcp_f64_e32 v[164:165], v[158:159]
	s_nop 0
	v_fma_f64 v[166:167], -v[158:159], v[164:165], 1.0
	v_fmac_f64_e32 v[164:165], v[164:165], v[166:167]
	v_fma_f64 v[166:167], -v[158:159], v[164:165], 1.0
	v_fmac_f64_e32 v[164:165], v[164:165], v[166:167]
	v_div_scale_f64 v[166:167], vcc, 1.0, v[242:243], 1.0
	v_mul_f64 v[216:217], v[166:167], v[164:165]
	v_fma_f64 v[158:159], -v[158:159], v[216:217], v[166:167]
	s_nop 1
	v_div_fmas_f64 v[158:159], v[158:159], v[164:165], v[216:217]
	v_div_fixup_f64 v[242:243], v[158:159], v[242:243], 1.0
	v_mul_f64 v[240:241], v[156:157], v[242:243]
	v_xor_b32_e32 v243, 0x80000000, v243
.LBB118_1057:
	s_andn2_saveexec_b64 s[16:17], s[16:17]
	s_cbranch_execz .LBB118_1059
; %bb.1058:
	v_div_scale_f64 v[156:157], s[18:19], v[240:241], v[240:241], v[242:243]
	v_rcp_f64_e32 v[158:159], v[156:157]
	v_div_scale_f64 v[164:165], vcc, v[242:243], v[240:241], v[242:243]
	v_fma_f64 v[166:167], -v[156:157], v[158:159], 1.0
	v_fmac_f64_e32 v[158:159], v[158:159], v[166:167]
	v_fma_f64 v[166:167], -v[156:157], v[158:159], 1.0
	v_fmac_f64_e32 v[158:159], v[158:159], v[166:167]
	v_mul_f64 v[166:167], v[164:165], v[158:159]
	v_fma_f64 v[156:157], -v[156:157], v[166:167], v[164:165]
	v_div_fmas_f64 v[156:157], v[156:157], v[158:159], v[166:167]
	v_div_fixup_f64 v[156:157], v[156:157], v[240:241], v[242:243]
	v_fmac_f64_e32 v[240:241], v[242:243], v[156:157]
	v_div_scale_f64 v[158:159], s[18:19], v[240:241], v[240:241], 1.0
	v_rcp_f64_e32 v[164:165], v[158:159]
	s_nop 0
	v_fma_f64 v[166:167], -v[158:159], v[164:165], 1.0
	v_fmac_f64_e32 v[164:165], v[164:165], v[166:167]
	v_fma_f64 v[166:167], -v[158:159], v[164:165], 1.0
	v_fmac_f64_e32 v[164:165], v[164:165], v[166:167]
	v_div_scale_f64 v[166:167], vcc, 1.0, v[240:241], 1.0
	v_mul_f64 v[216:217], v[166:167], v[164:165]
	v_fma_f64 v[158:159], -v[158:159], v[216:217], v[166:167]
	s_nop 1
	v_div_fmas_f64 v[158:159], v[158:159], v[164:165], v[216:217]
	v_div_fixup_f64 v[240:241], v[158:159], v[240:241], 1.0
	v_mul_f64 v[242:243], v[156:157], -v[240:241]
.LBB118_1059:
	s_or_b64 exec, exec, s[16:17]
.LBB118_1060:
	s_or_b64 exec, exec, s[0:1]
	v_cmp_ne_u32_e32 vcc, v253, v250
	s_and_saveexec_b64 s[0:1], vcc
	s_xor_b64 s[0:1], exec, s[0:1]
	s_cbranch_execz .LBB118_1066
; %bb.1061:
	v_cmp_eq_u32_e32 vcc, 50, v253
	s_and_saveexec_b64 s[16:17], vcc
	s_cbranch_execz .LBB118_1065
; %bb.1062:
	v_cmp_ne_u32_e32 vcc, 50, v250
	s_xor_b64 s[18:19], s[14:15], -1
	s_and_b64 s[22:23], s[18:19], vcc
	s_and_saveexec_b64 s[18:19], s[22:23]
	s_cbranch_execz .LBB118_1064
; %bb.1063:
	v_ashrrev_i32_e32 v251, 31, v250
	v_lshl_add_u64 v[156:157], v[250:251], 2, v[234:235]
	global_load_dword v158, v[156:157], off
	global_load_dword v159, v[234:235], off offset:200
	s_waitcnt vmcnt(1)
	global_store_dword v[234:235], v158, off offset:200
	s_waitcnt vmcnt(1)
	global_store_dword v[156:157], v159, off
.LBB118_1064:
	s_or_b64 exec, exec, s[18:19]
	v_mov_b32_e32 v253, v250
	v_mov_b32_e32 v244, v250
.LBB118_1065:
	s_or_b64 exec, exec, s[16:17]
.LBB118_1066:
	s_andn2_saveexec_b64 s[0:1], s[0:1]
	s_cbranch_execz .LBB118_1068
; %bb.1067:
	v_mov_b32_e32 v253, 50
	ds_write2_b64 v252, v[28:29], v[30:31] offset0:102 offset1:103
	ds_write2_b64 v252, v[24:25], v[26:27] offset0:104 offset1:105
	;; [unrolled: 1-line block ×9, first 2 shown]
.LBB118_1068:
	s_or_b64 exec, exec, s[0:1]
	v_cmp_lt_i32_e32 vcc, 50, v253
	s_waitcnt lgkmcnt(0)
	s_barrier
	s_and_saveexec_b64 s[0:1], vcc
	s_cbranch_execz .LBB118_1070
; %bb.1069:
	ds_read2_b64 v[164:167], v252 offset0:102 offset1:103
	v_mul_f64 v[250:251], v[240:241], v[34:35]
	v_fmac_f64_e32 v[250:251], v[242:243], v[32:33]
	v_mul_f64 v[34:35], v[242:243], v[34:35]
	v_fma_f64 v[32:33], v[240:241], v[32:33], -v[34:35]
	s_waitcnt lgkmcnt(0)
	v_mul_f64 v[34:35], v[166:167], v[250:251]
	v_mul_f64 v[156:157], v[164:165], v[250:251]
	v_fma_f64 v[34:35], v[164:165], v[32:33], -v[34:35]
	v_fmac_f64_e32 v[156:157], v[166:167], v[32:33]
	ds_read2_b64 v[164:167], v252 offset0:104 offset1:105
	v_add_f64 v[28:29], v[28:29], -v[34:35]
	v_add_f64 v[30:31], v[30:31], -v[156:157]
	s_waitcnt lgkmcnt(0)
	v_mul_f64 v[34:35], v[166:167], v[250:251]
	v_mul_f64 v[156:157], v[164:165], v[250:251]
	v_fma_f64 v[34:35], v[164:165], v[32:33], -v[34:35]
	v_fmac_f64_e32 v[156:157], v[166:167], v[32:33]
	ds_read2_b64 v[164:167], v252 offset0:106 offset1:107
	v_add_f64 v[24:25], v[24:25], -v[34:35]
	v_add_f64 v[26:27], v[26:27], -v[156:157]
	;; [unrolled: 8-line block ×8, first 2 shown]
	s_waitcnt lgkmcnt(0)
	v_mul_f64 v[34:35], v[166:167], v[250:251]
	v_mul_f64 v[156:157], v[164:165], v[250:251]
	v_fma_f64 v[34:35], v[164:165], v[32:33], -v[34:35]
	v_fmac_f64_e32 v[156:157], v[166:167], v[32:33]
	v_add_f64 v[236:237], v[236:237], -v[34:35]
	v_add_f64 v[238:239], v[238:239], -v[156:157]
	v_mov_b64_e32 v[34:35], v[250:251]
.LBB118_1070:
	s_or_b64 exec, exec, s[0:1]
	v_lshl_add_u32 v156, v253, 4, v252
	s_barrier
	ds_write2_b64 v156, v[28:29], v[30:31] offset1:1
	s_waitcnt lgkmcnt(0)
	s_barrier
	ds_read2_b64 v[240:243], v252 offset0:102 offset1:103
	s_cmp_lt_i32 s20, 53
	v_mov_b32_e32 v250, 51
	s_cbranch_scc1 .LBB118_1073
; %bb.1071:
	v_add_u32_e32 v246, 0x340, v252
	s_mov_b32 s0, 52
	v_mov_b32_e32 v250, 51
.LBB118_1072:                           ; =>This Inner Loop Header: Depth=1
	ds_read2_b64 v[164:167], v246 offset1:1
	s_waitcnt lgkmcnt(1)
	v_cmp_gt_f64_e32 vcc, 0, v[240:241]
	v_xor_b32_e32 v156, 0x80000000, v241
	v_xor_b32_e32 v158, 0x80000000, v243
	v_cndmask_b32_e32 v157, v241, v156, vcc
	v_cmp_gt_f64_e32 vcc, 0, v[242:243]
	v_mov_b32_e32 v156, v240
	s_waitcnt lgkmcnt(0)
	v_xor_b32_e32 v216, 0x80000000, v167
	v_cndmask_b32_e32 v159, v243, v158, vcc
	v_mov_b32_e32 v158, v242
	v_add_f64 v[156:157], v[156:157], v[158:159]
	v_cmp_gt_f64_e32 vcc, 0, v[164:165]
	v_xor_b32_e32 v158, 0x80000000, v165
	v_add_u32_e32 v246, 16, v246
	v_cndmask_b32_e32 v159, v165, v158, vcc
	v_cmp_gt_f64_e32 vcc, 0, v[166:167]
	v_mov_b32_e32 v158, v164
	s_nop 0
	v_cndmask_b32_e32 v217, v167, v216, vcc
	v_mov_b32_e32 v216, v166
	v_add_f64 v[158:159], v[158:159], v[216:217]
	v_cmp_lt_f64_e32 vcc, v[156:157], v[158:159]
	v_mov_b32_e32 v156, s0
	s_add_i32 s0, s0, 1
	v_cndmask_b32_e32 v241, v241, v165, vcc
	v_cndmask_b32_e32 v240, v240, v164, vcc
	;; [unrolled: 1-line block ×5, first 2 shown]
	s_cmp_lg_u32 s20, s0
	s_cbranch_scc1 .LBB118_1072
.LBB118_1073:
	s_waitcnt lgkmcnt(0)
	v_cmp_eq_f64_e32 vcc, 0, v[240:241]
	v_cmp_eq_f64_e64 s[0:1], 0, v[242:243]
	s_and_b64 s[0:1], vcc, s[0:1]
	s_and_saveexec_b64 s[16:17], s[0:1]
	s_xor_b64 s[0:1], exec, s[16:17]
; %bb.1074:
	v_cmp_ne_u32_e32 vcc, 0, v254
	s_nop 1
	v_cndmask_b32_e32 v254, 52, v254, vcc
; %bb.1075:
	s_andn2_saveexec_b64 s[0:1], s[0:1]
	s_cbranch_execz .LBB118_1081
; %bb.1076:
	v_cmp_ngt_f64_e64 s[16:17], |v[240:241]|, |v[242:243]|
	s_and_saveexec_b64 s[18:19], s[16:17]
	s_xor_b64 s[16:17], exec, s[18:19]
	s_cbranch_execz .LBB118_1078
; %bb.1077:
	v_div_scale_f64 v[156:157], s[18:19], v[242:243], v[242:243], v[240:241]
	v_rcp_f64_e32 v[158:159], v[156:157]
	v_div_scale_f64 v[164:165], vcc, v[240:241], v[242:243], v[240:241]
	v_fma_f64 v[166:167], -v[156:157], v[158:159], 1.0
	v_fmac_f64_e32 v[158:159], v[158:159], v[166:167]
	v_fma_f64 v[166:167], -v[156:157], v[158:159], 1.0
	v_fmac_f64_e32 v[158:159], v[158:159], v[166:167]
	v_mul_f64 v[166:167], v[164:165], v[158:159]
	v_fma_f64 v[156:157], -v[156:157], v[166:167], v[164:165]
	v_div_fmas_f64 v[156:157], v[156:157], v[158:159], v[166:167]
	v_div_fixup_f64 v[156:157], v[156:157], v[242:243], v[240:241]
	v_fmac_f64_e32 v[242:243], v[240:241], v[156:157]
	v_div_scale_f64 v[158:159], s[18:19], v[242:243], v[242:243], 1.0
	v_rcp_f64_e32 v[164:165], v[158:159]
	s_nop 0
	v_fma_f64 v[166:167], -v[158:159], v[164:165], 1.0
	v_fmac_f64_e32 v[164:165], v[164:165], v[166:167]
	v_fma_f64 v[166:167], -v[158:159], v[164:165], 1.0
	v_fmac_f64_e32 v[164:165], v[164:165], v[166:167]
	v_div_scale_f64 v[166:167], vcc, 1.0, v[242:243], 1.0
	v_mul_f64 v[216:217], v[166:167], v[164:165]
	v_fma_f64 v[158:159], -v[158:159], v[216:217], v[166:167]
	s_nop 1
	v_div_fmas_f64 v[158:159], v[158:159], v[164:165], v[216:217]
	v_div_fixup_f64 v[242:243], v[158:159], v[242:243], 1.0
	v_mul_f64 v[240:241], v[156:157], v[242:243]
	v_xor_b32_e32 v243, 0x80000000, v243
.LBB118_1078:
	s_andn2_saveexec_b64 s[16:17], s[16:17]
	s_cbranch_execz .LBB118_1080
; %bb.1079:
	v_div_scale_f64 v[156:157], s[18:19], v[240:241], v[240:241], v[242:243]
	v_rcp_f64_e32 v[158:159], v[156:157]
	v_div_scale_f64 v[164:165], vcc, v[242:243], v[240:241], v[242:243]
	v_fma_f64 v[166:167], -v[156:157], v[158:159], 1.0
	v_fmac_f64_e32 v[158:159], v[158:159], v[166:167]
	v_fma_f64 v[166:167], -v[156:157], v[158:159], 1.0
	v_fmac_f64_e32 v[158:159], v[158:159], v[166:167]
	v_mul_f64 v[166:167], v[164:165], v[158:159]
	v_fma_f64 v[156:157], -v[156:157], v[166:167], v[164:165]
	v_div_fmas_f64 v[156:157], v[156:157], v[158:159], v[166:167]
	v_div_fixup_f64 v[156:157], v[156:157], v[240:241], v[242:243]
	v_fmac_f64_e32 v[240:241], v[242:243], v[156:157]
	v_div_scale_f64 v[158:159], s[18:19], v[240:241], v[240:241], 1.0
	v_rcp_f64_e32 v[164:165], v[158:159]
	s_nop 0
	v_fma_f64 v[166:167], -v[158:159], v[164:165], 1.0
	v_fmac_f64_e32 v[164:165], v[164:165], v[166:167]
	v_fma_f64 v[166:167], -v[158:159], v[164:165], 1.0
	v_fmac_f64_e32 v[164:165], v[164:165], v[166:167]
	v_div_scale_f64 v[166:167], vcc, 1.0, v[240:241], 1.0
	v_mul_f64 v[216:217], v[166:167], v[164:165]
	v_fma_f64 v[158:159], -v[158:159], v[216:217], v[166:167]
	s_nop 1
	v_div_fmas_f64 v[158:159], v[158:159], v[164:165], v[216:217]
	v_div_fixup_f64 v[240:241], v[158:159], v[240:241], 1.0
	v_mul_f64 v[242:243], v[156:157], -v[240:241]
.LBB118_1080:
	s_or_b64 exec, exec, s[16:17]
.LBB118_1081:
	s_or_b64 exec, exec, s[0:1]
	v_cmp_ne_u32_e32 vcc, v253, v250
	s_and_saveexec_b64 s[0:1], vcc
	s_xor_b64 s[0:1], exec, s[0:1]
	s_cbranch_execz .LBB118_1087
; %bb.1082:
	v_cmp_eq_u32_e32 vcc, 51, v253
	s_and_saveexec_b64 s[16:17], vcc
	s_cbranch_execz .LBB118_1086
; %bb.1083:
	v_cmp_ne_u32_e32 vcc, 51, v250
	s_xor_b64 s[18:19], s[14:15], -1
	s_and_b64 s[22:23], s[18:19], vcc
	s_and_saveexec_b64 s[18:19], s[22:23]
	s_cbranch_execz .LBB118_1085
; %bb.1084:
	v_ashrrev_i32_e32 v251, 31, v250
	v_lshl_add_u64 v[156:157], v[250:251], 2, v[234:235]
	global_load_dword v158, v[156:157], off
	global_load_dword v159, v[234:235], off offset:204
	s_waitcnt vmcnt(1)
	global_store_dword v[234:235], v158, off offset:204
	s_waitcnt vmcnt(1)
	global_store_dword v[156:157], v159, off
.LBB118_1085:
	s_or_b64 exec, exec, s[18:19]
	v_mov_b32_e32 v253, v250
	v_mov_b32_e32 v244, v250
.LBB118_1086:
	s_or_b64 exec, exec, s[16:17]
.LBB118_1087:
	s_andn2_saveexec_b64 s[0:1], s[0:1]
	s_cbranch_execz .LBB118_1089
; %bb.1088:
	v_mov_b32_e32 v253, 51
	ds_write2_b64 v252, v[24:25], v[26:27] offset0:104 offset1:105
	ds_write2_b64 v252, v[20:21], v[22:23] offset0:106 offset1:107
	;; [unrolled: 1-line block ×8, first 2 shown]
.LBB118_1089:
	s_or_b64 exec, exec, s[0:1]
	v_cmp_lt_i32_e32 vcc, 51, v253
	s_waitcnt lgkmcnt(0)
	s_barrier
	s_and_saveexec_b64 s[0:1], vcc
	s_cbranch_execz .LBB118_1091
; %bb.1090:
	ds_read2_b64 v[164:167], v252 offset0:104 offset1:105
	v_mul_f64 v[250:251], v[240:241], v[30:31]
	v_fmac_f64_e32 v[250:251], v[242:243], v[28:29]
	v_mul_f64 v[30:31], v[242:243], v[30:31]
	v_fma_f64 v[28:29], v[240:241], v[28:29], -v[30:31]
	s_waitcnt lgkmcnt(0)
	v_mul_f64 v[30:31], v[166:167], v[250:251]
	v_mul_f64 v[156:157], v[164:165], v[250:251]
	v_fma_f64 v[30:31], v[164:165], v[28:29], -v[30:31]
	v_fmac_f64_e32 v[156:157], v[166:167], v[28:29]
	ds_read2_b64 v[164:167], v252 offset0:106 offset1:107
	v_add_f64 v[24:25], v[24:25], -v[30:31]
	v_add_f64 v[26:27], v[26:27], -v[156:157]
	s_waitcnt lgkmcnt(0)
	v_mul_f64 v[30:31], v[166:167], v[250:251]
	v_mul_f64 v[156:157], v[164:165], v[250:251]
	v_fma_f64 v[30:31], v[164:165], v[28:29], -v[30:31]
	v_fmac_f64_e32 v[156:157], v[166:167], v[28:29]
	ds_read2_b64 v[164:167], v252 offset0:108 offset1:109
	v_add_f64 v[20:21], v[20:21], -v[30:31]
	v_add_f64 v[22:23], v[22:23], -v[156:157]
	;; [unrolled: 8-line block ×7, first 2 shown]
	s_waitcnt lgkmcnt(0)
	v_mul_f64 v[30:31], v[166:167], v[250:251]
	v_mul_f64 v[156:157], v[164:165], v[250:251]
	v_fma_f64 v[30:31], v[164:165], v[28:29], -v[30:31]
	v_fmac_f64_e32 v[156:157], v[166:167], v[28:29]
	v_add_f64 v[236:237], v[236:237], -v[30:31]
	v_add_f64 v[238:239], v[238:239], -v[156:157]
	v_mov_b64_e32 v[30:31], v[250:251]
.LBB118_1091:
	s_or_b64 exec, exec, s[0:1]
	v_lshl_add_u32 v156, v253, 4, v252
	s_barrier
	ds_write2_b64 v156, v[24:25], v[26:27] offset1:1
	s_waitcnt lgkmcnt(0)
	s_barrier
	ds_read2_b64 v[240:243], v252 offset0:104 offset1:105
	s_cmp_lt_i32 s20, 54
	v_mov_b32_e32 v250, 52
	s_cbranch_scc1 .LBB118_1094
; %bb.1092:
	v_add_u32_e32 v246, 0x350, v252
	s_mov_b32 s0, 53
	v_mov_b32_e32 v250, 52
.LBB118_1093:                           ; =>This Inner Loop Header: Depth=1
	ds_read2_b64 v[164:167], v246 offset1:1
	s_waitcnt lgkmcnt(1)
	v_cmp_gt_f64_e32 vcc, 0, v[240:241]
	v_xor_b32_e32 v156, 0x80000000, v241
	v_xor_b32_e32 v158, 0x80000000, v243
	v_cndmask_b32_e32 v157, v241, v156, vcc
	v_cmp_gt_f64_e32 vcc, 0, v[242:243]
	v_mov_b32_e32 v156, v240
	s_waitcnt lgkmcnt(0)
	v_xor_b32_e32 v216, 0x80000000, v167
	v_cndmask_b32_e32 v159, v243, v158, vcc
	v_mov_b32_e32 v158, v242
	v_add_f64 v[156:157], v[156:157], v[158:159]
	v_cmp_gt_f64_e32 vcc, 0, v[164:165]
	v_xor_b32_e32 v158, 0x80000000, v165
	v_add_u32_e32 v246, 16, v246
	v_cndmask_b32_e32 v159, v165, v158, vcc
	v_cmp_gt_f64_e32 vcc, 0, v[166:167]
	v_mov_b32_e32 v158, v164
	s_nop 0
	v_cndmask_b32_e32 v217, v167, v216, vcc
	v_mov_b32_e32 v216, v166
	v_add_f64 v[158:159], v[158:159], v[216:217]
	v_cmp_lt_f64_e32 vcc, v[156:157], v[158:159]
	v_mov_b32_e32 v156, s0
	s_add_i32 s0, s0, 1
	v_cndmask_b32_e32 v241, v241, v165, vcc
	v_cndmask_b32_e32 v240, v240, v164, vcc
	;; [unrolled: 1-line block ×5, first 2 shown]
	s_cmp_lg_u32 s20, s0
	s_cbranch_scc1 .LBB118_1093
.LBB118_1094:
	s_waitcnt lgkmcnt(0)
	v_cmp_eq_f64_e32 vcc, 0, v[240:241]
	v_cmp_eq_f64_e64 s[0:1], 0, v[242:243]
	s_and_b64 s[0:1], vcc, s[0:1]
	s_and_saveexec_b64 s[16:17], s[0:1]
	s_xor_b64 s[0:1], exec, s[16:17]
; %bb.1095:
	v_cmp_ne_u32_e32 vcc, 0, v254
	s_nop 1
	v_cndmask_b32_e32 v254, 53, v254, vcc
; %bb.1096:
	s_andn2_saveexec_b64 s[0:1], s[0:1]
	s_cbranch_execz .LBB118_1102
; %bb.1097:
	v_cmp_ngt_f64_e64 s[16:17], |v[240:241]|, |v[242:243]|
	s_and_saveexec_b64 s[18:19], s[16:17]
	s_xor_b64 s[16:17], exec, s[18:19]
	s_cbranch_execz .LBB118_1099
; %bb.1098:
	v_div_scale_f64 v[156:157], s[18:19], v[242:243], v[242:243], v[240:241]
	v_rcp_f64_e32 v[158:159], v[156:157]
	v_div_scale_f64 v[164:165], vcc, v[240:241], v[242:243], v[240:241]
	v_fma_f64 v[166:167], -v[156:157], v[158:159], 1.0
	v_fmac_f64_e32 v[158:159], v[158:159], v[166:167]
	v_fma_f64 v[166:167], -v[156:157], v[158:159], 1.0
	v_fmac_f64_e32 v[158:159], v[158:159], v[166:167]
	v_mul_f64 v[166:167], v[164:165], v[158:159]
	v_fma_f64 v[156:157], -v[156:157], v[166:167], v[164:165]
	v_div_fmas_f64 v[156:157], v[156:157], v[158:159], v[166:167]
	v_div_fixup_f64 v[156:157], v[156:157], v[242:243], v[240:241]
	v_fmac_f64_e32 v[242:243], v[240:241], v[156:157]
	v_div_scale_f64 v[158:159], s[18:19], v[242:243], v[242:243], 1.0
	v_rcp_f64_e32 v[164:165], v[158:159]
	s_nop 0
	v_fma_f64 v[166:167], -v[158:159], v[164:165], 1.0
	v_fmac_f64_e32 v[164:165], v[164:165], v[166:167]
	v_fma_f64 v[166:167], -v[158:159], v[164:165], 1.0
	v_fmac_f64_e32 v[164:165], v[164:165], v[166:167]
	v_div_scale_f64 v[166:167], vcc, 1.0, v[242:243], 1.0
	v_mul_f64 v[216:217], v[166:167], v[164:165]
	v_fma_f64 v[158:159], -v[158:159], v[216:217], v[166:167]
	s_nop 1
	v_div_fmas_f64 v[158:159], v[158:159], v[164:165], v[216:217]
	v_div_fixup_f64 v[242:243], v[158:159], v[242:243], 1.0
	v_mul_f64 v[240:241], v[156:157], v[242:243]
	v_xor_b32_e32 v243, 0x80000000, v243
.LBB118_1099:
	s_andn2_saveexec_b64 s[16:17], s[16:17]
	s_cbranch_execz .LBB118_1101
; %bb.1100:
	v_div_scale_f64 v[156:157], s[18:19], v[240:241], v[240:241], v[242:243]
	v_rcp_f64_e32 v[158:159], v[156:157]
	v_div_scale_f64 v[164:165], vcc, v[242:243], v[240:241], v[242:243]
	v_fma_f64 v[166:167], -v[156:157], v[158:159], 1.0
	v_fmac_f64_e32 v[158:159], v[158:159], v[166:167]
	v_fma_f64 v[166:167], -v[156:157], v[158:159], 1.0
	v_fmac_f64_e32 v[158:159], v[158:159], v[166:167]
	v_mul_f64 v[166:167], v[164:165], v[158:159]
	v_fma_f64 v[156:157], -v[156:157], v[166:167], v[164:165]
	v_div_fmas_f64 v[156:157], v[156:157], v[158:159], v[166:167]
	v_div_fixup_f64 v[156:157], v[156:157], v[240:241], v[242:243]
	v_fmac_f64_e32 v[240:241], v[242:243], v[156:157]
	v_div_scale_f64 v[158:159], s[18:19], v[240:241], v[240:241], 1.0
	v_rcp_f64_e32 v[164:165], v[158:159]
	s_nop 0
	v_fma_f64 v[166:167], -v[158:159], v[164:165], 1.0
	v_fmac_f64_e32 v[164:165], v[164:165], v[166:167]
	v_fma_f64 v[166:167], -v[158:159], v[164:165], 1.0
	v_fmac_f64_e32 v[164:165], v[164:165], v[166:167]
	v_div_scale_f64 v[166:167], vcc, 1.0, v[240:241], 1.0
	v_mul_f64 v[216:217], v[166:167], v[164:165]
	v_fma_f64 v[158:159], -v[158:159], v[216:217], v[166:167]
	s_nop 1
	v_div_fmas_f64 v[158:159], v[158:159], v[164:165], v[216:217]
	v_div_fixup_f64 v[240:241], v[158:159], v[240:241], 1.0
	v_mul_f64 v[242:243], v[156:157], -v[240:241]
.LBB118_1101:
	s_or_b64 exec, exec, s[16:17]
.LBB118_1102:
	s_or_b64 exec, exec, s[0:1]
	v_cmp_ne_u32_e32 vcc, v253, v250
	s_and_saveexec_b64 s[0:1], vcc
	s_xor_b64 s[0:1], exec, s[0:1]
	s_cbranch_execz .LBB118_1108
; %bb.1103:
	v_cmp_eq_u32_e32 vcc, 52, v253
	s_and_saveexec_b64 s[16:17], vcc
	s_cbranch_execz .LBB118_1107
; %bb.1104:
	v_cmp_ne_u32_e32 vcc, 52, v250
	s_xor_b64 s[18:19], s[14:15], -1
	s_and_b64 s[22:23], s[18:19], vcc
	s_and_saveexec_b64 s[18:19], s[22:23]
	s_cbranch_execz .LBB118_1106
; %bb.1105:
	v_ashrrev_i32_e32 v251, 31, v250
	v_lshl_add_u64 v[156:157], v[250:251], 2, v[234:235]
	global_load_dword v158, v[156:157], off
	global_load_dword v159, v[234:235], off offset:208
	s_waitcnt vmcnt(1)
	global_store_dword v[234:235], v158, off offset:208
	s_waitcnt vmcnt(1)
	global_store_dword v[156:157], v159, off
.LBB118_1106:
	s_or_b64 exec, exec, s[18:19]
	v_mov_b32_e32 v253, v250
	v_mov_b32_e32 v244, v250
.LBB118_1107:
	s_or_b64 exec, exec, s[16:17]
.LBB118_1108:
	s_andn2_saveexec_b64 s[0:1], s[0:1]
	s_cbranch_execz .LBB118_1110
; %bb.1109:
	v_mov_b32_e32 v253, 52
	ds_write2_b64 v252, v[20:21], v[22:23] offset0:106 offset1:107
	ds_write2_b64 v252, v[16:17], v[18:19] offset0:108 offset1:109
	;; [unrolled: 1-line block ×7, first 2 shown]
.LBB118_1110:
	s_or_b64 exec, exec, s[0:1]
	v_cmp_lt_i32_e32 vcc, 52, v253
	s_waitcnt lgkmcnt(0)
	s_barrier
	s_and_saveexec_b64 s[0:1], vcc
	s_cbranch_execz .LBB118_1112
; %bb.1111:
	ds_read2_b64 v[164:167], v252 offset0:106 offset1:107
	v_mul_f64 v[250:251], v[240:241], v[26:27]
	v_fmac_f64_e32 v[250:251], v[242:243], v[24:25]
	v_mul_f64 v[26:27], v[242:243], v[26:27]
	v_fma_f64 v[24:25], v[240:241], v[24:25], -v[26:27]
	s_waitcnt lgkmcnt(0)
	v_mul_f64 v[26:27], v[166:167], v[250:251]
	v_mul_f64 v[156:157], v[164:165], v[250:251]
	v_fma_f64 v[26:27], v[164:165], v[24:25], -v[26:27]
	v_fmac_f64_e32 v[156:157], v[166:167], v[24:25]
	ds_read2_b64 v[164:167], v252 offset0:108 offset1:109
	v_add_f64 v[20:21], v[20:21], -v[26:27]
	v_add_f64 v[22:23], v[22:23], -v[156:157]
	s_waitcnt lgkmcnt(0)
	v_mul_f64 v[26:27], v[166:167], v[250:251]
	v_mul_f64 v[156:157], v[164:165], v[250:251]
	v_fma_f64 v[26:27], v[164:165], v[24:25], -v[26:27]
	v_fmac_f64_e32 v[156:157], v[166:167], v[24:25]
	ds_read2_b64 v[164:167], v252 offset0:110 offset1:111
	v_add_f64 v[16:17], v[16:17], -v[26:27]
	v_add_f64 v[18:19], v[18:19], -v[156:157]
	;; [unrolled: 8-line block ×6, first 2 shown]
	s_waitcnt lgkmcnt(0)
	v_mul_f64 v[26:27], v[166:167], v[250:251]
	v_mul_f64 v[156:157], v[164:165], v[250:251]
	v_fma_f64 v[26:27], v[164:165], v[24:25], -v[26:27]
	v_fmac_f64_e32 v[156:157], v[166:167], v[24:25]
	v_add_f64 v[236:237], v[236:237], -v[26:27]
	v_add_f64 v[238:239], v[238:239], -v[156:157]
	v_mov_b64_e32 v[26:27], v[250:251]
.LBB118_1112:
	s_or_b64 exec, exec, s[0:1]
	v_lshl_add_u32 v156, v253, 4, v252
	s_barrier
	ds_write2_b64 v156, v[20:21], v[22:23] offset1:1
	s_waitcnt lgkmcnt(0)
	s_barrier
	ds_read2_b64 v[240:243], v252 offset0:106 offset1:107
	s_cmp_lt_i32 s20, 55
	v_mov_b32_e32 v250, 53
	s_cbranch_scc1 .LBB118_1115
; %bb.1113:
	v_add_u32_e32 v246, 0x360, v252
	s_mov_b32 s0, 54
	v_mov_b32_e32 v250, 53
.LBB118_1114:                           ; =>This Inner Loop Header: Depth=1
	ds_read2_b64 v[164:167], v246 offset1:1
	s_waitcnt lgkmcnt(1)
	v_cmp_gt_f64_e32 vcc, 0, v[240:241]
	v_xor_b32_e32 v156, 0x80000000, v241
	v_xor_b32_e32 v158, 0x80000000, v243
	v_cndmask_b32_e32 v157, v241, v156, vcc
	v_cmp_gt_f64_e32 vcc, 0, v[242:243]
	v_mov_b32_e32 v156, v240
	s_waitcnt lgkmcnt(0)
	v_xor_b32_e32 v216, 0x80000000, v167
	v_cndmask_b32_e32 v159, v243, v158, vcc
	v_mov_b32_e32 v158, v242
	v_add_f64 v[156:157], v[156:157], v[158:159]
	v_cmp_gt_f64_e32 vcc, 0, v[164:165]
	v_xor_b32_e32 v158, 0x80000000, v165
	v_add_u32_e32 v246, 16, v246
	v_cndmask_b32_e32 v159, v165, v158, vcc
	v_cmp_gt_f64_e32 vcc, 0, v[166:167]
	v_mov_b32_e32 v158, v164
	s_nop 0
	v_cndmask_b32_e32 v217, v167, v216, vcc
	v_mov_b32_e32 v216, v166
	v_add_f64 v[158:159], v[158:159], v[216:217]
	v_cmp_lt_f64_e32 vcc, v[156:157], v[158:159]
	v_mov_b32_e32 v156, s0
	s_add_i32 s0, s0, 1
	v_cndmask_b32_e32 v241, v241, v165, vcc
	v_cndmask_b32_e32 v240, v240, v164, vcc
	;; [unrolled: 1-line block ×5, first 2 shown]
	s_cmp_lg_u32 s20, s0
	s_cbranch_scc1 .LBB118_1114
.LBB118_1115:
	s_waitcnt lgkmcnt(0)
	v_cmp_eq_f64_e32 vcc, 0, v[240:241]
	v_cmp_eq_f64_e64 s[0:1], 0, v[242:243]
	s_and_b64 s[0:1], vcc, s[0:1]
	s_and_saveexec_b64 s[16:17], s[0:1]
	s_xor_b64 s[0:1], exec, s[16:17]
; %bb.1116:
	v_cmp_ne_u32_e32 vcc, 0, v254
	s_nop 1
	v_cndmask_b32_e32 v254, 54, v254, vcc
; %bb.1117:
	s_andn2_saveexec_b64 s[0:1], s[0:1]
	s_cbranch_execz .LBB118_1123
; %bb.1118:
	v_cmp_ngt_f64_e64 s[16:17], |v[240:241]|, |v[242:243]|
	s_and_saveexec_b64 s[18:19], s[16:17]
	s_xor_b64 s[16:17], exec, s[18:19]
	s_cbranch_execz .LBB118_1120
; %bb.1119:
	v_div_scale_f64 v[156:157], s[18:19], v[242:243], v[242:243], v[240:241]
	v_rcp_f64_e32 v[158:159], v[156:157]
	v_div_scale_f64 v[164:165], vcc, v[240:241], v[242:243], v[240:241]
	v_fma_f64 v[166:167], -v[156:157], v[158:159], 1.0
	v_fmac_f64_e32 v[158:159], v[158:159], v[166:167]
	v_fma_f64 v[166:167], -v[156:157], v[158:159], 1.0
	v_fmac_f64_e32 v[158:159], v[158:159], v[166:167]
	v_mul_f64 v[166:167], v[164:165], v[158:159]
	v_fma_f64 v[156:157], -v[156:157], v[166:167], v[164:165]
	v_div_fmas_f64 v[156:157], v[156:157], v[158:159], v[166:167]
	v_div_fixup_f64 v[156:157], v[156:157], v[242:243], v[240:241]
	v_fmac_f64_e32 v[242:243], v[240:241], v[156:157]
	v_div_scale_f64 v[158:159], s[18:19], v[242:243], v[242:243], 1.0
	v_rcp_f64_e32 v[164:165], v[158:159]
	s_nop 0
	v_fma_f64 v[166:167], -v[158:159], v[164:165], 1.0
	v_fmac_f64_e32 v[164:165], v[164:165], v[166:167]
	v_fma_f64 v[166:167], -v[158:159], v[164:165], 1.0
	v_fmac_f64_e32 v[164:165], v[164:165], v[166:167]
	v_div_scale_f64 v[166:167], vcc, 1.0, v[242:243], 1.0
	v_mul_f64 v[216:217], v[166:167], v[164:165]
	v_fma_f64 v[158:159], -v[158:159], v[216:217], v[166:167]
	s_nop 1
	v_div_fmas_f64 v[158:159], v[158:159], v[164:165], v[216:217]
	v_div_fixup_f64 v[242:243], v[158:159], v[242:243], 1.0
	v_mul_f64 v[240:241], v[156:157], v[242:243]
	v_xor_b32_e32 v243, 0x80000000, v243
.LBB118_1120:
	s_andn2_saveexec_b64 s[16:17], s[16:17]
	s_cbranch_execz .LBB118_1122
; %bb.1121:
	v_div_scale_f64 v[156:157], s[18:19], v[240:241], v[240:241], v[242:243]
	v_rcp_f64_e32 v[158:159], v[156:157]
	v_div_scale_f64 v[164:165], vcc, v[242:243], v[240:241], v[242:243]
	v_fma_f64 v[166:167], -v[156:157], v[158:159], 1.0
	v_fmac_f64_e32 v[158:159], v[158:159], v[166:167]
	v_fma_f64 v[166:167], -v[156:157], v[158:159], 1.0
	v_fmac_f64_e32 v[158:159], v[158:159], v[166:167]
	v_mul_f64 v[166:167], v[164:165], v[158:159]
	v_fma_f64 v[156:157], -v[156:157], v[166:167], v[164:165]
	v_div_fmas_f64 v[156:157], v[156:157], v[158:159], v[166:167]
	v_div_fixup_f64 v[156:157], v[156:157], v[240:241], v[242:243]
	v_fmac_f64_e32 v[240:241], v[242:243], v[156:157]
	v_div_scale_f64 v[158:159], s[18:19], v[240:241], v[240:241], 1.0
	v_rcp_f64_e32 v[164:165], v[158:159]
	s_nop 0
	v_fma_f64 v[166:167], -v[158:159], v[164:165], 1.0
	v_fmac_f64_e32 v[164:165], v[164:165], v[166:167]
	v_fma_f64 v[166:167], -v[158:159], v[164:165], 1.0
	v_fmac_f64_e32 v[164:165], v[164:165], v[166:167]
	v_div_scale_f64 v[166:167], vcc, 1.0, v[240:241], 1.0
	v_mul_f64 v[216:217], v[166:167], v[164:165]
	v_fma_f64 v[158:159], -v[158:159], v[216:217], v[166:167]
	s_nop 1
	v_div_fmas_f64 v[158:159], v[158:159], v[164:165], v[216:217]
	v_div_fixup_f64 v[240:241], v[158:159], v[240:241], 1.0
	v_mul_f64 v[242:243], v[156:157], -v[240:241]
.LBB118_1122:
	s_or_b64 exec, exec, s[16:17]
.LBB118_1123:
	s_or_b64 exec, exec, s[0:1]
	v_cmp_ne_u32_e32 vcc, v253, v250
	s_and_saveexec_b64 s[0:1], vcc
	s_xor_b64 s[0:1], exec, s[0:1]
	s_cbranch_execz .LBB118_1129
; %bb.1124:
	v_cmp_eq_u32_e32 vcc, 53, v253
	s_and_saveexec_b64 s[16:17], vcc
	s_cbranch_execz .LBB118_1128
; %bb.1125:
	v_cmp_ne_u32_e32 vcc, 53, v250
	s_xor_b64 s[18:19], s[14:15], -1
	s_and_b64 s[22:23], s[18:19], vcc
	s_and_saveexec_b64 s[18:19], s[22:23]
	s_cbranch_execz .LBB118_1127
; %bb.1126:
	v_ashrrev_i32_e32 v251, 31, v250
	v_lshl_add_u64 v[156:157], v[250:251], 2, v[234:235]
	global_load_dword v158, v[156:157], off
	global_load_dword v159, v[234:235], off offset:212
	s_waitcnt vmcnt(1)
	global_store_dword v[234:235], v158, off offset:212
	s_waitcnt vmcnt(1)
	global_store_dword v[156:157], v159, off
.LBB118_1127:
	s_or_b64 exec, exec, s[18:19]
	v_mov_b32_e32 v253, v250
	v_mov_b32_e32 v244, v250
.LBB118_1128:
	s_or_b64 exec, exec, s[16:17]
.LBB118_1129:
	s_andn2_saveexec_b64 s[0:1], s[0:1]
	s_cbranch_execz .LBB118_1131
; %bb.1130:
	v_mov_b32_e32 v253, 53
	ds_write2_b64 v252, v[16:17], v[18:19] offset0:108 offset1:109
	ds_write2_b64 v252, v[12:13], v[14:15] offset0:110 offset1:111
	;; [unrolled: 1-line block ×6, first 2 shown]
.LBB118_1131:
	s_or_b64 exec, exec, s[0:1]
	v_cmp_lt_i32_e32 vcc, 53, v253
	s_waitcnt lgkmcnt(0)
	s_barrier
	s_and_saveexec_b64 s[0:1], vcc
	s_cbranch_execz .LBB118_1133
; %bb.1132:
	ds_read2_b64 v[164:167], v252 offset0:108 offset1:109
	v_mul_f64 v[156:157], v[240:241], v[22:23]
	v_fmac_f64_e32 v[156:157], v[242:243], v[20:21]
	v_mul_f64 v[22:23], v[242:243], v[22:23]
	v_fma_f64 v[20:21], v[240:241], v[20:21], -v[22:23]
	s_waitcnt lgkmcnt(0)
	v_mul_f64 v[22:23], v[166:167], v[156:157]
	v_mul_f64 v[158:159], v[164:165], v[156:157]
	v_fma_f64 v[22:23], v[164:165], v[20:21], -v[22:23]
	v_fmac_f64_e32 v[158:159], v[166:167], v[20:21]
	ds_read2_b64 v[164:167], v252 offset0:110 offset1:111
	v_add_f64 v[16:17], v[16:17], -v[22:23]
	v_add_f64 v[18:19], v[18:19], -v[158:159]
	s_waitcnt lgkmcnt(0)
	v_mul_f64 v[22:23], v[166:167], v[156:157]
	v_mul_f64 v[158:159], v[164:165], v[156:157]
	v_fma_f64 v[22:23], v[164:165], v[20:21], -v[22:23]
	v_fmac_f64_e32 v[158:159], v[166:167], v[20:21]
	ds_read2_b64 v[164:167], v252 offset0:112 offset1:113
	v_add_f64 v[12:13], v[12:13], -v[22:23]
	v_add_f64 v[14:15], v[14:15], -v[158:159]
	;; [unrolled: 8-line block ×5, first 2 shown]
	s_waitcnt lgkmcnt(0)
	v_mul_f64 v[22:23], v[166:167], v[156:157]
	v_mul_f64 v[158:159], v[164:165], v[156:157]
	v_fma_f64 v[22:23], v[164:165], v[20:21], -v[22:23]
	v_fmac_f64_e32 v[158:159], v[166:167], v[20:21]
	v_add_f64 v[236:237], v[236:237], -v[22:23]
	v_add_f64 v[238:239], v[238:239], -v[158:159]
	v_mov_b64_e32 v[22:23], v[156:157]
.LBB118_1133:
	s_or_b64 exec, exec, s[0:1]
	v_lshl_add_u32 v156, v253, 4, v252
	s_barrier
	ds_write2_b64 v156, v[16:17], v[18:19] offset1:1
	s_waitcnt lgkmcnt(0)
	s_barrier
	ds_read2_b64 v[240:243], v252 offset0:108 offset1:109
	s_cmp_lt_i32 s20, 56
	v_mov_b32_e32 v250, 54
	s_cbranch_scc1 .LBB118_1136
; %bb.1134:
	v_add_u32_e32 v246, 0x370, v252
	s_mov_b32 s0, 55
	v_mov_b32_e32 v250, 54
.LBB118_1135:                           ; =>This Inner Loop Header: Depth=1
	ds_read2_b64 v[164:167], v246 offset1:1
	s_waitcnt lgkmcnt(1)
	v_cmp_gt_f64_e32 vcc, 0, v[240:241]
	v_xor_b32_e32 v156, 0x80000000, v241
	v_xor_b32_e32 v158, 0x80000000, v243
	v_cndmask_b32_e32 v157, v241, v156, vcc
	v_cmp_gt_f64_e32 vcc, 0, v[242:243]
	v_mov_b32_e32 v156, v240
	s_waitcnt lgkmcnt(0)
	v_xor_b32_e32 v216, 0x80000000, v167
	v_cndmask_b32_e32 v159, v243, v158, vcc
	v_mov_b32_e32 v158, v242
	v_add_f64 v[156:157], v[156:157], v[158:159]
	v_cmp_gt_f64_e32 vcc, 0, v[164:165]
	v_xor_b32_e32 v158, 0x80000000, v165
	v_add_u32_e32 v246, 16, v246
	v_cndmask_b32_e32 v159, v165, v158, vcc
	v_cmp_gt_f64_e32 vcc, 0, v[166:167]
	v_mov_b32_e32 v158, v164
	s_nop 0
	v_cndmask_b32_e32 v217, v167, v216, vcc
	v_mov_b32_e32 v216, v166
	v_add_f64 v[158:159], v[158:159], v[216:217]
	v_cmp_lt_f64_e32 vcc, v[156:157], v[158:159]
	v_mov_b32_e32 v156, s0
	s_add_i32 s0, s0, 1
	v_cndmask_b32_e32 v241, v241, v165, vcc
	v_cndmask_b32_e32 v240, v240, v164, vcc
	;; [unrolled: 1-line block ×5, first 2 shown]
	s_cmp_lg_u32 s20, s0
	s_cbranch_scc1 .LBB118_1135
.LBB118_1136:
	s_waitcnt lgkmcnt(0)
	v_cmp_eq_f64_e32 vcc, 0, v[240:241]
	v_cmp_eq_f64_e64 s[0:1], 0, v[242:243]
	s_and_b64 s[0:1], vcc, s[0:1]
	s_and_saveexec_b64 s[16:17], s[0:1]
	s_xor_b64 s[0:1], exec, s[16:17]
; %bb.1137:
	v_cmp_ne_u32_e32 vcc, 0, v254
	s_nop 1
	v_cndmask_b32_e32 v254, 55, v254, vcc
; %bb.1138:
	s_andn2_saveexec_b64 s[0:1], s[0:1]
	s_cbranch_execz .LBB118_1144
; %bb.1139:
	v_cmp_ngt_f64_e64 s[16:17], |v[240:241]|, |v[242:243]|
	s_and_saveexec_b64 s[18:19], s[16:17]
	s_xor_b64 s[16:17], exec, s[18:19]
	s_cbranch_execz .LBB118_1141
; %bb.1140:
	v_div_scale_f64 v[156:157], s[18:19], v[242:243], v[242:243], v[240:241]
	v_rcp_f64_e32 v[158:159], v[156:157]
	v_div_scale_f64 v[164:165], vcc, v[240:241], v[242:243], v[240:241]
	v_fma_f64 v[166:167], -v[156:157], v[158:159], 1.0
	v_fmac_f64_e32 v[158:159], v[158:159], v[166:167]
	v_fma_f64 v[166:167], -v[156:157], v[158:159], 1.0
	v_fmac_f64_e32 v[158:159], v[158:159], v[166:167]
	v_mul_f64 v[166:167], v[164:165], v[158:159]
	v_fma_f64 v[156:157], -v[156:157], v[166:167], v[164:165]
	v_div_fmas_f64 v[156:157], v[156:157], v[158:159], v[166:167]
	v_div_fixup_f64 v[156:157], v[156:157], v[242:243], v[240:241]
	v_fmac_f64_e32 v[242:243], v[240:241], v[156:157]
	v_div_scale_f64 v[158:159], s[18:19], v[242:243], v[242:243], 1.0
	v_rcp_f64_e32 v[164:165], v[158:159]
	s_nop 0
	v_fma_f64 v[166:167], -v[158:159], v[164:165], 1.0
	v_fmac_f64_e32 v[164:165], v[164:165], v[166:167]
	v_fma_f64 v[166:167], -v[158:159], v[164:165], 1.0
	v_fmac_f64_e32 v[164:165], v[164:165], v[166:167]
	v_div_scale_f64 v[166:167], vcc, 1.0, v[242:243], 1.0
	v_mul_f64 v[216:217], v[166:167], v[164:165]
	v_fma_f64 v[158:159], -v[158:159], v[216:217], v[166:167]
	s_nop 1
	v_div_fmas_f64 v[158:159], v[158:159], v[164:165], v[216:217]
	v_div_fixup_f64 v[242:243], v[158:159], v[242:243], 1.0
	v_mul_f64 v[240:241], v[156:157], v[242:243]
	v_xor_b32_e32 v243, 0x80000000, v243
.LBB118_1141:
	s_andn2_saveexec_b64 s[16:17], s[16:17]
	s_cbranch_execz .LBB118_1143
; %bb.1142:
	v_div_scale_f64 v[156:157], s[18:19], v[240:241], v[240:241], v[242:243]
	v_rcp_f64_e32 v[158:159], v[156:157]
	v_div_scale_f64 v[164:165], vcc, v[242:243], v[240:241], v[242:243]
	v_fma_f64 v[166:167], -v[156:157], v[158:159], 1.0
	v_fmac_f64_e32 v[158:159], v[158:159], v[166:167]
	v_fma_f64 v[166:167], -v[156:157], v[158:159], 1.0
	v_fmac_f64_e32 v[158:159], v[158:159], v[166:167]
	v_mul_f64 v[166:167], v[164:165], v[158:159]
	v_fma_f64 v[156:157], -v[156:157], v[166:167], v[164:165]
	v_div_fmas_f64 v[156:157], v[156:157], v[158:159], v[166:167]
	v_div_fixup_f64 v[156:157], v[156:157], v[240:241], v[242:243]
	v_fmac_f64_e32 v[240:241], v[242:243], v[156:157]
	v_div_scale_f64 v[158:159], s[18:19], v[240:241], v[240:241], 1.0
	v_rcp_f64_e32 v[164:165], v[158:159]
	s_nop 0
	v_fma_f64 v[166:167], -v[158:159], v[164:165], 1.0
	v_fmac_f64_e32 v[164:165], v[164:165], v[166:167]
	v_fma_f64 v[166:167], -v[158:159], v[164:165], 1.0
	v_fmac_f64_e32 v[164:165], v[164:165], v[166:167]
	v_div_scale_f64 v[166:167], vcc, 1.0, v[240:241], 1.0
	v_mul_f64 v[216:217], v[166:167], v[164:165]
	v_fma_f64 v[158:159], -v[158:159], v[216:217], v[166:167]
	s_nop 1
	v_div_fmas_f64 v[158:159], v[158:159], v[164:165], v[216:217]
	v_div_fixup_f64 v[240:241], v[158:159], v[240:241], 1.0
	v_mul_f64 v[242:243], v[156:157], -v[240:241]
.LBB118_1143:
	s_or_b64 exec, exec, s[16:17]
.LBB118_1144:
	s_or_b64 exec, exec, s[0:1]
	v_cmp_ne_u32_e32 vcc, v253, v250
	s_and_saveexec_b64 s[0:1], vcc
	s_xor_b64 s[0:1], exec, s[0:1]
	s_cbranch_execz .LBB118_1150
; %bb.1145:
	v_cmp_eq_u32_e32 vcc, 54, v253
	s_and_saveexec_b64 s[16:17], vcc
	s_cbranch_execz .LBB118_1149
; %bb.1146:
	v_cmp_ne_u32_e32 vcc, 54, v250
	s_xor_b64 s[18:19], s[14:15], -1
	s_and_b64 s[22:23], s[18:19], vcc
	s_and_saveexec_b64 s[18:19], s[22:23]
	s_cbranch_execz .LBB118_1148
; %bb.1147:
	v_ashrrev_i32_e32 v251, 31, v250
	v_lshl_add_u64 v[156:157], v[250:251], 2, v[234:235]
	global_load_dword v158, v[156:157], off
	global_load_dword v159, v[234:235], off offset:216
	s_waitcnt vmcnt(1)
	global_store_dword v[234:235], v158, off offset:216
	s_waitcnt vmcnt(1)
	global_store_dword v[156:157], v159, off
.LBB118_1148:
	s_or_b64 exec, exec, s[18:19]
	v_mov_b32_e32 v253, v250
	v_mov_b32_e32 v244, v250
.LBB118_1149:
	s_or_b64 exec, exec, s[16:17]
.LBB118_1150:
	s_andn2_saveexec_b64 s[0:1], s[0:1]
	s_cbranch_execz .LBB118_1152
; %bb.1151:
	v_mov_b32_e32 v253, 54
	ds_write2_b64 v252, v[12:13], v[14:15] offset0:110 offset1:111
	ds_write2_b64 v252, v[230:231], v[232:233] offset0:112 offset1:113
	;; [unrolled: 1-line block ×5, first 2 shown]
.LBB118_1152:
	s_or_b64 exec, exec, s[0:1]
	v_cmp_lt_i32_e32 vcc, 54, v253
	s_waitcnt lgkmcnt(0)
	s_barrier
	s_and_saveexec_b64 s[0:1], vcc
	s_cbranch_execz .LBB118_1154
; %bb.1153:
	ds_read2_b64 v[164:167], v252 offset0:110 offset1:111
	v_mul_f64 v[156:157], v[240:241], v[18:19]
	v_fmac_f64_e32 v[156:157], v[242:243], v[16:17]
	v_mul_f64 v[18:19], v[242:243], v[18:19]
	v_fma_f64 v[16:17], v[240:241], v[16:17], -v[18:19]
	s_waitcnt lgkmcnt(0)
	v_mul_f64 v[18:19], v[166:167], v[156:157]
	v_mul_f64 v[158:159], v[164:165], v[156:157]
	v_fma_f64 v[18:19], v[164:165], v[16:17], -v[18:19]
	v_fmac_f64_e32 v[158:159], v[166:167], v[16:17]
	ds_read2_b64 v[164:167], v252 offset0:112 offset1:113
	v_add_f64 v[12:13], v[12:13], -v[18:19]
	v_add_f64 v[14:15], v[14:15], -v[158:159]
	s_waitcnt lgkmcnt(0)
	v_mul_f64 v[18:19], v[166:167], v[156:157]
	v_mul_f64 v[158:159], v[164:165], v[156:157]
	v_fma_f64 v[18:19], v[164:165], v[16:17], -v[18:19]
	v_fmac_f64_e32 v[158:159], v[166:167], v[16:17]
	ds_read2_b64 v[164:167], v252 offset0:114 offset1:115
	v_add_f64 v[230:231], v[230:231], -v[18:19]
	v_add_f64 v[232:233], v[232:233], -v[158:159]
	;; [unrolled: 8-line block ×4, first 2 shown]
	s_waitcnt lgkmcnt(0)
	v_mul_f64 v[18:19], v[166:167], v[156:157]
	v_mul_f64 v[158:159], v[164:165], v[156:157]
	v_fma_f64 v[18:19], v[164:165], v[16:17], -v[18:19]
	v_fmac_f64_e32 v[158:159], v[166:167], v[16:17]
	v_add_f64 v[236:237], v[236:237], -v[18:19]
	v_add_f64 v[238:239], v[238:239], -v[158:159]
	v_mov_b64_e32 v[18:19], v[156:157]
.LBB118_1154:
	s_or_b64 exec, exec, s[0:1]
	v_lshl_add_u32 v156, v253, 4, v252
	s_barrier
	ds_write2_b64 v156, v[12:13], v[14:15] offset1:1
	s_waitcnt lgkmcnt(0)
	s_barrier
	ds_read2_b64 v[240:243], v252 offset0:110 offset1:111
	s_cmp_lt_i32 s20, 57
	v_mov_b32_e32 v250, 55
	s_cbranch_scc1 .LBB118_1157
; %bb.1155:
	v_add_u32_e32 v246, 0x380, v252
	s_mov_b32 s0, 56
	v_mov_b32_e32 v250, 55
.LBB118_1156:                           ; =>This Inner Loop Header: Depth=1
	ds_read2_b64 v[164:167], v246 offset1:1
	s_waitcnt lgkmcnt(1)
	v_cmp_gt_f64_e32 vcc, 0, v[240:241]
	v_xor_b32_e32 v156, 0x80000000, v241
	v_xor_b32_e32 v158, 0x80000000, v243
	v_cndmask_b32_e32 v157, v241, v156, vcc
	v_cmp_gt_f64_e32 vcc, 0, v[242:243]
	v_mov_b32_e32 v156, v240
	s_waitcnt lgkmcnt(0)
	v_xor_b32_e32 v216, 0x80000000, v167
	v_cndmask_b32_e32 v159, v243, v158, vcc
	v_mov_b32_e32 v158, v242
	v_add_f64 v[156:157], v[156:157], v[158:159]
	v_cmp_gt_f64_e32 vcc, 0, v[164:165]
	v_xor_b32_e32 v158, 0x80000000, v165
	v_add_u32_e32 v246, 16, v246
	v_cndmask_b32_e32 v159, v165, v158, vcc
	v_cmp_gt_f64_e32 vcc, 0, v[166:167]
	v_mov_b32_e32 v158, v164
	s_nop 0
	v_cndmask_b32_e32 v217, v167, v216, vcc
	v_mov_b32_e32 v216, v166
	v_add_f64 v[158:159], v[158:159], v[216:217]
	v_cmp_lt_f64_e32 vcc, v[156:157], v[158:159]
	v_mov_b32_e32 v156, s0
	s_add_i32 s0, s0, 1
	v_cndmask_b32_e32 v241, v241, v165, vcc
	v_cndmask_b32_e32 v240, v240, v164, vcc
	;; [unrolled: 1-line block ×5, first 2 shown]
	s_cmp_lg_u32 s20, s0
	s_cbranch_scc1 .LBB118_1156
.LBB118_1157:
	s_waitcnt lgkmcnt(0)
	v_cmp_eq_f64_e32 vcc, 0, v[240:241]
	v_cmp_eq_f64_e64 s[0:1], 0, v[242:243]
	s_and_b64 s[0:1], vcc, s[0:1]
	s_and_saveexec_b64 s[16:17], s[0:1]
	s_xor_b64 s[0:1], exec, s[16:17]
; %bb.1158:
	v_cmp_ne_u32_e32 vcc, 0, v254
	s_nop 1
	v_cndmask_b32_e32 v254, 56, v254, vcc
; %bb.1159:
	s_andn2_saveexec_b64 s[0:1], s[0:1]
	s_cbranch_execz .LBB118_1165
; %bb.1160:
	v_cmp_ngt_f64_e64 s[16:17], |v[240:241]|, |v[242:243]|
	s_and_saveexec_b64 s[18:19], s[16:17]
	s_xor_b64 s[16:17], exec, s[18:19]
	s_cbranch_execz .LBB118_1162
; %bb.1161:
	v_div_scale_f64 v[156:157], s[18:19], v[242:243], v[242:243], v[240:241]
	v_rcp_f64_e32 v[158:159], v[156:157]
	v_div_scale_f64 v[164:165], vcc, v[240:241], v[242:243], v[240:241]
	v_fma_f64 v[166:167], -v[156:157], v[158:159], 1.0
	v_fmac_f64_e32 v[158:159], v[158:159], v[166:167]
	v_fma_f64 v[166:167], -v[156:157], v[158:159], 1.0
	v_fmac_f64_e32 v[158:159], v[158:159], v[166:167]
	v_mul_f64 v[166:167], v[164:165], v[158:159]
	v_fma_f64 v[156:157], -v[156:157], v[166:167], v[164:165]
	v_div_fmas_f64 v[156:157], v[156:157], v[158:159], v[166:167]
	v_div_fixup_f64 v[156:157], v[156:157], v[242:243], v[240:241]
	v_fmac_f64_e32 v[242:243], v[240:241], v[156:157]
	v_div_scale_f64 v[158:159], s[18:19], v[242:243], v[242:243], 1.0
	v_rcp_f64_e32 v[164:165], v[158:159]
	s_nop 0
	v_fma_f64 v[166:167], -v[158:159], v[164:165], 1.0
	v_fmac_f64_e32 v[164:165], v[164:165], v[166:167]
	v_fma_f64 v[166:167], -v[158:159], v[164:165], 1.0
	v_fmac_f64_e32 v[164:165], v[164:165], v[166:167]
	v_div_scale_f64 v[166:167], vcc, 1.0, v[242:243], 1.0
	v_mul_f64 v[216:217], v[166:167], v[164:165]
	v_fma_f64 v[158:159], -v[158:159], v[216:217], v[166:167]
	s_nop 1
	v_div_fmas_f64 v[158:159], v[158:159], v[164:165], v[216:217]
	v_div_fixup_f64 v[242:243], v[158:159], v[242:243], 1.0
	v_mul_f64 v[240:241], v[156:157], v[242:243]
	v_xor_b32_e32 v243, 0x80000000, v243
.LBB118_1162:
	s_andn2_saveexec_b64 s[16:17], s[16:17]
	s_cbranch_execz .LBB118_1164
; %bb.1163:
	v_div_scale_f64 v[156:157], s[18:19], v[240:241], v[240:241], v[242:243]
	v_rcp_f64_e32 v[158:159], v[156:157]
	v_div_scale_f64 v[164:165], vcc, v[242:243], v[240:241], v[242:243]
	v_fma_f64 v[166:167], -v[156:157], v[158:159], 1.0
	v_fmac_f64_e32 v[158:159], v[158:159], v[166:167]
	v_fma_f64 v[166:167], -v[156:157], v[158:159], 1.0
	v_fmac_f64_e32 v[158:159], v[158:159], v[166:167]
	v_mul_f64 v[166:167], v[164:165], v[158:159]
	v_fma_f64 v[156:157], -v[156:157], v[166:167], v[164:165]
	v_div_fmas_f64 v[156:157], v[156:157], v[158:159], v[166:167]
	v_div_fixup_f64 v[156:157], v[156:157], v[240:241], v[242:243]
	v_fmac_f64_e32 v[240:241], v[242:243], v[156:157]
	v_div_scale_f64 v[158:159], s[18:19], v[240:241], v[240:241], 1.0
	v_rcp_f64_e32 v[164:165], v[158:159]
	s_nop 0
	v_fma_f64 v[166:167], -v[158:159], v[164:165], 1.0
	v_fmac_f64_e32 v[164:165], v[164:165], v[166:167]
	v_fma_f64 v[166:167], -v[158:159], v[164:165], 1.0
	v_fmac_f64_e32 v[164:165], v[164:165], v[166:167]
	v_div_scale_f64 v[166:167], vcc, 1.0, v[240:241], 1.0
	v_mul_f64 v[216:217], v[166:167], v[164:165]
	v_fma_f64 v[158:159], -v[158:159], v[216:217], v[166:167]
	s_nop 1
	v_div_fmas_f64 v[158:159], v[158:159], v[164:165], v[216:217]
	v_div_fixup_f64 v[240:241], v[158:159], v[240:241], 1.0
	v_mul_f64 v[242:243], v[156:157], -v[240:241]
.LBB118_1164:
	s_or_b64 exec, exec, s[16:17]
.LBB118_1165:
	s_or_b64 exec, exec, s[0:1]
	v_cmp_ne_u32_e32 vcc, v253, v250
	s_and_saveexec_b64 s[0:1], vcc
	s_xor_b64 s[0:1], exec, s[0:1]
	s_cbranch_execz .LBB118_1171
; %bb.1166:
	v_cmp_eq_u32_e32 vcc, 55, v253
	s_and_saveexec_b64 s[16:17], vcc
	s_cbranch_execz .LBB118_1170
; %bb.1167:
	v_cmp_ne_u32_e32 vcc, 55, v250
	s_xor_b64 s[18:19], s[14:15], -1
	s_and_b64 s[22:23], s[18:19], vcc
	s_and_saveexec_b64 s[18:19], s[22:23]
	s_cbranch_execz .LBB118_1169
; %bb.1168:
	v_ashrrev_i32_e32 v251, 31, v250
	v_lshl_add_u64 v[156:157], v[250:251], 2, v[234:235]
	global_load_dword v158, v[156:157], off
	global_load_dword v159, v[234:235], off offset:220
	s_waitcnt vmcnt(1)
	global_store_dword v[234:235], v158, off offset:220
	s_waitcnt vmcnt(1)
	global_store_dword v[156:157], v159, off
.LBB118_1169:
	s_or_b64 exec, exec, s[18:19]
	v_mov_b32_e32 v253, v250
	v_mov_b32_e32 v244, v250
.LBB118_1170:
	s_or_b64 exec, exec, s[16:17]
.LBB118_1171:
	s_andn2_saveexec_b64 s[0:1], s[0:1]
	s_cbranch_execz .LBB118_1173
; %bb.1172:
	v_mov_b32_e32 v253, 55
	ds_write2_b64 v252, v[230:231], v[232:233] offset0:112 offset1:113
	ds_write2_b64 v252, v[224:225], v[226:227] offset0:114 offset1:115
	;; [unrolled: 1-line block ×4, first 2 shown]
.LBB118_1173:
	s_or_b64 exec, exec, s[0:1]
	v_cmp_lt_i32_e32 vcc, 55, v253
	s_waitcnt lgkmcnt(0)
	s_barrier
	s_and_saveexec_b64 s[0:1], vcc
	s_cbranch_execz .LBB118_1175
; %bb.1174:
	ds_read2_b64 v[164:167], v252 offset0:112 offset1:113
	v_mul_f64 v[156:157], v[240:241], v[14:15]
	v_fmac_f64_e32 v[156:157], v[242:243], v[12:13]
	v_mul_f64 v[14:15], v[242:243], v[14:15]
	v_fma_f64 v[12:13], v[240:241], v[12:13], -v[14:15]
	s_waitcnt lgkmcnt(0)
	v_mul_f64 v[14:15], v[166:167], v[156:157]
	v_mul_f64 v[158:159], v[164:165], v[156:157]
	v_fma_f64 v[14:15], v[164:165], v[12:13], -v[14:15]
	v_fmac_f64_e32 v[158:159], v[166:167], v[12:13]
	ds_read2_b64 v[164:167], v252 offset0:114 offset1:115
	v_add_f64 v[230:231], v[230:231], -v[14:15]
	v_add_f64 v[232:233], v[232:233], -v[158:159]
	s_waitcnt lgkmcnt(0)
	v_mul_f64 v[14:15], v[166:167], v[156:157]
	v_mul_f64 v[158:159], v[164:165], v[156:157]
	v_fma_f64 v[14:15], v[164:165], v[12:13], -v[14:15]
	v_fmac_f64_e32 v[158:159], v[166:167], v[12:13]
	ds_read2_b64 v[164:167], v252 offset0:116 offset1:117
	v_add_f64 v[224:225], v[224:225], -v[14:15]
	v_add_f64 v[226:227], v[226:227], -v[158:159]
	;; [unrolled: 8-line block ×3, first 2 shown]
	s_waitcnt lgkmcnt(0)
	v_mul_f64 v[14:15], v[166:167], v[156:157]
	v_mul_f64 v[158:159], v[164:165], v[156:157]
	v_fma_f64 v[14:15], v[164:165], v[12:13], -v[14:15]
	v_fmac_f64_e32 v[158:159], v[166:167], v[12:13]
	v_add_f64 v[236:237], v[236:237], -v[14:15]
	v_add_f64 v[238:239], v[238:239], -v[158:159]
	v_mov_b64_e32 v[14:15], v[156:157]
.LBB118_1175:
	s_or_b64 exec, exec, s[0:1]
	v_lshl_add_u32 v156, v253, 4, v252
	s_barrier
	ds_write2_b64 v156, v[230:231], v[232:233] offset1:1
	s_waitcnt lgkmcnt(0)
	s_barrier
	ds_read2_b64 v[240:243], v252 offset0:112 offset1:113
	s_cmp_lt_i32 s20, 58
	v_mov_b32_e32 v250, 56
	s_cbranch_scc1 .LBB118_1178
; %bb.1176:
	v_add_u32_e32 v246, 0x390, v252
	s_mov_b32 s0, 57
	v_mov_b32_e32 v250, 56
.LBB118_1177:                           ; =>This Inner Loop Header: Depth=1
	ds_read2_b64 v[164:167], v246 offset1:1
	s_waitcnt lgkmcnt(1)
	v_cmp_gt_f64_e32 vcc, 0, v[240:241]
	v_xor_b32_e32 v156, 0x80000000, v241
	v_xor_b32_e32 v158, 0x80000000, v243
	v_cndmask_b32_e32 v157, v241, v156, vcc
	v_cmp_gt_f64_e32 vcc, 0, v[242:243]
	v_mov_b32_e32 v156, v240
	s_waitcnt lgkmcnt(0)
	v_xor_b32_e32 v216, 0x80000000, v167
	v_cndmask_b32_e32 v159, v243, v158, vcc
	v_mov_b32_e32 v158, v242
	v_add_f64 v[156:157], v[156:157], v[158:159]
	v_cmp_gt_f64_e32 vcc, 0, v[164:165]
	v_xor_b32_e32 v158, 0x80000000, v165
	v_add_u32_e32 v246, 16, v246
	v_cndmask_b32_e32 v159, v165, v158, vcc
	v_cmp_gt_f64_e32 vcc, 0, v[166:167]
	v_mov_b32_e32 v158, v164
	s_nop 0
	v_cndmask_b32_e32 v217, v167, v216, vcc
	v_mov_b32_e32 v216, v166
	v_add_f64 v[158:159], v[158:159], v[216:217]
	v_cmp_lt_f64_e32 vcc, v[156:157], v[158:159]
	v_mov_b32_e32 v156, s0
	s_add_i32 s0, s0, 1
	v_cndmask_b32_e32 v241, v241, v165, vcc
	v_cndmask_b32_e32 v240, v240, v164, vcc
	;; [unrolled: 1-line block ×5, first 2 shown]
	s_cmp_lg_u32 s20, s0
	s_cbranch_scc1 .LBB118_1177
.LBB118_1178:
	s_waitcnt lgkmcnt(0)
	v_cmp_eq_f64_e32 vcc, 0, v[240:241]
	v_cmp_eq_f64_e64 s[0:1], 0, v[242:243]
	s_and_b64 s[0:1], vcc, s[0:1]
	s_and_saveexec_b64 s[16:17], s[0:1]
	s_xor_b64 s[0:1], exec, s[16:17]
; %bb.1179:
	v_cmp_ne_u32_e32 vcc, 0, v254
	s_nop 1
	v_cndmask_b32_e32 v254, 57, v254, vcc
; %bb.1180:
	s_andn2_saveexec_b64 s[0:1], s[0:1]
	s_cbranch_execz .LBB118_1186
; %bb.1181:
	v_cmp_ngt_f64_e64 s[16:17], |v[240:241]|, |v[242:243]|
	s_and_saveexec_b64 s[18:19], s[16:17]
	s_xor_b64 s[16:17], exec, s[18:19]
	s_cbranch_execz .LBB118_1183
; %bb.1182:
	v_div_scale_f64 v[156:157], s[18:19], v[242:243], v[242:243], v[240:241]
	v_rcp_f64_e32 v[158:159], v[156:157]
	v_div_scale_f64 v[164:165], vcc, v[240:241], v[242:243], v[240:241]
	v_fma_f64 v[166:167], -v[156:157], v[158:159], 1.0
	v_fmac_f64_e32 v[158:159], v[158:159], v[166:167]
	v_fma_f64 v[166:167], -v[156:157], v[158:159], 1.0
	v_fmac_f64_e32 v[158:159], v[158:159], v[166:167]
	v_mul_f64 v[166:167], v[164:165], v[158:159]
	v_fma_f64 v[156:157], -v[156:157], v[166:167], v[164:165]
	v_div_fmas_f64 v[156:157], v[156:157], v[158:159], v[166:167]
	v_div_fixup_f64 v[156:157], v[156:157], v[242:243], v[240:241]
	v_fmac_f64_e32 v[242:243], v[240:241], v[156:157]
	v_div_scale_f64 v[158:159], s[18:19], v[242:243], v[242:243], 1.0
	v_rcp_f64_e32 v[164:165], v[158:159]
	s_nop 0
	v_fma_f64 v[166:167], -v[158:159], v[164:165], 1.0
	v_fmac_f64_e32 v[164:165], v[164:165], v[166:167]
	v_fma_f64 v[166:167], -v[158:159], v[164:165], 1.0
	v_fmac_f64_e32 v[164:165], v[164:165], v[166:167]
	v_div_scale_f64 v[166:167], vcc, 1.0, v[242:243], 1.0
	v_mul_f64 v[216:217], v[166:167], v[164:165]
	v_fma_f64 v[158:159], -v[158:159], v[216:217], v[166:167]
	s_nop 1
	v_div_fmas_f64 v[158:159], v[158:159], v[164:165], v[216:217]
	v_div_fixup_f64 v[242:243], v[158:159], v[242:243], 1.0
	v_mul_f64 v[240:241], v[156:157], v[242:243]
	v_xor_b32_e32 v243, 0x80000000, v243
.LBB118_1183:
	s_andn2_saveexec_b64 s[16:17], s[16:17]
	s_cbranch_execz .LBB118_1185
; %bb.1184:
	v_div_scale_f64 v[156:157], s[18:19], v[240:241], v[240:241], v[242:243]
	v_rcp_f64_e32 v[158:159], v[156:157]
	v_div_scale_f64 v[164:165], vcc, v[242:243], v[240:241], v[242:243]
	v_fma_f64 v[166:167], -v[156:157], v[158:159], 1.0
	v_fmac_f64_e32 v[158:159], v[158:159], v[166:167]
	v_fma_f64 v[166:167], -v[156:157], v[158:159], 1.0
	v_fmac_f64_e32 v[158:159], v[158:159], v[166:167]
	v_mul_f64 v[166:167], v[164:165], v[158:159]
	v_fma_f64 v[156:157], -v[156:157], v[166:167], v[164:165]
	v_div_fmas_f64 v[156:157], v[156:157], v[158:159], v[166:167]
	v_div_fixup_f64 v[156:157], v[156:157], v[240:241], v[242:243]
	v_fmac_f64_e32 v[240:241], v[242:243], v[156:157]
	v_div_scale_f64 v[158:159], s[18:19], v[240:241], v[240:241], 1.0
	v_rcp_f64_e32 v[164:165], v[158:159]
	s_nop 0
	v_fma_f64 v[166:167], -v[158:159], v[164:165], 1.0
	v_fmac_f64_e32 v[164:165], v[164:165], v[166:167]
	v_fma_f64 v[166:167], -v[158:159], v[164:165], 1.0
	v_fmac_f64_e32 v[164:165], v[164:165], v[166:167]
	v_div_scale_f64 v[166:167], vcc, 1.0, v[240:241], 1.0
	v_mul_f64 v[216:217], v[166:167], v[164:165]
	v_fma_f64 v[158:159], -v[158:159], v[216:217], v[166:167]
	s_nop 1
	v_div_fmas_f64 v[158:159], v[158:159], v[164:165], v[216:217]
	v_div_fixup_f64 v[240:241], v[158:159], v[240:241], 1.0
	v_mul_f64 v[242:243], v[156:157], -v[240:241]
.LBB118_1185:
	s_or_b64 exec, exec, s[16:17]
.LBB118_1186:
	s_or_b64 exec, exec, s[0:1]
	v_cmp_ne_u32_e32 vcc, v253, v250
	s_and_saveexec_b64 s[0:1], vcc
	s_xor_b64 s[0:1], exec, s[0:1]
	s_cbranch_execz .LBB118_1192
; %bb.1187:
	v_cmp_eq_u32_e32 vcc, 56, v253
	s_and_saveexec_b64 s[16:17], vcc
	s_cbranch_execz .LBB118_1191
; %bb.1188:
	v_cmp_ne_u32_e32 vcc, 56, v250
	s_xor_b64 s[18:19], s[14:15], -1
	s_and_b64 s[22:23], s[18:19], vcc
	s_and_saveexec_b64 s[18:19], s[22:23]
	s_cbranch_execz .LBB118_1190
; %bb.1189:
	v_ashrrev_i32_e32 v251, 31, v250
	v_lshl_add_u64 v[156:157], v[250:251], 2, v[234:235]
	global_load_dword v158, v[156:157], off
	global_load_dword v159, v[234:235], off offset:224
	s_waitcnt vmcnt(1)
	global_store_dword v[234:235], v158, off offset:224
	s_waitcnt vmcnt(1)
	global_store_dword v[156:157], v159, off
.LBB118_1190:
	s_or_b64 exec, exec, s[18:19]
	v_mov_b32_e32 v253, v250
	v_mov_b32_e32 v244, v250
.LBB118_1191:
	s_or_b64 exec, exec, s[16:17]
.LBB118_1192:
	s_andn2_saveexec_b64 s[0:1], s[0:1]
	s_cbranch_execz .LBB118_1194
; %bb.1193:
	v_mov_b32_e32 v253, 56
	ds_write2_b64 v252, v[224:225], v[226:227] offset0:114 offset1:115
	ds_write2_b64 v252, v[220:221], v[222:223] offset0:116 offset1:117
	;; [unrolled: 1-line block ×3, first 2 shown]
.LBB118_1194:
	s_or_b64 exec, exec, s[0:1]
	v_cmp_lt_i32_e32 vcc, 56, v253
	s_waitcnt lgkmcnt(0)
	s_barrier
	s_and_saveexec_b64 s[0:1], vcc
	s_cbranch_execz .LBB118_1196
; %bb.1195:
	ds_read2_b64 v[164:167], v252 offset0:114 offset1:115
	v_mul_f64 v[156:157], v[240:241], v[232:233]
	v_mov_b64_e32 v[4:5], v[8:9]
	v_fmac_f64_e32 v[156:157], v[242:243], v[230:231]
	v_mov_b64_e32 v[6:7], v[10:11]
	v_mul_f64 v[10:11], v[242:243], v[232:233]
	v_fma_f64 v[230:231], v[240:241], v[230:231], -v[10:11]
	s_waitcnt lgkmcnt(0)
	v_mul_f64 v[10:11], v[166:167], v[156:157]
	v_mul_f64 v[158:159], v[164:165], v[156:157]
	v_fma_f64 v[10:11], v[164:165], v[230:231], -v[10:11]
	v_fmac_f64_e32 v[158:159], v[166:167], v[230:231]
	ds_read2_b64 v[164:167], v252 offset0:116 offset1:117
	v_add_f64 v[224:225], v[224:225], -v[10:11]
	v_add_f64 v[226:227], v[226:227], -v[158:159]
	v_mov_b64_e32 v[232:233], v[156:157]
	s_waitcnt lgkmcnt(0)
	v_mul_f64 v[10:11], v[166:167], v[156:157]
	v_mul_f64 v[158:159], v[164:165], v[156:157]
	v_fma_f64 v[10:11], v[164:165], v[230:231], -v[10:11]
	v_fmac_f64_e32 v[158:159], v[166:167], v[230:231]
	ds_read2_b64 v[164:167], v252 offset0:118 offset1:119
	v_add_f64 v[220:221], v[220:221], -v[10:11]
	v_add_f64 v[222:223], v[222:223], -v[158:159]
	s_waitcnt lgkmcnt(0)
	v_mul_f64 v[10:11], v[166:167], v[156:157]
	v_fma_f64 v[10:11], v[164:165], v[230:231], -v[10:11]
	v_mul_f64 v[158:159], v[164:165], v[156:157]
	v_add_f64 v[236:237], v[236:237], -v[10:11]
	v_mov_b64_e32 v[10:11], v[6:7]
	v_fmac_f64_e32 v[158:159], v[166:167], v[230:231]
	v_mov_b64_e32 v[8:9], v[4:5]
	v_mov_b64_e32 v[6:7], v[2:3]
	;; [unrolled: 1-line block ×3, first 2 shown]
	v_add_f64 v[238:239], v[238:239], -v[158:159]
.LBB118_1196:
	s_or_b64 exec, exec, s[0:1]
	v_lshl_add_u32 v156, v253, 4, v252
	s_barrier
	ds_write2_b64 v156, v[224:225], v[226:227] offset1:1
	s_waitcnt lgkmcnt(0)
	s_barrier
	ds_read2_b64 v[240:243], v252 offset0:114 offset1:115
	s_cmp_lt_i32 s20, 59
	v_mov_b32_e32 v250, 57
	s_cbranch_scc1 .LBB118_1199
; %bb.1197:
	v_add_u32_e32 v246, 0x3a0, v252
	s_mov_b32 s0, 58
	v_mov_b32_e32 v250, 57
.LBB118_1198:                           ; =>This Inner Loop Header: Depth=1
	ds_read2_b64 v[164:167], v246 offset1:1
	s_waitcnt lgkmcnt(1)
	v_cmp_gt_f64_e32 vcc, 0, v[240:241]
	v_xor_b32_e32 v156, 0x80000000, v241
	v_xor_b32_e32 v158, 0x80000000, v243
	v_cndmask_b32_e32 v157, v241, v156, vcc
	v_cmp_gt_f64_e32 vcc, 0, v[242:243]
	v_mov_b32_e32 v156, v240
	s_waitcnt lgkmcnt(0)
	v_xor_b32_e32 v216, 0x80000000, v167
	v_cndmask_b32_e32 v159, v243, v158, vcc
	v_mov_b32_e32 v158, v242
	v_add_f64 v[156:157], v[156:157], v[158:159]
	v_cmp_gt_f64_e32 vcc, 0, v[164:165]
	v_xor_b32_e32 v158, 0x80000000, v165
	v_add_u32_e32 v246, 16, v246
	v_cndmask_b32_e32 v159, v165, v158, vcc
	v_cmp_gt_f64_e32 vcc, 0, v[166:167]
	v_mov_b32_e32 v158, v164
	s_nop 0
	v_cndmask_b32_e32 v217, v167, v216, vcc
	v_mov_b32_e32 v216, v166
	v_add_f64 v[158:159], v[158:159], v[216:217]
	v_cmp_lt_f64_e32 vcc, v[156:157], v[158:159]
	v_mov_b32_e32 v156, s0
	s_add_i32 s0, s0, 1
	v_cndmask_b32_e32 v241, v241, v165, vcc
	v_cndmask_b32_e32 v240, v240, v164, vcc
	;; [unrolled: 1-line block ×5, first 2 shown]
	s_cmp_lg_u32 s20, s0
	s_cbranch_scc1 .LBB118_1198
.LBB118_1199:
	s_waitcnt lgkmcnt(0)
	v_cmp_eq_f64_e32 vcc, 0, v[240:241]
	v_cmp_eq_f64_e64 s[0:1], 0, v[242:243]
	s_and_b64 s[0:1], vcc, s[0:1]
	s_and_saveexec_b64 s[16:17], s[0:1]
	s_xor_b64 s[0:1], exec, s[16:17]
; %bb.1200:
	v_cmp_ne_u32_e32 vcc, 0, v254
	s_nop 1
	v_cndmask_b32_e32 v254, 58, v254, vcc
; %bb.1201:
	s_andn2_saveexec_b64 s[0:1], s[0:1]
	s_cbranch_execz .LBB118_1207
; %bb.1202:
	v_cmp_ngt_f64_e64 s[16:17], |v[240:241]|, |v[242:243]|
	s_and_saveexec_b64 s[18:19], s[16:17]
	s_xor_b64 s[16:17], exec, s[18:19]
	s_cbranch_execz .LBB118_1204
; %bb.1203:
	v_div_scale_f64 v[156:157], s[18:19], v[242:243], v[242:243], v[240:241]
	v_rcp_f64_e32 v[158:159], v[156:157]
	v_div_scale_f64 v[164:165], vcc, v[240:241], v[242:243], v[240:241]
	v_fma_f64 v[166:167], -v[156:157], v[158:159], 1.0
	v_fmac_f64_e32 v[158:159], v[158:159], v[166:167]
	v_fma_f64 v[166:167], -v[156:157], v[158:159], 1.0
	v_fmac_f64_e32 v[158:159], v[158:159], v[166:167]
	v_mul_f64 v[166:167], v[164:165], v[158:159]
	v_fma_f64 v[156:157], -v[156:157], v[166:167], v[164:165]
	v_div_fmas_f64 v[156:157], v[156:157], v[158:159], v[166:167]
	v_div_fixup_f64 v[156:157], v[156:157], v[242:243], v[240:241]
	v_fmac_f64_e32 v[242:243], v[240:241], v[156:157]
	v_div_scale_f64 v[158:159], s[18:19], v[242:243], v[242:243], 1.0
	v_rcp_f64_e32 v[164:165], v[158:159]
	s_nop 0
	v_fma_f64 v[166:167], -v[158:159], v[164:165], 1.0
	v_fmac_f64_e32 v[164:165], v[164:165], v[166:167]
	v_fma_f64 v[166:167], -v[158:159], v[164:165], 1.0
	v_fmac_f64_e32 v[164:165], v[164:165], v[166:167]
	v_div_scale_f64 v[166:167], vcc, 1.0, v[242:243], 1.0
	v_mul_f64 v[216:217], v[166:167], v[164:165]
	v_fma_f64 v[158:159], -v[158:159], v[216:217], v[166:167]
	s_nop 1
	v_div_fmas_f64 v[158:159], v[158:159], v[164:165], v[216:217]
	v_div_fixup_f64 v[242:243], v[158:159], v[242:243], 1.0
	v_mul_f64 v[240:241], v[156:157], v[242:243]
	v_xor_b32_e32 v243, 0x80000000, v243
.LBB118_1204:
	s_andn2_saveexec_b64 s[16:17], s[16:17]
	s_cbranch_execz .LBB118_1206
; %bb.1205:
	v_div_scale_f64 v[156:157], s[18:19], v[240:241], v[240:241], v[242:243]
	v_rcp_f64_e32 v[158:159], v[156:157]
	v_div_scale_f64 v[164:165], vcc, v[242:243], v[240:241], v[242:243]
	v_fma_f64 v[166:167], -v[156:157], v[158:159], 1.0
	v_fmac_f64_e32 v[158:159], v[158:159], v[166:167]
	v_fma_f64 v[166:167], -v[156:157], v[158:159], 1.0
	v_fmac_f64_e32 v[158:159], v[158:159], v[166:167]
	v_mul_f64 v[166:167], v[164:165], v[158:159]
	v_fma_f64 v[156:157], -v[156:157], v[166:167], v[164:165]
	v_div_fmas_f64 v[156:157], v[156:157], v[158:159], v[166:167]
	v_div_fixup_f64 v[156:157], v[156:157], v[240:241], v[242:243]
	v_fmac_f64_e32 v[240:241], v[242:243], v[156:157]
	v_div_scale_f64 v[158:159], s[18:19], v[240:241], v[240:241], 1.0
	v_rcp_f64_e32 v[164:165], v[158:159]
	s_nop 0
	v_fma_f64 v[166:167], -v[158:159], v[164:165], 1.0
	v_fmac_f64_e32 v[164:165], v[164:165], v[166:167]
	v_fma_f64 v[166:167], -v[158:159], v[164:165], 1.0
	v_fmac_f64_e32 v[164:165], v[164:165], v[166:167]
	v_div_scale_f64 v[166:167], vcc, 1.0, v[240:241], 1.0
	v_mul_f64 v[216:217], v[166:167], v[164:165]
	v_fma_f64 v[158:159], -v[158:159], v[216:217], v[166:167]
	s_nop 1
	v_div_fmas_f64 v[158:159], v[158:159], v[164:165], v[216:217]
	v_div_fixup_f64 v[240:241], v[158:159], v[240:241], 1.0
	v_mul_f64 v[242:243], v[156:157], -v[240:241]
.LBB118_1206:
	s_or_b64 exec, exec, s[16:17]
.LBB118_1207:
	s_or_b64 exec, exec, s[0:1]
	v_cmp_ne_u32_e32 vcc, v253, v250
	s_and_saveexec_b64 s[0:1], vcc
	s_xor_b64 s[0:1], exec, s[0:1]
	s_cbranch_execz .LBB118_1213
; %bb.1208:
	v_cmp_eq_u32_e32 vcc, 57, v253
	s_and_saveexec_b64 s[16:17], vcc
	s_cbranch_execz .LBB118_1212
; %bb.1209:
	v_cmp_ne_u32_e32 vcc, 57, v250
	s_xor_b64 s[18:19], s[14:15], -1
	s_and_b64 s[22:23], s[18:19], vcc
	s_and_saveexec_b64 s[18:19], s[22:23]
	s_cbranch_execz .LBB118_1211
; %bb.1210:
	v_ashrrev_i32_e32 v251, 31, v250
	v_lshl_add_u64 v[156:157], v[250:251], 2, v[234:235]
	global_load_dword v158, v[156:157], off
	global_load_dword v159, v[234:235], off offset:228
	s_waitcnt vmcnt(1)
	global_store_dword v[234:235], v158, off offset:228
	s_waitcnt vmcnt(1)
	global_store_dword v[156:157], v159, off
.LBB118_1211:
	s_or_b64 exec, exec, s[18:19]
	v_mov_b32_e32 v253, v250
	v_mov_b32_e32 v244, v250
.LBB118_1212:
	s_or_b64 exec, exec, s[16:17]
.LBB118_1213:
	s_andn2_saveexec_b64 s[0:1], s[0:1]
	s_cbranch_execz .LBB118_1215
; %bb.1214:
	v_mov_b32_e32 v253, 57
	ds_write2_b64 v252, v[220:221], v[222:223] offset0:116 offset1:117
	ds_write2_b64 v252, v[236:237], v[238:239] offset0:118 offset1:119
.LBB118_1215:
	s_or_b64 exec, exec, s[0:1]
	v_cmp_lt_i32_e32 vcc, 57, v253
	s_waitcnt lgkmcnt(0)
	s_barrier
	s_and_saveexec_b64 s[0:1], vcc
	s_cbranch_execz .LBB118_1217
; %bb.1216:
	ds_read2_b64 v[164:167], v252 offset0:116 offset1:117
	v_mul_f64 v[156:157], v[240:241], v[226:227]
	v_fmac_f64_e32 v[156:157], v[242:243], v[224:225]
	v_mul_f64 v[6:7], v[242:243], v[226:227]
	v_fma_f64 v[224:225], v[240:241], v[224:225], -v[6:7]
	s_waitcnt lgkmcnt(0)
	v_mul_f64 v[6:7], v[166:167], v[156:157]
	v_mul_f64 v[158:159], v[164:165], v[156:157]
	v_fma_f64 v[6:7], v[164:165], v[224:225], -v[6:7]
	v_fmac_f64_e32 v[158:159], v[166:167], v[224:225]
	ds_read2_b64 v[164:167], v252 offset0:118 offset1:119
	v_add_f64 v[220:221], v[220:221], -v[6:7]
	v_add_f64 v[222:223], v[222:223], -v[158:159]
	v_mov_b64_e32 v[226:227], v[156:157]
	s_waitcnt lgkmcnt(0)
	v_mul_f64 v[6:7], v[166:167], v[156:157]
	v_fma_f64 v[6:7], v[164:165], v[224:225], -v[6:7]
	v_mul_f64 v[158:159], v[164:165], v[156:157]
	v_fmac_f64_e32 v[158:159], v[166:167], v[224:225]
	v_add_f64 v[236:237], v[236:237], -v[6:7]
	v_mov_b64_e32 v[6:7], v[2:3]
	v_mov_b64_e32 v[4:5], v[0:1]
	v_add_f64 v[238:239], v[238:239], -v[158:159]
.LBB118_1217:
	s_or_b64 exec, exec, s[0:1]
	v_lshl_add_u32 v156, v253, 4, v252
	s_barrier
	ds_write2_b64 v156, v[220:221], v[222:223] offset1:1
	s_waitcnt lgkmcnt(0)
	s_barrier
	ds_read2_b64 v[240:243], v252 offset0:116 offset1:117
	s_cmp_lt_i32 s20, 60
	v_mov_b32_e32 v250, 58
	s_cbranch_scc1 .LBB118_1220
; %bb.1218:
	v_add_u32_e32 v246, 0x3b0, v252
	s_mov_b32 s0, 59
	v_mov_b32_e32 v250, 58
.LBB118_1219:                           ; =>This Inner Loop Header: Depth=1
	ds_read2_b64 v[164:167], v246 offset1:1
	s_waitcnt lgkmcnt(1)
	v_cmp_gt_f64_e32 vcc, 0, v[240:241]
	v_xor_b32_e32 v156, 0x80000000, v241
	v_xor_b32_e32 v158, 0x80000000, v243
	v_cndmask_b32_e32 v157, v241, v156, vcc
	v_cmp_gt_f64_e32 vcc, 0, v[242:243]
	v_mov_b32_e32 v156, v240
	s_waitcnt lgkmcnt(0)
	v_xor_b32_e32 v216, 0x80000000, v167
	v_cndmask_b32_e32 v159, v243, v158, vcc
	v_mov_b32_e32 v158, v242
	v_add_f64 v[156:157], v[156:157], v[158:159]
	v_cmp_gt_f64_e32 vcc, 0, v[164:165]
	v_xor_b32_e32 v158, 0x80000000, v165
	v_add_u32_e32 v246, 16, v246
	v_cndmask_b32_e32 v159, v165, v158, vcc
	v_cmp_gt_f64_e32 vcc, 0, v[166:167]
	v_mov_b32_e32 v158, v164
	s_nop 0
	v_cndmask_b32_e32 v217, v167, v216, vcc
	v_mov_b32_e32 v216, v166
	v_add_f64 v[158:159], v[158:159], v[216:217]
	v_cmp_lt_f64_e32 vcc, v[156:157], v[158:159]
	v_mov_b32_e32 v156, s0
	s_add_i32 s0, s0, 1
	v_cndmask_b32_e32 v241, v241, v165, vcc
	v_cndmask_b32_e32 v240, v240, v164, vcc
	;; [unrolled: 1-line block ×5, first 2 shown]
	s_cmp_lg_u32 s20, s0
	s_cbranch_scc1 .LBB118_1219
.LBB118_1220:
	s_waitcnt lgkmcnt(0)
	v_cmp_eq_f64_e32 vcc, 0, v[240:241]
	v_cmp_eq_f64_e64 s[0:1], 0, v[242:243]
	s_and_b64 s[0:1], vcc, s[0:1]
	s_and_saveexec_b64 s[16:17], s[0:1]
	s_xor_b64 s[0:1], exec, s[16:17]
; %bb.1221:
	v_cmp_ne_u32_e32 vcc, 0, v254
	s_nop 1
	v_cndmask_b32_e32 v254, 59, v254, vcc
; %bb.1222:
	s_andn2_saveexec_b64 s[0:1], s[0:1]
	s_cbranch_execz .LBB118_1228
; %bb.1223:
	v_cmp_ngt_f64_e64 s[16:17], |v[240:241]|, |v[242:243]|
	s_and_saveexec_b64 s[18:19], s[16:17]
	s_xor_b64 s[16:17], exec, s[18:19]
	s_cbranch_execz .LBB118_1225
; %bb.1224:
	v_div_scale_f64 v[156:157], s[18:19], v[242:243], v[242:243], v[240:241]
	v_rcp_f64_e32 v[158:159], v[156:157]
	v_div_scale_f64 v[164:165], vcc, v[240:241], v[242:243], v[240:241]
	v_fma_f64 v[166:167], -v[156:157], v[158:159], 1.0
	v_fmac_f64_e32 v[158:159], v[158:159], v[166:167]
	v_fma_f64 v[166:167], -v[156:157], v[158:159], 1.0
	v_fmac_f64_e32 v[158:159], v[158:159], v[166:167]
	v_mul_f64 v[166:167], v[164:165], v[158:159]
	v_fma_f64 v[156:157], -v[156:157], v[166:167], v[164:165]
	v_div_fmas_f64 v[156:157], v[156:157], v[158:159], v[166:167]
	v_div_fixup_f64 v[156:157], v[156:157], v[242:243], v[240:241]
	v_fmac_f64_e32 v[242:243], v[240:241], v[156:157]
	v_div_scale_f64 v[158:159], s[18:19], v[242:243], v[242:243], 1.0
	v_rcp_f64_e32 v[164:165], v[158:159]
	s_nop 0
	v_fma_f64 v[166:167], -v[158:159], v[164:165], 1.0
	v_fmac_f64_e32 v[164:165], v[164:165], v[166:167]
	v_fma_f64 v[166:167], -v[158:159], v[164:165], 1.0
	v_fmac_f64_e32 v[164:165], v[164:165], v[166:167]
	v_div_scale_f64 v[166:167], vcc, 1.0, v[242:243], 1.0
	v_mul_f64 v[216:217], v[166:167], v[164:165]
	v_fma_f64 v[158:159], -v[158:159], v[216:217], v[166:167]
	s_nop 1
	v_div_fmas_f64 v[158:159], v[158:159], v[164:165], v[216:217]
	v_div_fixup_f64 v[242:243], v[158:159], v[242:243], 1.0
	v_mul_f64 v[240:241], v[156:157], v[242:243]
	v_xor_b32_e32 v243, 0x80000000, v243
.LBB118_1225:
	s_andn2_saveexec_b64 s[16:17], s[16:17]
	s_cbranch_execz .LBB118_1227
; %bb.1226:
	v_div_scale_f64 v[156:157], s[18:19], v[240:241], v[240:241], v[242:243]
	v_rcp_f64_e32 v[158:159], v[156:157]
	v_div_scale_f64 v[164:165], vcc, v[242:243], v[240:241], v[242:243]
	v_fma_f64 v[166:167], -v[156:157], v[158:159], 1.0
	v_fmac_f64_e32 v[158:159], v[158:159], v[166:167]
	v_fma_f64 v[166:167], -v[156:157], v[158:159], 1.0
	v_fmac_f64_e32 v[158:159], v[158:159], v[166:167]
	v_mul_f64 v[166:167], v[164:165], v[158:159]
	v_fma_f64 v[156:157], -v[156:157], v[166:167], v[164:165]
	v_div_fmas_f64 v[156:157], v[156:157], v[158:159], v[166:167]
	v_div_fixup_f64 v[156:157], v[156:157], v[240:241], v[242:243]
	v_fmac_f64_e32 v[240:241], v[242:243], v[156:157]
	v_div_scale_f64 v[158:159], s[18:19], v[240:241], v[240:241], 1.0
	v_rcp_f64_e32 v[164:165], v[158:159]
	s_nop 0
	v_fma_f64 v[166:167], -v[158:159], v[164:165], 1.0
	v_fmac_f64_e32 v[164:165], v[164:165], v[166:167]
	v_fma_f64 v[166:167], -v[158:159], v[164:165], 1.0
	v_fmac_f64_e32 v[164:165], v[164:165], v[166:167]
	v_div_scale_f64 v[166:167], vcc, 1.0, v[240:241], 1.0
	v_mul_f64 v[216:217], v[166:167], v[164:165]
	v_fma_f64 v[158:159], -v[158:159], v[216:217], v[166:167]
	s_nop 1
	v_div_fmas_f64 v[158:159], v[158:159], v[164:165], v[216:217]
	v_div_fixup_f64 v[240:241], v[158:159], v[240:241], 1.0
	v_mul_f64 v[242:243], v[156:157], -v[240:241]
.LBB118_1227:
	s_or_b64 exec, exec, s[16:17]
.LBB118_1228:
	s_or_b64 exec, exec, s[0:1]
	v_cmp_ne_u32_e32 vcc, v253, v250
	s_and_saveexec_b64 s[0:1], vcc
	s_xor_b64 s[0:1], exec, s[0:1]
	s_cbranch_execz .LBB118_1234
; %bb.1229:
	v_cmp_eq_u32_e32 vcc, 58, v253
	s_and_saveexec_b64 s[16:17], vcc
	s_cbranch_execz .LBB118_1233
; %bb.1230:
	v_cmp_ne_u32_e32 vcc, 58, v250
	s_xor_b64 s[18:19], s[14:15], -1
	s_and_b64 s[22:23], s[18:19], vcc
	s_and_saveexec_b64 s[18:19], s[22:23]
	s_cbranch_execz .LBB118_1232
; %bb.1231:
	v_ashrrev_i32_e32 v251, 31, v250
	v_lshl_add_u64 v[156:157], v[250:251], 2, v[234:235]
	global_load_dword v158, v[156:157], off
	global_load_dword v159, v[234:235], off offset:232
	s_waitcnt vmcnt(1)
	global_store_dword v[234:235], v158, off offset:232
	s_waitcnt vmcnt(1)
	global_store_dword v[156:157], v159, off
.LBB118_1232:
	s_or_b64 exec, exec, s[18:19]
	v_mov_b32_e32 v253, v250
	v_mov_b32_e32 v244, v250
.LBB118_1233:
	s_or_b64 exec, exec, s[16:17]
.LBB118_1234:
	s_andn2_saveexec_b64 s[0:1], s[0:1]
; %bb.1235:
	v_mov_b32_e32 v253, 58
	ds_write2_b64 v252, v[236:237], v[238:239] offset0:118 offset1:119
; %bb.1236:
	s_or_b64 exec, exec, s[0:1]
	v_cmp_lt_i32_e32 vcc, 58, v253
	s_waitcnt lgkmcnt(0)
	s_barrier
	s_and_saveexec_b64 s[0:1], vcc
	s_cbranch_execz .LBB118_1238
; %bb.1237:
	ds_read2_b64 v[164:167], v252 offset0:118 offset1:119
	v_mul_f64 v[156:157], v[240:241], v[222:223]
	v_fmac_f64_e32 v[156:157], v[242:243], v[220:221]
	v_mul_f64 v[2:3], v[242:243], v[222:223]
	v_fma_f64 v[220:221], v[240:241], v[220:221], -v[2:3]
	s_waitcnt lgkmcnt(0)
	v_mul_f64 v[2:3], v[166:167], v[156:157]
	v_mul_f64 v[158:159], v[164:165], v[156:157]
	v_fma_f64 v[2:3], v[164:165], v[220:221], -v[2:3]
	v_fmac_f64_e32 v[158:159], v[166:167], v[220:221]
	v_add_f64 v[236:237], v[236:237], -v[2:3]
	v_add_f64 v[238:239], v[238:239], -v[158:159]
	v_mov_b64_e32 v[222:223], v[156:157]
.LBB118_1238:
	s_or_b64 exec, exec, s[0:1]
	v_lshl_add_u32 v156, v253, 4, v252
	s_barrier
	ds_write2_b64 v156, v[236:237], v[238:239] offset1:1
	s_waitcnt lgkmcnt(0)
	s_barrier
	ds_read2_b64 v[240:243], v252 offset0:118 offset1:119
	s_cmp_lt_i32 s20, 61
	v_mov_b32_e32 v250, 59
	s_cbranch_scc1 .LBB118_1241
; %bb.1239:
	v_add_u32_e32 v246, 0x3c0, v252
	s_mov_b32 s0, 60
	v_mov_b32_e32 v250, 59
.LBB118_1240:                           ; =>This Inner Loop Header: Depth=1
	ds_read2_b64 v[164:167], v246 offset1:1
	s_waitcnt lgkmcnt(1)
	v_cmp_gt_f64_e32 vcc, 0, v[240:241]
	v_xor_b32_e32 v156, 0x80000000, v241
	v_xor_b32_e32 v158, 0x80000000, v243
	v_cndmask_b32_e32 v157, v241, v156, vcc
	v_cmp_gt_f64_e32 vcc, 0, v[242:243]
	v_mov_b32_e32 v156, v240
	s_waitcnt lgkmcnt(0)
	v_xor_b32_e32 v216, 0x80000000, v167
	v_cndmask_b32_e32 v159, v243, v158, vcc
	v_mov_b32_e32 v158, v242
	v_add_f64 v[156:157], v[156:157], v[158:159]
	v_cmp_gt_f64_e32 vcc, 0, v[164:165]
	v_xor_b32_e32 v158, 0x80000000, v165
	v_add_u32_e32 v246, 16, v246
	v_cndmask_b32_e32 v159, v165, v158, vcc
	v_cmp_gt_f64_e32 vcc, 0, v[166:167]
	v_mov_b32_e32 v158, v164
	s_nop 0
	v_cndmask_b32_e32 v217, v167, v216, vcc
	v_mov_b32_e32 v216, v166
	v_add_f64 v[158:159], v[158:159], v[216:217]
	v_cmp_lt_f64_e32 vcc, v[156:157], v[158:159]
	v_mov_b32_e32 v156, s0
	s_add_i32 s0, s0, 1
	v_cndmask_b32_e32 v241, v241, v165, vcc
	v_cndmask_b32_e32 v240, v240, v164, vcc
	;; [unrolled: 1-line block ×5, first 2 shown]
	s_cmp_lg_u32 s20, s0
	s_cbranch_scc1 .LBB118_1240
.LBB118_1241:
	s_waitcnt lgkmcnt(0)
	v_cmp_eq_f64_e32 vcc, 0, v[240:241]
	v_cmp_eq_f64_e64 s[0:1], 0, v[242:243]
	s_and_b64 s[0:1], vcc, s[0:1]
	s_and_saveexec_b64 s[16:17], s[0:1]
	s_xor_b64 s[0:1], exec, s[16:17]
; %bb.1242:
	v_cmp_ne_u32_e32 vcc, 0, v254
	s_nop 1
	v_cndmask_b32_e32 v254, 60, v254, vcc
; %bb.1243:
	s_andn2_saveexec_b64 s[0:1], s[0:1]
	s_cbranch_execz .LBB118_1249
; %bb.1244:
	v_cmp_ngt_f64_e64 s[16:17], |v[240:241]|, |v[242:243]|
	s_and_saveexec_b64 s[18:19], s[16:17]
	s_xor_b64 s[16:17], exec, s[18:19]
	s_cbranch_execz .LBB118_1246
; %bb.1245:
	v_div_scale_f64 v[156:157], s[18:19], v[242:243], v[242:243], v[240:241]
	v_rcp_f64_e32 v[158:159], v[156:157]
	v_div_scale_f64 v[164:165], vcc, v[240:241], v[242:243], v[240:241]
	v_fma_f64 v[166:167], -v[156:157], v[158:159], 1.0
	v_fmac_f64_e32 v[158:159], v[158:159], v[166:167]
	v_fma_f64 v[166:167], -v[156:157], v[158:159], 1.0
	v_fmac_f64_e32 v[158:159], v[158:159], v[166:167]
	v_mul_f64 v[166:167], v[164:165], v[158:159]
	v_fma_f64 v[156:157], -v[156:157], v[166:167], v[164:165]
	v_div_fmas_f64 v[156:157], v[156:157], v[158:159], v[166:167]
	v_div_fixup_f64 v[156:157], v[156:157], v[242:243], v[240:241]
	v_fmac_f64_e32 v[242:243], v[240:241], v[156:157]
	v_div_scale_f64 v[158:159], s[18:19], v[242:243], v[242:243], 1.0
	v_rcp_f64_e32 v[164:165], v[158:159]
	s_nop 0
	v_fma_f64 v[166:167], -v[158:159], v[164:165], 1.0
	v_fmac_f64_e32 v[164:165], v[164:165], v[166:167]
	v_fma_f64 v[166:167], -v[158:159], v[164:165], 1.0
	v_fmac_f64_e32 v[164:165], v[164:165], v[166:167]
	v_div_scale_f64 v[166:167], vcc, 1.0, v[242:243], 1.0
	v_mul_f64 v[216:217], v[166:167], v[164:165]
	v_fma_f64 v[158:159], -v[158:159], v[216:217], v[166:167]
	s_nop 1
	v_div_fmas_f64 v[158:159], v[158:159], v[164:165], v[216:217]
	v_div_fixup_f64 v[242:243], v[158:159], v[242:243], 1.0
	v_mul_f64 v[240:241], v[156:157], v[242:243]
	v_xor_b32_e32 v243, 0x80000000, v243
.LBB118_1246:
	s_andn2_saveexec_b64 s[16:17], s[16:17]
	s_cbranch_execz .LBB118_1248
; %bb.1247:
	v_div_scale_f64 v[156:157], s[18:19], v[240:241], v[240:241], v[242:243]
	v_rcp_f64_e32 v[158:159], v[156:157]
	v_div_scale_f64 v[164:165], vcc, v[242:243], v[240:241], v[242:243]
	v_fma_f64 v[166:167], -v[156:157], v[158:159], 1.0
	v_fmac_f64_e32 v[158:159], v[158:159], v[166:167]
	v_fma_f64 v[166:167], -v[156:157], v[158:159], 1.0
	v_fmac_f64_e32 v[158:159], v[158:159], v[166:167]
	v_mul_f64 v[166:167], v[164:165], v[158:159]
	v_fma_f64 v[156:157], -v[156:157], v[166:167], v[164:165]
	v_div_fmas_f64 v[156:157], v[156:157], v[158:159], v[166:167]
	v_div_fixup_f64 v[156:157], v[156:157], v[240:241], v[242:243]
	v_fmac_f64_e32 v[240:241], v[242:243], v[156:157]
	v_div_scale_f64 v[158:159], s[18:19], v[240:241], v[240:241], 1.0
	v_rcp_f64_e32 v[164:165], v[158:159]
	s_nop 0
	v_fma_f64 v[166:167], -v[158:159], v[164:165], 1.0
	v_fmac_f64_e32 v[164:165], v[164:165], v[166:167]
	v_fma_f64 v[166:167], -v[158:159], v[164:165], 1.0
	v_fmac_f64_e32 v[164:165], v[164:165], v[166:167]
	v_div_scale_f64 v[166:167], vcc, 1.0, v[240:241], 1.0
	v_mul_f64 v[216:217], v[166:167], v[164:165]
	v_fma_f64 v[158:159], -v[158:159], v[216:217], v[166:167]
	s_nop 1
	v_div_fmas_f64 v[158:159], v[158:159], v[164:165], v[216:217]
	v_div_fixup_f64 v[240:241], v[158:159], v[240:241], 1.0
	v_mul_f64 v[242:243], v[156:157], -v[240:241]
.LBB118_1248:
	s_or_b64 exec, exec, s[16:17]
.LBB118_1249:
	s_or_b64 exec, exec, s[0:1]
	v_cmp_ne_u32_e32 vcc, v253, v250
	v_mov_b32_e32 v252, 59
	s_and_saveexec_b64 s[0:1], vcc
	s_cbranch_execz .LBB118_1255
; %bb.1250:
	v_cmp_eq_u32_e32 vcc, 59, v253
	s_and_saveexec_b64 s[16:17], vcc
	s_cbranch_execz .LBB118_1254
; %bb.1251:
	v_cmp_ne_u32_e32 vcc, 59, v250
	s_xor_b64 s[14:15], s[14:15], -1
	s_and_b64 s[18:19], s[14:15], vcc
	s_and_saveexec_b64 s[14:15], s[18:19]
	s_cbranch_execz .LBB118_1253
; %bb.1252:
	v_ashrrev_i32_e32 v251, 31, v250
	v_lshl_add_u64 v[156:157], v[250:251], 2, v[234:235]
	global_load_dword v158, v[156:157], off
	global_load_dword v159, v[234:235], off offset:236
	s_waitcnt vmcnt(1)
	global_store_dword v[234:235], v158, off offset:236
	s_waitcnt vmcnt(1)
	global_store_dword v[156:157], v159, off
.LBB118_1253:
	s_or_b64 exec, exec, s[14:15]
	v_mov_b32_e32 v253, v250
	v_mov_b32_e32 v244, v250
.LBB118_1254:
	s_or_b64 exec, exec, s[16:17]
	v_mov_b32_e32 v252, v253
.LBB118_1255:
	s_or_b64 exec, exec, s[0:1]
	v_cmp_gt_i32_e32 vcc, 60, v252
	v_ashrrev_i32_e32 v253, 31, v252
	s_barrier
	s_barrier
	s_and_saveexec_b64 s[0:1], vcc
	s_cbranch_execz .LBB118_1257
; %bb.1256:
	v_mov_b32_e32 v156, s6
	v_mov_b32_e32 v157, s7
	v_mul_lo_u32 v164, s11, v218
	v_mul_lo_u32 v165, s10, v219
	v_mad_u64_u32 v[158:159], s[6:7], s10, v218, 0
	v_add3_u32 v159, v159, v165, v164
	v_lshl_add_u64 v[156:157], v[158:159], 2, v[156:157]
	v_lshl_add_u64 v[156:157], s[8:9], 2, v[156:157]
	;; [unrolled: 1-line block ×3, first 2 shown]
	v_add3_u32 v158, v244, s13, 1
	global_store_dword v[156:157], v158, off
.LBB118_1257:
	s_or_b64 exec, exec, s[0:1]
	v_cmp_eq_u32_e32 vcc, 0, v252
	s_and_saveexec_b64 s[6:7], vcc
	s_cbranch_execz .LBB118_1260
; %bb.1258:
	v_mov_b32_e32 v156, s4
	v_mov_b32_e32 v157, s5
	v_lshl_add_u64 v[246:247], v[218:219], 2, v[156:157]
	global_load_dword v156, v[246:247], off
	v_cmp_ne_u32_e64 s[0:1], 0, v254
	s_waitcnt vmcnt(0)
	v_cmp_eq_u32_e32 vcc, 0, v156
	s_and_b64 s[0:1], vcc, s[0:1]
	s_and_b64 exec, exec, s[0:1]
	s_cbranch_execz .LBB118_1260
; %bb.1259:
	v_add_u32_e32 v156, s13, v254
	global_store_dword v[246:247], v156, off
.LBB118_1260:
	s_or_b64 exec, exec, s[6:7]
	scratch_load_dwordx2 v[164:165], off, off offset:80 ; 8-byte Folded Reload
	scratch_load_dwordx4 v[0:3], off, off offset:64 ; 16-byte Folded Reload
	v_mul_f64 v[156:157], v[242:243], v[238:239]
	v_fma_f64 v[156:157], v[240:241], v[236:237], -v[156:157]
	v_mul_f64 v[158:159], v[240:241], v[238:239]
	v_cmp_lt_i32_e32 vcc, 59, v252
	v_fmac_f64_e32 v[158:159], v[242:243], v[236:237]
	s_nop 0
	v_cndmask_b32_e32 v237, v237, v157, vcc
	v_cndmask_b32_e32 v236, v236, v156, vcc
	;; [unrolled: 1-line block ×4, first 2 shown]
	s_waitcnt vmcnt(1)
	v_lshl_add_u64 v[156:157], v[252:253], 4, v[164:165]
	s_waitcnt vmcnt(0)
	global_store_dwordx4 v[156:157], v[0:3], off
	scratch_load_dwordx4 v[0:3], off, off offset:48 ; 16-byte Folded Reload
	v_lshl_add_u64 v[156:157], s[2:3], 4, v[156:157]
	s_waitcnt vmcnt(0)
	global_store_dwordx4 v[156:157], v[0:3], off
	scratch_load_dwordx4 v[0:3], off, off offset:32 ; 16-byte Folded Reload
	v_add_u32_e32 v156, s12, v252
	v_ashrrev_i32_e32 v157, 31, v156
	v_lshl_add_u64 v[158:159], v[156:157], 4, v[164:165]
	v_add_u32_e32 v156, s2, v156
	v_ashrrev_i32_e32 v157, 31, v156
	s_waitcnt vmcnt(0)
	global_store_dwordx4 v[158:159], v[0:3], off
	scratch_load_dwordx4 v[0:3], off, off offset:16 ; 16-byte Folded Reload
	v_lshl_add_u64 v[158:159], v[156:157], 4, v[164:165]
	v_add_u32_e32 v156, s2, v156
	v_ashrrev_i32_e32 v157, 31, v156
	s_waitcnt vmcnt(0)
	global_store_dwordx4 v[158:159], v[0:3], off
	scratch_load_dwordx4 v[0:3], off, off   ; 16-byte Folded Reload
	v_lshl_add_u64 v[158:159], v[156:157], 4, v[164:165]
	v_add_u32_e32 v156, s2, v156
	v_ashrrev_i32_e32 v157, 31, v156
	global_store_dwordx4 v[158:159], v[212:215], off
	v_lshl_add_u64 v[158:159], v[156:157], 4, v[164:165]
	v_add_u32_e32 v156, s2, v156
	v_ashrrev_i32_e32 v157, 31, v156
	global_store_dwordx4 v[158:159], v[4:7], off
	;; [unrolled: 4-line block ×4, first 2 shown]
	v_lshl_add_u64 v[158:159], v[156:157], 4, v[164:165]
	v_add_u32_e32 v156, s2, v156
	v_ashrrev_i32_e32 v157, 31, v156
	s_waitcnt vmcnt(4)
	global_store_dwordx4 v[158:159], v[0:3], off
	v_lshl_add_u64 v[158:159], v[156:157], 4, v[164:165]
	v_add_u32_e32 v156, s2, v156
	v_ashrrev_i32_e32 v157, 31, v156
	global_store_dwordx4 v[158:159], v[204:207], off
	v_lshl_add_u64 v[158:159], v[156:157], 4, v[164:165]
	v_add_u32_e32 v156, s2, v156
	v_ashrrev_i32_e32 v157, 31, v156
	;; [unrolled: 4-line block ×10, first 2 shown]
	global_store_dwordx4 v[158:159], v[168:171], off
	v_lshl_add_u64 v[158:159], v[156:157], 4, v[164:165]
	v_add_u32_e32 v156, s2, v156
	v_add_u32_e32 v152, s2, v156
	v_ashrrev_i32_e32 v157, 31, v156
	v_ashrrev_i32_e32 v153, 31, v152
	global_store_dwordx4 v[158:159], v[160:163], off
	v_lshl_add_u64 v[158:159], v[156:157], 4, v[164:165]
	v_lshl_add_u64 v[154:155], v[152:153], 4, v[164:165]
	global_store_dwordx4 v[158:159], v[208:211], off
	global_store_dwordx4 v[154:155], v[148:151], off
	s_nop 1
	v_add_u32_e32 v148, s2, v152
	v_ashrrev_i32_e32 v149, 31, v148
	v_lshl_add_u64 v[150:151], v[148:149], 4, v[164:165]
	global_store_dwordx4 v[150:151], v[144:147], off
	s_nop 1
	v_add_u32_e32 v144, s2, v148
	v_ashrrev_i32_e32 v145, 31, v144
	v_lshl_add_u64 v[146:147], v[144:145], 4, v[164:165]
	;; [unrolled: 5-line block ×34, first 2 shown]
	global_store_dwordx4 v[18:19], v[12:15], off
	s_nop 1
	v_add_u32_e32 v12, s2, v16
	v_add_u32_e32 v8, s2, v12
	;; [unrolled: 1-line block ×4, first 2 shown]
	v_ashrrev_i32_e32 v13, 31, v12
	v_ashrrev_i32_e32 v9, 31, v8
	;; [unrolled: 1-line block ×4, first 2 shown]
	v_lshl_add_u64 v[14:15], v[12:13], 4, v[164:165]
	v_lshl_add_u64 v[10:11], v[8:9], 4, v[164:165]
	;; [unrolled: 1-line block ×4, first 2 shown]
	global_store_dwordx4 v[14:15], v[230:233], off
	global_store_dwordx4 v[10:11], v[224:227], off
	global_store_dwordx4 v[6:7], v[220:223], off
	global_store_dwordx4 v[0:1], v[236:239], off
.LBB118_1261:
	s_endpgm
	.section	.rodata,"a",@progbits
	.p2align	6, 0x0
	.amdhsa_kernel _ZN9rocsolver6v33100L18getf2_small_kernelILi60E19rocblas_complex_numIdEiiPS3_EEvT1_T3_lS5_lPS5_llPT2_S5_S5_S7_l
		.amdhsa_group_segment_fixed_size 0
		.amdhsa_private_segment_fixed_size 116
		.amdhsa_kernarg_size 352
		.amdhsa_user_sgpr_count 2
		.amdhsa_user_sgpr_dispatch_ptr 0
		.amdhsa_user_sgpr_queue_ptr 0
		.amdhsa_user_sgpr_kernarg_segment_ptr 1
		.amdhsa_user_sgpr_dispatch_id 0
		.amdhsa_user_sgpr_kernarg_preload_length 0
		.amdhsa_user_sgpr_kernarg_preload_offset 0
		.amdhsa_user_sgpr_private_segment_size 0
		.amdhsa_uses_dynamic_stack 0
		.amdhsa_enable_private_segment 1
		.amdhsa_system_sgpr_workgroup_id_x 1
		.amdhsa_system_sgpr_workgroup_id_y 1
		.amdhsa_system_sgpr_workgroup_id_z 0
		.amdhsa_system_sgpr_workgroup_info 0
		.amdhsa_system_vgpr_workitem_id 1
		.amdhsa_next_free_vgpr 256
		.amdhsa_next_free_sgpr 26
		.amdhsa_accum_offset 256
		.amdhsa_reserve_vcc 1
		.amdhsa_float_round_mode_32 0
		.amdhsa_float_round_mode_16_64 0
		.amdhsa_float_denorm_mode_32 3
		.amdhsa_float_denorm_mode_16_64 3
		.amdhsa_dx10_clamp 1
		.amdhsa_ieee_mode 1
		.amdhsa_fp16_overflow 0
		.amdhsa_tg_split 0
		.amdhsa_exception_fp_ieee_invalid_op 0
		.amdhsa_exception_fp_denorm_src 0
		.amdhsa_exception_fp_ieee_div_zero 0
		.amdhsa_exception_fp_ieee_overflow 0
		.amdhsa_exception_fp_ieee_underflow 0
		.amdhsa_exception_fp_ieee_inexact 0
		.amdhsa_exception_int_div_zero 0
	.end_amdhsa_kernel
	.section	.text._ZN9rocsolver6v33100L18getf2_small_kernelILi60E19rocblas_complex_numIdEiiPS3_EEvT1_T3_lS5_lPS5_llPT2_S5_S5_S7_l,"axG",@progbits,_ZN9rocsolver6v33100L18getf2_small_kernelILi60E19rocblas_complex_numIdEiiPS3_EEvT1_T3_lS5_lPS5_llPT2_S5_S5_S7_l,comdat
.Lfunc_end118:
	.size	_ZN9rocsolver6v33100L18getf2_small_kernelILi60E19rocblas_complex_numIdEiiPS3_EEvT1_T3_lS5_lPS5_llPT2_S5_S5_S7_l, .Lfunc_end118-_ZN9rocsolver6v33100L18getf2_small_kernelILi60E19rocblas_complex_numIdEiiPS3_EEvT1_T3_lS5_lPS5_llPT2_S5_S5_S7_l
                                        ; -- End function
	.set _ZN9rocsolver6v33100L18getf2_small_kernelILi60E19rocblas_complex_numIdEiiPS3_EEvT1_T3_lS5_lPS5_llPT2_S5_S5_S7_l.num_vgpr, 256
	.set _ZN9rocsolver6v33100L18getf2_small_kernelILi60E19rocblas_complex_numIdEiiPS3_EEvT1_T3_lS5_lPS5_llPT2_S5_S5_S7_l.num_agpr, 0
	.set _ZN9rocsolver6v33100L18getf2_small_kernelILi60E19rocblas_complex_numIdEiiPS3_EEvT1_T3_lS5_lPS5_llPT2_S5_S5_S7_l.numbered_sgpr, 26
	.set _ZN9rocsolver6v33100L18getf2_small_kernelILi60E19rocblas_complex_numIdEiiPS3_EEvT1_T3_lS5_lPS5_llPT2_S5_S5_S7_l.num_named_barrier, 0
	.set _ZN9rocsolver6v33100L18getf2_small_kernelILi60E19rocblas_complex_numIdEiiPS3_EEvT1_T3_lS5_lPS5_llPT2_S5_S5_S7_l.private_seg_size, 116
	.set _ZN9rocsolver6v33100L18getf2_small_kernelILi60E19rocblas_complex_numIdEiiPS3_EEvT1_T3_lS5_lPS5_llPT2_S5_S5_S7_l.uses_vcc, 1
	.set _ZN9rocsolver6v33100L18getf2_small_kernelILi60E19rocblas_complex_numIdEiiPS3_EEvT1_T3_lS5_lPS5_llPT2_S5_S5_S7_l.uses_flat_scratch, 0
	.set _ZN9rocsolver6v33100L18getf2_small_kernelILi60E19rocblas_complex_numIdEiiPS3_EEvT1_T3_lS5_lPS5_llPT2_S5_S5_S7_l.has_dyn_sized_stack, 0
	.set _ZN9rocsolver6v33100L18getf2_small_kernelILi60E19rocblas_complex_numIdEiiPS3_EEvT1_T3_lS5_lPS5_llPT2_S5_S5_S7_l.has_recursion, 0
	.set _ZN9rocsolver6v33100L18getf2_small_kernelILi60E19rocblas_complex_numIdEiiPS3_EEvT1_T3_lS5_lPS5_llPT2_S5_S5_S7_l.has_indirect_call, 0
	.section	.AMDGPU.csdata,"",@progbits
; Kernel info:
; codeLenInByte = 168560
; TotalNumSgprs: 32
; NumVgprs: 256
; NumAgprs: 0
; TotalNumVgprs: 256
; ScratchSize: 116
; MemoryBound: 0
; FloatMode: 240
; IeeeMode: 1
; LDSByteSize: 0 bytes/workgroup (compile time only)
; SGPRBlocks: 3
; VGPRBlocks: 31
; NumSGPRsForWavesPerEU: 32
; NumVGPRsForWavesPerEU: 256
; AccumOffset: 256
; Occupancy: 2
; WaveLimiterHint : 0
; COMPUTE_PGM_RSRC2:SCRATCH_EN: 1
; COMPUTE_PGM_RSRC2:USER_SGPR: 2
; COMPUTE_PGM_RSRC2:TRAP_HANDLER: 0
; COMPUTE_PGM_RSRC2:TGID_X_EN: 1
; COMPUTE_PGM_RSRC2:TGID_Y_EN: 1
; COMPUTE_PGM_RSRC2:TGID_Z_EN: 0
; COMPUTE_PGM_RSRC2:TIDIG_COMP_CNT: 1
; COMPUTE_PGM_RSRC3_GFX90A:ACCUM_OFFSET: 63
; COMPUTE_PGM_RSRC3_GFX90A:TG_SPLIT: 0
	.section	.text._ZN9rocsolver6v33100L23getf2_npvt_small_kernelILi60E19rocblas_complex_numIdEiiPS3_EEvT1_T3_lS5_lPT2_S5_S5_,"axG",@progbits,_ZN9rocsolver6v33100L23getf2_npvt_small_kernelILi60E19rocblas_complex_numIdEiiPS3_EEvT1_T3_lS5_lPT2_S5_S5_,comdat
	.globl	_ZN9rocsolver6v33100L23getf2_npvt_small_kernelILi60E19rocblas_complex_numIdEiiPS3_EEvT1_T3_lS5_lPT2_S5_S5_ ; -- Begin function _ZN9rocsolver6v33100L23getf2_npvt_small_kernelILi60E19rocblas_complex_numIdEiiPS3_EEvT1_T3_lS5_lPT2_S5_S5_
	.p2align	8
	.type	_ZN9rocsolver6v33100L23getf2_npvt_small_kernelILi60E19rocblas_complex_numIdEiiPS3_EEvT1_T3_lS5_lPT2_S5_S5_,@function
_ZN9rocsolver6v33100L23getf2_npvt_small_kernelILi60E19rocblas_complex_numIdEiiPS3_EEvT1_T3_lS5_lPT2_S5_S5_: ; @_ZN9rocsolver6v33100L23getf2_npvt_small_kernelILi60E19rocblas_complex_numIdEiiPS3_EEvT1_T3_lS5_lPT2_S5_S5_
; %bb.0:
	s_load_dword s2, s[0:1], 0x44
	s_load_dwordx2 s[8:9], s[0:1], 0x30
	v_bfe_u32 v2, v0, 10, 10
	s_waitcnt lgkmcnt(0)
	s_lshr_b32 s2, s2, 16
	s_mul_i32 s3, s3, s2
	v_add_u32_e32 v4, s3, v2
	v_cmp_gt_i32_e32 vcc, s8, v4
	s_and_saveexec_b64 s[4:5], vcc
	s_cbranch_execnz .LBB119_1
; %bb.544:
	s_getpc_b64 s[16:17]
.Lpost_getpc16:
	s_add_u32 s16, s16, (.LBB119_543-.Lpost_getpc16)&4294967295
	s_addc_u32 s17, s17, (.LBB119_543-.Lpost_getpc16)>>32
	s_setpc_b64 s[16:17]
.LBB119_1:
	s_load_dwordx4 s[12:15], s[0:1], 0x8
	s_load_dword s10, s[0:1], 0x18
	s_load_dwordx4 s[4:7], s[0:1], 0x20
	v_ashrrev_i32_e32 v5, 31, v4
	scratch_store_dwordx2 off, v[4:5], off offset:1424 ; 8-byte Folded Spill
	v_and_b32_e32 v200, 0x3ff, v0
	s_waitcnt lgkmcnt(0)
	v_mov_b32_e32 v0, s12
	v_mul_lo_u32 v3, s5, v4
	v_mul_lo_u32 v6, s4, v5
	v_mad_u64_u32 v[4:5], s[0:1], s4, v4, 0
	v_mov_b32_e32 v1, s13
	v_add3_u32 v5, v5, v6, v3
	v_lshl_add_u64 v[0:1], v[4:5], 4, v[0:1]
	v_lshl_add_u64 v[0:1], s[14:15], 4, v[0:1]
	v_lshlrev_b32_e32 v4, 4, v200
	v_mov_b32_e32 v5, 0
	s_add_i32 s0, s10, s10
	v_lshl_add_u64 v[6:7], v[0:1], 0, v[4:5]
	v_add_u32_e32 v4, s0, v200
	v_ashrrev_i32_e32 v5, 31, v4
	v_lshl_add_u64 v[8:9], v[4:5], 4, v[0:1]
	v_add_u32_e32 v4, s10, v4
	v_ashrrev_i32_e32 v5, 31, v4
	;; [unrolled: 3-line block ×57, first 2 shown]
	v_lshl_add_u64 v[238:239], v[4:5], 4, v[0:1]
	v_add_u32_e32 v4, s10, v4
	s_mulk_i32 s2, 0x3c0
	v_ashrrev_i32_e32 v5, 31, v4
	s_movk_i32 s0, 0x3c0
	s_add_i32 s1, s2, 0
	v_lshl_add_u64 v[240:241], v[4:5], 4, v[0:1]
	v_mad_u32_u24 v202, v2, s0, 0
	v_lshl_add_u32 v201, v2, 4, s1
	global_load_dwordx4 v[2:5], v[6:7], off
	s_ashr_i32 s11, s10, 31
	v_lshl_add_u64 v[0:1], s[10:11], 4, v[6:7]
	scratch_store_dwordx2 off, v[6:7], off offset:160 ; 8-byte Folded Spill
	v_cmp_ne_u32_e64 s[2:3], 0, v200
	v_cmp_eq_u32_e64 s[0:1], 0, v200
	s_waitcnt vmcnt(1)
	scratch_store_dwordx4 off, v[2:5], off offset:144 ; 16-byte Folded Spill
	scratch_store_dwordx2 off, v[0:1], off offset:632 ; 8-byte Folded Spill
	global_load_dwordx4 v[0:3], v[0:1], off
	s_waitcnt vmcnt(0)
	scratch_store_dwordx4 off, v[0:3], off offset:128 ; 16-byte Folded Spill
	scratch_store_dwordx2 off, v[8:9], off offset:168 ; 8-byte Folded Spill
	global_load_dwordx4 v[0:3], v[8:9], off
	;; [unrolled: 4-line block ×9, first 2 shown]
	s_nop 0
	global_load_dwordx4 v[4:7], v[24:25], off
	s_nop 0
	scratch_store_dwordx2 off, v[24:25], off offset:232 ; 8-byte Folded Spill
	s_waitcnt vmcnt(1)
	scratch_store_dwordx4 off, v[4:7], off  ; 16-byte Folded Spill
	scratch_store_dwordx2 off, v[26:27], off offset:240 ; 8-byte Folded Spill
	global_load_dwordx4 v[100:103], v[70:71], off
	global_load_dwordx4 v[96:99], v[72:73], off
	;; [unrolled: 1-line block ×33, first 2 shown]
	s_nop 0
	scratch_store_dwordx2 off, v[72:73], off offset:424 ; 8-byte Folded Spill
	scratch_store_dwordx2 off, v[74:75], off offset:432 ; 8-byte Folded Spill
	;; [unrolled: 1-line block ×5, first 2 shown]
	global_load_dwordx4 v[80:83], v[80:81], off
	s_nop 0
	scratch_store_dwordx2 off, v[196:197], off offset:464 ; 8-byte Folded Spill
	global_load_dwordx4 v[76:79], v[196:197], off
	global_load_dwordx4 v[72:75], v[198:199], off
	s_nop 0
	scratch_store_dwordx2 off, v[198:199], off offset:472 ; 8-byte Folded Spill
	v_mov_b64_e32 v[198:199], v[2:3]
	scratch_store_dwordx2 off, v[28:29], off offset:248 ; 8-byte Folded Spill
	scratch_store_dwordx2 off, v[30:31], off offset:256 ; 8-byte Folded Spill
	;; [unrolled: 1-line block ×22, first 2 shown]
	v_mov_b64_e32 v[196:197], v[0:1]
	global_load_dwordx4 v[68:71], v[204:205], off
	global_load_dwordx4 v[64:67], v[206:207], off
	;; [unrolled: 1-line block ×12, first 2 shown]
	s_nop 0
	scratch_store_dwordx2 off, v[236:237], off offset:608 ; 8-byte Folded Spill
	scratch_store_dwordx2 off, v[238:239], off offset:616 ; 8-byte Folded Spill
	global_load_dwordx4 v[236:239], v[240:241], off
	s_nop 0
	scratch_store_dwordx2 off, v[204:205], off offset:480 ; 8-byte Folded Spill
	scratch_store_dwordx2 off, v[206:207], off offset:488 ; 8-byte Folded Spill
	;; [unrolled: 1-line block ×17, first 2 shown]
	s_and_saveexec_b64 s[10:11], s[0:1]
	s_cbranch_execz .LBB119_8
; %bb.2:
	scratch_load_dwordx4 v[192:195], off, off offset:144 ; 16-byte Folded Reload
	s_waitcnt vmcnt(0)
	ds_write2_b64 v201, v[192:193], v[194:195] offset1:1
	scratch_load_dwordx4 v[192:195], off, off offset:128 ; 16-byte Folded Reload
	s_waitcnt vmcnt(0)
	ds_write2_b64 v202, v[192:193], v[194:195] offset0:2 offset1:3
	scratch_load_dwordx4 v[192:195], off, off offset:112 ; 16-byte Folded Reload
	s_waitcnt vmcnt(0)
	ds_write2_b64 v202, v[192:193], v[194:195] offset0:4 offset1:5
	;; [unrolled: 3-line block ×8, first 2 shown]
	ds_write2_b64 v202, v[196:197], v[198:199] offset0:18 offset1:19
	scratch_load_dwordx4 v[192:195], off, off ; 16-byte Folded Reload
	s_waitcnt vmcnt(0)
	ds_write2_b64 v202, v[192:193], v[194:195] offset0:20 offset1:21
	ds_write2_b64 v202, v[188:189], v[190:191] offset0:22 offset1:23
	;; [unrolled: 1-line block ×50, first 2 shown]
	ds_read2_b64 v[208:211], v201 offset1:1
	s_waitcnt lgkmcnt(0)
	v_cmp_neq_f64_e32 vcc, 0, v[208:209]
	v_cmp_neq_f64_e64 s[4:5], 0, v[210:211]
	s_or_b64 s[4:5], vcc, s[4:5]
	s_and_b64 exec, exec, s[4:5]
	s_cbranch_execz .LBB119_8
; %bb.3:
	v_cmp_ngt_f64_e64 s[4:5], |v[208:209]|, |v[210:211]|
                                        ; implicit-def: $vgpr204_vgpr205
	s_and_saveexec_b64 s[12:13], s[4:5]
	s_xor_b64 s[4:5], exec, s[12:13]
                                        ; implicit-def: $vgpr206_vgpr207
	s_cbranch_execz .LBB119_5
; %bb.4:
	v_div_scale_f64 v[204:205], s[12:13], v[210:211], v[210:211], v[208:209]
	v_rcp_f64_e32 v[206:207], v[204:205]
	v_div_scale_f64 v[212:213], vcc, v[208:209], v[210:211], v[208:209]
	v_fma_f64 v[214:215], -v[204:205], v[206:207], 1.0
	v_fmac_f64_e32 v[206:207], v[206:207], v[214:215]
	v_fma_f64 v[214:215], -v[204:205], v[206:207], 1.0
	v_fmac_f64_e32 v[206:207], v[206:207], v[214:215]
	v_mul_f64 v[214:215], v[212:213], v[206:207]
	v_fma_f64 v[204:205], -v[204:205], v[214:215], v[212:213]
	v_div_fmas_f64 v[204:205], v[204:205], v[206:207], v[214:215]
	v_div_fixup_f64 v[204:205], v[204:205], v[210:211], v[208:209]
	v_fmac_f64_e32 v[210:211], v[208:209], v[204:205]
	v_div_scale_f64 v[206:207], s[12:13], v[210:211], v[210:211], 1.0
	v_rcp_f64_e32 v[208:209], v[206:207]
	s_nop 0
	v_fma_f64 v[212:213], -v[206:207], v[208:209], 1.0
	v_fmac_f64_e32 v[208:209], v[208:209], v[212:213]
	v_fma_f64 v[212:213], -v[206:207], v[208:209], 1.0
	v_fmac_f64_e32 v[208:209], v[208:209], v[212:213]
	v_div_scale_f64 v[212:213], vcc, 1.0, v[210:211], 1.0
	v_mul_f64 v[214:215], v[212:213], v[208:209]
	v_fma_f64 v[206:207], -v[206:207], v[214:215], v[212:213]
	s_nop 1
	v_div_fmas_f64 v[206:207], v[206:207], v[208:209], v[214:215]
	v_div_fixup_f64 v[206:207], v[206:207], v[210:211], 1.0
	v_mul_f64 v[204:205], v[204:205], v[206:207]
	v_xor_b32_e32 v207, 0x80000000, v207
                                        ; implicit-def: $vgpr208_vgpr209
.LBB119_5:
	s_andn2_saveexec_b64 s[4:5], s[4:5]
	s_cbranch_execz .LBB119_7
; %bb.6:
	v_div_scale_f64 v[204:205], s[12:13], v[208:209], v[208:209], v[210:211]
	v_rcp_f64_e32 v[206:207], v[204:205]
	v_div_scale_f64 v[212:213], vcc, v[210:211], v[208:209], v[210:211]
	v_fma_f64 v[214:215], -v[204:205], v[206:207], 1.0
	v_fmac_f64_e32 v[206:207], v[206:207], v[214:215]
	v_fma_f64 v[214:215], -v[204:205], v[206:207], 1.0
	v_fmac_f64_e32 v[206:207], v[206:207], v[214:215]
	v_mul_f64 v[214:215], v[212:213], v[206:207]
	v_fma_f64 v[204:205], -v[204:205], v[214:215], v[212:213]
	v_div_fmas_f64 v[204:205], v[204:205], v[206:207], v[214:215]
	v_div_fixup_f64 v[206:207], v[204:205], v[208:209], v[210:211]
	v_fmac_f64_e32 v[208:209], v[210:211], v[206:207]
	v_div_scale_f64 v[204:205], s[12:13], v[208:209], v[208:209], 1.0
	v_rcp_f64_e32 v[210:211], v[204:205]
	s_nop 0
	v_fma_f64 v[212:213], -v[204:205], v[210:211], 1.0
	v_fmac_f64_e32 v[210:211], v[210:211], v[212:213]
	v_fma_f64 v[212:213], -v[204:205], v[210:211], 1.0
	v_fmac_f64_e32 v[210:211], v[210:211], v[212:213]
	v_div_scale_f64 v[212:213], vcc, 1.0, v[208:209], 1.0
	v_mul_f64 v[214:215], v[212:213], v[210:211]
	v_fma_f64 v[204:205], -v[204:205], v[214:215], v[212:213]
	s_nop 1
	v_div_fmas_f64 v[204:205], v[204:205], v[210:211], v[214:215]
	v_div_fixup_f64 v[204:205], v[204:205], v[208:209], 1.0
	v_mul_f64 v[206:207], v[206:207], -v[204:205]
.LBB119_7:
	s_or_b64 exec, exec, s[4:5]
	ds_write2_b64 v201, v[204:205], v[206:207] offset1:1
.LBB119_8:
	s_or_b64 exec, exec, s[10:11]
	s_waitcnt lgkmcnt(0)
	s_barrier
	ds_read2_b64 v[192:195], v201 offset1:1
	s_waitcnt lgkmcnt(0)
	scratch_store_dwordx4 off, v[192:195], off offset:640 ; 16-byte Folded Spill
	s_and_saveexec_b64 s[4:5], s[2:3]
	s_cbranch_execz .LBB119_10
; %bb.9:
	scratch_load_dwordx4 v[212:215], off, off offset:144 ; 16-byte Folded Reload
	scratch_load_dwordx4 v[192:195], off, off offset:640 ; 16-byte Folded Reload
	s_waitcnt vmcnt(0)
	v_mul_f64 v[204:205], v[194:195], v[214:215]
	v_mul_f64 v[214:215], v[192:193], v[214:215]
	v_fma_f64 v[208:209], v[192:193], v[212:213], -v[204:205]
	v_fmac_f64_e32 v[214:215], v[194:195], v[212:213]
	scratch_load_dwordx4 v[192:195], off, off offset:128 ; 16-byte Folded Reload
	ds_read2_b64 v[204:207], v202 offset0:2 offset1:3
	s_waitcnt lgkmcnt(0)
	v_mul_f64 v[210:211], v[206:207], v[214:215]
	v_fma_f64 v[210:211], v[204:205], v[208:209], -v[210:211]
	v_mul_f64 v[204:205], v[204:205], v[214:215]
	v_fmac_f64_e32 v[204:205], v[206:207], v[208:209]
	s_waitcnt vmcnt(0)
	v_add_f64 v[192:193], v[192:193], -v[210:211]
	v_add_f64 v[194:195], v[194:195], -v[204:205]
	scratch_store_dwordx4 off, v[192:195], off offset:128 ; 16-byte Folded Spill
	scratch_load_dwordx4 v[192:195], off, off offset:112 ; 16-byte Folded Reload
	ds_read2_b64 v[204:207], v202 offset0:4 offset1:5
	s_waitcnt lgkmcnt(0)
	v_mul_f64 v[210:211], v[206:207], v[214:215]
	v_fma_f64 v[210:211], v[204:205], v[208:209], -v[210:211]
	v_mul_f64 v[204:205], v[204:205], v[214:215]
	v_fmac_f64_e32 v[204:205], v[206:207], v[208:209]
	s_waitcnt vmcnt(0)
	v_add_f64 v[192:193], v[192:193], -v[210:211]
	v_add_f64 v[194:195], v[194:195], -v[204:205]
	scratch_store_dwordx4 off, v[192:195], off offset:112 ; 16-byte Folded Spill
	;; [unrolled: 11-line block ×8, first 2 shown]
	scratch_load_dwordx4 v[192:195], off, off ; 16-byte Folded Reload
	ds_read2_b64 v[204:207], v202 offset0:18 offset1:19
	s_waitcnt lgkmcnt(0)
	v_mul_f64 v[210:211], v[206:207], v[214:215]
	v_fma_f64 v[210:211], v[204:205], v[208:209], -v[210:211]
	v_mul_f64 v[204:205], v[204:205], v[214:215]
	v_fmac_f64_e32 v[204:205], v[206:207], v[208:209]
	v_add_f64 v[198:199], v[198:199], -v[204:205]
	ds_read2_b64 v[204:207], v202 offset0:20 offset1:21
	v_add_f64 v[196:197], v[196:197], -v[210:211]
	s_waitcnt lgkmcnt(0)
	v_mul_f64 v[210:211], v[206:207], v[214:215]
	v_fma_f64 v[210:211], v[204:205], v[208:209], -v[210:211]
	v_mul_f64 v[204:205], v[204:205], v[214:215]
	v_fmac_f64_e32 v[204:205], v[206:207], v[208:209]
	s_waitcnt vmcnt(0)
	v_add_f64 v[194:195], v[194:195], -v[204:205]
	ds_read2_b64 v[204:207], v202 offset0:22 offset1:23
	v_add_f64 v[192:193], v[192:193], -v[210:211]
	scratch_store_dwordx4 off, v[192:195], off ; 16-byte Folded Spill
	s_waitcnt lgkmcnt(0)
	v_mul_f64 v[210:211], v[206:207], v[214:215]
	v_fma_f64 v[210:211], v[204:205], v[208:209], -v[210:211]
	v_mul_f64 v[204:205], v[204:205], v[214:215]
	v_fmac_f64_e32 v[204:205], v[206:207], v[208:209]
	v_add_f64 v[190:191], v[190:191], -v[204:205]
	ds_read2_b64 v[204:207], v202 offset0:24 offset1:25
	v_add_f64 v[188:189], v[188:189], -v[210:211]
	s_waitcnt lgkmcnt(0)
	v_mul_f64 v[210:211], v[206:207], v[214:215]
	v_fma_f64 v[210:211], v[204:205], v[208:209], -v[210:211]
	v_mul_f64 v[204:205], v[204:205], v[214:215]
	v_fmac_f64_e32 v[204:205], v[206:207], v[208:209]
	v_add_f64 v[186:187], v[186:187], -v[204:205]
	ds_read2_b64 v[204:207], v202 offset0:26 offset1:27
	v_add_f64 v[184:185], v[184:185], -v[210:211]
	;; [unrolled: 8-line block ×48, first 2 shown]
	s_waitcnt lgkmcnt(0)
	v_mul_f64 v[210:211], v[206:207], v[214:215]
	v_mul_f64 v[212:213], v[204:205], v[214:215]
	v_fma_f64 v[210:211], v[204:205], v[208:209], -v[210:211]
	v_fmac_f64_e32 v[212:213], v[206:207], v[208:209]
	v_add_f64 v[236:237], v[236:237], -v[210:211]
	v_add_f64 v[238:239], v[238:239], -v[212:213]
	v_mov_b64_e32 v[212:213], v[208:209]
	scratch_store_dwordx4 off, v[212:215], off offset:144 ; 16-byte Folded Spill
.LBB119_10:
	s_or_b64 exec, exec, s[4:5]
	v_cmp_eq_u32_e32 vcc, 1, v200
	s_waitcnt vmcnt(63) expcnt(7) lgkmcnt(15)
	s_barrier
	s_and_saveexec_b64 s[4:5], vcc
	s_cbranch_execz .LBB119_17
; %bb.11:
	scratch_load_dwordx4 v[192:195], off, off offset:128 ; 16-byte Folded Reload
	s_waitcnt vmcnt(0)
	ds_write2_b64 v201, v[192:193], v[194:195] offset1:1
	scratch_load_dwordx4 v[192:195], off, off offset:112 ; 16-byte Folded Reload
	s_waitcnt vmcnt(0)
	ds_write2_b64 v202, v[192:193], v[194:195] offset0:4 offset1:5
	scratch_load_dwordx4 v[192:195], off, off offset:96 ; 16-byte Folded Reload
	s_waitcnt vmcnt(0)
	ds_write2_b64 v202, v[192:193], v[194:195] offset0:6 offset1:7
	;; [unrolled: 3-line block ×7, first 2 shown]
	ds_write2_b64 v202, v[196:197], v[198:199] offset0:18 offset1:19
	scratch_load_dwordx4 v[192:195], off, off ; 16-byte Folded Reload
	s_waitcnt vmcnt(0)
	ds_write2_b64 v202, v[192:193], v[194:195] offset0:20 offset1:21
	ds_write2_b64 v202, v[188:189], v[190:191] offset0:22 offset1:23
	;; [unrolled: 1-line block ×50, first 2 shown]
	ds_read2_b64 v[208:211], v201 offset1:1
	s_waitcnt lgkmcnt(0)
	v_cmp_neq_f64_e32 vcc, 0, v[208:209]
	v_cmp_neq_f64_e64 s[2:3], 0, v[210:211]
	s_or_b64 s[2:3], vcc, s[2:3]
	s_and_b64 exec, exec, s[2:3]
	s_cbranch_execz .LBB119_17
; %bb.12:
	v_cmp_ngt_f64_e64 s[2:3], |v[208:209]|, |v[210:211]|
                                        ; implicit-def: $vgpr204_vgpr205
	s_and_saveexec_b64 s[10:11], s[2:3]
	s_xor_b64 s[2:3], exec, s[10:11]
                                        ; implicit-def: $vgpr206_vgpr207
	s_cbranch_execz .LBB119_14
; %bb.13:
	v_div_scale_f64 v[204:205], s[10:11], v[210:211], v[210:211], v[208:209]
	v_rcp_f64_e32 v[206:207], v[204:205]
	v_div_scale_f64 v[212:213], vcc, v[208:209], v[210:211], v[208:209]
	v_fma_f64 v[214:215], -v[204:205], v[206:207], 1.0
	v_fmac_f64_e32 v[206:207], v[206:207], v[214:215]
	v_fma_f64 v[214:215], -v[204:205], v[206:207], 1.0
	v_fmac_f64_e32 v[206:207], v[206:207], v[214:215]
	v_mul_f64 v[214:215], v[212:213], v[206:207]
	v_fma_f64 v[204:205], -v[204:205], v[214:215], v[212:213]
	v_div_fmas_f64 v[204:205], v[204:205], v[206:207], v[214:215]
	v_div_fixup_f64 v[204:205], v[204:205], v[210:211], v[208:209]
	v_fmac_f64_e32 v[210:211], v[208:209], v[204:205]
	v_div_scale_f64 v[206:207], s[10:11], v[210:211], v[210:211], 1.0
	v_rcp_f64_e32 v[208:209], v[206:207]
	s_nop 0
	v_fma_f64 v[212:213], -v[206:207], v[208:209], 1.0
	v_fmac_f64_e32 v[208:209], v[208:209], v[212:213]
	v_fma_f64 v[212:213], -v[206:207], v[208:209], 1.0
	v_fmac_f64_e32 v[208:209], v[208:209], v[212:213]
	v_div_scale_f64 v[212:213], vcc, 1.0, v[210:211], 1.0
	v_mul_f64 v[214:215], v[212:213], v[208:209]
	v_fma_f64 v[206:207], -v[206:207], v[214:215], v[212:213]
	s_nop 1
	v_div_fmas_f64 v[206:207], v[206:207], v[208:209], v[214:215]
	v_div_fixup_f64 v[206:207], v[206:207], v[210:211], 1.0
	v_mul_f64 v[204:205], v[204:205], v[206:207]
	v_xor_b32_e32 v207, 0x80000000, v207
                                        ; implicit-def: $vgpr208_vgpr209
.LBB119_14:
	s_andn2_saveexec_b64 s[2:3], s[2:3]
	s_cbranch_execz .LBB119_16
; %bb.15:
	v_div_scale_f64 v[204:205], s[10:11], v[208:209], v[208:209], v[210:211]
	v_rcp_f64_e32 v[206:207], v[204:205]
	v_div_scale_f64 v[212:213], vcc, v[210:211], v[208:209], v[210:211]
	v_fma_f64 v[214:215], -v[204:205], v[206:207], 1.0
	v_fmac_f64_e32 v[206:207], v[206:207], v[214:215]
	v_fma_f64 v[214:215], -v[204:205], v[206:207], 1.0
	v_fmac_f64_e32 v[206:207], v[206:207], v[214:215]
	v_mul_f64 v[214:215], v[212:213], v[206:207]
	v_fma_f64 v[204:205], -v[204:205], v[214:215], v[212:213]
	v_div_fmas_f64 v[204:205], v[204:205], v[206:207], v[214:215]
	v_div_fixup_f64 v[206:207], v[204:205], v[208:209], v[210:211]
	v_fmac_f64_e32 v[208:209], v[210:211], v[206:207]
	v_div_scale_f64 v[204:205], s[10:11], v[208:209], v[208:209], 1.0
	v_rcp_f64_e32 v[210:211], v[204:205]
	s_nop 0
	v_fma_f64 v[212:213], -v[204:205], v[210:211], 1.0
	v_fmac_f64_e32 v[210:211], v[210:211], v[212:213]
	v_fma_f64 v[212:213], -v[204:205], v[210:211], 1.0
	v_fmac_f64_e32 v[210:211], v[210:211], v[212:213]
	v_div_scale_f64 v[212:213], vcc, 1.0, v[208:209], 1.0
	v_mul_f64 v[214:215], v[212:213], v[210:211]
	v_fma_f64 v[204:205], -v[204:205], v[214:215], v[212:213]
	s_nop 1
	v_div_fmas_f64 v[204:205], v[204:205], v[210:211], v[214:215]
	v_div_fixup_f64 v[204:205], v[204:205], v[208:209], 1.0
	v_mul_f64 v[206:207], v[206:207], -v[204:205]
.LBB119_16:
	s_or_b64 exec, exec, s[2:3]
	ds_write2_b64 v201, v[204:205], v[206:207] offset1:1
.LBB119_17:
	s_or_b64 exec, exec, s[4:5]
	s_waitcnt lgkmcnt(0)
	s_barrier
	ds_read2_b64 v[192:195], v201 offset1:1
	v_cmp_lt_u32_e32 vcc, 1, v200
	s_waitcnt lgkmcnt(0)
	scratch_store_dwordx4 off, v[192:195], off offset:656 ; 16-byte Folded Spill
	s_and_saveexec_b64 s[2:3], vcc
	s_cbranch_execz .LBB119_19
; %bb.18:
	scratch_load_dwordx4 v[210:213], off, off offset:128 ; 16-byte Folded Reload
	scratch_load_dwordx4 v[192:195], off, off offset:656 ; 16-byte Folded Reload
	s_waitcnt vmcnt(0)
	v_mul_f64 v[204:205], v[194:195], v[212:213]
	v_mul_f64 v[212:213], v[192:193], v[212:213]
	v_fma_f64 v[208:209], v[192:193], v[210:211], -v[204:205]
	v_fmac_f64_e32 v[212:213], v[194:195], v[210:211]
	scratch_load_dwordx4 v[192:195], off, off offset:112 ; 16-byte Folded Reload
	ds_read2_b64 v[204:207], v202 offset0:4 offset1:5
	s_waitcnt lgkmcnt(0)
	v_mul_f64 v[210:211], v[206:207], v[212:213]
	v_fma_f64 v[210:211], v[204:205], v[208:209], -v[210:211]
	v_mul_f64 v[204:205], v[204:205], v[212:213]
	v_fmac_f64_e32 v[204:205], v[206:207], v[208:209]
	s_waitcnt vmcnt(0)
	v_add_f64 v[192:193], v[192:193], -v[210:211]
	v_add_f64 v[194:195], v[194:195], -v[204:205]
	scratch_store_dwordx4 off, v[192:195], off offset:112 ; 16-byte Folded Spill
	scratch_load_dwordx4 v[192:195], off, off offset:96 ; 16-byte Folded Reload
	ds_read2_b64 v[204:207], v202 offset0:6 offset1:7
	s_waitcnt lgkmcnt(0)
	v_mul_f64 v[210:211], v[206:207], v[212:213]
	v_fma_f64 v[210:211], v[204:205], v[208:209], -v[210:211]
	v_mul_f64 v[204:205], v[204:205], v[212:213]
	v_fmac_f64_e32 v[204:205], v[206:207], v[208:209]
	s_waitcnt vmcnt(0)
	v_add_f64 v[192:193], v[192:193], -v[210:211]
	v_add_f64 v[194:195], v[194:195], -v[204:205]
	scratch_store_dwordx4 off, v[192:195], off offset:96 ; 16-byte Folded Spill
	;; [unrolled: 11-line block ×7, first 2 shown]
	scratch_load_dwordx4 v[192:195], off, off ; 16-byte Folded Reload
	ds_read2_b64 v[204:207], v202 offset0:18 offset1:19
	s_waitcnt lgkmcnt(0)
	v_mul_f64 v[210:211], v[206:207], v[212:213]
	v_fma_f64 v[210:211], v[204:205], v[208:209], -v[210:211]
	v_mul_f64 v[204:205], v[204:205], v[212:213]
	v_fmac_f64_e32 v[204:205], v[206:207], v[208:209]
	v_add_f64 v[198:199], v[198:199], -v[204:205]
	ds_read2_b64 v[204:207], v202 offset0:20 offset1:21
	v_add_f64 v[196:197], v[196:197], -v[210:211]
	s_waitcnt lgkmcnt(0)
	v_mul_f64 v[210:211], v[206:207], v[212:213]
	v_fma_f64 v[210:211], v[204:205], v[208:209], -v[210:211]
	v_mul_f64 v[204:205], v[204:205], v[212:213]
	v_fmac_f64_e32 v[204:205], v[206:207], v[208:209]
	s_waitcnt vmcnt(0)
	v_add_f64 v[194:195], v[194:195], -v[204:205]
	ds_read2_b64 v[204:207], v202 offset0:22 offset1:23
	v_add_f64 v[192:193], v[192:193], -v[210:211]
	scratch_store_dwordx4 off, v[192:195], off ; 16-byte Folded Spill
	s_waitcnt lgkmcnt(0)
	v_mul_f64 v[210:211], v[206:207], v[212:213]
	v_fma_f64 v[210:211], v[204:205], v[208:209], -v[210:211]
	v_mul_f64 v[204:205], v[204:205], v[212:213]
	v_fmac_f64_e32 v[204:205], v[206:207], v[208:209]
	v_add_f64 v[190:191], v[190:191], -v[204:205]
	ds_read2_b64 v[204:207], v202 offset0:24 offset1:25
	v_add_f64 v[188:189], v[188:189], -v[210:211]
	s_waitcnt lgkmcnt(0)
	v_mul_f64 v[210:211], v[206:207], v[212:213]
	v_fma_f64 v[210:211], v[204:205], v[208:209], -v[210:211]
	v_mul_f64 v[204:205], v[204:205], v[212:213]
	v_fmac_f64_e32 v[204:205], v[206:207], v[208:209]
	v_add_f64 v[186:187], v[186:187], -v[204:205]
	ds_read2_b64 v[204:207], v202 offset0:26 offset1:27
	v_add_f64 v[184:185], v[184:185], -v[210:211]
	;; [unrolled: 8-line block ×48, first 2 shown]
	s_waitcnt lgkmcnt(0)
	v_mul_f64 v[210:211], v[206:207], v[212:213]
	v_fma_f64 v[210:211], v[204:205], v[208:209], -v[210:211]
	v_mul_f64 v[204:205], v[204:205], v[212:213]
	v_fmac_f64_e32 v[204:205], v[206:207], v[208:209]
	v_add_f64 v[236:237], v[236:237], -v[210:211]
	v_add_f64 v[238:239], v[238:239], -v[204:205]
	v_mov_b64_e32 v[210:211], v[208:209]
	scratch_store_dwordx4 off, v[210:213], off offset:128 ; 16-byte Folded Spill
.LBB119_19:
	s_or_b64 exec, exec, s[2:3]
	v_cmp_eq_u32_e32 vcc, 2, v200
	s_waitcnt vmcnt(63) expcnt(7) lgkmcnt(15)
	s_barrier
	s_and_saveexec_b64 s[4:5], vcc
	s_cbranch_execz .LBB119_26
; %bb.20:
	scratch_load_dwordx4 v[192:195], off, off offset:112 ; 16-byte Folded Reload
	s_waitcnt vmcnt(0)
	ds_write2_b64 v201, v[192:193], v[194:195] offset1:1
	scratch_load_dwordx4 v[192:195], off, off offset:96 ; 16-byte Folded Reload
	s_waitcnt vmcnt(0)
	ds_write2_b64 v202, v[192:193], v[194:195] offset0:6 offset1:7
	scratch_load_dwordx4 v[192:195], off, off offset:80 ; 16-byte Folded Reload
	s_waitcnt vmcnt(0)
	ds_write2_b64 v202, v[192:193], v[194:195] offset0:8 offset1:9
	;; [unrolled: 3-line block ×6, first 2 shown]
	ds_write2_b64 v202, v[196:197], v[198:199] offset0:18 offset1:19
	scratch_load_dwordx4 v[192:195], off, off ; 16-byte Folded Reload
	s_waitcnt vmcnt(0)
	ds_write2_b64 v202, v[192:193], v[194:195] offset0:20 offset1:21
	ds_write2_b64 v202, v[188:189], v[190:191] offset0:22 offset1:23
	;; [unrolled: 1-line block ×50, first 2 shown]
	ds_read2_b64 v[208:211], v201 offset1:1
	s_waitcnt lgkmcnt(0)
	v_cmp_neq_f64_e32 vcc, 0, v[208:209]
	v_cmp_neq_f64_e64 s[2:3], 0, v[210:211]
	s_or_b64 s[2:3], vcc, s[2:3]
	s_and_b64 exec, exec, s[2:3]
	s_cbranch_execz .LBB119_26
; %bb.21:
	v_cmp_ngt_f64_e64 s[2:3], |v[208:209]|, |v[210:211]|
                                        ; implicit-def: $vgpr204_vgpr205
	s_and_saveexec_b64 s[10:11], s[2:3]
	s_xor_b64 s[2:3], exec, s[10:11]
                                        ; implicit-def: $vgpr206_vgpr207
	s_cbranch_execz .LBB119_23
; %bb.22:
	v_div_scale_f64 v[204:205], s[10:11], v[210:211], v[210:211], v[208:209]
	v_rcp_f64_e32 v[206:207], v[204:205]
	v_div_scale_f64 v[212:213], vcc, v[208:209], v[210:211], v[208:209]
	v_fma_f64 v[214:215], -v[204:205], v[206:207], 1.0
	v_fmac_f64_e32 v[206:207], v[206:207], v[214:215]
	v_fma_f64 v[214:215], -v[204:205], v[206:207], 1.0
	v_fmac_f64_e32 v[206:207], v[206:207], v[214:215]
	v_mul_f64 v[214:215], v[212:213], v[206:207]
	v_fma_f64 v[204:205], -v[204:205], v[214:215], v[212:213]
	v_div_fmas_f64 v[204:205], v[204:205], v[206:207], v[214:215]
	v_div_fixup_f64 v[204:205], v[204:205], v[210:211], v[208:209]
	v_fmac_f64_e32 v[210:211], v[208:209], v[204:205]
	v_div_scale_f64 v[206:207], s[10:11], v[210:211], v[210:211], 1.0
	v_rcp_f64_e32 v[208:209], v[206:207]
	s_nop 0
	v_fma_f64 v[212:213], -v[206:207], v[208:209], 1.0
	v_fmac_f64_e32 v[208:209], v[208:209], v[212:213]
	v_fma_f64 v[212:213], -v[206:207], v[208:209], 1.0
	v_fmac_f64_e32 v[208:209], v[208:209], v[212:213]
	v_div_scale_f64 v[212:213], vcc, 1.0, v[210:211], 1.0
	v_mul_f64 v[214:215], v[212:213], v[208:209]
	v_fma_f64 v[206:207], -v[206:207], v[214:215], v[212:213]
	s_nop 1
	v_div_fmas_f64 v[206:207], v[206:207], v[208:209], v[214:215]
	v_div_fixup_f64 v[206:207], v[206:207], v[210:211], 1.0
	v_mul_f64 v[204:205], v[204:205], v[206:207]
	v_xor_b32_e32 v207, 0x80000000, v207
                                        ; implicit-def: $vgpr208_vgpr209
.LBB119_23:
	s_andn2_saveexec_b64 s[2:3], s[2:3]
	s_cbranch_execz .LBB119_25
; %bb.24:
	v_div_scale_f64 v[204:205], s[10:11], v[208:209], v[208:209], v[210:211]
	v_rcp_f64_e32 v[206:207], v[204:205]
	v_div_scale_f64 v[212:213], vcc, v[210:211], v[208:209], v[210:211]
	v_fma_f64 v[214:215], -v[204:205], v[206:207], 1.0
	v_fmac_f64_e32 v[206:207], v[206:207], v[214:215]
	v_fma_f64 v[214:215], -v[204:205], v[206:207], 1.0
	v_fmac_f64_e32 v[206:207], v[206:207], v[214:215]
	v_mul_f64 v[214:215], v[212:213], v[206:207]
	v_fma_f64 v[204:205], -v[204:205], v[214:215], v[212:213]
	v_div_fmas_f64 v[204:205], v[204:205], v[206:207], v[214:215]
	v_div_fixup_f64 v[206:207], v[204:205], v[208:209], v[210:211]
	v_fmac_f64_e32 v[208:209], v[210:211], v[206:207]
	v_div_scale_f64 v[204:205], s[10:11], v[208:209], v[208:209], 1.0
	v_rcp_f64_e32 v[210:211], v[204:205]
	s_nop 0
	v_fma_f64 v[212:213], -v[204:205], v[210:211], 1.0
	v_fmac_f64_e32 v[210:211], v[210:211], v[212:213]
	v_fma_f64 v[212:213], -v[204:205], v[210:211], 1.0
	v_fmac_f64_e32 v[210:211], v[210:211], v[212:213]
	v_div_scale_f64 v[212:213], vcc, 1.0, v[208:209], 1.0
	v_mul_f64 v[214:215], v[212:213], v[210:211]
	v_fma_f64 v[204:205], -v[204:205], v[214:215], v[212:213]
	s_nop 1
	v_div_fmas_f64 v[204:205], v[204:205], v[210:211], v[214:215]
	v_div_fixup_f64 v[204:205], v[204:205], v[208:209], 1.0
	v_mul_f64 v[206:207], v[206:207], -v[204:205]
.LBB119_25:
	s_or_b64 exec, exec, s[2:3]
	ds_write2_b64 v201, v[204:205], v[206:207] offset1:1
.LBB119_26:
	s_or_b64 exec, exec, s[4:5]
	s_waitcnt lgkmcnt(0)
	s_barrier
	ds_read2_b64 v[192:195], v201 offset1:1
	v_cmp_lt_u32_e32 vcc, 2, v200
	s_waitcnt lgkmcnt(0)
	scratch_store_dwordx4 off, v[192:195], off offset:672 ; 16-byte Folded Spill
	s_and_saveexec_b64 s[2:3], vcc
	s_cbranch_execz .LBB119_28
; %bb.27:
	scratch_load_dwordx4 v[210:213], off, off offset:112 ; 16-byte Folded Reload
	scratch_load_dwordx4 v[192:195], off, off offset:672 ; 16-byte Folded Reload
	s_waitcnt vmcnt(0)
	v_mul_f64 v[204:205], v[194:195], v[212:213]
	v_mul_f64 v[212:213], v[192:193], v[212:213]
	v_fma_f64 v[208:209], v[192:193], v[210:211], -v[204:205]
	v_fmac_f64_e32 v[212:213], v[194:195], v[210:211]
	scratch_load_dwordx4 v[192:195], off, off offset:96 ; 16-byte Folded Reload
	ds_read2_b64 v[204:207], v202 offset0:6 offset1:7
	s_waitcnt lgkmcnt(0)
	v_mul_f64 v[210:211], v[206:207], v[212:213]
	v_fma_f64 v[210:211], v[204:205], v[208:209], -v[210:211]
	v_mul_f64 v[204:205], v[204:205], v[212:213]
	v_fmac_f64_e32 v[204:205], v[206:207], v[208:209]
	s_waitcnt vmcnt(0)
	v_add_f64 v[192:193], v[192:193], -v[210:211]
	v_add_f64 v[194:195], v[194:195], -v[204:205]
	scratch_store_dwordx4 off, v[192:195], off offset:96 ; 16-byte Folded Spill
	scratch_load_dwordx4 v[192:195], off, off offset:80 ; 16-byte Folded Reload
	ds_read2_b64 v[204:207], v202 offset0:8 offset1:9
	s_waitcnt lgkmcnt(0)
	v_mul_f64 v[210:211], v[206:207], v[212:213]
	v_fma_f64 v[210:211], v[204:205], v[208:209], -v[210:211]
	v_mul_f64 v[204:205], v[204:205], v[212:213]
	v_fmac_f64_e32 v[204:205], v[206:207], v[208:209]
	s_waitcnt vmcnt(0)
	v_add_f64 v[192:193], v[192:193], -v[210:211]
	v_add_f64 v[194:195], v[194:195], -v[204:205]
	scratch_store_dwordx4 off, v[192:195], off offset:80 ; 16-byte Folded Spill
	;; [unrolled: 11-line block ×6, first 2 shown]
	scratch_load_dwordx4 v[192:195], off, off ; 16-byte Folded Reload
	ds_read2_b64 v[204:207], v202 offset0:18 offset1:19
	s_waitcnt lgkmcnt(0)
	v_mul_f64 v[210:211], v[206:207], v[212:213]
	v_fma_f64 v[210:211], v[204:205], v[208:209], -v[210:211]
	v_mul_f64 v[204:205], v[204:205], v[212:213]
	v_fmac_f64_e32 v[204:205], v[206:207], v[208:209]
	v_add_f64 v[198:199], v[198:199], -v[204:205]
	ds_read2_b64 v[204:207], v202 offset0:20 offset1:21
	v_add_f64 v[196:197], v[196:197], -v[210:211]
	s_waitcnt lgkmcnt(0)
	v_mul_f64 v[210:211], v[206:207], v[212:213]
	v_fma_f64 v[210:211], v[204:205], v[208:209], -v[210:211]
	v_mul_f64 v[204:205], v[204:205], v[212:213]
	v_fmac_f64_e32 v[204:205], v[206:207], v[208:209]
	s_waitcnt vmcnt(0)
	v_add_f64 v[194:195], v[194:195], -v[204:205]
	ds_read2_b64 v[204:207], v202 offset0:22 offset1:23
	v_add_f64 v[192:193], v[192:193], -v[210:211]
	scratch_store_dwordx4 off, v[192:195], off ; 16-byte Folded Spill
	s_waitcnt lgkmcnt(0)
	v_mul_f64 v[210:211], v[206:207], v[212:213]
	v_fma_f64 v[210:211], v[204:205], v[208:209], -v[210:211]
	v_mul_f64 v[204:205], v[204:205], v[212:213]
	v_fmac_f64_e32 v[204:205], v[206:207], v[208:209]
	v_add_f64 v[190:191], v[190:191], -v[204:205]
	ds_read2_b64 v[204:207], v202 offset0:24 offset1:25
	v_add_f64 v[188:189], v[188:189], -v[210:211]
	s_waitcnt lgkmcnt(0)
	v_mul_f64 v[210:211], v[206:207], v[212:213]
	v_fma_f64 v[210:211], v[204:205], v[208:209], -v[210:211]
	v_mul_f64 v[204:205], v[204:205], v[212:213]
	v_fmac_f64_e32 v[204:205], v[206:207], v[208:209]
	v_add_f64 v[186:187], v[186:187], -v[204:205]
	ds_read2_b64 v[204:207], v202 offset0:26 offset1:27
	v_add_f64 v[184:185], v[184:185], -v[210:211]
	;; [unrolled: 8-line block ×48, first 2 shown]
	s_waitcnt lgkmcnt(0)
	v_mul_f64 v[210:211], v[206:207], v[212:213]
	v_fma_f64 v[210:211], v[204:205], v[208:209], -v[210:211]
	v_mul_f64 v[204:205], v[204:205], v[212:213]
	v_fmac_f64_e32 v[204:205], v[206:207], v[208:209]
	v_add_f64 v[236:237], v[236:237], -v[210:211]
	v_add_f64 v[238:239], v[238:239], -v[204:205]
	v_mov_b64_e32 v[210:211], v[208:209]
	scratch_store_dwordx4 off, v[210:213], off offset:112 ; 16-byte Folded Spill
.LBB119_28:
	s_or_b64 exec, exec, s[2:3]
	v_cmp_eq_u32_e32 vcc, 3, v200
	s_waitcnt vmcnt(63) expcnt(7) lgkmcnt(15)
	s_barrier
	s_and_saveexec_b64 s[4:5], vcc
	s_cbranch_execz .LBB119_35
; %bb.29:
	scratch_load_dwordx4 v[192:195], off, off offset:96 ; 16-byte Folded Reload
	s_waitcnt vmcnt(0)
	ds_write2_b64 v201, v[192:193], v[194:195] offset1:1
	scratch_load_dwordx4 v[192:195], off, off offset:80 ; 16-byte Folded Reload
	s_waitcnt vmcnt(0)
	ds_write2_b64 v202, v[192:193], v[194:195] offset0:8 offset1:9
	scratch_load_dwordx4 v[192:195], off, off offset:64 ; 16-byte Folded Reload
	s_waitcnt vmcnt(0)
	ds_write2_b64 v202, v[192:193], v[194:195] offset0:10 offset1:11
	;; [unrolled: 3-line block ×5, first 2 shown]
	ds_write2_b64 v202, v[196:197], v[198:199] offset0:18 offset1:19
	scratch_load_dwordx4 v[192:195], off, off ; 16-byte Folded Reload
	s_waitcnt vmcnt(0)
	ds_write2_b64 v202, v[192:193], v[194:195] offset0:20 offset1:21
	ds_write2_b64 v202, v[188:189], v[190:191] offset0:22 offset1:23
	;; [unrolled: 1-line block ×50, first 2 shown]
	ds_read2_b64 v[208:211], v201 offset1:1
	s_waitcnt lgkmcnt(0)
	v_cmp_neq_f64_e32 vcc, 0, v[208:209]
	v_cmp_neq_f64_e64 s[2:3], 0, v[210:211]
	s_or_b64 s[2:3], vcc, s[2:3]
	s_and_b64 exec, exec, s[2:3]
	s_cbranch_execz .LBB119_35
; %bb.30:
	v_cmp_ngt_f64_e64 s[2:3], |v[208:209]|, |v[210:211]|
                                        ; implicit-def: $vgpr204_vgpr205
	s_and_saveexec_b64 s[10:11], s[2:3]
	s_xor_b64 s[2:3], exec, s[10:11]
                                        ; implicit-def: $vgpr206_vgpr207
	s_cbranch_execz .LBB119_32
; %bb.31:
	v_div_scale_f64 v[204:205], s[10:11], v[210:211], v[210:211], v[208:209]
	v_rcp_f64_e32 v[206:207], v[204:205]
	v_div_scale_f64 v[212:213], vcc, v[208:209], v[210:211], v[208:209]
	v_fma_f64 v[214:215], -v[204:205], v[206:207], 1.0
	v_fmac_f64_e32 v[206:207], v[206:207], v[214:215]
	v_fma_f64 v[214:215], -v[204:205], v[206:207], 1.0
	v_fmac_f64_e32 v[206:207], v[206:207], v[214:215]
	v_mul_f64 v[214:215], v[212:213], v[206:207]
	v_fma_f64 v[204:205], -v[204:205], v[214:215], v[212:213]
	v_div_fmas_f64 v[204:205], v[204:205], v[206:207], v[214:215]
	v_div_fixup_f64 v[204:205], v[204:205], v[210:211], v[208:209]
	v_fmac_f64_e32 v[210:211], v[208:209], v[204:205]
	v_div_scale_f64 v[206:207], s[10:11], v[210:211], v[210:211], 1.0
	v_rcp_f64_e32 v[208:209], v[206:207]
	s_nop 0
	v_fma_f64 v[212:213], -v[206:207], v[208:209], 1.0
	v_fmac_f64_e32 v[208:209], v[208:209], v[212:213]
	v_fma_f64 v[212:213], -v[206:207], v[208:209], 1.0
	v_fmac_f64_e32 v[208:209], v[208:209], v[212:213]
	v_div_scale_f64 v[212:213], vcc, 1.0, v[210:211], 1.0
	v_mul_f64 v[214:215], v[212:213], v[208:209]
	v_fma_f64 v[206:207], -v[206:207], v[214:215], v[212:213]
	s_nop 1
	v_div_fmas_f64 v[206:207], v[206:207], v[208:209], v[214:215]
	v_div_fixup_f64 v[206:207], v[206:207], v[210:211], 1.0
	v_mul_f64 v[204:205], v[204:205], v[206:207]
	v_xor_b32_e32 v207, 0x80000000, v207
                                        ; implicit-def: $vgpr208_vgpr209
.LBB119_32:
	s_andn2_saveexec_b64 s[2:3], s[2:3]
	s_cbranch_execz .LBB119_34
; %bb.33:
	v_div_scale_f64 v[204:205], s[10:11], v[208:209], v[208:209], v[210:211]
	v_rcp_f64_e32 v[206:207], v[204:205]
	v_div_scale_f64 v[212:213], vcc, v[210:211], v[208:209], v[210:211]
	v_fma_f64 v[214:215], -v[204:205], v[206:207], 1.0
	v_fmac_f64_e32 v[206:207], v[206:207], v[214:215]
	v_fma_f64 v[214:215], -v[204:205], v[206:207], 1.0
	v_fmac_f64_e32 v[206:207], v[206:207], v[214:215]
	v_mul_f64 v[214:215], v[212:213], v[206:207]
	v_fma_f64 v[204:205], -v[204:205], v[214:215], v[212:213]
	v_div_fmas_f64 v[204:205], v[204:205], v[206:207], v[214:215]
	v_div_fixup_f64 v[206:207], v[204:205], v[208:209], v[210:211]
	v_fmac_f64_e32 v[208:209], v[210:211], v[206:207]
	v_div_scale_f64 v[204:205], s[10:11], v[208:209], v[208:209], 1.0
	v_rcp_f64_e32 v[210:211], v[204:205]
	s_nop 0
	v_fma_f64 v[212:213], -v[204:205], v[210:211], 1.0
	v_fmac_f64_e32 v[210:211], v[210:211], v[212:213]
	v_fma_f64 v[212:213], -v[204:205], v[210:211], 1.0
	v_fmac_f64_e32 v[210:211], v[210:211], v[212:213]
	v_div_scale_f64 v[212:213], vcc, 1.0, v[208:209], 1.0
	v_mul_f64 v[214:215], v[212:213], v[210:211]
	v_fma_f64 v[204:205], -v[204:205], v[214:215], v[212:213]
	s_nop 1
	v_div_fmas_f64 v[204:205], v[204:205], v[210:211], v[214:215]
	v_div_fixup_f64 v[204:205], v[204:205], v[208:209], 1.0
	v_mul_f64 v[206:207], v[206:207], -v[204:205]
.LBB119_34:
	s_or_b64 exec, exec, s[2:3]
	ds_write2_b64 v201, v[204:205], v[206:207] offset1:1
.LBB119_35:
	s_or_b64 exec, exec, s[4:5]
	s_waitcnt lgkmcnt(0)
	s_barrier
	ds_read2_b64 v[192:195], v201 offset1:1
	v_cmp_lt_u32_e32 vcc, 3, v200
	s_waitcnt lgkmcnt(0)
	scratch_store_dwordx4 off, v[192:195], off offset:688 ; 16-byte Folded Spill
	s_and_saveexec_b64 s[2:3], vcc
	s_cbranch_execz .LBB119_37
; %bb.36:
	scratch_load_dwordx4 v[210:213], off, off offset:96 ; 16-byte Folded Reload
	scratch_load_dwordx4 v[192:195], off, off offset:688 ; 16-byte Folded Reload
	s_waitcnt vmcnt(0)
	v_mul_f64 v[204:205], v[194:195], v[212:213]
	v_mul_f64 v[212:213], v[192:193], v[212:213]
	v_fma_f64 v[208:209], v[192:193], v[210:211], -v[204:205]
	v_fmac_f64_e32 v[212:213], v[194:195], v[210:211]
	scratch_load_dwordx4 v[192:195], off, off offset:80 ; 16-byte Folded Reload
	ds_read2_b64 v[204:207], v202 offset0:8 offset1:9
	s_waitcnt lgkmcnt(0)
	v_mul_f64 v[210:211], v[206:207], v[212:213]
	v_fma_f64 v[210:211], v[204:205], v[208:209], -v[210:211]
	v_mul_f64 v[204:205], v[204:205], v[212:213]
	v_fmac_f64_e32 v[204:205], v[206:207], v[208:209]
	s_waitcnt vmcnt(0)
	v_add_f64 v[192:193], v[192:193], -v[210:211]
	v_add_f64 v[194:195], v[194:195], -v[204:205]
	scratch_store_dwordx4 off, v[192:195], off offset:80 ; 16-byte Folded Spill
	scratch_load_dwordx4 v[192:195], off, off offset:64 ; 16-byte Folded Reload
	ds_read2_b64 v[204:207], v202 offset0:10 offset1:11
	s_waitcnt lgkmcnt(0)
	v_mul_f64 v[210:211], v[206:207], v[212:213]
	v_fma_f64 v[210:211], v[204:205], v[208:209], -v[210:211]
	v_mul_f64 v[204:205], v[204:205], v[212:213]
	v_fmac_f64_e32 v[204:205], v[206:207], v[208:209]
	s_waitcnt vmcnt(0)
	v_add_f64 v[192:193], v[192:193], -v[210:211]
	v_add_f64 v[194:195], v[194:195], -v[204:205]
	scratch_store_dwordx4 off, v[192:195], off offset:64 ; 16-byte Folded Spill
	;; [unrolled: 11-line block ×5, first 2 shown]
	scratch_load_dwordx4 v[192:195], off, off ; 16-byte Folded Reload
	ds_read2_b64 v[204:207], v202 offset0:18 offset1:19
	s_waitcnt lgkmcnt(0)
	v_mul_f64 v[210:211], v[206:207], v[212:213]
	v_fma_f64 v[210:211], v[204:205], v[208:209], -v[210:211]
	v_mul_f64 v[204:205], v[204:205], v[212:213]
	v_fmac_f64_e32 v[204:205], v[206:207], v[208:209]
	v_add_f64 v[198:199], v[198:199], -v[204:205]
	ds_read2_b64 v[204:207], v202 offset0:20 offset1:21
	v_add_f64 v[196:197], v[196:197], -v[210:211]
	s_waitcnt lgkmcnt(0)
	v_mul_f64 v[210:211], v[206:207], v[212:213]
	v_fma_f64 v[210:211], v[204:205], v[208:209], -v[210:211]
	v_mul_f64 v[204:205], v[204:205], v[212:213]
	v_fmac_f64_e32 v[204:205], v[206:207], v[208:209]
	s_waitcnt vmcnt(0)
	v_add_f64 v[194:195], v[194:195], -v[204:205]
	ds_read2_b64 v[204:207], v202 offset0:22 offset1:23
	v_add_f64 v[192:193], v[192:193], -v[210:211]
	scratch_store_dwordx4 off, v[192:195], off ; 16-byte Folded Spill
	s_waitcnt lgkmcnt(0)
	v_mul_f64 v[210:211], v[206:207], v[212:213]
	v_fma_f64 v[210:211], v[204:205], v[208:209], -v[210:211]
	v_mul_f64 v[204:205], v[204:205], v[212:213]
	v_fmac_f64_e32 v[204:205], v[206:207], v[208:209]
	v_add_f64 v[190:191], v[190:191], -v[204:205]
	ds_read2_b64 v[204:207], v202 offset0:24 offset1:25
	v_add_f64 v[188:189], v[188:189], -v[210:211]
	s_waitcnt lgkmcnt(0)
	v_mul_f64 v[210:211], v[206:207], v[212:213]
	v_fma_f64 v[210:211], v[204:205], v[208:209], -v[210:211]
	v_mul_f64 v[204:205], v[204:205], v[212:213]
	v_fmac_f64_e32 v[204:205], v[206:207], v[208:209]
	v_add_f64 v[186:187], v[186:187], -v[204:205]
	ds_read2_b64 v[204:207], v202 offset0:26 offset1:27
	v_add_f64 v[184:185], v[184:185], -v[210:211]
	;; [unrolled: 8-line block ×48, first 2 shown]
	s_waitcnt lgkmcnt(0)
	v_mul_f64 v[210:211], v[206:207], v[212:213]
	v_fma_f64 v[210:211], v[204:205], v[208:209], -v[210:211]
	v_mul_f64 v[204:205], v[204:205], v[212:213]
	v_fmac_f64_e32 v[204:205], v[206:207], v[208:209]
	v_add_f64 v[236:237], v[236:237], -v[210:211]
	v_add_f64 v[238:239], v[238:239], -v[204:205]
	v_mov_b64_e32 v[210:211], v[208:209]
	scratch_store_dwordx4 off, v[210:213], off offset:96 ; 16-byte Folded Spill
.LBB119_37:
	s_or_b64 exec, exec, s[2:3]
	v_cmp_eq_u32_e32 vcc, 4, v200
	s_waitcnt vmcnt(63) expcnt(7) lgkmcnt(15)
	s_barrier
	s_and_saveexec_b64 s[4:5], vcc
	s_cbranch_execz .LBB119_44
; %bb.38:
	scratch_load_dwordx4 v[192:195], off, off offset:80 ; 16-byte Folded Reload
	s_waitcnt vmcnt(0)
	ds_write2_b64 v201, v[192:193], v[194:195] offset1:1
	scratch_load_dwordx4 v[192:195], off, off offset:64 ; 16-byte Folded Reload
	s_waitcnt vmcnt(0)
	ds_write2_b64 v202, v[192:193], v[194:195] offset0:10 offset1:11
	scratch_load_dwordx4 v[192:195], off, off offset:48 ; 16-byte Folded Reload
	s_waitcnt vmcnt(0)
	ds_write2_b64 v202, v[192:193], v[194:195] offset0:12 offset1:13
	;; [unrolled: 3-line block ×4, first 2 shown]
	ds_write2_b64 v202, v[196:197], v[198:199] offset0:18 offset1:19
	scratch_load_dwordx4 v[192:195], off, off ; 16-byte Folded Reload
	s_waitcnt vmcnt(0)
	ds_write2_b64 v202, v[192:193], v[194:195] offset0:20 offset1:21
	ds_write2_b64 v202, v[188:189], v[190:191] offset0:22 offset1:23
	;; [unrolled: 1-line block ×50, first 2 shown]
	ds_read2_b64 v[208:211], v201 offset1:1
	s_waitcnt lgkmcnt(0)
	v_cmp_neq_f64_e32 vcc, 0, v[208:209]
	v_cmp_neq_f64_e64 s[2:3], 0, v[210:211]
	s_or_b64 s[2:3], vcc, s[2:3]
	s_and_b64 exec, exec, s[2:3]
	s_cbranch_execz .LBB119_44
; %bb.39:
	v_cmp_ngt_f64_e64 s[2:3], |v[208:209]|, |v[210:211]|
                                        ; implicit-def: $vgpr204_vgpr205
	s_and_saveexec_b64 s[10:11], s[2:3]
	s_xor_b64 s[2:3], exec, s[10:11]
                                        ; implicit-def: $vgpr206_vgpr207
	s_cbranch_execz .LBB119_41
; %bb.40:
	v_div_scale_f64 v[204:205], s[10:11], v[210:211], v[210:211], v[208:209]
	v_rcp_f64_e32 v[206:207], v[204:205]
	v_div_scale_f64 v[212:213], vcc, v[208:209], v[210:211], v[208:209]
	v_fma_f64 v[214:215], -v[204:205], v[206:207], 1.0
	v_fmac_f64_e32 v[206:207], v[206:207], v[214:215]
	v_fma_f64 v[214:215], -v[204:205], v[206:207], 1.0
	v_fmac_f64_e32 v[206:207], v[206:207], v[214:215]
	v_mul_f64 v[214:215], v[212:213], v[206:207]
	v_fma_f64 v[204:205], -v[204:205], v[214:215], v[212:213]
	v_div_fmas_f64 v[204:205], v[204:205], v[206:207], v[214:215]
	v_div_fixup_f64 v[204:205], v[204:205], v[210:211], v[208:209]
	v_fmac_f64_e32 v[210:211], v[208:209], v[204:205]
	v_div_scale_f64 v[206:207], s[10:11], v[210:211], v[210:211], 1.0
	v_rcp_f64_e32 v[208:209], v[206:207]
	s_nop 0
	v_fma_f64 v[212:213], -v[206:207], v[208:209], 1.0
	v_fmac_f64_e32 v[208:209], v[208:209], v[212:213]
	v_fma_f64 v[212:213], -v[206:207], v[208:209], 1.0
	v_fmac_f64_e32 v[208:209], v[208:209], v[212:213]
	v_div_scale_f64 v[212:213], vcc, 1.0, v[210:211], 1.0
	v_mul_f64 v[214:215], v[212:213], v[208:209]
	v_fma_f64 v[206:207], -v[206:207], v[214:215], v[212:213]
	s_nop 1
	v_div_fmas_f64 v[206:207], v[206:207], v[208:209], v[214:215]
	v_div_fixup_f64 v[206:207], v[206:207], v[210:211], 1.0
	v_mul_f64 v[204:205], v[204:205], v[206:207]
	v_xor_b32_e32 v207, 0x80000000, v207
                                        ; implicit-def: $vgpr208_vgpr209
.LBB119_41:
	s_andn2_saveexec_b64 s[2:3], s[2:3]
	s_cbranch_execz .LBB119_43
; %bb.42:
	v_div_scale_f64 v[204:205], s[10:11], v[208:209], v[208:209], v[210:211]
	v_rcp_f64_e32 v[206:207], v[204:205]
	v_div_scale_f64 v[212:213], vcc, v[210:211], v[208:209], v[210:211]
	v_fma_f64 v[214:215], -v[204:205], v[206:207], 1.0
	v_fmac_f64_e32 v[206:207], v[206:207], v[214:215]
	v_fma_f64 v[214:215], -v[204:205], v[206:207], 1.0
	v_fmac_f64_e32 v[206:207], v[206:207], v[214:215]
	v_mul_f64 v[214:215], v[212:213], v[206:207]
	v_fma_f64 v[204:205], -v[204:205], v[214:215], v[212:213]
	v_div_fmas_f64 v[204:205], v[204:205], v[206:207], v[214:215]
	v_div_fixup_f64 v[206:207], v[204:205], v[208:209], v[210:211]
	v_fmac_f64_e32 v[208:209], v[210:211], v[206:207]
	v_div_scale_f64 v[204:205], s[10:11], v[208:209], v[208:209], 1.0
	v_rcp_f64_e32 v[210:211], v[204:205]
	s_nop 0
	v_fma_f64 v[212:213], -v[204:205], v[210:211], 1.0
	v_fmac_f64_e32 v[210:211], v[210:211], v[212:213]
	v_fma_f64 v[212:213], -v[204:205], v[210:211], 1.0
	v_fmac_f64_e32 v[210:211], v[210:211], v[212:213]
	v_div_scale_f64 v[212:213], vcc, 1.0, v[208:209], 1.0
	v_mul_f64 v[214:215], v[212:213], v[210:211]
	v_fma_f64 v[204:205], -v[204:205], v[214:215], v[212:213]
	s_nop 1
	v_div_fmas_f64 v[204:205], v[204:205], v[210:211], v[214:215]
	v_div_fixup_f64 v[204:205], v[204:205], v[208:209], 1.0
	v_mul_f64 v[206:207], v[206:207], -v[204:205]
.LBB119_43:
	s_or_b64 exec, exec, s[2:3]
	ds_write2_b64 v201, v[204:205], v[206:207] offset1:1
.LBB119_44:
	s_or_b64 exec, exec, s[4:5]
	s_waitcnt lgkmcnt(0)
	s_barrier
	ds_read2_b64 v[192:195], v201 offset1:1
	v_cmp_lt_u32_e32 vcc, 4, v200
	s_waitcnt lgkmcnt(0)
	scratch_store_dwordx4 off, v[192:195], off offset:704 ; 16-byte Folded Spill
	s_and_saveexec_b64 s[2:3], vcc
	s_cbranch_execz .LBB119_46
; %bb.45:
	scratch_load_dwordx4 v[210:213], off, off offset:80 ; 16-byte Folded Reload
	scratch_load_dwordx4 v[192:195], off, off offset:704 ; 16-byte Folded Reload
	s_waitcnt vmcnt(0)
	v_mul_f64 v[204:205], v[194:195], v[212:213]
	v_mul_f64 v[212:213], v[192:193], v[212:213]
	v_fma_f64 v[208:209], v[192:193], v[210:211], -v[204:205]
	v_fmac_f64_e32 v[212:213], v[194:195], v[210:211]
	scratch_load_dwordx4 v[192:195], off, off offset:64 ; 16-byte Folded Reload
	ds_read2_b64 v[204:207], v202 offset0:10 offset1:11
	s_waitcnt lgkmcnt(0)
	v_mul_f64 v[210:211], v[206:207], v[212:213]
	v_fma_f64 v[210:211], v[204:205], v[208:209], -v[210:211]
	v_mul_f64 v[204:205], v[204:205], v[212:213]
	v_fmac_f64_e32 v[204:205], v[206:207], v[208:209]
	s_waitcnt vmcnt(0)
	v_add_f64 v[192:193], v[192:193], -v[210:211]
	v_add_f64 v[194:195], v[194:195], -v[204:205]
	scratch_store_dwordx4 off, v[192:195], off offset:64 ; 16-byte Folded Spill
	scratch_load_dwordx4 v[192:195], off, off offset:48 ; 16-byte Folded Reload
	ds_read2_b64 v[204:207], v202 offset0:12 offset1:13
	s_waitcnt lgkmcnt(0)
	v_mul_f64 v[210:211], v[206:207], v[212:213]
	v_fma_f64 v[210:211], v[204:205], v[208:209], -v[210:211]
	v_mul_f64 v[204:205], v[204:205], v[212:213]
	v_fmac_f64_e32 v[204:205], v[206:207], v[208:209]
	s_waitcnt vmcnt(0)
	v_add_f64 v[192:193], v[192:193], -v[210:211]
	v_add_f64 v[194:195], v[194:195], -v[204:205]
	scratch_store_dwordx4 off, v[192:195], off offset:48 ; 16-byte Folded Spill
	;; [unrolled: 11-line block ×4, first 2 shown]
	scratch_load_dwordx4 v[192:195], off, off ; 16-byte Folded Reload
	ds_read2_b64 v[204:207], v202 offset0:18 offset1:19
	s_waitcnt lgkmcnt(0)
	v_mul_f64 v[210:211], v[206:207], v[212:213]
	v_fma_f64 v[210:211], v[204:205], v[208:209], -v[210:211]
	v_mul_f64 v[204:205], v[204:205], v[212:213]
	v_fmac_f64_e32 v[204:205], v[206:207], v[208:209]
	v_add_f64 v[198:199], v[198:199], -v[204:205]
	ds_read2_b64 v[204:207], v202 offset0:20 offset1:21
	v_add_f64 v[196:197], v[196:197], -v[210:211]
	s_waitcnt lgkmcnt(0)
	v_mul_f64 v[210:211], v[206:207], v[212:213]
	v_fma_f64 v[210:211], v[204:205], v[208:209], -v[210:211]
	v_mul_f64 v[204:205], v[204:205], v[212:213]
	v_fmac_f64_e32 v[204:205], v[206:207], v[208:209]
	s_waitcnt vmcnt(0)
	v_add_f64 v[194:195], v[194:195], -v[204:205]
	ds_read2_b64 v[204:207], v202 offset0:22 offset1:23
	v_add_f64 v[192:193], v[192:193], -v[210:211]
	scratch_store_dwordx4 off, v[192:195], off ; 16-byte Folded Spill
	s_waitcnt lgkmcnt(0)
	v_mul_f64 v[210:211], v[206:207], v[212:213]
	v_fma_f64 v[210:211], v[204:205], v[208:209], -v[210:211]
	v_mul_f64 v[204:205], v[204:205], v[212:213]
	v_fmac_f64_e32 v[204:205], v[206:207], v[208:209]
	v_add_f64 v[190:191], v[190:191], -v[204:205]
	ds_read2_b64 v[204:207], v202 offset0:24 offset1:25
	v_add_f64 v[188:189], v[188:189], -v[210:211]
	s_waitcnt lgkmcnt(0)
	v_mul_f64 v[210:211], v[206:207], v[212:213]
	v_fma_f64 v[210:211], v[204:205], v[208:209], -v[210:211]
	v_mul_f64 v[204:205], v[204:205], v[212:213]
	v_fmac_f64_e32 v[204:205], v[206:207], v[208:209]
	v_add_f64 v[186:187], v[186:187], -v[204:205]
	ds_read2_b64 v[204:207], v202 offset0:26 offset1:27
	v_add_f64 v[184:185], v[184:185], -v[210:211]
	;; [unrolled: 8-line block ×48, first 2 shown]
	s_waitcnt lgkmcnt(0)
	v_mul_f64 v[210:211], v[206:207], v[212:213]
	v_fma_f64 v[210:211], v[204:205], v[208:209], -v[210:211]
	v_mul_f64 v[204:205], v[204:205], v[212:213]
	v_fmac_f64_e32 v[204:205], v[206:207], v[208:209]
	v_add_f64 v[236:237], v[236:237], -v[210:211]
	v_add_f64 v[238:239], v[238:239], -v[204:205]
	v_mov_b64_e32 v[210:211], v[208:209]
	scratch_store_dwordx4 off, v[210:213], off offset:80 ; 16-byte Folded Spill
.LBB119_46:
	s_or_b64 exec, exec, s[2:3]
	v_cmp_eq_u32_e32 vcc, 5, v200
	s_waitcnt vmcnt(63) expcnt(7) lgkmcnt(15)
	s_barrier
	s_and_saveexec_b64 s[4:5], vcc
	s_cbranch_execz .LBB119_53
; %bb.47:
	scratch_load_dwordx4 v[192:195], off, off offset:64 ; 16-byte Folded Reload
	s_waitcnt vmcnt(0)
	ds_write2_b64 v201, v[192:193], v[194:195] offset1:1
	scratch_load_dwordx4 v[192:195], off, off offset:48 ; 16-byte Folded Reload
	s_waitcnt vmcnt(0)
	ds_write2_b64 v202, v[192:193], v[194:195] offset0:12 offset1:13
	scratch_load_dwordx4 v[192:195], off, off offset:32 ; 16-byte Folded Reload
	s_waitcnt vmcnt(0)
	ds_write2_b64 v202, v[192:193], v[194:195] offset0:14 offset1:15
	;; [unrolled: 3-line block ×3, first 2 shown]
	ds_write2_b64 v202, v[196:197], v[198:199] offset0:18 offset1:19
	scratch_load_dwordx4 v[192:195], off, off ; 16-byte Folded Reload
	s_waitcnt vmcnt(0)
	ds_write2_b64 v202, v[192:193], v[194:195] offset0:20 offset1:21
	ds_write2_b64 v202, v[188:189], v[190:191] offset0:22 offset1:23
	;; [unrolled: 1-line block ×50, first 2 shown]
	ds_read2_b64 v[208:211], v201 offset1:1
	s_waitcnt lgkmcnt(0)
	v_cmp_neq_f64_e32 vcc, 0, v[208:209]
	v_cmp_neq_f64_e64 s[2:3], 0, v[210:211]
	s_or_b64 s[2:3], vcc, s[2:3]
	s_and_b64 exec, exec, s[2:3]
	s_cbranch_execz .LBB119_53
; %bb.48:
	v_cmp_ngt_f64_e64 s[2:3], |v[208:209]|, |v[210:211]|
                                        ; implicit-def: $vgpr204_vgpr205
	s_and_saveexec_b64 s[10:11], s[2:3]
	s_xor_b64 s[2:3], exec, s[10:11]
                                        ; implicit-def: $vgpr206_vgpr207
	s_cbranch_execz .LBB119_50
; %bb.49:
	v_div_scale_f64 v[204:205], s[10:11], v[210:211], v[210:211], v[208:209]
	v_rcp_f64_e32 v[206:207], v[204:205]
	v_div_scale_f64 v[212:213], vcc, v[208:209], v[210:211], v[208:209]
	v_fma_f64 v[214:215], -v[204:205], v[206:207], 1.0
	v_fmac_f64_e32 v[206:207], v[206:207], v[214:215]
	v_fma_f64 v[214:215], -v[204:205], v[206:207], 1.0
	v_fmac_f64_e32 v[206:207], v[206:207], v[214:215]
	v_mul_f64 v[214:215], v[212:213], v[206:207]
	v_fma_f64 v[204:205], -v[204:205], v[214:215], v[212:213]
	v_div_fmas_f64 v[204:205], v[204:205], v[206:207], v[214:215]
	v_div_fixup_f64 v[204:205], v[204:205], v[210:211], v[208:209]
	v_fmac_f64_e32 v[210:211], v[208:209], v[204:205]
	v_div_scale_f64 v[206:207], s[10:11], v[210:211], v[210:211], 1.0
	v_rcp_f64_e32 v[208:209], v[206:207]
	s_nop 0
	v_fma_f64 v[212:213], -v[206:207], v[208:209], 1.0
	v_fmac_f64_e32 v[208:209], v[208:209], v[212:213]
	v_fma_f64 v[212:213], -v[206:207], v[208:209], 1.0
	v_fmac_f64_e32 v[208:209], v[208:209], v[212:213]
	v_div_scale_f64 v[212:213], vcc, 1.0, v[210:211], 1.0
	v_mul_f64 v[214:215], v[212:213], v[208:209]
	v_fma_f64 v[206:207], -v[206:207], v[214:215], v[212:213]
	s_nop 1
	v_div_fmas_f64 v[206:207], v[206:207], v[208:209], v[214:215]
	v_div_fixup_f64 v[206:207], v[206:207], v[210:211], 1.0
	v_mul_f64 v[204:205], v[204:205], v[206:207]
	v_xor_b32_e32 v207, 0x80000000, v207
                                        ; implicit-def: $vgpr208_vgpr209
.LBB119_50:
	s_andn2_saveexec_b64 s[2:3], s[2:3]
	s_cbranch_execz .LBB119_52
; %bb.51:
	v_div_scale_f64 v[204:205], s[10:11], v[208:209], v[208:209], v[210:211]
	v_rcp_f64_e32 v[206:207], v[204:205]
	v_div_scale_f64 v[212:213], vcc, v[210:211], v[208:209], v[210:211]
	v_fma_f64 v[214:215], -v[204:205], v[206:207], 1.0
	v_fmac_f64_e32 v[206:207], v[206:207], v[214:215]
	v_fma_f64 v[214:215], -v[204:205], v[206:207], 1.0
	v_fmac_f64_e32 v[206:207], v[206:207], v[214:215]
	v_mul_f64 v[214:215], v[212:213], v[206:207]
	v_fma_f64 v[204:205], -v[204:205], v[214:215], v[212:213]
	v_div_fmas_f64 v[204:205], v[204:205], v[206:207], v[214:215]
	v_div_fixup_f64 v[206:207], v[204:205], v[208:209], v[210:211]
	v_fmac_f64_e32 v[208:209], v[210:211], v[206:207]
	v_div_scale_f64 v[204:205], s[10:11], v[208:209], v[208:209], 1.0
	v_rcp_f64_e32 v[210:211], v[204:205]
	s_nop 0
	v_fma_f64 v[212:213], -v[204:205], v[210:211], 1.0
	v_fmac_f64_e32 v[210:211], v[210:211], v[212:213]
	v_fma_f64 v[212:213], -v[204:205], v[210:211], 1.0
	v_fmac_f64_e32 v[210:211], v[210:211], v[212:213]
	v_div_scale_f64 v[212:213], vcc, 1.0, v[208:209], 1.0
	v_mul_f64 v[214:215], v[212:213], v[210:211]
	v_fma_f64 v[204:205], -v[204:205], v[214:215], v[212:213]
	s_nop 1
	v_div_fmas_f64 v[204:205], v[204:205], v[210:211], v[214:215]
	v_div_fixup_f64 v[204:205], v[204:205], v[208:209], 1.0
	v_mul_f64 v[206:207], v[206:207], -v[204:205]
.LBB119_52:
	s_or_b64 exec, exec, s[2:3]
	ds_write2_b64 v201, v[204:205], v[206:207] offset1:1
.LBB119_53:
	s_or_b64 exec, exec, s[4:5]
	s_waitcnt lgkmcnt(0)
	s_barrier
	ds_read2_b64 v[192:195], v201 offset1:1
	v_cmp_lt_u32_e32 vcc, 5, v200
	s_waitcnt lgkmcnt(0)
	scratch_store_dwordx4 off, v[192:195], off offset:720 ; 16-byte Folded Spill
	s_and_saveexec_b64 s[2:3], vcc
	s_cbranch_execz .LBB119_55
; %bb.54:
	scratch_load_dwordx4 v[210:213], off, off offset:64 ; 16-byte Folded Reload
	scratch_load_dwordx4 v[192:195], off, off offset:720 ; 16-byte Folded Reload
	s_waitcnt vmcnt(0)
	v_mul_f64 v[204:205], v[194:195], v[212:213]
	v_mul_f64 v[212:213], v[192:193], v[212:213]
	v_fma_f64 v[208:209], v[192:193], v[210:211], -v[204:205]
	v_fmac_f64_e32 v[212:213], v[194:195], v[210:211]
	scratch_load_dwordx4 v[192:195], off, off offset:48 ; 16-byte Folded Reload
	ds_read2_b64 v[204:207], v202 offset0:12 offset1:13
	s_waitcnt lgkmcnt(0)
	v_mul_f64 v[210:211], v[206:207], v[212:213]
	v_fma_f64 v[210:211], v[204:205], v[208:209], -v[210:211]
	v_mul_f64 v[204:205], v[204:205], v[212:213]
	v_fmac_f64_e32 v[204:205], v[206:207], v[208:209]
	s_waitcnt vmcnt(0)
	v_add_f64 v[192:193], v[192:193], -v[210:211]
	v_add_f64 v[194:195], v[194:195], -v[204:205]
	scratch_store_dwordx4 off, v[192:195], off offset:48 ; 16-byte Folded Spill
	scratch_load_dwordx4 v[192:195], off, off offset:32 ; 16-byte Folded Reload
	ds_read2_b64 v[204:207], v202 offset0:14 offset1:15
	s_waitcnt lgkmcnt(0)
	v_mul_f64 v[210:211], v[206:207], v[212:213]
	v_fma_f64 v[210:211], v[204:205], v[208:209], -v[210:211]
	v_mul_f64 v[204:205], v[204:205], v[212:213]
	v_fmac_f64_e32 v[204:205], v[206:207], v[208:209]
	s_waitcnt vmcnt(0)
	v_add_f64 v[192:193], v[192:193], -v[210:211]
	v_add_f64 v[194:195], v[194:195], -v[204:205]
	scratch_store_dwordx4 off, v[192:195], off offset:32 ; 16-byte Folded Spill
	;; [unrolled: 11-line block ×3, first 2 shown]
	scratch_load_dwordx4 v[192:195], off, off ; 16-byte Folded Reload
	ds_read2_b64 v[204:207], v202 offset0:18 offset1:19
	s_waitcnt lgkmcnt(0)
	v_mul_f64 v[210:211], v[206:207], v[212:213]
	v_fma_f64 v[210:211], v[204:205], v[208:209], -v[210:211]
	v_mul_f64 v[204:205], v[204:205], v[212:213]
	v_fmac_f64_e32 v[204:205], v[206:207], v[208:209]
	v_add_f64 v[198:199], v[198:199], -v[204:205]
	ds_read2_b64 v[204:207], v202 offset0:20 offset1:21
	v_add_f64 v[196:197], v[196:197], -v[210:211]
	s_waitcnt lgkmcnt(0)
	v_mul_f64 v[210:211], v[206:207], v[212:213]
	v_fma_f64 v[210:211], v[204:205], v[208:209], -v[210:211]
	v_mul_f64 v[204:205], v[204:205], v[212:213]
	v_fmac_f64_e32 v[204:205], v[206:207], v[208:209]
	s_waitcnt vmcnt(0)
	v_add_f64 v[194:195], v[194:195], -v[204:205]
	ds_read2_b64 v[204:207], v202 offset0:22 offset1:23
	v_add_f64 v[192:193], v[192:193], -v[210:211]
	scratch_store_dwordx4 off, v[192:195], off ; 16-byte Folded Spill
	s_waitcnt lgkmcnt(0)
	v_mul_f64 v[210:211], v[206:207], v[212:213]
	v_fma_f64 v[210:211], v[204:205], v[208:209], -v[210:211]
	v_mul_f64 v[204:205], v[204:205], v[212:213]
	v_fmac_f64_e32 v[204:205], v[206:207], v[208:209]
	v_add_f64 v[190:191], v[190:191], -v[204:205]
	ds_read2_b64 v[204:207], v202 offset0:24 offset1:25
	v_add_f64 v[188:189], v[188:189], -v[210:211]
	s_waitcnt lgkmcnt(0)
	v_mul_f64 v[210:211], v[206:207], v[212:213]
	v_fma_f64 v[210:211], v[204:205], v[208:209], -v[210:211]
	v_mul_f64 v[204:205], v[204:205], v[212:213]
	v_fmac_f64_e32 v[204:205], v[206:207], v[208:209]
	v_add_f64 v[186:187], v[186:187], -v[204:205]
	ds_read2_b64 v[204:207], v202 offset0:26 offset1:27
	v_add_f64 v[184:185], v[184:185], -v[210:211]
	;; [unrolled: 8-line block ×48, first 2 shown]
	s_waitcnt lgkmcnt(0)
	v_mul_f64 v[210:211], v[206:207], v[212:213]
	v_fma_f64 v[210:211], v[204:205], v[208:209], -v[210:211]
	v_mul_f64 v[204:205], v[204:205], v[212:213]
	v_fmac_f64_e32 v[204:205], v[206:207], v[208:209]
	v_add_f64 v[236:237], v[236:237], -v[210:211]
	v_add_f64 v[238:239], v[238:239], -v[204:205]
	v_mov_b64_e32 v[210:211], v[208:209]
	scratch_store_dwordx4 off, v[210:213], off offset:64 ; 16-byte Folded Spill
.LBB119_55:
	s_or_b64 exec, exec, s[2:3]
	v_cmp_eq_u32_e32 vcc, 6, v200
	s_waitcnt vmcnt(63) expcnt(7) lgkmcnt(15)
	s_barrier
	s_and_saveexec_b64 s[4:5], vcc
	s_cbranch_execz .LBB119_62
; %bb.56:
	scratch_load_dwordx4 v[192:195], off, off offset:48 ; 16-byte Folded Reload
	s_waitcnt vmcnt(0)
	ds_write2_b64 v201, v[192:193], v[194:195] offset1:1
	scratch_load_dwordx4 v[192:195], off, off offset:32 ; 16-byte Folded Reload
	s_waitcnt vmcnt(0)
	ds_write2_b64 v202, v[192:193], v[194:195] offset0:14 offset1:15
	scratch_load_dwordx4 v[192:195], off, off offset:16 ; 16-byte Folded Reload
	s_waitcnt vmcnt(0)
	ds_write2_b64 v202, v[192:193], v[194:195] offset0:16 offset1:17
	ds_write2_b64 v202, v[196:197], v[198:199] offset0:18 offset1:19
	scratch_load_dwordx4 v[192:195], off, off ; 16-byte Folded Reload
	s_waitcnt vmcnt(0)
	ds_write2_b64 v202, v[192:193], v[194:195] offset0:20 offset1:21
	ds_write2_b64 v202, v[188:189], v[190:191] offset0:22 offset1:23
	;; [unrolled: 1-line block ×50, first 2 shown]
	ds_read2_b64 v[208:211], v201 offset1:1
	s_waitcnt lgkmcnt(0)
	v_cmp_neq_f64_e32 vcc, 0, v[208:209]
	v_cmp_neq_f64_e64 s[2:3], 0, v[210:211]
	s_or_b64 s[2:3], vcc, s[2:3]
	s_and_b64 exec, exec, s[2:3]
	s_cbranch_execz .LBB119_62
; %bb.57:
	v_cmp_ngt_f64_e64 s[2:3], |v[208:209]|, |v[210:211]|
                                        ; implicit-def: $vgpr204_vgpr205
	s_and_saveexec_b64 s[10:11], s[2:3]
	s_xor_b64 s[2:3], exec, s[10:11]
                                        ; implicit-def: $vgpr206_vgpr207
	s_cbranch_execz .LBB119_59
; %bb.58:
	v_div_scale_f64 v[204:205], s[10:11], v[210:211], v[210:211], v[208:209]
	v_rcp_f64_e32 v[206:207], v[204:205]
	v_div_scale_f64 v[212:213], vcc, v[208:209], v[210:211], v[208:209]
	v_fma_f64 v[214:215], -v[204:205], v[206:207], 1.0
	v_fmac_f64_e32 v[206:207], v[206:207], v[214:215]
	v_fma_f64 v[214:215], -v[204:205], v[206:207], 1.0
	v_fmac_f64_e32 v[206:207], v[206:207], v[214:215]
	v_mul_f64 v[214:215], v[212:213], v[206:207]
	v_fma_f64 v[204:205], -v[204:205], v[214:215], v[212:213]
	v_div_fmas_f64 v[204:205], v[204:205], v[206:207], v[214:215]
	v_div_fixup_f64 v[204:205], v[204:205], v[210:211], v[208:209]
	v_fmac_f64_e32 v[210:211], v[208:209], v[204:205]
	v_div_scale_f64 v[206:207], s[10:11], v[210:211], v[210:211], 1.0
	v_rcp_f64_e32 v[208:209], v[206:207]
	s_nop 0
	v_fma_f64 v[212:213], -v[206:207], v[208:209], 1.0
	v_fmac_f64_e32 v[208:209], v[208:209], v[212:213]
	v_fma_f64 v[212:213], -v[206:207], v[208:209], 1.0
	v_fmac_f64_e32 v[208:209], v[208:209], v[212:213]
	v_div_scale_f64 v[212:213], vcc, 1.0, v[210:211], 1.0
	v_mul_f64 v[214:215], v[212:213], v[208:209]
	v_fma_f64 v[206:207], -v[206:207], v[214:215], v[212:213]
	s_nop 1
	v_div_fmas_f64 v[206:207], v[206:207], v[208:209], v[214:215]
	v_div_fixup_f64 v[206:207], v[206:207], v[210:211], 1.0
	v_mul_f64 v[204:205], v[204:205], v[206:207]
	v_xor_b32_e32 v207, 0x80000000, v207
                                        ; implicit-def: $vgpr208_vgpr209
.LBB119_59:
	s_andn2_saveexec_b64 s[2:3], s[2:3]
	s_cbranch_execz .LBB119_61
; %bb.60:
	v_div_scale_f64 v[204:205], s[10:11], v[208:209], v[208:209], v[210:211]
	v_rcp_f64_e32 v[206:207], v[204:205]
	v_div_scale_f64 v[212:213], vcc, v[210:211], v[208:209], v[210:211]
	v_fma_f64 v[214:215], -v[204:205], v[206:207], 1.0
	v_fmac_f64_e32 v[206:207], v[206:207], v[214:215]
	v_fma_f64 v[214:215], -v[204:205], v[206:207], 1.0
	v_fmac_f64_e32 v[206:207], v[206:207], v[214:215]
	v_mul_f64 v[214:215], v[212:213], v[206:207]
	v_fma_f64 v[204:205], -v[204:205], v[214:215], v[212:213]
	v_div_fmas_f64 v[204:205], v[204:205], v[206:207], v[214:215]
	v_div_fixup_f64 v[206:207], v[204:205], v[208:209], v[210:211]
	v_fmac_f64_e32 v[208:209], v[210:211], v[206:207]
	v_div_scale_f64 v[204:205], s[10:11], v[208:209], v[208:209], 1.0
	v_rcp_f64_e32 v[210:211], v[204:205]
	s_nop 0
	v_fma_f64 v[212:213], -v[204:205], v[210:211], 1.0
	v_fmac_f64_e32 v[210:211], v[210:211], v[212:213]
	v_fma_f64 v[212:213], -v[204:205], v[210:211], 1.0
	v_fmac_f64_e32 v[210:211], v[210:211], v[212:213]
	v_div_scale_f64 v[212:213], vcc, 1.0, v[208:209], 1.0
	v_mul_f64 v[214:215], v[212:213], v[210:211]
	v_fma_f64 v[204:205], -v[204:205], v[214:215], v[212:213]
	s_nop 1
	v_div_fmas_f64 v[204:205], v[204:205], v[210:211], v[214:215]
	v_div_fixup_f64 v[204:205], v[204:205], v[208:209], 1.0
	v_mul_f64 v[206:207], v[206:207], -v[204:205]
.LBB119_61:
	s_or_b64 exec, exec, s[2:3]
	ds_write2_b64 v201, v[204:205], v[206:207] offset1:1
.LBB119_62:
	s_or_b64 exec, exec, s[4:5]
	s_waitcnt lgkmcnt(0)
	s_barrier
	ds_read2_b64 v[192:195], v201 offset1:1
	v_cmp_lt_u32_e32 vcc, 6, v200
	s_waitcnt lgkmcnt(0)
	scratch_store_dwordx4 off, v[192:195], off offset:736 ; 16-byte Folded Spill
	s_and_saveexec_b64 s[2:3], vcc
	s_cbranch_execz .LBB119_64
; %bb.63:
	scratch_load_dwordx4 v[210:213], off, off offset:48 ; 16-byte Folded Reload
	scratch_load_dwordx4 v[192:195], off, off offset:736 ; 16-byte Folded Reload
	s_waitcnt vmcnt(0)
	v_mul_f64 v[204:205], v[194:195], v[212:213]
	v_mul_f64 v[212:213], v[192:193], v[212:213]
	v_fma_f64 v[208:209], v[192:193], v[210:211], -v[204:205]
	v_fmac_f64_e32 v[212:213], v[194:195], v[210:211]
	scratch_load_dwordx4 v[192:195], off, off offset:32 ; 16-byte Folded Reload
	ds_read2_b64 v[204:207], v202 offset0:14 offset1:15
	s_waitcnt lgkmcnt(0)
	v_mul_f64 v[210:211], v[206:207], v[212:213]
	v_fma_f64 v[210:211], v[204:205], v[208:209], -v[210:211]
	v_mul_f64 v[204:205], v[204:205], v[212:213]
	v_fmac_f64_e32 v[204:205], v[206:207], v[208:209]
	s_waitcnt vmcnt(0)
	v_add_f64 v[192:193], v[192:193], -v[210:211]
	v_add_f64 v[194:195], v[194:195], -v[204:205]
	scratch_store_dwordx4 off, v[192:195], off offset:32 ; 16-byte Folded Spill
	scratch_load_dwordx4 v[192:195], off, off offset:16 ; 16-byte Folded Reload
	ds_read2_b64 v[204:207], v202 offset0:16 offset1:17
	s_waitcnt lgkmcnt(0)
	v_mul_f64 v[210:211], v[206:207], v[212:213]
	v_fma_f64 v[210:211], v[204:205], v[208:209], -v[210:211]
	v_mul_f64 v[204:205], v[204:205], v[212:213]
	v_fmac_f64_e32 v[204:205], v[206:207], v[208:209]
	s_waitcnt vmcnt(0)
	v_add_f64 v[192:193], v[192:193], -v[210:211]
	v_add_f64 v[194:195], v[194:195], -v[204:205]
	scratch_store_dwordx4 off, v[192:195], off offset:16 ; 16-byte Folded Spill
	scratch_load_dwordx4 v[192:195], off, off ; 16-byte Folded Reload
	ds_read2_b64 v[204:207], v202 offset0:18 offset1:19
	s_waitcnt lgkmcnt(0)
	v_mul_f64 v[210:211], v[206:207], v[212:213]
	v_fma_f64 v[210:211], v[204:205], v[208:209], -v[210:211]
	v_mul_f64 v[204:205], v[204:205], v[212:213]
	v_fmac_f64_e32 v[204:205], v[206:207], v[208:209]
	v_add_f64 v[198:199], v[198:199], -v[204:205]
	ds_read2_b64 v[204:207], v202 offset0:20 offset1:21
	v_add_f64 v[196:197], v[196:197], -v[210:211]
	s_waitcnt lgkmcnt(0)
	v_mul_f64 v[210:211], v[206:207], v[212:213]
	v_fma_f64 v[210:211], v[204:205], v[208:209], -v[210:211]
	v_mul_f64 v[204:205], v[204:205], v[212:213]
	v_fmac_f64_e32 v[204:205], v[206:207], v[208:209]
	s_waitcnt vmcnt(0)
	v_add_f64 v[194:195], v[194:195], -v[204:205]
	ds_read2_b64 v[204:207], v202 offset0:22 offset1:23
	v_add_f64 v[192:193], v[192:193], -v[210:211]
	scratch_store_dwordx4 off, v[192:195], off ; 16-byte Folded Spill
	s_waitcnt lgkmcnt(0)
	v_mul_f64 v[210:211], v[206:207], v[212:213]
	v_fma_f64 v[210:211], v[204:205], v[208:209], -v[210:211]
	v_mul_f64 v[204:205], v[204:205], v[212:213]
	v_fmac_f64_e32 v[204:205], v[206:207], v[208:209]
	v_add_f64 v[190:191], v[190:191], -v[204:205]
	ds_read2_b64 v[204:207], v202 offset0:24 offset1:25
	v_add_f64 v[188:189], v[188:189], -v[210:211]
	s_waitcnt lgkmcnt(0)
	v_mul_f64 v[210:211], v[206:207], v[212:213]
	v_fma_f64 v[210:211], v[204:205], v[208:209], -v[210:211]
	v_mul_f64 v[204:205], v[204:205], v[212:213]
	v_fmac_f64_e32 v[204:205], v[206:207], v[208:209]
	v_add_f64 v[186:187], v[186:187], -v[204:205]
	ds_read2_b64 v[204:207], v202 offset0:26 offset1:27
	v_add_f64 v[184:185], v[184:185], -v[210:211]
	;; [unrolled: 8-line block ×48, first 2 shown]
	s_waitcnt lgkmcnt(0)
	v_mul_f64 v[210:211], v[206:207], v[212:213]
	v_fma_f64 v[210:211], v[204:205], v[208:209], -v[210:211]
	v_mul_f64 v[204:205], v[204:205], v[212:213]
	v_fmac_f64_e32 v[204:205], v[206:207], v[208:209]
	v_add_f64 v[236:237], v[236:237], -v[210:211]
	v_add_f64 v[238:239], v[238:239], -v[204:205]
	v_mov_b64_e32 v[210:211], v[208:209]
	scratch_store_dwordx4 off, v[210:213], off offset:48 ; 16-byte Folded Spill
.LBB119_64:
	s_or_b64 exec, exec, s[2:3]
	v_cmp_eq_u32_e32 vcc, 7, v200
	s_waitcnt vmcnt(63) expcnt(7) lgkmcnt(15)
	s_barrier
	s_and_saveexec_b64 s[4:5], vcc
	s_cbranch_execz .LBB119_71
; %bb.65:
	scratch_load_dwordx4 v[192:195], off, off offset:32 ; 16-byte Folded Reload
	s_waitcnt vmcnt(0)
	ds_write2_b64 v201, v[192:193], v[194:195] offset1:1
	scratch_load_dwordx4 v[192:195], off, off offset:16 ; 16-byte Folded Reload
	s_waitcnt vmcnt(0)
	ds_write2_b64 v202, v[192:193], v[194:195] offset0:16 offset1:17
	ds_write2_b64 v202, v[196:197], v[198:199] offset0:18 offset1:19
	scratch_load_dwordx4 v[192:195], off, off ; 16-byte Folded Reload
	s_waitcnt vmcnt(0)
	ds_write2_b64 v202, v[192:193], v[194:195] offset0:20 offset1:21
	ds_write2_b64 v202, v[188:189], v[190:191] offset0:22 offset1:23
	;; [unrolled: 1-line block ×50, first 2 shown]
	ds_read2_b64 v[208:211], v201 offset1:1
	s_waitcnt lgkmcnt(0)
	v_cmp_neq_f64_e32 vcc, 0, v[208:209]
	v_cmp_neq_f64_e64 s[2:3], 0, v[210:211]
	s_or_b64 s[2:3], vcc, s[2:3]
	s_and_b64 exec, exec, s[2:3]
	s_cbranch_execz .LBB119_71
; %bb.66:
	v_cmp_ngt_f64_e64 s[2:3], |v[208:209]|, |v[210:211]|
                                        ; implicit-def: $vgpr204_vgpr205
	s_and_saveexec_b64 s[10:11], s[2:3]
	s_xor_b64 s[2:3], exec, s[10:11]
                                        ; implicit-def: $vgpr206_vgpr207
	s_cbranch_execz .LBB119_68
; %bb.67:
	v_div_scale_f64 v[204:205], s[10:11], v[210:211], v[210:211], v[208:209]
	v_rcp_f64_e32 v[206:207], v[204:205]
	v_div_scale_f64 v[212:213], vcc, v[208:209], v[210:211], v[208:209]
	v_fma_f64 v[214:215], -v[204:205], v[206:207], 1.0
	v_fmac_f64_e32 v[206:207], v[206:207], v[214:215]
	v_fma_f64 v[214:215], -v[204:205], v[206:207], 1.0
	v_fmac_f64_e32 v[206:207], v[206:207], v[214:215]
	v_mul_f64 v[214:215], v[212:213], v[206:207]
	v_fma_f64 v[204:205], -v[204:205], v[214:215], v[212:213]
	v_div_fmas_f64 v[204:205], v[204:205], v[206:207], v[214:215]
	v_div_fixup_f64 v[204:205], v[204:205], v[210:211], v[208:209]
	v_fmac_f64_e32 v[210:211], v[208:209], v[204:205]
	v_div_scale_f64 v[206:207], s[10:11], v[210:211], v[210:211], 1.0
	v_rcp_f64_e32 v[208:209], v[206:207]
	s_nop 0
	v_fma_f64 v[212:213], -v[206:207], v[208:209], 1.0
	v_fmac_f64_e32 v[208:209], v[208:209], v[212:213]
	v_fma_f64 v[212:213], -v[206:207], v[208:209], 1.0
	v_fmac_f64_e32 v[208:209], v[208:209], v[212:213]
	v_div_scale_f64 v[212:213], vcc, 1.0, v[210:211], 1.0
	v_mul_f64 v[214:215], v[212:213], v[208:209]
	v_fma_f64 v[206:207], -v[206:207], v[214:215], v[212:213]
	s_nop 1
	v_div_fmas_f64 v[206:207], v[206:207], v[208:209], v[214:215]
	v_div_fixup_f64 v[206:207], v[206:207], v[210:211], 1.0
	v_mul_f64 v[204:205], v[204:205], v[206:207]
	v_xor_b32_e32 v207, 0x80000000, v207
                                        ; implicit-def: $vgpr208_vgpr209
.LBB119_68:
	s_andn2_saveexec_b64 s[2:3], s[2:3]
	s_cbranch_execz .LBB119_70
; %bb.69:
	v_div_scale_f64 v[204:205], s[10:11], v[208:209], v[208:209], v[210:211]
	v_rcp_f64_e32 v[206:207], v[204:205]
	v_div_scale_f64 v[212:213], vcc, v[210:211], v[208:209], v[210:211]
	v_fma_f64 v[214:215], -v[204:205], v[206:207], 1.0
	v_fmac_f64_e32 v[206:207], v[206:207], v[214:215]
	v_fma_f64 v[214:215], -v[204:205], v[206:207], 1.0
	v_fmac_f64_e32 v[206:207], v[206:207], v[214:215]
	v_mul_f64 v[214:215], v[212:213], v[206:207]
	v_fma_f64 v[204:205], -v[204:205], v[214:215], v[212:213]
	v_div_fmas_f64 v[204:205], v[204:205], v[206:207], v[214:215]
	v_div_fixup_f64 v[206:207], v[204:205], v[208:209], v[210:211]
	v_fmac_f64_e32 v[208:209], v[210:211], v[206:207]
	v_div_scale_f64 v[204:205], s[10:11], v[208:209], v[208:209], 1.0
	v_rcp_f64_e32 v[210:211], v[204:205]
	s_nop 0
	v_fma_f64 v[212:213], -v[204:205], v[210:211], 1.0
	v_fmac_f64_e32 v[210:211], v[210:211], v[212:213]
	v_fma_f64 v[212:213], -v[204:205], v[210:211], 1.0
	v_fmac_f64_e32 v[210:211], v[210:211], v[212:213]
	v_div_scale_f64 v[212:213], vcc, 1.0, v[208:209], 1.0
	v_mul_f64 v[214:215], v[212:213], v[210:211]
	v_fma_f64 v[204:205], -v[204:205], v[214:215], v[212:213]
	s_nop 1
	v_div_fmas_f64 v[204:205], v[204:205], v[210:211], v[214:215]
	v_div_fixup_f64 v[204:205], v[204:205], v[208:209], 1.0
	v_mul_f64 v[206:207], v[206:207], -v[204:205]
.LBB119_70:
	s_or_b64 exec, exec, s[2:3]
	ds_write2_b64 v201, v[204:205], v[206:207] offset1:1
.LBB119_71:
	s_or_b64 exec, exec, s[4:5]
	s_waitcnt lgkmcnt(0)
	s_barrier
	ds_read2_b64 v[192:195], v201 offset1:1
	v_cmp_lt_u32_e32 vcc, 7, v200
	s_waitcnt lgkmcnt(0)
	scratch_store_dwordx4 off, v[192:195], off offset:752 ; 16-byte Folded Spill
	s_and_saveexec_b64 s[2:3], vcc
	s_cbranch_execz .LBB119_73
; %bb.72:
	scratch_load_dwordx4 v[210:213], off, off offset:32 ; 16-byte Folded Reload
	scratch_load_dwordx4 v[192:195], off, off offset:752 ; 16-byte Folded Reload
	s_waitcnt vmcnt(0)
	v_mul_f64 v[204:205], v[194:195], v[212:213]
	v_mul_f64 v[212:213], v[192:193], v[212:213]
	v_fma_f64 v[208:209], v[192:193], v[210:211], -v[204:205]
	v_fmac_f64_e32 v[212:213], v[194:195], v[210:211]
	scratch_load_dwordx4 v[192:195], off, off offset:16 ; 16-byte Folded Reload
	ds_read2_b64 v[204:207], v202 offset0:16 offset1:17
	s_waitcnt lgkmcnt(0)
	v_mul_f64 v[210:211], v[206:207], v[212:213]
	v_fma_f64 v[210:211], v[204:205], v[208:209], -v[210:211]
	v_mul_f64 v[204:205], v[204:205], v[212:213]
	v_fmac_f64_e32 v[204:205], v[206:207], v[208:209]
	s_waitcnt vmcnt(0)
	v_add_f64 v[192:193], v[192:193], -v[210:211]
	v_add_f64 v[194:195], v[194:195], -v[204:205]
	scratch_store_dwordx4 off, v[192:195], off offset:16 ; 16-byte Folded Spill
	scratch_load_dwordx4 v[192:195], off, off ; 16-byte Folded Reload
	ds_read2_b64 v[204:207], v202 offset0:18 offset1:19
	s_waitcnt lgkmcnt(0)
	v_mul_f64 v[210:211], v[206:207], v[212:213]
	v_fma_f64 v[210:211], v[204:205], v[208:209], -v[210:211]
	v_mul_f64 v[204:205], v[204:205], v[212:213]
	v_fmac_f64_e32 v[204:205], v[206:207], v[208:209]
	v_add_f64 v[198:199], v[198:199], -v[204:205]
	ds_read2_b64 v[204:207], v202 offset0:20 offset1:21
	v_add_f64 v[196:197], v[196:197], -v[210:211]
	s_waitcnt lgkmcnt(0)
	v_mul_f64 v[210:211], v[206:207], v[212:213]
	v_fma_f64 v[210:211], v[204:205], v[208:209], -v[210:211]
	v_mul_f64 v[204:205], v[204:205], v[212:213]
	v_fmac_f64_e32 v[204:205], v[206:207], v[208:209]
	s_waitcnt vmcnt(0)
	v_add_f64 v[194:195], v[194:195], -v[204:205]
	ds_read2_b64 v[204:207], v202 offset0:22 offset1:23
	v_add_f64 v[192:193], v[192:193], -v[210:211]
	scratch_store_dwordx4 off, v[192:195], off ; 16-byte Folded Spill
	s_waitcnt lgkmcnt(0)
	v_mul_f64 v[210:211], v[206:207], v[212:213]
	v_fma_f64 v[210:211], v[204:205], v[208:209], -v[210:211]
	v_mul_f64 v[204:205], v[204:205], v[212:213]
	v_fmac_f64_e32 v[204:205], v[206:207], v[208:209]
	v_add_f64 v[190:191], v[190:191], -v[204:205]
	ds_read2_b64 v[204:207], v202 offset0:24 offset1:25
	v_add_f64 v[188:189], v[188:189], -v[210:211]
	s_waitcnt lgkmcnt(0)
	v_mul_f64 v[210:211], v[206:207], v[212:213]
	v_fma_f64 v[210:211], v[204:205], v[208:209], -v[210:211]
	v_mul_f64 v[204:205], v[204:205], v[212:213]
	v_fmac_f64_e32 v[204:205], v[206:207], v[208:209]
	v_add_f64 v[186:187], v[186:187], -v[204:205]
	ds_read2_b64 v[204:207], v202 offset0:26 offset1:27
	v_add_f64 v[184:185], v[184:185], -v[210:211]
	;; [unrolled: 8-line block ×48, first 2 shown]
	s_waitcnt lgkmcnt(0)
	v_mul_f64 v[210:211], v[206:207], v[212:213]
	v_fma_f64 v[210:211], v[204:205], v[208:209], -v[210:211]
	v_mul_f64 v[204:205], v[204:205], v[212:213]
	v_fmac_f64_e32 v[204:205], v[206:207], v[208:209]
	v_add_f64 v[236:237], v[236:237], -v[210:211]
	v_add_f64 v[238:239], v[238:239], -v[204:205]
	v_mov_b64_e32 v[210:211], v[208:209]
	scratch_store_dwordx4 off, v[210:213], off offset:32 ; 16-byte Folded Spill
.LBB119_73:
	s_or_b64 exec, exec, s[2:3]
	v_cmp_eq_u32_e32 vcc, 8, v200
	s_waitcnt vmcnt(63) expcnt(7) lgkmcnt(15)
	s_barrier
	s_and_saveexec_b64 s[4:5], vcc
	s_cbranch_execz .LBB119_80
; %bb.74:
	scratch_load_dwordx4 v[192:195], off, off offset:16 ; 16-byte Folded Reload
	s_waitcnt vmcnt(0)
	ds_write2_b64 v201, v[192:193], v[194:195] offset1:1
	ds_write2_b64 v202, v[196:197], v[198:199] offset0:18 offset1:19
	scratch_load_dwordx4 v[192:195], off, off ; 16-byte Folded Reload
	s_waitcnt vmcnt(0)
	ds_write2_b64 v202, v[192:193], v[194:195] offset0:20 offset1:21
	ds_write2_b64 v202, v[188:189], v[190:191] offset0:22 offset1:23
	;; [unrolled: 1-line block ×50, first 2 shown]
	ds_read2_b64 v[208:211], v201 offset1:1
	s_waitcnt lgkmcnt(0)
	v_cmp_neq_f64_e32 vcc, 0, v[208:209]
	v_cmp_neq_f64_e64 s[2:3], 0, v[210:211]
	s_or_b64 s[2:3], vcc, s[2:3]
	s_and_b64 exec, exec, s[2:3]
	s_cbranch_execz .LBB119_80
; %bb.75:
	v_cmp_ngt_f64_e64 s[2:3], |v[208:209]|, |v[210:211]|
                                        ; implicit-def: $vgpr204_vgpr205
	s_and_saveexec_b64 s[10:11], s[2:3]
	s_xor_b64 s[2:3], exec, s[10:11]
                                        ; implicit-def: $vgpr206_vgpr207
	s_cbranch_execz .LBB119_77
; %bb.76:
	v_div_scale_f64 v[204:205], s[10:11], v[210:211], v[210:211], v[208:209]
	v_rcp_f64_e32 v[206:207], v[204:205]
	v_div_scale_f64 v[212:213], vcc, v[208:209], v[210:211], v[208:209]
	v_fma_f64 v[214:215], -v[204:205], v[206:207], 1.0
	v_fmac_f64_e32 v[206:207], v[206:207], v[214:215]
	v_fma_f64 v[214:215], -v[204:205], v[206:207], 1.0
	v_fmac_f64_e32 v[206:207], v[206:207], v[214:215]
	v_mul_f64 v[214:215], v[212:213], v[206:207]
	v_fma_f64 v[204:205], -v[204:205], v[214:215], v[212:213]
	v_div_fmas_f64 v[204:205], v[204:205], v[206:207], v[214:215]
	v_div_fixup_f64 v[204:205], v[204:205], v[210:211], v[208:209]
	v_fmac_f64_e32 v[210:211], v[208:209], v[204:205]
	v_div_scale_f64 v[206:207], s[10:11], v[210:211], v[210:211], 1.0
	v_rcp_f64_e32 v[208:209], v[206:207]
	s_nop 0
	v_fma_f64 v[212:213], -v[206:207], v[208:209], 1.0
	v_fmac_f64_e32 v[208:209], v[208:209], v[212:213]
	v_fma_f64 v[212:213], -v[206:207], v[208:209], 1.0
	v_fmac_f64_e32 v[208:209], v[208:209], v[212:213]
	v_div_scale_f64 v[212:213], vcc, 1.0, v[210:211], 1.0
	v_mul_f64 v[214:215], v[212:213], v[208:209]
	v_fma_f64 v[206:207], -v[206:207], v[214:215], v[212:213]
	s_nop 1
	v_div_fmas_f64 v[206:207], v[206:207], v[208:209], v[214:215]
	v_div_fixup_f64 v[206:207], v[206:207], v[210:211], 1.0
	v_mul_f64 v[204:205], v[204:205], v[206:207]
	v_xor_b32_e32 v207, 0x80000000, v207
                                        ; implicit-def: $vgpr208_vgpr209
.LBB119_77:
	s_andn2_saveexec_b64 s[2:3], s[2:3]
	s_cbranch_execz .LBB119_79
; %bb.78:
	v_div_scale_f64 v[204:205], s[10:11], v[208:209], v[208:209], v[210:211]
	v_rcp_f64_e32 v[206:207], v[204:205]
	v_div_scale_f64 v[212:213], vcc, v[210:211], v[208:209], v[210:211]
	v_fma_f64 v[214:215], -v[204:205], v[206:207], 1.0
	v_fmac_f64_e32 v[206:207], v[206:207], v[214:215]
	v_fma_f64 v[214:215], -v[204:205], v[206:207], 1.0
	v_fmac_f64_e32 v[206:207], v[206:207], v[214:215]
	v_mul_f64 v[214:215], v[212:213], v[206:207]
	v_fma_f64 v[204:205], -v[204:205], v[214:215], v[212:213]
	v_div_fmas_f64 v[204:205], v[204:205], v[206:207], v[214:215]
	v_div_fixup_f64 v[206:207], v[204:205], v[208:209], v[210:211]
	v_fmac_f64_e32 v[208:209], v[210:211], v[206:207]
	v_div_scale_f64 v[204:205], s[10:11], v[208:209], v[208:209], 1.0
	v_rcp_f64_e32 v[210:211], v[204:205]
	s_nop 0
	v_fma_f64 v[212:213], -v[204:205], v[210:211], 1.0
	v_fmac_f64_e32 v[210:211], v[210:211], v[212:213]
	v_fma_f64 v[212:213], -v[204:205], v[210:211], 1.0
	v_fmac_f64_e32 v[210:211], v[210:211], v[212:213]
	v_div_scale_f64 v[212:213], vcc, 1.0, v[208:209], 1.0
	v_mul_f64 v[214:215], v[212:213], v[210:211]
	v_fma_f64 v[204:205], -v[204:205], v[214:215], v[212:213]
	s_nop 1
	v_div_fmas_f64 v[204:205], v[204:205], v[210:211], v[214:215]
	v_div_fixup_f64 v[204:205], v[204:205], v[208:209], 1.0
	v_mul_f64 v[206:207], v[206:207], -v[204:205]
.LBB119_79:
	s_or_b64 exec, exec, s[2:3]
	ds_write2_b64 v201, v[204:205], v[206:207] offset1:1
.LBB119_80:
	s_or_b64 exec, exec, s[4:5]
	s_waitcnt lgkmcnt(0)
	s_barrier
	ds_read2_b64 v[192:195], v201 offset1:1
	v_cmp_lt_u32_e32 vcc, 8, v200
	s_waitcnt lgkmcnt(0)
	scratch_store_dwordx4 off, v[192:195], off offset:768 ; 16-byte Folded Spill
	s_and_saveexec_b64 s[2:3], vcc
	s_cbranch_execz .LBB119_82
; %bb.81:
	scratch_load_dwordx4 v[210:213], off, off offset:16 ; 16-byte Folded Reload
	scratch_load_dwordx4 v[192:195], off, off offset:768 ; 16-byte Folded Reload
	s_waitcnt vmcnt(0)
	v_mul_f64 v[204:205], v[194:195], v[212:213]
	v_mul_f64 v[212:213], v[192:193], v[212:213]
	v_fma_f64 v[208:209], v[192:193], v[210:211], -v[204:205]
	v_fmac_f64_e32 v[212:213], v[194:195], v[210:211]
	scratch_load_dwordx4 v[192:195], off, off ; 16-byte Folded Reload
	ds_read2_b64 v[204:207], v202 offset0:18 offset1:19
	s_waitcnt lgkmcnt(0)
	v_mul_f64 v[210:211], v[206:207], v[212:213]
	v_fma_f64 v[210:211], v[204:205], v[208:209], -v[210:211]
	v_mul_f64 v[204:205], v[204:205], v[212:213]
	v_fmac_f64_e32 v[204:205], v[206:207], v[208:209]
	v_add_f64 v[198:199], v[198:199], -v[204:205]
	ds_read2_b64 v[204:207], v202 offset0:20 offset1:21
	v_add_f64 v[196:197], v[196:197], -v[210:211]
	s_waitcnt lgkmcnt(0)
	v_mul_f64 v[210:211], v[206:207], v[212:213]
	v_fma_f64 v[210:211], v[204:205], v[208:209], -v[210:211]
	v_mul_f64 v[204:205], v[204:205], v[212:213]
	v_fmac_f64_e32 v[204:205], v[206:207], v[208:209]
	s_waitcnt vmcnt(0)
	v_add_f64 v[194:195], v[194:195], -v[204:205]
	ds_read2_b64 v[204:207], v202 offset0:22 offset1:23
	v_add_f64 v[192:193], v[192:193], -v[210:211]
	scratch_store_dwordx4 off, v[192:195], off ; 16-byte Folded Spill
	s_waitcnt lgkmcnt(0)
	v_mul_f64 v[210:211], v[206:207], v[212:213]
	v_fma_f64 v[210:211], v[204:205], v[208:209], -v[210:211]
	v_mul_f64 v[204:205], v[204:205], v[212:213]
	v_fmac_f64_e32 v[204:205], v[206:207], v[208:209]
	v_add_f64 v[190:191], v[190:191], -v[204:205]
	ds_read2_b64 v[204:207], v202 offset0:24 offset1:25
	v_add_f64 v[188:189], v[188:189], -v[210:211]
	s_waitcnt lgkmcnt(0)
	v_mul_f64 v[210:211], v[206:207], v[212:213]
	v_fma_f64 v[210:211], v[204:205], v[208:209], -v[210:211]
	v_mul_f64 v[204:205], v[204:205], v[212:213]
	v_fmac_f64_e32 v[204:205], v[206:207], v[208:209]
	v_add_f64 v[186:187], v[186:187], -v[204:205]
	ds_read2_b64 v[204:207], v202 offset0:26 offset1:27
	v_add_f64 v[184:185], v[184:185], -v[210:211]
	s_waitcnt lgkmcnt(0)
	v_mul_f64 v[210:211], v[206:207], v[212:213]
	v_fma_f64 v[210:211], v[204:205], v[208:209], -v[210:211]
	v_mul_f64 v[204:205], v[204:205], v[212:213]
	v_fmac_f64_e32 v[204:205], v[206:207], v[208:209]
	v_add_f64 v[182:183], v[182:183], -v[204:205]
	ds_read2_b64 v[204:207], v202 offset0:28 offset1:29
	v_add_f64 v[180:181], v[180:181], -v[210:211]
	s_waitcnt lgkmcnt(0)
	v_mul_f64 v[210:211], v[206:207], v[212:213]
	v_fma_f64 v[210:211], v[204:205], v[208:209], -v[210:211]
	v_mul_f64 v[204:205], v[204:205], v[212:213]
	v_fmac_f64_e32 v[204:205], v[206:207], v[208:209]
	v_add_f64 v[178:179], v[178:179], -v[204:205]
	ds_read2_b64 v[204:207], v202 offset0:30 offset1:31
	v_add_f64 v[176:177], v[176:177], -v[210:211]
	s_waitcnt lgkmcnt(0)
	v_mul_f64 v[210:211], v[206:207], v[212:213]
	v_fma_f64 v[210:211], v[204:205], v[208:209], -v[210:211]
	v_mul_f64 v[204:205], v[204:205], v[212:213]
	v_fmac_f64_e32 v[204:205], v[206:207], v[208:209]
	v_add_f64 v[174:175], v[174:175], -v[204:205]
	ds_read2_b64 v[204:207], v202 offset0:32 offset1:33
	v_add_f64 v[172:173], v[172:173], -v[210:211]
	s_waitcnt lgkmcnt(0)
	v_mul_f64 v[210:211], v[206:207], v[212:213]
	v_fma_f64 v[210:211], v[204:205], v[208:209], -v[210:211]
	v_mul_f64 v[204:205], v[204:205], v[212:213]
	v_fmac_f64_e32 v[204:205], v[206:207], v[208:209]
	v_add_f64 v[170:171], v[170:171], -v[204:205]
	ds_read2_b64 v[204:207], v202 offset0:34 offset1:35
	v_add_f64 v[168:169], v[168:169], -v[210:211]
	s_waitcnt lgkmcnt(0)
	v_mul_f64 v[210:211], v[206:207], v[212:213]
	v_fma_f64 v[210:211], v[204:205], v[208:209], -v[210:211]
	v_mul_f64 v[204:205], v[204:205], v[212:213]
	v_fmac_f64_e32 v[204:205], v[206:207], v[208:209]
	v_add_f64 v[166:167], v[166:167], -v[204:205]
	ds_read2_b64 v[204:207], v202 offset0:36 offset1:37
	v_add_f64 v[164:165], v[164:165], -v[210:211]
	s_waitcnt lgkmcnt(0)
	v_mul_f64 v[210:211], v[206:207], v[212:213]
	v_fma_f64 v[210:211], v[204:205], v[208:209], -v[210:211]
	v_mul_f64 v[204:205], v[204:205], v[212:213]
	v_fmac_f64_e32 v[204:205], v[206:207], v[208:209]
	v_add_f64 v[162:163], v[162:163], -v[204:205]
	ds_read2_b64 v[204:207], v202 offset0:38 offset1:39
	v_add_f64 v[160:161], v[160:161], -v[210:211]
	s_waitcnt lgkmcnt(0)
	v_mul_f64 v[210:211], v[206:207], v[212:213]
	v_fma_f64 v[210:211], v[204:205], v[208:209], -v[210:211]
	v_mul_f64 v[204:205], v[204:205], v[212:213]
	v_fmac_f64_e32 v[204:205], v[206:207], v[208:209]
	v_add_f64 v[158:159], v[158:159], -v[204:205]
	ds_read2_b64 v[204:207], v202 offset0:40 offset1:41
	v_add_f64 v[156:157], v[156:157], -v[210:211]
	s_waitcnt lgkmcnt(0)
	v_mul_f64 v[210:211], v[206:207], v[212:213]
	v_fma_f64 v[210:211], v[204:205], v[208:209], -v[210:211]
	v_mul_f64 v[204:205], v[204:205], v[212:213]
	v_fmac_f64_e32 v[204:205], v[206:207], v[208:209]
	v_add_f64 v[154:155], v[154:155], -v[204:205]
	ds_read2_b64 v[204:207], v202 offset0:42 offset1:43
	v_add_f64 v[152:153], v[152:153], -v[210:211]
	s_waitcnt lgkmcnt(0)
	v_mul_f64 v[210:211], v[206:207], v[212:213]
	v_fma_f64 v[210:211], v[204:205], v[208:209], -v[210:211]
	v_mul_f64 v[204:205], v[204:205], v[212:213]
	v_fmac_f64_e32 v[204:205], v[206:207], v[208:209]
	v_add_f64 v[150:151], v[150:151], -v[204:205]
	ds_read2_b64 v[204:207], v202 offset0:44 offset1:45
	v_add_f64 v[148:149], v[148:149], -v[210:211]
	s_waitcnt lgkmcnt(0)
	v_mul_f64 v[210:211], v[206:207], v[212:213]
	v_fma_f64 v[210:211], v[204:205], v[208:209], -v[210:211]
	v_mul_f64 v[204:205], v[204:205], v[212:213]
	v_fmac_f64_e32 v[204:205], v[206:207], v[208:209]
	v_add_f64 v[146:147], v[146:147], -v[204:205]
	ds_read2_b64 v[204:207], v202 offset0:46 offset1:47
	v_add_f64 v[144:145], v[144:145], -v[210:211]
	s_waitcnt lgkmcnt(0)
	v_mul_f64 v[210:211], v[206:207], v[212:213]
	v_fma_f64 v[210:211], v[204:205], v[208:209], -v[210:211]
	v_mul_f64 v[204:205], v[204:205], v[212:213]
	v_fmac_f64_e32 v[204:205], v[206:207], v[208:209]
	v_add_f64 v[142:143], v[142:143], -v[204:205]
	ds_read2_b64 v[204:207], v202 offset0:48 offset1:49
	v_add_f64 v[140:141], v[140:141], -v[210:211]
	s_waitcnt lgkmcnt(0)
	v_mul_f64 v[210:211], v[206:207], v[212:213]
	v_fma_f64 v[210:211], v[204:205], v[208:209], -v[210:211]
	v_mul_f64 v[204:205], v[204:205], v[212:213]
	v_fmac_f64_e32 v[204:205], v[206:207], v[208:209]
	v_add_f64 v[138:139], v[138:139], -v[204:205]
	ds_read2_b64 v[204:207], v202 offset0:50 offset1:51
	v_add_f64 v[136:137], v[136:137], -v[210:211]
	s_waitcnt lgkmcnt(0)
	v_mul_f64 v[210:211], v[206:207], v[212:213]
	v_fma_f64 v[210:211], v[204:205], v[208:209], -v[210:211]
	v_mul_f64 v[204:205], v[204:205], v[212:213]
	v_fmac_f64_e32 v[204:205], v[206:207], v[208:209]
	v_add_f64 v[134:135], v[134:135], -v[204:205]
	ds_read2_b64 v[204:207], v202 offset0:52 offset1:53
	v_add_f64 v[132:133], v[132:133], -v[210:211]
	s_waitcnt lgkmcnt(0)
	v_mul_f64 v[210:211], v[206:207], v[212:213]
	v_fma_f64 v[210:211], v[204:205], v[208:209], -v[210:211]
	v_mul_f64 v[204:205], v[204:205], v[212:213]
	v_fmac_f64_e32 v[204:205], v[206:207], v[208:209]
	v_add_f64 v[130:131], v[130:131], -v[204:205]
	ds_read2_b64 v[204:207], v202 offset0:54 offset1:55
	v_add_f64 v[128:129], v[128:129], -v[210:211]
	s_waitcnt lgkmcnt(0)
	v_mul_f64 v[210:211], v[206:207], v[212:213]
	v_fma_f64 v[210:211], v[204:205], v[208:209], -v[210:211]
	v_mul_f64 v[204:205], v[204:205], v[212:213]
	v_fmac_f64_e32 v[204:205], v[206:207], v[208:209]
	v_add_f64 v[126:127], v[126:127], -v[204:205]
	ds_read2_b64 v[204:207], v202 offset0:56 offset1:57
	v_add_f64 v[124:125], v[124:125], -v[210:211]
	s_waitcnt lgkmcnt(0)
	v_mul_f64 v[210:211], v[206:207], v[212:213]
	v_fma_f64 v[210:211], v[204:205], v[208:209], -v[210:211]
	v_mul_f64 v[204:205], v[204:205], v[212:213]
	v_fmac_f64_e32 v[204:205], v[206:207], v[208:209]
	v_add_f64 v[122:123], v[122:123], -v[204:205]
	ds_read2_b64 v[204:207], v202 offset0:58 offset1:59
	v_add_f64 v[120:121], v[120:121], -v[210:211]
	s_waitcnt lgkmcnt(0)
	v_mul_f64 v[210:211], v[206:207], v[212:213]
	v_fma_f64 v[210:211], v[204:205], v[208:209], -v[210:211]
	v_mul_f64 v[204:205], v[204:205], v[212:213]
	v_fmac_f64_e32 v[204:205], v[206:207], v[208:209]
	v_add_f64 v[118:119], v[118:119], -v[204:205]
	ds_read2_b64 v[204:207], v202 offset0:60 offset1:61
	v_add_f64 v[116:117], v[116:117], -v[210:211]
	s_waitcnt lgkmcnt(0)
	v_mul_f64 v[210:211], v[206:207], v[212:213]
	v_fma_f64 v[210:211], v[204:205], v[208:209], -v[210:211]
	v_mul_f64 v[204:205], v[204:205], v[212:213]
	v_fmac_f64_e32 v[204:205], v[206:207], v[208:209]
	v_add_f64 v[114:115], v[114:115], -v[204:205]
	ds_read2_b64 v[204:207], v202 offset0:62 offset1:63
	v_add_f64 v[112:113], v[112:113], -v[210:211]
	s_waitcnt lgkmcnt(0)
	v_mul_f64 v[210:211], v[206:207], v[212:213]
	v_fma_f64 v[210:211], v[204:205], v[208:209], -v[210:211]
	v_mul_f64 v[204:205], v[204:205], v[212:213]
	v_fmac_f64_e32 v[204:205], v[206:207], v[208:209]
	v_add_f64 v[110:111], v[110:111], -v[204:205]
	ds_read2_b64 v[204:207], v202 offset0:64 offset1:65
	v_add_f64 v[108:109], v[108:109], -v[210:211]
	s_waitcnt lgkmcnt(0)
	v_mul_f64 v[210:211], v[206:207], v[212:213]
	v_fma_f64 v[210:211], v[204:205], v[208:209], -v[210:211]
	v_mul_f64 v[204:205], v[204:205], v[212:213]
	v_fmac_f64_e32 v[204:205], v[206:207], v[208:209]
	v_add_f64 v[106:107], v[106:107], -v[204:205]
	ds_read2_b64 v[204:207], v202 offset0:66 offset1:67
	v_add_f64 v[104:105], v[104:105], -v[210:211]
	s_waitcnt lgkmcnt(0)
	v_mul_f64 v[210:211], v[206:207], v[212:213]
	v_fma_f64 v[210:211], v[204:205], v[208:209], -v[210:211]
	v_mul_f64 v[204:205], v[204:205], v[212:213]
	v_fmac_f64_e32 v[204:205], v[206:207], v[208:209]
	v_add_f64 v[102:103], v[102:103], -v[204:205]
	ds_read2_b64 v[204:207], v202 offset0:68 offset1:69
	v_add_f64 v[100:101], v[100:101], -v[210:211]
	s_waitcnt lgkmcnt(0)
	v_mul_f64 v[210:211], v[206:207], v[212:213]
	v_fma_f64 v[210:211], v[204:205], v[208:209], -v[210:211]
	v_mul_f64 v[204:205], v[204:205], v[212:213]
	v_fmac_f64_e32 v[204:205], v[206:207], v[208:209]
	v_add_f64 v[98:99], v[98:99], -v[204:205]
	ds_read2_b64 v[204:207], v202 offset0:70 offset1:71
	v_add_f64 v[96:97], v[96:97], -v[210:211]
	s_waitcnt lgkmcnt(0)
	v_mul_f64 v[210:211], v[206:207], v[212:213]
	v_fma_f64 v[210:211], v[204:205], v[208:209], -v[210:211]
	v_mul_f64 v[204:205], v[204:205], v[212:213]
	v_fmac_f64_e32 v[204:205], v[206:207], v[208:209]
	v_add_f64 v[94:95], v[94:95], -v[204:205]
	ds_read2_b64 v[204:207], v202 offset0:72 offset1:73
	v_add_f64 v[92:93], v[92:93], -v[210:211]
	s_waitcnt lgkmcnt(0)
	v_mul_f64 v[210:211], v[206:207], v[212:213]
	v_fma_f64 v[210:211], v[204:205], v[208:209], -v[210:211]
	v_mul_f64 v[204:205], v[204:205], v[212:213]
	v_fmac_f64_e32 v[204:205], v[206:207], v[208:209]
	v_add_f64 v[90:91], v[90:91], -v[204:205]
	ds_read2_b64 v[204:207], v202 offset0:74 offset1:75
	v_add_f64 v[88:89], v[88:89], -v[210:211]
	s_waitcnt lgkmcnt(0)
	v_mul_f64 v[210:211], v[206:207], v[212:213]
	v_fma_f64 v[210:211], v[204:205], v[208:209], -v[210:211]
	v_mul_f64 v[204:205], v[204:205], v[212:213]
	v_fmac_f64_e32 v[204:205], v[206:207], v[208:209]
	v_add_f64 v[86:87], v[86:87], -v[204:205]
	ds_read2_b64 v[204:207], v202 offset0:76 offset1:77
	v_add_f64 v[84:85], v[84:85], -v[210:211]
	s_waitcnt lgkmcnt(0)
	v_mul_f64 v[210:211], v[206:207], v[212:213]
	v_fma_f64 v[210:211], v[204:205], v[208:209], -v[210:211]
	v_mul_f64 v[204:205], v[204:205], v[212:213]
	v_fmac_f64_e32 v[204:205], v[206:207], v[208:209]
	v_add_f64 v[82:83], v[82:83], -v[204:205]
	ds_read2_b64 v[204:207], v202 offset0:78 offset1:79
	v_add_f64 v[80:81], v[80:81], -v[210:211]
	s_waitcnt lgkmcnt(0)
	v_mul_f64 v[210:211], v[206:207], v[212:213]
	v_fma_f64 v[210:211], v[204:205], v[208:209], -v[210:211]
	v_mul_f64 v[204:205], v[204:205], v[212:213]
	v_fmac_f64_e32 v[204:205], v[206:207], v[208:209]
	v_add_f64 v[78:79], v[78:79], -v[204:205]
	ds_read2_b64 v[204:207], v202 offset0:80 offset1:81
	v_add_f64 v[76:77], v[76:77], -v[210:211]
	s_waitcnt lgkmcnt(0)
	v_mul_f64 v[210:211], v[206:207], v[212:213]
	v_fma_f64 v[210:211], v[204:205], v[208:209], -v[210:211]
	v_mul_f64 v[204:205], v[204:205], v[212:213]
	v_fmac_f64_e32 v[204:205], v[206:207], v[208:209]
	v_add_f64 v[74:75], v[74:75], -v[204:205]
	ds_read2_b64 v[204:207], v202 offset0:82 offset1:83
	v_add_f64 v[72:73], v[72:73], -v[210:211]
	s_waitcnt lgkmcnt(0)
	v_mul_f64 v[210:211], v[206:207], v[212:213]
	v_fma_f64 v[210:211], v[204:205], v[208:209], -v[210:211]
	v_mul_f64 v[204:205], v[204:205], v[212:213]
	v_fmac_f64_e32 v[204:205], v[206:207], v[208:209]
	v_add_f64 v[70:71], v[70:71], -v[204:205]
	ds_read2_b64 v[204:207], v202 offset0:84 offset1:85
	v_add_f64 v[68:69], v[68:69], -v[210:211]
	s_waitcnt lgkmcnt(0)
	v_mul_f64 v[210:211], v[206:207], v[212:213]
	v_fma_f64 v[210:211], v[204:205], v[208:209], -v[210:211]
	v_mul_f64 v[204:205], v[204:205], v[212:213]
	v_fmac_f64_e32 v[204:205], v[206:207], v[208:209]
	v_add_f64 v[66:67], v[66:67], -v[204:205]
	ds_read2_b64 v[204:207], v202 offset0:86 offset1:87
	v_add_f64 v[64:65], v[64:65], -v[210:211]
	s_waitcnt lgkmcnt(0)
	v_mul_f64 v[210:211], v[206:207], v[212:213]
	v_fma_f64 v[210:211], v[204:205], v[208:209], -v[210:211]
	v_mul_f64 v[204:205], v[204:205], v[212:213]
	v_fmac_f64_e32 v[204:205], v[206:207], v[208:209]
	v_add_f64 v[62:63], v[62:63], -v[204:205]
	ds_read2_b64 v[204:207], v202 offset0:88 offset1:89
	v_add_f64 v[60:61], v[60:61], -v[210:211]
	s_waitcnt lgkmcnt(0)
	v_mul_f64 v[210:211], v[206:207], v[212:213]
	v_fma_f64 v[210:211], v[204:205], v[208:209], -v[210:211]
	v_mul_f64 v[204:205], v[204:205], v[212:213]
	v_fmac_f64_e32 v[204:205], v[206:207], v[208:209]
	v_add_f64 v[58:59], v[58:59], -v[204:205]
	ds_read2_b64 v[204:207], v202 offset0:90 offset1:91
	v_add_f64 v[56:57], v[56:57], -v[210:211]
	s_waitcnt lgkmcnt(0)
	v_mul_f64 v[210:211], v[206:207], v[212:213]
	v_fma_f64 v[210:211], v[204:205], v[208:209], -v[210:211]
	v_mul_f64 v[204:205], v[204:205], v[212:213]
	v_fmac_f64_e32 v[204:205], v[206:207], v[208:209]
	v_add_f64 v[54:55], v[54:55], -v[204:205]
	ds_read2_b64 v[204:207], v202 offset0:92 offset1:93
	v_add_f64 v[52:53], v[52:53], -v[210:211]
	s_waitcnt lgkmcnt(0)
	v_mul_f64 v[210:211], v[206:207], v[212:213]
	v_fma_f64 v[210:211], v[204:205], v[208:209], -v[210:211]
	v_mul_f64 v[204:205], v[204:205], v[212:213]
	v_fmac_f64_e32 v[204:205], v[206:207], v[208:209]
	v_add_f64 v[50:51], v[50:51], -v[204:205]
	ds_read2_b64 v[204:207], v202 offset0:94 offset1:95
	v_add_f64 v[48:49], v[48:49], -v[210:211]
	s_waitcnt lgkmcnt(0)
	v_mul_f64 v[210:211], v[206:207], v[212:213]
	v_fma_f64 v[210:211], v[204:205], v[208:209], -v[210:211]
	v_mul_f64 v[204:205], v[204:205], v[212:213]
	v_fmac_f64_e32 v[204:205], v[206:207], v[208:209]
	v_add_f64 v[46:47], v[46:47], -v[204:205]
	ds_read2_b64 v[204:207], v202 offset0:96 offset1:97
	v_add_f64 v[44:45], v[44:45], -v[210:211]
	s_waitcnt lgkmcnt(0)
	v_mul_f64 v[210:211], v[206:207], v[212:213]
	v_fma_f64 v[210:211], v[204:205], v[208:209], -v[210:211]
	v_mul_f64 v[204:205], v[204:205], v[212:213]
	v_fmac_f64_e32 v[204:205], v[206:207], v[208:209]
	v_add_f64 v[42:43], v[42:43], -v[204:205]
	ds_read2_b64 v[204:207], v202 offset0:98 offset1:99
	v_add_f64 v[40:41], v[40:41], -v[210:211]
	s_waitcnt lgkmcnt(0)
	v_mul_f64 v[210:211], v[206:207], v[212:213]
	v_fma_f64 v[210:211], v[204:205], v[208:209], -v[210:211]
	v_mul_f64 v[204:205], v[204:205], v[212:213]
	v_fmac_f64_e32 v[204:205], v[206:207], v[208:209]
	v_add_f64 v[38:39], v[38:39], -v[204:205]
	ds_read2_b64 v[204:207], v202 offset0:100 offset1:101
	v_add_f64 v[36:37], v[36:37], -v[210:211]
	s_waitcnt lgkmcnt(0)
	v_mul_f64 v[210:211], v[206:207], v[212:213]
	v_fma_f64 v[210:211], v[204:205], v[208:209], -v[210:211]
	v_mul_f64 v[204:205], v[204:205], v[212:213]
	v_fmac_f64_e32 v[204:205], v[206:207], v[208:209]
	v_add_f64 v[34:35], v[34:35], -v[204:205]
	ds_read2_b64 v[204:207], v202 offset0:102 offset1:103
	v_add_f64 v[32:33], v[32:33], -v[210:211]
	s_waitcnt lgkmcnt(0)
	v_mul_f64 v[210:211], v[206:207], v[212:213]
	v_fma_f64 v[210:211], v[204:205], v[208:209], -v[210:211]
	v_mul_f64 v[204:205], v[204:205], v[212:213]
	v_fmac_f64_e32 v[204:205], v[206:207], v[208:209]
	v_add_f64 v[30:31], v[30:31], -v[204:205]
	ds_read2_b64 v[204:207], v202 offset0:104 offset1:105
	v_add_f64 v[28:29], v[28:29], -v[210:211]
	s_waitcnt lgkmcnt(0)
	v_mul_f64 v[210:211], v[206:207], v[212:213]
	v_fma_f64 v[210:211], v[204:205], v[208:209], -v[210:211]
	v_mul_f64 v[204:205], v[204:205], v[212:213]
	v_fmac_f64_e32 v[204:205], v[206:207], v[208:209]
	v_add_f64 v[26:27], v[26:27], -v[204:205]
	ds_read2_b64 v[204:207], v202 offset0:106 offset1:107
	v_add_f64 v[24:25], v[24:25], -v[210:211]
	s_waitcnt lgkmcnt(0)
	v_mul_f64 v[210:211], v[206:207], v[212:213]
	v_fma_f64 v[210:211], v[204:205], v[208:209], -v[210:211]
	v_mul_f64 v[204:205], v[204:205], v[212:213]
	v_fmac_f64_e32 v[204:205], v[206:207], v[208:209]
	v_add_f64 v[22:23], v[22:23], -v[204:205]
	ds_read2_b64 v[204:207], v202 offset0:108 offset1:109
	v_add_f64 v[20:21], v[20:21], -v[210:211]
	s_waitcnt lgkmcnt(0)
	v_mul_f64 v[210:211], v[206:207], v[212:213]
	v_fma_f64 v[210:211], v[204:205], v[208:209], -v[210:211]
	v_mul_f64 v[204:205], v[204:205], v[212:213]
	v_fmac_f64_e32 v[204:205], v[206:207], v[208:209]
	v_add_f64 v[18:19], v[18:19], -v[204:205]
	ds_read2_b64 v[204:207], v202 offset0:110 offset1:111
	v_add_f64 v[16:17], v[16:17], -v[210:211]
	s_waitcnt lgkmcnt(0)
	v_mul_f64 v[210:211], v[206:207], v[212:213]
	v_fma_f64 v[210:211], v[204:205], v[208:209], -v[210:211]
	v_mul_f64 v[204:205], v[204:205], v[212:213]
	v_fmac_f64_e32 v[204:205], v[206:207], v[208:209]
	v_add_f64 v[14:15], v[14:15], -v[204:205]
	ds_read2_b64 v[204:207], v202 offset0:112 offset1:113
	v_add_f64 v[12:13], v[12:13], -v[210:211]
	s_waitcnt lgkmcnt(0)
	v_mul_f64 v[210:211], v[206:207], v[212:213]
	v_fma_f64 v[210:211], v[204:205], v[208:209], -v[210:211]
	v_mul_f64 v[204:205], v[204:205], v[212:213]
	v_fmac_f64_e32 v[204:205], v[206:207], v[208:209]
	v_add_f64 v[10:11], v[10:11], -v[204:205]
	ds_read2_b64 v[204:207], v202 offset0:114 offset1:115
	v_add_f64 v[8:9], v[8:9], -v[210:211]
	s_waitcnt lgkmcnt(0)
	v_mul_f64 v[210:211], v[206:207], v[212:213]
	v_fma_f64 v[210:211], v[204:205], v[208:209], -v[210:211]
	v_mul_f64 v[204:205], v[204:205], v[212:213]
	v_fmac_f64_e32 v[204:205], v[206:207], v[208:209]
	v_add_f64 v[6:7], v[6:7], -v[204:205]
	ds_read2_b64 v[204:207], v202 offset0:116 offset1:117
	v_add_f64 v[4:5], v[4:5], -v[210:211]
	s_waitcnt lgkmcnt(0)
	v_mul_f64 v[210:211], v[206:207], v[212:213]
	v_fma_f64 v[210:211], v[204:205], v[208:209], -v[210:211]
	v_mul_f64 v[204:205], v[204:205], v[212:213]
	v_fmac_f64_e32 v[204:205], v[206:207], v[208:209]
	v_add_f64 v[2:3], v[2:3], -v[204:205]
	ds_read2_b64 v[204:207], v202 offset0:118 offset1:119
	v_add_f64 v[0:1], v[0:1], -v[210:211]
	s_waitcnt lgkmcnt(0)
	v_mul_f64 v[210:211], v[206:207], v[212:213]
	v_fma_f64 v[210:211], v[204:205], v[208:209], -v[210:211]
	v_mul_f64 v[204:205], v[204:205], v[212:213]
	v_fmac_f64_e32 v[204:205], v[206:207], v[208:209]
	v_add_f64 v[236:237], v[236:237], -v[210:211]
	v_add_f64 v[238:239], v[238:239], -v[204:205]
	v_mov_b64_e32 v[210:211], v[208:209]
	scratch_store_dwordx4 off, v[210:213], off offset:16 ; 16-byte Folded Spill
.LBB119_82:
	s_or_b64 exec, exec, s[2:3]
	v_cmp_eq_u32_e32 vcc, 9, v200
	s_waitcnt vmcnt(63) expcnt(7) lgkmcnt(15)
	s_barrier
	s_and_saveexec_b64 s[4:5], vcc
	s_cbranch_execz .LBB119_89
; %bb.83:
	scratch_load_dwordx4 v[192:195], off, off ; 16-byte Folded Reload
	ds_write2_b64 v201, v[196:197], v[198:199] offset1:1
	s_waitcnt vmcnt(0)
	ds_write2_b64 v202, v[192:193], v[194:195] offset0:20 offset1:21
	ds_write2_b64 v202, v[188:189], v[190:191] offset0:22 offset1:23
	;; [unrolled: 1-line block ×50, first 2 shown]
	ds_read2_b64 v[208:211], v201 offset1:1
	s_waitcnt lgkmcnt(0)
	v_cmp_neq_f64_e32 vcc, 0, v[208:209]
	v_cmp_neq_f64_e64 s[2:3], 0, v[210:211]
	s_or_b64 s[2:3], vcc, s[2:3]
	s_and_b64 exec, exec, s[2:3]
	s_cbranch_execz .LBB119_89
; %bb.84:
	v_cmp_ngt_f64_e64 s[2:3], |v[208:209]|, |v[210:211]|
                                        ; implicit-def: $vgpr204_vgpr205
	s_and_saveexec_b64 s[10:11], s[2:3]
	s_xor_b64 s[2:3], exec, s[10:11]
                                        ; implicit-def: $vgpr206_vgpr207
	s_cbranch_execz .LBB119_86
; %bb.85:
	v_div_scale_f64 v[204:205], s[10:11], v[210:211], v[210:211], v[208:209]
	v_rcp_f64_e32 v[206:207], v[204:205]
	v_div_scale_f64 v[212:213], vcc, v[208:209], v[210:211], v[208:209]
	v_fma_f64 v[214:215], -v[204:205], v[206:207], 1.0
	v_fmac_f64_e32 v[206:207], v[206:207], v[214:215]
	v_fma_f64 v[214:215], -v[204:205], v[206:207], 1.0
	v_fmac_f64_e32 v[206:207], v[206:207], v[214:215]
	v_mul_f64 v[214:215], v[212:213], v[206:207]
	v_fma_f64 v[204:205], -v[204:205], v[214:215], v[212:213]
	v_div_fmas_f64 v[204:205], v[204:205], v[206:207], v[214:215]
	v_div_fixup_f64 v[204:205], v[204:205], v[210:211], v[208:209]
	v_fmac_f64_e32 v[210:211], v[208:209], v[204:205]
	v_div_scale_f64 v[206:207], s[10:11], v[210:211], v[210:211], 1.0
	v_rcp_f64_e32 v[208:209], v[206:207]
	s_nop 0
	v_fma_f64 v[212:213], -v[206:207], v[208:209], 1.0
	v_fmac_f64_e32 v[208:209], v[208:209], v[212:213]
	v_fma_f64 v[212:213], -v[206:207], v[208:209], 1.0
	v_fmac_f64_e32 v[208:209], v[208:209], v[212:213]
	v_div_scale_f64 v[212:213], vcc, 1.0, v[210:211], 1.0
	v_mul_f64 v[214:215], v[212:213], v[208:209]
	v_fma_f64 v[206:207], -v[206:207], v[214:215], v[212:213]
	s_nop 1
	v_div_fmas_f64 v[206:207], v[206:207], v[208:209], v[214:215]
	v_div_fixup_f64 v[206:207], v[206:207], v[210:211], 1.0
	v_mul_f64 v[204:205], v[204:205], v[206:207]
	v_xor_b32_e32 v207, 0x80000000, v207
                                        ; implicit-def: $vgpr208_vgpr209
.LBB119_86:
	s_andn2_saveexec_b64 s[2:3], s[2:3]
	s_cbranch_execz .LBB119_88
; %bb.87:
	v_div_scale_f64 v[204:205], s[10:11], v[208:209], v[208:209], v[210:211]
	v_rcp_f64_e32 v[206:207], v[204:205]
	v_div_scale_f64 v[212:213], vcc, v[210:211], v[208:209], v[210:211]
	v_fma_f64 v[214:215], -v[204:205], v[206:207], 1.0
	v_fmac_f64_e32 v[206:207], v[206:207], v[214:215]
	v_fma_f64 v[214:215], -v[204:205], v[206:207], 1.0
	v_fmac_f64_e32 v[206:207], v[206:207], v[214:215]
	v_mul_f64 v[214:215], v[212:213], v[206:207]
	v_fma_f64 v[204:205], -v[204:205], v[214:215], v[212:213]
	v_div_fmas_f64 v[204:205], v[204:205], v[206:207], v[214:215]
	v_div_fixup_f64 v[206:207], v[204:205], v[208:209], v[210:211]
	v_fmac_f64_e32 v[208:209], v[210:211], v[206:207]
	v_div_scale_f64 v[204:205], s[10:11], v[208:209], v[208:209], 1.0
	v_rcp_f64_e32 v[210:211], v[204:205]
	s_nop 0
	v_fma_f64 v[212:213], -v[204:205], v[210:211], 1.0
	v_fmac_f64_e32 v[210:211], v[210:211], v[212:213]
	v_fma_f64 v[212:213], -v[204:205], v[210:211], 1.0
	v_fmac_f64_e32 v[210:211], v[210:211], v[212:213]
	v_div_scale_f64 v[212:213], vcc, 1.0, v[208:209], 1.0
	v_mul_f64 v[214:215], v[212:213], v[210:211]
	v_fma_f64 v[204:205], -v[204:205], v[214:215], v[212:213]
	s_nop 1
	v_div_fmas_f64 v[204:205], v[204:205], v[210:211], v[214:215]
	v_div_fixup_f64 v[204:205], v[204:205], v[208:209], 1.0
	v_mul_f64 v[206:207], v[206:207], -v[204:205]
.LBB119_88:
	s_or_b64 exec, exec, s[2:3]
	ds_write2_b64 v201, v[204:205], v[206:207] offset1:1
.LBB119_89:
	s_or_b64 exec, exec, s[4:5]
	s_waitcnt lgkmcnt(0)
	s_barrier
	ds_read2_b64 v[192:195], v201 offset1:1
	v_cmp_lt_u32_e32 vcc, 9, v200
	s_waitcnt lgkmcnt(0)
	scratch_store_dwordx4 off, v[192:195], off offset:784 ; 16-byte Folded Spill
	s_and_saveexec_b64 s[2:3], vcc
	s_cbranch_execz .LBB119_91
; %bb.90:
	scratch_load_dwordx4 v[192:195], off, off offset:784 ; 16-byte Folded Reload
	s_waitcnt vmcnt(0)
	v_mul_f64 v[204:205], v[194:195], v[198:199]
	v_mul_f64 v[198:199], v[192:193], v[198:199]
	v_fma_f64 v[208:209], v[192:193], v[196:197], -v[204:205]
	v_fmac_f64_e32 v[198:199], v[194:195], v[196:197]
	scratch_load_dwordx4 v[192:195], off, off ; 16-byte Folded Reload
	ds_read2_b64 v[204:207], v202 offset0:20 offset1:21
	s_waitcnt lgkmcnt(0)
	v_mul_f64 v[196:197], v[206:207], v[198:199]
	v_fma_f64 v[196:197], v[204:205], v[208:209], -v[196:197]
	v_mul_f64 v[204:205], v[204:205], v[198:199]
	v_fmac_f64_e32 v[204:205], v[206:207], v[208:209]
	s_waitcnt vmcnt(0)
	v_add_f64 v[194:195], v[194:195], -v[204:205]
	ds_read2_b64 v[204:207], v202 offset0:22 offset1:23
	v_add_f64 v[192:193], v[192:193], -v[196:197]
	scratch_store_dwordx4 off, v[192:195], off ; 16-byte Folded Spill
	s_waitcnt lgkmcnt(0)
	v_mul_f64 v[196:197], v[206:207], v[198:199]
	v_fma_f64 v[196:197], v[204:205], v[208:209], -v[196:197]
	v_mul_f64 v[204:205], v[204:205], v[198:199]
	v_fmac_f64_e32 v[204:205], v[206:207], v[208:209]
	v_add_f64 v[190:191], v[190:191], -v[204:205]
	ds_read2_b64 v[204:207], v202 offset0:24 offset1:25
	v_add_f64 v[188:189], v[188:189], -v[196:197]
	s_waitcnt lgkmcnt(0)
	v_mul_f64 v[196:197], v[206:207], v[198:199]
	v_fma_f64 v[196:197], v[204:205], v[208:209], -v[196:197]
	v_mul_f64 v[204:205], v[204:205], v[198:199]
	v_fmac_f64_e32 v[204:205], v[206:207], v[208:209]
	v_add_f64 v[186:187], v[186:187], -v[204:205]
	ds_read2_b64 v[204:207], v202 offset0:26 offset1:27
	v_add_f64 v[184:185], v[184:185], -v[196:197]
	;; [unrolled: 8-line block ×48, first 2 shown]
	s_waitcnt lgkmcnt(0)
	v_mul_f64 v[196:197], v[206:207], v[198:199]
	v_fma_f64 v[196:197], v[204:205], v[208:209], -v[196:197]
	v_mul_f64 v[204:205], v[204:205], v[198:199]
	v_fmac_f64_e32 v[204:205], v[206:207], v[208:209]
	v_add_f64 v[236:237], v[236:237], -v[196:197]
	v_add_f64 v[238:239], v[238:239], -v[204:205]
	v_mov_b64_e32 v[196:197], v[208:209]
.LBB119_91:
	s_or_b64 exec, exec, s[2:3]
	v_cmp_eq_u32_e32 vcc, 10, v200
	s_waitcnt vmcnt(63) expcnt(7) lgkmcnt(15)
	s_barrier
	s_and_saveexec_b64 s[4:5], vcc
	s_cbranch_execz .LBB119_98
; %bb.92:
	scratch_load_dwordx4 v[192:195], off, off ; 16-byte Folded Reload
	s_waitcnt vmcnt(0)
	ds_write2_b64 v201, v[192:193], v[194:195] offset1:1
	ds_write2_b64 v202, v[188:189], v[190:191] offset0:22 offset1:23
	ds_write2_b64 v202, v[184:185], v[186:187] offset0:24 offset1:25
	;; [unrolled: 1-line block ×49, first 2 shown]
	ds_read2_b64 v[208:211], v201 offset1:1
	s_waitcnt lgkmcnt(0)
	v_cmp_neq_f64_e32 vcc, 0, v[208:209]
	v_cmp_neq_f64_e64 s[2:3], 0, v[210:211]
	s_or_b64 s[2:3], vcc, s[2:3]
	s_and_b64 exec, exec, s[2:3]
	s_cbranch_execz .LBB119_98
; %bb.93:
	v_cmp_ngt_f64_e64 s[2:3], |v[208:209]|, |v[210:211]|
                                        ; implicit-def: $vgpr204_vgpr205
	s_and_saveexec_b64 s[10:11], s[2:3]
	s_xor_b64 s[2:3], exec, s[10:11]
                                        ; implicit-def: $vgpr206_vgpr207
	s_cbranch_execz .LBB119_95
; %bb.94:
	v_div_scale_f64 v[204:205], s[10:11], v[210:211], v[210:211], v[208:209]
	v_rcp_f64_e32 v[206:207], v[204:205]
	v_div_scale_f64 v[212:213], vcc, v[208:209], v[210:211], v[208:209]
	v_fma_f64 v[214:215], -v[204:205], v[206:207], 1.0
	v_fmac_f64_e32 v[206:207], v[206:207], v[214:215]
	v_fma_f64 v[214:215], -v[204:205], v[206:207], 1.0
	v_fmac_f64_e32 v[206:207], v[206:207], v[214:215]
	v_mul_f64 v[214:215], v[212:213], v[206:207]
	v_fma_f64 v[204:205], -v[204:205], v[214:215], v[212:213]
	v_div_fmas_f64 v[204:205], v[204:205], v[206:207], v[214:215]
	v_div_fixup_f64 v[204:205], v[204:205], v[210:211], v[208:209]
	v_fmac_f64_e32 v[210:211], v[208:209], v[204:205]
	v_div_scale_f64 v[206:207], s[10:11], v[210:211], v[210:211], 1.0
	v_rcp_f64_e32 v[208:209], v[206:207]
	s_nop 0
	v_fma_f64 v[212:213], -v[206:207], v[208:209], 1.0
	v_fmac_f64_e32 v[208:209], v[208:209], v[212:213]
	v_fma_f64 v[212:213], -v[206:207], v[208:209], 1.0
	v_fmac_f64_e32 v[208:209], v[208:209], v[212:213]
	v_div_scale_f64 v[212:213], vcc, 1.0, v[210:211], 1.0
	v_mul_f64 v[214:215], v[212:213], v[208:209]
	v_fma_f64 v[206:207], -v[206:207], v[214:215], v[212:213]
	s_nop 1
	v_div_fmas_f64 v[206:207], v[206:207], v[208:209], v[214:215]
	v_div_fixup_f64 v[206:207], v[206:207], v[210:211], 1.0
	v_mul_f64 v[204:205], v[204:205], v[206:207]
	v_xor_b32_e32 v207, 0x80000000, v207
                                        ; implicit-def: $vgpr208_vgpr209
.LBB119_95:
	s_andn2_saveexec_b64 s[2:3], s[2:3]
	s_cbranch_execz .LBB119_97
; %bb.96:
	v_div_scale_f64 v[204:205], s[10:11], v[208:209], v[208:209], v[210:211]
	v_rcp_f64_e32 v[206:207], v[204:205]
	v_div_scale_f64 v[212:213], vcc, v[210:211], v[208:209], v[210:211]
	v_fma_f64 v[214:215], -v[204:205], v[206:207], 1.0
	v_fmac_f64_e32 v[206:207], v[206:207], v[214:215]
	v_fma_f64 v[214:215], -v[204:205], v[206:207], 1.0
	v_fmac_f64_e32 v[206:207], v[206:207], v[214:215]
	v_mul_f64 v[214:215], v[212:213], v[206:207]
	v_fma_f64 v[204:205], -v[204:205], v[214:215], v[212:213]
	v_div_fmas_f64 v[204:205], v[204:205], v[206:207], v[214:215]
	v_div_fixup_f64 v[206:207], v[204:205], v[208:209], v[210:211]
	v_fmac_f64_e32 v[208:209], v[210:211], v[206:207]
	v_div_scale_f64 v[204:205], s[10:11], v[208:209], v[208:209], 1.0
	v_rcp_f64_e32 v[210:211], v[204:205]
	s_nop 0
	v_fma_f64 v[212:213], -v[204:205], v[210:211], 1.0
	v_fmac_f64_e32 v[210:211], v[210:211], v[212:213]
	v_fma_f64 v[212:213], -v[204:205], v[210:211], 1.0
	v_fmac_f64_e32 v[210:211], v[210:211], v[212:213]
	v_div_scale_f64 v[212:213], vcc, 1.0, v[208:209], 1.0
	v_mul_f64 v[214:215], v[212:213], v[210:211]
	v_fma_f64 v[204:205], -v[204:205], v[214:215], v[212:213]
	s_nop 1
	v_div_fmas_f64 v[204:205], v[204:205], v[210:211], v[214:215]
	v_div_fixup_f64 v[204:205], v[204:205], v[208:209], 1.0
	v_mul_f64 v[206:207], v[206:207], -v[204:205]
.LBB119_97:
	s_or_b64 exec, exec, s[2:3]
	ds_write2_b64 v201, v[204:205], v[206:207] offset1:1
.LBB119_98:
	s_or_b64 exec, exec, s[4:5]
	s_waitcnt lgkmcnt(0)
	s_barrier
	ds_read2_b64 v[192:195], v201 offset1:1
	v_cmp_lt_u32_e32 vcc, 10, v200
	s_waitcnt lgkmcnt(0)
	scratch_store_dwordx4 off, v[192:195], off offset:800 ; 16-byte Folded Spill
	s_and_saveexec_b64 s[2:3], vcc
	s_cbranch_execz .LBB119_100
; %bb.99:
	scratch_load_dwordx4 v[192:195], off, off ; 16-byte Folded Reload
	scratch_load_dwordx4 v[210:213], off, off offset:800 ; 16-byte Folded Reload
	s_waitcnt vmcnt(0)
	v_mul_f64 v[204:205], v[212:213], v[194:195]
	v_fma_f64 v[208:209], v[210:211], v[192:193], -v[204:205]
	ds_read2_b64 v[204:207], v202 offset0:22 offset1:23
	v_mul_f64 v[194:195], v[210:211], v[194:195]
	v_fmac_f64_e32 v[194:195], v[212:213], v[192:193]
	s_waitcnt lgkmcnt(0)
	v_mul_f64 v[192:193], v[206:207], v[194:195]
	v_fma_f64 v[192:193], v[204:205], v[208:209], -v[192:193]
	v_mul_f64 v[204:205], v[204:205], v[194:195]
	v_fmac_f64_e32 v[204:205], v[206:207], v[208:209]
	v_add_f64 v[190:191], v[190:191], -v[204:205]
	ds_read2_b64 v[204:207], v202 offset0:24 offset1:25
	v_add_f64 v[188:189], v[188:189], -v[192:193]
	s_waitcnt lgkmcnt(0)
	v_mul_f64 v[192:193], v[206:207], v[194:195]
	v_fma_f64 v[192:193], v[204:205], v[208:209], -v[192:193]
	v_mul_f64 v[204:205], v[204:205], v[194:195]
	v_fmac_f64_e32 v[204:205], v[206:207], v[208:209]
	v_add_f64 v[186:187], v[186:187], -v[204:205]
	ds_read2_b64 v[204:207], v202 offset0:26 offset1:27
	v_add_f64 v[184:185], v[184:185], -v[192:193]
	;; [unrolled: 8-line block ×48, first 2 shown]
	s_waitcnt lgkmcnt(0)
	v_mul_f64 v[192:193], v[206:207], v[194:195]
	v_fma_f64 v[192:193], v[204:205], v[208:209], -v[192:193]
	v_mul_f64 v[204:205], v[204:205], v[194:195]
	v_fmac_f64_e32 v[204:205], v[206:207], v[208:209]
	v_add_f64 v[236:237], v[236:237], -v[192:193]
	v_add_f64 v[238:239], v[238:239], -v[204:205]
	v_mov_b64_e32 v[192:193], v[208:209]
	scratch_store_dwordx4 off, v[192:195], off ; 16-byte Folded Spill
.LBB119_100:
	s_or_b64 exec, exec, s[2:3]
	v_cmp_eq_u32_e32 vcc, 11, v200
	s_waitcnt vmcnt(63) expcnt(7) lgkmcnt(15)
	s_barrier
	s_and_saveexec_b64 s[4:5], vcc
	s_cbranch_execz .LBB119_107
; %bb.101:
	ds_write2_b64 v201, v[188:189], v[190:191] offset1:1
	ds_write2_b64 v202, v[184:185], v[186:187] offset0:24 offset1:25
	ds_write2_b64 v202, v[180:181], v[182:183] offset0:26 offset1:27
	;; [unrolled: 1-line block ×29, first 2 shown]
	s_waitcnt vmcnt(42)
	ds_write2_b64 v202, v[68:69], v[70:71] offset0:82 offset1:83
	s_waitcnt vmcnt(41)
	ds_write2_b64 v202, v[64:65], v[66:67] offset0:84 offset1:85
	;; [unrolled: 2-line block ×11, first 2 shown]
	ds_write2_b64 v202, v[24:25], v[26:27] offset0:104 offset1:105
	ds_write2_b64 v202, v[20:21], v[22:23] offset0:106 offset1:107
	;; [unrolled: 1-line block ×6, first 2 shown]
	s_waitcnt vmcnt(31)
	ds_write2_b64 v202, v[0:1], v[2:3] offset0:116 offset1:117
	s_waitcnt vmcnt(28)
	ds_write2_b64 v202, v[236:237], v[238:239] offset0:118 offset1:119
	ds_read2_b64 v[208:211], v201 offset1:1
	s_waitcnt lgkmcnt(0)
	v_cmp_neq_f64_e32 vcc, 0, v[208:209]
	v_cmp_neq_f64_e64 s[2:3], 0, v[210:211]
	s_or_b64 s[2:3], vcc, s[2:3]
	s_and_b64 exec, exec, s[2:3]
	s_cbranch_execz .LBB119_107
; %bb.102:
	v_cmp_ngt_f64_e64 s[2:3], |v[208:209]|, |v[210:211]|
                                        ; implicit-def: $vgpr204_vgpr205
	s_and_saveexec_b64 s[10:11], s[2:3]
	s_xor_b64 s[2:3], exec, s[10:11]
                                        ; implicit-def: $vgpr206_vgpr207
	s_cbranch_execz .LBB119_104
; %bb.103:
	v_div_scale_f64 v[204:205], s[10:11], v[210:211], v[210:211], v[208:209]
	v_rcp_f64_e32 v[206:207], v[204:205]
	v_div_scale_f64 v[212:213], vcc, v[208:209], v[210:211], v[208:209]
	v_fma_f64 v[214:215], -v[204:205], v[206:207], 1.0
	v_fmac_f64_e32 v[206:207], v[206:207], v[214:215]
	v_fma_f64 v[214:215], -v[204:205], v[206:207], 1.0
	v_fmac_f64_e32 v[206:207], v[206:207], v[214:215]
	v_mul_f64 v[214:215], v[212:213], v[206:207]
	v_fma_f64 v[204:205], -v[204:205], v[214:215], v[212:213]
	v_div_fmas_f64 v[204:205], v[204:205], v[206:207], v[214:215]
	v_div_fixup_f64 v[204:205], v[204:205], v[210:211], v[208:209]
	v_fmac_f64_e32 v[210:211], v[208:209], v[204:205]
	v_div_scale_f64 v[206:207], s[10:11], v[210:211], v[210:211], 1.0
	v_rcp_f64_e32 v[208:209], v[206:207]
	s_nop 0
	v_fma_f64 v[212:213], -v[206:207], v[208:209], 1.0
	v_fmac_f64_e32 v[208:209], v[208:209], v[212:213]
	v_fma_f64 v[212:213], -v[206:207], v[208:209], 1.0
	v_fmac_f64_e32 v[208:209], v[208:209], v[212:213]
	v_div_scale_f64 v[212:213], vcc, 1.0, v[210:211], 1.0
	v_mul_f64 v[214:215], v[212:213], v[208:209]
	v_fma_f64 v[206:207], -v[206:207], v[214:215], v[212:213]
	s_nop 1
	v_div_fmas_f64 v[206:207], v[206:207], v[208:209], v[214:215]
	v_div_fixup_f64 v[206:207], v[206:207], v[210:211], 1.0
	v_mul_f64 v[204:205], v[204:205], v[206:207]
	v_xor_b32_e32 v207, 0x80000000, v207
                                        ; implicit-def: $vgpr208_vgpr209
.LBB119_104:
	s_andn2_saveexec_b64 s[2:3], s[2:3]
	s_cbranch_execz .LBB119_106
; %bb.105:
	v_div_scale_f64 v[204:205], s[10:11], v[208:209], v[208:209], v[210:211]
	v_rcp_f64_e32 v[206:207], v[204:205]
	v_div_scale_f64 v[212:213], vcc, v[210:211], v[208:209], v[210:211]
	v_fma_f64 v[214:215], -v[204:205], v[206:207], 1.0
	v_fmac_f64_e32 v[206:207], v[206:207], v[214:215]
	v_fma_f64 v[214:215], -v[204:205], v[206:207], 1.0
	v_fmac_f64_e32 v[206:207], v[206:207], v[214:215]
	v_mul_f64 v[214:215], v[212:213], v[206:207]
	v_fma_f64 v[204:205], -v[204:205], v[214:215], v[212:213]
	v_div_fmas_f64 v[204:205], v[204:205], v[206:207], v[214:215]
	v_div_fixup_f64 v[206:207], v[204:205], v[208:209], v[210:211]
	v_fmac_f64_e32 v[208:209], v[210:211], v[206:207]
	v_div_scale_f64 v[204:205], s[10:11], v[208:209], v[208:209], 1.0
	v_rcp_f64_e32 v[210:211], v[204:205]
	s_nop 0
	v_fma_f64 v[212:213], -v[204:205], v[210:211], 1.0
	v_fmac_f64_e32 v[210:211], v[210:211], v[212:213]
	v_fma_f64 v[212:213], -v[204:205], v[210:211], 1.0
	v_fmac_f64_e32 v[210:211], v[210:211], v[212:213]
	v_div_scale_f64 v[212:213], vcc, 1.0, v[208:209], 1.0
	v_mul_f64 v[214:215], v[212:213], v[210:211]
	v_fma_f64 v[204:205], -v[204:205], v[214:215], v[212:213]
	s_nop 1
	v_div_fmas_f64 v[204:205], v[204:205], v[210:211], v[214:215]
	v_div_fixup_f64 v[204:205], v[204:205], v[208:209], 1.0
	v_mul_f64 v[206:207], v[206:207], -v[204:205]
.LBB119_106:
	s_or_b64 exec, exec, s[2:3]
	ds_write2_b64 v201, v[204:205], v[206:207] offset1:1
.LBB119_107:
	s_or_b64 exec, exec, s[4:5]
	s_waitcnt lgkmcnt(0)
	s_barrier
	ds_read2_b64 v[192:195], v201 offset1:1
	v_cmp_lt_u32_e32 vcc, 11, v200
	s_waitcnt lgkmcnt(0)
	scratch_store_dwordx4 off, v[192:195], off offset:816 ; 16-byte Folded Spill
	s_and_saveexec_b64 s[2:3], vcc
	s_cbranch_execz .LBB119_109
; %bb.108:
	scratch_load_dwordx4 v[192:195], off, off offset:816 ; 16-byte Folded Reload
	s_waitcnt vmcnt(0)
	v_mul_f64 v[204:205], v[194:195], v[190:191]
	v_fma_f64 v[208:209], v[192:193], v[188:189], -v[204:205]
	ds_read2_b64 v[204:207], v202 offset0:24 offset1:25
	v_mul_f64 v[190:191], v[192:193], v[190:191]
	v_fmac_f64_e32 v[190:191], v[194:195], v[188:189]
	s_waitcnt lgkmcnt(0)
	v_mul_f64 v[188:189], v[206:207], v[190:191]
	v_fma_f64 v[188:189], v[204:205], v[208:209], -v[188:189]
	v_mul_f64 v[204:205], v[204:205], v[190:191]
	v_fmac_f64_e32 v[204:205], v[206:207], v[208:209]
	v_add_f64 v[186:187], v[186:187], -v[204:205]
	ds_read2_b64 v[204:207], v202 offset0:26 offset1:27
	v_add_f64 v[184:185], v[184:185], -v[188:189]
	s_waitcnt lgkmcnt(0)
	v_mul_f64 v[188:189], v[206:207], v[190:191]
	v_fma_f64 v[188:189], v[204:205], v[208:209], -v[188:189]
	v_mul_f64 v[204:205], v[204:205], v[190:191]
	v_fmac_f64_e32 v[204:205], v[206:207], v[208:209]
	v_add_f64 v[182:183], v[182:183], -v[204:205]
	ds_read2_b64 v[204:207], v202 offset0:28 offset1:29
	v_add_f64 v[180:181], v[180:181], -v[188:189]
	;; [unrolled: 8-line block ×47, first 2 shown]
	s_waitcnt lgkmcnt(0)
	v_mul_f64 v[188:189], v[206:207], v[190:191]
	v_fma_f64 v[188:189], v[204:205], v[208:209], -v[188:189]
	v_mul_f64 v[204:205], v[204:205], v[190:191]
	v_fmac_f64_e32 v[204:205], v[206:207], v[208:209]
	v_add_f64 v[236:237], v[236:237], -v[188:189]
	v_add_f64 v[238:239], v[238:239], -v[204:205]
	v_mov_b64_e32 v[188:189], v[208:209]
.LBB119_109:
	s_or_b64 exec, exec, s[2:3]
	v_cmp_eq_u32_e32 vcc, 12, v200
	s_waitcnt vmcnt(63) expcnt(7) lgkmcnt(15)
	s_barrier
	s_and_saveexec_b64 s[4:5], vcc
	s_cbranch_execz .LBB119_116
; %bb.110:
	ds_write2_b64 v201, v[184:185], v[186:187] offset1:1
	ds_write2_b64 v202, v[180:181], v[182:183] offset0:26 offset1:27
	ds_write2_b64 v202, v[176:177], v[178:179] offset0:28 offset1:29
	;; [unrolled: 1-line block ×28, first 2 shown]
	s_waitcnt vmcnt(43)
	ds_write2_b64 v202, v[68:69], v[70:71] offset0:82 offset1:83
	s_waitcnt vmcnt(42)
	ds_write2_b64 v202, v[64:65], v[66:67] offset0:84 offset1:85
	;; [unrolled: 2-line block ×11, first 2 shown]
	ds_write2_b64 v202, v[24:25], v[26:27] offset0:104 offset1:105
	ds_write2_b64 v202, v[20:21], v[22:23] offset0:106 offset1:107
	;; [unrolled: 1-line block ×6, first 2 shown]
	s_waitcnt vmcnt(32)
	ds_write2_b64 v202, v[0:1], v[2:3] offset0:116 offset1:117
	s_waitcnt vmcnt(29)
	ds_write2_b64 v202, v[236:237], v[238:239] offset0:118 offset1:119
	ds_read2_b64 v[208:211], v201 offset1:1
	s_waitcnt lgkmcnt(0)
	v_cmp_neq_f64_e32 vcc, 0, v[208:209]
	v_cmp_neq_f64_e64 s[2:3], 0, v[210:211]
	s_or_b64 s[2:3], vcc, s[2:3]
	s_and_b64 exec, exec, s[2:3]
	s_cbranch_execz .LBB119_116
; %bb.111:
	v_cmp_ngt_f64_e64 s[2:3], |v[208:209]|, |v[210:211]|
                                        ; implicit-def: $vgpr204_vgpr205
	s_and_saveexec_b64 s[10:11], s[2:3]
	s_xor_b64 s[2:3], exec, s[10:11]
                                        ; implicit-def: $vgpr206_vgpr207
	s_cbranch_execz .LBB119_113
; %bb.112:
	v_div_scale_f64 v[204:205], s[10:11], v[210:211], v[210:211], v[208:209]
	v_rcp_f64_e32 v[206:207], v[204:205]
	v_div_scale_f64 v[212:213], vcc, v[208:209], v[210:211], v[208:209]
	v_fma_f64 v[214:215], -v[204:205], v[206:207], 1.0
	v_fmac_f64_e32 v[206:207], v[206:207], v[214:215]
	v_fma_f64 v[214:215], -v[204:205], v[206:207], 1.0
	v_fmac_f64_e32 v[206:207], v[206:207], v[214:215]
	v_mul_f64 v[214:215], v[212:213], v[206:207]
	v_fma_f64 v[204:205], -v[204:205], v[214:215], v[212:213]
	v_div_fmas_f64 v[204:205], v[204:205], v[206:207], v[214:215]
	v_div_fixup_f64 v[204:205], v[204:205], v[210:211], v[208:209]
	v_fmac_f64_e32 v[210:211], v[208:209], v[204:205]
	v_div_scale_f64 v[206:207], s[10:11], v[210:211], v[210:211], 1.0
	v_rcp_f64_e32 v[208:209], v[206:207]
	s_nop 0
	v_fma_f64 v[212:213], -v[206:207], v[208:209], 1.0
	v_fmac_f64_e32 v[208:209], v[208:209], v[212:213]
	v_fma_f64 v[212:213], -v[206:207], v[208:209], 1.0
	v_fmac_f64_e32 v[208:209], v[208:209], v[212:213]
	v_div_scale_f64 v[212:213], vcc, 1.0, v[210:211], 1.0
	v_mul_f64 v[214:215], v[212:213], v[208:209]
	v_fma_f64 v[206:207], -v[206:207], v[214:215], v[212:213]
	s_nop 1
	v_div_fmas_f64 v[206:207], v[206:207], v[208:209], v[214:215]
	v_div_fixup_f64 v[206:207], v[206:207], v[210:211], 1.0
	v_mul_f64 v[204:205], v[204:205], v[206:207]
	v_xor_b32_e32 v207, 0x80000000, v207
                                        ; implicit-def: $vgpr208_vgpr209
.LBB119_113:
	s_andn2_saveexec_b64 s[2:3], s[2:3]
	s_cbranch_execz .LBB119_115
; %bb.114:
	v_div_scale_f64 v[204:205], s[10:11], v[208:209], v[208:209], v[210:211]
	v_rcp_f64_e32 v[206:207], v[204:205]
	v_div_scale_f64 v[212:213], vcc, v[210:211], v[208:209], v[210:211]
	v_fma_f64 v[214:215], -v[204:205], v[206:207], 1.0
	v_fmac_f64_e32 v[206:207], v[206:207], v[214:215]
	v_fma_f64 v[214:215], -v[204:205], v[206:207], 1.0
	v_fmac_f64_e32 v[206:207], v[206:207], v[214:215]
	v_mul_f64 v[214:215], v[212:213], v[206:207]
	v_fma_f64 v[204:205], -v[204:205], v[214:215], v[212:213]
	v_div_fmas_f64 v[204:205], v[204:205], v[206:207], v[214:215]
	v_div_fixup_f64 v[206:207], v[204:205], v[208:209], v[210:211]
	v_fmac_f64_e32 v[208:209], v[210:211], v[206:207]
	v_div_scale_f64 v[204:205], s[10:11], v[208:209], v[208:209], 1.0
	v_rcp_f64_e32 v[210:211], v[204:205]
	s_nop 0
	v_fma_f64 v[212:213], -v[204:205], v[210:211], 1.0
	v_fmac_f64_e32 v[210:211], v[210:211], v[212:213]
	v_fma_f64 v[212:213], -v[204:205], v[210:211], 1.0
	v_fmac_f64_e32 v[210:211], v[210:211], v[212:213]
	v_div_scale_f64 v[212:213], vcc, 1.0, v[208:209], 1.0
	v_mul_f64 v[214:215], v[212:213], v[210:211]
	v_fma_f64 v[204:205], -v[204:205], v[214:215], v[212:213]
	s_nop 1
	v_div_fmas_f64 v[204:205], v[204:205], v[210:211], v[214:215]
	v_div_fixup_f64 v[204:205], v[204:205], v[208:209], 1.0
	v_mul_f64 v[206:207], v[206:207], -v[204:205]
.LBB119_115:
	s_or_b64 exec, exec, s[2:3]
	ds_write2_b64 v201, v[204:205], v[206:207] offset1:1
.LBB119_116:
	s_or_b64 exec, exec, s[4:5]
	s_waitcnt lgkmcnt(0)
	s_barrier
	ds_read2_b64 v[192:195], v201 offset1:1
	v_cmp_lt_u32_e32 vcc, 12, v200
	s_waitcnt lgkmcnt(0)
	scratch_store_dwordx4 off, v[192:195], off offset:832 ; 16-byte Folded Spill
	s_and_saveexec_b64 s[2:3], vcc
	s_cbranch_execz .LBB119_118
; %bb.117:
	scratch_load_dwordx4 v[192:195], off, off offset:832 ; 16-byte Folded Reload
	s_waitcnt vmcnt(0)
	v_mul_f64 v[204:205], v[194:195], v[186:187]
	v_fma_f64 v[208:209], v[192:193], v[184:185], -v[204:205]
	ds_read2_b64 v[204:207], v202 offset0:26 offset1:27
	v_mul_f64 v[186:187], v[192:193], v[186:187]
	v_fmac_f64_e32 v[186:187], v[194:195], v[184:185]
	s_waitcnt lgkmcnt(0)
	v_mul_f64 v[184:185], v[206:207], v[186:187]
	v_fma_f64 v[184:185], v[204:205], v[208:209], -v[184:185]
	v_mul_f64 v[204:205], v[204:205], v[186:187]
	v_fmac_f64_e32 v[204:205], v[206:207], v[208:209]
	v_add_f64 v[182:183], v[182:183], -v[204:205]
	ds_read2_b64 v[204:207], v202 offset0:28 offset1:29
	v_add_f64 v[180:181], v[180:181], -v[184:185]
	s_waitcnt lgkmcnt(0)
	v_mul_f64 v[184:185], v[206:207], v[186:187]
	v_fma_f64 v[184:185], v[204:205], v[208:209], -v[184:185]
	v_mul_f64 v[204:205], v[204:205], v[186:187]
	v_fmac_f64_e32 v[204:205], v[206:207], v[208:209]
	v_add_f64 v[178:179], v[178:179], -v[204:205]
	ds_read2_b64 v[204:207], v202 offset0:30 offset1:31
	v_add_f64 v[176:177], v[176:177], -v[184:185]
	;; [unrolled: 8-line block ×46, first 2 shown]
	s_waitcnt lgkmcnt(0)
	v_mul_f64 v[184:185], v[206:207], v[186:187]
	v_fma_f64 v[184:185], v[204:205], v[208:209], -v[184:185]
	v_mul_f64 v[204:205], v[204:205], v[186:187]
	v_fmac_f64_e32 v[204:205], v[206:207], v[208:209]
	v_add_f64 v[236:237], v[236:237], -v[184:185]
	v_add_f64 v[238:239], v[238:239], -v[204:205]
	v_mov_b64_e32 v[184:185], v[208:209]
.LBB119_118:
	s_or_b64 exec, exec, s[2:3]
	v_cmp_eq_u32_e32 vcc, 13, v200
	s_waitcnt vmcnt(63) expcnt(7) lgkmcnt(15)
	s_barrier
	s_and_saveexec_b64 s[4:5], vcc
	s_cbranch_execz .LBB119_125
; %bb.119:
	ds_write2_b64 v201, v[180:181], v[182:183] offset1:1
	ds_write2_b64 v202, v[176:177], v[178:179] offset0:28 offset1:29
	ds_write2_b64 v202, v[172:173], v[174:175] offset0:30 offset1:31
	;; [unrolled: 1-line block ×27, first 2 shown]
	s_waitcnt vmcnt(44)
	ds_write2_b64 v202, v[68:69], v[70:71] offset0:82 offset1:83
	s_waitcnt vmcnt(43)
	ds_write2_b64 v202, v[64:65], v[66:67] offset0:84 offset1:85
	;; [unrolled: 2-line block ×11, first 2 shown]
	ds_write2_b64 v202, v[24:25], v[26:27] offset0:104 offset1:105
	ds_write2_b64 v202, v[20:21], v[22:23] offset0:106 offset1:107
	;; [unrolled: 1-line block ×6, first 2 shown]
	s_waitcnt vmcnt(33)
	ds_write2_b64 v202, v[0:1], v[2:3] offset0:116 offset1:117
	s_waitcnt vmcnt(30)
	ds_write2_b64 v202, v[236:237], v[238:239] offset0:118 offset1:119
	ds_read2_b64 v[208:211], v201 offset1:1
	s_waitcnt lgkmcnt(0)
	v_cmp_neq_f64_e32 vcc, 0, v[208:209]
	v_cmp_neq_f64_e64 s[2:3], 0, v[210:211]
	s_or_b64 s[2:3], vcc, s[2:3]
	s_and_b64 exec, exec, s[2:3]
	s_cbranch_execz .LBB119_125
; %bb.120:
	v_cmp_ngt_f64_e64 s[2:3], |v[208:209]|, |v[210:211]|
                                        ; implicit-def: $vgpr204_vgpr205
	s_and_saveexec_b64 s[10:11], s[2:3]
	s_xor_b64 s[2:3], exec, s[10:11]
                                        ; implicit-def: $vgpr206_vgpr207
	s_cbranch_execz .LBB119_122
; %bb.121:
	v_div_scale_f64 v[204:205], s[10:11], v[210:211], v[210:211], v[208:209]
	v_rcp_f64_e32 v[206:207], v[204:205]
	v_div_scale_f64 v[212:213], vcc, v[208:209], v[210:211], v[208:209]
	v_fma_f64 v[214:215], -v[204:205], v[206:207], 1.0
	v_fmac_f64_e32 v[206:207], v[206:207], v[214:215]
	v_fma_f64 v[214:215], -v[204:205], v[206:207], 1.0
	v_fmac_f64_e32 v[206:207], v[206:207], v[214:215]
	v_mul_f64 v[214:215], v[212:213], v[206:207]
	v_fma_f64 v[204:205], -v[204:205], v[214:215], v[212:213]
	v_div_fmas_f64 v[204:205], v[204:205], v[206:207], v[214:215]
	v_div_fixup_f64 v[204:205], v[204:205], v[210:211], v[208:209]
	v_fmac_f64_e32 v[210:211], v[208:209], v[204:205]
	v_div_scale_f64 v[206:207], s[10:11], v[210:211], v[210:211], 1.0
	v_rcp_f64_e32 v[208:209], v[206:207]
	s_nop 0
	v_fma_f64 v[212:213], -v[206:207], v[208:209], 1.0
	v_fmac_f64_e32 v[208:209], v[208:209], v[212:213]
	v_fma_f64 v[212:213], -v[206:207], v[208:209], 1.0
	v_fmac_f64_e32 v[208:209], v[208:209], v[212:213]
	v_div_scale_f64 v[212:213], vcc, 1.0, v[210:211], 1.0
	v_mul_f64 v[214:215], v[212:213], v[208:209]
	v_fma_f64 v[206:207], -v[206:207], v[214:215], v[212:213]
	s_nop 1
	v_div_fmas_f64 v[206:207], v[206:207], v[208:209], v[214:215]
	v_div_fixup_f64 v[206:207], v[206:207], v[210:211], 1.0
	v_mul_f64 v[204:205], v[204:205], v[206:207]
	v_xor_b32_e32 v207, 0x80000000, v207
                                        ; implicit-def: $vgpr208_vgpr209
.LBB119_122:
	s_andn2_saveexec_b64 s[2:3], s[2:3]
	s_cbranch_execz .LBB119_124
; %bb.123:
	v_div_scale_f64 v[204:205], s[10:11], v[208:209], v[208:209], v[210:211]
	v_rcp_f64_e32 v[206:207], v[204:205]
	v_div_scale_f64 v[212:213], vcc, v[210:211], v[208:209], v[210:211]
	v_fma_f64 v[214:215], -v[204:205], v[206:207], 1.0
	v_fmac_f64_e32 v[206:207], v[206:207], v[214:215]
	v_fma_f64 v[214:215], -v[204:205], v[206:207], 1.0
	v_fmac_f64_e32 v[206:207], v[206:207], v[214:215]
	v_mul_f64 v[214:215], v[212:213], v[206:207]
	v_fma_f64 v[204:205], -v[204:205], v[214:215], v[212:213]
	v_div_fmas_f64 v[204:205], v[204:205], v[206:207], v[214:215]
	v_div_fixup_f64 v[206:207], v[204:205], v[208:209], v[210:211]
	v_fmac_f64_e32 v[208:209], v[210:211], v[206:207]
	v_div_scale_f64 v[204:205], s[10:11], v[208:209], v[208:209], 1.0
	v_rcp_f64_e32 v[210:211], v[204:205]
	s_nop 0
	v_fma_f64 v[212:213], -v[204:205], v[210:211], 1.0
	v_fmac_f64_e32 v[210:211], v[210:211], v[212:213]
	v_fma_f64 v[212:213], -v[204:205], v[210:211], 1.0
	v_fmac_f64_e32 v[210:211], v[210:211], v[212:213]
	v_div_scale_f64 v[212:213], vcc, 1.0, v[208:209], 1.0
	v_mul_f64 v[214:215], v[212:213], v[210:211]
	v_fma_f64 v[204:205], -v[204:205], v[214:215], v[212:213]
	s_nop 1
	v_div_fmas_f64 v[204:205], v[204:205], v[210:211], v[214:215]
	v_div_fixup_f64 v[204:205], v[204:205], v[208:209], 1.0
	v_mul_f64 v[206:207], v[206:207], -v[204:205]
.LBB119_124:
	s_or_b64 exec, exec, s[2:3]
	ds_write2_b64 v201, v[204:205], v[206:207] offset1:1
.LBB119_125:
	s_or_b64 exec, exec, s[4:5]
	s_waitcnt lgkmcnt(0)
	s_barrier
	ds_read2_b64 v[192:195], v201 offset1:1
	v_cmp_lt_u32_e32 vcc, 13, v200
	s_waitcnt lgkmcnt(0)
	scratch_store_dwordx4 off, v[192:195], off offset:848 ; 16-byte Folded Spill
	s_and_saveexec_b64 s[2:3], vcc
	s_cbranch_execz .LBB119_127
; %bb.126:
	scratch_load_dwordx4 v[192:195], off, off offset:848 ; 16-byte Folded Reload
	s_waitcnt vmcnt(0)
	v_mul_f64 v[204:205], v[194:195], v[182:183]
	v_fma_f64 v[208:209], v[192:193], v[180:181], -v[204:205]
	ds_read2_b64 v[204:207], v202 offset0:28 offset1:29
	v_mul_f64 v[182:183], v[192:193], v[182:183]
	v_fmac_f64_e32 v[182:183], v[194:195], v[180:181]
	s_waitcnt lgkmcnt(0)
	v_mul_f64 v[180:181], v[206:207], v[182:183]
	v_fma_f64 v[180:181], v[204:205], v[208:209], -v[180:181]
	v_mul_f64 v[204:205], v[204:205], v[182:183]
	v_fmac_f64_e32 v[204:205], v[206:207], v[208:209]
	v_add_f64 v[178:179], v[178:179], -v[204:205]
	ds_read2_b64 v[204:207], v202 offset0:30 offset1:31
	v_add_f64 v[176:177], v[176:177], -v[180:181]
	s_waitcnt lgkmcnt(0)
	v_mul_f64 v[180:181], v[206:207], v[182:183]
	v_fma_f64 v[180:181], v[204:205], v[208:209], -v[180:181]
	v_mul_f64 v[204:205], v[204:205], v[182:183]
	v_fmac_f64_e32 v[204:205], v[206:207], v[208:209]
	v_add_f64 v[174:175], v[174:175], -v[204:205]
	ds_read2_b64 v[204:207], v202 offset0:32 offset1:33
	v_add_f64 v[172:173], v[172:173], -v[180:181]
	;; [unrolled: 8-line block ×45, first 2 shown]
	s_waitcnt lgkmcnt(0)
	v_mul_f64 v[180:181], v[206:207], v[182:183]
	v_fma_f64 v[180:181], v[204:205], v[208:209], -v[180:181]
	v_mul_f64 v[204:205], v[204:205], v[182:183]
	v_fmac_f64_e32 v[204:205], v[206:207], v[208:209]
	v_add_f64 v[236:237], v[236:237], -v[180:181]
	v_add_f64 v[238:239], v[238:239], -v[204:205]
	v_mov_b64_e32 v[180:181], v[208:209]
.LBB119_127:
	s_or_b64 exec, exec, s[2:3]
	v_cmp_eq_u32_e32 vcc, 14, v200
	s_waitcnt vmcnt(63) expcnt(7) lgkmcnt(15)
	s_barrier
	s_and_saveexec_b64 s[4:5], vcc
	s_cbranch_execz .LBB119_134
; %bb.128:
	ds_write2_b64 v201, v[176:177], v[178:179] offset1:1
	ds_write2_b64 v202, v[172:173], v[174:175] offset0:30 offset1:31
	ds_write2_b64 v202, v[168:169], v[170:171] offset0:32 offset1:33
	;; [unrolled: 1-line block ×26, first 2 shown]
	s_waitcnt vmcnt(45)
	ds_write2_b64 v202, v[68:69], v[70:71] offset0:82 offset1:83
	s_waitcnt vmcnt(44)
	ds_write2_b64 v202, v[64:65], v[66:67] offset0:84 offset1:85
	;; [unrolled: 2-line block ×11, first 2 shown]
	ds_write2_b64 v202, v[24:25], v[26:27] offset0:104 offset1:105
	ds_write2_b64 v202, v[20:21], v[22:23] offset0:106 offset1:107
	;; [unrolled: 1-line block ×6, first 2 shown]
	s_waitcnt vmcnt(34)
	ds_write2_b64 v202, v[0:1], v[2:3] offset0:116 offset1:117
	s_waitcnt vmcnt(31)
	ds_write2_b64 v202, v[236:237], v[238:239] offset0:118 offset1:119
	ds_read2_b64 v[208:211], v201 offset1:1
	s_waitcnt lgkmcnt(0)
	v_cmp_neq_f64_e32 vcc, 0, v[208:209]
	v_cmp_neq_f64_e64 s[2:3], 0, v[210:211]
	s_or_b64 s[2:3], vcc, s[2:3]
	s_and_b64 exec, exec, s[2:3]
	s_cbranch_execz .LBB119_134
; %bb.129:
	v_cmp_ngt_f64_e64 s[2:3], |v[208:209]|, |v[210:211]|
                                        ; implicit-def: $vgpr204_vgpr205
	s_and_saveexec_b64 s[10:11], s[2:3]
	s_xor_b64 s[2:3], exec, s[10:11]
                                        ; implicit-def: $vgpr206_vgpr207
	s_cbranch_execz .LBB119_131
; %bb.130:
	v_div_scale_f64 v[204:205], s[10:11], v[210:211], v[210:211], v[208:209]
	v_rcp_f64_e32 v[206:207], v[204:205]
	v_div_scale_f64 v[212:213], vcc, v[208:209], v[210:211], v[208:209]
	v_fma_f64 v[214:215], -v[204:205], v[206:207], 1.0
	v_fmac_f64_e32 v[206:207], v[206:207], v[214:215]
	v_fma_f64 v[214:215], -v[204:205], v[206:207], 1.0
	v_fmac_f64_e32 v[206:207], v[206:207], v[214:215]
	v_mul_f64 v[214:215], v[212:213], v[206:207]
	v_fma_f64 v[204:205], -v[204:205], v[214:215], v[212:213]
	v_div_fmas_f64 v[204:205], v[204:205], v[206:207], v[214:215]
	v_div_fixup_f64 v[204:205], v[204:205], v[210:211], v[208:209]
	v_fmac_f64_e32 v[210:211], v[208:209], v[204:205]
	v_div_scale_f64 v[206:207], s[10:11], v[210:211], v[210:211], 1.0
	v_rcp_f64_e32 v[208:209], v[206:207]
	s_nop 0
	v_fma_f64 v[212:213], -v[206:207], v[208:209], 1.0
	v_fmac_f64_e32 v[208:209], v[208:209], v[212:213]
	v_fma_f64 v[212:213], -v[206:207], v[208:209], 1.0
	v_fmac_f64_e32 v[208:209], v[208:209], v[212:213]
	v_div_scale_f64 v[212:213], vcc, 1.0, v[210:211], 1.0
	v_mul_f64 v[214:215], v[212:213], v[208:209]
	v_fma_f64 v[206:207], -v[206:207], v[214:215], v[212:213]
	s_nop 1
	v_div_fmas_f64 v[206:207], v[206:207], v[208:209], v[214:215]
	v_div_fixup_f64 v[206:207], v[206:207], v[210:211], 1.0
	v_mul_f64 v[204:205], v[204:205], v[206:207]
	v_xor_b32_e32 v207, 0x80000000, v207
                                        ; implicit-def: $vgpr208_vgpr209
.LBB119_131:
	s_andn2_saveexec_b64 s[2:3], s[2:3]
	s_cbranch_execz .LBB119_133
; %bb.132:
	v_div_scale_f64 v[204:205], s[10:11], v[208:209], v[208:209], v[210:211]
	v_rcp_f64_e32 v[206:207], v[204:205]
	v_div_scale_f64 v[212:213], vcc, v[210:211], v[208:209], v[210:211]
	v_fma_f64 v[214:215], -v[204:205], v[206:207], 1.0
	v_fmac_f64_e32 v[206:207], v[206:207], v[214:215]
	v_fma_f64 v[214:215], -v[204:205], v[206:207], 1.0
	v_fmac_f64_e32 v[206:207], v[206:207], v[214:215]
	v_mul_f64 v[214:215], v[212:213], v[206:207]
	v_fma_f64 v[204:205], -v[204:205], v[214:215], v[212:213]
	v_div_fmas_f64 v[204:205], v[204:205], v[206:207], v[214:215]
	v_div_fixup_f64 v[206:207], v[204:205], v[208:209], v[210:211]
	v_fmac_f64_e32 v[208:209], v[210:211], v[206:207]
	v_div_scale_f64 v[204:205], s[10:11], v[208:209], v[208:209], 1.0
	v_rcp_f64_e32 v[210:211], v[204:205]
	s_nop 0
	v_fma_f64 v[212:213], -v[204:205], v[210:211], 1.0
	v_fmac_f64_e32 v[210:211], v[210:211], v[212:213]
	v_fma_f64 v[212:213], -v[204:205], v[210:211], 1.0
	v_fmac_f64_e32 v[210:211], v[210:211], v[212:213]
	v_div_scale_f64 v[212:213], vcc, 1.0, v[208:209], 1.0
	v_mul_f64 v[214:215], v[212:213], v[210:211]
	v_fma_f64 v[204:205], -v[204:205], v[214:215], v[212:213]
	s_nop 1
	v_div_fmas_f64 v[204:205], v[204:205], v[210:211], v[214:215]
	v_div_fixup_f64 v[204:205], v[204:205], v[208:209], 1.0
	v_mul_f64 v[206:207], v[206:207], -v[204:205]
.LBB119_133:
	s_or_b64 exec, exec, s[2:3]
	ds_write2_b64 v201, v[204:205], v[206:207] offset1:1
.LBB119_134:
	s_or_b64 exec, exec, s[4:5]
	s_waitcnt lgkmcnt(0)
	s_barrier
	ds_read2_b64 v[192:195], v201 offset1:1
	v_cmp_lt_u32_e32 vcc, 14, v200
	s_waitcnt lgkmcnt(0)
	scratch_store_dwordx4 off, v[192:195], off offset:864 ; 16-byte Folded Spill
	s_and_saveexec_b64 s[2:3], vcc
	s_cbranch_execz .LBB119_136
; %bb.135:
	scratch_load_dwordx4 v[192:195], off, off offset:864 ; 16-byte Folded Reload
	s_waitcnt vmcnt(0)
	v_mul_f64 v[204:205], v[194:195], v[178:179]
	v_fma_f64 v[208:209], v[192:193], v[176:177], -v[204:205]
	ds_read2_b64 v[204:207], v202 offset0:30 offset1:31
	v_mul_f64 v[178:179], v[192:193], v[178:179]
	v_fmac_f64_e32 v[178:179], v[194:195], v[176:177]
	s_waitcnt lgkmcnt(0)
	v_mul_f64 v[176:177], v[206:207], v[178:179]
	v_fma_f64 v[176:177], v[204:205], v[208:209], -v[176:177]
	v_mul_f64 v[204:205], v[204:205], v[178:179]
	v_fmac_f64_e32 v[204:205], v[206:207], v[208:209]
	v_add_f64 v[174:175], v[174:175], -v[204:205]
	ds_read2_b64 v[204:207], v202 offset0:32 offset1:33
	v_add_f64 v[172:173], v[172:173], -v[176:177]
	s_waitcnt lgkmcnt(0)
	v_mul_f64 v[176:177], v[206:207], v[178:179]
	v_fma_f64 v[176:177], v[204:205], v[208:209], -v[176:177]
	v_mul_f64 v[204:205], v[204:205], v[178:179]
	v_fmac_f64_e32 v[204:205], v[206:207], v[208:209]
	v_add_f64 v[170:171], v[170:171], -v[204:205]
	ds_read2_b64 v[204:207], v202 offset0:34 offset1:35
	v_add_f64 v[168:169], v[168:169], -v[176:177]
	;; [unrolled: 8-line block ×44, first 2 shown]
	s_waitcnt lgkmcnt(0)
	v_mul_f64 v[176:177], v[206:207], v[178:179]
	v_fma_f64 v[176:177], v[204:205], v[208:209], -v[176:177]
	v_mul_f64 v[204:205], v[204:205], v[178:179]
	v_fmac_f64_e32 v[204:205], v[206:207], v[208:209]
	v_add_f64 v[236:237], v[236:237], -v[176:177]
	v_add_f64 v[238:239], v[238:239], -v[204:205]
	v_mov_b64_e32 v[176:177], v[208:209]
.LBB119_136:
	s_or_b64 exec, exec, s[2:3]
	v_cmp_eq_u32_e32 vcc, 15, v200
	s_waitcnt vmcnt(63) expcnt(7) lgkmcnt(15)
	s_barrier
	s_and_saveexec_b64 s[4:5], vcc
	s_cbranch_execz .LBB119_143
; %bb.137:
	ds_write2_b64 v201, v[172:173], v[174:175] offset1:1
	ds_write2_b64 v202, v[168:169], v[170:171] offset0:32 offset1:33
	ds_write2_b64 v202, v[164:165], v[166:167] offset0:34 offset1:35
	;; [unrolled: 1-line block ×25, first 2 shown]
	s_waitcnt vmcnt(46)
	ds_write2_b64 v202, v[68:69], v[70:71] offset0:82 offset1:83
	s_waitcnt vmcnt(45)
	ds_write2_b64 v202, v[64:65], v[66:67] offset0:84 offset1:85
	;; [unrolled: 2-line block ×11, first 2 shown]
	ds_write2_b64 v202, v[24:25], v[26:27] offset0:104 offset1:105
	ds_write2_b64 v202, v[20:21], v[22:23] offset0:106 offset1:107
	;; [unrolled: 1-line block ×6, first 2 shown]
	s_waitcnt vmcnt(35)
	ds_write2_b64 v202, v[0:1], v[2:3] offset0:116 offset1:117
	s_waitcnt vmcnt(32)
	ds_write2_b64 v202, v[236:237], v[238:239] offset0:118 offset1:119
	ds_read2_b64 v[208:211], v201 offset1:1
	s_waitcnt lgkmcnt(0)
	v_cmp_neq_f64_e32 vcc, 0, v[208:209]
	v_cmp_neq_f64_e64 s[2:3], 0, v[210:211]
	s_or_b64 s[2:3], vcc, s[2:3]
	s_and_b64 exec, exec, s[2:3]
	s_cbranch_execz .LBB119_143
; %bb.138:
	v_cmp_ngt_f64_e64 s[2:3], |v[208:209]|, |v[210:211]|
                                        ; implicit-def: $vgpr204_vgpr205
	s_and_saveexec_b64 s[10:11], s[2:3]
	s_xor_b64 s[2:3], exec, s[10:11]
                                        ; implicit-def: $vgpr206_vgpr207
	s_cbranch_execz .LBB119_140
; %bb.139:
	v_div_scale_f64 v[204:205], s[10:11], v[210:211], v[210:211], v[208:209]
	v_rcp_f64_e32 v[206:207], v[204:205]
	v_div_scale_f64 v[212:213], vcc, v[208:209], v[210:211], v[208:209]
	v_fma_f64 v[214:215], -v[204:205], v[206:207], 1.0
	v_fmac_f64_e32 v[206:207], v[206:207], v[214:215]
	v_fma_f64 v[214:215], -v[204:205], v[206:207], 1.0
	v_fmac_f64_e32 v[206:207], v[206:207], v[214:215]
	v_mul_f64 v[214:215], v[212:213], v[206:207]
	v_fma_f64 v[204:205], -v[204:205], v[214:215], v[212:213]
	v_div_fmas_f64 v[204:205], v[204:205], v[206:207], v[214:215]
	v_div_fixup_f64 v[204:205], v[204:205], v[210:211], v[208:209]
	v_fmac_f64_e32 v[210:211], v[208:209], v[204:205]
	v_div_scale_f64 v[206:207], s[10:11], v[210:211], v[210:211], 1.0
	v_rcp_f64_e32 v[208:209], v[206:207]
	s_nop 0
	v_fma_f64 v[212:213], -v[206:207], v[208:209], 1.0
	v_fmac_f64_e32 v[208:209], v[208:209], v[212:213]
	v_fma_f64 v[212:213], -v[206:207], v[208:209], 1.0
	v_fmac_f64_e32 v[208:209], v[208:209], v[212:213]
	v_div_scale_f64 v[212:213], vcc, 1.0, v[210:211], 1.0
	v_mul_f64 v[214:215], v[212:213], v[208:209]
	v_fma_f64 v[206:207], -v[206:207], v[214:215], v[212:213]
	s_nop 1
	v_div_fmas_f64 v[206:207], v[206:207], v[208:209], v[214:215]
	v_div_fixup_f64 v[206:207], v[206:207], v[210:211], 1.0
	v_mul_f64 v[204:205], v[204:205], v[206:207]
	v_xor_b32_e32 v207, 0x80000000, v207
                                        ; implicit-def: $vgpr208_vgpr209
.LBB119_140:
	s_andn2_saveexec_b64 s[2:3], s[2:3]
	s_cbranch_execz .LBB119_142
; %bb.141:
	v_div_scale_f64 v[204:205], s[10:11], v[208:209], v[208:209], v[210:211]
	v_rcp_f64_e32 v[206:207], v[204:205]
	v_div_scale_f64 v[212:213], vcc, v[210:211], v[208:209], v[210:211]
	v_fma_f64 v[214:215], -v[204:205], v[206:207], 1.0
	v_fmac_f64_e32 v[206:207], v[206:207], v[214:215]
	v_fma_f64 v[214:215], -v[204:205], v[206:207], 1.0
	v_fmac_f64_e32 v[206:207], v[206:207], v[214:215]
	v_mul_f64 v[214:215], v[212:213], v[206:207]
	v_fma_f64 v[204:205], -v[204:205], v[214:215], v[212:213]
	v_div_fmas_f64 v[204:205], v[204:205], v[206:207], v[214:215]
	v_div_fixup_f64 v[206:207], v[204:205], v[208:209], v[210:211]
	v_fmac_f64_e32 v[208:209], v[210:211], v[206:207]
	v_div_scale_f64 v[204:205], s[10:11], v[208:209], v[208:209], 1.0
	v_rcp_f64_e32 v[210:211], v[204:205]
	s_nop 0
	v_fma_f64 v[212:213], -v[204:205], v[210:211], 1.0
	v_fmac_f64_e32 v[210:211], v[210:211], v[212:213]
	v_fma_f64 v[212:213], -v[204:205], v[210:211], 1.0
	v_fmac_f64_e32 v[210:211], v[210:211], v[212:213]
	v_div_scale_f64 v[212:213], vcc, 1.0, v[208:209], 1.0
	v_mul_f64 v[214:215], v[212:213], v[210:211]
	v_fma_f64 v[204:205], -v[204:205], v[214:215], v[212:213]
	s_nop 1
	v_div_fmas_f64 v[204:205], v[204:205], v[210:211], v[214:215]
	v_div_fixup_f64 v[204:205], v[204:205], v[208:209], 1.0
	v_mul_f64 v[206:207], v[206:207], -v[204:205]
.LBB119_142:
	s_or_b64 exec, exec, s[2:3]
	ds_write2_b64 v201, v[204:205], v[206:207] offset1:1
.LBB119_143:
	s_or_b64 exec, exec, s[4:5]
	s_waitcnt lgkmcnt(0)
	s_barrier
	ds_read2_b64 v[192:195], v201 offset1:1
	v_cmp_lt_u32_e32 vcc, 15, v200
	s_waitcnt lgkmcnt(0)
	scratch_store_dwordx4 off, v[192:195], off offset:880 ; 16-byte Folded Spill
	s_and_saveexec_b64 s[2:3], vcc
	s_cbranch_execz .LBB119_145
; %bb.144:
	scratch_load_dwordx4 v[192:195], off, off offset:880 ; 16-byte Folded Reload
	s_waitcnt vmcnt(0)
	v_mul_f64 v[204:205], v[194:195], v[174:175]
	v_fma_f64 v[208:209], v[192:193], v[172:173], -v[204:205]
	ds_read2_b64 v[204:207], v202 offset0:32 offset1:33
	v_mul_f64 v[174:175], v[192:193], v[174:175]
	v_fmac_f64_e32 v[174:175], v[194:195], v[172:173]
	s_waitcnt lgkmcnt(0)
	v_mul_f64 v[172:173], v[206:207], v[174:175]
	v_fma_f64 v[172:173], v[204:205], v[208:209], -v[172:173]
	v_mul_f64 v[204:205], v[204:205], v[174:175]
	v_fmac_f64_e32 v[204:205], v[206:207], v[208:209]
	v_add_f64 v[170:171], v[170:171], -v[204:205]
	ds_read2_b64 v[204:207], v202 offset0:34 offset1:35
	v_add_f64 v[168:169], v[168:169], -v[172:173]
	s_waitcnt lgkmcnt(0)
	v_mul_f64 v[172:173], v[206:207], v[174:175]
	v_fma_f64 v[172:173], v[204:205], v[208:209], -v[172:173]
	v_mul_f64 v[204:205], v[204:205], v[174:175]
	v_fmac_f64_e32 v[204:205], v[206:207], v[208:209]
	v_add_f64 v[166:167], v[166:167], -v[204:205]
	ds_read2_b64 v[204:207], v202 offset0:36 offset1:37
	v_add_f64 v[164:165], v[164:165], -v[172:173]
	;; [unrolled: 8-line block ×43, first 2 shown]
	s_waitcnt lgkmcnt(0)
	v_mul_f64 v[172:173], v[206:207], v[174:175]
	v_fma_f64 v[172:173], v[204:205], v[208:209], -v[172:173]
	v_mul_f64 v[204:205], v[204:205], v[174:175]
	v_fmac_f64_e32 v[204:205], v[206:207], v[208:209]
	v_add_f64 v[236:237], v[236:237], -v[172:173]
	v_add_f64 v[238:239], v[238:239], -v[204:205]
	v_mov_b64_e32 v[172:173], v[208:209]
.LBB119_145:
	s_or_b64 exec, exec, s[2:3]
	v_cmp_eq_u32_e32 vcc, 16, v200
	s_waitcnt vmcnt(63) expcnt(7) lgkmcnt(15)
	s_barrier
	s_and_saveexec_b64 s[4:5], vcc
	s_cbranch_execz .LBB119_152
; %bb.146:
	ds_write2_b64 v201, v[168:169], v[170:171] offset1:1
	ds_write2_b64 v202, v[164:165], v[166:167] offset0:34 offset1:35
	ds_write2_b64 v202, v[160:161], v[162:163] offset0:36 offset1:37
	;; [unrolled: 1-line block ×24, first 2 shown]
	s_waitcnt vmcnt(47)
	ds_write2_b64 v202, v[68:69], v[70:71] offset0:82 offset1:83
	s_waitcnt vmcnt(46)
	ds_write2_b64 v202, v[64:65], v[66:67] offset0:84 offset1:85
	;; [unrolled: 2-line block ×11, first 2 shown]
	ds_write2_b64 v202, v[24:25], v[26:27] offset0:104 offset1:105
	ds_write2_b64 v202, v[20:21], v[22:23] offset0:106 offset1:107
	;; [unrolled: 1-line block ×6, first 2 shown]
	s_waitcnt vmcnt(36)
	ds_write2_b64 v202, v[0:1], v[2:3] offset0:116 offset1:117
	s_waitcnt vmcnt(33)
	ds_write2_b64 v202, v[236:237], v[238:239] offset0:118 offset1:119
	ds_read2_b64 v[208:211], v201 offset1:1
	s_waitcnt lgkmcnt(0)
	v_cmp_neq_f64_e32 vcc, 0, v[208:209]
	v_cmp_neq_f64_e64 s[2:3], 0, v[210:211]
	s_or_b64 s[2:3], vcc, s[2:3]
	s_and_b64 exec, exec, s[2:3]
	s_cbranch_execz .LBB119_152
; %bb.147:
	v_cmp_ngt_f64_e64 s[2:3], |v[208:209]|, |v[210:211]|
                                        ; implicit-def: $vgpr204_vgpr205
	s_and_saveexec_b64 s[10:11], s[2:3]
	s_xor_b64 s[2:3], exec, s[10:11]
                                        ; implicit-def: $vgpr206_vgpr207
	s_cbranch_execz .LBB119_149
; %bb.148:
	v_div_scale_f64 v[204:205], s[10:11], v[210:211], v[210:211], v[208:209]
	v_rcp_f64_e32 v[206:207], v[204:205]
	v_div_scale_f64 v[212:213], vcc, v[208:209], v[210:211], v[208:209]
	v_fma_f64 v[214:215], -v[204:205], v[206:207], 1.0
	v_fmac_f64_e32 v[206:207], v[206:207], v[214:215]
	v_fma_f64 v[214:215], -v[204:205], v[206:207], 1.0
	v_fmac_f64_e32 v[206:207], v[206:207], v[214:215]
	v_mul_f64 v[214:215], v[212:213], v[206:207]
	v_fma_f64 v[204:205], -v[204:205], v[214:215], v[212:213]
	v_div_fmas_f64 v[204:205], v[204:205], v[206:207], v[214:215]
	v_div_fixup_f64 v[204:205], v[204:205], v[210:211], v[208:209]
	v_fmac_f64_e32 v[210:211], v[208:209], v[204:205]
	v_div_scale_f64 v[206:207], s[10:11], v[210:211], v[210:211], 1.0
	v_rcp_f64_e32 v[208:209], v[206:207]
	s_nop 0
	v_fma_f64 v[212:213], -v[206:207], v[208:209], 1.0
	v_fmac_f64_e32 v[208:209], v[208:209], v[212:213]
	v_fma_f64 v[212:213], -v[206:207], v[208:209], 1.0
	v_fmac_f64_e32 v[208:209], v[208:209], v[212:213]
	v_div_scale_f64 v[212:213], vcc, 1.0, v[210:211], 1.0
	v_mul_f64 v[214:215], v[212:213], v[208:209]
	v_fma_f64 v[206:207], -v[206:207], v[214:215], v[212:213]
	s_nop 1
	v_div_fmas_f64 v[206:207], v[206:207], v[208:209], v[214:215]
	v_div_fixup_f64 v[206:207], v[206:207], v[210:211], 1.0
	v_mul_f64 v[204:205], v[204:205], v[206:207]
	v_xor_b32_e32 v207, 0x80000000, v207
                                        ; implicit-def: $vgpr208_vgpr209
.LBB119_149:
	s_andn2_saveexec_b64 s[2:3], s[2:3]
	s_cbranch_execz .LBB119_151
; %bb.150:
	v_div_scale_f64 v[204:205], s[10:11], v[208:209], v[208:209], v[210:211]
	v_rcp_f64_e32 v[206:207], v[204:205]
	v_div_scale_f64 v[212:213], vcc, v[210:211], v[208:209], v[210:211]
	v_fma_f64 v[214:215], -v[204:205], v[206:207], 1.0
	v_fmac_f64_e32 v[206:207], v[206:207], v[214:215]
	v_fma_f64 v[214:215], -v[204:205], v[206:207], 1.0
	v_fmac_f64_e32 v[206:207], v[206:207], v[214:215]
	v_mul_f64 v[214:215], v[212:213], v[206:207]
	v_fma_f64 v[204:205], -v[204:205], v[214:215], v[212:213]
	v_div_fmas_f64 v[204:205], v[204:205], v[206:207], v[214:215]
	v_div_fixup_f64 v[206:207], v[204:205], v[208:209], v[210:211]
	v_fmac_f64_e32 v[208:209], v[210:211], v[206:207]
	v_div_scale_f64 v[204:205], s[10:11], v[208:209], v[208:209], 1.0
	v_rcp_f64_e32 v[210:211], v[204:205]
	s_nop 0
	v_fma_f64 v[212:213], -v[204:205], v[210:211], 1.0
	v_fmac_f64_e32 v[210:211], v[210:211], v[212:213]
	v_fma_f64 v[212:213], -v[204:205], v[210:211], 1.0
	v_fmac_f64_e32 v[210:211], v[210:211], v[212:213]
	v_div_scale_f64 v[212:213], vcc, 1.0, v[208:209], 1.0
	v_mul_f64 v[214:215], v[212:213], v[210:211]
	v_fma_f64 v[204:205], -v[204:205], v[214:215], v[212:213]
	s_nop 1
	v_div_fmas_f64 v[204:205], v[204:205], v[210:211], v[214:215]
	v_div_fixup_f64 v[204:205], v[204:205], v[208:209], 1.0
	v_mul_f64 v[206:207], v[206:207], -v[204:205]
.LBB119_151:
	s_or_b64 exec, exec, s[2:3]
	ds_write2_b64 v201, v[204:205], v[206:207] offset1:1
.LBB119_152:
	s_or_b64 exec, exec, s[4:5]
	s_waitcnt lgkmcnt(0)
	s_barrier
	ds_read2_b64 v[192:195], v201 offset1:1
	v_cmp_lt_u32_e32 vcc, 16, v200
	s_waitcnt lgkmcnt(0)
	scratch_store_dwordx4 off, v[192:195], off offset:896 ; 16-byte Folded Spill
	s_and_saveexec_b64 s[2:3], vcc
	s_cbranch_execz .LBB119_154
; %bb.153:
	scratch_load_dwordx4 v[192:195], off, off offset:896 ; 16-byte Folded Reload
	s_waitcnt vmcnt(0)
	v_mul_f64 v[204:205], v[194:195], v[170:171]
	v_fma_f64 v[208:209], v[192:193], v[168:169], -v[204:205]
	ds_read2_b64 v[204:207], v202 offset0:34 offset1:35
	v_mul_f64 v[170:171], v[192:193], v[170:171]
	v_fmac_f64_e32 v[170:171], v[194:195], v[168:169]
	s_waitcnt lgkmcnt(0)
	v_mul_f64 v[168:169], v[206:207], v[170:171]
	v_fma_f64 v[168:169], v[204:205], v[208:209], -v[168:169]
	v_mul_f64 v[204:205], v[204:205], v[170:171]
	v_fmac_f64_e32 v[204:205], v[206:207], v[208:209]
	v_add_f64 v[166:167], v[166:167], -v[204:205]
	ds_read2_b64 v[204:207], v202 offset0:36 offset1:37
	v_add_f64 v[164:165], v[164:165], -v[168:169]
	s_waitcnt lgkmcnt(0)
	v_mul_f64 v[168:169], v[206:207], v[170:171]
	v_fma_f64 v[168:169], v[204:205], v[208:209], -v[168:169]
	v_mul_f64 v[204:205], v[204:205], v[170:171]
	v_fmac_f64_e32 v[204:205], v[206:207], v[208:209]
	v_add_f64 v[162:163], v[162:163], -v[204:205]
	ds_read2_b64 v[204:207], v202 offset0:38 offset1:39
	v_add_f64 v[160:161], v[160:161], -v[168:169]
	;; [unrolled: 8-line block ×42, first 2 shown]
	s_waitcnt lgkmcnt(0)
	v_mul_f64 v[168:169], v[206:207], v[170:171]
	v_fma_f64 v[168:169], v[204:205], v[208:209], -v[168:169]
	v_mul_f64 v[204:205], v[204:205], v[170:171]
	v_fmac_f64_e32 v[204:205], v[206:207], v[208:209]
	v_add_f64 v[236:237], v[236:237], -v[168:169]
	v_add_f64 v[238:239], v[238:239], -v[204:205]
	v_mov_b64_e32 v[168:169], v[208:209]
.LBB119_154:
	s_or_b64 exec, exec, s[2:3]
	v_cmp_eq_u32_e32 vcc, 17, v200
	s_waitcnt vmcnt(63) expcnt(7) lgkmcnt(15)
	s_barrier
	s_and_saveexec_b64 s[4:5], vcc
	s_cbranch_execz .LBB119_161
; %bb.155:
	ds_write2_b64 v201, v[164:165], v[166:167] offset1:1
	ds_write2_b64 v202, v[160:161], v[162:163] offset0:36 offset1:37
	ds_write2_b64 v202, v[156:157], v[158:159] offset0:38 offset1:39
	;; [unrolled: 1-line block ×23, first 2 shown]
	s_waitcnt vmcnt(48)
	ds_write2_b64 v202, v[68:69], v[70:71] offset0:82 offset1:83
	s_waitcnt vmcnt(47)
	ds_write2_b64 v202, v[64:65], v[66:67] offset0:84 offset1:85
	;; [unrolled: 2-line block ×11, first 2 shown]
	ds_write2_b64 v202, v[24:25], v[26:27] offset0:104 offset1:105
	ds_write2_b64 v202, v[20:21], v[22:23] offset0:106 offset1:107
	;; [unrolled: 1-line block ×6, first 2 shown]
	s_waitcnt vmcnt(37)
	ds_write2_b64 v202, v[0:1], v[2:3] offset0:116 offset1:117
	s_waitcnt vmcnt(34)
	ds_write2_b64 v202, v[236:237], v[238:239] offset0:118 offset1:119
	ds_read2_b64 v[208:211], v201 offset1:1
	s_waitcnt lgkmcnt(0)
	v_cmp_neq_f64_e32 vcc, 0, v[208:209]
	v_cmp_neq_f64_e64 s[2:3], 0, v[210:211]
	s_or_b64 s[2:3], vcc, s[2:3]
	s_and_b64 exec, exec, s[2:3]
	s_cbranch_execz .LBB119_161
; %bb.156:
	v_cmp_ngt_f64_e64 s[2:3], |v[208:209]|, |v[210:211]|
                                        ; implicit-def: $vgpr204_vgpr205
	s_and_saveexec_b64 s[10:11], s[2:3]
	s_xor_b64 s[2:3], exec, s[10:11]
                                        ; implicit-def: $vgpr206_vgpr207
	s_cbranch_execz .LBB119_158
; %bb.157:
	v_div_scale_f64 v[204:205], s[10:11], v[210:211], v[210:211], v[208:209]
	v_rcp_f64_e32 v[206:207], v[204:205]
	v_div_scale_f64 v[212:213], vcc, v[208:209], v[210:211], v[208:209]
	v_fma_f64 v[214:215], -v[204:205], v[206:207], 1.0
	v_fmac_f64_e32 v[206:207], v[206:207], v[214:215]
	v_fma_f64 v[214:215], -v[204:205], v[206:207], 1.0
	v_fmac_f64_e32 v[206:207], v[206:207], v[214:215]
	v_mul_f64 v[214:215], v[212:213], v[206:207]
	v_fma_f64 v[204:205], -v[204:205], v[214:215], v[212:213]
	v_div_fmas_f64 v[204:205], v[204:205], v[206:207], v[214:215]
	v_div_fixup_f64 v[204:205], v[204:205], v[210:211], v[208:209]
	v_fmac_f64_e32 v[210:211], v[208:209], v[204:205]
	v_div_scale_f64 v[206:207], s[10:11], v[210:211], v[210:211], 1.0
	v_rcp_f64_e32 v[208:209], v[206:207]
	s_nop 0
	v_fma_f64 v[212:213], -v[206:207], v[208:209], 1.0
	v_fmac_f64_e32 v[208:209], v[208:209], v[212:213]
	v_fma_f64 v[212:213], -v[206:207], v[208:209], 1.0
	v_fmac_f64_e32 v[208:209], v[208:209], v[212:213]
	v_div_scale_f64 v[212:213], vcc, 1.0, v[210:211], 1.0
	v_mul_f64 v[214:215], v[212:213], v[208:209]
	v_fma_f64 v[206:207], -v[206:207], v[214:215], v[212:213]
	s_nop 1
	v_div_fmas_f64 v[206:207], v[206:207], v[208:209], v[214:215]
	v_div_fixup_f64 v[206:207], v[206:207], v[210:211], 1.0
	v_mul_f64 v[204:205], v[204:205], v[206:207]
	v_xor_b32_e32 v207, 0x80000000, v207
                                        ; implicit-def: $vgpr208_vgpr209
.LBB119_158:
	s_andn2_saveexec_b64 s[2:3], s[2:3]
	s_cbranch_execz .LBB119_160
; %bb.159:
	v_div_scale_f64 v[204:205], s[10:11], v[208:209], v[208:209], v[210:211]
	v_rcp_f64_e32 v[206:207], v[204:205]
	v_div_scale_f64 v[212:213], vcc, v[210:211], v[208:209], v[210:211]
	v_fma_f64 v[214:215], -v[204:205], v[206:207], 1.0
	v_fmac_f64_e32 v[206:207], v[206:207], v[214:215]
	v_fma_f64 v[214:215], -v[204:205], v[206:207], 1.0
	v_fmac_f64_e32 v[206:207], v[206:207], v[214:215]
	v_mul_f64 v[214:215], v[212:213], v[206:207]
	v_fma_f64 v[204:205], -v[204:205], v[214:215], v[212:213]
	v_div_fmas_f64 v[204:205], v[204:205], v[206:207], v[214:215]
	v_div_fixup_f64 v[206:207], v[204:205], v[208:209], v[210:211]
	v_fmac_f64_e32 v[208:209], v[210:211], v[206:207]
	v_div_scale_f64 v[204:205], s[10:11], v[208:209], v[208:209], 1.0
	v_rcp_f64_e32 v[210:211], v[204:205]
	s_nop 0
	v_fma_f64 v[212:213], -v[204:205], v[210:211], 1.0
	v_fmac_f64_e32 v[210:211], v[210:211], v[212:213]
	v_fma_f64 v[212:213], -v[204:205], v[210:211], 1.0
	v_fmac_f64_e32 v[210:211], v[210:211], v[212:213]
	v_div_scale_f64 v[212:213], vcc, 1.0, v[208:209], 1.0
	v_mul_f64 v[214:215], v[212:213], v[210:211]
	v_fma_f64 v[204:205], -v[204:205], v[214:215], v[212:213]
	s_nop 1
	v_div_fmas_f64 v[204:205], v[204:205], v[210:211], v[214:215]
	v_div_fixup_f64 v[204:205], v[204:205], v[208:209], 1.0
	v_mul_f64 v[206:207], v[206:207], -v[204:205]
.LBB119_160:
	s_or_b64 exec, exec, s[2:3]
	ds_write2_b64 v201, v[204:205], v[206:207] offset1:1
.LBB119_161:
	s_or_b64 exec, exec, s[4:5]
	s_waitcnt lgkmcnt(0)
	s_barrier
	ds_read2_b64 v[192:195], v201 offset1:1
	v_cmp_lt_u32_e32 vcc, 17, v200
	s_waitcnt lgkmcnt(0)
	scratch_store_dwordx4 off, v[192:195], off offset:912 ; 16-byte Folded Spill
	s_and_saveexec_b64 s[2:3], vcc
	s_cbranch_execz .LBB119_163
; %bb.162:
	scratch_load_dwordx4 v[192:195], off, off offset:912 ; 16-byte Folded Reload
	s_waitcnt vmcnt(0)
	v_mul_f64 v[204:205], v[194:195], v[166:167]
	v_fma_f64 v[208:209], v[192:193], v[164:165], -v[204:205]
	ds_read2_b64 v[204:207], v202 offset0:36 offset1:37
	v_mul_f64 v[166:167], v[192:193], v[166:167]
	v_fmac_f64_e32 v[166:167], v[194:195], v[164:165]
	s_waitcnt lgkmcnt(0)
	v_mul_f64 v[164:165], v[206:207], v[166:167]
	v_fma_f64 v[164:165], v[204:205], v[208:209], -v[164:165]
	v_mul_f64 v[204:205], v[204:205], v[166:167]
	v_fmac_f64_e32 v[204:205], v[206:207], v[208:209]
	v_add_f64 v[162:163], v[162:163], -v[204:205]
	ds_read2_b64 v[204:207], v202 offset0:38 offset1:39
	v_add_f64 v[160:161], v[160:161], -v[164:165]
	s_waitcnt lgkmcnt(0)
	v_mul_f64 v[164:165], v[206:207], v[166:167]
	v_fma_f64 v[164:165], v[204:205], v[208:209], -v[164:165]
	v_mul_f64 v[204:205], v[204:205], v[166:167]
	v_fmac_f64_e32 v[204:205], v[206:207], v[208:209]
	v_add_f64 v[158:159], v[158:159], -v[204:205]
	ds_read2_b64 v[204:207], v202 offset0:40 offset1:41
	v_add_f64 v[156:157], v[156:157], -v[164:165]
	;; [unrolled: 8-line block ×41, first 2 shown]
	s_waitcnt lgkmcnt(0)
	v_mul_f64 v[164:165], v[206:207], v[166:167]
	v_fma_f64 v[164:165], v[204:205], v[208:209], -v[164:165]
	v_mul_f64 v[204:205], v[204:205], v[166:167]
	v_fmac_f64_e32 v[204:205], v[206:207], v[208:209]
	v_add_f64 v[236:237], v[236:237], -v[164:165]
	v_add_f64 v[238:239], v[238:239], -v[204:205]
	v_mov_b64_e32 v[164:165], v[208:209]
.LBB119_163:
	s_or_b64 exec, exec, s[2:3]
	v_cmp_eq_u32_e32 vcc, 18, v200
	s_waitcnt vmcnt(63) expcnt(7) lgkmcnt(15)
	s_barrier
	s_and_saveexec_b64 s[4:5], vcc
	s_cbranch_execz .LBB119_170
; %bb.164:
	ds_write2_b64 v201, v[160:161], v[162:163] offset1:1
	ds_write2_b64 v202, v[156:157], v[158:159] offset0:38 offset1:39
	ds_write2_b64 v202, v[152:153], v[154:155] offset0:40 offset1:41
	;; [unrolled: 1-line block ×22, first 2 shown]
	s_waitcnt vmcnt(49)
	ds_write2_b64 v202, v[68:69], v[70:71] offset0:82 offset1:83
	s_waitcnt vmcnt(48)
	ds_write2_b64 v202, v[64:65], v[66:67] offset0:84 offset1:85
	;; [unrolled: 2-line block ×11, first 2 shown]
	ds_write2_b64 v202, v[24:25], v[26:27] offset0:104 offset1:105
	ds_write2_b64 v202, v[20:21], v[22:23] offset0:106 offset1:107
	;; [unrolled: 1-line block ×6, first 2 shown]
	s_waitcnt vmcnt(38)
	ds_write2_b64 v202, v[0:1], v[2:3] offset0:116 offset1:117
	s_waitcnt vmcnt(35)
	ds_write2_b64 v202, v[236:237], v[238:239] offset0:118 offset1:119
	ds_read2_b64 v[208:211], v201 offset1:1
	s_waitcnt lgkmcnt(0)
	v_cmp_neq_f64_e32 vcc, 0, v[208:209]
	v_cmp_neq_f64_e64 s[2:3], 0, v[210:211]
	s_or_b64 s[2:3], vcc, s[2:3]
	s_and_b64 exec, exec, s[2:3]
	s_cbranch_execz .LBB119_170
; %bb.165:
	v_cmp_ngt_f64_e64 s[2:3], |v[208:209]|, |v[210:211]|
                                        ; implicit-def: $vgpr204_vgpr205
	s_and_saveexec_b64 s[10:11], s[2:3]
	s_xor_b64 s[2:3], exec, s[10:11]
                                        ; implicit-def: $vgpr206_vgpr207
	s_cbranch_execz .LBB119_167
; %bb.166:
	v_div_scale_f64 v[204:205], s[10:11], v[210:211], v[210:211], v[208:209]
	v_rcp_f64_e32 v[206:207], v[204:205]
	v_div_scale_f64 v[212:213], vcc, v[208:209], v[210:211], v[208:209]
	v_fma_f64 v[214:215], -v[204:205], v[206:207], 1.0
	v_fmac_f64_e32 v[206:207], v[206:207], v[214:215]
	v_fma_f64 v[214:215], -v[204:205], v[206:207], 1.0
	v_fmac_f64_e32 v[206:207], v[206:207], v[214:215]
	v_mul_f64 v[214:215], v[212:213], v[206:207]
	v_fma_f64 v[204:205], -v[204:205], v[214:215], v[212:213]
	v_div_fmas_f64 v[204:205], v[204:205], v[206:207], v[214:215]
	v_div_fixup_f64 v[204:205], v[204:205], v[210:211], v[208:209]
	v_fmac_f64_e32 v[210:211], v[208:209], v[204:205]
	v_div_scale_f64 v[206:207], s[10:11], v[210:211], v[210:211], 1.0
	v_rcp_f64_e32 v[208:209], v[206:207]
	s_nop 0
	v_fma_f64 v[212:213], -v[206:207], v[208:209], 1.0
	v_fmac_f64_e32 v[208:209], v[208:209], v[212:213]
	v_fma_f64 v[212:213], -v[206:207], v[208:209], 1.0
	v_fmac_f64_e32 v[208:209], v[208:209], v[212:213]
	v_div_scale_f64 v[212:213], vcc, 1.0, v[210:211], 1.0
	v_mul_f64 v[214:215], v[212:213], v[208:209]
	v_fma_f64 v[206:207], -v[206:207], v[214:215], v[212:213]
	s_nop 1
	v_div_fmas_f64 v[206:207], v[206:207], v[208:209], v[214:215]
	v_div_fixup_f64 v[206:207], v[206:207], v[210:211], 1.0
	v_mul_f64 v[204:205], v[204:205], v[206:207]
	v_xor_b32_e32 v207, 0x80000000, v207
                                        ; implicit-def: $vgpr208_vgpr209
.LBB119_167:
	s_andn2_saveexec_b64 s[2:3], s[2:3]
	s_cbranch_execz .LBB119_169
; %bb.168:
	v_div_scale_f64 v[204:205], s[10:11], v[208:209], v[208:209], v[210:211]
	v_rcp_f64_e32 v[206:207], v[204:205]
	v_div_scale_f64 v[212:213], vcc, v[210:211], v[208:209], v[210:211]
	v_fma_f64 v[214:215], -v[204:205], v[206:207], 1.0
	v_fmac_f64_e32 v[206:207], v[206:207], v[214:215]
	v_fma_f64 v[214:215], -v[204:205], v[206:207], 1.0
	v_fmac_f64_e32 v[206:207], v[206:207], v[214:215]
	v_mul_f64 v[214:215], v[212:213], v[206:207]
	v_fma_f64 v[204:205], -v[204:205], v[214:215], v[212:213]
	v_div_fmas_f64 v[204:205], v[204:205], v[206:207], v[214:215]
	v_div_fixup_f64 v[206:207], v[204:205], v[208:209], v[210:211]
	v_fmac_f64_e32 v[208:209], v[210:211], v[206:207]
	v_div_scale_f64 v[204:205], s[10:11], v[208:209], v[208:209], 1.0
	v_rcp_f64_e32 v[210:211], v[204:205]
	s_nop 0
	v_fma_f64 v[212:213], -v[204:205], v[210:211], 1.0
	v_fmac_f64_e32 v[210:211], v[210:211], v[212:213]
	v_fma_f64 v[212:213], -v[204:205], v[210:211], 1.0
	v_fmac_f64_e32 v[210:211], v[210:211], v[212:213]
	v_div_scale_f64 v[212:213], vcc, 1.0, v[208:209], 1.0
	v_mul_f64 v[214:215], v[212:213], v[210:211]
	v_fma_f64 v[204:205], -v[204:205], v[214:215], v[212:213]
	s_nop 1
	v_div_fmas_f64 v[204:205], v[204:205], v[210:211], v[214:215]
	v_div_fixup_f64 v[204:205], v[204:205], v[208:209], 1.0
	v_mul_f64 v[206:207], v[206:207], -v[204:205]
.LBB119_169:
	s_or_b64 exec, exec, s[2:3]
	ds_write2_b64 v201, v[204:205], v[206:207] offset1:1
.LBB119_170:
	s_or_b64 exec, exec, s[4:5]
	s_waitcnt lgkmcnt(0)
	s_barrier
	ds_read2_b64 v[192:195], v201 offset1:1
	v_cmp_lt_u32_e32 vcc, 18, v200
	s_waitcnt lgkmcnt(0)
	scratch_store_dwordx4 off, v[192:195], off offset:928 ; 16-byte Folded Spill
	s_and_saveexec_b64 s[2:3], vcc
	s_cbranch_execz .LBB119_172
; %bb.171:
	scratch_load_dwordx4 v[192:195], off, off offset:928 ; 16-byte Folded Reload
	s_waitcnt vmcnt(0)
	v_mul_f64 v[204:205], v[194:195], v[162:163]
	v_fma_f64 v[208:209], v[192:193], v[160:161], -v[204:205]
	ds_read2_b64 v[204:207], v202 offset0:38 offset1:39
	v_mul_f64 v[162:163], v[192:193], v[162:163]
	v_fmac_f64_e32 v[162:163], v[194:195], v[160:161]
	s_waitcnt lgkmcnt(0)
	v_mul_f64 v[160:161], v[206:207], v[162:163]
	v_fma_f64 v[160:161], v[204:205], v[208:209], -v[160:161]
	v_mul_f64 v[204:205], v[204:205], v[162:163]
	v_fmac_f64_e32 v[204:205], v[206:207], v[208:209]
	v_add_f64 v[158:159], v[158:159], -v[204:205]
	ds_read2_b64 v[204:207], v202 offset0:40 offset1:41
	v_add_f64 v[156:157], v[156:157], -v[160:161]
	s_waitcnt lgkmcnt(0)
	v_mul_f64 v[160:161], v[206:207], v[162:163]
	v_fma_f64 v[160:161], v[204:205], v[208:209], -v[160:161]
	v_mul_f64 v[204:205], v[204:205], v[162:163]
	v_fmac_f64_e32 v[204:205], v[206:207], v[208:209]
	v_add_f64 v[154:155], v[154:155], -v[204:205]
	ds_read2_b64 v[204:207], v202 offset0:42 offset1:43
	v_add_f64 v[152:153], v[152:153], -v[160:161]
	;; [unrolled: 8-line block ×40, first 2 shown]
	s_waitcnt lgkmcnt(0)
	v_mul_f64 v[160:161], v[206:207], v[162:163]
	v_fma_f64 v[160:161], v[204:205], v[208:209], -v[160:161]
	v_mul_f64 v[204:205], v[204:205], v[162:163]
	v_fmac_f64_e32 v[204:205], v[206:207], v[208:209]
	v_add_f64 v[236:237], v[236:237], -v[160:161]
	v_add_f64 v[238:239], v[238:239], -v[204:205]
	v_mov_b64_e32 v[160:161], v[208:209]
.LBB119_172:
	s_or_b64 exec, exec, s[2:3]
	v_cmp_eq_u32_e32 vcc, 19, v200
	s_waitcnt vmcnt(63) expcnt(7) lgkmcnt(15)
	s_barrier
	s_and_saveexec_b64 s[4:5], vcc
	s_cbranch_execz .LBB119_179
; %bb.173:
	ds_write2_b64 v201, v[156:157], v[158:159] offset1:1
	ds_write2_b64 v202, v[152:153], v[154:155] offset0:40 offset1:41
	ds_write2_b64 v202, v[148:149], v[150:151] offset0:42 offset1:43
	;; [unrolled: 1-line block ×21, first 2 shown]
	s_waitcnt vmcnt(50)
	ds_write2_b64 v202, v[68:69], v[70:71] offset0:82 offset1:83
	s_waitcnt vmcnt(49)
	ds_write2_b64 v202, v[64:65], v[66:67] offset0:84 offset1:85
	;; [unrolled: 2-line block ×11, first 2 shown]
	ds_write2_b64 v202, v[24:25], v[26:27] offset0:104 offset1:105
	ds_write2_b64 v202, v[20:21], v[22:23] offset0:106 offset1:107
	;; [unrolled: 1-line block ×6, first 2 shown]
	s_waitcnt vmcnt(39)
	ds_write2_b64 v202, v[0:1], v[2:3] offset0:116 offset1:117
	s_waitcnt vmcnt(36)
	ds_write2_b64 v202, v[236:237], v[238:239] offset0:118 offset1:119
	ds_read2_b64 v[208:211], v201 offset1:1
	s_waitcnt lgkmcnt(0)
	v_cmp_neq_f64_e32 vcc, 0, v[208:209]
	v_cmp_neq_f64_e64 s[2:3], 0, v[210:211]
	s_or_b64 s[2:3], vcc, s[2:3]
	s_and_b64 exec, exec, s[2:3]
	s_cbranch_execz .LBB119_179
; %bb.174:
	v_cmp_ngt_f64_e64 s[2:3], |v[208:209]|, |v[210:211]|
                                        ; implicit-def: $vgpr204_vgpr205
	s_and_saveexec_b64 s[10:11], s[2:3]
	s_xor_b64 s[2:3], exec, s[10:11]
                                        ; implicit-def: $vgpr206_vgpr207
	s_cbranch_execz .LBB119_176
; %bb.175:
	v_div_scale_f64 v[204:205], s[10:11], v[210:211], v[210:211], v[208:209]
	v_rcp_f64_e32 v[206:207], v[204:205]
	v_div_scale_f64 v[212:213], vcc, v[208:209], v[210:211], v[208:209]
	v_fma_f64 v[214:215], -v[204:205], v[206:207], 1.0
	v_fmac_f64_e32 v[206:207], v[206:207], v[214:215]
	v_fma_f64 v[214:215], -v[204:205], v[206:207], 1.0
	v_fmac_f64_e32 v[206:207], v[206:207], v[214:215]
	v_mul_f64 v[214:215], v[212:213], v[206:207]
	v_fma_f64 v[204:205], -v[204:205], v[214:215], v[212:213]
	v_div_fmas_f64 v[204:205], v[204:205], v[206:207], v[214:215]
	v_div_fixup_f64 v[204:205], v[204:205], v[210:211], v[208:209]
	v_fmac_f64_e32 v[210:211], v[208:209], v[204:205]
	v_div_scale_f64 v[206:207], s[10:11], v[210:211], v[210:211], 1.0
	v_rcp_f64_e32 v[208:209], v[206:207]
	s_nop 0
	v_fma_f64 v[212:213], -v[206:207], v[208:209], 1.0
	v_fmac_f64_e32 v[208:209], v[208:209], v[212:213]
	v_fma_f64 v[212:213], -v[206:207], v[208:209], 1.0
	v_fmac_f64_e32 v[208:209], v[208:209], v[212:213]
	v_div_scale_f64 v[212:213], vcc, 1.0, v[210:211], 1.0
	v_mul_f64 v[214:215], v[212:213], v[208:209]
	v_fma_f64 v[206:207], -v[206:207], v[214:215], v[212:213]
	s_nop 1
	v_div_fmas_f64 v[206:207], v[206:207], v[208:209], v[214:215]
	v_div_fixup_f64 v[206:207], v[206:207], v[210:211], 1.0
	v_mul_f64 v[204:205], v[204:205], v[206:207]
	v_xor_b32_e32 v207, 0x80000000, v207
                                        ; implicit-def: $vgpr208_vgpr209
.LBB119_176:
	s_andn2_saveexec_b64 s[2:3], s[2:3]
	s_cbranch_execz .LBB119_178
; %bb.177:
	v_div_scale_f64 v[204:205], s[10:11], v[208:209], v[208:209], v[210:211]
	v_rcp_f64_e32 v[206:207], v[204:205]
	v_div_scale_f64 v[212:213], vcc, v[210:211], v[208:209], v[210:211]
	v_fma_f64 v[214:215], -v[204:205], v[206:207], 1.0
	v_fmac_f64_e32 v[206:207], v[206:207], v[214:215]
	v_fma_f64 v[214:215], -v[204:205], v[206:207], 1.0
	v_fmac_f64_e32 v[206:207], v[206:207], v[214:215]
	v_mul_f64 v[214:215], v[212:213], v[206:207]
	v_fma_f64 v[204:205], -v[204:205], v[214:215], v[212:213]
	v_div_fmas_f64 v[204:205], v[204:205], v[206:207], v[214:215]
	v_div_fixup_f64 v[206:207], v[204:205], v[208:209], v[210:211]
	v_fmac_f64_e32 v[208:209], v[210:211], v[206:207]
	v_div_scale_f64 v[204:205], s[10:11], v[208:209], v[208:209], 1.0
	v_rcp_f64_e32 v[210:211], v[204:205]
	s_nop 0
	v_fma_f64 v[212:213], -v[204:205], v[210:211], 1.0
	v_fmac_f64_e32 v[210:211], v[210:211], v[212:213]
	v_fma_f64 v[212:213], -v[204:205], v[210:211], 1.0
	v_fmac_f64_e32 v[210:211], v[210:211], v[212:213]
	v_div_scale_f64 v[212:213], vcc, 1.0, v[208:209], 1.0
	v_mul_f64 v[214:215], v[212:213], v[210:211]
	v_fma_f64 v[204:205], -v[204:205], v[214:215], v[212:213]
	s_nop 1
	v_div_fmas_f64 v[204:205], v[204:205], v[210:211], v[214:215]
	v_div_fixup_f64 v[204:205], v[204:205], v[208:209], 1.0
	v_mul_f64 v[206:207], v[206:207], -v[204:205]
.LBB119_178:
	s_or_b64 exec, exec, s[2:3]
	ds_write2_b64 v201, v[204:205], v[206:207] offset1:1
.LBB119_179:
	s_or_b64 exec, exec, s[4:5]
	s_waitcnt lgkmcnt(0)
	s_barrier
	ds_read2_b64 v[192:195], v201 offset1:1
	v_cmp_lt_u32_e32 vcc, 19, v200
	s_waitcnt lgkmcnt(0)
	scratch_store_dwordx4 off, v[192:195], off offset:944 ; 16-byte Folded Spill
	s_and_saveexec_b64 s[2:3], vcc
	s_cbranch_execz .LBB119_181
; %bb.180:
	scratch_load_dwordx4 v[192:195], off, off offset:944 ; 16-byte Folded Reload
	s_waitcnt vmcnt(0)
	v_mul_f64 v[204:205], v[194:195], v[158:159]
	v_fma_f64 v[208:209], v[192:193], v[156:157], -v[204:205]
	ds_read2_b64 v[204:207], v202 offset0:40 offset1:41
	v_mul_f64 v[158:159], v[192:193], v[158:159]
	v_fmac_f64_e32 v[158:159], v[194:195], v[156:157]
	s_waitcnt lgkmcnt(0)
	v_mul_f64 v[156:157], v[206:207], v[158:159]
	v_fma_f64 v[156:157], v[204:205], v[208:209], -v[156:157]
	v_mul_f64 v[204:205], v[204:205], v[158:159]
	v_fmac_f64_e32 v[204:205], v[206:207], v[208:209]
	v_add_f64 v[154:155], v[154:155], -v[204:205]
	ds_read2_b64 v[204:207], v202 offset0:42 offset1:43
	v_add_f64 v[152:153], v[152:153], -v[156:157]
	s_waitcnt lgkmcnt(0)
	v_mul_f64 v[156:157], v[206:207], v[158:159]
	v_fma_f64 v[156:157], v[204:205], v[208:209], -v[156:157]
	v_mul_f64 v[204:205], v[204:205], v[158:159]
	v_fmac_f64_e32 v[204:205], v[206:207], v[208:209]
	v_add_f64 v[150:151], v[150:151], -v[204:205]
	ds_read2_b64 v[204:207], v202 offset0:44 offset1:45
	v_add_f64 v[148:149], v[148:149], -v[156:157]
	;; [unrolled: 8-line block ×39, first 2 shown]
	s_waitcnt lgkmcnt(0)
	v_mul_f64 v[156:157], v[206:207], v[158:159]
	v_fma_f64 v[156:157], v[204:205], v[208:209], -v[156:157]
	v_mul_f64 v[204:205], v[204:205], v[158:159]
	v_fmac_f64_e32 v[204:205], v[206:207], v[208:209]
	v_add_f64 v[236:237], v[236:237], -v[156:157]
	v_add_f64 v[238:239], v[238:239], -v[204:205]
	v_mov_b64_e32 v[156:157], v[208:209]
.LBB119_181:
	s_or_b64 exec, exec, s[2:3]
	v_cmp_eq_u32_e32 vcc, 20, v200
	s_waitcnt vmcnt(63) expcnt(7) lgkmcnt(15)
	s_barrier
	s_and_saveexec_b64 s[4:5], vcc
	s_cbranch_execz .LBB119_188
; %bb.182:
	ds_write2_b64 v201, v[152:153], v[154:155] offset1:1
	ds_write2_b64 v202, v[148:149], v[150:151] offset0:42 offset1:43
	ds_write2_b64 v202, v[144:145], v[146:147] offset0:44 offset1:45
	;; [unrolled: 1-line block ×20, first 2 shown]
	s_waitcnt vmcnt(51)
	ds_write2_b64 v202, v[68:69], v[70:71] offset0:82 offset1:83
	s_waitcnt vmcnt(50)
	ds_write2_b64 v202, v[64:65], v[66:67] offset0:84 offset1:85
	;; [unrolled: 2-line block ×11, first 2 shown]
	ds_write2_b64 v202, v[24:25], v[26:27] offset0:104 offset1:105
	ds_write2_b64 v202, v[20:21], v[22:23] offset0:106 offset1:107
	;; [unrolled: 1-line block ×6, first 2 shown]
	s_waitcnt vmcnt(40)
	ds_write2_b64 v202, v[0:1], v[2:3] offset0:116 offset1:117
	s_waitcnt vmcnt(37)
	ds_write2_b64 v202, v[236:237], v[238:239] offset0:118 offset1:119
	ds_read2_b64 v[208:211], v201 offset1:1
	s_waitcnt lgkmcnt(0)
	v_cmp_neq_f64_e32 vcc, 0, v[208:209]
	v_cmp_neq_f64_e64 s[2:3], 0, v[210:211]
	s_or_b64 s[2:3], vcc, s[2:3]
	s_and_b64 exec, exec, s[2:3]
	s_cbranch_execz .LBB119_188
; %bb.183:
	v_cmp_ngt_f64_e64 s[2:3], |v[208:209]|, |v[210:211]|
                                        ; implicit-def: $vgpr204_vgpr205
	s_and_saveexec_b64 s[10:11], s[2:3]
	s_xor_b64 s[2:3], exec, s[10:11]
                                        ; implicit-def: $vgpr206_vgpr207
	s_cbranch_execz .LBB119_185
; %bb.184:
	v_div_scale_f64 v[204:205], s[10:11], v[210:211], v[210:211], v[208:209]
	v_rcp_f64_e32 v[206:207], v[204:205]
	v_div_scale_f64 v[212:213], vcc, v[208:209], v[210:211], v[208:209]
	v_fma_f64 v[214:215], -v[204:205], v[206:207], 1.0
	v_fmac_f64_e32 v[206:207], v[206:207], v[214:215]
	v_fma_f64 v[214:215], -v[204:205], v[206:207], 1.0
	v_fmac_f64_e32 v[206:207], v[206:207], v[214:215]
	v_mul_f64 v[214:215], v[212:213], v[206:207]
	v_fma_f64 v[204:205], -v[204:205], v[214:215], v[212:213]
	v_div_fmas_f64 v[204:205], v[204:205], v[206:207], v[214:215]
	v_div_fixup_f64 v[204:205], v[204:205], v[210:211], v[208:209]
	v_fmac_f64_e32 v[210:211], v[208:209], v[204:205]
	v_div_scale_f64 v[206:207], s[10:11], v[210:211], v[210:211], 1.0
	v_rcp_f64_e32 v[208:209], v[206:207]
	s_nop 0
	v_fma_f64 v[212:213], -v[206:207], v[208:209], 1.0
	v_fmac_f64_e32 v[208:209], v[208:209], v[212:213]
	v_fma_f64 v[212:213], -v[206:207], v[208:209], 1.0
	v_fmac_f64_e32 v[208:209], v[208:209], v[212:213]
	v_div_scale_f64 v[212:213], vcc, 1.0, v[210:211], 1.0
	v_mul_f64 v[214:215], v[212:213], v[208:209]
	v_fma_f64 v[206:207], -v[206:207], v[214:215], v[212:213]
	s_nop 1
	v_div_fmas_f64 v[206:207], v[206:207], v[208:209], v[214:215]
	v_div_fixup_f64 v[206:207], v[206:207], v[210:211], 1.0
	v_mul_f64 v[204:205], v[204:205], v[206:207]
	v_xor_b32_e32 v207, 0x80000000, v207
                                        ; implicit-def: $vgpr208_vgpr209
.LBB119_185:
	s_andn2_saveexec_b64 s[2:3], s[2:3]
	s_cbranch_execz .LBB119_187
; %bb.186:
	v_div_scale_f64 v[204:205], s[10:11], v[208:209], v[208:209], v[210:211]
	v_rcp_f64_e32 v[206:207], v[204:205]
	v_div_scale_f64 v[212:213], vcc, v[210:211], v[208:209], v[210:211]
	v_fma_f64 v[214:215], -v[204:205], v[206:207], 1.0
	v_fmac_f64_e32 v[206:207], v[206:207], v[214:215]
	v_fma_f64 v[214:215], -v[204:205], v[206:207], 1.0
	v_fmac_f64_e32 v[206:207], v[206:207], v[214:215]
	v_mul_f64 v[214:215], v[212:213], v[206:207]
	v_fma_f64 v[204:205], -v[204:205], v[214:215], v[212:213]
	v_div_fmas_f64 v[204:205], v[204:205], v[206:207], v[214:215]
	v_div_fixup_f64 v[206:207], v[204:205], v[208:209], v[210:211]
	v_fmac_f64_e32 v[208:209], v[210:211], v[206:207]
	v_div_scale_f64 v[204:205], s[10:11], v[208:209], v[208:209], 1.0
	v_rcp_f64_e32 v[210:211], v[204:205]
	s_nop 0
	v_fma_f64 v[212:213], -v[204:205], v[210:211], 1.0
	v_fmac_f64_e32 v[210:211], v[210:211], v[212:213]
	v_fma_f64 v[212:213], -v[204:205], v[210:211], 1.0
	v_fmac_f64_e32 v[210:211], v[210:211], v[212:213]
	v_div_scale_f64 v[212:213], vcc, 1.0, v[208:209], 1.0
	v_mul_f64 v[214:215], v[212:213], v[210:211]
	v_fma_f64 v[204:205], -v[204:205], v[214:215], v[212:213]
	s_nop 1
	v_div_fmas_f64 v[204:205], v[204:205], v[210:211], v[214:215]
	v_div_fixup_f64 v[204:205], v[204:205], v[208:209], 1.0
	v_mul_f64 v[206:207], v[206:207], -v[204:205]
.LBB119_187:
	s_or_b64 exec, exec, s[2:3]
	ds_write2_b64 v201, v[204:205], v[206:207] offset1:1
.LBB119_188:
	s_or_b64 exec, exec, s[4:5]
	s_waitcnt lgkmcnt(0)
	s_barrier
	ds_read2_b64 v[192:195], v201 offset1:1
	v_cmp_lt_u32_e32 vcc, 20, v200
	s_waitcnt lgkmcnt(0)
	scratch_store_dwordx4 off, v[192:195], off offset:960 ; 16-byte Folded Spill
	s_and_saveexec_b64 s[2:3], vcc
	s_cbranch_execz .LBB119_190
; %bb.189:
	scratch_load_dwordx4 v[192:195], off, off offset:960 ; 16-byte Folded Reload
	s_waitcnt vmcnt(0)
	v_mul_f64 v[204:205], v[194:195], v[154:155]
	v_fma_f64 v[208:209], v[192:193], v[152:153], -v[204:205]
	ds_read2_b64 v[204:207], v202 offset0:42 offset1:43
	v_mul_f64 v[154:155], v[192:193], v[154:155]
	v_fmac_f64_e32 v[154:155], v[194:195], v[152:153]
	s_waitcnt lgkmcnt(0)
	v_mul_f64 v[152:153], v[206:207], v[154:155]
	v_fma_f64 v[152:153], v[204:205], v[208:209], -v[152:153]
	v_mul_f64 v[204:205], v[204:205], v[154:155]
	v_fmac_f64_e32 v[204:205], v[206:207], v[208:209]
	v_add_f64 v[150:151], v[150:151], -v[204:205]
	ds_read2_b64 v[204:207], v202 offset0:44 offset1:45
	v_add_f64 v[148:149], v[148:149], -v[152:153]
	s_waitcnt lgkmcnt(0)
	v_mul_f64 v[152:153], v[206:207], v[154:155]
	v_fma_f64 v[152:153], v[204:205], v[208:209], -v[152:153]
	v_mul_f64 v[204:205], v[204:205], v[154:155]
	v_fmac_f64_e32 v[204:205], v[206:207], v[208:209]
	v_add_f64 v[146:147], v[146:147], -v[204:205]
	ds_read2_b64 v[204:207], v202 offset0:46 offset1:47
	v_add_f64 v[144:145], v[144:145], -v[152:153]
	;; [unrolled: 8-line block ×38, first 2 shown]
	s_waitcnt lgkmcnt(0)
	v_mul_f64 v[152:153], v[206:207], v[154:155]
	v_fma_f64 v[152:153], v[204:205], v[208:209], -v[152:153]
	v_mul_f64 v[204:205], v[204:205], v[154:155]
	v_fmac_f64_e32 v[204:205], v[206:207], v[208:209]
	v_add_f64 v[236:237], v[236:237], -v[152:153]
	v_add_f64 v[238:239], v[238:239], -v[204:205]
	v_mov_b64_e32 v[152:153], v[208:209]
.LBB119_190:
	s_or_b64 exec, exec, s[2:3]
	v_cmp_eq_u32_e32 vcc, 21, v200
	s_waitcnt vmcnt(63) expcnt(7) lgkmcnt(15)
	s_barrier
	s_and_saveexec_b64 s[4:5], vcc
	s_cbranch_execz .LBB119_197
; %bb.191:
	ds_write2_b64 v201, v[148:149], v[150:151] offset1:1
	ds_write2_b64 v202, v[144:145], v[146:147] offset0:44 offset1:45
	ds_write2_b64 v202, v[140:141], v[142:143] offset0:46 offset1:47
	;; [unrolled: 1-line block ×19, first 2 shown]
	s_waitcnt vmcnt(52)
	ds_write2_b64 v202, v[68:69], v[70:71] offset0:82 offset1:83
	s_waitcnt vmcnt(51)
	ds_write2_b64 v202, v[64:65], v[66:67] offset0:84 offset1:85
	;; [unrolled: 2-line block ×11, first 2 shown]
	ds_write2_b64 v202, v[24:25], v[26:27] offset0:104 offset1:105
	ds_write2_b64 v202, v[20:21], v[22:23] offset0:106 offset1:107
	;; [unrolled: 1-line block ×6, first 2 shown]
	s_waitcnt vmcnt(41)
	ds_write2_b64 v202, v[0:1], v[2:3] offset0:116 offset1:117
	s_waitcnt vmcnt(38)
	ds_write2_b64 v202, v[236:237], v[238:239] offset0:118 offset1:119
	ds_read2_b64 v[208:211], v201 offset1:1
	s_waitcnt lgkmcnt(0)
	v_cmp_neq_f64_e32 vcc, 0, v[208:209]
	v_cmp_neq_f64_e64 s[2:3], 0, v[210:211]
	s_or_b64 s[2:3], vcc, s[2:3]
	s_and_b64 exec, exec, s[2:3]
	s_cbranch_execz .LBB119_197
; %bb.192:
	v_cmp_ngt_f64_e64 s[2:3], |v[208:209]|, |v[210:211]|
                                        ; implicit-def: $vgpr204_vgpr205
	s_and_saveexec_b64 s[10:11], s[2:3]
	s_xor_b64 s[2:3], exec, s[10:11]
                                        ; implicit-def: $vgpr206_vgpr207
	s_cbranch_execz .LBB119_194
; %bb.193:
	v_div_scale_f64 v[204:205], s[10:11], v[210:211], v[210:211], v[208:209]
	v_rcp_f64_e32 v[206:207], v[204:205]
	v_div_scale_f64 v[212:213], vcc, v[208:209], v[210:211], v[208:209]
	v_fma_f64 v[214:215], -v[204:205], v[206:207], 1.0
	v_fmac_f64_e32 v[206:207], v[206:207], v[214:215]
	v_fma_f64 v[214:215], -v[204:205], v[206:207], 1.0
	v_fmac_f64_e32 v[206:207], v[206:207], v[214:215]
	v_mul_f64 v[214:215], v[212:213], v[206:207]
	v_fma_f64 v[204:205], -v[204:205], v[214:215], v[212:213]
	v_div_fmas_f64 v[204:205], v[204:205], v[206:207], v[214:215]
	v_div_fixup_f64 v[204:205], v[204:205], v[210:211], v[208:209]
	v_fmac_f64_e32 v[210:211], v[208:209], v[204:205]
	v_div_scale_f64 v[206:207], s[10:11], v[210:211], v[210:211], 1.0
	v_rcp_f64_e32 v[208:209], v[206:207]
	s_nop 0
	v_fma_f64 v[212:213], -v[206:207], v[208:209], 1.0
	v_fmac_f64_e32 v[208:209], v[208:209], v[212:213]
	v_fma_f64 v[212:213], -v[206:207], v[208:209], 1.0
	v_fmac_f64_e32 v[208:209], v[208:209], v[212:213]
	v_div_scale_f64 v[212:213], vcc, 1.0, v[210:211], 1.0
	v_mul_f64 v[214:215], v[212:213], v[208:209]
	v_fma_f64 v[206:207], -v[206:207], v[214:215], v[212:213]
	s_nop 1
	v_div_fmas_f64 v[206:207], v[206:207], v[208:209], v[214:215]
	v_div_fixup_f64 v[206:207], v[206:207], v[210:211], 1.0
	v_mul_f64 v[204:205], v[204:205], v[206:207]
	v_xor_b32_e32 v207, 0x80000000, v207
                                        ; implicit-def: $vgpr208_vgpr209
.LBB119_194:
	s_andn2_saveexec_b64 s[2:3], s[2:3]
	s_cbranch_execz .LBB119_196
; %bb.195:
	v_div_scale_f64 v[204:205], s[10:11], v[208:209], v[208:209], v[210:211]
	v_rcp_f64_e32 v[206:207], v[204:205]
	v_div_scale_f64 v[212:213], vcc, v[210:211], v[208:209], v[210:211]
	v_fma_f64 v[214:215], -v[204:205], v[206:207], 1.0
	v_fmac_f64_e32 v[206:207], v[206:207], v[214:215]
	v_fma_f64 v[214:215], -v[204:205], v[206:207], 1.0
	v_fmac_f64_e32 v[206:207], v[206:207], v[214:215]
	v_mul_f64 v[214:215], v[212:213], v[206:207]
	v_fma_f64 v[204:205], -v[204:205], v[214:215], v[212:213]
	v_div_fmas_f64 v[204:205], v[204:205], v[206:207], v[214:215]
	v_div_fixup_f64 v[206:207], v[204:205], v[208:209], v[210:211]
	v_fmac_f64_e32 v[208:209], v[210:211], v[206:207]
	v_div_scale_f64 v[204:205], s[10:11], v[208:209], v[208:209], 1.0
	v_rcp_f64_e32 v[210:211], v[204:205]
	s_nop 0
	v_fma_f64 v[212:213], -v[204:205], v[210:211], 1.0
	v_fmac_f64_e32 v[210:211], v[210:211], v[212:213]
	v_fma_f64 v[212:213], -v[204:205], v[210:211], 1.0
	v_fmac_f64_e32 v[210:211], v[210:211], v[212:213]
	v_div_scale_f64 v[212:213], vcc, 1.0, v[208:209], 1.0
	v_mul_f64 v[214:215], v[212:213], v[210:211]
	v_fma_f64 v[204:205], -v[204:205], v[214:215], v[212:213]
	s_nop 1
	v_div_fmas_f64 v[204:205], v[204:205], v[210:211], v[214:215]
	v_div_fixup_f64 v[204:205], v[204:205], v[208:209], 1.0
	v_mul_f64 v[206:207], v[206:207], -v[204:205]
.LBB119_196:
	s_or_b64 exec, exec, s[2:3]
	ds_write2_b64 v201, v[204:205], v[206:207] offset1:1
.LBB119_197:
	s_or_b64 exec, exec, s[4:5]
	s_waitcnt lgkmcnt(0)
	s_barrier
	ds_read2_b64 v[192:195], v201 offset1:1
	v_cmp_lt_u32_e32 vcc, 21, v200
	s_waitcnt lgkmcnt(0)
	scratch_store_dwordx4 off, v[192:195], off offset:976 ; 16-byte Folded Spill
	s_and_saveexec_b64 s[2:3], vcc
	s_cbranch_execz .LBB119_199
; %bb.198:
	scratch_load_dwordx4 v[192:195], off, off offset:976 ; 16-byte Folded Reload
	s_waitcnt vmcnt(0)
	v_mul_f64 v[204:205], v[194:195], v[150:151]
	v_fma_f64 v[208:209], v[192:193], v[148:149], -v[204:205]
	ds_read2_b64 v[204:207], v202 offset0:44 offset1:45
	v_mul_f64 v[150:151], v[192:193], v[150:151]
	v_fmac_f64_e32 v[150:151], v[194:195], v[148:149]
	s_waitcnt lgkmcnt(0)
	v_mul_f64 v[148:149], v[206:207], v[150:151]
	v_fma_f64 v[148:149], v[204:205], v[208:209], -v[148:149]
	v_mul_f64 v[204:205], v[204:205], v[150:151]
	v_fmac_f64_e32 v[204:205], v[206:207], v[208:209]
	v_add_f64 v[146:147], v[146:147], -v[204:205]
	ds_read2_b64 v[204:207], v202 offset0:46 offset1:47
	v_add_f64 v[144:145], v[144:145], -v[148:149]
	s_waitcnt lgkmcnt(0)
	v_mul_f64 v[148:149], v[206:207], v[150:151]
	v_fma_f64 v[148:149], v[204:205], v[208:209], -v[148:149]
	v_mul_f64 v[204:205], v[204:205], v[150:151]
	v_fmac_f64_e32 v[204:205], v[206:207], v[208:209]
	v_add_f64 v[142:143], v[142:143], -v[204:205]
	ds_read2_b64 v[204:207], v202 offset0:48 offset1:49
	v_add_f64 v[140:141], v[140:141], -v[148:149]
	;; [unrolled: 8-line block ×37, first 2 shown]
	s_waitcnt lgkmcnt(0)
	v_mul_f64 v[148:149], v[206:207], v[150:151]
	v_fma_f64 v[148:149], v[204:205], v[208:209], -v[148:149]
	v_mul_f64 v[204:205], v[204:205], v[150:151]
	v_fmac_f64_e32 v[204:205], v[206:207], v[208:209]
	v_add_f64 v[236:237], v[236:237], -v[148:149]
	v_add_f64 v[238:239], v[238:239], -v[204:205]
	v_mov_b64_e32 v[148:149], v[208:209]
.LBB119_199:
	s_or_b64 exec, exec, s[2:3]
	v_cmp_eq_u32_e32 vcc, 22, v200
	s_waitcnt vmcnt(63) expcnt(7) lgkmcnt(15)
	s_barrier
	s_and_saveexec_b64 s[4:5], vcc
	s_cbranch_execz .LBB119_206
; %bb.200:
	ds_write2_b64 v201, v[144:145], v[146:147] offset1:1
	ds_write2_b64 v202, v[140:141], v[142:143] offset0:46 offset1:47
	ds_write2_b64 v202, v[136:137], v[138:139] offset0:48 offset1:49
	;; [unrolled: 1-line block ×18, first 2 shown]
	s_waitcnt vmcnt(53)
	ds_write2_b64 v202, v[68:69], v[70:71] offset0:82 offset1:83
	s_waitcnt vmcnt(52)
	ds_write2_b64 v202, v[64:65], v[66:67] offset0:84 offset1:85
	;; [unrolled: 2-line block ×11, first 2 shown]
	ds_write2_b64 v202, v[24:25], v[26:27] offset0:104 offset1:105
	ds_write2_b64 v202, v[20:21], v[22:23] offset0:106 offset1:107
	;; [unrolled: 1-line block ×6, first 2 shown]
	s_waitcnt vmcnt(42)
	ds_write2_b64 v202, v[0:1], v[2:3] offset0:116 offset1:117
	s_waitcnt vmcnt(39)
	ds_write2_b64 v202, v[236:237], v[238:239] offset0:118 offset1:119
	ds_read2_b64 v[208:211], v201 offset1:1
	s_waitcnt lgkmcnt(0)
	v_cmp_neq_f64_e32 vcc, 0, v[208:209]
	v_cmp_neq_f64_e64 s[2:3], 0, v[210:211]
	s_or_b64 s[2:3], vcc, s[2:3]
	s_and_b64 exec, exec, s[2:3]
	s_cbranch_execz .LBB119_206
; %bb.201:
	v_cmp_ngt_f64_e64 s[2:3], |v[208:209]|, |v[210:211]|
                                        ; implicit-def: $vgpr204_vgpr205
	s_and_saveexec_b64 s[10:11], s[2:3]
	s_xor_b64 s[2:3], exec, s[10:11]
                                        ; implicit-def: $vgpr206_vgpr207
	s_cbranch_execz .LBB119_203
; %bb.202:
	v_div_scale_f64 v[204:205], s[10:11], v[210:211], v[210:211], v[208:209]
	v_rcp_f64_e32 v[206:207], v[204:205]
	v_div_scale_f64 v[212:213], vcc, v[208:209], v[210:211], v[208:209]
	v_fma_f64 v[214:215], -v[204:205], v[206:207], 1.0
	v_fmac_f64_e32 v[206:207], v[206:207], v[214:215]
	v_fma_f64 v[214:215], -v[204:205], v[206:207], 1.0
	v_fmac_f64_e32 v[206:207], v[206:207], v[214:215]
	v_mul_f64 v[214:215], v[212:213], v[206:207]
	v_fma_f64 v[204:205], -v[204:205], v[214:215], v[212:213]
	v_div_fmas_f64 v[204:205], v[204:205], v[206:207], v[214:215]
	v_div_fixup_f64 v[204:205], v[204:205], v[210:211], v[208:209]
	v_fmac_f64_e32 v[210:211], v[208:209], v[204:205]
	v_div_scale_f64 v[206:207], s[10:11], v[210:211], v[210:211], 1.0
	v_rcp_f64_e32 v[208:209], v[206:207]
	s_nop 0
	v_fma_f64 v[212:213], -v[206:207], v[208:209], 1.0
	v_fmac_f64_e32 v[208:209], v[208:209], v[212:213]
	v_fma_f64 v[212:213], -v[206:207], v[208:209], 1.0
	v_fmac_f64_e32 v[208:209], v[208:209], v[212:213]
	v_div_scale_f64 v[212:213], vcc, 1.0, v[210:211], 1.0
	v_mul_f64 v[214:215], v[212:213], v[208:209]
	v_fma_f64 v[206:207], -v[206:207], v[214:215], v[212:213]
	s_nop 1
	v_div_fmas_f64 v[206:207], v[206:207], v[208:209], v[214:215]
	v_div_fixup_f64 v[206:207], v[206:207], v[210:211], 1.0
	v_mul_f64 v[204:205], v[204:205], v[206:207]
	v_xor_b32_e32 v207, 0x80000000, v207
                                        ; implicit-def: $vgpr208_vgpr209
.LBB119_203:
	s_andn2_saveexec_b64 s[2:3], s[2:3]
	s_cbranch_execz .LBB119_205
; %bb.204:
	v_div_scale_f64 v[204:205], s[10:11], v[208:209], v[208:209], v[210:211]
	v_rcp_f64_e32 v[206:207], v[204:205]
	v_div_scale_f64 v[212:213], vcc, v[210:211], v[208:209], v[210:211]
	v_fma_f64 v[214:215], -v[204:205], v[206:207], 1.0
	v_fmac_f64_e32 v[206:207], v[206:207], v[214:215]
	v_fma_f64 v[214:215], -v[204:205], v[206:207], 1.0
	v_fmac_f64_e32 v[206:207], v[206:207], v[214:215]
	v_mul_f64 v[214:215], v[212:213], v[206:207]
	v_fma_f64 v[204:205], -v[204:205], v[214:215], v[212:213]
	v_div_fmas_f64 v[204:205], v[204:205], v[206:207], v[214:215]
	v_div_fixup_f64 v[206:207], v[204:205], v[208:209], v[210:211]
	v_fmac_f64_e32 v[208:209], v[210:211], v[206:207]
	v_div_scale_f64 v[204:205], s[10:11], v[208:209], v[208:209], 1.0
	v_rcp_f64_e32 v[210:211], v[204:205]
	s_nop 0
	v_fma_f64 v[212:213], -v[204:205], v[210:211], 1.0
	v_fmac_f64_e32 v[210:211], v[210:211], v[212:213]
	v_fma_f64 v[212:213], -v[204:205], v[210:211], 1.0
	v_fmac_f64_e32 v[210:211], v[210:211], v[212:213]
	v_div_scale_f64 v[212:213], vcc, 1.0, v[208:209], 1.0
	v_mul_f64 v[214:215], v[212:213], v[210:211]
	v_fma_f64 v[204:205], -v[204:205], v[214:215], v[212:213]
	s_nop 1
	v_div_fmas_f64 v[204:205], v[204:205], v[210:211], v[214:215]
	v_div_fixup_f64 v[204:205], v[204:205], v[208:209], 1.0
	v_mul_f64 v[206:207], v[206:207], -v[204:205]
.LBB119_205:
	s_or_b64 exec, exec, s[2:3]
	ds_write2_b64 v201, v[204:205], v[206:207] offset1:1
.LBB119_206:
	s_or_b64 exec, exec, s[4:5]
	s_waitcnt lgkmcnt(0)
	s_barrier
	ds_read2_b64 v[192:195], v201 offset1:1
	v_cmp_lt_u32_e32 vcc, 22, v200
	s_waitcnt lgkmcnt(0)
	scratch_store_dwordx4 off, v[192:195], off offset:992 ; 16-byte Folded Spill
	s_and_saveexec_b64 s[2:3], vcc
	s_cbranch_execz .LBB119_208
; %bb.207:
	scratch_load_dwordx4 v[192:195], off, off offset:992 ; 16-byte Folded Reload
	s_waitcnt vmcnt(0)
	v_mul_f64 v[204:205], v[194:195], v[146:147]
	v_fma_f64 v[208:209], v[192:193], v[144:145], -v[204:205]
	ds_read2_b64 v[204:207], v202 offset0:46 offset1:47
	v_mul_f64 v[146:147], v[192:193], v[146:147]
	v_fmac_f64_e32 v[146:147], v[194:195], v[144:145]
	s_waitcnt lgkmcnt(0)
	v_mul_f64 v[144:145], v[206:207], v[146:147]
	v_fma_f64 v[144:145], v[204:205], v[208:209], -v[144:145]
	v_mul_f64 v[204:205], v[204:205], v[146:147]
	v_fmac_f64_e32 v[204:205], v[206:207], v[208:209]
	v_add_f64 v[142:143], v[142:143], -v[204:205]
	ds_read2_b64 v[204:207], v202 offset0:48 offset1:49
	v_add_f64 v[140:141], v[140:141], -v[144:145]
	s_waitcnt lgkmcnt(0)
	v_mul_f64 v[144:145], v[206:207], v[146:147]
	v_fma_f64 v[144:145], v[204:205], v[208:209], -v[144:145]
	v_mul_f64 v[204:205], v[204:205], v[146:147]
	v_fmac_f64_e32 v[204:205], v[206:207], v[208:209]
	v_add_f64 v[138:139], v[138:139], -v[204:205]
	ds_read2_b64 v[204:207], v202 offset0:50 offset1:51
	v_add_f64 v[136:137], v[136:137], -v[144:145]
	s_waitcnt lgkmcnt(0)
	v_mul_f64 v[144:145], v[206:207], v[146:147]
	v_fma_f64 v[144:145], v[204:205], v[208:209], -v[144:145]
	v_mul_f64 v[204:205], v[204:205], v[146:147]
	v_fmac_f64_e32 v[204:205], v[206:207], v[208:209]
	v_add_f64 v[134:135], v[134:135], -v[204:205]
	ds_read2_b64 v[204:207], v202 offset0:52 offset1:53
	v_add_f64 v[132:133], v[132:133], -v[144:145]
	s_waitcnt lgkmcnt(0)
	v_mul_f64 v[144:145], v[206:207], v[146:147]
	v_fma_f64 v[144:145], v[204:205], v[208:209], -v[144:145]
	v_mul_f64 v[204:205], v[204:205], v[146:147]
	v_fmac_f64_e32 v[204:205], v[206:207], v[208:209]
	v_add_f64 v[130:131], v[130:131], -v[204:205]
	ds_read2_b64 v[204:207], v202 offset0:54 offset1:55
	v_add_f64 v[128:129], v[128:129], -v[144:145]
	s_waitcnt lgkmcnt(0)
	v_mul_f64 v[144:145], v[206:207], v[146:147]
	v_fma_f64 v[144:145], v[204:205], v[208:209], -v[144:145]
	v_mul_f64 v[204:205], v[204:205], v[146:147]
	v_fmac_f64_e32 v[204:205], v[206:207], v[208:209]
	v_add_f64 v[126:127], v[126:127], -v[204:205]
	ds_read2_b64 v[204:207], v202 offset0:56 offset1:57
	v_add_f64 v[124:125], v[124:125], -v[144:145]
	s_waitcnt lgkmcnt(0)
	v_mul_f64 v[144:145], v[206:207], v[146:147]
	v_fma_f64 v[144:145], v[204:205], v[208:209], -v[144:145]
	v_mul_f64 v[204:205], v[204:205], v[146:147]
	v_fmac_f64_e32 v[204:205], v[206:207], v[208:209]
	v_add_f64 v[122:123], v[122:123], -v[204:205]
	ds_read2_b64 v[204:207], v202 offset0:58 offset1:59
	v_add_f64 v[120:121], v[120:121], -v[144:145]
	s_waitcnt lgkmcnt(0)
	v_mul_f64 v[144:145], v[206:207], v[146:147]
	v_fma_f64 v[144:145], v[204:205], v[208:209], -v[144:145]
	v_mul_f64 v[204:205], v[204:205], v[146:147]
	v_fmac_f64_e32 v[204:205], v[206:207], v[208:209]
	v_add_f64 v[118:119], v[118:119], -v[204:205]
	ds_read2_b64 v[204:207], v202 offset0:60 offset1:61
	v_add_f64 v[116:117], v[116:117], -v[144:145]
	s_waitcnt lgkmcnt(0)
	v_mul_f64 v[144:145], v[206:207], v[146:147]
	v_fma_f64 v[144:145], v[204:205], v[208:209], -v[144:145]
	v_mul_f64 v[204:205], v[204:205], v[146:147]
	v_fmac_f64_e32 v[204:205], v[206:207], v[208:209]
	v_add_f64 v[114:115], v[114:115], -v[204:205]
	ds_read2_b64 v[204:207], v202 offset0:62 offset1:63
	v_add_f64 v[112:113], v[112:113], -v[144:145]
	s_waitcnt lgkmcnt(0)
	v_mul_f64 v[144:145], v[206:207], v[146:147]
	v_fma_f64 v[144:145], v[204:205], v[208:209], -v[144:145]
	v_mul_f64 v[204:205], v[204:205], v[146:147]
	v_fmac_f64_e32 v[204:205], v[206:207], v[208:209]
	v_add_f64 v[110:111], v[110:111], -v[204:205]
	ds_read2_b64 v[204:207], v202 offset0:64 offset1:65
	v_add_f64 v[108:109], v[108:109], -v[144:145]
	s_waitcnt lgkmcnt(0)
	v_mul_f64 v[144:145], v[206:207], v[146:147]
	v_fma_f64 v[144:145], v[204:205], v[208:209], -v[144:145]
	v_mul_f64 v[204:205], v[204:205], v[146:147]
	v_fmac_f64_e32 v[204:205], v[206:207], v[208:209]
	v_add_f64 v[106:107], v[106:107], -v[204:205]
	ds_read2_b64 v[204:207], v202 offset0:66 offset1:67
	v_add_f64 v[104:105], v[104:105], -v[144:145]
	s_waitcnt lgkmcnt(0)
	v_mul_f64 v[144:145], v[206:207], v[146:147]
	v_fma_f64 v[144:145], v[204:205], v[208:209], -v[144:145]
	v_mul_f64 v[204:205], v[204:205], v[146:147]
	v_fmac_f64_e32 v[204:205], v[206:207], v[208:209]
	v_add_f64 v[102:103], v[102:103], -v[204:205]
	ds_read2_b64 v[204:207], v202 offset0:68 offset1:69
	v_add_f64 v[100:101], v[100:101], -v[144:145]
	s_waitcnt lgkmcnt(0)
	v_mul_f64 v[144:145], v[206:207], v[146:147]
	v_fma_f64 v[144:145], v[204:205], v[208:209], -v[144:145]
	v_mul_f64 v[204:205], v[204:205], v[146:147]
	v_fmac_f64_e32 v[204:205], v[206:207], v[208:209]
	v_add_f64 v[98:99], v[98:99], -v[204:205]
	ds_read2_b64 v[204:207], v202 offset0:70 offset1:71
	v_add_f64 v[96:97], v[96:97], -v[144:145]
	s_waitcnt lgkmcnt(0)
	v_mul_f64 v[144:145], v[206:207], v[146:147]
	v_fma_f64 v[144:145], v[204:205], v[208:209], -v[144:145]
	v_mul_f64 v[204:205], v[204:205], v[146:147]
	v_fmac_f64_e32 v[204:205], v[206:207], v[208:209]
	v_add_f64 v[94:95], v[94:95], -v[204:205]
	ds_read2_b64 v[204:207], v202 offset0:72 offset1:73
	v_add_f64 v[92:93], v[92:93], -v[144:145]
	s_waitcnt lgkmcnt(0)
	v_mul_f64 v[144:145], v[206:207], v[146:147]
	v_fma_f64 v[144:145], v[204:205], v[208:209], -v[144:145]
	v_mul_f64 v[204:205], v[204:205], v[146:147]
	v_fmac_f64_e32 v[204:205], v[206:207], v[208:209]
	v_add_f64 v[90:91], v[90:91], -v[204:205]
	ds_read2_b64 v[204:207], v202 offset0:74 offset1:75
	v_add_f64 v[88:89], v[88:89], -v[144:145]
	s_waitcnt lgkmcnt(0)
	v_mul_f64 v[144:145], v[206:207], v[146:147]
	v_fma_f64 v[144:145], v[204:205], v[208:209], -v[144:145]
	v_mul_f64 v[204:205], v[204:205], v[146:147]
	v_fmac_f64_e32 v[204:205], v[206:207], v[208:209]
	v_add_f64 v[86:87], v[86:87], -v[204:205]
	ds_read2_b64 v[204:207], v202 offset0:76 offset1:77
	v_add_f64 v[84:85], v[84:85], -v[144:145]
	s_waitcnt lgkmcnt(0)
	v_mul_f64 v[144:145], v[206:207], v[146:147]
	v_fma_f64 v[144:145], v[204:205], v[208:209], -v[144:145]
	v_mul_f64 v[204:205], v[204:205], v[146:147]
	v_fmac_f64_e32 v[204:205], v[206:207], v[208:209]
	v_add_f64 v[82:83], v[82:83], -v[204:205]
	ds_read2_b64 v[204:207], v202 offset0:78 offset1:79
	v_add_f64 v[80:81], v[80:81], -v[144:145]
	s_waitcnt lgkmcnt(0)
	v_mul_f64 v[144:145], v[206:207], v[146:147]
	v_fma_f64 v[144:145], v[204:205], v[208:209], -v[144:145]
	v_mul_f64 v[204:205], v[204:205], v[146:147]
	v_fmac_f64_e32 v[204:205], v[206:207], v[208:209]
	v_add_f64 v[78:79], v[78:79], -v[204:205]
	ds_read2_b64 v[204:207], v202 offset0:80 offset1:81
	v_add_f64 v[76:77], v[76:77], -v[144:145]
	s_waitcnt lgkmcnt(0)
	v_mul_f64 v[144:145], v[206:207], v[146:147]
	v_fma_f64 v[144:145], v[204:205], v[208:209], -v[144:145]
	v_mul_f64 v[204:205], v[204:205], v[146:147]
	v_fmac_f64_e32 v[204:205], v[206:207], v[208:209]
	v_add_f64 v[74:75], v[74:75], -v[204:205]
	ds_read2_b64 v[204:207], v202 offset0:82 offset1:83
	v_add_f64 v[72:73], v[72:73], -v[144:145]
	s_waitcnt lgkmcnt(0)
	v_mul_f64 v[144:145], v[206:207], v[146:147]
	v_fma_f64 v[144:145], v[204:205], v[208:209], -v[144:145]
	v_mul_f64 v[204:205], v[204:205], v[146:147]
	v_fmac_f64_e32 v[204:205], v[206:207], v[208:209]
	v_add_f64 v[70:71], v[70:71], -v[204:205]
	ds_read2_b64 v[204:207], v202 offset0:84 offset1:85
	v_add_f64 v[68:69], v[68:69], -v[144:145]
	s_waitcnt lgkmcnt(0)
	v_mul_f64 v[144:145], v[206:207], v[146:147]
	v_fma_f64 v[144:145], v[204:205], v[208:209], -v[144:145]
	v_mul_f64 v[204:205], v[204:205], v[146:147]
	v_fmac_f64_e32 v[204:205], v[206:207], v[208:209]
	v_add_f64 v[66:67], v[66:67], -v[204:205]
	ds_read2_b64 v[204:207], v202 offset0:86 offset1:87
	v_add_f64 v[64:65], v[64:65], -v[144:145]
	s_waitcnt lgkmcnt(0)
	v_mul_f64 v[144:145], v[206:207], v[146:147]
	v_fma_f64 v[144:145], v[204:205], v[208:209], -v[144:145]
	v_mul_f64 v[204:205], v[204:205], v[146:147]
	v_fmac_f64_e32 v[204:205], v[206:207], v[208:209]
	v_add_f64 v[62:63], v[62:63], -v[204:205]
	ds_read2_b64 v[204:207], v202 offset0:88 offset1:89
	v_add_f64 v[60:61], v[60:61], -v[144:145]
	s_waitcnt lgkmcnt(0)
	v_mul_f64 v[144:145], v[206:207], v[146:147]
	v_fma_f64 v[144:145], v[204:205], v[208:209], -v[144:145]
	v_mul_f64 v[204:205], v[204:205], v[146:147]
	v_fmac_f64_e32 v[204:205], v[206:207], v[208:209]
	v_add_f64 v[58:59], v[58:59], -v[204:205]
	ds_read2_b64 v[204:207], v202 offset0:90 offset1:91
	v_add_f64 v[56:57], v[56:57], -v[144:145]
	s_waitcnt lgkmcnt(0)
	v_mul_f64 v[144:145], v[206:207], v[146:147]
	v_fma_f64 v[144:145], v[204:205], v[208:209], -v[144:145]
	v_mul_f64 v[204:205], v[204:205], v[146:147]
	v_fmac_f64_e32 v[204:205], v[206:207], v[208:209]
	v_add_f64 v[54:55], v[54:55], -v[204:205]
	ds_read2_b64 v[204:207], v202 offset0:92 offset1:93
	v_add_f64 v[52:53], v[52:53], -v[144:145]
	s_waitcnt lgkmcnt(0)
	v_mul_f64 v[144:145], v[206:207], v[146:147]
	v_fma_f64 v[144:145], v[204:205], v[208:209], -v[144:145]
	v_mul_f64 v[204:205], v[204:205], v[146:147]
	v_fmac_f64_e32 v[204:205], v[206:207], v[208:209]
	v_add_f64 v[50:51], v[50:51], -v[204:205]
	ds_read2_b64 v[204:207], v202 offset0:94 offset1:95
	v_add_f64 v[48:49], v[48:49], -v[144:145]
	s_waitcnt lgkmcnt(0)
	v_mul_f64 v[144:145], v[206:207], v[146:147]
	v_fma_f64 v[144:145], v[204:205], v[208:209], -v[144:145]
	v_mul_f64 v[204:205], v[204:205], v[146:147]
	v_fmac_f64_e32 v[204:205], v[206:207], v[208:209]
	v_add_f64 v[46:47], v[46:47], -v[204:205]
	ds_read2_b64 v[204:207], v202 offset0:96 offset1:97
	v_add_f64 v[44:45], v[44:45], -v[144:145]
	s_waitcnt lgkmcnt(0)
	v_mul_f64 v[144:145], v[206:207], v[146:147]
	v_fma_f64 v[144:145], v[204:205], v[208:209], -v[144:145]
	v_mul_f64 v[204:205], v[204:205], v[146:147]
	v_fmac_f64_e32 v[204:205], v[206:207], v[208:209]
	v_add_f64 v[42:43], v[42:43], -v[204:205]
	ds_read2_b64 v[204:207], v202 offset0:98 offset1:99
	v_add_f64 v[40:41], v[40:41], -v[144:145]
	s_waitcnt lgkmcnt(0)
	v_mul_f64 v[144:145], v[206:207], v[146:147]
	v_fma_f64 v[144:145], v[204:205], v[208:209], -v[144:145]
	v_mul_f64 v[204:205], v[204:205], v[146:147]
	v_fmac_f64_e32 v[204:205], v[206:207], v[208:209]
	v_add_f64 v[38:39], v[38:39], -v[204:205]
	ds_read2_b64 v[204:207], v202 offset0:100 offset1:101
	v_add_f64 v[36:37], v[36:37], -v[144:145]
	s_waitcnt lgkmcnt(0)
	v_mul_f64 v[144:145], v[206:207], v[146:147]
	v_fma_f64 v[144:145], v[204:205], v[208:209], -v[144:145]
	v_mul_f64 v[204:205], v[204:205], v[146:147]
	v_fmac_f64_e32 v[204:205], v[206:207], v[208:209]
	v_add_f64 v[34:35], v[34:35], -v[204:205]
	ds_read2_b64 v[204:207], v202 offset0:102 offset1:103
	v_add_f64 v[32:33], v[32:33], -v[144:145]
	s_waitcnt lgkmcnt(0)
	v_mul_f64 v[144:145], v[206:207], v[146:147]
	v_fma_f64 v[144:145], v[204:205], v[208:209], -v[144:145]
	v_mul_f64 v[204:205], v[204:205], v[146:147]
	v_fmac_f64_e32 v[204:205], v[206:207], v[208:209]
	v_add_f64 v[30:31], v[30:31], -v[204:205]
	ds_read2_b64 v[204:207], v202 offset0:104 offset1:105
	v_add_f64 v[28:29], v[28:29], -v[144:145]
	s_waitcnt lgkmcnt(0)
	v_mul_f64 v[144:145], v[206:207], v[146:147]
	v_fma_f64 v[144:145], v[204:205], v[208:209], -v[144:145]
	v_mul_f64 v[204:205], v[204:205], v[146:147]
	v_fmac_f64_e32 v[204:205], v[206:207], v[208:209]
	v_add_f64 v[26:27], v[26:27], -v[204:205]
	ds_read2_b64 v[204:207], v202 offset0:106 offset1:107
	v_add_f64 v[24:25], v[24:25], -v[144:145]
	s_waitcnt lgkmcnt(0)
	v_mul_f64 v[144:145], v[206:207], v[146:147]
	v_fma_f64 v[144:145], v[204:205], v[208:209], -v[144:145]
	v_mul_f64 v[204:205], v[204:205], v[146:147]
	v_fmac_f64_e32 v[204:205], v[206:207], v[208:209]
	v_add_f64 v[22:23], v[22:23], -v[204:205]
	ds_read2_b64 v[204:207], v202 offset0:108 offset1:109
	v_add_f64 v[20:21], v[20:21], -v[144:145]
	s_waitcnt lgkmcnt(0)
	v_mul_f64 v[144:145], v[206:207], v[146:147]
	v_fma_f64 v[144:145], v[204:205], v[208:209], -v[144:145]
	v_mul_f64 v[204:205], v[204:205], v[146:147]
	v_fmac_f64_e32 v[204:205], v[206:207], v[208:209]
	v_add_f64 v[18:19], v[18:19], -v[204:205]
	ds_read2_b64 v[204:207], v202 offset0:110 offset1:111
	v_add_f64 v[16:17], v[16:17], -v[144:145]
	s_waitcnt lgkmcnt(0)
	v_mul_f64 v[144:145], v[206:207], v[146:147]
	v_fma_f64 v[144:145], v[204:205], v[208:209], -v[144:145]
	v_mul_f64 v[204:205], v[204:205], v[146:147]
	v_fmac_f64_e32 v[204:205], v[206:207], v[208:209]
	v_add_f64 v[14:15], v[14:15], -v[204:205]
	ds_read2_b64 v[204:207], v202 offset0:112 offset1:113
	v_add_f64 v[12:13], v[12:13], -v[144:145]
	s_waitcnt lgkmcnt(0)
	v_mul_f64 v[144:145], v[206:207], v[146:147]
	v_fma_f64 v[144:145], v[204:205], v[208:209], -v[144:145]
	v_mul_f64 v[204:205], v[204:205], v[146:147]
	v_fmac_f64_e32 v[204:205], v[206:207], v[208:209]
	v_add_f64 v[10:11], v[10:11], -v[204:205]
	ds_read2_b64 v[204:207], v202 offset0:114 offset1:115
	v_add_f64 v[8:9], v[8:9], -v[144:145]
	s_waitcnt lgkmcnt(0)
	v_mul_f64 v[144:145], v[206:207], v[146:147]
	v_fma_f64 v[144:145], v[204:205], v[208:209], -v[144:145]
	v_mul_f64 v[204:205], v[204:205], v[146:147]
	v_fmac_f64_e32 v[204:205], v[206:207], v[208:209]
	v_add_f64 v[6:7], v[6:7], -v[204:205]
	ds_read2_b64 v[204:207], v202 offset0:116 offset1:117
	v_add_f64 v[4:5], v[4:5], -v[144:145]
	s_waitcnt lgkmcnt(0)
	v_mul_f64 v[144:145], v[206:207], v[146:147]
	v_fma_f64 v[144:145], v[204:205], v[208:209], -v[144:145]
	v_mul_f64 v[204:205], v[204:205], v[146:147]
	v_fmac_f64_e32 v[204:205], v[206:207], v[208:209]
	v_add_f64 v[2:3], v[2:3], -v[204:205]
	ds_read2_b64 v[204:207], v202 offset0:118 offset1:119
	v_add_f64 v[0:1], v[0:1], -v[144:145]
	s_waitcnt lgkmcnt(0)
	v_mul_f64 v[144:145], v[206:207], v[146:147]
	v_fma_f64 v[144:145], v[204:205], v[208:209], -v[144:145]
	v_mul_f64 v[204:205], v[204:205], v[146:147]
	v_fmac_f64_e32 v[204:205], v[206:207], v[208:209]
	v_add_f64 v[236:237], v[236:237], -v[144:145]
	v_add_f64 v[238:239], v[238:239], -v[204:205]
	v_mov_b64_e32 v[144:145], v[208:209]
.LBB119_208:
	s_or_b64 exec, exec, s[2:3]
	v_cmp_eq_u32_e32 vcc, 23, v200
	s_waitcnt vmcnt(63) expcnt(7) lgkmcnt(15)
	s_barrier
	s_and_saveexec_b64 s[4:5], vcc
	s_cbranch_execz .LBB119_215
; %bb.209:
	ds_write2_b64 v201, v[140:141], v[142:143] offset1:1
	ds_write2_b64 v202, v[136:137], v[138:139] offset0:48 offset1:49
	ds_write2_b64 v202, v[132:133], v[134:135] offset0:50 offset1:51
	ds_write2_b64 v202, v[128:129], v[130:131] offset0:52 offset1:53
	ds_write2_b64 v202, v[124:125], v[126:127] offset0:54 offset1:55
	ds_write2_b64 v202, v[120:121], v[122:123] offset0:56 offset1:57
	ds_write2_b64 v202, v[116:117], v[118:119] offset0:58 offset1:59
	ds_write2_b64 v202, v[112:113], v[114:115] offset0:60 offset1:61
	ds_write2_b64 v202, v[108:109], v[110:111] offset0:62 offset1:63
	ds_write2_b64 v202, v[104:105], v[106:107] offset0:64 offset1:65
	ds_write2_b64 v202, v[100:101], v[102:103] offset0:66 offset1:67
	ds_write2_b64 v202, v[96:97], v[98:99] offset0:68 offset1:69
	ds_write2_b64 v202, v[92:93], v[94:95] offset0:70 offset1:71
	ds_write2_b64 v202, v[88:89], v[90:91] offset0:72 offset1:73
	ds_write2_b64 v202, v[84:85], v[86:87] offset0:74 offset1:75
	ds_write2_b64 v202, v[80:81], v[82:83] offset0:76 offset1:77
	ds_write2_b64 v202, v[76:77], v[78:79] offset0:78 offset1:79
	ds_write2_b64 v202, v[72:73], v[74:75] offset0:80 offset1:81
	s_waitcnt vmcnt(54)
	ds_write2_b64 v202, v[68:69], v[70:71] offset0:82 offset1:83
	s_waitcnt vmcnt(53)
	ds_write2_b64 v202, v[64:65], v[66:67] offset0:84 offset1:85
	;; [unrolled: 2-line block ×11, first 2 shown]
	ds_write2_b64 v202, v[24:25], v[26:27] offset0:104 offset1:105
	ds_write2_b64 v202, v[20:21], v[22:23] offset0:106 offset1:107
	;; [unrolled: 1-line block ×6, first 2 shown]
	s_waitcnt vmcnt(43)
	ds_write2_b64 v202, v[0:1], v[2:3] offset0:116 offset1:117
	s_waitcnt vmcnt(40)
	ds_write2_b64 v202, v[236:237], v[238:239] offset0:118 offset1:119
	ds_read2_b64 v[208:211], v201 offset1:1
	s_waitcnt lgkmcnt(0)
	v_cmp_neq_f64_e32 vcc, 0, v[208:209]
	v_cmp_neq_f64_e64 s[2:3], 0, v[210:211]
	s_or_b64 s[2:3], vcc, s[2:3]
	s_and_b64 exec, exec, s[2:3]
	s_cbranch_execz .LBB119_215
; %bb.210:
	v_cmp_ngt_f64_e64 s[2:3], |v[208:209]|, |v[210:211]|
                                        ; implicit-def: $vgpr204_vgpr205
	s_and_saveexec_b64 s[10:11], s[2:3]
	s_xor_b64 s[2:3], exec, s[10:11]
                                        ; implicit-def: $vgpr206_vgpr207
	s_cbranch_execz .LBB119_212
; %bb.211:
	v_div_scale_f64 v[204:205], s[10:11], v[210:211], v[210:211], v[208:209]
	v_rcp_f64_e32 v[206:207], v[204:205]
	v_div_scale_f64 v[212:213], vcc, v[208:209], v[210:211], v[208:209]
	v_fma_f64 v[214:215], -v[204:205], v[206:207], 1.0
	v_fmac_f64_e32 v[206:207], v[206:207], v[214:215]
	v_fma_f64 v[214:215], -v[204:205], v[206:207], 1.0
	v_fmac_f64_e32 v[206:207], v[206:207], v[214:215]
	v_mul_f64 v[214:215], v[212:213], v[206:207]
	v_fma_f64 v[204:205], -v[204:205], v[214:215], v[212:213]
	v_div_fmas_f64 v[204:205], v[204:205], v[206:207], v[214:215]
	v_div_fixup_f64 v[204:205], v[204:205], v[210:211], v[208:209]
	v_fmac_f64_e32 v[210:211], v[208:209], v[204:205]
	v_div_scale_f64 v[206:207], s[10:11], v[210:211], v[210:211], 1.0
	v_rcp_f64_e32 v[208:209], v[206:207]
	s_nop 0
	v_fma_f64 v[212:213], -v[206:207], v[208:209], 1.0
	v_fmac_f64_e32 v[208:209], v[208:209], v[212:213]
	v_fma_f64 v[212:213], -v[206:207], v[208:209], 1.0
	v_fmac_f64_e32 v[208:209], v[208:209], v[212:213]
	v_div_scale_f64 v[212:213], vcc, 1.0, v[210:211], 1.0
	v_mul_f64 v[214:215], v[212:213], v[208:209]
	v_fma_f64 v[206:207], -v[206:207], v[214:215], v[212:213]
	s_nop 1
	v_div_fmas_f64 v[206:207], v[206:207], v[208:209], v[214:215]
	v_div_fixup_f64 v[206:207], v[206:207], v[210:211], 1.0
	v_mul_f64 v[204:205], v[204:205], v[206:207]
	v_xor_b32_e32 v207, 0x80000000, v207
                                        ; implicit-def: $vgpr208_vgpr209
.LBB119_212:
	s_andn2_saveexec_b64 s[2:3], s[2:3]
	s_cbranch_execz .LBB119_214
; %bb.213:
	v_div_scale_f64 v[204:205], s[10:11], v[208:209], v[208:209], v[210:211]
	v_rcp_f64_e32 v[206:207], v[204:205]
	v_div_scale_f64 v[212:213], vcc, v[210:211], v[208:209], v[210:211]
	v_fma_f64 v[214:215], -v[204:205], v[206:207], 1.0
	v_fmac_f64_e32 v[206:207], v[206:207], v[214:215]
	v_fma_f64 v[214:215], -v[204:205], v[206:207], 1.0
	v_fmac_f64_e32 v[206:207], v[206:207], v[214:215]
	v_mul_f64 v[214:215], v[212:213], v[206:207]
	v_fma_f64 v[204:205], -v[204:205], v[214:215], v[212:213]
	v_div_fmas_f64 v[204:205], v[204:205], v[206:207], v[214:215]
	v_div_fixup_f64 v[206:207], v[204:205], v[208:209], v[210:211]
	v_fmac_f64_e32 v[208:209], v[210:211], v[206:207]
	v_div_scale_f64 v[204:205], s[10:11], v[208:209], v[208:209], 1.0
	v_rcp_f64_e32 v[210:211], v[204:205]
	s_nop 0
	v_fma_f64 v[212:213], -v[204:205], v[210:211], 1.0
	v_fmac_f64_e32 v[210:211], v[210:211], v[212:213]
	v_fma_f64 v[212:213], -v[204:205], v[210:211], 1.0
	v_fmac_f64_e32 v[210:211], v[210:211], v[212:213]
	v_div_scale_f64 v[212:213], vcc, 1.0, v[208:209], 1.0
	v_mul_f64 v[214:215], v[212:213], v[210:211]
	v_fma_f64 v[204:205], -v[204:205], v[214:215], v[212:213]
	s_nop 1
	v_div_fmas_f64 v[204:205], v[204:205], v[210:211], v[214:215]
	v_div_fixup_f64 v[204:205], v[204:205], v[208:209], 1.0
	v_mul_f64 v[206:207], v[206:207], -v[204:205]
.LBB119_214:
	s_or_b64 exec, exec, s[2:3]
	ds_write2_b64 v201, v[204:205], v[206:207] offset1:1
.LBB119_215:
	s_or_b64 exec, exec, s[4:5]
	s_waitcnt lgkmcnt(0)
	s_barrier
	ds_read2_b64 v[192:195], v201 offset1:1
	v_cmp_lt_u32_e32 vcc, 23, v200
	s_waitcnt lgkmcnt(0)
	scratch_store_dwordx4 off, v[192:195], off offset:1008 ; 16-byte Folded Spill
	s_and_saveexec_b64 s[2:3], vcc
	s_cbranch_execz .LBB119_217
; %bb.216:
	scratch_load_dwordx4 v[192:195], off, off offset:1008 ; 16-byte Folded Reload
	s_waitcnt vmcnt(0)
	v_mul_f64 v[204:205], v[194:195], v[142:143]
	v_fma_f64 v[208:209], v[192:193], v[140:141], -v[204:205]
	ds_read2_b64 v[204:207], v202 offset0:48 offset1:49
	v_mul_f64 v[142:143], v[192:193], v[142:143]
	v_fmac_f64_e32 v[142:143], v[194:195], v[140:141]
	s_waitcnt lgkmcnt(0)
	v_mul_f64 v[140:141], v[206:207], v[142:143]
	v_fma_f64 v[140:141], v[204:205], v[208:209], -v[140:141]
	v_mul_f64 v[204:205], v[204:205], v[142:143]
	v_fmac_f64_e32 v[204:205], v[206:207], v[208:209]
	v_add_f64 v[138:139], v[138:139], -v[204:205]
	ds_read2_b64 v[204:207], v202 offset0:50 offset1:51
	v_add_f64 v[136:137], v[136:137], -v[140:141]
	s_waitcnt lgkmcnt(0)
	v_mul_f64 v[140:141], v[206:207], v[142:143]
	v_fma_f64 v[140:141], v[204:205], v[208:209], -v[140:141]
	v_mul_f64 v[204:205], v[204:205], v[142:143]
	v_fmac_f64_e32 v[204:205], v[206:207], v[208:209]
	v_add_f64 v[134:135], v[134:135], -v[204:205]
	ds_read2_b64 v[204:207], v202 offset0:52 offset1:53
	v_add_f64 v[132:133], v[132:133], -v[140:141]
	;; [unrolled: 8-line block ×35, first 2 shown]
	s_waitcnt lgkmcnt(0)
	v_mul_f64 v[140:141], v[206:207], v[142:143]
	v_fma_f64 v[140:141], v[204:205], v[208:209], -v[140:141]
	v_mul_f64 v[204:205], v[204:205], v[142:143]
	v_fmac_f64_e32 v[204:205], v[206:207], v[208:209]
	v_add_f64 v[236:237], v[236:237], -v[140:141]
	v_add_f64 v[238:239], v[238:239], -v[204:205]
	v_mov_b64_e32 v[140:141], v[208:209]
.LBB119_217:
	s_or_b64 exec, exec, s[2:3]
	v_cmp_eq_u32_e32 vcc, 24, v200
	s_waitcnt vmcnt(63) expcnt(7) lgkmcnt(15)
	s_barrier
	s_and_saveexec_b64 s[4:5], vcc
	s_cbranch_execz .LBB119_224
; %bb.218:
	ds_write2_b64 v201, v[136:137], v[138:139] offset1:1
	ds_write2_b64 v202, v[132:133], v[134:135] offset0:50 offset1:51
	ds_write2_b64 v202, v[128:129], v[130:131] offset0:52 offset1:53
	;; [unrolled: 1-line block ×16, first 2 shown]
	s_waitcnt vmcnt(55)
	ds_write2_b64 v202, v[68:69], v[70:71] offset0:82 offset1:83
	s_waitcnt vmcnt(54)
	ds_write2_b64 v202, v[64:65], v[66:67] offset0:84 offset1:85
	;; [unrolled: 2-line block ×11, first 2 shown]
	ds_write2_b64 v202, v[24:25], v[26:27] offset0:104 offset1:105
	ds_write2_b64 v202, v[20:21], v[22:23] offset0:106 offset1:107
	;; [unrolled: 1-line block ×6, first 2 shown]
	s_waitcnt vmcnt(44)
	ds_write2_b64 v202, v[0:1], v[2:3] offset0:116 offset1:117
	s_waitcnt vmcnt(41)
	ds_write2_b64 v202, v[236:237], v[238:239] offset0:118 offset1:119
	ds_read2_b64 v[208:211], v201 offset1:1
	s_waitcnt lgkmcnt(0)
	v_cmp_neq_f64_e32 vcc, 0, v[208:209]
	v_cmp_neq_f64_e64 s[2:3], 0, v[210:211]
	s_or_b64 s[2:3], vcc, s[2:3]
	s_and_b64 exec, exec, s[2:3]
	s_cbranch_execz .LBB119_224
; %bb.219:
	v_cmp_ngt_f64_e64 s[2:3], |v[208:209]|, |v[210:211]|
                                        ; implicit-def: $vgpr204_vgpr205
	s_and_saveexec_b64 s[10:11], s[2:3]
	s_xor_b64 s[2:3], exec, s[10:11]
                                        ; implicit-def: $vgpr206_vgpr207
	s_cbranch_execz .LBB119_221
; %bb.220:
	v_div_scale_f64 v[204:205], s[10:11], v[210:211], v[210:211], v[208:209]
	v_rcp_f64_e32 v[206:207], v[204:205]
	v_div_scale_f64 v[212:213], vcc, v[208:209], v[210:211], v[208:209]
	v_fma_f64 v[214:215], -v[204:205], v[206:207], 1.0
	v_fmac_f64_e32 v[206:207], v[206:207], v[214:215]
	v_fma_f64 v[214:215], -v[204:205], v[206:207], 1.0
	v_fmac_f64_e32 v[206:207], v[206:207], v[214:215]
	v_mul_f64 v[214:215], v[212:213], v[206:207]
	v_fma_f64 v[204:205], -v[204:205], v[214:215], v[212:213]
	v_div_fmas_f64 v[204:205], v[204:205], v[206:207], v[214:215]
	v_div_fixup_f64 v[204:205], v[204:205], v[210:211], v[208:209]
	v_fmac_f64_e32 v[210:211], v[208:209], v[204:205]
	v_div_scale_f64 v[206:207], s[10:11], v[210:211], v[210:211], 1.0
	v_rcp_f64_e32 v[208:209], v[206:207]
	s_nop 0
	v_fma_f64 v[212:213], -v[206:207], v[208:209], 1.0
	v_fmac_f64_e32 v[208:209], v[208:209], v[212:213]
	v_fma_f64 v[212:213], -v[206:207], v[208:209], 1.0
	v_fmac_f64_e32 v[208:209], v[208:209], v[212:213]
	v_div_scale_f64 v[212:213], vcc, 1.0, v[210:211], 1.0
	v_mul_f64 v[214:215], v[212:213], v[208:209]
	v_fma_f64 v[206:207], -v[206:207], v[214:215], v[212:213]
	s_nop 1
	v_div_fmas_f64 v[206:207], v[206:207], v[208:209], v[214:215]
	v_div_fixup_f64 v[206:207], v[206:207], v[210:211], 1.0
	v_mul_f64 v[204:205], v[204:205], v[206:207]
	v_xor_b32_e32 v207, 0x80000000, v207
                                        ; implicit-def: $vgpr208_vgpr209
.LBB119_221:
	s_andn2_saveexec_b64 s[2:3], s[2:3]
	s_cbranch_execz .LBB119_223
; %bb.222:
	v_div_scale_f64 v[204:205], s[10:11], v[208:209], v[208:209], v[210:211]
	v_rcp_f64_e32 v[206:207], v[204:205]
	v_div_scale_f64 v[212:213], vcc, v[210:211], v[208:209], v[210:211]
	v_fma_f64 v[214:215], -v[204:205], v[206:207], 1.0
	v_fmac_f64_e32 v[206:207], v[206:207], v[214:215]
	v_fma_f64 v[214:215], -v[204:205], v[206:207], 1.0
	v_fmac_f64_e32 v[206:207], v[206:207], v[214:215]
	v_mul_f64 v[214:215], v[212:213], v[206:207]
	v_fma_f64 v[204:205], -v[204:205], v[214:215], v[212:213]
	v_div_fmas_f64 v[204:205], v[204:205], v[206:207], v[214:215]
	v_div_fixup_f64 v[206:207], v[204:205], v[208:209], v[210:211]
	v_fmac_f64_e32 v[208:209], v[210:211], v[206:207]
	v_div_scale_f64 v[204:205], s[10:11], v[208:209], v[208:209], 1.0
	v_rcp_f64_e32 v[210:211], v[204:205]
	s_nop 0
	v_fma_f64 v[212:213], -v[204:205], v[210:211], 1.0
	v_fmac_f64_e32 v[210:211], v[210:211], v[212:213]
	v_fma_f64 v[212:213], -v[204:205], v[210:211], 1.0
	v_fmac_f64_e32 v[210:211], v[210:211], v[212:213]
	v_div_scale_f64 v[212:213], vcc, 1.0, v[208:209], 1.0
	v_mul_f64 v[214:215], v[212:213], v[210:211]
	v_fma_f64 v[204:205], -v[204:205], v[214:215], v[212:213]
	s_nop 1
	v_div_fmas_f64 v[204:205], v[204:205], v[210:211], v[214:215]
	v_div_fixup_f64 v[204:205], v[204:205], v[208:209], 1.0
	v_mul_f64 v[206:207], v[206:207], -v[204:205]
.LBB119_223:
	s_or_b64 exec, exec, s[2:3]
	ds_write2_b64 v201, v[204:205], v[206:207] offset1:1
.LBB119_224:
	s_or_b64 exec, exec, s[4:5]
	s_waitcnt lgkmcnt(0)
	s_barrier
	ds_read2_b64 v[192:195], v201 offset1:1
	v_cmp_lt_u32_e32 vcc, 24, v200
	s_waitcnt lgkmcnt(0)
	scratch_store_dwordx4 off, v[192:195], off offset:1024 ; 16-byte Folded Spill
	s_and_saveexec_b64 s[2:3], vcc
	s_cbranch_execz .LBB119_226
; %bb.225:
	scratch_load_dwordx4 v[192:195], off, off offset:1024 ; 16-byte Folded Reload
	s_waitcnt vmcnt(0)
	v_mul_f64 v[204:205], v[194:195], v[138:139]
	v_fma_f64 v[208:209], v[192:193], v[136:137], -v[204:205]
	ds_read2_b64 v[204:207], v202 offset0:50 offset1:51
	v_mul_f64 v[138:139], v[192:193], v[138:139]
	v_fmac_f64_e32 v[138:139], v[194:195], v[136:137]
	s_waitcnt lgkmcnt(0)
	v_mul_f64 v[136:137], v[206:207], v[138:139]
	v_fma_f64 v[136:137], v[204:205], v[208:209], -v[136:137]
	v_mul_f64 v[204:205], v[204:205], v[138:139]
	v_fmac_f64_e32 v[204:205], v[206:207], v[208:209]
	v_add_f64 v[134:135], v[134:135], -v[204:205]
	ds_read2_b64 v[204:207], v202 offset0:52 offset1:53
	v_add_f64 v[132:133], v[132:133], -v[136:137]
	s_waitcnt lgkmcnt(0)
	v_mul_f64 v[136:137], v[206:207], v[138:139]
	v_fma_f64 v[136:137], v[204:205], v[208:209], -v[136:137]
	v_mul_f64 v[204:205], v[204:205], v[138:139]
	v_fmac_f64_e32 v[204:205], v[206:207], v[208:209]
	v_add_f64 v[130:131], v[130:131], -v[204:205]
	ds_read2_b64 v[204:207], v202 offset0:54 offset1:55
	v_add_f64 v[128:129], v[128:129], -v[136:137]
	;; [unrolled: 8-line block ×34, first 2 shown]
	s_waitcnt lgkmcnt(0)
	v_mul_f64 v[136:137], v[206:207], v[138:139]
	v_fma_f64 v[136:137], v[204:205], v[208:209], -v[136:137]
	v_mul_f64 v[204:205], v[204:205], v[138:139]
	v_fmac_f64_e32 v[204:205], v[206:207], v[208:209]
	v_add_f64 v[236:237], v[236:237], -v[136:137]
	v_add_f64 v[238:239], v[238:239], -v[204:205]
	v_mov_b64_e32 v[136:137], v[208:209]
.LBB119_226:
	s_or_b64 exec, exec, s[2:3]
	v_cmp_eq_u32_e32 vcc, 25, v200
	s_waitcnt vmcnt(63) expcnt(7) lgkmcnt(15)
	s_barrier
	s_and_saveexec_b64 s[4:5], vcc
	s_cbranch_execz .LBB119_233
; %bb.227:
	ds_write2_b64 v201, v[132:133], v[134:135] offset1:1
	ds_write2_b64 v202, v[128:129], v[130:131] offset0:52 offset1:53
	ds_write2_b64 v202, v[124:125], v[126:127] offset0:54 offset1:55
	;; [unrolled: 1-line block ×15, first 2 shown]
	s_waitcnt vmcnt(56)
	ds_write2_b64 v202, v[68:69], v[70:71] offset0:82 offset1:83
	s_waitcnt vmcnt(55)
	ds_write2_b64 v202, v[64:65], v[66:67] offset0:84 offset1:85
	;; [unrolled: 2-line block ×11, first 2 shown]
	ds_write2_b64 v202, v[24:25], v[26:27] offset0:104 offset1:105
	ds_write2_b64 v202, v[20:21], v[22:23] offset0:106 offset1:107
	;; [unrolled: 1-line block ×6, first 2 shown]
	s_waitcnt vmcnt(45)
	ds_write2_b64 v202, v[0:1], v[2:3] offset0:116 offset1:117
	s_waitcnt vmcnt(42)
	ds_write2_b64 v202, v[236:237], v[238:239] offset0:118 offset1:119
	ds_read2_b64 v[208:211], v201 offset1:1
	s_waitcnt lgkmcnt(0)
	v_cmp_neq_f64_e32 vcc, 0, v[208:209]
	v_cmp_neq_f64_e64 s[2:3], 0, v[210:211]
	s_or_b64 s[2:3], vcc, s[2:3]
	s_and_b64 exec, exec, s[2:3]
	s_cbranch_execz .LBB119_233
; %bb.228:
	v_cmp_ngt_f64_e64 s[2:3], |v[208:209]|, |v[210:211]|
                                        ; implicit-def: $vgpr204_vgpr205
	s_and_saveexec_b64 s[10:11], s[2:3]
	s_xor_b64 s[2:3], exec, s[10:11]
                                        ; implicit-def: $vgpr206_vgpr207
	s_cbranch_execz .LBB119_230
; %bb.229:
	v_div_scale_f64 v[204:205], s[10:11], v[210:211], v[210:211], v[208:209]
	v_rcp_f64_e32 v[206:207], v[204:205]
	v_div_scale_f64 v[212:213], vcc, v[208:209], v[210:211], v[208:209]
	v_fma_f64 v[214:215], -v[204:205], v[206:207], 1.0
	v_fmac_f64_e32 v[206:207], v[206:207], v[214:215]
	v_fma_f64 v[214:215], -v[204:205], v[206:207], 1.0
	v_fmac_f64_e32 v[206:207], v[206:207], v[214:215]
	v_mul_f64 v[214:215], v[212:213], v[206:207]
	v_fma_f64 v[204:205], -v[204:205], v[214:215], v[212:213]
	v_div_fmas_f64 v[204:205], v[204:205], v[206:207], v[214:215]
	v_div_fixup_f64 v[204:205], v[204:205], v[210:211], v[208:209]
	v_fmac_f64_e32 v[210:211], v[208:209], v[204:205]
	v_div_scale_f64 v[206:207], s[10:11], v[210:211], v[210:211], 1.0
	v_rcp_f64_e32 v[208:209], v[206:207]
	s_nop 0
	v_fma_f64 v[212:213], -v[206:207], v[208:209], 1.0
	v_fmac_f64_e32 v[208:209], v[208:209], v[212:213]
	v_fma_f64 v[212:213], -v[206:207], v[208:209], 1.0
	v_fmac_f64_e32 v[208:209], v[208:209], v[212:213]
	v_div_scale_f64 v[212:213], vcc, 1.0, v[210:211], 1.0
	v_mul_f64 v[214:215], v[212:213], v[208:209]
	v_fma_f64 v[206:207], -v[206:207], v[214:215], v[212:213]
	s_nop 1
	v_div_fmas_f64 v[206:207], v[206:207], v[208:209], v[214:215]
	v_div_fixup_f64 v[206:207], v[206:207], v[210:211], 1.0
	v_mul_f64 v[204:205], v[204:205], v[206:207]
	v_xor_b32_e32 v207, 0x80000000, v207
                                        ; implicit-def: $vgpr208_vgpr209
.LBB119_230:
	s_andn2_saveexec_b64 s[2:3], s[2:3]
	s_cbranch_execz .LBB119_232
; %bb.231:
	v_div_scale_f64 v[204:205], s[10:11], v[208:209], v[208:209], v[210:211]
	v_rcp_f64_e32 v[206:207], v[204:205]
	v_div_scale_f64 v[212:213], vcc, v[210:211], v[208:209], v[210:211]
	v_fma_f64 v[214:215], -v[204:205], v[206:207], 1.0
	v_fmac_f64_e32 v[206:207], v[206:207], v[214:215]
	v_fma_f64 v[214:215], -v[204:205], v[206:207], 1.0
	v_fmac_f64_e32 v[206:207], v[206:207], v[214:215]
	v_mul_f64 v[214:215], v[212:213], v[206:207]
	v_fma_f64 v[204:205], -v[204:205], v[214:215], v[212:213]
	v_div_fmas_f64 v[204:205], v[204:205], v[206:207], v[214:215]
	v_div_fixup_f64 v[206:207], v[204:205], v[208:209], v[210:211]
	v_fmac_f64_e32 v[208:209], v[210:211], v[206:207]
	v_div_scale_f64 v[204:205], s[10:11], v[208:209], v[208:209], 1.0
	v_rcp_f64_e32 v[210:211], v[204:205]
	s_nop 0
	v_fma_f64 v[212:213], -v[204:205], v[210:211], 1.0
	v_fmac_f64_e32 v[210:211], v[210:211], v[212:213]
	v_fma_f64 v[212:213], -v[204:205], v[210:211], 1.0
	v_fmac_f64_e32 v[210:211], v[210:211], v[212:213]
	v_div_scale_f64 v[212:213], vcc, 1.0, v[208:209], 1.0
	v_mul_f64 v[214:215], v[212:213], v[210:211]
	v_fma_f64 v[204:205], -v[204:205], v[214:215], v[212:213]
	s_nop 1
	v_div_fmas_f64 v[204:205], v[204:205], v[210:211], v[214:215]
	v_div_fixup_f64 v[204:205], v[204:205], v[208:209], 1.0
	v_mul_f64 v[206:207], v[206:207], -v[204:205]
.LBB119_232:
	s_or_b64 exec, exec, s[2:3]
	ds_write2_b64 v201, v[204:205], v[206:207] offset1:1
.LBB119_233:
	s_or_b64 exec, exec, s[4:5]
	s_waitcnt lgkmcnt(0)
	s_barrier
	ds_read2_b64 v[192:195], v201 offset1:1
	v_cmp_lt_u32_e32 vcc, 25, v200
	s_waitcnt lgkmcnt(0)
	scratch_store_dwordx4 off, v[192:195], off offset:1040 ; 16-byte Folded Spill
	s_and_saveexec_b64 s[2:3], vcc
	s_cbranch_execz .LBB119_235
; %bb.234:
	scratch_load_dwordx4 v[192:195], off, off offset:1040 ; 16-byte Folded Reload
	s_waitcnt vmcnt(0)
	v_mul_f64 v[204:205], v[194:195], v[134:135]
	v_fma_f64 v[208:209], v[192:193], v[132:133], -v[204:205]
	ds_read2_b64 v[204:207], v202 offset0:52 offset1:53
	v_mul_f64 v[134:135], v[192:193], v[134:135]
	v_fmac_f64_e32 v[134:135], v[194:195], v[132:133]
	s_waitcnt lgkmcnt(0)
	v_mul_f64 v[132:133], v[206:207], v[134:135]
	v_fma_f64 v[132:133], v[204:205], v[208:209], -v[132:133]
	v_mul_f64 v[204:205], v[204:205], v[134:135]
	v_fmac_f64_e32 v[204:205], v[206:207], v[208:209]
	v_add_f64 v[130:131], v[130:131], -v[204:205]
	ds_read2_b64 v[204:207], v202 offset0:54 offset1:55
	v_add_f64 v[128:129], v[128:129], -v[132:133]
	s_waitcnt lgkmcnt(0)
	v_mul_f64 v[132:133], v[206:207], v[134:135]
	v_fma_f64 v[132:133], v[204:205], v[208:209], -v[132:133]
	v_mul_f64 v[204:205], v[204:205], v[134:135]
	v_fmac_f64_e32 v[204:205], v[206:207], v[208:209]
	v_add_f64 v[126:127], v[126:127], -v[204:205]
	ds_read2_b64 v[204:207], v202 offset0:56 offset1:57
	v_add_f64 v[124:125], v[124:125], -v[132:133]
	;; [unrolled: 8-line block ×33, first 2 shown]
	s_waitcnt lgkmcnt(0)
	v_mul_f64 v[132:133], v[206:207], v[134:135]
	v_fma_f64 v[132:133], v[204:205], v[208:209], -v[132:133]
	v_mul_f64 v[204:205], v[204:205], v[134:135]
	v_fmac_f64_e32 v[204:205], v[206:207], v[208:209]
	v_add_f64 v[236:237], v[236:237], -v[132:133]
	v_add_f64 v[238:239], v[238:239], -v[204:205]
	v_mov_b64_e32 v[132:133], v[208:209]
.LBB119_235:
	s_or_b64 exec, exec, s[2:3]
	v_cmp_eq_u32_e32 vcc, 26, v200
	s_waitcnt vmcnt(63) expcnt(7) lgkmcnt(15)
	s_barrier
	s_and_saveexec_b64 s[4:5], vcc
	s_cbranch_execz .LBB119_242
; %bb.236:
	ds_write2_b64 v201, v[128:129], v[130:131] offset1:1
	ds_write2_b64 v202, v[124:125], v[126:127] offset0:54 offset1:55
	ds_write2_b64 v202, v[120:121], v[122:123] offset0:56 offset1:57
	;; [unrolled: 1-line block ×14, first 2 shown]
	s_waitcnt vmcnt(57)
	ds_write2_b64 v202, v[68:69], v[70:71] offset0:82 offset1:83
	s_waitcnt vmcnt(56)
	ds_write2_b64 v202, v[64:65], v[66:67] offset0:84 offset1:85
	s_waitcnt vmcnt(55)
	ds_write2_b64 v202, v[60:61], v[62:63] offset0:86 offset1:87
	s_waitcnt vmcnt(54)
	ds_write2_b64 v202, v[56:57], v[58:59] offset0:88 offset1:89
	s_waitcnt vmcnt(53)
	ds_write2_b64 v202, v[52:53], v[54:55] offset0:90 offset1:91
	s_waitcnt vmcnt(52)
	ds_write2_b64 v202, v[48:49], v[50:51] offset0:92 offset1:93
	s_waitcnt vmcnt(51)
	ds_write2_b64 v202, v[44:45], v[46:47] offset0:94 offset1:95
	s_waitcnt vmcnt(50)
	ds_write2_b64 v202, v[40:41], v[42:43] offset0:96 offset1:97
	s_waitcnt vmcnt(49)
	ds_write2_b64 v202, v[36:37], v[38:39] offset0:98 offset1:99
	s_waitcnt vmcnt(48)
	ds_write2_b64 v202, v[32:33], v[34:35] offset0:100 offset1:101
	s_waitcnt vmcnt(47)
	ds_write2_b64 v202, v[28:29], v[30:31] offset0:102 offset1:103
	ds_write2_b64 v202, v[24:25], v[26:27] offset0:104 offset1:105
	ds_write2_b64 v202, v[20:21], v[22:23] offset0:106 offset1:107
	;; [unrolled: 1-line block ×6, first 2 shown]
	s_waitcnt vmcnt(46)
	ds_write2_b64 v202, v[0:1], v[2:3] offset0:116 offset1:117
	s_waitcnt vmcnt(43)
	ds_write2_b64 v202, v[236:237], v[238:239] offset0:118 offset1:119
	ds_read2_b64 v[208:211], v201 offset1:1
	s_waitcnt lgkmcnt(0)
	v_cmp_neq_f64_e32 vcc, 0, v[208:209]
	v_cmp_neq_f64_e64 s[2:3], 0, v[210:211]
	s_or_b64 s[2:3], vcc, s[2:3]
	s_and_b64 exec, exec, s[2:3]
	s_cbranch_execz .LBB119_242
; %bb.237:
	v_cmp_ngt_f64_e64 s[2:3], |v[208:209]|, |v[210:211]|
                                        ; implicit-def: $vgpr204_vgpr205
	s_and_saveexec_b64 s[10:11], s[2:3]
	s_xor_b64 s[2:3], exec, s[10:11]
                                        ; implicit-def: $vgpr206_vgpr207
	s_cbranch_execz .LBB119_239
; %bb.238:
	v_div_scale_f64 v[204:205], s[10:11], v[210:211], v[210:211], v[208:209]
	v_rcp_f64_e32 v[206:207], v[204:205]
	v_div_scale_f64 v[212:213], vcc, v[208:209], v[210:211], v[208:209]
	v_fma_f64 v[214:215], -v[204:205], v[206:207], 1.0
	v_fmac_f64_e32 v[206:207], v[206:207], v[214:215]
	v_fma_f64 v[214:215], -v[204:205], v[206:207], 1.0
	v_fmac_f64_e32 v[206:207], v[206:207], v[214:215]
	v_mul_f64 v[214:215], v[212:213], v[206:207]
	v_fma_f64 v[204:205], -v[204:205], v[214:215], v[212:213]
	v_div_fmas_f64 v[204:205], v[204:205], v[206:207], v[214:215]
	v_div_fixup_f64 v[204:205], v[204:205], v[210:211], v[208:209]
	v_fmac_f64_e32 v[210:211], v[208:209], v[204:205]
	v_div_scale_f64 v[206:207], s[10:11], v[210:211], v[210:211], 1.0
	v_rcp_f64_e32 v[208:209], v[206:207]
	s_nop 0
	v_fma_f64 v[212:213], -v[206:207], v[208:209], 1.0
	v_fmac_f64_e32 v[208:209], v[208:209], v[212:213]
	v_fma_f64 v[212:213], -v[206:207], v[208:209], 1.0
	v_fmac_f64_e32 v[208:209], v[208:209], v[212:213]
	v_div_scale_f64 v[212:213], vcc, 1.0, v[210:211], 1.0
	v_mul_f64 v[214:215], v[212:213], v[208:209]
	v_fma_f64 v[206:207], -v[206:207], v[214:215], v[212:213]
	s_nop 1
	v_div_fmas_f64 v[206:207], v[206:207], v[208:209], v[214:215]
	v_div_fixup_f64 v[206:207], v[206:207], v[210:211], 1.0
	v_mul_f64 v[204:205], v[204:205], v[206:207]
	v_xor_b32_e32 v207, 0x80000000, v207
                                        ; implicit-def: $vgpr208_vgpr209
.LBB119_239:
	s_andn2_saveexec_b64 s[2:3], s[2:3]
	s_cbranch_execz .LBB119_241
; %bb.240:
	v_div_scale_f64 v[204:205], s[10:11], v[208:209], v[208:209], v[210:211]
	v_rcp_f64_e32 v[206:207], v[204:205]
	v_div_scale_f64 v[212:213], vcc, v[210:211], v[208:209], v[210:211]
	v_fma_f64 v[214:215], -v[204:205], v[206:207], 1.0
	v_fmac_f64_e32 v[206:207], v[206:207], v[214:215]
	v_fma_f64 v[214:215], -v[204:205], v[206:207], 1.0
	v_fmac_f64_e32 v[206:207], v[206:207], v[214:215]
	v_mul_f64 v[214:215], v[212:213], v[206:207]
	v_fma_f64 v[204:205], -v[204:205], v[214:215], v[212:213]
	v_div_fmas_f64 v[204:205], v[204:205], v[206:207], v[214:215]
	v_div_fixup_f64 v[206:207], v[204:205], v[208:209], v[210:211]
	v_fmac_f64_e32 v[208:209], v[210:211], v[206:207]
	v_div_scale_f64 v[204:205], s[10:11], v[208:209], v[208:209], 1.0
	v_rcp_f64_e32 v[210:211], v[204:205]
	s_nop 0
	v_fma_f64 v[212:213], -v[204:205], v[210:211], 1.0
	v_fmac_f64_e32 v[210:211], v[210:211], v[212:213]
	v_fma_f64 v[212:213], -v[204:205], v[210:211], 1.0
	v_fmac_f64_e32 v[210:211], v[210:211], v[212:213]
	v_div_scale_f64 v[212:213], vcc, 1.0, v[208:209], 1.0
	v_mul_f64 v[214:215], v[212:213], v[210:211]
	v_fma_f64 v[204:205], -v[204:205], v[214:215], v[212:213]
	s_nop 1
	v_div_fmas_f64 v[204:205], v[204:205], v[210:211], v[214:215]
	v_div_fixup_f64 v[204:205], v[204:205], v[208:209], 1.0
	v_mul_f64 v[206:207], v[206:207], -v[204:205]
.LBB119_241:
	s_or_b64 exec, exec, s[2:3]
	ds_write2_b64 v201, v[204:205], v[206:207] offset1:1
.LBB119_242:
	s_or_b64 exec, exec, s[4:5]
	s_waitcnt lgkmcnt(0)
	s_barrier
	ds_read2_b64 v[192:195], v201 offset1:1
	v_cmp_lt_u32_e32 vcc, 26, v200
	s_waitcnt lgkmcnt(0)
	scratch_store_dwordx4 off, v[192:195], off offset:1056 ; 16-byte Folded Spill
	s_and_saveexec_b64 s[2:3], vcc
	s_cbranch_execz .LBB119_244
; %bb.243:
	scratch_load_dwordx4 v[192:195], off, off offset:1056 ; 16-byte Folded Reload
	s_waitcnt vmcnt(0)
	v_mul_f64 v[204:205], v[194:195], v[130:131]
	v_fma_f64 v[208:209], v[192:193], v[128:129], -v[204:205]
	ds_read2_b64 v[204:207], v202 offset0:54 offset1:55
	v_mul_f64 v[130:131], v[192:193], v[130:131]
	v_fmac_f64_e32 v[130:131], v[194:195], v[128:129]
	s_waitcnt lgkmcnt(0)
	v_mul_f64 v[128:129], v[206:207], v[130:131]
	v_fma_f64 v[128:129], v[204:205], v[208:209], -v[128:129]
	v_mul_f64 v[204:205], v[204:205], v[130:131]
	v_fmac_f64_e32 v[204:205], v[206:207], v[208:209]
	v_add_f64 v[126:127], v[126:127], -v[204:205]
	ds_read2_b64 v[204:207], v202 offset0:56 offset1:57
	v_add_f64 v[124:125], v[124:125], -v[128:129]
	s_waitcnt lgkmcnt(0)
	v_mul_f64 v[128:129], v[206:207], v[130:131]
	v_fma_f64 v[128:129], v[204:205], v[208:209], -v[128:129]
	v_mul_f64 v[204:205], v[204:205], v[130:131]
	v_fmac_f64_e32 v[204:205], v[206:207], v[208:209]
	v_add_f64 v[122:123], v[122:123], -v[204:205]
	ds_read2_b64 v[204:207], v202 offset0:58 offset1:59
	v_add_f64 v[120:121], v[120:121], -v[128:129]
	;; [unrolled: 8-line block ×32, first 2 shown]
	s_waitcnt lgkmcnt(0)
	v_mul_f64 v[128:129], v[206:207], v[130:131]
	v_fma_f64 v[128:129], v[204:205], v[208:209], -v[128:129]
	v_mul_f64 v[204:205], v[204:205], v[130:131]
	v_fmac_f64_e32 v[204:205], v[206:207], v[208:209]
	v_add_f64 v[236:237], v[236:237], -v[128:129]
	v_add_f64 v[238:239], v[238:239], -v[204:205]
	v_mov_b64_e32 v[128:129], v[208:209]
.LBB119_244:
	s_or_b64 exec, exec, s[2:3]
	v_cmp_eq_u32_e32 vcc, 27, v200
	s_waitcnt vmcnt(63) expcnt(7) lgkmcnt(15)
	s_barrier
	s_and_saveexec_b64 s[4:5], vcc
	s_cbranch_execz .LBB119_251
; %bb.245:
	ds_write2_b64 v201, v[124:125], v[126:127] offset1:1
	ds_write2_b64 v202, v[120:121], v[122:123] offset0:56 offset1:57
	ds_write2_b64 v202, v[116:117], v[118:119] offset0:58 offset1:59
	;; [unrolled: 1-line block ×13, first 2 shown]
	s_waitcnt vmcnt(58)
	ds_write2_b64 v202, v[68:69], v[70:71] offset0:82 offset1:83
	s_waitcnt vmcnt(57)
	ds_write2_b64 v202, v[64:65], v[66:67] offset0:84 offset1:85
	;; [unrolled: 2-line block ×11, first 2 shown]
	ds_write2_b64 v202, v[24:25], v[26:27] offset0:104 offset1:105
	ds_write2_b64 v202, v[20:21], v[22:23] offset0:106 offset1:107
	;; [unrolled: 1-line block ×6, first 2 shown]
	s_waitcnt vmcnt(47)
	ds_write2_b64 v202, v[0:1], v[2:3] offset0:116 offset1:117
	s_waitcnt vmcnt(44)
	ds_write2_b64 v202, v[236:237], v[238:239] offset0:118 offset1:119
	ds_read2_b64 v[208:211], v201 offset1:1
	s_waitcnt lgkmcnt(0)
	v_cmp_neq_f64_e32 vcc, 0, v[208:209]
	v_cmp_neq_f64_e64 s[2:3], 0, v[210:211]
	s_or_b64 s[2:3], vcc, s[2:3]
	s_and_b64 exec, exec, s[2:3]
	s_cbranch_execz .LBB119_251
; %bb.246:
	v_cmp_ngt_f64_e64 s[2:3], |v[208:209]|, |v[210:211]|
                                        ; implicit-def: $vgpr204_vgpr205
	s_and_saveexec_b64 s[10:11], s[2:3]
	s_xor_b64 s[2:3], exec, s[10:11]
                                        ; implicit-def: $vgpr206_vgpr207
	s_cbranch_execz .LBB119_248
; %bb.247:
	v_div_scale_f64 v[204:205], s[10:11], v[210:211], v[210:211], v[208:209]
	v_rcp_f64_e32 v[206:207], v[204:205]
	v_div_scale_f64 v[212:213], vcc, v[208:209], v[210:211], v[208:209]
	v_fma_f64 v[214:215], -v[204:205], v[206:207], 1.0
	v_fmac_f64_e32 v[206:207], v[206:207], v[214:215]
	v_fma_f64 v[214:215], -v[204:205], v[206:207], 1.0
	v_fmac_f64_e32 v[206:207], v[206:207], v[214:215]
	v_mul_f64 v[214:215], v[212:213], v[206:207]
	v_fma_f64 v[204:205], -v[204:205], v[214:215], v[212:213]
	v_div_fmas_f64 v[204:205], v[204:205], v[206:207], v[214:215]
	v_div_fixup_f64 v[204:205], v[204:205], v[210:211], v[208:209]
	v_fmac_f64_e32 v[210:211], v[208:209], v[204:205]
	v_div_scale_f64 v[206:207], s[10:11], v[210:211], v[210:211], 1.0
	v_rcp_f64_e32 v[208:209], v[206:207]
	s_nop 0
	v_fma_f64 v[212:213], -v[206:207], v[208:209], 1.0
	v_fmac_f64_e32 v[208:209], v[208:209], v[212:213]
	v_fma_f64 v[212:213], -v[206:207], v[208:209], 1.0
	v_fmac_f64_e32 v[208:209], v[208:209], v[212:213]
	v_div_scale_f64 v[212:213], vcc, 1.0, v[210:211], 1.0
	v_mul_f64 v[214:215], v[212:213], v[208:209]
	v_fma_f64 v[206:207], -v[206:207], v[214:215], v[212:213]
	s_nop 1
	v_div_fmas_f64 v[206:207], v[206:207], v[208:209], v[214:215]
	v_div_fixup_f64 v[206:207], v[206:207], v[210:211], 1.0
	v_mul_f64 v[204:205], v[204:205], v[206:207]
	v_xor_b32_e32 v207, 0x80000000, v207
                                        ; implicit-def: $vgpr208_vgpr209
.LBB119_248:
	s_andn2_saveexec_b64 s[2:3], s[2:3]
	s_cbranch_execz .LBB119_250
; %bb.249:
	v_div_scale_f64 v[204:205], s[10:11], v[208:209], v[208:209], v[210:211]
	v_rcp_f64_e32 v[206:207], v[204:205]
	v_div_scale_f64 v[212:213], vcc, v[210:211], v[208:209], v[210:211]
	v_fma_f64 v[214:215], -v[204:205], v[206:207], 1.0
	v_fmac_f64_e32 v[206:207], v[206:207], v[214:215]
	v_fma_f64 v[214:215], -v[204:205], v[206:207], 1.0
	v_fmac_f64_e32 v[206:207], v[206:207], v[214:215]
	v_mul_f64 v[214:215], v[212:213], v[206:207]
	v_fma_f64 v[204:205], -v[204:205], v[214:215], v[212:213]
	v_div_fmas_f64 v[204:205], v[204:205], v[206:207], v[214:215]
	v_div_fixup_f64 v[206:207], v[204:205], v[208:209], v[210:211]
	v_fmac_f64_e32 v[208:209], v[210:211], v[206:207]
	v_div_scale_f64 v[204:205], s[10:11], v[208:209], v[208:209], 1.0
	v_rcp_f64_e32 v[210:211], v[204:205]
	s_nop 0
	v_fma_f64 v[212:213], -v[204:205], v[210:211], 1.0
	v_fmac_f64_e32 v[210:211], v[210:211], v[212:213]
	v_fma_f64 v[212:213], -v[204:205], v[210:211], 1.0
	v_fmac_f64_e32 v[210:211], v[210:211], v[212:213]
	v_div_scale_f64 v[212:213], vcc, 1.0, v[208:209], 1.0
	v_mul_f64 v[214:215], v[212:213], v[210:211]
	v_fma_f64 v[204:205], -v[204:205], v[214:215], v[212:213]
	s_nop 1
	v_div_fmas_f64 v[204:205], v[204:205], v[210:211], v[214:215]
	v_div_fixup_f64 v[204:205], v[204:205], v[208:209], 1.0
	v_mul_f64 v[206:207], v[206:207], -v[204:205]
.LBB119_250:
	s_or_b64 exec, exec, s[2:3]
	ds_write2_b64 v201, v[204:205], v[206:207] offset1:1
.LBB119_251:
	s_or_b64 exec, exec, s[4:5]
	s_waitcnt lgkmcnt(0)
	s_barrier
	ds_read2_b64 v[192:195], v201 offset1:1
	v_cmp_lt_u32_e32 vcc, 27, v200
	s_waitcnt lgkmcnt(0)
	scratch_store_dwordx4 off, v[192:195], off offset:1072 ; 16-byte Folded Spill
	s_and_saveexec_b64 s[2:3], vcc
	s_cbranch_execz .LBB119_253
; %bb.252:
	scratch_load_dwordx4 v[192:195], off, off offset:1072 ; 16-byte Folded Reload
	s_waitcnt vmcnt(0)
	v_mul_f64 v[204:205], v[194:195], v[126:127]
	v_fma_f64 v[208:209], v[192:193], v[124:125], -v[204:205]
	ds_read2_b64 v[204:207], v202 offset0:56 offset1:57
	v_mul_f64 v[126:127], v[192:193], v[126:127]
	v_fmac_f64_e32 v[126:127], v[194:195], v[124:125]
	s_waitcnt lgkmcnt(0)
	v_mul_f64 v[124:125], v[206:207], v[126:127]
	v_fma_f64 v[124:125], v[204:205], v[208:209], -v[124:125]
	v_mul_f64 v[204:205], v[204:205], v[126:127]
	v_fmac_f64_e32 v[204:205], v[206:207], v[208:209]
	v_add_f64 v[122:123], v[122:123], -v[204:205]
	ds_read2_b64 v[204:207], v202 offset0:58 offset1:59
	v_add_f64 v[120:121], v[120:121], -v[124:125]
	s_waitcnt lgkmcnt(0)
	v_mul_f64 v[124:125], v[206:207], v[126:127]
	v_fma_f64 v[124:125], v[204:205], v[208:209], -v[124:125]
	v_mul_f64 v[204:205], v[204:205], v[126:127]
	v_fmac_f64_e32 v[204:205], v[206:207], v[208:209]
	v_add_f64 v[118:119], v[118:119], -v[204:205]
	ds_read2_b64 v[204:207], v202 offset0:60 offset1:61
	v_add_f64 v[116:117], v[116:117], -v[124:125]
	;; [unrolled: 8-line block ×31, first 2 shown]
	s_waitcnt lgkmcnt(0)
	v_mul_f64 v[124:125], v[206:207], v[126:127]
	v_fma_f64 v[124:125], v[204:205], v[208:209], -v[124:125]
	v_mul_f64 v[204:205], v[204:205], v[126:127]
	v_fmac_f64_e32 v[204:205], v[206:207], v[208:209]
	v_add_f64 v[236:237], v[236:237], -v[124:125]
	v_add_f64 v[238:239], v[238:239], -v[204:205]
	v_mov_b64_e32 v[124:125], v[208:209]
.LBB119_253:
	s_or_b64 exec, exec, s[2:3]
	v_cmp_eq_u32_e32 vcc, 28, v200
	s_waitcnt vmcnt(63) expcnt(7) lgkmcnt(15)
	s_barrier
	s_and_saveexec_b64 s[4:5], vcc
	s_cbranch_execz .LBB119_260
; %bb.254:
	ds_write2_b64 v201, v[120:121], v[122:123] offset1:1
	ds_write2_b64 v202, v[116:117], v[118:119] offset0:58 offset1:59
	ds_write2_b64 v202, v[112:113], v[114:115] offset0:60 offset1:61
	;; [unrolled: 1-line block ×12, first 2 shown]
	s_waitcnt vmcnt(59)
	ds_write2_b64 v202, v[68:69], v[70:71] offset0:82 offset1:83
	s_waitcnt vmcnt(58)
	ds_write2_b64 v202, v[64:65], v[66:67] offset0:84 offset1:85
	;; [unrolled: 2-line block ×11, first 2 shown]
	ds_write2_b64 v202, v[24:25], v[26:27] offset0:104 offset1:105
	ds_write2_b64 v202, v[20:21], v[22:23] offset0:106 offset1:107
	;; [unrolled: 1-line block ×6, first 2 shown]
	s_waitcnt vmcnt(48)
	ds_write2_b64 v202, v[0:1], v[2:3] offset0:116 offset1:117
	s_waitcnt vmcnt(45)
	ds_write2_b64 v202, v[236:237], v[238:239] offset0:118 offset1:119
	ds_read2_b64 v[208:211], v201 offset1:1
	s_waitcnt lgkmcnt(0)
	v_cmp_neq_f64_e32 vcc, 0, v[208:209]
	v_cmp_neq_f64_e64 s[2:3], 0, v[210:211]
	s_or_b64 s[2:3], vcc, s[2:3]
	s_and_b64 exec, exec, s[2:3]
	s_cbranch_execz .LBB119_260
; %bb.255:
	v_cmp_ngt_f64_e64 s[2:3], |v[208:209]|, |v[210:211]|
                                        ; implicit-def: $vgpr204_vgpr205
	s_and_saveexec_b64 s[10:11], s[2:3]
	s_xor_b64 s[2:3], exec, s[10:11]
                                        ; implicit-def: $vgpr206_vgpr207
	s_cbranch_execz .LBB119_257
; %bb.256:
	v_div_scale_f64 v[204:205], s[10:11], v[210:211], v[210:211], v[208:209]
	v_rcp_f64_e32 v[206:207], v[204:205]
	v_div_scale_f64 v[212:213], vcc, v[208:209], v[210:211], v[208:209]
	v_fma_f64 v[214:215], -v[204:205], v[206:207], 1.0
	v_fmac_f64_e32 v[206:207], v[206:207], v[214:215]
	v_fma_f64 v[214:215], -v[204:205], v[206:207], 1.0
	v_fmac_f64_e32 v[206:207], v[206:207], v[214:215]
	v_mul_f64 v[214:215], v[212:213], v[206:207]
	v_fma_f64 v[204:205], -v[204:205], v[214:215], v[212:213]
	v_div_fmas_f64 v[204:205], v[204:205], v[206:207], v[214:215]
	v_div_fixup_f64 v[204:205], v[204:205], v[210:211], v[208:209]
	v_fmac_f64_e32 v[210:211], v[208:209], v[204:205]
	v_div_scale_f64 v[206:207], s[10:11], v[210:211], v[210:211], 1.0
	v_rcp_f64_e32 v[208:209], v[206:207]
	s_nop 0
	v_fma_f64 v[212:213], -v[206:207], v[208:209], 1.0
	v_fmac_f64_e32 v[208:209], v[208:209], v[212:213]
	v_fma_f64 v[212:213], -v[206:207], v[208:209], 1.0
	v_fmac_f64_e32 v[208:209], v[208:209], v[212:213]
	v_div_scale_f64 v[212:213], vcc, 1.0, v[210:211], 1.0
	v_mul_f64 v[214:215], v[212:213], v[208:209]
	v_fma_f64 v[206:207], -v[206:207], v[214:215], v[212:213]
	s_nop 1
	v_div_fmas_f64 v[206:207], v[206:207], v[208:209], v[214:215]
	v_div_fixup_f64 v[206:207], v[206:207], v[210:211], 1.0
	v_mul_f64 v[204:205], v[204:205], v[206:207]
	v_xor_b32_e32 v207, 0x80000000, v207
                                        ; implicit-def: $vgpr208_vgpr209
.LBB119_257:
	s_andn2_saveexec_b64 s[2:3], s[2:3]
	s_cbranch_execz .LBB119_259
; %bb.258:
	v_div_scale_f64 v[204:205], s[10:11], v[208:209], v[208:209], v[210:211]
	v_rcp_f64_e32 v[206:207], v[204:205]
	v_div_scale_f64 v[212:213], vcc, v[210:211], v[208:209], v[210:211]
	v_fma_f64 v[214:215], -v[204:205], v[206:207], 1.0
	v_fmac_f64_e32 v[206:207], v[206:207], v[214:215]
	v_fma_f64 v[214:215], -v[204:205], v[206:207], 1.0
	v_fmac_f64_e32 v[206:207], v[206:207], v[214:215]
	v_mul_f64 v[214:215], v[212:213], v[206:207]
	v_fma_f64 v[204:205], -v[204:205], v[214:215], v[212:213]
	v_div_fmas_f64 v[204:205], v[204:205], v[206:207], v[214:215]
	v_div_fixup_f64 v[206:207], v[204:205], v[208:209], v[210:211]
	v_fmac_f64_e32 v[208:209], v[210:211], v[206:207]
	v_div_scale_f64 v[204:205], s[10:11], v[208:209], v[208:209], 1.0
	v_rcp_f64_e32 v[210:211], v[204:205]
	s_nop 0
	v_fma_f64 v[212:213], -v[204:205], v[210:211], 1.0
	v_fmac_f64_e32 v[210:211], v[210:211], v[212:213]
	v_fma_f64 v[212:213], -v[204:205], v[210:211], 1.0
	v_fmac_f64_e32 v[210:211], v[210:211], v[212:213]
	v_div_scale_f64 v[212:213], vcc, 1.0, v[208:209], 1.0
	v_mul_f64 v[214:215], v[212:213], v[210:211]
	v_fma_f64 v[204:205], -v[204:205], v[214:215], v[212:213]
	s_nop 1
	v_div_fmas_f64 v[204:205], v[204:205], v[210:211], v[214:215]
	v_div_fixup_f64 v[204:205], v[204:205], v[208:209], 1.0
	v_mul_f64 v[206:207], v[206:207], -v[204:205]
.LBB119_259:
	s_or_b64 exec, exec, s[2:3]
	ds_write2_b64 v201, v[204:205], v[206:207] offset1:1
.LBB119_260:
	s_or_b64 exec, exec, s[4:5]
	s_waitcnt lgkmcnt(0)
	s_barrier
	ds_read2_b64 v[192:195], v201 offset1:1
	v_cmp_lt_u32_e32 vcc, 28, v200
	s_waitcnt lgkmcnt(0)
	scratch_store_dwordx4 off, v[192:195], off offset:1088 ; 16-byte Folded Spill
	s_and_saveexec_b64 s[2:3], vcc
	s_cbranch_execz .LBB119_262
; %bb.261:
	scratch_load_dwordx4 v[192:195], off, off offset:1088 ; 16-byte Folded Reload
	s_waitcnt vmcnt(0)
	v_mul_f64 v[204:205], v[194:195], v[122:123]
	v_fma_f64 v[208:209], v[192:193], v[120:121], -v[204:205]
	ds_read2_b64 v[204:207], v202 offset0:58 offset1:59
	v_mul_f64 v[122:123], v[192:193], v[122:123]
	v_fmac_f64_e32 v[122:123], v[194:195], v[120:121]
	s_waitcnt lgkmcnt(0)
	v_mul_f64 v[120:121], v[206:207], v[122:123]
	v_fma_f64 v[120:121], v[204:205], v[208:209], -v[120:121]
	v_mul_f64 v[204:205], v[204:205], v[122:123]
	v_fmac_f64_e32 v[204:205], v[206:207], v[208:209]
	v_add_f64 v[118:119], v[118:119], -v[204:205]
	ds_read2_b64 v[204:207], v202 offset0:60 offset1:61
	v_add_f64 v[116:117], v[116:117], -v[120:121]
	s_waitcnt lgkmcnt(0)
	v_mul_f64 v[120:121], v[206:207], v[122:123]
	v_fma_f64 v[120:121], v[204:205], v[208:209], -v[120:121]
	v_mul_f64 v[204:205], v[204:205], v[122:123]
	v_fmac_f64_e32 v[204:205], v[206:207], v[208:209]
	v_add_f64 v[114:115], v[114:115], -v[204:205]
	ds_read2_b64 v[204:207], v202 offset0:62 offset1:63
	v_add_f64 v[112:113], v[112:113], -v[120:121]
	;; [unrolled: 8-line block ×30, first 2 shown]
	s_waitcnt lgkmcnt(0)
	v_mul_f64 v[120:121], v[206:207], v[122:123]
	v_fma_f64 v[120:121], v[204:205], v[208:209], -v[120:121]
	v_mul_f64 v[204:205], v[204:205], v[122:123]
	v_fmac_f64_e32 v[204:205], v[206:207], v[208:209]
	v_add_f64 v[236:237], v[236:237], -v[120:121]
	v_add_f64 v[238:239], v[238:239], -v[204:205]
	v_mov_b64_e32 v[120:121], v[208:209]
.LBB119_262:
	s_or_b64 exec, exec, s[2:3]
	v_cmp_eq_u32_e32 vcc, 29, v200
	s_waitcnt vmcnt(63) expcnt(7) lgkmcnt(15)
	s_barrier
	s_and_saveexec_b64 s[4:5], vcc
	s_cbranch_execz .LBB119_269
; %bb.263:
	ds_write2_b64 v201, v[116:117], v[118:119] offset1:1
	ds_write2_b64 v202, v[112:113], v[114:115] offset0:60 offset1:61
	ds_write2_b64 v202, v[108:109], v[110:111] offset0:62 offset1:63
	;; [unrolled: 1-line block ×11, first 2 shown]
	s_waitcnt vmcnt(60)
	ds_write2_b64 v202, v[68:69], v[70:71] offset0:82 offset1:83
	s_waitcnt vmcnt(59)
	ds_write2_b64 v202, v[64:65], v[66:67] offset0:84 offset1:85
	;; [unrolled: 2-line block ×11, first 2 shown]
	ds_write2_b64 v202, v[24:25], v[26:27] offset0:104 offset1:105
	ds_write2_b64 v202, v[20:21], v[22:23] offset0:106 offset1:107
	;; [unrolled: 1-line block ×6, first 2 shown]
	s_waitcnt vmcnt(49)
	ds_write2_b64 v202, v[0:1], v[2:3] offset0:116 offset1:117
	s_waitcnt vmcnt(46)
	ds_write2_b64 v202, v[236:237], v[238:239] offset0:118 offset1:119
	ds_read2_b64 v[208:211], v201 offset1:1
	s_waitcnt lgkmcnt(0)
	v_cmp_neq_f64_e32 vcc, 0, v[208:209]
	v_cmp_neq_f64_e64 s[2:3], 0, v[210:211]
	s_or_b64 s[2:3], vcc, s[2:3]
	s_and_b64 exec, exec, s[2:3]
	s_cbranch_execz .LBB119_269
; %bb.264:
	v_cmp_ngt_f64_e64 s[2:3], |v[208:209]|, |v[210:211]|
                                        ; implicit-def: $vgpr204_vgpr205
	s_and_saveexec_b64 s[10:11], s[2:3]
	s_xor_b64 s[2:3], exec, s[10:11]
                                        ; implicit-def: $vgpr206_vgpr207
	s_cbranch_execz .LBB119_266
; %bb.265:
	v_div_scale_f64 v[204:205], s[10:11], v[210:211], v[210:211], v[208:209]
	v_rcp_f64_e32 v[206:207], v[204:205]
	v_div_scale_f64 v[212:213], vcc, v[208:209], v[210:211], v[208:209]
	v_fma_f64 v[214:215], -v[204:205], v[206:207], 1.0
	v_fmac_f64_e32 v[206:207], v[206:207], v[214:215]
	v_fma_f64 v[214:215], -v[204:205], v[206:207], 1.0
	v_fmac_f64_e32 v[206:207], v[206:207], v[214:215]
	v_mul_f64 v[214:215], v[212:213], v[206:207]
	v_fma_f64 v[204:205], -v[204:205], v[214:215], v[212:213]
	v_div_fmas_f64 v[204:205], v[204:205], v[206:207], v[214:215]
	v_div_fixup_f64 v[204:205], v[204:205], v[210:211], v[208:209]
	v_fmac_f64_e32 v[210:211], v[208:209], v[204:205]
	v_div_scale_f64 v[206:207], s[10:11], v[210:211], v[210:211], 1.0
	v_rcp_f64_e32 v[208:209], v[206:207]
	s_nop 0
	v_fma_f64 v[212:213], -v[206:207], v[208:209], 1.0
	v_fmac_f64_e32 v[208:209], v[208:209], v[212:213]
	v_fma_f64 v[212:213], -v[206:207], v[208:209], 1.0
	v_fmac_f64_e32 v[208:209], v[208:209], v[212:213]
	v_div_scale_f64 v[212:213], vcc, 1.0, v[210:211], 1.0
	v_mul_f64 v[214:215], v[212:213], v[208:209]
	v_fma_f64 v[206:207], -v[206:207], v[214:215], v[212:213]
	s_nop 1
	v_div_fmas_f64 v[206:207], v[206:207], v[208:209], v[214:215]
	v_div_fixup_f64 v[206:207], v[206:207], v[210:211], 1.0
	v_mul_f64 v[204:205], v[204:205], v[206:207]
	v_xor_b32_e32 v207, 0x80000000, v207
                                        ; implicit-def: $vgpr208_vgpr209
.LBB119_266:
	s_andn2_saveexec_b64 s[2:3], s[2:3]
	s_cbranch_execz .LBB119_268
; %bb.267:
	v_div_scale_f64 v[204:205], s[10:11], v[208:209], v[208:209], v[210:211]
	v_rcp_f64_e32 v[206:207], v[204:205]
	v_div_scale_f64 v[212:213], vcc, v[210:211], v[208:209], v[210:211]
	v_fma_f64 v[214:215], -v[204:205], v[206:207], 1.0
	v_fmac_f64_e32 v[206:207], v[206:207], v[214:215]
	v_fma_f64 v[214:215], -v[204:205], v[206:207], 1.0
	v_fmac_f64_e32 v[206:207], v[206:207], v[214:215]
	v_mul_f64 v[214:215], v[212:213], v[206:207]
	v_fma_f64 v[204:205], -v[204:205], v[214:215], v[212:213]
	v_div_fmas_f64 v[204:205], v[204:205], v[206:207], v[214:215]
	v_div_fixup_f64 v[206:207], v[204:205], v[208:209], v[210:211]
	v_fmac_f64_e32 v[208:209], v[210:211], v[206:207]
	v_div_scale_f64 v[204:205], s[10:11], v[208:209], v[208:209], 1.0
	v_rcp_f64_e32 v[210:211], v[204:205]
	s_nop 0
	v_fma_f64 v[212:213], -v[204:205], v[210:211], 1.0
	v_fmac_f64_e32 v[210:211], v[210:211], v[212:213]
	v_fma_f64 v[212:213], -v[204:205], v[210:211], 1.0
	v_fmac_f64_e32 v[210:211], v[210:211], v[212:213]
	v_div_scale_f64 v[212:213], vcc, 1.0, v[208:209], 1.0
	v_mul_f64 v[214:215], v[212:213], v[210:211]
	v_fma_f64 v[204:205], -v[204:205], v[214:215], v[212:213]
	s_nop 1
	v_div_fmas_f64 v[204:205], v[204:205], v[210:211], v[214:215]
	v_div_fixup_f64 v[204:205], v[204:205], v[208:209], 1.0
	v_mul_f64 v[206:207], v[206:207], -v[204:205]
.LBB119_268:
	s_or_b64 exec, exec, s[2:3]
	ds_write2_b64 v201, v[204:205], v[206:207] offset1:1
.LBB119_269:
	s_or_b64 exec, exec, s[4:5]
	s_waitcnt lgkmcnt(0)
	s_barrier
	ds_read2_b64 v[192:195], v201 offset1:1
	v_cmp_lt_u32_e32 vcc, 29, v200
	s_waitcnt lgkmcnt(0)
	scratch_store_dwordx4 off, v[192:195], off offset:1104 ; 16-byte Folded Spill
	s_and_saveexec_b64 s[2:3], vcc
	s_cbranch_execz .LBB119_271
; %bb.270:
	scratch_load_dwordx4 v[192:195], off, off offset:1104 ; 16-byte Folded Reload
	s_waitcnt vmcnt(0)
	v_mul_f64 v[204:205], v[194:195], v[118:119]
	v_fma_f64 v[208:209], v[192:193], v[116:117], -v[204:205]
	ds_read2_b64 v[204:207], v202 offset0:60 offset1:61
	v_mul_f64 v[118:119], v[192:193], v[118:119]
	v_fmac_f64_e32 v[118:119], v[194:195], v[116:117]
	s_waitcnt lgkmcnt(0)
	v_mul_f64 v[116:117], v[206:207], v[118:119]
	v_fma_f64 v[116:117], v[204:205], v[208:209], -v[116:117]
	v_mul_f64 v[204:205], v[204:205], v[118:119]
	v_fmac_f64_e32 v[204:205], v[206:207], v[208:209]
	v_add_f64 v[114:115], v[114:115], -v[204:205]
	ds_read2_b64 v[204:207], v202 offset0:62 offset1:63
	v_add_f64 v[112:113], v[112:113], -v[116:117]
	s_waitcnt lgkmcnt(0)
	v_mul_f64 v[116:117], v[206:207], v[118:119]
	v_fma_f64 v[116:117], v[204:205], v[208:209], -v[116:117]
	v_mul_f64 v[204:205], v[204:205], v[118:119]
	v_fmac_f64_e32 v[204:205], v[206:207], v[208:209]
	v_add_f64 v[110:111], v[110:111], -v[204:205]
	ds_read2_b64 v[204:207], v202 offset0:64 offset1:65
	v_add_f64 v[108:109], v[108:109], -v[116:117]
	;; [unrolled: 8-line block ×29, first 2 shown]
	s_waitcnt lgkmcnt(0)
	v_mul_f64 v[116:117], v[206:207], v[118:119]
	v_fma_f64 v[116:117], v[204:205], v[208:209], -v[116:117]
	v_mul_f64 v[204:205], v[204:205], v[118:119]
	v_fmac_f64_e32 v[204:205], v[206:207], v[208:209]
	v_add_f64 v[236:237], v[236:237], -v[116:117]
	v_add_f64 v[238:239], v[238:239], -v[204:205]
	v_mov_b64_e32 v[116:117], v[208:209]
.LBB119_271:
	s_or_b64 exec, exec, s[2:3]
	v_cmp_eq_u32_e32 vcc, 30, v200
	s_waitcnt vmcnt(63) expcnt(7) lgkmcnt(15)
	s_barrier
	s_and_saveexec_b64 s[4:5], vcc
	s_cbranch_execz .LBB119_278
; %bb.272:
	ds_write2_b64 v201, v[112:113], v[114:115] offset1:1
	ds_write2_b64 v202, v[108:109], v[110:111] offset0:62 offset1:63
	ds_write2_b64 v202, v[104:105], v[106:107] offset0:64 offset1:65
	;; [unrolled: 1-line block ×10, first 2 shown]
	s_waitcnt vmcnt(61)
	ds_write2_b64 v202, v[68:69], v[70:71] offset0:82 offset1:83
	s_waitcnt vmcnt(60)
	ds_write2_b64 v202, v[64:65], v[66:67] offset0:84 offset1:85
	;; [unrolled: 2-line block ×11, first 2 shown]
	ds_write2_b64 v202, v[24:25], v[26:27] offset0:104 offset1:105
	ds_write2_b64 v202, v[20:21], v[22:23] offset0:106 offset1:107
	;; [unrolled: 1-line block ×6, first 2 shown]
	s_waitcnt vmcnt(50)
	ds_write2_b64 v202, v[0:1], v[2:3] offset0:116 offset1:117
	s_waitcnt vmcnt(47)
	ds_write2_b64 v202, v[236:237], v[238:239] offset0:118 offset1:119
	ds_read2_b64 v[208:211], v201 offset1:1
	s_waitcnt lgkmcnt(0)
	v_cmp_neq_f64_e32 vcc, 0, v[208:209]
	v_cmp_neq_f64_e64 s[2:3], 0, v[210:211]
	s_or_b64 s[2:3], vcc, s[2:3]
	s_and_b64 exec, exec, s[2:3]
	s_cbranch_execz .LBB119_278
; %bb.273:
	v_cmp_ngt_f64_e64 s[2:3], |v[208:209]|, |v[210:211]|
                                        ; implicit-def: $vgpr204_vgpr205
	s_and_saveexec_b64 s[10:11], s[2:3]
	s_xor_b64 s[2:3], exec, s[10:11]
                                        ; implicit-def: $vgpr206_vgpr207
	s_cbranch_execz .LBB119_275
; %bb.274:
	v_div_scale_f64 v[204:205], s[10:11], v[210:211], v[210:211], v[208:209]
	v_rcp_f64_e32 v[206:207], v[204:205]
	v_div_scale_f64 v[212:213], vcc, v[208:209], v[210:211], v[208:209]
	v_fma_f64 v[214:215], -v[204:205], v[206:207], 1.0
	v_fmac_f64_e32 v[206:207], v[206:207], v[214:215]
	v_fma_f64 v[214:215], -v[204:205], v[206:207], 1.0
	v_fmac_f64_e32 v[206:207], v[206:207], v[214:215]
	v_mul_f64 v[214:215], v[212:213], v[206:207]
	v_fma_f64 v[204:205], -v[204:205], v[214:215], v[212:213]
	v_div_fmas_f64 v[204:205], v[204:205], v[206:207], v[214:215]
	v_div_fixup_f64 v[204:205], v[204:205], v[210:211], v[208:209]
	v_fmac_f64_e32 v[210:211], v[208:209], v[204:205]
	v_div_scale_f64 v[206:207], s[10:11], v[210:211], v[210:211], 1.0
	v_rcp_f64_e32 v[208:209], v[206:207]
	s_nop 0
	v_fma_f64 v[212:213], -v[206:207], v[208:209], 1.0
	v_fmac_f64_e32 v[208:209], v[208:209], v[212:213]
	v_fma_f64 v[212:213], -v[206:207], v[208:209], 1.0
	v_fmac_f64_e32 v[208:209], v[208:209], v[212:213]
	v_div_scale_f64 v[212:213], vcc, 1.0, v[210:211], 1.0
	v_mul_f64 v[214:215], v[212:213], v[208:209]
	v_fma_f64 v[206:207], -v[206:207], v[214:215], v[212:213]
	s_nop 1
	v_div_fmas_f64 v[206:207], v[206:207], v[208:209], v[214:215]
	v_div_fixup_f64 v[206:207], v[206:207], v[210:211], 1.0
	v_mul_f64 v[204:205], v[204:205], v[206:207]
	v_xor_b32_e32 v207, 0x80000000, v207
                                        ; implicit-def: $vgpr208_vgpr209
.LBB119_275:
	s_andn2_saveexec_b64 s[2:3], s[2:3]
	s_cbranch_execz .LBB119_277
; %bb.276:
	v_div_scale_f64 v[204:205], s[10:11], v[208:209], v[208:209], v[210:211]
	v_rcp_f64_e32 v[206:207], v[204:205]
	v_div_scale_f64 v[212:213], vcc, v[210:211], v[208:209], v[210:211]
	v_fma_f64 v[214:215], -v[204:205], v[206:207], 1.0
	v_fmac_f64_e32 v[206:207], v[206:207], v[214:215]
	v_fma_f64 v[214:215], -v[204:205], v[206:207], 1.0
	v_fmac_f64_e32 v[206:207], v[206:207], v[214:215]
	v_mul_f64 v[214:215], v[212:213], v[206:207]
	v_fma_f64 v[204:205], -v[204:205], v[214:215], v[212:213]
	v_div_fmas_f64 v[204:205], v[204:205], v[206:207], v[214:215]
	v_div_fixup_f64 v[206:207], v[204:205], v[208:209], v[210:211]
	v_fmac_f64_e32 v[208:209], v[210:211], v[206:207]
	v_div_scale_f64 v[204:205], s[10:11], v[208:209], v[208:209], 1.0
	v_rcp_f64_e32 v[210:211], v[204:205]
	s_nop 0
	v_fma_f64 v[212:213], -v[204:205], v[210:211], 1.0
	v_fmac_f64_e32 v[210:211], v[210:211], v[212:213]
	v_fma_f64 v[212:213], -v[204:205], v[210:211], 1.0
	v_fmac_f64_e32 v[210:211], v[210:211], v[212:213]
	v_div_scale_f64 v[212:213], vcc, 1.0, v[208:209], 1.0
	v_mul_f64 v[214:215], v[212:213], v[210:211]
	v_fma_f64 v[204:205], -v[204:205], v[214:215], v[212:213]
	s_nop 1
	v_div_fmas_f64 v[204:205], v[204:205], v[210:211], v[214:215]
	v_div_fixup_f64 v[204:205], v[204:205], v[208:209], 1.0
	v_mul_f64 v[206:207], v[206:207], -v[204:205]
.LBB119_277:
	s_or_b64 exec, exec, s[2:3]
	ds_write2_b64 v201, v[204:205], v[206:207] offset1:1
.LBB119_278:
	s_or_b64 exec, exec, s[4:5]
	s_waitcnt lgkmcnt(0)
	s_barrier
	ds_read2_b64 v[192:195], v201 offset1:1
	v_cmp_lt_u32_e32 vcc, 30, v200
	s_waitcnt lgkmcnt(0)
	scratch_store_dwordx4 off, v[192:195], off offset:1120 ; 16-byte Folded Spill
	s_and_saveexec_b64 s[2:3], vcc
	s_cbranch_execz .LBB119_280
; %bb.279:
	scratch_load_dwordx4 v[192:195], off, off offset:1120 ; 16-byte Folded Reload
	s_waitcnt vmcnt(0)
	v_mul_f64 v[204:205], v[194:195], v[114:115]
	v_fma_f64 v[208:209], v[192:193], v[112:113], -v[204:205]
	ds_read2_b64 v[204:207], v202 offset0:62 offset1:63
	v_mul_f64 v[114:115], v[192:193], v[114:115]
	v_fmac_f64_e32 v[114:115], v[194:195], v[112:113]
	s_waitcnt lgkmcnt(0)
	v_mul_f64 v[112:113], v[206:207], v[114:115]
	v_fma_f64 v[112:113], v[204:205], v[208:209], -v[112:113]
	v_mul_f64 v[204:205], v[204:205], v[114:115]
	v_fmac_f64_e32 v[204:205], v[206:207], v[208:209]
	v_add_f64 v[110:111], v[110:111], -v[204:205]
	ds_read2_b64 v[204:207], v202 offset0:64 offset1:65
	v_add_f64 v[108:109], v[108:109], -v[112:113]
	s_waitcnt lgkmcnt(0)
	v_mul_f64 v[112:113], v[206:207], v[114:115]
	v_fma_f64 v[112:113], v[204:205], v[208:209], -v[112:113]
	v_mul_f64 v[204:205], v[204:205], v[114:115]
	v_fmac_f64_e32 v[204:205], v[206:207], v[208:209]
	v_add_f64 v[106:107], v[106:107], -v[204:205]
	ds_read2_b64 v[204:207], v202 offset0:66 offset1:67
	v_add_f64 v[104:105], v[104:105], -v[112:113]
	s_waitcnt lgkmcnt(0)
	v_mul_f64 v[112:113], v[206:207], v[114:115]
	v_fma_f64 v[112:113], v[204:205], v[208:209], -v[112:113]
	v_mul_f64 v[204:205], v[204:205], v[114:115]
	v_fmac_f64_e32 v[204:205], v[206:207], v[208:209]
	v_add_f64 v[102:103], v[102:103], -v[204:205]
	ds_read2_b64 v[204:207], v202 offset0:68 offset1:69
	v_add_f64 v[100:101], v[100:101], -v[112:113]
	s_waitcnt lgkmcnt(0)
	v_mul_f64 v[112:113], v[206:207], v[114:115]
	v_fma_f64 v[112:113], v[204:205], v[208:209], -v[112:113]
	v_mul_f64 v[204:205], v[204:205], v[114:115]
	v_fmac_f64_e32 v[204:205], v[206:207], v[208:209]
	v_add_f64 v[98:99], v[98:99], -v[204:205]
	ds_read2_b64 v[204:207], v202 offset0:70 offset1:71
	v_add_f64 v[96:97], v[96:97], -v[112:113]
	s_waitcnt lgkmcnt(0)
	v_mul_f64 v[112:113], v[206:207], v[114:115]
	v_fma_f64 v[112:113], v[204:205], v[208:209], -v[112:113]
	v_mul_f64 v[204:205], v[204:205], v[114:115]
	v_fmac_f64_e32 v[204:205], v[206:207], v[208:209]
	v_add_f64 v[94:95], v[94:95], -v[204:205]
	ds_read2_b64 v[204:207], v202 offset0:72 offset1:73
	v_add_f64 v[92:93], v[92:93], -v[112:113]
	s_waitcnt lgkmcnt(0)
	v_mul_f64 v[112:113], v[206:207], v[114:115]
	v_fma_f64 v[112:113], v[204:205], v[208:209], -v[112:113]
	v_mul_f64 v[204:205], v[204:205], v[114:115]
	v_fmac_f64_e32 v[204:205], v[206:207], v[208:209]
	v_add_f64 v[90:91], v[90:91], -v[204:205]
	ds_read2_b64 v[204:207], v202 offset0:74 offset1:75
	v_add_f64 v[88:89], v[88:89], -v[112:113]
	s_waitcnt lgkmcnt(0)
	v_mul_f64 v[112:113], v[206:207], v[114:115]
	v_fma_f64 v[112:113], v[204:205], v[208:209], -v[112:113]
	v_mul_f64 v[204:205], v[204:205], v[114:115]
	v_fmac_f64_e32 v[204:205], v[206:207], v[208:209]
	v_add_f64 v[86:87], v[86:87], -v[204:205]
	ds_read2_b64 v[204:207], v202 offset0:76 offset1:77
	v_add_f64 v[84:85], v[84:85], -v[112:113]
	s_waitcnt lgkmcnt(0)
	v_mul_f64 v[112:113], v[206:207], v[114:115]
	v_fma_f64 v[112:113], v[204:205], v[208:209], -v[112:113]
	v_mul_f64 v[204:205], v[204:205], v[114:115]
	v_fmac_f64_e32 v[204:205], v[206:207], v[208:209]
	v_add_f64 v[82:83], v[82:83], -v[204:205]
	ds_read2_b64 v[204:207], v202 offset0:78 offset1:79
	v_add_f64 v[80:81], v[80:81], -v[112:113]
	s_waitcnt lgkmcnt(0)
	v_mul_f64 v[112:113], v[206:207], v[114:115]
	v_fma_f64 v[112:113], v[204:205], v[208:209], -v[112:113]
	v_mul_f64 v[204:205], v[204:205], v[114:115]
	v_fmac_f64_e32 v[204:205], v[206:207], v[208:209]
	v_add_f64 v[78:79], v[78:79], -v[204:205]
	ds_read2_b64 v[204:207], v202 offset0:80 offset1:81
	v_add_f64 v[76:77], v[76:77], -v[112:113]
	s_waitcnt lgkmcnt(0)
	v_mul_f64 v[112:113], v[206:207], v[114:115]
	v_fma_f64 v[112:113], v[204:205], v[208:209], -v[112:113]
	v_mul_f64 v[204:205], v[204:205], v[114:115]
	v_fmac_f64_e32 v[204:205], v[206:207], v[208:209]
	v_add_f64 v[74:75], v[74:75], -v[204:205]
	ds_read2_b64 v[204:207], v202 offset0:82 offset1:83
	v_add_f64 v[72:73], v[72:73], -v[112:113]
	s_waitcnt lgkmcnt(0)
	v_mul_f64 v[112:113], v[206:207], v[114:115]
	v_fma_f64 v[112:113], v[204:205], v[208:209], -v[112:113]
	v_mul_f64 v[204:205], v[204:205], v[114:115]
	v_fmac_f64_e32 v[204:205], v[206:207], v[208:209]
	v_add_f64 v[70:71], v[70:71], -v[204:205]
	ds_read2_b64 v[204:207], v202 offset0:84 offset1:85
	v_add_f64 v[68:69], v[68:69], -v[112:113]
	s_waitcnt lgkmcnt(0)
	v_mul_f64 v[112:113], v[206:207], v[114:115]
	v_fma_f64 v[112:113], v[204:205], v[208:209], -v[112:113]
	v_mul_f64 v[204:205], v[204:205], v[114:115]
	v_fmac_f64_e32 v[204:205], v[206:207], v[208:209]
	v_add_f64 v[66:67], v[66:67], -v[204:205]
	ds_read2_b64 v[204:207], v202 offset0:86 offset1:87
	v_add_f64 v[64:65], v[64:65], -v[112:113]
	s_waitcnt lgkmcnt(0)
	v_mul_f64 v[112:113], v[206:207], v[114:115]
	v_fma_f64 v[112:113], v[204:205], v[208:209], -v[112:113]
	v_mul_f64 v[204:205], v[204:205], v[114:115]
	v_fmac_f64_e32 v[204:205], v[206:207], v[208:209]
	v_add_f64 v[62:63], v[62:63], -v[204:205]
	ds_read2_b64 v[204:207], v202 offset0:88 offset1:89
	v_add_f64 v[60:61], v[60:61], -v[112:113]
	s_waitcnt lgkmcnt(0)
	v_mul_f64 v[112:113], v[206:207], v[114:115]
	v_fma_f64 v[112:113], v[204:205], v[208:209], -v[112:113]
	v_mul_f64 v[204:205], v[204:205], v[114:115]
	v_fmac_f64_e32 v[204:205], v[206:207], v[208:209]
	v_add_f64 v[58:59], v[58:59], -v[204:205]
	ds_read2_b64 v[204:207], v202 offset0:90 offset1:91
	v_add_f64 v[56:57], v[56:57], -v[112:113]
	s_waitcnt lgkmcnt(0)
	v_mul_f64 v[112:113], v[206:207], v[114:115]
	v_fma_f64 v[112:113], v[204:205], v[208:209], -v[112:113]
	v_mul_f64 v[204:205], v[204:205], v[114:115]
	v_fmac_f64_e32 v[204:205], v[206:207], v[208:209]
	v_add_f64 v[54:55], v[54:55], -v[204:205]
	ds_read2_b64 v[204:207], v202 offset0:92 offset1:93
	v_add_f64 v[52:53], v[52:53], -v[112:113]
	s_waitcnt lgkmcnt(0)
	v_mul_f64 v[112:113], v[206:207], v[114:115]
	v_fma_f64 v[112:113], v[204:205], v[208:209], -v[112:113]
	v_mul_f64 v[204:205], v[204:205], v[114:115]
	v_fmac_f64_e32 v[204:205], v[206:207], v[208:209]
	v_add_f64 v[50:51], v[50:51], -v[204:205]
	ds_read2_b64 v[204:207], v202 offset0:94 offset1:95
	v_add_f64 v[48:49], v[48:49], -v[112:113]
	s_waitcnt lgkmcnt(0)
	v_mul_f64 v[112:113], v[206:207], v[114:115]
	v_fma_f64 v[112:113], v[204:205], v[208:209], -v[112:113]
	v_mul_f64 v[204:205], v[204:205], v[114:115]
	v_fmac_f64_e32 v[204:205], v[206:207], v[208:209]
	v_add_f64 v[46:47], v[46:47], -v[204:205]
	ds_read2_b64 v[204:207], v202 offset0:96 offset1:97
	v_add_f64 v[44:45], v[44:45], -v[112:113]
	s_waitcnt lgkmcnt(0)
	v_mul_f64 v[112:113], v[206:207], v[114:115]
	v_fma_f64 v[112:113], v[204:205], v[208:209], -v[112:113]
	v_mul_f64 v[204:205], v[204:205], v[114:115]
	v_fmac_f64_e32 v[204:205], v[206:207], v[208:209]
	v_add_f64 v[42:43], v[42:43], -v[204:205]
	ds_read2_b64 v[204:207], v202 offset0:98 offset1:99
	v_add_f64 v[40:41], v[40:41], -v[112:113]
	s_waitcnt lgkmcnt(0)
	v_mul_f64 v[112:113], v[206:207], v[114:115]
	v_fma_f64 v[112:113], v[204:205], v[208:209], -v[112:113]
	v_mul_f64 v[204:205], v[204:205], v[114:115]
	v_fmac_f64_e32 v[204:205], v[206:207], v[208:209]
	v_add_f64 v[38:39], v[38:39], -v[204:205]
	ds_read2_b64 v[204:207], v202 offset0:100 offset1:101
	v_add_f64 v[36:37], v[36:37], -v[112:113]
	s_waitcnt lgkmcnt(0)
	v_mul_f64 v[112:113], v[206:207], v[114:115]
	v_fma_f64 v[112:113], v[204:205], v[208:209], -v[112:113]
	v_mul_f64 v[204:205], v[204:205], v[114:115]
	v_fmac_f64_e32 v[204:205], v[206:207], v[208:209]
	v_add_f64 v[34:35], v[34:35], -v[204:205]
	ds_read2_b64 v[204:207], v202 offset0:102 offset1:103
	v_add_f64 v[32:33], v[32:33], -v[112:113]
	s_waitcnt lgkmcnt(0)
	v_mul_f64 v[112:113], v[206:207], v[114:115]
	v_fma_f64 v[112:113], v[204:205], v[208:209], -v[112:113]
	v_mul_f64 v[204:205], v[204:205], v[114:115]
	v_fmac_f64_e32 v[204:205], v[206:207], v[208:209]
	v_add_f64 v[30:31], v[30:31], -v[204:205]
	ds_read2_b64 v[204:207], v202 offset0:104 offset1:105
	v_add_f64 v[28:29], v[28:29], -v[112:113]
	s_waitcnt lgkmcnt(0)
	v_mul_f64 v[112:113], v[206:207], v[114:115]
	v_fma_f64 v[112:113], v[204:205], v[208:209], -v[112:113]
	v_mul_f64 v[204:205], v[204:205], v[114:115]
	v_fmac_f64_e32 v[204:205], v[206:207], v[208:209]
	v_add_f64 v[26:27], v[26:27], -v[204:205]
	ds_read2_b64 v[204:207], v202 offset0:106 offset1:107
	v_add_f64 v[24:25], v[24:25], -v[112:113]
	s_waitcnt lgkmcnt(0)
	v_mul_f64 v[112:113], v[206:207], v[114:115]
	v_fma_f64 v[112:113], v[204:205], v[208:209], -v[112:113]
	v_mul_f64 v[204:205], v[204:205], v[114:115]
	v_fmac_f64_e32 v[204:205], v[206:207], v[208:209]
	v_add_f64 v[22:23], v[22:23], -v[204:205]
	ds_read2_b64 v[204:207], v202 offset0:108 offset1:109
	v_add_f64 v[20:21], v[20:21], -v[112:113]
	s_waitcnt lgkmcnt(0)
	v_mul_f64 v[112:113], v[206:207], v[114:115]
	v_fma_f64 v[112:113], v[204:205], v[208:209], -v[112:113]
	v_mul_f64 v[204:205], v[204:205], v[114:115]
	v_fmac_f64_e32 v[204:205], v[206:207], v[208:209]
	v_add_f64 v[18:19], v[18:19], -v[204:205]
	ds_read2_b64 v[204:207], v202 offset0:110 offset1:111
	v_add_f64 v[16:17], v[16:17], -v[112:113]
	s_waitcnt lgkmcnt(0)
	v_mul_f64 v[112:113], v[206:207], v[114:115]
	v_fma_f64 v[112:113], v[204:205], v[208:209], -v[112:113]
	v_mul_f64 v[204:205], v[204:205], v[114:115]
	v_fmac_f64_e32 v[204:205], v[206:207], v[208:209]
	v_add_f64 v[14:15], v[14:15], -v[204:205]
	ds_read2_b64 v[204:207], v202 offset0:112 offset1:113
	v_add_f64 v[12:13], v[12:13], -v[112:113]
	s_waitcnt lgkmcnt(0)
	v_mul_f64 v[112:113], v[206:207], v[114:115]
	v_fma_f64 v[112:113], v[204:205], v[208:209], -v[112:113]
	v_mul_f64 v[204:205], v[204:205], v[114:115]
	v_fmac_f64_e32 v[204:205], v[206:207], v[208:209]
	v_add_f64 v[10:11], v[10:11], -v[204:205]
	ds_read2_b64 v[204:207], v202 offset0:114 offset1:115
	v_add_f64 v[8:9], v[8:9], -v[112:113]
	s_waitcnt lgkmcnt(0)
	v_mul_f64 v[112:113], v[206:207], v[114:115]
	v_fma_f64 v[112:113], v[204:205], v[208:209], -v[112:113]
	v_mul_f64 v[204:205], v[204:205], v[114:115]
	v_fmac_f64_e32 v[204:205], v[206:207], v[208:209]
	v_add_f64 v[6:7], v[6:7], -v[204:205]
	ds_read2_b64 v[204:207], v202 offset0:116 offset1:117
	v_add_f64 v[4:5], v[4:5], -v[112:113]
	s_waitcnt lgkmcnt(0)
	v_mul_f64 v[112:113], v[206:207], v[114:115]
	v_fma_f64 v[112:113], v[204:205], v[208:209], -v[112:113]
	v_mul_f64 v[204:205], v[204:205], v[114:115]
	v_fmac_f64_e32 v[204:205], v[206:207], v[208:209]
	v_add_f64 v[2:3], v[2:3], -v[204:205]
	ds_read2_b64 v[204:207], v202 offset0:118 offset1:119
	v_add_f64 v[0:1], v[0:1], -v[112:113]
	s_waitcnt lgkmcnt(0)
	v_mul_f64 v[112:113], v[206:207], v[114:115]
	v_fma_f64 v[112:113], v[204:205], v[208:209], -v[112:113]
	v_mul_f64 v[204:205], v[204:205], v[114:115]
	v_fmac_f64_e32 v[204:205], v[206:207], v[208:209]
	v_add_f64 v[236:237], v[236:237], -v[112:113]
	v_add_f64 v[238:239], v[238:239], -v[204:205]
	v_mov_b64_e32 v[112:113], v[208:209]
.LBB119_280:
	s_or_b64 exec, exec, s[2:3]
	v_cmp_eq_u32_e32 vcc, 31, v200
	s_waitcnt vmcnt(63) expcnt(7) lgkmcnt(15)
	s_barrier
	s_and_saveexec_b64 s[4:5], vcc
	s_cbranch_execz .LBB119_287
; %bb.281:
	ds_write2_b64 v201, v[108:109], v[110:111] offset1:1
	ds_write2_b64 v202, v[104:105], v[106:107] offset0:64 offset1:65
	ds_write2_b64 v202, v[100:101], v[102:103] offset0:66 offset1:67
	;; [unrolled: 1-line block ×9, first 2 shown]
	s_waitcnt vmcnt(62)
	ds_write2_b64 v202, v[68:69], v[70:71] offset0:82 offset1:83
	s_waitcnt vmcnt(61)
	ds_write2_b64 v202, v[64:65], v[66:67] offset0:84 offset1:85
	;; [unrolled: 2-line block ×11, first 2 shown]
	ds_write2_b64 v202, v[24:25], v[26:27] offset0:104 offset1:105
	ds_write2_b64 v202, v[20:21], v[22:23] offset0:106 offset1:107
	;; [unrolled: 1-line block ×6, first 2 shown]
	s_waitcnt vmcnt(51)
	ds_write2_b64 v202, v[0:1], v[2:3] offset0:116 offset1:117
	s_waitcnt vmcnt(48)
	ds_write2_b64 v202, v[236:237], v[238:239] offset0:118 offset1:119
	ds_read2_b64 v[208:211], v201 offset1:1
	s_waitcnt lgkmcnt(0)
	v_cmp_neq_f64_e32 vcc, 0, v[208:209]
	v_cmp_neq_f64_e64 s[2:3], 0, v[210:211]
	s_or_b64 s[2:3], vcc, s[2:3]
	s_and_b64 exec, exec, s[2:3]
	s_cbranch_execz .LBB119_287
; %bb.282:
	v_cmp_ngt_f64_e64 s[2:3], |v[208:209]|, |v[210:211]|
                                        ; implicit-def: $vgpr204_vgpr205
	s_and_saveexec_b64 s[10:11], s[2:3]
	s_xor_b64 s[2:3], exec, s[10:11]
                                        ; implicit-def: $vgpr206_vgpr207
	s_cbranch_execz .LBB119_284
; %bb.283:
	v_div_scale_f64 v[204:205], s[10:11], v[210:211], v[210:211], v[208:209]
	v_rcp_f64_e32 v[206:207], v[204:205]
	v_div_scale_f64 v[212:213], vcc, v[208:209], v[210:211], v[208:209]
	v_fma_f64 v[214:215], -v[204:205], v[206:207], 1.0
	v_fmac_f64_e32 v[206:207], v[206:207], v[214:215]
	v_fma_f64 v[214:215], -v[204:205], v[206:207], 1.0
	v_fmac_f64_e32 v[206:207], v[206:207], v[214:215]
	v_mul_f64 v[214:215], v[212:213], v[206:207]
	v_fma_f64 v[204:205], -v[204:205], v[214:215], v[212:213]
	v_div_fmas_f64 v[204:205], v[204:205], v[206:207], v[214:215]
	v_div_fixup_f64 v[204:205], v[204:205], v[210:211], v[208:209]
	v_fmac_f64_e32 v[210:211], v[208:209], v[204:205]
	v_div_scale_f64 v[206:207], s[10:11], v[210:211], v[210:211], 1.0
	v_rcp_f64_e32 v[208:209], v[206:207]
	s_nop 0
	v_fma_f64 v[212:213], -v[206:207], v[208:209], 1.0
	v_fmac_f64_e32 v[208:209], v[208:209], v[212:213]
	v_fma_f64 v[212:213], -v[206:207], v[208:209], 1.0
	v_fmac_f64_e32 v[208:209], v[208:209], v[212:213]
	v_div_scale_f64 v[212:213], vcc, 1.0, v[210:211], 1.0
	v_mul_f64 v[214:215], v[212:213], v[208:209]
	v_fma_f64 v[206:207], -v[206:207], v[214:215], v[212:213]
	s_nop 1
	v_div_fmas_f64 v[206:207], v[206:207], v[208:209], v[214:215]
	v_div_fixup_f64 v[206:207], v[206:207], v[210:211], 1.0
	v_mul_f64 v[204:205], v[204:205], v[206:207]
	v_xor_b32_e32 v207, 0x80000000, v207
                                        ; implicit-def: $vgpr208_vgpr209
.LBB119_284:
	s_andn2_saveexec_b64 s[2:3], s[2:3]
	s_cbranch_execz .LBB119_286
; %bb.285:
	v_div_scale_f64 v[204:205], s[10:11], v[208:209], v[208:209], v[210:211]
	v_rcp_f64_e32 v[206:207], v[204:205]
	v_div_scale_f64 v[212:213], vcc, v[210:211], v[208:209], v[210:211]
	v_fma_f64 v[214:215], -v[204:205], v[206:207], 1.0
	v_fmac_f64_e32 v[206:207], v[206:207], v[214:215]
	v_fma_f64 v[214:215], -v[204:205], v[206:207], 1.0
	v_fmac_f64_e32 v[206:207], v[206:207], v[214:215]
	v_mul_f64 v[214:215], v[212:213], v[206:207]
	v_fma_f64 v[204:205], -v[204:205], v[214:215], v[212:213]
	v_div_fmas_f64 v[204:205], v[204:205], v[206:207], v[214:215]
	v_div_fixup_f64 v[206:207], v[204:205], v[208:209], v[210:211]
	v_fmac_f64_e32 v[208:209], v[210:211], v[206:207]
	v_div_scale_f64 v[204:205], s[10:11], v[208:209], v[208:209], 1.0
	v_rcp_f64_e32 v[210:211], v[204:205]
	s_nop 0
	v_fma_f64 v[212:213], -v[204:205], v[210:211], 1.0
	v_fmac_f64_e32 v[210:211], v[210:211], v[212:213]
	v_fma_f64 v[212:213], -v[204:205], v[210:211], 1.0
	v_fmac_f64_e32 v[210:211], v[210:211], v[212:213]
	v_div_scale_f64 v[212:213], vcc, 1.0, v[208:209], 1.0
	v_mul_f64 v[214:215], v[212:213], v[210:211]
	v_fma_f64 v[204:205], -v[204:205], v[214:215], v[212:213]
	s_nop 1
	v_div_fmas_f64 v[204:205], v[204:205], v[210:211], v[214:215]
	v_div_fixup_f64 v[204:205], v[204:205], v[208:209], 1.0
	v_mul_f64 v[206:207], v[206:207], -v[204:205]
.LBB119_286:
	s_or_b64 exec, exec, s[2:3]
	ds_write2_b64 v201, v[204:205], v[206:207] offset1:1
.LBB119_287:
	s_or_b64 exec, exec, s[4:5]
	s_waitcnt lgkmcnt(0)
	s_barrier
	ds_read2_b64 v[192:195], v201 offset1:1
	v_cmp_lt_u32_e32 vcc, 31, v200
	s_waitcnt lgkmcnt(0)
	scratch_store_dwordx4 off, v[192:195], off offset:1136 ; 16-byte Folded Spill
	s_and_saveexec_b64 s[2:3], vcc
	s_cbranch_execz .LBB119_289
; %bb.288:
	scratch_load_dwordx4 v[192:195], off, off offset:1136 ; 16-byte Folded Reload
	s_waitcnt vmcnt(0)
	v_mul_f64 v[204:205], v[194:195], v[110:111]
	v_fma_f64 v[208:209], v[192:193], v[108:109], -v[204:205]
	ds_read2_b64 v[204:207], v202 offset0:64 offset1:65
	v_mul_f64 v[110:111], v[192:193], v[110:111]
	v_fmac_f64_e32 v[110:111], v[194:195], v[108:109]
	s_waitcnt lgkmcnt(0)
	v_mul_f64 v[108:109], v[206:207], v[110:111]
	v_fma_f64 v[108:109], v[204:205], v[208:209], -v[108:109]
	v_mul_f64 v[204:205], v[204:205], v[110:111]
	v_fmac_f64_e32 v[204:205], v[206:207], v[208:209]
	v_add_f64 v[106:107], v[106:107], -v[204:205]
	ds_read2_b64 v[204:207], v202 offset0:66 offset1:67
	v_add_f64 v[104:105], v[104:105], -v[108:109]
	s_waitcnt lgkmcnt(0)
	v_mul_f64 v[108:109], v[206:207], v[110:111]
	v_fma_f64 v[108:109], v[204:205], v[208:209], -v[108:109]
	v_mul_f64 v[204:205], v[204:205], v[110:111]
	v_fmac_f64_e32 v[204:205], v[206:207], v[208:209]
	v_add_f64 v[102:103], v[102:103], -v[204:205]
	ds_read2_b64 v[204:207], v202 offset0:68 offset1:69
	v_add_f64 v[100:101], v[100:101], -v[108:109]
	;; [unrolled: 8-line block ×27, first 2 shown]
	s_waitcnt lgkmcnt(0)
	v_mul_f64 v[108:109], v[206:207], v[110:111]
	v_fma_f64 v[108:109], v[204:205], v[208:209], -v[108:109]
	v_mul_f64 v[204:205], v[204:205], v[110:111]
	v_fmac_f64_e32 v[204:205], v[206:207], v[208:209]
	v_add_f64 v[236:237], v[236:237], -v[108:109]
	v_add_f64 v[238:239], v[238:239], -v[204:205]
	v_mov_b64_e32 v[108:109], v[208:209]
.LBB119_289:
	s_or_b64 exec, exec, s[2:3]
	v_cmp_eq_u32_e32 vcc, 32, v200
	s_waitcnt vmcnt(63) expcnt(7) lgkmcnt(15)
	s_barrier
	s_and_saveexec_b64 s[4:5], vcc
	s_cbranch_execz .LBB119_296
; %bb.290:
	ds_write2_b64 v201, v[104:105], v[106:107] offset1:1
	ds_write2_b64 v202, v[100:101], v[102:103] offset0:66 offset1:67
	ds_write2_b64 v202, v[96:97], v[98:99] offset0:68 offset1:69
	;; [unrolled: 1-line block ×9, first 2 shown]
	s_waitcnt vmcnt(62)
	ds_write2_b64 v202, v[64:65], v[66:67] offset0:84 offset1:85
	s_waitcnt vmcnt(61)
	ds_write2_b64 v202, v[60:61], v[62:63] offset0:86 offset1:87
	;; [unrolled: 2-line block ×10, first 2 shown]
	ds_write2_b64 v202, v[24:25], v[26:27] offset0:104 offset1:105
	ds_write2_b64 v202, v[20:21], v[22:23] offset0:106 offset1:107
	ds_write2_b64 v202, v[16:17], v[18:19] offset0:108 offset1:109
	ds_write2_b64 v202, v[12:13], v[14:15] offset0:110 offset1:111
	ds_write2_b64 v202, v[8:9], v[10:11] offset0:112 offset1:113
	ds_write2_b64 v202, v[4:5], v[6:7] offset0:114 offset1:115
	s_waitcnt vmcnt(52)
	ds_write2_b64 v202, v[0:1], v[2:3] offset0:116 offset1:117
	s_waitcnt vmcnt(49)
	ds_write2_b64 v202, v[236:237], v[238:239] offset0:118 offset1:119
	ds_read2_b64 v[208:211], v201 offset1:1
	s_waitcnt lgkmcnt(0)
	v_cmp_neq_f64_e32 vcc, 0, v[208:209]
	v_cmp_neq_f64_e64 s[2:3], 0, v[210:211]
	s_or_b64 s[2:3], vcc, s[2:3]
	s_and_b64 exec, exec, s[2:3]
	s_cbranch_execz .LBB119_296
; %bb.291:
	v_cmp_ngt_f64_e64 s[2:3], |v[208:209]|, |v[210:211]|
                                        ; implicit-def: $vgpr204_vgpr205
	s_and_saveexec_b64 s[10:11], s[2:3]
	s_xor_b64 s[2:3], exec, s[10:11]
                                        ; implicit-def: $vgpr206_vgpr207
	s_cbranch_execz .LBB119_293
; %bb.292:
	v_div_scale_f64 v[204:205], s[10:11], v[210:211], v[210:211], v[208:209]
	v_rcp_f64_e32 v[206:207], v[204:205]
	v_div_scale_f64 v[212:213], vcc, v[208:209], v[210:211], v[208:209]
	v_fma_f64 v[214:215], -v[204:205], v[206:207], 1.0
	v_fmac_f64_e32 v[206:207], v[206:207], v[214:215]
	v_fma_f64 v[214:215], -v[204:205], v[206:207], 1.0
	v_fmac_f64_e32 v[206:207], v[206:207], v[214:215]
	v_mul_f64 v[214:215], v[212:213], v[206:207]
	v_fma_f64 v[204:205], -v[204:205], v[214:215], v[212:213]
	v_div_fmas_f64 v[204:205], v[204:205], v[206:207], v[214:215]
	v_div_fixup_f64 v[204:205], v[204:205], v[210:211], v[208:209]
	v_fmac_f64_e32 v[210:211], v[208:209], v[204:205]
	v_div_scale_f64 v[206:207], s[10:11], v[210:211], v[210:211], 1.0
	v_rcp_f64_e32 v[208:209], v[206:207]
	s_nop 0
	v_fma_f64 v[212:213], -v[206:207], v[208:209], 1.0
	v_fmac_f64_e32 v[208:209], v[208:209], v[212:213]
	v_fma_f64 v[212:213], -v[206:207], v[208:209], 1.0
	v_fmac_f64_e32 v[208:209], v[208:209], v[212:213]
	v_div_scale_f64 v[212:213], vcc, 1.0, v[210:211], 1.0
	v_mul_f64 v[214:215], v[212:213], v[208:209]
	v_fma_f64 v[206:207], -v[206:207], v[214:215], v[212:213]
	s_nop 1
	v_div_fmas_f64 v[206:207], v[206:207], v[208:209], v[214:215]
	v_div_fixup_f64 v[206:207], v[206:207], v[210:211], 1.0
	v_mul_f64 v[204:205], v[204:205], v[206:207]
	v_xor_b32_e32 v207, 0x80000000, v207
                                        ; implicit-def: $vgpr208_vgpr209
.LBB119_293:
	s_andn2_saveexec_b64 s[2:3], s[2:3]
	s_cbranch_execz .LBB119_295
; %bb.294:
	v_div_scale_f64 v[204:205], s[10:11], v[208:209], v[208:209], v[210:211]
	v_rcp_f64_e32 v[206:207], v[204:205]
	v_div_scale_f64 v[212:213], vcc, v[210:211], v[208:209], v[210:211]
	v_fma_f64 v[214:215], -v[204:205], v[206:207], 1.0
	v_fmac_f64_e32 v[206:207], v[206:207], v[214:215]
	v_fma_f64 v[214:215], -v[204:205], v[206:207], 1.0
	v_fmac_f64_e32 v[206:207], v[206:207], v[214:215]
	v_mul_f64 v[214:215], v[212:213], v[206:207]
	v_fma_f64 v[204:205], -v[204:205], v[214:215], v[212:213]
	v_div_fmas_f64 v[204:205], v[204:205], v[206:207], v[214:215]
	v_div_fixup_f64 v[206:207], v[204:205], v[208:209], v[210:211]
	v_fmac_f64_e32 v[208:209], v[210:211], v[206:207]
	v_div_scale_f64 v[204:205], s[10:11], v[208:209], v[208:209], 1.0
	v_rcp_f64_e32 v[210:211], v[204:205]
	s_nop 0
	v_fma_f64 v[212:213], -v[204:205], v[210:211], 1.0
	v_fmac_f64_e32 v[210:211], v[210:211], v[212:213]
	v_fma_f64 v[212:213], -v[204:205], v[210:211], 1.0
	v_fmac_f64_e32 v[210:211], v[210:211], v[212:213]
	v_div_scale_f64 v[212:213], vcc, 1.0, v[208:209], 1.0
	v_mul_f64 v[214:215], v[212:213], v[210:211]
	v_fma_f64 v[204:205], -v[204:205], v[214:215], v[212:213]
	s_nop 1
	v_div_fmas_f64 v[204:205], v[204:205], v[210:211], v[214:215]
	v_div_fixup_f64 v[204:205], v[204:205], v[208:209], 1.0
	v_mul_f64 v[206:207], v[206:207], -v[204:205]
.LBB119_295:
	s_or_b64 exec, exec, s[2:3]
	ds_write2_b64 v201, v[204:205], v[206:207] offset1:1
.LBB119_296:
	s_or_b64 exec, exec, s[4:5]
	s_waitcnt lgkmcnt(0)
	s_barrier
	ds_read2_b64 v[192:195], v201 offset1:1
	v_cmp_lt_u32_e32 vcc, 32, v200
	s_waitcnt lgkmcnt(0)
	scratch_store_dwordx4 off, v[192:195], off offset:1152 ; 16-byte Folded Spill
	s_and_saveexec_b64 s[2:3], vcc
	s_cbranch_execz .LBB119_298
; %bb.297:
	scratch_load_dwordx4 v[192:195], off, off offset:1152 ; 16-byte Folded Reload
	s_waitcnt vmcnt(0)
	v_mul_f64 v[204:205], v[194:195], v[106:107]
	v_fma_f64 v[208:209], v[192:193], v[104:105], -v[204:205]
	ds_read2_b64 v[204:207], v202 offset0:66 offset1:67
	v_mul_f64 v[106:107], v[192:193], v[106:107]
	v_fmac_f64_e32 v[106:107], v[194:195], v[104:105]
	s_waitcnt lgkmcnt(0)
	v_mul_f64 v[104:105], v[206:207], v[106:107]
	v_fma_f64 v[104:105], v[204:205], v[208:209], -v[104:105]
	v_mul_f64 v[204:205], v[204:205], v[106:107]
	v_fmac_f64_e32 v[204:205], v[206:207], v[208:209]
	v_add_f64 v[102:103], v[102:103], -v[204:205]
	ds_read2_b64 v[204:207], v202 offset0:68 offset1:69
	v_add_f64 v[100:101], v[100:101], -v[104:105]
	s_waitcnt lgkmcnt(0)
	v_mul_f64 v[104:105], v[206:207], v[106:107]
	v_fma_f64 v[104:105], v[204:205], v[208:209], -v[104:105]
	v_mul_f64 v[204:205], v[204:205], v[106:107]
	v_fmac_f64_e32 v[204:205], v[206:207], v[208:209]
	v_add_f64 v[98:99], v[98:99], -v[204:205]
	ds_read2_b64 v[204:207], v202 offset0:70 offset1:71
	v_add_f64 v[96:97], v[96:97], -v[104:105]
	;; [unrolled: 8-line block ×26, first 2 shown]
	s_waitcnt lgkmcnt(0)
	v_mul_f64 v[104:105], v[206:207], v[106:107]
	v_fma_f64 v[104:105], v[204:205], v[208:209], -v[104:105]
	v_mul_f64 v[204:205], v[204:205], v[106:107]
	v_fmac_f64_e32 v[204:205], v[206:207], v[208:209]
	v_add_f64 v[236:237], v[236:237], -v[104:105]
	v_add_f64 v[238:239], v[238:239], -v[204:205]
	v_mov_b64_e32 v[104:105], v[208:209]
.LBB119_298:
	s_or_b64 exec, exec, s[2:3]
	v_cmp_eq_u32_e32 vcc, 33, v200
	s_waitcnt vmcnt(63) expcnt(7) lgkmcnt(15)
	s_barrier
	s_and_saveexec_b64 s[4:5], vcc
	s_cbranch_execz .LBB119_305
; %bb.299:
	ds_write2_b64 v201, v[100:101], v[102:103] offset1:1
	ds_write2_b64 v202, v[96:97], v[98:99] offset0:68 offset1:69
	ds_write2_b64 v202, v[92:93], v[94:95] offset0:70 offset1:71
	;; [unrolled: 1-line block ×9, first 2 shown]
	s_waitcnt vmcnt(62)
	ds_write2_b64 v202, v[60:61], v[62:63] offset0:86 offset1:87
	s_waitcnt vmcnt(61)
	ds_write2_b64 v202, v[56:57], v[58:59] offset0:88 offset1:89
	;; [unrolled: 2-line block ×9, first 2 shown]
	ds_write2_b64 v202, v[24:25], v[26:27] offset0:104 offset1:105
	ds_write2_b64 v202, v[20:21], v[22:23] offset0:106 offset1:107
	;; [unrolled: 1-line block ×6, first 2 shown]
	s_waitcnt vmcnt(53)
	ds_write2_b64 v202, v[0:1], v[2:3] offset0:116 offset1:117
	s_waitcnt vmcnt(50)
	ds_write2_b64 v202, v[236:237], v[238:239] offset0:118 offset1:119
	ds_read2_b64 v[208:211], v201 offset1:1
	s_waitcnt lgkmcnt(0)
	v_cmp_neq_f64_e32 vcc, 0, v[208:209]
	v_cmp_neq_f64_e64 s[2:3], 0, v[210:211]
	s_or_b64 s[2:3], vcc, s[2:3]
	s_and_b64 exec, exec, s[2:3]
	s_cbranch_execz .LBB119_305
; %bb.300:
	v_cmp_ngt_f64_e64 s[2:3], |v[208:209]|, |v[210:211]|
                                        ; implicit-def: $vgpr204_vgpr205
	s_and_saveexec_b64 s[10:11], s[2:3]
	s_xor_b64 s[2:3], exec, s[10:11]
                                        ; implicit-def: $vgpr206_vgpr207
	s_cbranch_execz .LBB119_302
; %bb.301:
	v_div_scale_f64 v[204:205], s[10:11], v[210:211], v[210:211], v[208:209]
	v_rcp_f64_e32 v[206:207], v[204:205]
	v_div_scale_f64 v[212:213], vcc, v[208:209], v[210:211], v[208:209]
	v_fma_f64 v[214:215], -v[204:205], v[206:207], 1.0
	v_fmac_f64_e32 v[206:207], v[206:207], v[214:215]
	v_fma_f64 v[214:215], -v[204:205], v[206:207], 1.0
	v_fmac_f64_e32 v[206:207], v[206:207], v[214:215]
	v_mul_f64 v[214:215], v[212:213], v[206:207]
	v_fma_f64 v[204:205], -v[204:205], v[214:215], v[212:213]
	v_div_fmas_f64 v[204:205], v[204:205], v[206:207], v[214:215]
	v_div_fixup_f64 v[204:205], v[204:205], v[210:211], v[208:209]
	v_fmac_f64_e32 v[210:211], v[208:209], v[204:205]
	v_div_scale_f64 v[206:207], s[10:11], v[210:211], v[210:211], 1.0
	v_rcp_f64_e32 v[208:209], v[206:207]
	s_nop 0
	v_fma_f64 v[212:213], -v[206:207], v[208:209], 1.0
	v_fmac_f64_e32 v[208:209], v[208:209], v[212:213]
	v_fma_f64 v[212:213], -v[206:207], v[208:209], 1.0
	v_fmac_f64_e32 v[208:209], v[208:209], v[212:213]
	v_div_scale_f64 v[212:213], vcc, 1.0, v[210:211], 1.0
	v_mul_f64 v[214:215], v[212:213], v[208:209]
	v_fma_f64 v[206:207], -v[206:207], v[214:215], v[212:213]
	s_nop 1
	v_div_fmas_f64 v[206:207], v[206:207], v[208:209], v[214:215]
	v_div_fixup_f64 v[206:207], v[206:207], v[210:211], 1.0
	v_mul_f64 v[204:205], v[204:205], v[206:207]
	v_xor_b32_e32 v207, 0x80000000, v207
                                        ; implicit-def: $vgpr208_vgpr209
.LBB119_302:
	s_andn2_saveexec_b64 s[2:3], s[2:3]
	s_cbranch_execz .LBB119_304
; %bb.303:
	v_div_scale_f64 v[204:205], s[10:11], v[208:209], v[208:209], v[210:211]
	v_rcp_f64_e32 v[206:207], v[204:205]
	v_div_scale_f64 v[212:213], vcc, v[210:211], v[208:209], v[210:211]
	v_fma_f64 v[214:215], -v[204:205], v[206:207], 1.0
	v_fmac_f64_e32 v[206:207], v[206:207], v[214:215]
	v_fma_f64 v[214:215], -v[204:205], v[206:207], 1.0
	v_fmac_f64_e32 v[206:207], v[206:207], v[214:215]
	v_mul_f64 v[214:215], v[212:213], v[206:207]
	v_fma_f64 v[204:205], -v[204:205], v[214:215], v[212:213]
	v_div_fmas_f64 v[204:205], v[204:205], v[206:207], v[214:215]
	v_div_fixup_f64 v[206:207], v[204:205], v[208:209], v[210:211]
	v_fmac_f64_e32 v[208:209], v[210:211], v[206:207]
	v_div_scale_f64 v[204:205], s[10:11], v[208:209], v[208:209], 1.0
	v_rcp_f64_e32 v[210:211], v[204:205]
	s_nop 0
	v_fma_f64 v[212:213], -v[204:205], v[210:211], 1.0
	v_fmac_f64_e32 v[210:211], v[210:211], v[212:213]
	v_fma_f64 v[212:213], -v[204:205], v[210:211], 1.0
	v_fmac_f64_e32 v[210:211], v[210:211], v[212:213]
	v_div_scale_f64 v[212:213], vcc, 1.0, v[208:209], 1.0
	v_mul_f64 v[214:215], v[212:213], v[210:211]
	v_fma_f64 v[204:205], -v[204:205], v[214:215], v[212:213]
	s_nop 1
	v_div_fmas_f64 v[204:205], v[204:205], v[210:211], v[214:215]
	v_div_fixup_f64 v[204:205], v[204:205], v[208:209], 1.0
	v_mul_f64 v[206:207], v[206:207], -v[204:205]
.LBB119_304:
	s_or_b64 exec, exec, s[2:3]
	ds_write2_b64 v201, v[204:205], v[206:207] offset1:1
.LBB119_305:
	s_or_b64 exec, exec, s[4:5]
	s_waitcnt lgkmcnt(0)
	s_barrier
	ds_read2_b64 v[192:195], v201 offset1:1
	v_cmp_lt_u32_e32 vcc, 33, v200
	s_waitcnt lgkmcnt(0)
	scratch_store_dwordx4 off, v[192:195], off offset:1168 ; 16-byte Folded Spill
	s_and_saveexec_b64 s[2:3], vcc
	s_cbranch_execz .LBB119_307
; %bb.306:
	scratch_load_dwordx4 v[192:195], off, off offset:1168 ; 16-byte Folded Reload
	s_waitcnt vmcnt(0)
	v_mul_f64 v[204:205], v[194:195], v[102:103]
	v_fma_f64 v[208:209], v[192:193], v[100:101], -v[204:205]
	ds_read2_b64 v[204:207], v202 offset0:68 offset1:69
	v_mul_f64 v[102:103], v[192:193], v[102:103]
	v_fmac_f64_e32 v[102:103], v[194:195], v[100:101]
	s_waitcnt lgkmcnt(0)
	v_mul_f64 v[100:101], v[206:207], v[102:103]
	v_fma_f64 v[100:101], v[204:205], v[208:209], -v[100:101]
	v_mul_f64 v[204:205], v[204:205], v[102:103]
	v_fmac_f64_e32 v[204:205], v[206:207], v[208:209]
	v_add_f64 v[98:99], v[98:99], -v[204:205]
	ds_read2_b64 v[204:207], v202 offset0:70 offset1:71
	v_add_f64 v[96:97], v[96:97], -v[100:101]
	s_waitcnt lgkmcnt(0)
	v_mul_f64 v[100:101], v[206:207], v[102:103]
	v_fma_f64 v[100:101], v[204:205], v[208:209], -v[100:101]
	v_mul_f64 v[204:205], v[204:205], v[102:103]
	v_fmac_f64_e32 v[204:205], v[206:207], v[208:209]
	v_add_f64 v[94:95], v[94:95], -v[204:205]
	ds_read2_b64 v[204:207], v202 offset0:72 offset1:73
	v_add_f64 v[92:93], v[92:93], -v[100:101]
	;; [unrolled: 8-line block ×25, first 2 shown]
	s_waitcnt lgkmcnt(0)
	v_mul_f64 v[100:101], v[206:207], v[102:103]
	v_fma_f64 v[100:101], v[204:205], v[208:209], -v[100:101]
	v_mul_f64 v[204:205], v[204:205], v[102:103]
	v_fmac_f64_e32 v[204:205], v[206:207], v[208:209]
	v_add_f64 v[236:237], v[236:237], -v[100:101]
	v_add_f64 v[238:239], v[238:239], -v[204:205]
	v_mov_b64_e32 v[100:101], v[208:209]
.LBB119_307:
	s_or_b64 exec, exec, s[2:3]
	v_cmp_eq_u32_e32 vcc, 34, v200
	s_waitcnt vmcnt(63) expcnt(7) lgkmcnt(15)
	s_barrier
	s_and_saveexec_b64 s[4:5], vcc
	s_cbranch_execz .LBB119_314
; %bb.308:
	ds_write2_b64 v201, v[96:97], v[98:99] offset1:1
	ds_write2_b64 v202, v[92:93], v[94:95] offset0:70 offset1:71
	ds_write2_b64 v202, v[88:89], v[90:91] offset0:72 offset1:73
	;; [unrolled: 1-line block ×9, first 2 shown]
	s_waitcnt vmcnt(62)
	ds_write2_b64 v202, v[56:57], v[58:59] offset0:88 offset1:89
	s_waitcnt vmcnt(61)
	ds_write2_b64 v202, v[52:53], v[54:55] offset0:90 offset1:91
	;; [unrolled: 2-line block ×8, first 2 shown]
	ds_write2_b64 v202, v[24:25], v[26:27] offset0:104 offset1:105
	ds_write2_b64 v202, v[20:21], v[22:23] offset0:106 offset1:107
	;; [unrolled: 1-line block ×6, first 2 shown]
	s_waitcnt vmcnt(54)
	ds_write2_b64 v202, v[0:1], v[2:3] offset0:116 offset1:117
	s_waitcnt vmcnt(51)
	ds_write2_b64 v202, v[236:237], v[238:239] offset0:118 offset1:119
	ds_read2_b64 v[208:211], v201 offset1:1
	s_waitcnt lgkmcnt(0)
	v_cmp_neq_f64_e32 vcc, 0, v[208:209]
	v_cmp_neq_f64_e64 s[2:3], 0, v[210:211]
	s_or_b64 s[2:3], vcc, s[2:3]
	s_and_b64 exec, exec, s[2:3]
	s_cbranch_execz .LBB119_314
; %bb.309:
	v_cmp_ngt_f64_e64 s[2:3], |v[208:209]|, |v[210:211]|
                                        ; implicit-def: $vgpr204_vgpr205
	s_and_saveexec_b64 s[10:11], s[2:3]
	s_xor_b64 s[2:3], exec, s[10:11]
                                        ; implicit-def: $vgpr206_vgpr207
	s_cbranch_execz .LBB119_311
; %bb.310:
	v_div_scale_f64 v[204:205], s[10:11], v[210:211], v[210:211], v[208:209]
	v_rcp_f64_e32 v[206:207], v[204:205]
	v_div_scale_f64 v[212:213], vcc, v[208:209], v[210:211], v[208:209]
	v_fma_f64 v[214:215], -v[204:205], v[206:207], 1.0
	v_fmac_f64_e32 v[206:207], v[206:207], v[214:215]
	v_fma_f64 v[214:215], -v[204:205], v[206:207], 1.0
	v_fmac_f64_e32 v[206:207], v[206:207], v[214:215]
	v_mul_f64 v[214:215], v[212:213], v[206:207]
	v_fma_f64 v[204:205], -v[204:205], v[214:215], v[212:213]
	v_div_fmas_f64 v[204:205], v[204:205], v[206:207], v[214:215]
	v_div_fixup_f64 v[204:205], v[204:205], v[210:211], v[208:209]
	v_fmac_f64_e32 v[210:211], v[208:209], v[204:205]
	v_div_scale_f64 v[206:207], s[10:11], v[210:211], v[210:211], 1.0
	v_rcp_f64_e32 v[208:209], v[206:207]
	s_nop 0
	v_fma_f64 v[212:213], -v[206:207], v[208:209], 1.0
	v_fmac_f64_e32 v[208:209], v[208:209], v[212:213]
	v_fma_f64 v[212:213], -v[206:207], v[208:209], 1.0
	v_fmac_f64_e32 v[208:209], v[208:209], v[212:213]
	v_div_scale_f64 v[212:213], vcc, 1.0, v[210:211], 1.0
	v_mul_f64 v[214:215], v[212:213], v[208:209]
	v_fma_f64 v[206:207], -v[206:207], v[214:215], v[212:213]
	s_nop 1
	v_div_fmas_f64 v[206:207], v[206:207], v[208:209], v[214:215]
	v_div_fixup_f64 v[206:207], v[206:207], v[210:211], 1.0
	v_mul_f64 v[204:205], v[204:205], v[206:207]
	v_xor_b32_e32 v207, 0x80000000, v207
                                        ; implicit-def: $vgpr208_vgpr209
.LBB119_311:
	s_andn2_saveexec_b64 s[2:3], s[2:3]
	s_cbranch_execz .LBB119_313
; %bb.312:
	v_div_scale_f64 v[204:205], s[10:11], v[208:209], v[208:209], v[210:211]
	v_rcp_f64_e32 v[206:207], v[204:205]
	v_div_scale_f64 v[212:213], vcc, v[210:211], v[208:209], v[210:211]
	v_fma_f64 v[214:215], -v[204:205], v[206:207], 1.0
	v_fmac_f64_e32 v[206:207], v[206:207], v[214:215]
	v_fma_f64 v[214:215], -v[204:205], v[206:207], 1.0
	v_fmac_f64_e32 v[206:207], v[206:207], v[214:215]
	v_mul_f64 v[214:215], v[212:213], v[206:207]
	v_fma_f64 v[204:205], -v[204:205], v[214:215], v[212:213]
	v_div_fmas_f64 v[204:205], v[204:205], v[206:207], v[214:215]
	v_div_fixup_f64 v[206:207], v[204:205], v[208:209], v[210:211]
	v_fmac_f64_e32 v[208:209], v[210:211], v[206:207]
	v_div_scale_f64 v[204:205], s[10:11], v[208:209], v[208:209], 1.0
	v_rcp_f64_e32 v[210:211], v[204:205]
	s_nop 0
	v_fma_f64 v[212:213], -v[204:205], v[210:211], 1.0
	v_fmac_f64_e32 v[210:211], v[210:211], v[212:213]
	v_fma_f64 v[212:213], -v[204:205], v[210:211], 1.0
	v_fmac_f64_e32 v[210:211], v[210:211], v[212:213]
	v_div_scale_f64 v[212:213], vcc, 1.0, v[208:209], 1.0
	v_mul_f64 v[214:215], v[212:213], v[210:211]
	v_fma_f64 v[204:205], -v[204:205], v[214:215], v[212:213]
	s_nop 1
	v_div_fmas_f64 v[204:205], v[204:205], v[210:211], v[214:215]
	v_div_fixup_f64 v[204:205], v[204:205], v[208:209], 1.0
	v_mul_f64 v[206:207], v[206:207], -v[204:205]
.LBB119_313:
	s_or_b64 exec, exec, s[2:3]
	ds_write2_b64 v201, v[204:205], v[206:207] offset1:1
.LBB119_314:
	s_or_b64 exec, exec, s[4:5]
	s_waitcnt lgkmcnt(0)
	s_barrier
	ds_read2_b64 v[192:195], v201 offset1:1
	v_cmp_lt_u32_e32 vcc, 34, v200
	s_waitcnt lgkmcnt(0)
	scratch_store_dwordx4 off, v[192:195], off offset:1184 ; 16-byte Folded Spill
	s_and_saveexec_b64 s[2:3], vcc
	s_cbranch_execz .LBB119_316
; %bb.315:
	scratch_load_dwordx4 v[192:195], off, off offset:1184 ; 16-byte Folded Reload
	s_waitcnt vmcnt(0)
	v_mul_f64 v[204:205], v[194:195], v[98:99]
	v_fma_f64 v[208:209], v[192:193], v[96:97], -v[204:205]
	ds_read2_b64 v[204:207], v202 offset0:70 offset1:71
	v_mul_f64 v[98:99], v[192:193], v[98:99]
	v_fmac_f64_e32 v[98:99], v[194:195], v[96:97]
	s_waitcnt lgkmcnt(0)
	v_mul_f64 v[96:97], v[206:207], v[98:99]
	v_fma_f64 v[96:97], v[204:205], v[208:209], -v[96:97]
	v_mul_f64 v[204:205], v[204:205], v[98:99]
	v_fmac_f64_e32 v[204:205], v[206:207], v[208:209]
	v_add_f64 v[94:95], v[94:95], -v[204:205]
	ds_read2_b64 v[204:207], v202 offset0:72 offset1:73
	v_add_f64 v[92:93], v[92:93], -v[96:97]
	s_waitcnt lgkmcnt(0)
	v_mul_f64 v[96:97], v[206:207], v[98:99]
	v_fma_f64 v[96:97], v[204:205], v[208:209], -v[96:97]
	v_mul_f64 v[204:205], v[204:205], v[98:99]
	v_fmac_f64_e32 v[204:205], v[206:207], v[208:209]
	v_add_f64 v[90:91], v[90:91], -v[204:205]
	ds_read2_b64 v[204:207], v202 offset0:74 offset1:75
	v_add_f64 v[88:89], v[88:89], -v[96:97]
	;; [unrolled: 8-line block ×24, first 2 shown]
	s_waitcnt lgkmcnt(0)
	v_mul_f64 v[96:97], v[206:207], v[98:99]
	v_fma_f64 v[96:97], v[204:205], v[208:209], -v[96:97]
	v_mul_f64 v[204:205], v[204:205], v[98:99]
	v_fmac_f64_e32 v[204:205], v[206:207], v[208:209]
	v_add_f64 v[236:237], v[236:237], -v[96:97]
	v_add_f64 v[238:239], v[238:239], -v[204:205]
	v_mov_b64_e32 v[96:97], v[208:209]
.LBB119_316:
	s_or_b64 exec, exec, s[2:3]
	v_cmp_eq_u32_e32 vcc, 35, v200
	s_waitcnt vmcnt(63) expcnt(7) lgkmcnt(15)
	s_barrier
	s_and_saveexec_b64 s[4:5], vcc
	s_cbranch_execz .LBB119_323
; %bb.317:
	ds_write2_b64 v201, v[92:93], v[94:95] offset1:1
	ds_write2_b64 v202, v[88:89], v[90:91] offset0:72 offset1:73
	ds_write2_b64 v202, v[84:85], v[86:87] offset0:74 offset1:75
	;; [unrolled: 1-line block ×9, first 2 shown]
	s_waitcnt vmcnt(62)
	ds_write2_b64 v202, v[52:53], v[54:55] offset0:90 offset1:91
	s_waitcnt vmcnt(61)
	ds_write2_b64 v202, v[48:49], v[50:51] offset0:92 offset1:93
	;; [unrolled: 2-line block ×7, first 2 shown]
	ds_write2_b64 v202, v[24:25], v[26:27] offset0:104 offset1:105
	ds_write2_b64 v202, v[20:21], v[22:23] offset0:106 offset1:107
	;; [unrolled: 1-line block ×6, first 2 shown]
	s_waitcnt vmcnt(55)
	ds_write2_b64 v202, v[0:1], v[2:3] offset0:116 offset1:117
	s_waitcnt vmcnt(52)
	ds_write2_b64 v202, v[236:237], v[238:239] offset0:118 offset1:119
	ds_read2_b64 v[208:211], v201 offset1:1
	s_waitcnt lgkmcnt(0)
	v_cmp_neq_f64_e32 vcc, 0, v[208:209]
	v_cmp_neq_f64_e64 s[2:3], 0, v[210:211]
	s_or_b64 s[2:3], vcc, s[2:3]
	s_and_b64 exec, exec, s[2:3]
	s_cbranch_execz .LBB119_323
; %bb.318:
	v_cmp_ngt_f64_e64 s[2:3], |v[208:209]|, |v[210:211]|
                                        ; implicit-def: $vgpr204_vgpr205
	s_and_saveexec_b64 s[10:11], s[2:3]
	s_xor_b64 s[2:3], exec, s[10:11]
                                        ; implicit-def: $vgpr206_vgpr207
	s_cbranch_execz .LBB119_320
; %bb.319:
	v_div_scale_f64 v[204:205], s[10:11], v[210:211], v[210:211], v[208:209]
	v_rcp_f64_e32 v[206:207], v[204:205]
	v_div_scale_f64 v[212:213], vcc, v[208:209], v[210:211], v[208:209]
	v_fma_f64 v[214:215], -v[204:205], v[206:207], 1.0
	v_fmac_f64_e32 v[206:207], v[206:207], v[214:215]
	v_fma_f64 v[214:215], -v[204:205], v[206:207], 1.0
	v_fmac_f64_e32 v[206:207], v[206:207], v[214:215]
	v_mul_f64 v[214:215], v[212:213], v[206:207]
	v_fma_f64 v[204:205], -v[204:205], v[214:215], v[212:213]
	v_div_fmas_f64 v[204:205], v[204:205], v[206:207], v[214:215]
	v_div_fixup_f64 v[204:205], v[204:205], v[210:211], v[208:209]
	v_fmac_f64_e32 v[210:211], v[208:209], v[204:205]
	v_div_scale_f64 v[206:207], s[10:11], v[210:211], v[210:211], 1.0
	v_rcp_f64_e32 v[208:209], v[206:207]
	s_nop 0
	v_fma_f64 v[212:213], -v[206:207], v[208:209], 1.0
	v_fmac_f64_e32 v[208:209], v[208:209], v[212:213]
	v_fma_f64 v[212:213], -v[206:207], v[208:209], 1.0
	v_fmac_f64_e32 v[208:209], v[208:209], v[212:213]
	v_div_scale_f64 v[212:213], vcc, 1.0, v[210:211], 1.0
	v_mul_f64 v[214:215], v[212:213], v[208:209]
	v_fma_f64 v[206:207], -v[206:207], v[214:215], v[212:213]
	s_nop 1
	v_div_fmas_f64 v[206:207], v[206:207], v[208:209], v[214:215]
	v_div_fixup_f64 v[206:207], v[206:207], v[210:211], 1.0
	v_mul_f64 v[204:205], v[204:205], v[206:207]
	v_xor_b32_e32 v207, 0x80000000, v207
                                        ; implicit-def: $vgpr208_vgpr209
.LBB119_320:
	s_andn2_saveexec_b64 s[2:3], s[2:3]
	s_cbranch_execz .LBB119_322
; %bb.321:
	v_div_scale_f64 v[204:205], s[10:11], v[208:209], v[208:209], v[210:211]
	v_rcp_f64_e32 v[206:207], v[204:205]
	v_div_scale_f64 v[212:213], vcc, v[210:211], v[208:209], v[210:211]
	v_fma_f64 v[214:215], -v[204:205], v[206:207], 1.0
	v_fmac_f64_e32 v[206:207], v[206:207], v[214:215]
	v_fma_f64 v[214:215], -v[204:205], v[206:207], 1.0
	v_fmac_f64_e32 v[206:207], v[206:207], v[214:215]
	v_mul_f64 v[214:215], v[212:213], v[206:207]
	v_fma_f64 v[204:205], -v[204:205], v[214:215], v[212:213]
	v_div_fmas_f64 v[204:205], v[204:205], v[206:207], v[214:215]
	v_div_fixup_f64 v[206:207], v[204:205], v[208:209], v[210:211]
	v_fmac_f64_e32 v[208:209], v[210:211], v[206:207]
	v_div_scale_f64 v[204:205], s[10:11], v[208:209], v[208:209], 1.0
	v_rcp_f64_e32 v[210:211], v[204:205]
	s_nop 0
	v_fma_f64 v[212:213], -v[204:205], v[210:211], 1.0
	v_fmac_f64_e32 v[210:211], v[210:211], v[212:213]
	v_fma_f64 v[212:213], -v[204:205], v[210:211], 1.0
	v_fmac_f64_e32 v[210:211], v[210:211], v[212:213]
	v_div_scale_f64 v[212:213], vcc, 1.0, v[208:209], 1.0
	v_mul_f64 v[214:215], v[212:213], v[210:211]
	v_fma_f64 v[204:205], -v[204:205], v[214:215], v[212:213]
	s_nop 1
	v_div_fmas_f64 v[204:205], v[204:205], v[210:211], v[214:215]
	v_div_fixup_f64 v[204:205], v[204:205], v[208:209], 1.0
	v_mul_f64 v[206:207], v[206:207], -v[204:205]
.LBB119_322:
	s_or_b64 exec, exec, s[2:3]
	ds_write2_b64 v201, v[204:205], v[206:207] offset1:1
.LBB119_323:
	s_or_b64 exec, exec, s[4:5]
	s_waitcnt lgkmcnt(0)
	s_barrier
	ds_read2_b64 v[192:195], v201 offset1:1
	v_cmp_lt_u32_e32 vcc, 35, v200
	s_waitcnt lgkmcnt(0)
	scratch_store_dwordx4 off, v[192:195], off offset:1200 ; 16-byte Folded Spill
	s_and_saveexec_b64 s[2:3], vcc
	s_cbranch_execz .LBB119_325
; %bb.324:
	scratch_load_dwordx4 v[192:195], off, off offset:1200 ; 16-byte Folded Reload
	s_waitcnt vmcnt(0)
	v_mul_f64 v[204:205], v[194:195], v[94:95]
	v_fma_f64 v[208:209], v[192:193], v[92:93], -v[204:205]
	ds_read2_b64 v[204:207], v202 offset0:72 offset1:73
	v_mul_f64 v[94:95], v[192:193], v[94:95]
	v_fmac_f64_e32 v[94:95], v[194:195], v[92:93]
	s_waitcnt lgkmcnt(0)
	v_mul_f64 v[92:93], v[206:207], v[94:95]
	v_fma_f64 v[92:93], v[204:205], v[208:209], -v[92:93]
	v_mul_f64 v[204:205], v[204:205], v[94:95]
	v_fmac_f64_e32 v[204:205], v[206:207], v[208:209]
	v_add_f64 v[90:91], v[90:91], -v[204:205]
	ds_read2_b64 v[204:207], v202 offset0:74 offset1:75
	v_add_f64 v[88:89], v[88:89], -v[92:93]
	s_waitcnt lgkmcnt(0)
	v_mul_f64 v[92:93], v[206:207], v[94:95]
	v_fma_f64 v[92:93], v[204:205], v[208:209], -v[92:93]
	v_mul_f64 v[204:205], v[204:205], v[94:95]
	v_fmac_f64_e32 v[204:205], v[206:207], v[208:209]
	v_add_f64 v[86:87], v[86:87], -v[204:205]
	ds_read2_b64 v[204:207], v202 offset0:76 offset1:77
	v_add_f64 v[84:85], v[84:85], -v[92:93]
	;; [unrolled: 8-line block ×23, first 2 shown]
	s_waitcnt lgkmcnt(0)
	v_mul_f64 v[92:93], v[206:207], v[94:95]
	v_fma_f64 v[92:93], v[204:205], v[208:209], -v[92:93]
	v_mul_f64 v[204:205], v[204:205], v[94:95]
	v_fmac_f64_e32 v[204:205], v[206:207], v[208:209]
	v_add_f64 v[236:237], v[236:237], -v[92:93]
	v_add_f64 v[238:239], v[238:239], -v[204:205]
	v_mov_b64_e32 v[92:93], v[208:209]
.LBB119_325:
	s_or_b64 exec, exec, s[2:3]
	v_cmp_eq_u32_e32 vcc, 36, v200
	s_waitcnt vmcnt(63) expcnt(7) lgkmcnt(15)
	s_barrier
	s_and_saveexec_b64 s[4:5], vcc
	s_cbranch_execz .LBB119_332
; %bb.326:
	ds_write2_b64 v201, v[88:89], v[90:91] offset1:1
	ds_write2_b64 v202, v[84:85], v[86:87] offset0:74 offset1:75
	ds_write2_b64 v202, v[80:81], v[82:83] offset0:76 offset1:77
	;; [unrolled: 1-line block ×9, first 2 shown]
	s_waitcnt vmcnt(62)
	ds_write2_b64 v202, v[48:49], v[50:51] offset0:92 offset1:93
	s_waitcnt vmcnt(61)
	ds_write2_b64 v202, v[44:45], v[46:47] offset0:94 offset1:95
	;; [unrolled: 2-line block ×6, first 2 shown]
	ds_write2_b64 v202, v[24:25], v[26:27] offset0:104 offset1:105
	ds_write2_b64 v202, v[20:21], v[22:23] offset0:106 offset1:107
	;; [unrolled: 1-line block ×6, first 2 shown]
	s_waitcnt vmcnt(56)
	ds_write2_b64 v202, v[0:1], v[2:3] offset0:116 offset1:117
	s_waitcnt vmcnt(53)
	ds_write2_b64 v202, v[236:237], v[238:239] offset0:118 offset1:119
	ds_read2_b64 v[208:211], v201 offset1:1
	s_waitcnt lgkmcnt(0)
	v_cmp_neq_f64_e32 vcc, 0, v[208:209]
	v_cmp_neq_f64_e64 s[2:3], 0, v[210:211]
	s_or_b64 s[2:3], vcc, s[2:3]
	s_and_b64 exec, exec, s[2:3]
	s_cbranch_execz .LBB119_332
; %bb.327:
	v_cmp_ngt_f64_e64 s[2:3], |v[208:209]|, |v[210:211]|
                                        ; implicit-def: $vgpr204_vgpr205
	s_and_saveexec_b64 s[10:11], s[2:3]
	s_xor_b64 s[2:3], exec, s[10:11]
                                        ; implicit-def: $vgpr206_vgpr207
	s_cbranch_execz .LBB119_329
; %bb.328:
	v_div_scale_f64 v[204:205], s[10:11], v[210:211], v[210:211], v[208:209]
	v_rcp_f64_e32 v[206:207], v[204:205]
	v_div_scale_f64 v[212:213], vcc, v[208:209], v[210:211], v[208:209]
	v_fma_f64 v[214:215], -v[204:205], v[206:207], 1.0
	v_fmac_f64_e32 v[206:207], v[206:207], v[214:215]
	v_fma_f64 v[214:215], -v[204:205], v[206:207], 1.0
	v_fmac_f64_e32 v[206:207], v[206:207], v[214:215]
	v_mul_f64 v[214:215], v[212:213], v[206:207]
	v_fma_f64 v[204:205], -v[204:205], v[214:215], v[212:213]
	v_div_fmas_f64 v[204:205], v[204:205], v[206:207], v[214:215]
	v_div_fixup_f64 v[204:205], v[204:205], v[210:211], v[208:209]
	v_fmac_f64_e32 v[210:211], v[208:209], v[204:205]
	v_div_scale_f64 v[206:207], s[10:11], v[210:211], v[210:211], 1.0
	v_rcp_f64_e32 v[208:209], v[206:207]
	s_nop 0
	v_fma_f64 v[212:213], -v[206:207], v[208:209], 1.0
	v_fmac_f64_e32 v[208:209], v[208:209], v[212:213]
	v_fma_f64 v[212:213], -v[206:207], v[208:209], 1.0
	v_fmac_f64_e32 v[208:209], v[208:209], v[212:213]
	v_div_scale_f64 v[212:213], vcc, 1.0, v[210:211], 1.0
	v_mul_f64 v[214:215], v[212:213], v[208:209]
	v_fma_f64 v[206:207], -v[206:207], v[214:215], v[212:213]
	s_nop 1
	v_div_fmas_f64 v[206:207], v[206:207], v[208:209], v[214:215]
	v_div_fixup_f64 v[206:207], v[206:207], v[210:211], 1.0
	v_mul_f64 v[204:205], v[204:205], v[206:207]
	v_xor_b32_e32 v207, 0x80000000, v207
                                        ; implicit-def: $vgpr208_vgpr209
.LBB119_329:
	s_andn2_saveexec_b64 s[2:3], s[2:3]
	s_cbranch_execz .LBB119_331
; %bb.330:
	v_div_scale_f64 v[204:205], s[10:11], v[208:209], v[208:209], v[210:211]
	v_rcp_f64_e32 v[206:207], v[204:205]
	v_div_scale_f64 v[212:213], vcc, v[210:211], v[208:209], v[210:211]
	v_fma_f64 v[214:215], -v[204:205], v[206:207], 1.0
	v_fmac_f64_e32 v[206:207], v[206:207], v[214:215]
	v_fma_f64 v[214:215], -v[204:205], v[206:207], 1.0
	v_fmac_f64_e32 v[206:207], v[206:207], v[214:215]
	v_mul_f64 v[214:215], v[212:213], v[206:207]
	v_fma_f64 v[204:205], -v[204:205], v[214:215], v[212:213]
	v_div_fmas_f64 v[204:205], v[204:205], v[206:207], v[214:215]
	v_div_fixup_f64 v[206:207], v[204:205], v[208:209], v[210:211]
	v_fmac_f64_e32 v[208:209], v[210:211], v[206:207]
	v_div_scale_f64 v[204:205], s[10:11], v[208:209], v[208:209], 1.0
	v_rcp_f64_e32 v[210:211], v[204:205]
	s_nop 0
	v_fma_f64 v[212:213], -v[204:205], v[210:211], 1.0
	v_fmac_f64_e32 v[210:211], v[210:211], v[212:213]
	v_fma_f64 v[212:213], -v[204:205], v[210:211], 1.0
	v_fmac_f64_e32 v[210:211], v[210:211], v[212:213]
	v_div_scale_f64 v[212:213], vcc, 1.0, v[208:209], 1.0
	v_mul_f64 v[214:215], v[212:213], v[210:211]
	v_fma_f64 v[204:205], -v[204:205], v[214:215], v[212:213]
	s_nop 1
	v_div_fmas_f64 v[204:205], v[204:205], v[210:211], v[214:215]
	v_div_fixup_f64 v[204:205], v[204:205], v[208:209], 1.0
	v_mul_f64 v[206:207], v[206:207], -v[204:205]
.LBB119_331:
	s_or_b64 exec, exec, s[2:3]
	ds_write2_b64 v201, v[204:205], v[206:207] offset1:1
.LBB119_332:
	s_or_b64 exec, exec, s[4:5]
	s_waitcnt lgkmcnt(0)
	s_barrier
	ds_read2_b64 v[192:195], v201 offset1:1
	v_cmp_lt_u32_e32 vcc, 36, v200
	s_waitcnt lgkmcnt(0)
	scratch_store_dwordx4 off, v[192:195], off offset:1216 ; 16-byte Folded Spill
	s_and_saveexec_b64 s[2:3], vcc
	s_cbranch_execz .LBB119_334
; %bb.333:
	scratch_load_dwordx4 v[192:195], off, off offset:1216 ; 16-byte Folded Reload
	s_waitcnt vmcnt(0)
	v_mul_f64 v[204:205], v[194:195], v[90:91]
	v_fma_f64 v[208:209], v[192:193], v[88:89], -v[204:205]
	ds_read2_b64 v[204:207], v202 offset0:74 offset1:75
	v_mul_f64 v[90:91], v[192:193], v[90:91]
	v_fmac_f64_e32 v[90:91], v[194:195], v[88:89]
	s_waitcnt lgkmcnt(0)
	v_mul_f64 v[88:89], v[206:207], v[90:91]
	v_fma_f64 v[88:89], v[204:205], v[208:209], -v[88:89]
	v_mul_f64 v[204:205], v[204:205], v[90:91]
	v_fmac_f64_e32 v[204:205], v[206:207], v[208:209]
	v_add_f64 v[86:87], v[86:87], -v[204:205]
	ds_read2_b64 v[204:207], v202 offset0:76 offset1:77
	v_add_f64 v[84:85], v[84:85], -v[88:89]
	s_waitcnt lgkmcnt(0)
	v_mul_f64 v[88:89], v[206:207], v[90:91]
	v_fma_f64 v[88:89], v[204:205], v[208:209], -v[88:89]
	v_mul_f64 v[204:205], v[204:205], v[90:91]
	v_fmac_f64_e32 v[204:205], v[206:207], v[208:209]
	v_add_f64 v[82:83], v[82:83], -v[204:205]
	ds_read2_b64 v[204:207], v202 offset0:78 offset1:79
	v_add_f64 v[80:81], v[80:81], -v[88:89]
	;; [unrolled: 8-line block ×22, first 2 shown]
	s_waitcnt lgkmcnt(0)
	v_mul_f64 v[88:89], v[206:207], v[90:91]
	v_fma_f64 v[88:89], v[204:205], v[208:209], -v[88:89]
	v_mul_f64 v[204:205], v[204:205], v[90:91]
	v_fmac_f64_e32 v[204:205], v[206:207], v[208:209]
	v_add_f64 v[236:237], v[236:237], -v[88:89]
	v_add_f64 v[238:239], v[238:239], -v[204:205]
	v_mov_b64_e32 v[88:89], v[208:209]
.LBB119_334:
	s_or_b64 exec, exec, s[2:3]
	v_cmp_eq_u32_e32 vcc, 37, v200
	s_waitcnt vmcnt(63) expcnt(7) lgkmcnt(15)
	s_barrier
	s_and_saveexec_b64 s[4:5], vcc
	s_cbranch_execz .LBB119_341
; %bb.335:
	ds_write2_b64 v201, v[84:85], v[86:87] offset1:1
	ds_write2_b64 v202, v[80:81], v[82:83] offset0:76 offset1:77
	ds_write2_b64 v202, v[76:77], v[78:79] offset0:78 offset1:79
	;; [unrolled: 1-line block ×9, first 2 shown]
	s_waitcnt vmcnt(62)
	ds_write2_b64 v202, v[44:45], v[46:47] offset0:94 offset1:95
	s_waitcnt vmcnt(61)
	ds_write2_b64 v202, v[40:41], v[42:43] offset0:96 offset1:97
	;; [unrolled: 2-line block ×5, first 2 shown]
	ds_write2_b64 v202, v[24:25], v[26:27] offset0:104 offset1:105
	ds_write2_b64 v202, v[20:21], v[22:23] offset0:106 offset1:107
	;; [unrolled: 1-line block ×6, first 2 shown]
	s_waitcnt vmcnt(57)
	ds_write2_b64 v202, v[0:1], v[2:3] offset0:116 offset1:117
	s_waitcnt vmcnt(54)
	ds_write2_b64 v202, v[236:237], v[238:239] offset0:118 offset1:119
	ds_read2_b64 v[208:211], v201 offset1:1
	s_waitcnt lgkmcnt(0)
	v_cmp_neq_f64_e32 vcc, 0, v[208:209]
	v_cmp_neq_f64_e64 s[2:3], 0, v[210:211]
	s_or_b64 s[2:3], vcc, s[2:3]
	s_and_b64 exec, exec, s[2:3]
	s_cbranch_execz .LBB119_341
; %bb.336:
	v_cmp_ngt_f64_e64 s[2:3], |v[208:209]|, |v[210:211]|
                                        ; implicit-def: $vgpr204_vgpr205
	s_and_saveexec_b64 s[10:11], s[2:3]
	s_xor_b64 s[2:3], exec, s[10:11]
                                        ; implicit-def: $vgpr206_vgpr207
	s_cbranch_execz .LBB119_338
; %bb.337:
	v_div_scale_f64 v[204:205], s[10:11], v[210:211], v[210:211], v[208:209]
	v_rcp_f64_e32 v[206:207], v[204:205]
	v_div_scale_f64 v[212:213], vcc, v[208:209], v[210:211], v[208:209]
	v_fma_f64 v[214:215], -v[204:205], v[206:207], 1.0
	v_fmac_f64_e32 v[206:207], v[206:207], v[214:215]
	v_fma_f64 v[214:215], -v[204:205], v[206:207], 1.0
	v_fmac_f64_e32 v[206:207], v[206:207], v[214:215]
	v_mul_f64 v[214:215], v[212:213], v[206:207]
	v_fma_f64 v[204:205], -v[204:205], v[214:215], v[212:213]
	v_div_fmas_f64 v[204:205], v[204:205], v[206:207], v[214:215]
	v_div_fixup_f64 v[204:205], v[204:205], v[210:211], v[208:209]
	v_fmac_f64_e32 v[210:211], v[208:209], v[204:205]
	v_div_scale_f64 v[206:207], s[10:11], v[210:211], v[210:211], 1.0
	v_rcp_f64_e32 v[208:209], v[206:207]
	s_nop 0
	v_fma_f64 v[212:213], -v[206:207], v[208:209], 1.0
	v_fmac_f64_e32 v[208:209], v[208:209], v[212:213]
	v_fma_f64 v[212:213], -v[206:207], v[208:209], 1.0
	v_fmac_f64_e32 v[208:209], v[208:209], v[212:213]
	v_div_scale_f64 v[212:213], vcc, 1.0, v[210:211], 1.0
	v_mul_f64 v[214:215], v[212:213], v[208:209]
	v_fma_f64 v[206:207], -v[206:207], v[214:215], v[212:213]
	s_nop 1
	v_div_fmas_f64 v[206:207], v[206:207], v[208:209], v[214:215]
	v_div_fixup_f64 v[206:207], v[206:207], v[210:211], 1.0
	v_mul_f64 v[204:205], v[204:205], v[206:207]
	v_xor_b32_e32 v207, 0x80000000, v207
                                        ; implicit-def: $vgpr208_vgpr209
.LBB119_338:
	s_andn2_saveexec_b64 s[2:3], s[2:3]
	s_cbranch_execz .LBB119_340
; %bb.339:
	v_div_scale_f64 v[204:205], s[10:11], v[208:209], v[208:209], v[210:211]
	v_rcp_f64_e32 v[206:207], v[204:205]
	v_div_scale_f64 v[212:213], vcc, v[210:211], v[208:209], v[210:211]
	v_fma_f64 v[214:215], -v[204:205], v[206:207], 1.0
	v_fmac_f64_e32 v[206:207], v[206:207], v[214:215]
	v_fma_f64 v[214:215], -v[204:205], v[206:207], 1.0
	v_fmac_f64_e32 v[206:207], v[206:207], v[214:215]
	v_mul_f64 v[214:215], v[212:213], v[206:207]
	v_fma_f64 v[204:205], -v[204:205], v[214:215], v[212:213]
	v_div_fmas_f64 v[204:205], v[204:205], v[206:207], v[214:215]
	v_div_fixup_f64 v[206:207], v[204:205], v[208:209], v[210:211]
	v_fmac_f64_e32 v[208:209], v[210:211], v[206:207]
	v_div_scale_f64 v[204:205], s[10:11], v[208:209], v[208:209], 1.0
	v_rcp_f64_e32 v[210:211], v[204:205]
	s_nop 0
	v_fma_f64 v[212:213], -v[204:205], v[210:211], 1.0
	v_fmac_f64_e32 v[210:211], v[210:211], v[212:213]
	v_fma_f64 v[212:213], -v[204:205], v[210:211], 1.0
	v_fmac_f64_e32 v[210:211], v[210:211], v[212:213]
	v_div_scale_f64 v[212:213], vcc, 1.0, v[208:209], 1.0
	v_mul_f64 v[214:215], v[212:213], v[210:211]
	v_fma_f64 v[204:205], -v[204:205], v[214:215], v[212:213]
	s_nop 1
	v_div_fmas_f64 v[204:205], v[204:205], v[210:211], v[214:215]
	v_div_fixup_f64 v[204:205], v[204:205], v[208:209], 1.0
	v_mul_f64 v[206:207], v[206:207], -v[204:205]
.LBB119_340:
	s_or_b64 exec, exec, s[2:3]
	ds_write2_b64 v201, v[204:205], v[206:207] offset1:1
.LBB119_341:
	s_or_b64 exec, exec, s[4:5]
	s_waitcnt lgkmcnt(0)
	s_barrier
	ds_read2_b64 v[192:195], v201 offset1:1
	v_cmp_lt_u32_e32 vcc, 37, v200
	s_waitcnt lgkmcnt(0)
	scratch_store_dwordx4 off, v[192:195], off offset:1232 ; 16-byte Folded Spill
	s_and_saveexec_b64 s[2:3], vcc
	s_cbranch_execz .LBB119_343
; %bb.342:
	scratch_load_dwordx4 v[192:195], off, off offset:1232 ; 16-byte Folded Reload
	s_waitcnt vmcnt(0)
	v_mul_f64 v[204:205], v[194:195], v[86:87]
	v_fma_f64 v[208:209], v[192:193], v[84:85], -v[204:205]
	ds_read2_b64 v[204:207], v202 offset0:76 offset1:77
	v_mul_f64 v[86:87], v[192:193], v[86:87]
	v_fmac_f64_e32 v[86:87], v[194:195], v[84:85]
	s_waitcnt lgkmcnt(0)
	v_mul_f64 v[84:85], v[206:207], v[86:87]
	v_fma_f64 v[84:85], v[204:205], v[208:209], -v[84:85]
	v_mul_f64 v[204:205], v[204:205], v[86:87]
	v_fmac_f64_e32 v[204:205], v[206:207], v[208:209]
	v_add_f64 v[82:83], v[82:83], -v[204:205]
	ds_read2_b64 v[204:207], v202 offset0:78 offset1:79
	v_add_f64 v[80:81], v[80:81], -v[84:85]
	s_waitcnt lgkmcnt(0)
	v_mul_f64 v[84:85], v[206:207], v[86:87]
	v_fma_f64 v[84:85], v[204:205], v[208:209], -v[84:85]
	v_mul_f64 v[204:205], v[204:205], v[86:87]
	v_fmac_f64_e32 v[204:205], v[206:207], v[208:209]
	v_add_f64 v[78:79], v[78:79], -v[204:205]
	ds_read2_b64 v[204:207], v202 offset0:80 offset1:81
	v_add_f64 v[76:77], v[76:77], -v[84:85]
	s_waitcnt lgkmcnt(0)
	v_mul_f64 v[84:85], v[206:207], v[86:87]
	v_fma_f64 v[84:85], v[204:205], v[208:209], -v[84:85]
	v_mul_f64 v[204:205], v[204:205], v[86:87]
	v_fmac_f64_e32 v[204:205], v[206:207], v[208:209]
	v_add_f64 v[74:75], v[74:75], -v[204:205]
	ds_read2_b64 v[204:207], v202 offset0:82 offset1:83
	v_add_f64 v[72:73], v[72:73], -v[84:85]
	s_waitcnt lgkmcnt(0)
	v_mul_f64 v[84:85], v[206:207], v[86:87]
	v_fma_f64 v[84:85], v[204:205], v[208:209], -v[84:85]
	v_mul_f64 v[204:205], v[204:205], v[86:87]
	v_fmac_f64_e32 v[204:205], v[206:207], v[208:209]
	v_add_f64 v[70:71], v[70:71], -v[204:205]
	ds_read2_b64 v[204:207], v202 offset0:84 offset1:85
	v_add_f64 v[68:69], v[68:69], -v[84:85]
	s_waitcnt lgkmcnt(0)
	v_mul_f64 v[84:85], v[206:207], v[86:87]
	v_fma_f64 v[84:85], v[204:205], v[208:209], -v[84:85]
	v_mul_f64 v[204:205], v[204:205], v[86:87]
	v_fmac_f64_e32 v[204:205], v[206:207], v[208:209]
	v_add_f64 v[66:67], v[66:67], -v[204:205]
	ds_read2_b64 v[204:207], v202 offset0:86 offset1:87
	v_add_f64 v[64:65], v[64:65], -v[84:85]
	s_waitcnt lgkmcnt(0)
	v_mul_f64 v[84:85], v[206:207], v[86:87]
	v_fma_f64 v[84:85], v[204:205], v[208:209], -v[84:85]
	v_mul_f64 v[204:205], v[204:205], v[86:87]
	v_fmac_f64_e32 v[204:205], v[206:207], v[208:209]
	v_add_f64 v[62:63], v[62:63], -v[204:205]
	ds_read2_b64 v[204:207], v202 offset0:88 offset1:89
	v_add_f64 v[60:61], v[60:61], -v[84:85]
	s_waitcnt lgkmcnt(0)
	v_mul_f64 v[84:85], v[206:207], v[86:87]
	v_fma_f64 v[84:85], v[204:205], v[208:209], -v[84:85]
	v_mul_f64 v[204:205], v[204:205], v[86:87]
	v_fmac_f64_e32 v[204:205], v[206:207], v[208:209]
	v_add_f64 v[58:59], v[58:59], -v[204:205]
	ds_read2_b64 v[204:207], v202 offset0:90 offset1:91
	v_add_f64 v[56:57], v[56:57], -v[84:85]
	s_waitcnt lgkmcnt(0)
	v_mul_f64 v[84:85], v[206:207], v[86:87]
	v_fma_f64 v[84:85], v[204:205], v[208:209], -v[84:85]
	v_mul_f64 v[204:205], v[204:205], v[86:87]
	v_fmac_f64_e32 v[204:205], v[206:207], v[208:209]
	v_add_f64 v[54:55], v[54:55], -v[204:205]
	ds_read2_b64 v[204:207], v202 offset0:92 offset1:93
	v_add_f64 v[52:53], v[52:53], -v[84:85]
	s_waitcnt lgkmcnt(0)
	v_mul_f64 v[84:85], v[206:207], v[86:87]
	v_fma_f64 v[84:85], v[204:205], v[208:209], -v[84:85]
	v_mul_f64 v[204:205], v[204:205], v[86:87]
	v_fmac_f64_e32 v[204:205], v[206:207], v[208:209]
	v_add_f64 v[50:51], v[50:51], -v[204:205]
	ds_read2_b64 v[204:207], v202 offset0:94 offset1:95
	v_add_f64 v[48:49], v[48:49], -v[84:85]
	s_waitcnt lgkmcnt(0)
	v_mul_f64 v[84:85], v[206:207], v[86:87]
	v_fma_f64 v[84:85], v[204:205], v[208:209], -v[84:85]
	v_mul_f64 v[204:205], v[204:205], v[86:87]
	v_fmac_f64_e32 v[204:205], v[206:207], v[208:209]
	v_add_f64 v[46:47], v[46:47], -v[204:205]
	ds_read2_b64 v[204:207], v202 offset0:96 offset1:97
	v_add_f64 v[44:45], v[44:45], -v[84:85]
	s_waitcnt lgkmcnt(0)
	v_mul_f64 v[84:85], v[206:207], v[86:87]
	v_fma_f64 v[84:85], v[204:205], v[208:209], -v[84:85]
	v_mul_f64 v[204:205], v[204:205], v[86:87]
	v_fmac_f64_e32 v[204:205], v[206:207], v[208:209]
	v_add_f64 v[42:43], v[42:43], -v[204:205]
	ds_read2_b64 v[204:207], v202 offset0:98 offset1:99
	v_add_f64 v[40:41], v[40:41], -v[84:85]
	s_waitcnt lgkmcnt(0)
	v_mul_f64 v[84:85], v[206:207], v[86:87]
	v_fma_f64 v[84:85], v[204:205], v[208:209], -v[84:85]
	v_mul_f64 v[204:205], v[204:205], v[86:87]
	v_fmac_f64_e32 v[204:205], v[206:207], v[208:209]
	v_add_f64 v[38:39], v[38:39], -v[204:205]
	ds_read2_b64 v[204:207], v202 offset0:100 offset1:101
	v_add_f64 v[36:37], v[36:37], -v[84:85]
	s_waitcnt lgkmcnt(0)
	v_mul_f64 v[84:85], v[206:207], v[86:87]
	v_fma_f64 v[84:85], v[204:205], v[208:209], -v[84:85]
	v_mul_f64 v[204:205], v[204:205], v[86:87]
	v_fmac_f64_e32 v[204:205], v[206:207], v[208:209]
	v_add_f64 v[34:35], v[34:35], -v[204:205]
	ds_read2_b64 v[204:207], v202 offset0:102 offset1:103
	v_add_f64 v[32:33], v[32:33], -v[84:85]
	s_waitcnt lgkmcnt(0)
	v_mul_f64 v[84:85], v[206:207], v[86:87]
	v_fma_f64 v[84:85], v[204:205], v[208:209], -v[84:85]
	v_mul_f64 v[204:205], v[204:205], v[86:87]
	v_fmac_f64_e32 v[204:205], v[206:207], v[208:209]
	v_add_f64 v[30:31], v[30:31], -v[204:205]
	ds_read2_b64 v[204:207], v202 offset0:104 offset1:105
	v_add_f64 v[28:29], v[28:29], -v[84:85]
	s_waitcnt lgkmcnt(0)
	v_mul_f64 v[84:85], v[206:207], v[86:87]
	v_fma_f64 v[84:85], v[204:205], v[208:209], -v[84:85]
	v_mul_f64 v[204:205], v[204:205], v[86:87]
	v_fmac_f64_e32 v[204:205], v[206:207], v[208:209]
	v_add_f64 v[26:27], v[26:27], -v[204:205]
	ds_read2_b64 v[204:207], v202 offset0:106 offset1:107
	v_add_f64 v[24:25], v[24:25], -v[84:85]
	s_waitcnt lgkmcnt(0)
	v_mul_f64 v[84:85], v[206:207], v[86:87]
	v_fma_f64 v[84:85], v[204:205], v[208:209], -v[84:85]
	v_mul_f64 v[204:205], v[204:205], v[86:87]
	v_fmac_f64_e32 v[204:205], v[206:207], v[208:209]
	v_add_f64 v[22:23], v[22:23], -v[204:205]
	ds_read2_b64 v[204:207], v202 offset0:108 offset1:109
	v_add_f64 v[20:21], v[20:21], -v[84:85]
	s_waitcnt lgkmcnt(0)
	v_mul_f64 v[84:85], v[206:207], v[86:87]
	v_fma_f64 v[84:85], v[204:205], v[208:209], -v[84:85]
	v_mul_f64 v[204:205], v[204:205], v[86:87]
	v_fmac_f64_e32 v[204:205], v[206:207], v[208:209]
	v_add_f64 v[18:19], v[18:19], -v[204:205]
	ds_read2_b64 v[204:207], v202 offset0:110 offset1:111
	v_add_f64 v[16:17], v[16:17], -v[84:85]
	s_waitcnt lgkmcnt(0)
	v_mul_f64 v[84:85], v[206:207], v[86:87]
	v_fma_f64 v[84:85], v[204:205], v[208:209], -v[84:85]
	v_mul_f64 v[204:205], v[204:205], v[86:87]
	v_fmac_f64_e32 v[204:205], v[206:207], v[208:209]
	v_add_f64 v[14:15], v[14:15], -v[204:205]
	ds_read2_b64 v[204:207], v202 offset0:112 offset1:113
	v_add_f64 v[12:13], v[12:13], -v[84:85]
	s_waitcnt lgkmcnt(0)
	v_mul_f64 v[84:85], v[206:207], v[86:87]
	v_fma_f64 v[84:85], v[204:205], v[208:209], -v[84:85]
	v_mul_f64 v[204:205], v[204:205], v[86:87]
	v_fmac_f64_e32 v[204:205], v[206:207], v[208:209]
	v_add_f64 v[10:11], v[10:11], -v[204:205]
	ds_read2_b64 v[204:207], v202 offset0:114 offset1:115
	v_add_f64 v[8:9], v[8:9], -v[84:85]
	s_waitcnt lgkmcnt(0)
	v_mul_f64 v[84:85], v[206:207], v[86:87]
	v_fma_f64 v[84:85], v[204:205], v[208:209], -v[84:85]
	v_mul_f64 v[204:205], v[204:205], v[86:87]
	v_fmac_f64_e32 v[204:205], v[206:207], v[208:209]
	v_add_f64 v[6:7], v[6:7], -v[204:205]
	ds_read2_b64 v[204:207], v202 offset0:116 offset1:117
	v_add_f64 v[4:5], v[4:5], -v[84:85]
	s_waitcnt lgkmcnt(0)
	v_mul_f64 v[84:85], v[206:207], v[86:87]
	v_fma_f64 v[84:85], v[204:205], v[208:209], -v[84:85]
	v_mul_f64 v[204:205], v[204:205], v[86:87]
	v_fmac_f64_e32 v[204:205], v[206:207], v[208:209]
	v_add_f64 v[2:3], v[2:3], -v[204:205]
	ds_read2_b64 v[204:207], v202 offset0:118 offset1:119
	v_add_f64 v[0:1], v[0:1], -v[84:85]
	s_waitcnt lgkmcnt(0)
	v_mul_f64 v[84:85], v[206:207], v[86:87]
	v_fma_f64 v[84:85], v[204:205], v[208:209], -v[84:85]
	v_mul_f64 v[204:205], v[204:205], v[86:87]
	v_fmac_f64_e32 v[204:205], v[206:207], v[208:209]
	v_add_f64 v[236:237], v[236:237], -v[84:85]
	v_add_f64 v[238:239], v[238:239], -v[204:205]
	v_mov_b64_e32 v[84:85], v[208:209]
.LBB119_343:
	s_or_b64 exec, exec, s[2:3]
	v_cmp_eq_u32_e32 vcc, 38, v200
	s_waitcnt vmcnt(63) expcnt(7) lgkmcnt(15)
	s_barrier
	s_and_saveexec_b64 s[4:5], vcc
	s_cbranch_execz .LBB119_350
; %bb.344:
	ds_write2_b64 v201, v[80:81], v[82:83] offset1:1
	ds_write2_b64 v202, v[76:77], v[78:79] offset0:78 offset1:79
	ds_write2_b64 v202, v[72:73], v[74:75] offset0:80 offset1:81
	;; [unrolled: 1-line block ×9, first 2 shown]
	s_waitcnt vmcnt(62)
	ds_write2_b64 v202, v[40:41], v[42:43] offset0:96 offset1:97
	s_waitcnt vmcnt(61)
	ds_write2_b64 v202, v[36:37], v[38:39] offset0:98 offset1:99
	;; [unrolled: 2-line block ×4, first 2 shown]
	ds_write2_b64 v202, v[24:25], v[26:27] offset0:104 offset1:105
	ds_write2_b64 v202, v[20:21], v[22:23] offset0:106 offset1:107
	;; [unrolled: 1-line block ×6, first 2 shown]
	s_waitcnt vmcnt(58)
	ds_write2_b64 v202, v[0:1], v[2:3] offset0:116 offset1:117
	s_waitcnt vmcnt(55)
	ds_write2_b64 v202, v[236:237], v[238:239] offset0:118 offset1:119
	ds_read2_b64 v[208:211], v201 offset1:1
	s_waitcnt lgkmcnt(0)
	v_cmp_neq_f64_e32 vcc, 0, v[208:209]
	v_cmp_neq_f64_e64 s[2:3], 0, v[210:211]
	s_or_b64 s[2:3], vcc, s[2:3]
	s_and_b64 exec, exec, s[2:3]
	s_cbranch_execz .LBB119_350
; %bb.345:
	v_cmp_ngt_f64_e64 s[2:3], |v[208:209]|, |v[210:211]|
                                        ; implicit-def: $vgpr204_vgpr205
	s_and_saveexec_b64 s[10:11], s[2:3]
	s_xor_b64 s[2:3], exec, s[10:11]
                                        ; implicit-def: $vgpr206_vgpr207
	s_cbranch_execz .LBB119_347
; %bb.346:
	v_div_scale_f64 v[204:205], s[10:11], v[210:211], v[210:211], v[208:209]
	v_rcp_f64_e32 v[206:207], v[204:205]
	v_div_scale_f64 v[212:213], vcc, v[208:209], v[210:211], v[208:209]
	v_fma_f64 v[214:215], -v[204:205], v[206:207], 1.0
	v_fmac_f64_e32 v[206:207], v[206:207], v[214:215]
	v_fma_f64 v[214:215], -v[204:205], v[206:207], 1.0
	v_fmac_f64_e32 v[206:207], v[206:207], v[214:215]
	v_mul_f64 v[214:215], v[212:213], v[206:207]
	v_fma_f64 v[204:205], -v[204:205], v[214:215], v[212:213]
	v_div_fmas_f64 v[204:205], v[204:205], v[206:207], v[214:215]
	v_div_fixup_f64 v[204:205], v[204:205], v[210:211], v[208:209]
	v_fmac_f64_e32 v[210:211], v[208:209], v[204:205]
	v_div_scale_f64 v[206:207], s[10:11], v[210:211], v[210:211], 1.0
	v_rcp_f64_e32 v[208:209], v[206:207]
	s_nop 0
	v_fma_f64 v[212:213], -v[206:207], v[208:209], 1.0
	v_fmac_f64_e32 v[208:209], v[208:209], v[212:213]
	v_fma_f64 v[212:213], -v[206:207], v[208:209], 1.0
	v_fmac_f64_e32 v[208:209], v[208:209], v[212:213]
	v_div_scale_f64 v[212:213], vcc, 1.0, v[210:211], 1.0
	v_mul_f64 v[214:215], v[212:213], v[208:209]
	v_fma_f64 v[206:207], -v[206:207], v[214:215], v[212:213]
	s_nop 1
	v_div_fmas_f64 v[206:207], v[206:207], v[208:209], v[214:215]
	v_div_fixup_f64 v[206:207], v[206:207], v[210:211], 1.0
	v_mul_f64 v[204:205], v[204:205], v[206:207]
	v_xor_b32_e32 v207, 0x80000000, v207
                                        ; implicit-def: $vgpr208_vgpr209
.LBB119_347:
	s_andn2_saveexec_b64 s[2:3], s[2:3]
	s_cbranch_execz .LBB119_349
; %bb.348:
	v_div_scale_f64 v[204:205], s[10:11], v[208:209], v[208:209], v[210:211]
	v_rcp_f64_e32 v[206:207], v[204:205]
	v_div_scale_f64 v[212:213], vcc, v[210:211], v[208:209], v[210:211]
	v_fma_f64 v[214:215], -v[204:205], v[206:207], 1.0
	v_fmac_f64_e32 v[206:207], v[206:207], v[214:215]
	v_fma_f64 v[214:215], -v[204:205], v[206:207], 1.0
	v_fmac_f64_e32 v[206:207], v[206:207], v[214:215]
	v_mul_f64 v[214:215], v[212:213], v[206:207]
	v_fma_f64 v[204:205], -v[204:205], v[214:215], v[212:213]
	v_div_fmas_f64 v[204:205], v[204:205], v[206:207], v[214:215]
	v_div_fixup_f64 v[206:207], v[204:205], v[208:209], v[210:211]
	v_fmac_f64_e32 v[208:209], v[210:211], v[206:207]
	v_div_scale_f64 v[204:205], s[10:11], v[208:209], v[208:209], 1.0
	v_rcp_f64_e32 v[210:211], v[204:205]
	s_nop 0
	v_fma_f64 v[212:213], -v[204:205], v[210:211], 1.0
	v_fmac_f64_e32 v[210:211], v[210:211], v[212:213]
	v_fma_f64 v[212:213], -v[204:205], v[210:211], 1.0
	v_fmac_f64_e32 v[210:211], v[210:211], v[212:213]
	v_div_scale_f64 v[212:213], vcc, 1.0, v[208:209], 1.0
	v_mul_f64 v[214:215], v[212:213], v[210:211]
	v_fma_f64 v[204:205], -v[204:205], v[214:215], v[212:213]
	s_nop 1
	v_div_fmas_f64 v[204:205], v[204:205], v[210:211], v[214:215]
	v_div_fixup_f64 v[204:205], v[204:205], v[208:209], 1.0
	v_mul_f64 v[206:207], v[206:207], -v[204:205]
.LBB119_349:
	s_or_b64 exec, exec, s[2:3]
	ds_write2_b64 v201, v[204:205], v[206:207] offset1:1
.LBB119_350:
	s_or_b64 exec, exec, s[4:5]
	s_waitcnt lgkmcnt(0)
	s_barrier
	ds_read2_b64 v[192:195], v201 offset1:1
	v_cmp_lt_u32_e32 vcc, 38, v200
	s_waitcnt lgkmcnt(0)
	scratch_store_dwordx4 off, v[192:195], off offset:1248 ; 16-byte Folded Spill
	s_and_saveexec_b64 s[2:3], vcc
	s_cbranch_execz .LBB119_352
; %bb.351:
	scratch_load_dwordx4 v[192:195], off, off offset:1248 ; 16-byte Folded Reload
	s_waitcnt vmcnt(0)
	v_mul_f64 v[204:205], v[194:195], v[82:83]
	v_fma_f64 v[208:209], v[192:193], v[80:81], -v[204:205]
	ds_read2_b64 v[204:207], v202 offset0:78 offset1:79
	v_mul_f64 v[82:83], v[192:193], v[82:83]
	v_fmac_f64_e32 v[82:83], v[194:195], v[80:81]
	s_waitcnt lgkmcnt(0)
	v_mul_f64 v[80:81], v[206:207], v[82:83]
	v_fma_f64 v[80:81], v[204:205], v[208:209], -v[80:81]
	v_mul_f64 v[204:205], v[204:205], v[82:83]
	v_fmac_f64_e32 v[204:205], v[206:207], v[208:209]
	v_add_f64 v[78:79], v[78:79], -v[204:205]
	ds_read2_b64 v[204:207], v202 offset0:80 offset1:81
	v_add_f64 v[76:77], v[76:77], -v[80:81]
	s_waitcnt lgkmcnt(0)
	v_mul_f64 v[80:81], v[206:207], v[82:83]
	v_fma_f64 v[80:81], v[204:205], v[208:209], -v[80:81]
	v_mul_f64 v[204:205], v[204:205], v[82:83]
	v_fmac_f64_e32 v[204:205], v[206:207], v[208:209]
	v_add_f64 v[74:75], v[74:75], -v[204:205]
	ds_read2_b64 v[204:207], v202 offset0:82 offset1:83
	v_add_f64 v[72:73], v[72:73], -v[80:81]
	;; [unrolled: 8-line block ×20, first 2 shown]
	s_waitcnt lgkmcnt(0)
	v_mul_f64 v[80:81], v[206:207], v[82:83]
	v_fma_f64 v[80:81], v[204:205], v[208:209], -v[80:81]
	v_mul_f64 v[204:205], v[204:205], v[82:83]
	v_fmac_f64_e32 v[204:205], v[206:207], v[208:209]
	v_add_f64 v[236:237], v[236:237], -v[80:81]
	v_add_f64 v[238:239], v[238:239], -v[204:205]
	v_mov_b64_e32 v[80:81], v[208:209]
.LBB119_352:
	s_or_b64 exec, exec, s[2:3]
	v_cmp_eq_u32_e32 vcc, 39, v200
	s_waitcnt vmcnt(63) expcnt(7) lgkmcnt(15)
	s_barrier
	s_and_saveexec_b64 s[4:5], vcc
	s_cbranch_execz .LBB119_359
; %bb.353:
	ds_write2_b64 v201, v[76:77], v[78:79] offset1:1
	ds_write2_b64 v202, v[72:73], v[74:75] offset0:80 offset1:81
	ds_write2_b64 v202, v[68:69], v[70:71] offset0:82 offset1:83
	;; [unrolled: 1-line block ×9, first 2 shown]
	s_waitcnt vmcnt(62)
	ds_write2_b64 v202, v[36:37], v[38:39] offset0:98 offset1:99
	s_waitcnt vmcnt(61)
	ds_write2_b64 v202, v[32:33], v[34:35] offset0:100 offset1:101
	;; [unrolled: 2-line block ×3, first 2 shown]
	ds_write2_b64 v202, v[24:25], v[26:27] offset0:104 offset1:105
	ds_write2_b64 v202, v[20:21], v[22:23] offset0:106 offset1:107
	;; [unrolled: 1-line block ×6, first 2 shown]
	s_waitcnt vmcnt(59)
	ds_write2_b64 v202, v[0:1], v[2:3] offset0:116 offset1:117
	s_waitcnt vmcnt(56)
	ds_write2_b64 v202, v[236:237], v[238:239] offset0:118 offset1:119
	ds_read2_b64 v[208:211], v201 offset1:1
	s_waitcnt lgkmcnt(0)
	v_cmp_neq_f64_e32 vcc, 0, v[208:209]
	v_cmp_neq_f64_e64 s[2:3], 0, v[210:211]
	s_or_b64 s[2:3], vcc, s[2:3]
	s_and_b64 exec, exec, s[2:3]
	s_cbranch_execz .LBB119_359
; %bb.354:
	v_cmp_ngt_f64_e64 s[2:3], |v[208:209]|, |v[210:211]|
                                        ; implicit-def: $vgpr204_vgpr205
	s_and_saveexec_b64 s[10:11], s[2:3]
	s_xor_b64 s[2:3], exec, s[10:11]
                                        ; implicit-def: $vgpr206_vgpr207
	s_cbranch_execz .LBB119_356
; %bb.355:
	v_div_scale_f64 v[204:205], s[10:11], v[210:211], v[210:211], v[208:209]
	v_rcp_f64_e32 v[206:207], v[204:205]
	v_div_scale_f64 v[212:213], vcc, v[208:209], v[210:211], v[208:209]
	v_fma_f64 v[214:215], -v[204:205], v[206:207], 1.0
	v_fmac_f64_e32 v[206:207], v[206:207], v[214:215]
	v_fma_f64 v[214:215], -v[204:205], v[206:207], 1.0
	v_fmac_f64_e32 v[206:207], v[206:207], v[214:215]
	v_mul_f64 v[214:215], v[212:213], v[206:207]
	v_fma_f64 v[204:205], -v[204:205], v[214:215], v[212:213]
	v_div_fmas_f64 v[204:205], v[204:205], v[206:207], v[214:215]
	v_div_fixup_f64 v[204:205], v[204:205], v[210:211], v[208:209]
	v_fmac_f64_e32 v[210:211], v[208:209], v[204:205]
	v_div_scale_f64 v[206:207], s[10:11], v[210:211], v[210:211], 1.0
	v_rcp_f64_e32 v[208:209], v[206:207]
	s_nop 0
	v_fma_f64 v[212:213], -v[206:207], v[208:209], 1.0
	v_fmac_f64_e32 v[208:209], v[208:209], v[212:213]
	v_fma_f64 v[212:213], -v[206:207], v[208:209], 1.0
	v_fmac_f64_e32 v[208:209], v[208:209], v[212:213]
	v_div_scale_f64 v[212:213], vcc, 1.0, v[210:211], 1.0
	v_mul_f64 v[214:215], v[212:213], v[208:209]
	v_fma_f64 v[206:207], -v[206:207], v[214:215], v[212:213]
	s_nop 1
	v_div_fmas_f64 v[206:207], v[206:207], v[208:209], v[214:215]
	v_div_fixup_f64 v[206:207], v[206:207], v[210:211], 1.0
	v_mul_f64 v[204:205], v[204:205], v[206:207]
	v_xor_b32_e32 v207, 0x80000000, v207
                                        ; implicit-def: $vgpr208_vgpr209
.LBB119_356:
	s_andn2_saveexec_b64 s[2:3], s[2:3]
	s_cbranch_execz .LBB119_358
; %bb.357:
	v_div_scale_f64 v[204:205], s[10:11], v[208:209], v[208:209], v[210:211]
	v_rcp_f64_e32 v[206:207], v[204:205]
	v_div_scale_f64 v[212:213], vcc, v[210:211], v[208:209], v[210:211]
	v_fma_f64 v[214:215], -v[204:205], v[206:207], 1.0
	v_fmac_f64_e32 v[206:207], v[206:207], v[214:215]
	v_fma_f64 v[214:215], -v[204:205], v[206:207], 1.0
	v_fmac_f64_e32 v[206:207], v[206:207], v[214:215]
	v_mul_f64 v[214:215], v[212:213], v[206:207]
	v_fma_f64 v[204:205], -v[204:205], v[214:215], v[212:213]
	v_div_fmas_f64 v[204:205], v[204:205], v[206:207], v[214:215]
	v_div_fixup_f64 v[206:207], v[204:205], v[208:209], v[210:211]
	v_fmac_f64_e32 v[208:209], v[210:211], v[206:207]
	v_div_scale_f64 v[204:205], s[10:11], v[208:209], v[208:209], 1.0
	v_rcp_f64_e32 v[210:211], v[204:205]
	s_nop 0
	v_fma_f64 v[212:213], -v[204:205], v[210:211], 1.0
	v_fmac_f64_e32 v[210:211], v[210:211], v[212:213]
	v_fma_f64 v[212:213], -v[204:205], v[210:211], 1.0
	v_fmac_f64_e32 v[210:211], v[210:211], v[212:213]
	v_div_scale_f64 v[212:213], vcc, 1.0, v[208:209], 1.0
	v_mul_f64 v[214:215], v[212:213], v[210:211]
	v_fma_f64 v[204:205], -v[204:205], v[214:215], v[212:213]
	s_nop 1
	v_div_fmas_f64 v[204:205], v[204:205], v[210:211], v[214:215]
	v_div_fixup_f64 v[204:205], v[204:205], v[208:209], 1.0
	v_mul_f64 v[206:207], v[206:207], -v[204:205]
.LBB119_358:
	s_or_b64 exec, exec, s[2:3]
	ds_write2_b64 v201, v[204:205], v[206:207] offset1:1
.LBB119_359:
	s_or_b64 exec, exec, s[4:5]
	s_waitcnt lgkmcnt(0)
	s_barrier
	ds_read2_b64 v[192:195], v201 offset1:1
	v_cmp_lt_u32_e32 vcc, 39, v200
	s_waitcnt lgkmcnt(0)
	scratch_store_dwordx4 off, v[192:195], off offset:1264 ; 16-byte Folded Spill
	s_and_saveexec_b64 s[2:3], vcc
	s_cbranch_execz .LBB119_361
; %bb.360:
	scratch_load_dwordx4 v[192:195], off, off offset:1264 ; 16-byte Folded Reload
	s_waitcnt vmcnt(0)
	v_mul_f64 v[204:205], v[194:195], v[78:79]
	v_fma_f64 v[208:209], v[192:193], v[76:77], -v[204:205]
	ds_read2_b64 v[204:207], v202 offset0:80 offset1:81
	v_mul_f64 v[78:79], v[192:193], v[78:79]
	v_fmac_f64_e32 v[78:79], v[194:195], v[76:77]
	s_waitcnt lgkmcnt(0)
	v_mul_f64 v[76:77], v[206:207], v[78:79]
	v_fma_f64 v[76:77], v[204:205], v[208:209], -v[76:77]
	v_mul_f64 v[204:205], v[204:205], v[78:79]
	v_fmac_f64_e32 v[204:205], v[206:207], v[208:209]
	v_add_f64 v[74:75], v[74:75], -v[204:205]
	ds_read2_b64 v[204:207], v202 offset0:82 offset1:83
	v_add_f64 v[72:73], v[72:73], -v[76:77]
	s_waitcnt lgkmcnt(0)
	v_mul_f64 v[76:77], v[206:207], v[78:79]
	v_fma_f64 v[76:77], v[204:205], v[208:209], -v[76:77]
	v_mul_f64 v[204:205], v[204:205], v[78:79]
	v_fmac_f64_e32 v[204:205], v[206:207], v[208:209]
	v_add_f64 v[70:71], v[70:71], -v[204:205]
	ds_read2_b64 v[204:207], v202 offset0:84 offset1:85
	v_add_f64 v[68:69], v[68:69], -v[76:77]
	;; [unrolled: 8-line block ×19, first 2 shown]
	s_waitcnt lgkmcnt(0)
	v_mul_f64 v[76:77], v[206:207], v[78:79]
	v_fma_f64 v[76:77], v[204:205], v[208:209], -v[76:77]
	v_mul_f64 v[204:205], v[204:205], v[78:79]
	v_fmac_f64_e32 v[204:205], v[206:207], v[208:209]
	v_add_f64 v[236:237], v[236:237], -v[76:77]
	v_add_f64 v[238:239], v[238:239], -v[204:205]
	v_mov_b64_e32 v[76:77], v[208:209]
.LBB119_361:
	s_or_b64 exec, exec, s[2:3]
	v_cmp_eq_u32_e32 vcc, 40, v200
	s_waitcnt vmcnt(63) expcnt(7) lgkmcnt(15)
	s_barrier
	s_and_saveexec_b64 s[4:5], vcc
	s_cbranch_execz .LBB119_368
; %bb.362:
	ds_write2_b64 v201, v[72:73], v[74:75] offset1:1
	ds_write2_b64 v202, v[68:69], v[70:71] offset0:82 offset1:83
	ds_write2_b64 v202, v[64:65], v[66:67] offset0:84 offset1:85
	;; [unrolled: 1-line block ×9, first 2 shown]
	s_waitcnt vmcnt(62)
	ds_write2_b64 v202, v[32:33], v[34:35] offset0:100 offset1:101
	s_waitcnt vmcnt(61)
	ds_write2_b64 v202, v[28:29], v[30:31] offset0:102 offset1:103
	ds_write2_b64 v202, v[24:25], v[26:27] offset0:104 offset1:105
	ds_write2_b64 v202, v[20:21], v[22:23] offset0:106 offset1:107
	ds_write2_b64 v202, v[16:17], v[18:19] offset0:108 offset1:109
	ds_write2_b64 v202, v[12:13], v[14:15] offset0:110 offset1:111
	ds_write2_b64 v202, v[8:9], v[10:11] offset0:112 offset1:113
	ds_write2_b64 v202, v[4:5], v[6:7] offset0:114 offset1:115
	s_waitcnt vmcnt(60)
	ds_write2_b64 v202, v[0:1], v[2:3] offset0:116 offset1:117
	s_waitcnt vmcnt(57)
	ds_write2_b64 v202, v[236:237], v[238:239] offset0:118 offset1:119
	ds_read2_b64 v[208:211], v201 offset1:1
	s_waitcnt lgkmcnt(0)
	v_cmp_neq_f64_e32 vcc, 0, v[208:209]
	v_cmp_neq_f64_e64 s[2:3], 0, v[210:211]
	s_or_b64 s[2:3], vcc, s[2:3]
	s_and_b64 exec, exec, s[2:3]
	s_cbranch_execz .LBB119_368
; %bb.363:
	v_cmp_ngt_f64_e64 s[2:3], |v[208:209]|, |v[210:211]|
                                        ; implicit-def: $vgpr204_vgpr205
	s_and_saveexec_b64 s[10:11], s[2:3]
	s_xor_b64 s[2:3], exec, s[10:11]
                                        ; implicit-def: $vgpr206_vgpr207
	s_cbranch_execz .LBB119_365
; %bb.364:
	v_div_scale_f64 v[204:205], s[10:11], v[210:211], v[210:211], v[208:209]
	v_rcp_f64_e32 v[206:207], v[204:205]
	v_div_scale_f64 v[212:213], vcc, v[208:209], v[210:211], v[208:209]
	v_fma_f64 v[214:215], -v[204:205], v[206:207], 1.0
	v_fmac_f64_e32 v[206:207], v[206:207], v[214:215]
	v_fma_f64 v[214:215], -v[204:205], v[206:207], 1.0
	v_fmac_f64_e32 v[206:207], v[206:207], v[214:215]
	v_mul_f64 v[214:215], v[212:213], v[206:207]
	v_fma_f64 v[204:205], -v[204:205], v[214:215], v[212:213]
	v_div_fmas_f64 v[204:205], v[204:205], v[206:207], v[214:215]
	v_div_fixup_f64 v[204:205], v[204:205], v[210:211], v[208:209]
	v_fmac_f64_e32 v[210:211], v[208:209], v[204:205]
	v_div_scale_f64 v[206:207], s[10:11], v[210:211], v[210:211], 1.0
	v_rcp_f64_e32 v[208:209], v[206:207]
	s_nop 0
	v_fma_f64 v[212:213], -v[206:207], v[208:209], 1.0
	v_fmac_f64_e32 v[208:209], v[208:209], v[212:213]
	v_fma_f64 v[212:213], -v[206:207], v[208:209], 1.0
	v_fmac_f64_e32 v[208:209], v[208:209], v[212:213]
	v_div_scale_f64 v[212:213], vcc, 1.0, v[210:211], 1.0
	v_mul_f64 v[214:215], v[212:213], v[208:209]
	v_fma_f64 v[206:207], -v[206:207], v[214:215], v[212:213]
	s_nop 1
	v_div_fmas_f64 v[206:207], v[206:207], v[208:209], v[214:215]
	v_div_fixup_f64 v[206:207], v[206:207], v[210:211], 1.0
	v_mul_f64 v[204:205], v[204:205], v[206:207]
	v_xor_b32_e32 v207, 0x80000000, v207
                                        ; implicit-def: $vgpr208_vgpr209
.LBB119_365:
	s_andn2_saveexec_b64 s[2:3], s[2:3]
	s_cbranch_execz .LBB119_367
; %bb.366:
	v_div_scale_f64 v[204:205], s[10:11], v[208:209], v[208:209], v[210:211]
	v_rcp_f64_e32 v[206:207], v[204:205]
	v_div_scale_f64 v[212:213], vcc, v[210:211], v[208:209], v[210:211]
	v_fma_f64 v[214:215], -v[204:205], v[206:207], 1.0
	v_fmac_f64_e32 v[206:207], v[206:207], v[214:215]
	v_fma_f64 v[214:215], -v[204:205], v[206:207], 1.0
	v_fmac_f64_e32 v[206:207], v[206:207], v[214:215]
	v_mul_f64 v[214:215], v[212:213], v[206:207]
	v_fma_f64 v[204:205], -v[204:205], v[214:215], v[212:213]
	v_div_fmas_f64 v[204:205], v[204:205], v[206:207], v[214:215]
	v_div_fixup_f64 v[206:207], v[204:205], v[208:209], v[210:211]
	v_fmac_f64_e32 v[208:209], v[210:211], v[206:207]
	v_div_scale_f64 v[204:205], s[10:11], v[208:209], v[208:209], 1.0
	v_rcp_f64_e32 v[210:211], v[204:205]
	s_nop 0
	v_fma_f64 v[212:213], -v[204:205], v[210:211], 1.0
	v_fmac_f64_e32 v[210:211], v[210:211], v[212:213]
	v_fma_f64 v[212:213], -v[204:205], v[210:211], 1.0
	v_fmac_f64_e32 v[210:211], v[210:211], v[212:213]
	v_div_scale_f64 v[212:213], vcc, 1.0, v[208:209], 1.0
	v_mul_f64 v[214:215], v[212:213], v[210:211]
	v_fma_f64 v[204:205], -v[204:205], v[214:215], v[212:213]
	s_nop 1
	v_div_fmas_f64 v[204:205], v[204:205], v[210:211], v[214:215]
	v_div_fixup_f64 v[204:205], v[204:205], v[208:209], 1.0
	v_mul_f64 v[206:207], v[206:207], -v[204:205]
.LBB119_367:
	s_or_b64 exec, exec, s[2:3]
	ds_write2_b64 v201, v[204:205], v[206:207] offset1:1
.LBB119_368:
	s_or_b64 exec, exec, s[4:5]
	s_waitcnt lgkmcnt(0)
	s_barrier
	ds_read2_b64 v[192:195], v201 offset1:1
	v_cmp_lt_u32_e32 vcc, 40, v200
	s_waitcnt lgkmcnt(0)
	scratch_store_dwordx4 off, v[192:195], off offset:1280 ; 16-byte Folded Spill
	s_and_saveexec_b64 s[2:3], vcc
	s_cbranch_execz .LBB119_370
; %bb.369:
	scratch_load_dwordx4 v[192:195], off, off offset:1280 ; 16-byte Folded Reload
	s_waitcnt vmcnt(0)
	v_mul_f64 v[204:205], v[194:195], v[74:75]
	v_fma_f64 v[208:209], v[192:193], v[72:73], -v[204:205]
	ds_read2_b64 v[204:207], v202 offset0:82 offset1:83
	v_mul_f64 v[74:75], v[192:193], v[74:75]
	v_fmac_f64_e32 v[74:75], v[194:195], v[72:73]
	s_waitcnt lgkmcnt(0)
	v_mul_f64 v[72:73], v[206:207], v[74:75]
	v_fma_f64 v[72:73], v[204:205], v[208:209], -v[72:73]
	v_mul_f64 v[204:205], v[204:205], v[74:75]
	v_fmac_f64_e32 v[204:205], v[206:207], v[208:209]
	v_add_f64 v[70:71], v[70:71], -v[204:205]
	ds_read2_b64 v[204:207], v202 offset0:84 offset1:85
	v_add_f64 v[68:69], v[68:69], -v[72:73]
	s_waitcnt lgkmcnt(0)
	v_mul_f64 v[72:73], v[206:207], v[74:75]
	v_fma_f64 v[72:73], v[204:205], v[208:209], -v[72:73]
	v_mul_f64 v[204:205], v[204:205], v[74:75]
	v_fmac_f64_e32 v[204:205], v[206:207], v[208:209]
	v_add_f64 v[66:67], v[66:67], -v[204:205]
	ds_read2_b64 v[204:207], v202 offset0:86 offset1:87
	v_add_f64 v[64:65], v[64:65], -v[72:73]
	;; [unrolled: 8-line block ×18, first 2 shown]
	s_waitcnt lgkmcnt(0)
	v_mul_f64 v[72:73], v[206:207], v[74:75]
	v_fma_f64 v[72:73], v[204:205], v[208:209], -v[72:73]
	v_mul_f64 v[204:205], v[204:205], v[74:75]
	v_fmac_f64_e32 v[204:205], v[206:207], v[208:209]
	v_add_f64 v[236:237], v[236:237], -v[72:73]
	v_add_f64 v[238:239], v[238:239], -v[204:205]
	v_mov_b64_e32 v[72:73], v[208:209]
.LBB119_370:
	s_or_b64 exec, exec, s[2:3]
	v_cmp_eq_u32_e32 vcc, 41, v200
	s_waitcnt vmcnt(63) expcnt(7) lgkmcnt(15)
	s_barrier
	s_and_saveexec_b64 s[4:5], vcc
	s_cbranch_execz .LBB119_377
; %bb.371:
	ds_write2_b64 v201, v[68:69], v[70:71] offset1:1
	ds_write2_b64 v202, v[64:65], v[66:67] offset0:84 offset1:85
	ds_write2_b64 v202, v[60:61], v[62:63] offset0:86 offset1:87
	;; [unrolled: 1-line block ×9, first 2 shown]
	s_waitcnt vmcnt(62)
	ds_write2_b64 v202, v[28:29], v[30:31] offset0:102 offset1:103
	ds_write2_b64 v202, v[24:25], v[26:27] offset0:104 offset1:105
	;; [unrolled: 1-line block ×7, first 2 shown]
	s_waitcnt vmcnt(61)
	ds_write2_b64 v202, v[0:1], v[2:3] offset0:116 offset1:117
	s_waitcnt vmcnt(58)
	ds_write2_b64 v202, v[236:237], v[238:239] offset0:118 offset1:119
	ds_read2_b64 v[208:211], v201 offset1:1
	s_waitcnt lgkmcnt(0)
	v_cmp_neq_f64_e32 vcc, 0, v[208:209]
	v_cmp_neq_f64_e64 s[2:3], 0, v[210:211]
	s_or_b64 s[2:3], vcc, s[2:3]
	s_and_b64 exec, exec, s[2:3]
	s_cbranch_execz .LBB119_377
; %bb.372:
	v_cmp_ngt_f64_e64 s[2:3], |v[208:209]|, |v[210:211]|
                                        ; implicit-def: $vgpr204_vgpr205
	s_and_saveexec_b64 s[10:11], s[2:3]
	s_xor_b64 s[2:3], exec, s[10:11]
                                        ; implicit-def: $vgpr206_vgpr207
	s_cbranch_execz .LBB119_374
; %bb.373:
	v_div_scale_f64 v[204:205], s[10:11], v[210:211], v[210:211], v[208:209]
	v_rcp_f64_e32 v[206:207], v[204:205]
	v_div_scale_f64 v[212:213], vcc, v[208:209], v[210:211], v[208:209]
	v_fma_f64 v[214:215], -v[204:205], v[206:207], 1.0
	v_fmac_f64_e32 v[206:207], v[206:207], v[214:215]
	v_fma_f64 v[214:215], -v[204:205], v[206:207], 1.0
	v_fmac_f64_e32 v[206:207], v[206:207], v[214:215]
	v_mul_f64 v[214:215], v[212:213], v[206:207]
	v_fma_f64 v[204:205], -v[204:205], v[214:215], v[212:213]
	v_div_fmas_f64 v[204:205], v[204:205], v[206:207], v[214:215]
	v_div_fixup_f64 v[204:205], v[204:205], v[210:211], v[208:209]
	v_fmac_f64_e32 v[210:211], v[208:209], v[204:205]
	v_div_scale_f64 v[206:207], s[10:11], v[210:211], v[210:211], 1.0
	v_rcp_f64_e32 v[208:209], v[206:207]
	s_nop 0
	v_fma_f64 v[212:213], -v[206:207], v[208:209], 1.0
	v_fmac_f64_e32 v[208:209], v[208:209], v[212:213]
	v_fma_f64 v[212:213], -v[206:207], v[208:209], 1.0
	v_fmac_f64_e32 v[208:209], v[208:209], v[212:213]
	v_div_scale_f64 v[212:213], vcc, 1.0, v[210:211], 1.0
	v_mul_f64 v[214:215], v[212:213], v[208:209]
	v_fma_f64 v[206:207], -v[206:207], v[214:215], v[212:213]
	s_nop 1
	v_div_fmas_f64 v[206:207], v[206:207], v[208:209], v[214:215]
	v_div_fixup_f64 v[206:207], v[206:207], v[210:211], 1.0
	v_mul_f64 v[204:205], v[204:205], v[206:207]
	v_xor_b32_e32 v207, 0x80000000, v207
                                        ; implicit-def: $vgpr208_vgpr209
.LBB119_374:
	s_andn2_saveexec_b64 s[2:3], s[2:3]
	s_cbranch_execz .LBB119_376
; %bb.375:
	v_div_scale_f64 v[204:205], s[10:11], v[208:209], v[208:209], v[210:211]
	v_rcp_f64_e32 v[206:207], v[204:205]
	v_div_scale_f64 v[212:213], vcc, v[210:211], v[208:209], v[210:211]
	v_fma_f64 v[214:215], -v[204:205], v[206:207], 1.0
	v_fmac_f64_e32 v[206:207], v[206:207], v[214:215]
	v_fma_f64 v[214:215], -v[204:205], v[206:207], 1.0
	v_fmac_f64_e32 v[206:207], v[206:207], v[214:215]
	v_mul_f64 v[214:215], v[212:213], v[206:207]
	v_fma_f64 v[204:205], -v[204:205], v[214:215], v[212:213]
	v_div_fmas_f64 v[204:205], v[204:205], v[206:207], v[214:215]
	v_div_fixup_f64 v[206:207], v[204:205], v[208:209], v[210:211]
	v_fmac_f64_e32 v[208:209], v[210:211], v[206:207]
	v_div_scale_f64 v[204:205], s[10:11], v[208:209], v[208:209], 1.0
	v_rcp_f64_e32 v[210:211], v[204:205]
	s_nop 0
	v_fma_f64 v[212:213], -v[204:205], v[210:211], 1.0
	v_fmac_f64_e32 v[210:211], v[210:211], v[212:213]
	v_fma_f64 v[212:213], -v[204:205], v[210:211], 1.0
	v_fmac_f64_e32 v[210:211], v[210:211], v[212:213]
	v_div_scale_f64 v[212:213], vcc, 1.0, v[208:209], 1.0
	v_mul_f64 v[214:215], v[212:213], v[210:211]
	v_fma_f64 v[204:205], -v[204:205], v[214:215], v[212:213]
	s_nop 1
	v_div_fmas_f64 v[204:205], v[204:205], v[210:211], v[214:215]
	v_div_fixup_f64 v[204:205], v[204:205], v[208:209], 1.0
	v_mul_f64 v[206:207], v[206:207], -v[204:205]
.LBB119_376:
	s_or_b64 exec, exec, s[2:3]
	ds_write2_b64 v201, v[204:205], v[206:207] offset1:1
.LBB119_377:
	s_or_b64 exec, exec, s[4:5]
	s_waitcnt lgkmcnt(0)
	s_barrier
	ds_read2_b64 v[192:195], v201 offset1:1
	v_cmp_lt_u32_e32 vcc, 41, v200
	s_waitcnt lgkmcnt(0)
	scratch_store_dwordx4 off, v[192:195], off offset:1296 ; 16-byte Folded Spill
	s_and_saveexec_b64 s[2:3], vcc
	s_cbranch_execz .LBB119_379
; %bb.378:
	scratch_load_dwordx4 v[192:195], off, off offset:1296 ; 16-byte Folded Reload
	s_waitcnt vmcnt(0)
	v_mul_f64 v[204:205], v[194:195], v[70:71]
	v_fma_f64 v[208:209], v[192:193], v[68:69], -v[204:205]
	ds_read2_b64 v[204:207], v202 offset0:84 offset1:85
	v_mul_f64 v[70:71], v[192:193], v[70:71]
	v_fmac_f64_e32 v[70:71], v[194:195], v[68:69]
	s_waitcnt lgkmcnt(0)
	v_mul_f64 v[68:69], v[206:207], v[70:71]
	v_fma_f64 v[68:69], v[204:205], v[208:209], -v[68:69]
	v_mul_f64 v[204:205], v[204:205], v[70:71]
	v_fmac_f64_e32 v[204:205], v[206:207], v[208:209]
	v_add_f64 v[66:67], v[66:67], -v[204:205]
	ds_read2_b64 v[204:207], v202 offset0:86 offset1:87
	v_add_f64 v[64:65], v[64:65], -v[68:69]
	s_waitcnt lgkmcnt(0)
	v_mul_f64 v[68:69], v[206:207], v[70:71]
	v_fma_f64 v[68:69], v[204:205], v[208:209], -v[68:69]
	v_mul_f64 v[204:205], v[204:205], v[70:71]
	v_fmac_f64_e32 v[204:205], v[206:207], v[208:209]
	v_add_f64 v[62:63], v[62:63], -v[204:205]
	ds_read2_b64 v[204:207], v202 offset0:88 offset1:89
	v_add_f64 v[60:61], v[60:61], -v[68:69]
	;; [unrolled: 8-line block ×17, first 2 shown]
	s_waitcnt lgkmcnt(0)
	v_mul_f64 v[68:69], v[206:207], v[70:71]
	v_fma_f64 v[68:69], v[204:205], v[208:209], -v[68:69]
	v_mul_f64 v[204:205], v[204:205], v[70:71]
	v_fmac_f64_e32 v[204:205], v[206:207], v[208:209]
	v_add_f64 v[236:237], v[236:237], -v[68:69]
	v_add_f64 v[238:239], v[238:239], -v[204:205]
	v_mov_b64_e32 v[68:69], v[208:209]
.LBB119_379:
	s_or_b64 exec, exec, s[2:3]
	v_cmp_eq_u32_e32 vcc, 42, v200
	s_waitcnt vmcnt(63) expcnt(7) lgkmcnt(15)
	s_barrier
	s_and_saveexec_b64 s[4:5], vcc
	s_cbranch_execz .LBB119_386
; %bb.380:
	ds_write2_b64 v201, v[64:65], v[66:67] offset1:1
	ds_write2_b64 v202, v[60:61], v[62:63] offset0:86 offset1:87
	ds_write2_b64 v202, v[56:57], v[58:59] offset0:88 offset1:89
	;; [unrolled: 1-line block ×15, first 2 shown]
	s_waitcnt vmcnt(62)
	ds_write2_b64 v202, v[0:1], v[2:3] offset0:116 offset1:117
	s_waitcnt vmcnt(59)
	ds_write2_b64 v202, v[236:237], v[238:239] offset0:118 offset1:119
	ds_read2_b64 v[208:211], v201 offset1:1
	s_waitcnt lgkmcnt(0)
	v_cmp_neq_f64_e32 vcc, 0, v[208:209]
	v_cmp_neq_f64_e64 s[2:3], 0, v[210:211]
	s_or_b64 s[2:3], vcc, s[2:3]
	s_and_b64 exec, exec, s[2:3]
	s_cbranch_execz .LBB119_386
; %bb.381:
	v_cmp_ngt_f64_e64 s[2:3], |v[208:209]|, |v[210:211]|
                                        ; implicit-def: $vgpr204_vgpr205
	s_and_saveexec_b64 s[10:11], s[2:3]
	s_xor_b64 s[2:3], exec, s[10:11]
                                        ; implicit-def: $vgpr206_vgpr207
	s_cbranch_execz .LBB119_383
; %bb.382:
	v_div_scale_f64 v[204:205], s[10:11], v[210:211], v[210:211], v[208:209]
	v_rcp_f64_e32 v[206:207], v[204:205]
	v_div_scale_f64 v[212:213], vcc, v[208:209], v[210:211], v[208:209]
	v_fma_f64 v[214:215], -v[204:205], v[206:207], 1.0
	v_fmac_f64_e32 v[206:207], v[206:207], v[214:215]
	v_fma_f64 v[214:215], -v[204:205], v[206:207], 1.0
	v_fmac_f64_e32 v[206:207], v[206:207], v[214:215]
	v_mul_f64 v[214:215], v[212:213], v[206:207]
	v_fma_f64 v[204:205], -v[204:205], v[214:215], v[212:213]
	v_div_fmas_f64 v[204:205], v[204:205], v[206:207], v[214:215]
	v_div_fixup_f64 v[204:205], v[204:205], v[210:211], v[208:209]
	v_fmac_f64_e32 v[210:211], v[208:209], v[204:205]
	v_div_scale_f64 v[206:207], s[10:11], v[210:211], v[210:211], 1.0
	v_rcp_f64_e32 v[208:209], v[206:207]
	s_nop 0
	v_fma_f64 v[212:213], -v[206:207], v[208:209], 1.0
	v_fmac_f64_e32 v[208:209], v[208:209], v[212:213]
	v_fma_f64 v[212:213], -v[206:207], v[208:209], 1.0
	v_fmac_f64_e32 v[208:209], v[208:209], v[212:213]
	v_div_scale_f64 v[212:213], vcc, 1.0, v[210:211], 1.0
	v_mul_f64 v[214:215], v[212:213], v[208:209]
	v_fma_f64 v[206:207], -v[206:207], v[214:215], v[212:213]
	s_nop 1
	v_div_fmas_f64 v[206:207], v[206:207], v[208:209], v[214:215]
	v_div_fixup_f64 v[206:207], v[206:207], v[210:211], 1.0
	v_mul_f64 v[204:205], v[204:205], v[206:207]
	v_xor_b32_e32 v207, 0x80000000, v207
                                        ; implicit-def: $vgpr208_vgpr209
.LBB119_383:
	s_andn2_saveexec_b64 s[2:3], s[2:3]
	s_cbranch_execz .LBB119_385
; %bb.384:
	v_div_scale_f64 v[204:205], s[10:11], v[208:209], v[208:209], v[210:211]
	v_rcp_f64_e32 v[206:207], v[204:205]
	v_div_scale_f64 v[212:213], vcc, v[210:211], v[208:209], v[210:211]
	v_fma_f64 v[214:215], -v[204:205], v[206:207], 1.0
	v_fmac_f64_e32 v[206:207], v[206:207], v[214:215]
	v_fma_f64 v[214:215], -v[204:205], v[206:207], 1.0
	v_fmac_f64_e32 v[206:207], v[206:207], v[214:215]
	v_mul_f64 v[214:215], v[212:213], v[206:207]
	v_fma_f64 v[204:205], -v[204:205], v[214:215], v[212:213]
	v_div_fmas_f64 v[204:205], v[204:205], v[206:207], v[214:215]
	v_div_fixup_f64 v[206:207], v[204:205], v[208:209], v[210:211]
	v_fmac_f64_e32 v[208:209], v[210:211], v[206:207]
	v_div_scale_f64 v[204:205], s[10:11], v[208:209], v[208:209], 1.0
	v_rcp_f64_e32 v[210:211], v[204:205]
	s_nop 0
	v_fma_f64 v[212:213], -v[204:205], v[210:211], 1.0
	v_fmac_f64_e32 v[210:211], v[210:211], v[212:213]
	v_fma_f64 v[212:213], -v[204:205], v[210:211], 1.0
	v_fmac_f64_e32 v[210:211], v[210:211], v[212:213]
	v_div_scale_f64 v[212:213], vcc, 1.0, v[208:209], 1.0
	v_mul_f64 v[214:215], v[212:213], v[210:211]
	v_fma_f64 v[204:205], -v[204:205], v[214:215], v[212:213]
	s_nop 1
	v_div_fmas_f64 v[204:205], v[204:205], v[210:211], v[214:215]
	v_div_fixup_f64 v[204:205], v[204:205], v[208:209], 1.0
	v_mul_f64 v[206:207], v[206:207], -v[204:205]
.LBB119_385:
	s_or_b64 exec, exec, s[2:3]
	ds_write2_b64 v201, v[204:205], v[206:207] offset1:1
.LBB119_386:
	s_or_b64 exec, exec, s[4:5]
	s_waitcnt lgkmcnt(0)
	s_barrier
	ds_read2_b64 v[192:195], v201 offset1:1
	v_cmp_lt_u32_e32 vcc, 42, v200
	s_waitcnt lgkmcnt(0)
	scratch_store_dwordx4 off, v[192:195], off offset:1312 ; 16-byte Folded Spill
	s_and_saveexec_b64 s[2:3], vcc
	s_cbranch_execz .LBB119_388
; %bb.387:
	scratch_load_dwordx4 v[192:195], off, off offset:1312 ; 16-byte Folded Reload
	s_waitcnt vmcnt(0)
	v_mul_f64 v[204:205], v[194:195], v[66:67]
	v_fma_f64 v[208:209], v[192:193], v[64:65], -v[204:205]
	ds_read2_b64 v[204:207], v202 offset0:86 offset1:87
	v_mul_f64 v[66:67], v[192:193], v[66:67]
	v_fmac_f64_e32 v[66:67], v[194:195], v[64:65]
	s_waitcnt lgkmcnt(0)
	v_mul_f64 v[64:65], v[206:207], v[66:67]
	v_fma_f64 v[64:65], v[204:205], v[208:209], -v[64:65]
	v_mul_f64 v[204:205], v[204:205], v[66:67]
	v_fmac_f64_e32 v[204:205], v[206:207], v[208:209]
	v_add_f64 v[62:63], v[62:63], -v[204:205]
	ds_read2_b64 v[204:207], v202 offset0:88 offset1:89
	v_add_f64 v[60:61], v[60:61], -v[64:65]
	s_waitcnt lgkmcnt(0)
	v_mul_f64 v[64:65], v[206:207], v[66:67]
	v_fma_f64 v[64:65], v[204:205], v[208:209], -v[64:65]
	v_mul_f64 v[204:205], v[204:205], v[66:67]
	v_fmac_f64_e32 v[204:205], v[206:207], v[208:209]
	v_add_f64 v[58:59], v[58:59], -v[204:205]
	ds_read2_b64 v[204:207], v202 offset0:90 offset1:91
	v_add_f64 v[56:57], v[56:57], -v[64:65]
	;; [unrolled: 8-line block ×16, first 2 shown]
	s_waitcnt lgkmcnt(0)
	v_mul_f64 v[64:65], v[206:207], v[66:67]
	v_fma_f64 v[64:65], v[204:205], v[208:209], -v[64:65]
	v_mul_f64 v[204:205], v[204:205], v[66:67]
	v_fmac_f64_e32 v[204:205], v[206:207], v[208:209]
	v_add_f64 v[236:237], v[236:237], -v[64:65]
	v_add_f64 v[238:239], v[238:239], -v[204:205]
	v_mov_b64_e32 v[64:65], v[208:209]
.LBB119_388:
	s_or_b64 exec, exec, s[2:3]
	v_cmp_eq_u32_e32 vcc, 43, v200
	s_waitcnt vmcnt(63) expcnt(7) lgkmcnt(15)
	s_barrier
	s_and_saveexec_b64 s[4:5], vcc
	s_cbranch_execz .LBB119_395
; %bb.389:
	ds_write2_b64 v201, v[60:61], v[62:63] offset1:1
	ds_write2_b64 v202, v[56:57], v[58:59] offset0:88 offset1:89
	ds_write2_b64 v202, v[52:53], v[54:55] offset0:90 offset1:91
	;; [unrolled: 1-line block ×15, first 2 shown]
	s_waitcnt vmcnt(60)
	ds_write2_b64 v202, v[236:237], v[238:239] offset0:118 offset1:119
	ds_read2_b64 v[208:211], v201 offset1:1
	s_waitcnt lgkmcnt(0)
	v_cmp_neq_f64_e32 vcc, 0, v[208:209]
	v_cmp_neq_f64_e64 s[2:3], 0, v[210:211]
	s_or_b64 s[2:3], vcc, s[2:3]
	s_and_b64 exec, exec, s[2:3]
	s_cbranch_execz .LBB119_395
; %bb.390:
	v_cmp_ngt_f64_e64 s[2:3], |v[208:209]|, |v[210:211]|
                                        ; implicit-def: $vgpr204_vgpr205
	s_and_saveexec_b64 s[10:11], s[2:3]
	s_xor_b64 s[2:3], exec, s[10:11]
                                        ; implicit-def: $vgpr206_vgpr207
	s_cbranch_execz .LBB119_392
; %bb.391:
	v_div_scale_f64 v[204:205], s[10:11], v[210:211], v[210:211], v[208:209]
	v_rcp_f64_e32 v[206:207], v[204:205]
	v_div_scale_f64 v[212:213], vcc, v[208:209], v[210:211], v[208:209]
	v_fma_f64 v[214:215], -v[204:205], v[206:207], 1.0
	v_fmac_f64_e32 v[206:207], v[206:207], v[214:215]
	v_fma_f64 v[214:215], -v[204:205], v[206:207], 1.0
	v_fmac_f64_e32 v[206:207], v[206:207], v[214:215]
	v_mul_f64 v[214:215], v[212:213], v[206:207]
	v_fma_f64 v[204:205], -v[204:205], v[214:215], v[212:213]
	v_div_fmas_f64 v[204:205], v[204:205], v[206:207], v[214:215]
	v_div_fixup_f64 v[204:205], v[204:205], v[210:211], v[208:209]
	v_fmac_f64_e32 v[210:211], v[208:209], v[204:205]
	v_div_scale_f64 v[206:207], s[10:11], v[210:211], v[210:211], 1.0
	v_rcp_f64_e32 v[208:209], v[206:207]
	s_nop 0
	v_fma_f64 v[212:213], -v[206:207], v[208:209], 1.0
	v_fmac_f64_e32 v[208:209], v[208:209], v[212:213]
	v_fma_f64 v[212:213], -v[206:207], v[208:209], 1.0
	v_fmac_f64_e32 v[208:209], v[208:209], v[212:213]
	v_div_scale_f64 v[212:213], vcc, 1.0, v[210:211], 1.0
	v_mul_f64 v[214:215], v[212:213], v[208:209]
	v_fma_f64 v[206:207], -v[206:207], v[214:215], v[212:213]
	s_nop 1
	v_div_fmas_f64 v[206:207], v[206:207], v[208:209], v[214:215]
	v_div_fixup_f64 v[206:207], v[206:207], v[210:211], 1.0
	v_mul_f64 v[204:205], v[204:205], v[206:207]
	v_xor_b32_e32 v207, 0x80000000, v207
                                        ; implicit-def: $vgpr208_vgpr209
.LBB119_392:
	s_andn2_saveexec_b64 s[2:3], s[2:3]
	s_cbranch_execz .LBB119_394
; %bb.393:
	v_div_scale_f64 v[204:205], s[10:11], v[208:209], v[208:209], v[210:211]
	v_rcp_f64_e32 v[206:207], v[204:205]
	v_div_scale_f64 v[212:213], vcc, v[210:211], v[208:209], v[210:211]
	v_fma_f64 v[214:215], -v[204:205], v[206:207], 1.0
	v_fmac_f64_e32 v[206:207], v[206:207], v[214:215]
	v_fma_f64 v[214:215], -v[204:205], v[206:207], 1.0
	v_fmac_f64_e32 v[206:207], v[206:207], v[214:215]
	v_mul_f64 v[214:215], v[212:213], v[206:207]
	v_fma_f64 v[204:205], -v[204:205], v[214:215], v[212:213]
	v_div_fmas_f64 v[204:205], v[204:205], v[206:207], v[214:215]
	v_div_fixup_f64 v[206:207], v[204:205], v[208:209], v[210:211]
	v_fmac_f64_e32 v[208:209], v[210:211], v[206:207]
	v_div_scale_f64 v[204:205], s[10:11], v[208:209], v[208:209], 1.0
	v_rcp_f64_e32 v[210:211], v[204:205]
	s_nop 0
	v_fma_f64 v[212:213], -v[204:205], v[210:211], 1.0
	v_fmac_f64_e32 v[210:211], v[210:211], v[212:213]
	v_fma_f64 v[212:213], -v[204:205], v[210:211], 1.0
	v_fmac_f64_e32 v[210:211], v[210:211], v[212:213]
	v_div_scale_f64 v[212:213], vcc, 1.0, v[208:209], 1.0
	v_mul_f64 v[214:215], v[212:213], v[210:211]
	v_fma_f64 v[204:205], -v[204:205], v[214:215], v[212:213]
	s_nop 1
	v_div_fmas_f64 v[204:205], v[204:205], v[210:211], v[214:215]
	v_div_fixup_f64 v[204:205], v[204:205], v[208:209], 1.0
	v_mul_f64 v[206:207], v[206:207], -v[204:205]
.LBB119_394:
	s_or_b64 exec, exec, s[2:3]
	ds_write2_b64 v201, v[204:205], v[206:207] offset1:1
.LBB119_395:
	s_or_b64 exec, exec, s[4:5]
	s_waitcnt lgkmcnt(0)
	s_barrier
	ds_read2_b64 v[192:195], v201 offset1:1
	v_cmp_lt_u32_e32 vcc, 43, v200
	s_waitcnt lgkmcnt(0)
	scratch_store_dwordx4 off, v[192:195], off offset:1328 ; 16-byte Folded Spill
	s_and_saveexec_b64 s[2:3], vcc
	s_cbranch_execz .LBB119_397
; %bb.396:
	scratch_load_dwordx4 v[192:195], off, off offset:1328 ; 16-byte Folded Reload
	ds_read2_b64 v[204:207], v202 offset0:88 offset1:89
	s_waitcnt vmcnt(0)
	v_mul_f64 v[208:209], v[192:193], v[62:63]
	v_fmac_f64_e32 v[208:209], v[194:195], v[60:61]
	v_mul_f64 v[62:63], v[194:195], v[62:63]
	v_fma_f64 v[60:61], v[192:193], v[60:61], -v[62:63]
	s_waitcnt lgkmcnt(0)
	v_mul_f64 v[62:63], v[206:207], v[208:209]
	v_fma_f64 v[62:63], v[204:205], v[60:61], -v[62:63]
	v_mul_f64 v[204:205], v[204:205], v[208:209]
	v_fmac_f64_e32 v[204:205], v[206:207], v[60:61]
	v_add_f64 v[58:59], v[58:59], -v[204:205]
	ds_read2_b64 v[204:207], v202 offset0:90 offset1:91
	v_add_f64 v[56:57], v[56:57], -v[62:63]
	s_waitcnt lgkmcnt(0)
	v_mul_f64 v[62:63], v[206:207], v[208:209]
	v_fma_f64 v[62:63], v[204:205], v[60:61], -v[62:63]
	v_mul_f64 v[204:205], v[204:205], v[208:209]
	v_fmac_f64_e32 v[204:205], v[206:207], v[60:61]
	v_add_f64 v[54:55], v[54:55], -v[204:205]
	ds_read2_b64 v[204:207], v202 offset0:92 offset1:93
	v_add_f64 v[52:53], v[52:53], -v[62:63]
	;; [unrolled: 8-line block ×15, first 2 shown]
	s_waitcnt lgkmcnt(0)
	v_mul_f64 v[62:63], v[206:207], v[208:209]
	v_fma_f64 v[62:63], v[204:205], v[60:61], -v[62:63]
	v_mul_f64 v[204:205], v[204:205], v[208:209]
	v_fmac_f64_e32 v[204:205], v[206:207], v[60:61]
	v_add_f64 v[236:237], v[236:237], -v[62:63]
	v_add_f64 v[238:239], v[238:239], -v[204:205]
	v_mov_b64_e32 v[62:63], v[208:209]
.LBB119_397:
	s_or_b64 exec, exec, s[2:3]
	v_cmp_eq_u32_e32 vcc, 44, v200
	s_waitcnt vmcnt(63) expcnt(7) lgkmcnt(15)
	s_barrier
	s_and_saveexec_b64 s[4:5], vcc
	s_cbranch_execz .LBB119_404
; %bb.398:
	ds_write2_b64 v201, v[56:57], v[58:59] offset1:1
	ds_write2_b64 v202, v[52:53], v[54:55] offset0:90 offset1:91
	ds_write2_b64 v202, v[48:49], v[50:51] offset0:92 offset1:93
	;; [unrolled: 1-line block ×14, first 2 shown]
	s_waitcnt vmcnt(61)
	ds_write2_b64 v202, v[236:237], v[238:239] offset0:118 offset1:119
	ds_read2_b64 v[208:211], v201 offset1:1
	s_waitcnt lgkmcnt(0)
	v_cmp_neq_f64_e32 vcc, 0, v[208:209]
	v_cmp_neq_f64_e64 s[2:3], 0, v[210:211]
	s_or_b64 s[2:3], vcc, s[2:3]
	s_and_b64 exec, exec, s[2:3]
	s_cbranch_execz .LBB119_404
; %bb.399:
	v_cmp_ngt_f64_e64 s[2:3], |v[208:209]|, |v[210:211]|
                                        ; implicit-def: $vgpr204_vgpr205
	s_and_saveexec_b64 s[10:11], s[2:3]
	s_xor_b64 s[2:3], exec, s[10:11]
                                        ; implicit-def: $vgpr206_vgpr207
	s_cbranch_execz .LBB119_401
; %bb.400:
	v_div_scale_f64 v[204:205], s[10:11], v[210:211], v[210:211], v[208:209]
	v_rcp_f64_e32 v[206:207], v[204:205]
	v_div_scale_f64 v[212:213], vcc, v[208:209], v[210:211], v[208:209]
	v_fma_f64 v[214:215], -v[204:205], v[206:207], 1.0
	v_fmac_f64_e32 v[206:207], v[206:207], v[214:215]
	v_fma_f64 v[214:215], -v[204:205], v[206:207], 1.0
	v_fmac_f64_e32 v[206:207], v[206:207], v[214:215]
	v_mul_f64 v[214:215], v[212:213], v[206:207]
	v_fma_f64 v[204:205], -v[204:205], v[214:215], v[212:213]
	v_div_fmas_f64 v[204:205], v[204:205], v[206:207], v[214:215]
	v_div_fixup_f64 v[204:205], v[204:205], v[210:211], v[208:209]
	v_fmac_f64_e32 v[210:211], v[208:209], v[204:205]
	v_div_scale_f64 v[206:207], s[10:11], v[210:211], v[210:211], 1.0
	v_rcp_f64_e32 v[208:209], v[206:207]
	s_nop 0
	v_fma_f64 v[212:213], -v[206:207], v[208:209], 1.0
	v_fmac_f64_e32 v[208:209], v[208:209], v[212:213]
	v_fma_f64 v[212:213], -v[206:207], v[208:209], 1.0
	v_fmac_f64_e32 v[208:209], v[208:209], v[212:213]
	v_div_scale_f64 v[212:213], vcc, 1.0, v[210:211], 1.0
	v_mul_f64 v[214:215], v[212:213], v[208:209]
	v_fma_f64 v[206:207], -v[206:207], v[214:215], v[212:213]
	s_nop 1
	v_div_fmas_f64 v[206:207], v[206:207], v[208:209], v[214:215]
	v_div_fixup_f64 v[206:207], v[206:207], v[210:211], 1.0
	v_mul_f64 v[204:205], v[204:205], v[206:207]
	v_xor_b32_e32 v207, 0x80000000, v207
                                        ; implicit-def: $vgpr208_vgpr209
.LBB119_401:
	s_andn2_saveexec_b64 s[2:3], s[2:3]
	s_cbranch_execz .LBB119_403
; %bb.402:
	v_div_scale_f64 v[204:205], s[10:11], v[208:209], v[208:209], v[210:211]
	v_rcp_f64_e32 v[206:207], v[204:205]
	v_div_scale_f64 v[212:213], vcc, v[210:211], v[208:209], v[210:211]
	v_fma_f64 v[214:215], -v[204:205], v[206:207], 1.0
	v_fmac_f64_e32 v[206:207], v[206:207], v[214:215]
	v_fma_f64 v[214:215], -v[204:205], v[206:207], 1.0
	v_fmac_f64_e32 v[206:207], v[206:207], v[214:215]
	v_mul_f64 v[214:215], v[212:213], v[206:207]
	v_fma_f64 v[204:205], -v[204:205], v[214:215], v[212:213]
	v_div_fmas_f64 v[204:205], v[204:205], v[206:207], v[214:215]
	v_div_fixup_f64 v[206:207], v[204:205], v[208:209], v[210:211]
	v_fmac_f64_e32 v[208:209], v[210:211], v[206:207]
	v_div_scale_f64 v[204:205], s[10:11], v[208:209], v[208:209], 1.0
	v_rcp_f64_e32 v[210:211], v[204:205]
	s_nop 0
	v_fma_f64 v[212:213], -v[204:205], v[210:211], 1.0
	v_fmac_f64_e32 v[210:211], v[210:211], v[212:213]
	v_fma_f64 v[212:213], -v[204:205], v[210:211], 1.0
	v_fmac_f64_e32 v[210:211], v[210:211], v[212:213]
	v_div_scale_f64 v[212:213], vcc, 1.0, v[208:209], 1.0
	v_mul_f64 v[214:215], v[212:213], v[210:211]
	v_fma_f64 v[204:205], -v[204:205], v[214:215], v[212:213]
	s_nop 1
	v_div_fmas_f64 v[204:205], v[204:205], v[210:211], v[214:215]
	v_div_fixup_f64 v[204:205], v[204:205], v[208:209], 1.0
	v_mul_f64 v[206:207], v[206:207], -v[204:205]
.LBB119_403:
	s_or_b64 exec, exec, s[2:3]
	ds_write2_b64 v201, v[204:205], v[206:207] offset1:1
.LBB119_404:
	s_or_b64 exec, exec, s[4:5]
	s_waitcnt lgkmcnt(0)
	s_barrier
	ds_read2_b64 v[192:195], v201 offset1:1
	v_cmp_lt_u32_e32 vcc, 44, v200
	s_waitcnt lgkmcnt(0)
	scratch_store_dwordx4 off, v[192:195], off offset:1344 ; 16-byte Folded Spill
	s_and_saveexec_b64 s[2:3], vcc
	s_cbranch_execz .LBB119_406
; %bb.405:
	scratch_load_dwordx4 v[192:195], off, off offset:1344 ; 16-byte Folded Reload
	ds_read2_b64 v[204:207], v202 offset0:90 offset1:91
	s_waitcnt vmcnt(0)
	v_mul_f64 v[208:209], v[192:193], v[58:59]
	v_fmac_f64_e32 v[208:209], v[194:195], v[56:57]
	v_mul_f64 v[58:59], v[194:195], v[58:59]
	v_fma_f64 v[56:57], v[192:193], v[56:57], -v[58:59]
	s_waitcnt lgkmcnt(0)
	v_mul_f64 v[58:59], v[206:207], v[208:209]
	v_fma_f64 v[58:59], v[204:205], v[56:57], -v[58:59]
	v_mul_f64 v[204:205], v[204:205], v[208:209]
	v_fmac_f64_e32 v[204:205], v[206:207], v[56:57]
	v_add_f64 v[54:55], v[54:55], -v[204:205]
	ds_read2_b64 v[204:207], v202 offset0:92 offset1:93
	v_add_f64 v[52:53], v[52:53], -v[58:59]
	s_waitcnt lgkmcnt(0)
	v_mul_f64 v[58:59], v[206:207], v[208:209]
	v_fma_f64 v[58:59], v[204:205], v[56:57], -v[58:59]
	v_mul_f64 v[204:205], v[204:205], v[208:209]
	v_fmac_f64_e32 v[204:205], v[206:207], v[56:57]
	v_add_f64 v[50:51], v[50:51], -v[204:205]
	ds_read2_b64 v[204:207], v202 offset0:94 offset1:95
	v_add_f64 v[48:49], v[48:49], -v[58:59]
	;; [unrolled: 8-line block ×14, first 2 shown]
	s_waitcnt lgkmcnt(0)
	v_mul_f64 v[58:59], v[206:207], v[208:209]
	v_fma_f64 v[58:59], v[204:205], v[56:57], -v[58:59]
	v_mul_f64 v[204:205], v[204:205], v[208:209]
	v_fmac_f64_e32 v[204:205], v[206:207], v[56:57]
	v_add_f64 v[236:237], v[236:237], -v[58:59]
	v_add_f64 v[238:239], v[238:239], -v[204:205]
	v_mov_b64_e32 v[58:59], v[208:209]
.LBB119_406:
	s_or_b64 exec, exec, s[2:3]
	v_cmp_eq_u32_e32 vcc, 45, v200
	s_waitcnt vmcnt(63) expcnt(7) lgkmcnt(15)
	s_barrier
	s_and_saveexec_b64 s[4:5], vcc
	s_cbranch_execz .LBB119_413
; %bb.407:
	ds_write2_b64 v201, v[52:53], v[54:55] offset1:1
	ds_write2_b64 v202, v[48:49], v[50:51] offset0:92 offset1:93
	ds_write2_b64 v202, v[44:45], v[46:47] offset0:94 offset1:95
	ds_write2_b64 v202, v[40:41], v[42:43] offset0:96 offset1:97
	ds_write2_b64 v202, v[36:37], v[38:39] offset0:98 offset1:99
	ds_write2_b64 v202, v[32:33], v[34:35] offset0:100 offset1:101
	ds_write2_b64 v202, v[28:29], v[30:31] offset0:102 offset1:103
	ds_write2_b64 v202, v[24:25], v[26:27] offset0:104 offset1:105
	ds_write2_b64 v202, v[20:21], v[22:23] offset0:106 offset1:107
	ds_write2_b64 v202, v[16:17], v[18:19] offset0:108 offset1:109
	ds_write2_b64 v202, v[12:13], v[14:15] offset0:110 offset1:111
	ds_write2_b64 v202, v[8:9], v[10:11] offset0:112 offset1:113
	ds_write2_b64 v202, v[4:5], v[6:7] offset0:114 offset1:115
	ds_write2_b64 v202, v[0:1], v[2:3] offset0:116 offset1:117
	s_waitcnt vmcnt(62)
	ds_write2_b64 v202, v[236:237], v[238:239] offset0:118 offset1:119
	ds_read2_b64 v[208:211], v201 offset1:1
	s_waitcnt lgkmcnt(0)
	v_cmp_neq_f64_e32 vcc, 0, v[208:209]
	v_cmp_neq_f64_e64 s[2:3], 0, v[210:211]
	s_or_b64 s[2:3], vcc, s[2:3]
	s_and_b64 exec, exec, s[2:3]
	s_cbranch_execz .LBB119_413
; %bb.408:
	v_cmp_ngt_f64_e64 s[2:3], |v[208:209]|, |v[210:211]|
                                        ; implicit-def: $vgpr204_vgpr205
	s_and_saveexec_b64 s[10:11], s[2:3]
	s_xor_b64 s[2:3], exec, s[10:11]
                                        ; implicit-def: $vgpr206_vgpr207
	s_cbranch_execz .LBB119_410
; %bb.409:
	v_div_scale_f64 v[204:205], s[10:11], v[210:211], v[210:211], v[208:209]
	v_rcp_f64_e32 v[206:207], v[204:205]
	v_div_scale_f64 v[212:213], vcc, v[208:209], v[210:211], v[208:209]
	v_fma_f64 v[214:215], -v[204:205], v[206:207], 1.0
	v_fmac_f64_e32 v[206:207], v[206:207], v[214:215]
	v_fma_f64 v[214:215], -v[204:205], v[206:207], 1.0
	v_fmac_f64_e32 v[206:207], v[206:207], v[214:215]
	v_mul_f64 v[214:215], v[212:213], v[206:207]
	v_fma_f64 v[204:205], -v[204:205], v[214:215], v[212:213]
	v_div_fmas_f64 v[204:205], v[204:205], v[206:207], v[214:215]
	v_div_fixup_f64 v[204:205], v[204:205], v[210:211], v[208:209]
	v_fmac_f64_e32 v[210:211], v[208:209], v[204:205]
	v_div_scale_f64 v[206:207], s[10:11], v[210:211], v[210:211], 1.0
	v_rcp_f64_e32 v[208:209], v[206:207]
	s_nop 0
	v_fma_f64 v[212:213], -v[206:207], v[208:209], 1.0
	v_fmac_f64_e32 v[208:209], v[208:209], v[212:213]
	v_fma_f64 v[212:213], -v[206:207], v[208:209], 1.0
	v_fmac_f64_e32 v[208:209], v[208:209], v[212:213]
	v_div_scale_f64 v[212:213], vcc, 1.0, v[210:211], 1.0
	v_mul_f64 v[214:215], v[212:213], v[208:209]
	v_fma_f64 v[206:207], -v[206:207], v[214:215], v[212:213]
	s_nop 1
	v_div_fmas_f64 v[206:207], v[206:207], v[208:209], v[214:215]
	v_div_fixup_f64 v[206:207], v[206:207], v[210:211], 1.0
	v_mul_f64 v[204:205], v[204:205], v[206:207]
	v_xor_b32_e32 v207, 0x80000000, v207
                                        ; implicit-def: $vgpr208_vgpr209
.LBB119_410:
	s_andn2_saveexec_b64 s[2:3], s[2:3]
	s_cbranch_execz .LBB119_412
; %bb.411:
	v_div_scale_f64 v[204:205], s[10:11], v[208:209], v[208:209], v[210:211]
	v_rcp_f64_e32 v[206:207], v[204:205]
	v_div_scale_f64 v[212:213], vcc, v[210:211], v[208:209], v[210:211]
	v_fma_f64 v[214:215], -v[204:205], v[206:207], 1.0
	v_fmac_f64_e32 v[206:207], v[206:207], v[214:215]
	v_fma_f64 v[214:215], -v[204:205], v[206:207], 1.0
	v_fmac_f64_e32 v[206:207], v[206:207], v[214:215]
	v_mul_f64 v[214:215], v[212:213], v[206:207]
	v_fma_f64 v[204:205], -v[204:205], v[214:215], v[212:213]
	v_div_fmas_f64 v[204:205], v[204:205], v[206:207], v[214:215]
	v_div_fixup_f64 v[206:207], v[204:205], v[208:209], v[210:211]
	v_fmac_f64_e32 v[208:209], v[210:211], v[206:207]
	v_div_scale_f64 v[204:205], s[10:11], v[208:209], v[208:209], 1.0
	v_rcp_f64_e32 v[210:211], v[204:205]
	s_nop 0
	v_fma_f64 v[212:213], -v[204:205], v[210:211], 1.0
	v_fmac_f64_e32 v[210:211], v[210:211], v[212:213]
	v_fma_f64 v[212:213], -v[204:205], v[210:211], 1.0
	v_fmac_f64_e32 v[210:211], v[210:211], v[212:213]
	v_div_scale_f64 v[212:213], vcc, 1.0, v[208:209], 1.0
	v_mul_f64 v[214:215], v[212:213], v[210:211]
	v_fma_f64 v[204:205], -v[204:205], v[214:215], v[212:213]
	s_nop 1
	v_div_fmas_f64 v[204:205], v[204:205], v[210:211], v[214:215]
	v_div_fixup_f64 v[204:205], v[204:205], v[208:209], 1.0
	v_mul_f64 v[206:207], v[206:207], -v[204:205]
.LBB119_412:
	s_or_b64 exec, exec, s[2:3]
	ds_write2_b64 v201, v[204:205], v[206:207] offset1:1
.LBB119_413:
	s_or_b64 exec, exec, s[4:5]
	s_waitcnt lgkmcnt(0)
	s_barrier
	ds_read2_b64 v[192:195], v201 offset1:1
	v_cmp_lt_u32_e32 vcc, 45, v200
	s_waitcnt lgkmcnt(0)
	scratch_store_dwordx4 off, v[192:195], off offset:1360 ; 16-byte Folded Spill
	s_and_saveexec_b64 s[2:3], vcc
	s_cbranch_execz .LBB119_415
; %bb.414:
	scratch_load_dwordx4 v[192:195], off, off offset:1360 ; 16-byte Folded Reload
	ds_read2_b64 v[204:207], v202 offset0:92 offset1:93
	s_waitcnt vmcnt(0)
	v_mul_f64 v[208:209], v[192:193], v[54:55]
	v_fmac_f64_e32 v[208:209], v[194:195], v[52:53]
	v_mul_f64 v[54:55], v[194:195], v[54:55]
	v_fma_f64 v[52:53], v[192:193], v[52:53], -v[54:55]
	s_waitcnt lgkmcnt(0)
	v_mul_f64 v[54:55], v[206:207], v[208:209]
	v_fma_f64 v[54:55], v[204:205], v[52:53], -v[54:55]
	v_mul_f64 v[204:205], v[204:205], v[208:209]
	v_fmac_f64_e32 v[204:205], v[206:207], v[52:53]
	v_add_f64 v[50:51], v[50:51], -v[204:205]
	ds_read2_b64 v[204:207], v202 offset0:94 offset1:95
	v_add_f64 v[48:49], v[48:49], -v[54:55]
	s_waitcnt lgkmcnt(0)
	v_mul_f64 v[54:55], v[206:207], v[208:209]
	v_fma_f64 v[54:55], v[204:205], v[52:53], -v[54:55]
	v_mul_f64 v[204:205], v[204:205], v[208:209]
	v_fmac_f64_e32 v[204:205], v[206:207], v[52:53]
	v_add_f64 v[46:47], v[46:47], -v[204:205]
	ds_read2_b64 v[204:207], v202 offset0:96 offset1:97
	v_add_f64 v[44:45], v[44:45], -v[54:55]
	;; [unrolled: 8-line block ×13, first 2 shown]
	s_waitcnt lgkmcnt(0)
	v_mul_f64 v[54:55], v[206:207], v[208:209]
	v_fma_f64 v[54:55], v[204:205], v[52:53], -v[54:55]
	v_mul_f64 v[204:205], v[204:205], v[208:209]
	v_fmac_f64_e32 v[204:205], v[206:207], v[52:53]
	v_add_f64 v[236:237], v[236:237], -v[54:55]
	v_add_f64 v[238:239], v[238:239], -v[204:205]
	v_mov_b64_e32 v[54:55], v[208:209]
.LBB119_415:
	s_or_b64 exec, exec, s[2:3]
	v_cmp_eq_u32_e32 vcc, 46, v200
	s_waitcnt vmcnt(63) expcnt(7) lgkmcnt(15)
	s_barrier
	s_and_saveexec_b64 s[4:5], vcc
	s_cbranch_execz .LBB119_422
; %bb.416:
	ds_write2_b64 v201, v[48:49], v[50:51] offset1:1
	ds_write2_b64 v202, v[44:45], v[46:47] offset0:94 offset1:95
	ds_write2_b64 v202, v[40:41], v[42:43] offset0:96 offset1:97
	;; [unrolled: 1-line block ×13, first 2 shown]
	ds_read2_b64 v[208:211], v201 offset1:1
	s_waitcnt lgkmcnt(0)
	v_cmp_neq_f64_e32 vcc, 0, v[208:209]
	v_cmp_neq_f64_e64 s[2:3], 0, v[210:211]
	s_or_b64 s[2:3], vcc, s[2:3]
	s_and_b64 exec, exec, s[2:3]
	s_cbranch_execz .LBB119_422
; %bb.417:
	v_cmp_ngt_f64_e64 s[2:3], |v[208:209]|, |v[210:211]|
                                        ; implicit-def: $vgpr204_vgpr205
	s_and_saveexec_b64 s[10:11], s[2:3]
	s_xor_b64 s[2:3], exec, s[10:11]
                                        ; implicit-def: $vgpr206_vgpr207
	s_cbranch_execz .LBB119_419
; %bb.418:
	v_div_scale_f64 v[204:205], s[10:11], v[210:211], v[210:211], v[208:209]
	v_rcp_f64_e32 v[206:207], v[204:205]
	v_div_scale_f64 v[212:213], vcc, v[208:209], v[210:211], v[208:209]
	v_fma_f64 v[214:215], -v[204:205], v[206:207], 1.0
	v_fmac_f64_e32 v[206:207], v[206:207], v[214:215]
	v_fma_f64 v[214:215], -v[204:205], v[206:207], 1.0
	v_fmac_f64_e32 v[206:207], v[206:207], v[214:215]
	v_mul_f64 v[214:215], v[212:213], v[206:207]
	v_fma_f64 v[204:205], -v[204:205], v[214:215], v[212:213]
	v_div_fmas_f64 v[204:205], v[204:205], v[206:207], v[214:215]
	v_div_fixup_f64 v[204:205], v[204:205], v[210:211], v[208:209]
	v_fmac_f64_e32 v[210:211], v[208:209], v[204:205]
	v_div_scale_f64 v[206:207], s[10:11], v[210:211], v[210:211], 1.0
	v_rcp_f64_e32 v[208:209], v[206:207]
	s_nop 0
	v_fma_f64 v[212:213], -v[206:207], v[208:209], 1.0
	v_fmac_f64_e32 v[208:209], v[208:209], v[212:213]
	v_fma_f64 v[212:213], -v[206:207], v[208:209], 1.0
	v_fmac_f64_e32 v[208:209], v[208:209], v[212:213]
	v_div_scale_f64 v[212:213], vcc, 1.0, v[210:211], 1.0
	v_mul_f64 v[214:215], v[212:213], v[208:209]
	v_fma_f64 v[206:207], -v[206:207], v[214:215], v[212:213]
	s_nop 1
	v_div_fmas_f64 v[206:207], v[206:207], v[208:209], v[214:215]
	v_div_fixup_f64 v[206:207], v[206:207], v[210:211], 1.0
	v_mul_f64 v[204:205], v[204:205], v[206:207]
	v_xor_b32_e32 v207, 0x80000000, v207
                                        ; implicit-def: $vgpr208_vgpr209
.LBB119_419:
	s_andn2_saveexec_b64 s[2:3], s[2:3]
	s_cbranch_execz .LBB119_421
; %bb.420:
	v_div_scale_f64 v[204:205], s[10:11], v[208:209], v[208:209], v[210:211]
	v_rcp_f64_e32 v[206:207], v[204:205]
	v_div_scale_f64 v[212:213], vcc, v[210:211], v[208:209], v[210:211]
	v_fma_f64 v[214:215], -v[204:205], v[206:207], 1.0
	v_fmac_f64_e32 v[206:207], v[206:207], v[214:215]
	v_fma_f64 v[214:215], -v[204:205], v[206:207], 1.0
	v_fmac_f64_e32 v[206:207], v[206:207], v[214:215]
	v_mul_f64 v[214:215], v[212:213], v[206:207]
	v_fma_f64 v[204:205], -v[204:205], v[214:215], v[212:213]
	v_div_fmas_f64 v[204:205], v[204:205], v[206:207], v[214:215]
	v_div_fixup_f64 v[206:207], v[204:205], v[208:209], v[210:211]
	v_fmac_f64_e32 v[208:209], v[210:211], v[206:207]
	v_div_scale_f64 v[204:205], s[10:11], v[208:209], v[208:209], 1.0
	v_rcp_f64_e32 v[210:211], v[204:205]
	s_nop 0
	v_fma_f64 v[212:213], -v[204:205], v[210:211], 1.0
	v_fmac_f64_e32 v[210:211], v[210:211], v[212:213]
	v_fma_f64 v[212:213], -v[204:205], v[210:211], 1.0
	v_fmac_f64_e32 v[210:211], v[210:211], v[212:213]
	v_div_scale_f64 v[212:213], vcc, 1.0, v[208:209], 1.0
	v_mul_f64 v[214:215], v[212:213], v[210:211]
	v_fma_f64 v[204:205], -v[204:205], v[214:215], v[212:213]
	s_nop 1
	v_div_fmas_f64 v[204:205], v[204:205], v[210:211], v[214:215]
	v_div_fixup_f64 v[204:205], v[204:205], v[208:209], 1.0
	v_mul_f64 v[206:207], v[206:207], -v[204:205]
.LBB119_421:
	s_or_b64 exec, exec, s[2:3]
	ds_write2_b64 v201, v[204:205], v[206:207] offset1:1
.LBB119_422:
	s_or_b64 exec, exec, s[4:5]
	s_waitcnt lgkmcnt(0)
	s_barrier
	ds_read2_b64 v[192:195], v201 offset1:1
	v_cmp_lt_u32_e32 vcc, 46, v200
	s_waitcnt lgkmcnt(0)
	scratch_store_dwordx4 off, v[192:195], off offset:1376 ; 16-byte Folded Spill
	s_and_saveexec_b64 s[2:3], vcc
	s_cbranch_execz .LBB119_424
; %bb.423:
	scratch_load_dwordx4 v[192:195], off, off offset:1376 ; 16-byte Folded Reload
	ds_read2_b64 v[204:207], v202 offset0:94 offset1:95
	s_waitcnt vmcnt(0)
	v_mul_f64 v[208:209], v[192:193], v[50:51]
	v_fmac_f64_e32 v[208:209], v[194:195], v[48:49]
	v_mul_f64 v[50:51], v[194:195], v[50:51]
	v_fma_f64 v[48:49], v[192:193], v[48:49], -v[50:51]
	s_waitcnt lgkmcnt(0)
	v_mul_f64 v[50:51], v[206:207], v[208:209]
	v_fma_f64 v[50:51], v[204:205], v[48:49], -v[50:51]
	v_mul_f64 v[204:205], v[204:205], v[208:209]
	v_fmac_f64_e32 v[204:205], v[206:207], v[48:49]
	v_add_f64 v[46:47], v[46:47], -v[204:205]
	ds_read2_b64 v[204:207], v202 offset0:96 offset1:97
	v_add_f64 v[44:45], v[44:45], -v[50:51]
	s_waitcnt lgkmcnt(0)
	v_mul_f64 v[50:51], v[206:207], v[208:209]
	v_fma_f64 v[50:51], v[204:205], v[48:49], -v[50:51]
	v_mul_f64 v[204:205], v[204:205], v[208:209]
	v_fmac_f64_e32 v[204:205], v[206:207], v[48:49]
	v_add_f64 v[42:43], v[42:43], -v[204:205]
	ds_read2_b64 v[204:207], v202 offset0:98 offset1:99
	v_add_f64 v[40:41], v[40:41], -v[50:51]
	;; [unrolled: 8-line block ×12, first 2 shown]
	s_waitcnt lgkmcnt(0)
	v_mul_f64 v[50:51], v[206:207], v[208:209]
	v_fma_f64 v[50:51], v[204:205], v[48:49], -v[50:51]
	v_mul_f64 v[204:205], v[204:205], v[208:209]
	v_fmac_f64_e32 v[204:205], v[206:207], v[48:49]
	v_add_f64 v[236:237], v[236:237], -v[50:51]
	v_add_f64 v[238:239], v[238:239], -v[204:205]
	v_mov_b64_e32 v[50:51], v[208:209]
.LBB119_424:
	s_or_b64 exec, exec, s[2:3]
	v_cmp_eq_u32_e32 vcc, 47, v200
	s_waitcnt vmcnt(63) expcnt(7) lgkmcnt(15)
	s_barrier
	s_and_saveexec_b64 s[4:5], vcc
	s_cbranch_execz .LBB119_431
; %bb.425:
	ds_write2_b64 v201, v[44:45], v[46:47] offset1:1
	ds_write2_b64 v202, v[40:41], v[42:43] offset0:96 offset1:97
	ds_write2_b64 v202, v[36:37], v[38:39] offset0:98 offset1:99
	;; [unrolled: 1-line block ×12, first 2 shown]
	ds_read2_b64 v[208:211], v201 offset1:1
	s_waitcnt lgkmcnt(0)
	v_cmp_neq_f64_e32 vcc, 0, v[208:209]
	v_cmp_neq_f64_e64 s[2:3], 0, v[210:211]
	s_or_b64 s[2:3], vcc, s[2:3]
	s_and_b64 exec, exec, s[2:3]
	s_cbranch_execz .LBB119_431
; %bb.426:
	v_cmp_ngt_f64_e64 s[2:3], |v[208:209]|, |v[210:211]|
                                        ; implicit-def: $vgpr204_vgpr205
	s_and_saveexec_b64 s[10:11], s[2:3]
	s_xor_b64 s[2:3], exec, s[10:11]
                                        ; implicit-def: $vgpr206_vgpr207
	s_cbranch_execz .LBB119_428
; %bb.427:
	v_div_scale_f64 v[204:205], s[10:11], v[210:211], v[210:211], v[208:209]
	v_rcp_f64_e32 v[206:207], v[204:205]
	v_div_scale_f64 v[212:213], vcc, v[208:209], v[210:211], v[208:209]
	v_fma_f64 v[214:215], -v[204:205], v[206:207], 1.0
	v_fmac_f64_e32 v[206:207], v[206:207], v[214:215]
	v_fma_f64 v[214:215], -v[204:205], v[206:207], 1.0
	v_fmac_f64_e32 v[206:207], v[206:207], v[214:215]
	v_mul_f64 v[214:215], v[212:213], v[206:207]
	v_fma_f64 v[204:205], -v[204:205], v[214:215], v[212:213]
	v_div_fmas_f64 v[204:205], v[204:205], v[206:207], v[214:215]
	v_div_fixup_f64 v[204:205], v[204:205], v[210:211], v[208:209]
	v_fmac_f64_e32 v[210:211], v[208:209], v[204:205]
	v_div_scale_f64 v[206:207], s[10:11], v[210:211], v[210:211], 1.0
	v_rcp_f64_e32 v[208:209], v[206:207]
	s_nop 0
	v_fma_f64 v[212:213], -v[206:207], v[208:209], 1.0
	v_fmac_f64_e32 v[208:209], v[208:209], v[212:213]
	v_fma_f64 v[212:213], -v[206:207], v[208:209], 1.0
	v_fmac_f64_e32 v[208:209], v[208:209], v[212:213]
	v_div_scale_f64 v[212:213], vcc, 1.0, v[210:211], 1.0
	v_mul_f64 v[214:215], v[212:213], v[208:209]
	v_fma_f64 v[206:207], -v[206:207], v[214:215], v[212:213]
	s_nop 1
	v_div_fmas_f64 v[206:207], v[206:207], v[208:209], v[214:215]
	v_div_fixup_f64 v[206:207], v[206:207], v[210:211], 1.0
	v_mul_f64 v[204:205], v[204:205], v[206:207]
	v_xor_b32_e32 v207, 0x80000000, v207
                                        ; implicit-def: $vgpr208_vgpr209
.LBB119_428:
	s_andn2_saveexec_b64 s[2:3], s[2:3]
	s_cbranch_execz .LBB119_430
; %bb.429:
	v_div_scale_f64 v[204:205], s[10:11], v[208:209], v[208:209], v[210:211]
	v_rcp_f64_e32 v[206:207], v[204:205]
	v_div_scale_f64 v[212:213], vcc, v[210:211], v[208:209], v[210:211]
	v_fma_f64 v[214:215], -v[204:205], v[206:207], 1.0
	v_fmac_f64_e32 v[206:207], v[206:207], v[214:215]
	v_fma_f64 v[214:215], -v[204:205], v[206:207], 1.0
	v_fmac_f64_e32 v[206:207], v[206:207], v[214:215]
	v_mul_f64 v[214:215], v[212:213], v[206:207]
	v_fma_f64 v[204:205], -v[204:205], v[214:215], v[212:213]
	v_div_fmas_f64 v[204:205], v[204:205], v[206:207], v[214:215]
	v_div_fixup_f64 v[206:207], v[204:205], v[208:209], v[210:211]
	v_fmac_f64_e32 v[208:209], v[210:211], v[206:207]
	v_div_scale_f64 v[204:205], s[10:11], v[208:209], v[208:209], 1.0
	v_rcp_f64_e32 v[210:211], v[204:205]
	s_nop 0
	v_fma_f64 v[212:213], -v[204:205], v[210:211], 1.0
	v_fmac_f64_e32 v[210:211], v[210:211], v[212:213]
	v_fma_f64 v[212:213], -v[204:205], v[210:211], 1.0
	v_fmac_f64_e32 v[210:211], v[210:211], v[212:213]
	v_div_scale_f64 v[212:213], vcc, 1.0, v[208:209], 1.0
	v_mul_f64 v[214:215], v[212:213], v[210:211]
	v_fma_f64 v[204:205], -v[204:205], v[214:215], v[212:213]
	s_nop 1
	v_div_fmas_f64 v[204:205], v[204:205], v[210:211], v[214:215]
	v_div_fixup_f64 v[204:205], v[204:205], v[208:209], 1.0
	v_mul_f64 v[206:207], v[206:207], -v[204:205]
.LBB119_430:
	s_or_b64 exec, exec, s[2:3]
	ds_write2_b64 v201, v[204:205], v[206:207] offset1:1
.LBB119_431:
	s_or_b64 exec, exec, s[4:5]
	s_waitcnt lgkmcnt(0)
	s_barrier
	ds_read2_b64 v[192:195], v201 offset1:1
	v_cmp_lt_u32_e32 vcc, 47, v200
	s_waitcnt lgkmcnt(0)
	scratch_store_dwordx4 off, v[192:195], off offset:1392 ; 16-byte Folded Spill
	s_and_saveexec_b64 s[2:3], vcc
	s_cbranch_execz .LBB119_433
; %bb.432:
	scratch_load_dwordx4 v[192:195], off, off offset:1392 ; 16-byte Folded Reload
	ds_read2_b64 v[204:207], v202 offset0:96 offset1:97
	s_waitcnt vmcnt(0)
	v_mul_f64 v[208:209], v[192:193], v[46:47]
	v_fmac_f64_e32 v[208:209], v[194:195], v[44:45]
	v_mul_f64 v[46:47], v[194:195], v[46:47]
	v_fma_f64 v[44:45], v[192:193], v[44:45], -v[46:47]
	s_waitcnt lgkmcnt(0)
	v_mul_f64 v[46:47], v[206:207], v[208:209]
	v_fma_f64 v[46:47], v[204:205], v[44:45], -v[46:47]
	v_mul_f64 v[204:205], v[204:205], v[208:209]
	v_fmac_f64_e32 v[204:205], v[206:207], v[44:45]
	v_add_f64 v[42:43], v[42:43], -v[204:205]
	ds_read2_b64 v[204:207], v202 offset0:98 offset1:99
	v_add_f64 v[40:41], v[40:41], -v[46:47]
	s_waitcnt lgkmcnt(0)
	v_mul_f64 v[46:47], v[206:207], v[208:209]
	v_fma_f64 v[46:47], v[204:205], v[44:45], -v[46:47]
	v_mul_f64 v[204:205], v[204:205], v[208:209]
	v_fmac_f64_e32 v[204:205], v[206:207], v[44:45]
	v_add_f64 v[38:39], v[38:39], -v[204:205]
	ds_read2_b64 v[204:207], v202 offset0:100 offset1:101
	v_add_f64 v[36:37], v[36:37], -v[46:47]
	;; [unrolled: 8-line block ×11, first 2 shown]
	s_waitcnt lgkmcnt(0)
	v_mul_f64 v[46:47], v[206:207], v[208:209]
	v_fma_f64 v[46:47], v[204:205], v[44:45], -v[46:47]
	v_mul_f64 v[204:205], v[204:205], v[208:209]
	v_fmac_f64_e32 v[204:205], v[206:207], v[44:45]
	v_add_f64 v[236:237], v[236:237], -v[46:47]
	v_add_f64 v[238:239], v[238:239], -v[204:205]
	v_mov_b64_e32 v[46:47], v[208:209]
.LBB119_433:
	s_or_b64 exec, exec, s[2:3]
	v_cmp_eq_u32_e32 vcc, 48, v200
	s_waitcnt vmcnt(63) expcnt(7) lgkmcnt(15)
	s_barrier
	s_and_saveexec_b64 s[4:5], vcc
	s_cbranch_execz .LBB119_440
; %bb.434:
	ds_write2_b64 v201, v[40:41], v[42:43] offset1:1
	ds_write2_b64 v202, v[36:37], v[38:39] offset0:98 offset1:99
	ds_write2_b64 v202, v[32:33], v[34:35] offset0:100 offset1:101
	;; [unrolled: 1-line block ×11, first 2 shown]
	ds_read2_b64 v[208:211], v201 offset1:1
	s_waitcnt lgkmcnt(0)
	v_cmp_neq_f64_e32 vcc, 0, v[208:209]
	v_cmp_neq_f64_e64 s[2:3], 0, v[210:211]
	s_or_b64 s[2:3], vcc, s[2:3]
	s_and_b64 exec, exec, s[2:3]
	s_cbranch_execz .LBB119_440
; %bb.435:
	v_cmp_ngt_f64_e64 s[2:3], |v[208:209]|, |v[210:211]|
                                        ; implicit-def: $vgpr204_vgpr205
	s_and_saveexec_b64 s[10:11], s[2:3]
	s_xor_b64 s[2:3], exec, s[10:11]
                                        ; implicit-def: $vgpr206_vgpr207
	s_cbranch_execz .LBB119_437
; %bb.436:
	v_div_scale_f64 v[204:205], s[10:11], v[210:211], v[210:211], v[208:209]
	v_rcp_f64_e32 v[206:207], v[204:205]
	v_div_scale_f64 v[212:213], vcc, v[208:209], v[210:211], v[208:209]
	v_fma_f64 v[214:215], -v[204:205], v[206:207], 1.0
	v_fmac_f64_e32 v[206:207], v[206:207], v[214:215]
	v_fma_f64 v[214:215], -v[204:205], v[206:207], 1.0
	v_fmac_f64_e32 v[206:207], v[206:207], v[214:215]
	v_mul_f64 v[214:215], v[212:213], v[206:207]
	v_fma_f64 v[204:205], -v[204:205], v[214:215], v[212:213]
	v_div_fmas_f64 v[204:205], v[204:205], v[206:207], v[214:215]
	v_div_fixup_f64 v[204:205], v[204:205], v[210:211], v[208:209]
	v_fmac_f64_e32 v[210:211], v[208:209], v[204:205]
	v_div_scale_f64 v[206:207], s[10:11], v[210:211], v[210:211], 1.0
	v_rcp_f64_e32 v[208:209], v[206:207]
	s_nop 0
	v_fma_f64 v[212:213], -v[206:207], v[208:209], 1.0
	v_fmac_f64_e32 v[208:209], v[208:209], v[212:213]
	v_fma_f64 v[212:213], -v[206:207], v[208:209], 1.0
	v_fmac_f64_e32 v[208:209], v[208:209], v[212:213]
	v_div_scale_f64 v[212:213], vcc, 1.0, v[210:211], 1.0
	v_mul_f64 v[214:215], v[212:213], v[208:209]
	v_fma_f64 v[206:207], -v[206:207], v[214:215], v[212:213]
	s_nop 1
	v_div_fmas_f64 v[206:207], v[206:207], v[208:209], v[214:215]
	v_div_fixup_f64 v[206:207], v[206:207], v[210:211], 1.0
	v_mul_f64 v[204:205], v[204:205], v[206:207]
	v_xor_b32_e32 v207, 0x80000000, v207
                                        ; implicit-def: $vgpr208_vgpr209
.LBB119_437:
	s_andn2_saveexec_b64 s[2:3], s[2:3]
	s_cbranch_execz .LBB119_439
; %bb.438:
	v_div_scale_f64 v[204:205], s[10:11], v[208:209], v[208:209], v[210:211]
	v_rcp_f64_e32 v[206:207], v[204:205]
	v_div_scale_f64 v[212:213], vcc, v[210:211], v[208:209], v[210:211]
	v_fma_f64 v[214:215], -v[204:205], v[206:207], 1.0
	v_fmac_f64_e32 v[206:207], v[206:207], v[214:215]
	v_fma_f64 v[214:215], -v[204:205], v[206:207], 1.0
	v_fmac_f64_e32 v[206:207], v[206:207], v[214:215]
	v_mul_f64 v[214:215], v[212:213], v[206:207]
	v_fma_f64 v[204:205], -v[204:205], v[214:215], v[212:213]
	v_div_fmas_f64 v[204:205], v[204:205], v[206:207], v[214:215]
	v_div_fixup_f64 v[206:207], v[204:205], v[208:209], v[210:211]
	v_fmac_f64_e32 v[208:209], v[210:211], v[206:207]
	v_div_scale_f64 v[204:205], s[10:11], v[208:209], v[208:209], 1.0
	v_rcp_f64_e32 v[210:211], v[204:205]
	s_nop 0
	v_fma_f64 v[212:213], -v[204:205], v[210:211], 1.0
	v_fmac_f64_e32 v[210:211], v[210:211], v[212:213]
	v_fma_f64 v[212:213], -v[204:205], v[210:211], 1.0
	v_fmac_f64_e32 v[210:211], v[210:211], v[212:213]
	v_div_scale_f64 v[212:213], vcc, 1.0, v[208:209], 1.0
	v_mul_f64 v[214:215], v[212:213], v[210:211]
	v_fma_f64 v[204:205], -v[204:205], v[214:215], v[212:213]
	s_nop 1
	v_div_fmas_f64 v[204:205], v[204:205], v[210:211], v[214:215]
	v_div_fixup_f64 v[204:205], v[204:205], v[208:209], 1.0
	v_mul_f64 v[206:207], v[206:207], -v[204:205]
.LBB119_439:
	s_or_b64 exec, exec, s[2:3]
	ds_write2_b64 v201, v[204:205], v[206:207] offset1:1
.LBB119_440:
	s_or_b64 exec, exec, s[4:5]
	s_waitcnt lgkmcnt(0)
	s_barrier
	ds_read2_b64 v[244:247], v201 offset1:1
	v_cmp_lt_u32_e32 vcc, 48, v200
	s_and_saveexec_b64 s[2:3], vcc
	s_cbranch_execz .LBB119_442
; %bb.441:
	ds_read2_b64 v[204:207], v202 offset0:98 offset1:99
	s_waitcnt lgkmcnt(1)
	v_mul_f64 v[208:209], v[244:245], v[42:43]
	v_fmac_f64_e32 v[208:209], v[246:247], v[40:41]
	v_mul_f64 v[42:43], v[246:247], v[42:43]
	v_fma_f64 v[40:41], v[244:245], v[40:41], -v[42:43]
	s_waitcnt lgkmcnt(0)
	v_mul_f64 v[42:43], v[206:207], v[208:209]
	v_fma_f64 v[42:43], v[204:205], v[40:41], -v[42:43]
	v_mul_f64 v[204:205], v[204:205], v[208:209]
	v_fmac_f64_e32 v[204:205], v[206:207], v[40:41]
	v_add_f64 v[38:39], v[38:39], -v[204:205]
	ds_read2_b64 v[204:207], v202 offset0:100 offset1:101
	v_add_f64 v[36:37], v[36:37], -v[42:43]
	s_waitcnt lgkmcnt(0)
	v_mul_f64 v[42:43], v[206:207], v[208:209]
	v_fma_f64 v[42:43], v[204:205], v[40:41], -v[42:43]
	v_mul_f64 v[204:205], v[204:205], v[208:209]
	v_fmac_f64_e32 v[204:205], v[206:207], v[40:41]
	v_add_f64 v[34:35], v[34:35], -v[204:205]
	ds_read2_b64 v[204:207], v202 offset0:102 offset1:103
	v_add_f64 v[32:33], v[32:33], -v[42:43]
	;; [unrolled: 8-line block ×10, first 2 shown]
	s_waitcnt lgkmcnt(0)
	v_mul_f64 v[42:43], v[206:207], v[208:209]
	v_fma_f64 v[42:43], v[204:205], v[40:41], -v[42:43]
	v_mul_f64 v[204:205], v[204:205], v[208:209]
	v_fmac_f64_e32 v[204:205], v[206:207], v[40:41]
	v_add_f64 v[236:237], v[236:237], -v[42:43]
	v_add_f64 v[238:239], v[238:239], -v[204:205]
	v_mov_b64_e32 v[42:43], v[208:209]
.LBB119_442:
	s_or_b64 exec, exec, s[2:3]
	v_cmp_eq_u32_e32 vcc, 49, v200
	s_waitcnt lgkmcnt(0)
	s_barrier
	s_and_saveexec_b64 s[4:5], vcc
	s_cbranch_execz .LBB119_449
; %bb.443:
	ds_write2_b64 v201, v[36:37], v[38:39] offset1:1
	ds_write2_b64 v202, v[32:33], v[34:35] offset0:100 offset1:101
	ds_write2_b64 v202, v[28:29], v[30:31] offset0:102 offset1:103
	;; [unrolled: 1-line block ×10, first 2 shown]
	ds_read2_b64 v[208:211], v201 offset1:1
	s_waitcnt lgkmcnt(0)
	v_cmp_neq_f64_e32 vcc, 0, v[208:209]
	v_cmp_neq_f64_e64 s[2:3], 0, v[210:211]
	s_or_b64 s[2:3], vcc, s[2:3]
	s_and_b64 exec, exec, s[2:3]
	s_cbranch_execz .LBB119_449
; %bb.444:
	v_cmp_ngt_f64_e64 s[2:3], |v[208:209]|, |v[210:211]|
                                        ; implicit-def: $vgpr204_vgpr205
	s_and_saveexec_b64 s[10:11], s[2:3]
	s_xor_b64 s[2:3], exec, s[10:11]
                                        ; implicit-def: $vgpr206_vgpr207
	s_cbranch_execz .LBB119_446
; %bb.445:
	v_div_scale_f64 v[204:205], s[10:11], v[210:211], v[210:211], v[208:209]
	v_rcp_f64_e32 v[206:207], v[204:205]
	v_div_scale_f64 v[212:213], vcc, v[208:209], v[210:211], v[208:209]
	v_fma_f64 v[214:215], -v[204:205], v[206:207], 1.0
	v_fmac_f64_e32 v[206:207], v[206:207], v[214:215]
	v_fma_f64 v[214:215], -v[204:205], v[206:207], 1.0
	v_fmac_f64_e32 v[206:207], v[206:207], v[214:215]
	v_mul_f64 v[214:215], v[212:213], v[206:207]
	v_fma_f64 v[204:205], -v[204:205], v[214:215], v[212:213]
	v_div_fmas_f64 v[204:205], v[204:205], v[206:207], v[214:215]
	v_div_fixup_f64 v[204:205], v[204:205], v[210:211], v[208:209]
	v_fmac_f64_e32 v[210:211], v[208:209], v[204:205]
	v_div_scale_f64 v[206:207], s[10:11], v[210:211], v[210:211], 1.0
	v_rcp_f64_e32 v[208:209], v[206:207]
	s_nop 0
	v_fma_f64 v[212:213], -v[206:207], v[208:209], 1.0
	v_fmac_f64_e32 v[208:209], v[208:209], v[212:213]
	v_fma_f64 v[212:213], -v[206:207], v[208:209], 1.0
	v_fmac_f64_e32 v[208:209], v[208:209], v[212:213]
	v_div_scale_f64 v[212:213], vcc, 1.0, v[210:211], 1.0
	v_mul_f64 v[214:215], v[212:213], v[208:209]
	v_fma_f64 v[206:207], -v[206:207], v[214:215], v[212:213]
	s_nop 1
	v_div_fmas_f64 v[206:207], v[206:207], v[208:209], v[214:215]
	v_div_fixup_f64 v[206:207], v[206:207], v[210:211], 1.0
	v_mul_f64 v[204:205], v[204:205], v[206:207]
	v_xor_b32_e32 v207, 0x80000000, v207
                                        ; implicit-def: $vgpr208_vgpr209
.LBB119_446:
	s_andn2_saveexec_b64 s[2:3], s[2:3]
	s_cbranch_execz .LBB119_448
; %bb.447:
	v_div_scale_f64 v[204:205], s[10:11], v[208:209], v[208:209], v[210:211]
	v_rcp_f64_e32 v[206:207], v[204:205]
	v_div_scale_f64 v[212:213], vcc, v[210:211], v[208:209], v[210:211]
	v_fma_f64 v[214:215], -v[204:205], v[206:207], 1.0
	v_fmac_f64_e32 v[206:207], v[206:207], v[214:215]
	v_fma_f64 v[214:215], -v[204:205], v[206:207], 1.0
	v_fmac_f64_e32 v[206:207], v[206:207], v[214:215]
	v_mul_f64 v[214:215], v[212:213], v[206:207]
	v_fma_f64 v[204:205], -v[204:205], v[214:215], v[212:213]
	v_div_fmas_f64 v[204:205], v[204:205], v[206:207], v[214:215]
	v_div_fixup_f64 v[206:207], v[204:205], v[208:209], v[210:211]
	v_fmac_f64_e32 v[208:209], v[210:211], v[206:207]
	v_div_scale_f64 v[204:205], s[10:11], v[208:209], v[208:209], 1.0
	v_rcp_f64_e32 v[210:211], v[204:205]
	s_nop 0
	v_fma_f64 v[212:213], -v[204:205], v[210:211], 1.0
	v_fmac_f64_e32 v[210:211], v[210:211], v[212:213]
	v_fma_f64 v[212:213], -v[204:205], v[210:211], 1.0
	v_fmac_f64_e32 v[210:211], v[210:211], v[212:213]
	v_div_scale_f64 v[212:213], vcc, 1.0, v[208:209], 1.0
	v_mul_f64 v[214:215], v[212:213], v[210:211]
	v_fma_f64 v[204:205], -v[204:205], v[214:215], v[212:213]
	s_nop 1
	v_div_fmas_f64 v[204:205], v[204:205], v[210:211], v[214:215]
	v_div_fixup_f64 v[204:205], v[204:205], v[208:209], 1.0
	v_mul_f64 v[206:207], v[206:207], -v[204:205]
.LBB119_448:
	s_or_b64 exec, exec, s[2:3]
	ds_write2_b64 v201, v[204:205], v[206:207] offset1:1
.LBB119_449:
	s_or_b64 exec, exec, s[4:5]
	s_waitcnt lgkmcnt(0)
	s_barrier
	ds_read2_b64 v[248:251], v201 offset1:1
	v_cmp_lt_u32_e32 vcc, 49, v200
	s_and_saveexec_b64 s[2:3], vcc
	s_cbranch_execz .LBB119_451
; %bb.450:
	ds_read2_b64 v[204:207], v202 offset0:100 offset1:101
	s_waitcnt lgkmcnt(1)
	v_mul_f64 v[208:209], v[248:249], v[38:39]
	v_fmac_f64_e32 v[208:209], v[250:251], v[36:37]
	v_mul_f64 v[38:39], v[250:251], v[38:39]
	v_fma_f64 v[36:37], v[248:249], v[36:37], -v[38:39]
	s_waitcnt lgkmcnt(0)
	v_mul_f64 v[38:39], v[206:207], v[208:209]
	v_fma_f64 v[38:39], v[204:205], v[36:37], -v[38:39]
	v_mul_f64 v[204:205], v[204:205], v[208:209]
	v_fmac_f64_e32 v[204:205], v[206:207], v[36:37]
	v_add_f64 v[34:35], v[34:35], -v[204:205]
	ds_read2_b64 v[204:207], v202 offset0:102 offset1:103
	v_add_f64 v[32:33], v[32:33], -v[38:39]
	s_waitcnt lgkmcnt(0)
	v_mul_f64 v[38:39], v[206:207], v[208:209]
	v_fma_f64 v[38:39], v[204:205], v[36:37], -v[38:39]
	v_mul_f64 v[204:205], v[204:205], v[208:209]
	v_fmac_f64_e32 v[204:205], v[206:207], v[36:37]
	v_add_f64 v[30:31], v[30:31], -v[204:205]
	ds_read2_b64 v[204:207], v202 offset0:104 offset1:105
	v_add_f64 v[28:29], v[28:29], -v[38:39]
	;; [unrolled: 8-line block ×9, first 2 shown]
	s_waitcnt lgkmcnt(0)
	v_mul_f64 v[38:39], v[206:207], v[208:209]
	v_fma_f64 v[38:39], v[204:205], v[36:37], -v[38:39]
	v_mul_f64 v[204:205], v[204:205], v[208:209]
	v_fmac_f64_e32 v[204:205], v[206:207], v[36:37]
	v_add_f64 v[236:237], v[236:237], -v[38:39]
	v_add_f64 v[238:239], v[238:239], -v[204:205]
	v_mov_b64_e32 v[38:39], v[208:209]
.LBB119_451:
	s_or_b64 exec, exec, s[2:3]
	v_cmp_eq_u32_e32 vcc, 50, v200
	s_waitcnt lgkmcnt(0)
	s_barrier
	s_and_saveexec_b64 s[4:5], vcc
	s_cbranch_execz .LBB119_458
; %bb.452:
	ds_write2_b64 v201, v[32:33], v[34:35] offset1:1
	ds_write2_b64 v202, v[28:29], v[30:31] offset0:102 offset1:103
	ds_write2_b64 v202, v[24:25], v[26:27] offset0:104 offset1:105
	;; [unrolled: 1-line block ×9, first 2 shown]
	ds_read2_b64 v[208:211], v201 offset1:1
	s_waitcnt lgkmcnt(0)
	v_cmp_neq_f64_e32 vcc, 0, v[208:209]
	v_cmp_neq_f64_e64 s[2:3], 0, v[210:211]
	s_or_b64 s[2:3], vcc, s[2:3]
	s_and_b64 exec, exec, s[2:3]
	s_cbranch_execz .LBB119_458
; %bb.453:
	v_cmp_ngt_f64_e64 s[2:3], |v[208:209]|, |v[210:211]|
                                        ; implicit-def: $vgpr204_vgpr205
	s_and_saveexec_b64 s[10:11], s[2:3]
	s_xor_b64 s[2:3], exec, s[10:11]
                                        ; implicit-def: $vgpr206_vgpr207
	s_cbranch_execz .LBB119_455
; %bb.454:
	v_div_scale_f64 v[204:205], s[10:11], v[210:211], v[210:211], v[208:209]
	v_rcp_f64_e32 v[206:207], v[204:205]
	v_div_scale_f64 v[212:213], vcc, v[208:209], v[210:211], v[208:209]
	v_fma_f64 v[214:215], -v[204:205], v[206:207], 1.0
	v_fmac_f64_e32 v[206:207], v[206:207], v[214:215]
	v_fma_f64 v[214:215], -v[204:205], v[206:207], 1.0
	v_fmac_f64_e32 v[206:207], v[206:207], v[214:215]
	v_mul_f64 v[214:215], v[212:213], v[206:207]
	v_fma_f64 v[204:205], -v[204:205], v[214:215], v[212:213]
	v_div_fmas_f64 v[204:205], v[204:205], v[206:207], v[214:215]
	v_div_fixup_f64 v[204:205], v[204:205], v[210:211], v[208:209]
	v_fmac_f64_e32 v[210:211], v[208:209], v[204:205]
	v_div_scale_f64 v[206:207], s[10:11], v[210:211], v[210:211], 1.0
	v_rcp_f64_e32 v[208:209], v[206:207]
	s_nop 0
	v_fma_f64 v[212:213], -v[206:207], v[208:209], 1.0
	v_fmac_f64_e32 v[208:209], v[208:209], v[212:213]
	v_fma_f64 v[212:213], -v[206:207], v[208:209], 1.0
	v_fmac_f64_e32 v[208:209], v[208:209], v[212:213]
	v_div_scale_f64 v[212:213], vcc, 1.0, v[210:211], 1.0
	v_mul_f64 v[214:215], v[212:213], v[208:209]
	v_fma_f64 v[206:207], -v[206:207], v[214:215], v[212:213]
	s_nop 1
	v_div_fmas_f64 v[206:207], v[206:207], v[208:209], v[214:215]
	v_div_fixup_f64 v[206:207], v[206:207], v[210:211], 1.0
	v_mul_f64 v[204:205], v[204:205], v[206:207]
	v_xor_b32_e32 v207, 0x80000000, v207
                                        ; implicit-def: $vgpr208_vgpr209
.LBB119_455:
	s_andn2_saveexec_b64 s[2:3], s[2:3]
	s_cbranch_execz .LBB119_457
; %bb.456:
	v_div_scale_f64 v[204:205], s[10:11], v[208:209], v[208:209], v[210:211]
	v_rcp_f64_e32 v[206:207], v[204:205]
	v_div_scale_f64 v[212:213], vcc, v[210:211], v[208:209], v[210:211]
	v_fma_f64 v[214:215], -v[204:205], v[206:207], 1.0
	v_fmac_f64_e32 v[206:207], v[206:207], v[214:215]
	v_fma_f64 v[214:215], -v[204:205], v[206:207], 1.0
	v_fmac_f64_e32 v[206:207], v[206:207], v[214:215]
	v_mul_f64 v[214:215], v[212:213], v[206:207]
	v_fma_f64 v[204:205], -v[204:205], v[214:215], v[212:213]
	v_div_fmas_f64 v[204:205], v[204:205], v[206:207], v[214:215]
	v_div_fixup_f64 v[206:207], v[204:205], v[208:209], v[210:211]
	v_fmac_f64_e32 v[208:209], v[210:211], v[206:207]
	v_div_scale_f64 v[204:205], s[10:11], v[208:209], v[208:209], 1.0
	v_rcp_f64_e32 v[210:211], v[204:205]
	s_nop 0
	v_fma_f64 v[212:213], -v[204:205], v[210:211], 1.0
	v_fmac_f64_e32 v[210:211], v[210:211], v[212:213]
	v_fma_f64 v[212:213], -v[204:205], v[210:211], 1.0
	v_fmac_f64_e32 v[210:211], v[210:211], v[212:213]
	v_div_scale_f64 v[212:213], vcc, 1.0, v[208:209], 1.0
	v_mul_f64 v[214:215], v[212:213], v[210:211]
	v_fma_f64 v[204:205], -v[204:205], v[214:215], v[212:213]
	s_nop 1
	v_div_fmas_f64 v[204:205], v[204:205], v[210:211], v[214:215]
	v_div_fixup_f64 v[204:205], v[204:205], v[208:209], 1.0
	v_mul_f64 v[206:207], v[206:207], -v[204:205]
.LBB119_457:
	s_or_b64 exec, exec, s[2:3]
	ds_write2_b64 v201, v[204:205], v[206:207] offset1:1
.LBB119_458:
	s_or_b64 exec, exec, s[4:5]
	s_waitcnt lgkmcnt(0)
	s_barrier
	ds_read2_b64 v[252:255], v201 offset1:1
	v_cmp_lt_u32_e32 vcc, 50, v200
	s_and_saveexec_b64 s[2:3], vcc
	s_cbranch_execz .LBB119_460
; %bb.459:
	ds_read2_b64 v[204:207], v202 offset0:102 offset1:103
	s_waitcnt lgkmcnt(1)
	v_mul_f64 v[208:209], v[252:253], v[34:35]
	v_fmac_f64_e32 v[208:209], v[254:255], v[32:33]
	v_mul_f64 v[34:35], v[254:255], v[34:35]
	v_fma_f64 v[32:33], v[252:253], v[32:33], -v[34:35]
	s_waitcnt lgkmcnt(0)
	v_mul_f64 v[34:35], v[206:207], v[208:209]
	v_fma_f64 v[34:35], v[204:205], v[32:33], -v[34:35]
	v_mul_f64 v[204:205], v[204:205], v[208:209]
	v_fmac_f64_e32 v[204:205], v[206:207], v[32:33]
	v_add_f64 v[30:31], v[30:31], -v[204:205]
	ds_read2_b64 v[204:207], v202 offset0:104 offset1:105
	v_add_f64 v[28:29], v[28:29], -v[34:35]
	s_waitcnt lgkmcnt(0)
	v_mul_f64 v[34:35], v[206:207], v[208:209]
	v_fma_f64 v[34:35], v[204:205], v[32:33], -v[34:35]
	v_mul_f64 v[204:205], v[204:205], v[208:209]
	v_fmac_f64_e32 v[204:205], v[206:207], v[32:33]
	v_add_f64 v[26:27], v[26:27], -v[204:205]
	ds_read2_b64 v[204:207], v202 offset0:106 offset1:107
	v_add_f64 v[24:25], v[24:25], -v[34:35]
	;; [unrolled: 8-line block ×8, first 2 shown]
	s_waitcnt lgkmcnt(0)
	v_mul_f64 v[34:35], v[206:207], v[208:209]
	v_fma_f64 v[34:35], v[204:205], v[32:33], -v[34:35]
	v_mul_f64 v[204:205], v[204:205], v[208:209]
	v_fmac_f64_e32 v[204:205], v[206:207], v[32:33]
	v_add_f64 v[236:237], v[236:237], -v[34:35]
	v_add_f64 v[238:239], v[238:239], -v[204:205]
	v_mov_b64_e32 v[34:35], v[208:209]
.LBB119_460:
	s_or_b64 exec, exec, s[2:3]
	v_cmp_eq_u32_e32 vcc, 51, v200
	s_waitcnt lgkmcnt(0)
	s_barrier
	s_and_saveexec_b64 s[4:5], vcc
	s_cbranch_execz .LBB119_467
; %bb.461:
	ds_write2_b64 v201, v[28:29], v[30:31] offset1:1
	ds_write2_b64 v202, v[24:25], v[26:27] offset0:104 offset1:105
	ds_write2_b64 v202, v[20:21], v[22:23] offset0:106 offset1:107
	;; [unrolled: 1-line block ×8, first 2 shown]
	ds_read2_b64 v[208:211], v201 offset1:1
	s_waitcnt lgkmcnt(0)
	v_cmp_neq_f64_e32 vcc, 0, v[208:209]
	v_cmp_neq_f64_e64 s[2:3], 0, v[210:211]
	s_or_b64 s[2:3], vcc, s[2:3]
	s_and_b64 exec, exec, s[2:3]
	s_cbranch_execz .LBB119_467
; %bb.462:
	v_cmp_ngt_f64_e64 s[2:3], |v[208:209]|, |v[210:211]|
                                        ; implicit-def: $vgpr204_vgpr205
	s_and_saveexec_b64 s[10:11], s[2:3]
	s_xor_b64 s[2:3], exec, s[10:11]
                                        ; implicit-def: $vgpr206_vgpr207
	s_cbranch_execz .LBB119_464
; %bb.463:
	v_div_scale_f64 v[204:205], s[10:11], v[210:211], v[210:211], v[208:209]
	v_rcp_f64_e32 v[206:207], v[204:205]
	v_div_scale_f64 v[212:213], vcc, v[208:209], v[210:211], v[208:209]
	v_fma_f64 v[214:215], -v[204:205], v[206:207], 1.0
	v_fmac_f64_e32 v[206:207], v[206:207], v[214:215]
	v_fma_f64 v[214:215], -v[204:205], v[206:207], 1.0
	v_fmac_f64_e32 v[206:207], v[206:207], v[214:215]
	v_mul_f64 v[214:215], v[212:213], v[206:207]
	v_fma_f64 v[204:205], -v[204:205], v[214:215], v[212:213]
	v_div_fmas_f64 v[204:205], v[204:205], v[206:207], v[214:215]
	v_div_fixup_f64 v[204:205], v[204:205], v[210:211], v[208:209]
	v_fmac_f64_e32 v[210:211], v[208:209], v[204:205]
	v_div_scale_f64 v[206:207], s[10:11], v[210:211], v[210:211], 1.0
	v_rcp_f64_e32 v[208:209], v[206:207]
	s_nop 0
	v_fma_f64 v[212:213], -v[206:207], v[208:209], 1.0
	v_fmac_f64_e32 v[208:209], v[208:209], v[212:213]
	v_fma_f64 v[212:213], -v[206:207], v[208:209], 1.0
	v_fmac_f64_e32 v[208:209], v[208:209], v[212:213]
	v_div_scale_f64 v[212:213], vcc, 1.0, v[210:211], 1.0
	v_mul_f64 v[214:215], v[212:213], v[208:209]
	v_fma_f64 v[206:207], -v[206:207], v[214:215], v[212:213]
	s_nop 1
	v_div_fmas_f64 v[206:207], v[206:207], v[208:209], v[214:215]
	v_div_fixup_f64 v[206:207], v[206:207], v[210:211], 1.0
	v_mul_f64 v[204:205], v[204:205], v[206:207]
	v_xor_b32_e32 v207, 0x80000000, v207
                                        ; implicit-def: $vgpr208_vgpr209
.LBB119_464:
	s_andn2_saveexec_b64 s[2:3], s[2:3]
	s_cbranch_execz .LBB119_466
; %bb.465:
	v_div_scale_f64 v[204:205], s[10:11], v[208:209], v[208:209], v[210:211]
	v_rcp_f64_e32 v[206:207], v[204:205]
	v_div_scale_f64 v[212:213], vcc, v[210:211], v[208:209], v[210:211]
	v_fma_f64 v[214:215], -v[204:205], v[206:207], 1.0
	v_fmac_f64_e32 v[206:207], v[206:207], v[214:215]
	v_fma_f64 v[214:215], -v[204:205], v[206:207], 1.0
	v_fmac_f64_e32 v[206:207], v[206:207], v[214:215]
	v_mul_f64 v[214:215], v[212:213], v[206:207]
	v_fma_f64 v[204:205], -v[204:205], v[214:215], v[212:213]
	v_div_fmas_f64 v[204:205], v[204:205], v[206:207], v[214:215]
	v_div_fixup_f64 v[206:207], v[204:205], v[208:209], v[210:211]
	v_fmac_f64_e32 v[208:209], v[210:211], v[206:207]
	v_div_scale_f64 v[204:205], s[10:11], v[208:209], v[208:209], 1.0
	v_rcp_f64_e32 v[210:211], v[204:205]
	s_nop 0
	v_fma_f64 v[212:213], -v[204:205], v[210:211], 1.0
	v_fmac_f64_e32 v[210:211], v[210:211], v[212:213]
	v_fma_f64 v[212:213], -v[204:205], v[210:211], 1.0
	v_fmac_f64_e32 v[210:211], v[210:211], v[212:213]
	v_div_scale_f64 v[212:213], vcc, 1.0, v[208:209], 1.0
	v_mul_f64 v[214:215], v[212:213], v[210:211]
	v_fma_f64 v[204:205], -v[204:205], v[214:215], v[212:213]
	s_nop 1
	v_div_fmas_f64 v[204:205], v[204:205], v[210:211], v[214:215]
	v_div_fixup_f64 v[204:205], v[204:205], v[208:209], 1.0
	v_mul_f64 v[206:207], v[206:207], -v[204:205]
.LBB119_466:
	s_or_b64 exec, exec, s[2:3]
	ds_write2_b64 v201, v[204:205], v[206:207] offset1:1
.LBB119_467:
	s_or_b64 exec, exec, s[4:5]
	s_waitcnt lgkmcnt(0)
	s_barrier
	ds_read2_b64 v[192:195], v201 offset1:1
	v_cmp_lt_u32_e32 vcc, 51, v200
	s_waitcnt lgkmcnt(0)
	scratch_store_dwordx4 off, v[192:195], off offset:1408 ; 16-byte Folded Spill
	s_and_saveexec_b64 s[2:3], vcc
	s_cbranch_execz .LBB119_469
; %bb.468:
	scratch_load_dwordx4 v[192:195], off, off offset:1408 ; 16-byte Folded Reload
	ds_read2_b64 v[204:207], v202 offset0:104 offset1:105
	s_waitcnt vmcnt(0)
	v_mul_f64 v[208:209], v[192:193], v[30:31]
	v_fmac_f64_e32 v[208:209], v[194:195], v[28:29]
	v_mul_f64 v[30:31], v[194:195], v[30:31]
	v_fma_f64 v[28:29], v[192:193], v[28:29], -v[30:31]
	s_waitcnt lgkmcnt(0)
	v_mul_f64 v[30:31], v[206:207], v[208:209]
	v_fma_f64 v[30:31], v[204:205], v[28:29], -v[30:31]
	v_mul_f64 v[204:205], v[204:205], v[208:209]
	v_fmac_f64_e32 v[204:205], v[206:207], v[28:29]
	v_add_f64 v[26:27], v[26:27], -v[204:205]
	ds_read2_b64 v[204:207], v202 offset0:106 offset1:107
	v_add_f64 v[24:25], v[24:25], -v[30:31]
	s_waitcnt lgkmcnt(0)
	v_mul_f64 v[30:31], v[206:207], v[208:209]
	v_fma_f64 v[30:31], v[204:205], v[28:29], -v[30:31]
	v_mul_f64 v[204:205], v[204:205], v[208:209]
	v_fmac_f64_e32 v[204:205], v[206:207], v[28:29]
	v_add_f64 v[22:23], v[22:23], -v[204:205]
	ds_read2_b64 v[204:207], v202 offset0:108 offset1:109
	v_add_f64 v[20:21], v[20:21], -v[30:31]
	;; [unrolled: 8-line block ×7, first 2 shown]
	s_waitcnt lgkmcnt(0)
	v_mul_f64 v[30:31], v[206:207], v[208:209]
	v_fma_f64 v[30:31], v[204:205], v[28:29], -v[30:31]
	v_mul_f64 v[204:205], v[204:205], v[208:209]
	v_fmac_f64_e32 v[204:205], v[206:207], v[28:29]
	v_add_f64 v[236:237], v[236:237], -v[30:31]
	v_add_f64 v[238:239], v[238:239], -v[204:205]
	v_mov_b64_e32 v[30:31], v[208:209]
.LBB119_469:
	s_or_b64 exec, exec, s[2:3]
	v_cmp_eq_u32_e32 vcc, 52, v200
	s_waitcnt vmcnt(63) expcnt(7) lgkmcnt(15)
	s_barrier
	s_and_saveexec_b64 s[4:5], vcc
	s_cbranch_execz .LBB119_476
; %bb.470:
	ds_write2_b64 v201, v[24:25], v[26:27] offset1:1
	ds_write2_b64 v202, v[20:21], v[22:23] offset0:106 offset1:107
	ds_write2_b64 v202, v[16:17], v[18:19] offset0:108 offset1:109
	;; [unrolled: 1-line block ×7, first 2 shown]
	ds_read2_b64 v[208:211], v201 offset1:1
	s_waitcnt lgkmcnt(0)
	v_cmp_neq_f64_e32 vcc, 0, v[208:209]
	v_cmp_neq_f64_e64 s[2:3], 0, v[210:211]
	s_or_b64 s[2:3], vcc, s[2:3]
	s_and_b64 exec, exec, s[2:3]
	s_cbranch_execz .LBB119_476
; %bb.471:
	v_cmp_ngt_f64_e64 s[2:3], |v[208:209]|, |v[210:211]|
                                        ; implicit-def: $vgpr204_vgpr205
	s_and_saveexec_b64 s[10:11], s[2:3]
	s_xor_b64 s[2:3], exec, s[10:11]
                                        ; implicit-def: $vgpr206_vgpr207
	s_cbranch_execz .LBB119_473
; %bb.472:
	v_div_scale_f64 v[204:205], s[10:11], v[210:211], v[210:211], v[208:209]
	v_rcp_f64_e32 v[206:207], v[204:205]
	v_div_scale_f64 v[212:213], vcc, v[208:209], v[210:211], v[208:209]
	v_fma_f64 v[214:215], -v[204:205], v[206:207], 1.0
	v_fmac_f64_e32 v[206:207], v[206:207], v[214:215]
	v_fma_f64 v[214:215], -v[204:205], v[206:207], 1.0
	v_fmac_f64_e32 v[206:207], v[206:207], v[214:215]
	v_mul_f64 v[214:215], v[212:213], v[206:207]
	v_fma_f64 v[204:205], -v[204:205], v[214:215], v[212:213]
	v_div_fmas_f64 v[204:205], v[204:205], v[206:207], v[214:215]
	v_div_fixup_f64 v[204:205], v[204:205], v[210:211], v[208:209]
	v_fmac_f64_e32 v[210:211], v[208:209], v[204:205]
	v_div_scale_f64 v[206:207], s[10:11], v[210:211], v[210:211], 1.0
	v_rcp_f64_e32 v[208:209], v[206:207]
	s_nop 0
	v_fma_f64 v[212:213], -v[206:207], v[208:209], 1.0
	v_fmac_f64_e32 v[208:209], v[208:209], v[212:213]
	v_fma_f64 v[212:213], -v[206:207], v[208:209], 1.0
	v_fmac_f64_e32 v[208:209], v[208:209], v[212:213]
	v_div_scale_f64 v[212:213], vcc, 1.0, v[210:211], 1.0
	v_mul_f64 v[214:215], v[212:213], v[208:209]
	v_fma_f64 v[206:207], -v[206:207], v[214:215], v[212:213]
	s_nop 1
	v_div_fmas_f64 v[206:207], v[206:207], v[208:209], v[214:215]
	v_div_fixup_f64 v[206:207], v[206:207], v[210:211], 1.0
	v_mul_f64 v[204:205], v[204:205], v[206:207]
	v_xor_b32_e32 v207, 0x80000000, v207
                                        ; implicit-def: $vgpr208_vgpr209
.LBB119_473:
	s_andn2_saveexec_b64 s[2:3], s[2:3]
	s_cbranch_execz .LBB119_475
; %bb.474:
	v_div_scale_f64 v[204:205], s[10:11], v[208:209], v[208:209], v[210:211]
	v_rcp_f64_e32 v[206:207], v[204:205]
	v_div_scale_f64 v[212:213], vcc, v[210:211], v[208:209], v[210:211]
	v_fma_f64 v[214:215], -v[204:205], v[206:207], 1.0
	v_fmac_f64_e32 v[206:207], v[206:207], v[214:215]
	v_fma_f64 v[214:215], -v[204:205], v[206:207], 1.0
	v_fmac_f64_e32 v[206:207], v[206:207], v[214:215]
	v_mul_f64 v[214:215], v[212:213], v[206:207]
	v_fma_f64 v[204:205], -v[204:205], v[214:215], v[212:213]
	v_div_fmas_f64 v[204:205], v[204:205], v[206:207], v[214:215]
	v_div_fixup_f64 v[206:207], v[204:205], v[208:209], v[210:211]
	v_fmac_f64_e32 v[208:209], v[210:211], v[206:207]
	v_div_scale_f64 v[204:205], s[10:11], v[208:209], v[208:209], 1.0
	v_rcp_f64_e32 v[210:211], v[204:205]
	s_nop 0
	v_fma_f64 v[212:213], -v[204:205], v[210:211], 1.0
	v_fmac_f64_e32 v[210:211], v[210:211], v[212:213]
	v_fma_f64 v[212:213], -v[204:205], v[210:211], 1.0
	v_fmac_f64_e32 v[210:211], v[210:211], v[212:213]
	v_div_scale_f64 v[212:213], vcc, 1.0, v[208:209], 1.0
	v_mul_f64 v[214:215], v[212:213], v[210:211]
	v_fma_f64 v[204:205], -v[204:205], v[214:215], v[212:213]
	s_nop 1
	v_div_fmas_f64 v[204:205], v[204:205], v[210:211], v[214:215]
	v_div_fixup_f64 v[204:205], v[204:205], v[208:209], 1.0
	v_mul_f64 v[206:207], v[206:207], -v[204:205]
.LBB119_475:
	s_or_b64 exec, exec, s[2:3]
	ds_write2_b64 v201, v[204:205], v[206:207] offset1:1
.LBB119_476:
	s_or_b64 exec, exec, s[4:5]
	s_waitcnt lgkmcnt(0)
	s_barrier
	ds_read2_b64 v[232:235], v201 offset1:1
	v_cmp_lt_u32_e32 vcc, 52, v200
	s_and_saveexec_b64 s[2:3], vcc
	s_cbranch_execz .LBB119_478
; %bb.477:
	ds_read2_b64 v[204:207], v202 offset0:106 offset1:107
	s_waitcnt lgkmcnt(1)
	v_mul_f64 v[208:209], v[232:233], v[26:27]
	v_fmac_f64_e32 v[208:209], v[234:235], v[24:25]
	v_mul_f64 v[26:27], v[234:235], v[26:27]
	v_fma_f64 v[24:25], v[232:233], v[24:25], -v[26:27]
	s_waitcnt lgkmcnt(0)
	v_mul_f64 v[26:27], v[206:207], v[208:209]
	v_fma_f64 v[26:27], v[204:205], v[24:25], -v[26:27]
	v_mul_f64 v[204:205], v[204:205], v[208:209]
	v_fmac_f64_e32 v[204:205], v[206:207], v[24:25]
	v_add_f64 v[22:23], v[22:23], -v[204:205]
	ds_read2_b64 v[204:207], v202 offset0:108 offset1:109
	v_add_f64 v[20:21], v[20:21], -v[26:27]
	s_waitcnt lgkmcnt(0)
	v_mul_f64 v[26:27], v[206:207], v[208:209]
	v_fma_f64 v[26:27], v[204:205], v[24:25], -v[26:27]
	v_mul_f64 v[204:205], v[204:205], v[208:209]
	v_fmac_f64_e32 v[204:205], v[206:207], v[24:25]
	v_add_f64 v[18:19], v[18:19], -v[204:205]
	ds_read2_b64 v[204:207], v202 offset0:110 offset1:111
	v_add_f64 v[16:17], v[16:17], -v[26:27]
	;; [unrolled: 8-line block ×6, first 2 shown]
	s_waitcnt lgkmcnt(0)
	v_mul_f64 v[26:27], v[206:207], v[208:209]
	v_fma_f64 v[26:27], v[204:205], v[24:25], -v[26:27]
	v_mul_f64 v[204:205], v[204:205], v[208:209]
	v_fmac_f64_e32 v[204:205], v[206:207], v[24:25]
	v_add_f64 v[236:237], v[236:237], -v[26:27]
	v_add_f64 v[238:239], v[238:239], -v[204:205]
	v_mov_b64_e32 v[26:27], v[208:209]
.LBB119_478:
	s_or_b64 exec, exec, s[2:3]
	v_cmp_eq_u32_e32 vcc, 53, v200
	s_waitcnt lgkmcnt(0)
	s_barrier
	s_and_saveexec_b64 s[4:5], vcc
	s_cbranch_execz .LBB119_485
; %bb.479:
	ds_write2_b64 v201, v[20:21], v[22:23] offset1:1
	ds_write2_b64 v202, v[16:17], v[18:19] offset0:108 offset1:109
	ds_write2_b64 v202, v[12:13], v[14:15] offset0:110 offset1:111
	;; [unrolled: 1-line block ×6, first 2 shown]
	ds_read2_b64 v[208:211], v201 offset1:1
	s_waitcnt lgkmcnt(0)
	v_cmp_neq_f64_e32 vcc, 0, v[208:209]
	v_cmp_neq_f64_e64 s[2:3], 0, v[210:211]
	s_or_b64 s[2:3], vcc, s[2:3]
	s_and_b64 exec, exec, s[2:3]
	s_cbranch_execz .LBB119_485
; %bb.480:
	v_cmp_ngt_f64_e64 s[2:3], |v[208:209]|, |v[210:211]|
                                        ; implicit-def: $vgpr204_vgpr205
	s_and_saveexec_b64 s[10:11], s[2:3]
	s_xor_b64 s[2:3], exec, s[10:11]
                                        ; implicit-def: $vgpr206_vgpr207
	s_cbranch_execz .LBB119_482
; %bb.481:
	v_div_scale_f64 v[204:205], s[10:11], v[210:211], v[210:211], v[208:209]
	v_rcp_f64_e32 v[206:207], v[204:205]
	v_div_scale_f64 v[212:213], vcc, v[208:209], v[210:211], v[208:209]
	v_fma_f64 v[214:215], -v[204:205], v[206:207], 1.0
	v_fmac_f64_e32 v[206:207], v[206:207], v[214:215]
	v_fma_f64 v[214:215], -v[204:205], v[206:207], 1.0
	v_fmac_f64_e32 v[206:207], v[206:207], v[214:215]
	v_mul_f64 v[214:215], v[212:213], v[206:207]
	v_fma_f64 v[204:205], -v[204:205], v[214:215], v[212:213]
	v_div_fmas_f64 v[204:205], v[204:205], v[206:207], v[214:215]
	v_div_fixup_f64 v[204:205], v[204:205], v[210:211], v[208:209]
	v_fmac_f64_e32 v[210:211], v[208:209], v[204:205]
	v_div_scale_f64 v[206:207], s[10:11], v[210:211], v[210:211], 1.0
	v_rcp_f64_e32 v[208:209], v[206:207]
	s_nop 0
	v_fma_f64 v[212:213], -v[206:207], v[208:209], 1.0
	v_fmac_f64_e32 v[208:209], v[208:209], v[212:213]
	v_fma_f64 v[212:213], -v[206:207], v[208:209], 1.0
	v_fmac_f64_e32 v[208:209], v[208:209], v[212:213]
	v_div_scale_f64 v[212:213], vcc, 1.0, v[210:211], 1.0
	v_mul_f64 v[214:215], v[212:213], v[208:209]
	v_fma_f64 v[206:207], -v[206:207], v[214:215], v[212:213]
	s_nop 1
	v_div_fmas_f64 v[206:207], v[206:207], v[208:209], v[214:215]
	v_div_fixup_f64 v[206:207], v[206:207], v[210:211], 1.0
	v_mul_f64 v[204:205], v[204:205], v[206:207]
	v_xor_b32_e32 v207, 0x80000000, v207
                                        ; implicit-def: $vgpr208_vgpr209
.LBB119_482:
	s_andn2_saveexec_b64 s[2:3], s[2:3]
	s_cbranch_execz .LBB119_484
; %bb.483:
	v_div_scale_f64 v[204:205], s[10:11], v[208:209], v[208:209], v[210:211]
	v_rcp_f64_e32 v[206:207], v[204:205]
	v_div_scale_f64 v[212:213], vcc, v[210:211], v[208:209], v[210:211]
	v_fma_f64 v[214:215], -v[204:205], v[206:207], 1.0
	v_fmac_f64_e32 v[206:207], v[206:207], v[214:215]
	v_fma_f64 v[214:215], -v[204:205], v[206:207], 1.0
	v_fmac_f64_e32 v[206:207], v[206:207], v[214:215]
	v_mul_f64 v[214:215], v[212:213], v[206:207]
	v_fma_f64 v[204:205], -v[204:205], v[214:215], v[212:213]
	v_div_fmas_f64 v[204:205], v[204:205], v[206:207], v[214:215]
	v_div_fixup_f64 v[206:207], v[204:205], v[208:209], v[210:211]
	v_fmac_f64_e32 v[208:209], v[210:211], v[206:207]
	v_div_scale_f64 v[204:205], s[10:11], v[208:209], v[208:209], 1.0
	v_rcp_f64_e32 v[210:211], v[204:205]
	s_nop 0
	v_fma_f64 v[212:213], -v[204:205], v[210:211], 1.0
	v_fmac_f64_e32 v[210:211], v[210:211], v[212:213]
	v_fma_f64 v[212:213], -v[204:205], v[210:211], 1.0
	v_fmac_f64_e32 v[210:211], v[210:211], v[212:213]
	v_div_scale_f64 v[212:213], vcc, 1.0, v[208:209], 1.0
	v_mul_f64 v[214:215], v[212:213], v[210:211]
	v_fma_f64 v[204:205], -v[204:205], v[214:215], v[212:213]
	s_nop 1
	v_div_fmas_f64 v[204:205], v[204:205], v[210:211], v[214:215]
	v_div_fixup_f64 v[204:205], v[204:205], v[208:209], 1.0
	v_mul_f64 v[206:207], v[206:207], -v[204:205]
.LBB119_484:
	s_or_b64 exec, exec, s[2:3]
	ds_write2_b64 v201, v[204:205], v[206:207] offset1:1
.LBB119_485:
	s_or_b64 exec, exec, s[4:5]
	s_waitcnt lgkmcnt(0)
	s_barrier
	ds_read2_b64 v[228:231], v201 offset1:1
	v_cmp_lt_u32_e32 vcc, 53, v200
	s_and_saveexec_b64 s[2:3], vcc
	s_cbranch_execz .LBB119_487
; %bb.486:
	ds_read2_b64 v[204:207], v202 offset0:108 offset1:109
	s_waitcnt lgkmcnt(1)
	v_mul_f64 v[208:209], v[228:229], v[22:23]
	v_fmac_f64_e32 v[208:209], v[230:231], v[20:21]
	v_mul_f64 v[22:23], v[230:231], v[22:23]
	v_fma_f64 v[20:21], v[228:229], v[20:21], -v[22:23]
	s_waitcnt lgkmcnt(0)
	v_mul_f64 v[22:23], v[206:207], v[208:209]
	v_fma_f64 v[22:23], v[204:205], v[20:21], -v[22:23]
	v_mul_f64 v[204:205], v[204:205], v[208:209]
	v_fmac_f64_e32 v[204:205], v[206:207], v[20:21]
	v_add_f64 v[18:19], v[18:19], -v[204:205]
	ds_read2_b64 v[204:207], v202 offset0:110 offset1:111
	v_add_f64 v[16:17], v[16:17], -v[22:23]
	s_waitcnt lgkmcnt(0)
	v_mul_f64 v[22:23], v[206:207], v[208:209]
	v_fma_f64 v[22:23], v[204:205], v[20:21], -v[22:23]
	v_mul_f64 v[204:205], v[204:205], v[208:209]
	v_fmac_f64_e32 v[204:205], v[206:207], v[20:21]
	v_add_f64 v[14:15], v[14:15], -v[204:205]
	ds_read2_b64 v[204:207], v202 offset0:112 offset1:113
	v_add_f64 v[12:13], v[12:13], -v[22:23]
	;; [unrolled: 8-line block ×5, first 2 shown]
	s_waitcnt lgkmcnt(0)
	v_mul_f64 v[22:23], v[206:207], v[208:209]
	v_fma_f64 v[22:23], v[204:205], v[20:21], -v[22:23]
	v_mul_f64 v[204:205], v[204:205], v[208:209]
	v_fmac_f64_e32 v[204:205], v[206:207], v[20:21]
	v_add_f64 v[236:237], v[236:237], -v[22:23]
	v_add_f64 v[238:239], v[238:239], -v[204:205]
	v_mov_b64_e32 v[22:23], v[208:209]
.LBB119_487:
	s_or_b64 exec, exec, s[2:3]
	v_cmp_eq_u32_e32 vcc, 54, v200
	s_waitcnt lgkmcnt(0)
	s_barrier
	s_and_saveexec_b64 s[4:5], vcc
	s_cbranch_execz .LBB119_494
; %bb.488:
	ds_write2_b64 v201, v[16:17], v[18:19] offset1:1
	ds_write2_b64 v202, v[12:13], v[14:15] offset0:110 offset1:111
	ds_write2_b64 v202, v[8:9], v[10:11] offset0:112 offset1:113
	;; [unrolled: 1-line block ×5, first 2 shown]
	ds_read2_b64 v[208:211], v201 offset1:1
	s_waitcnt lgkmcnt(0)
	v_cmp_neq_f64_e32 vcc, 0, v[208:209]
	v_cmp_neq_f64_e64 s[2:3], 0, v[210:211]
	s_or_b64 s[2:3], vcc, s[2:3]
	s_and_b64 exec, exec, s[2:3]
	s_cbranch_execz .LBB119_494
; %bb.489:
	v_cmp_ngt_f64_e64 s[2:3], |v[208:209]|, |v[210:211]|
                                        ; implicit-def: $vgpr204_vgpr205
	s_and_saveexec_b64 s[10:11], s[2:3]
	s_xor_b64 s[2:3], exec, s[10:11]
                                        ; implicit-def: $vgpr206_vgpr207
	s_cbranch_execz .LBB119_491
; %bb.490:
	v_div_scale_f64 v[204:205], s[10:11], v[210:211], v[210:211], v[208:209]
	v_rcp_f64_e32 v[206:207], v[204:205]
	v_div_scale_f64 v[212:213], vcc, v[208:209], v[210:211], v[208:209]
	v_fma_f64 v[214:215], -v[204:205], v[206:207], 1.0
	v_fmac_f64_e32 v[206:207], v[206:207], v[214:215]
	v_fma_f64 v[214:215], -v[204:205], v[206:207], 1.0
	v_fmac_f64_e32 v[206:207], v[206:207], v[214:215]
	v_mul_f64 v[214:215], v[212:213], v[206:207]
	v_fma_f64 v[204:205], -v[204:205], v[214:215], v[212:213]
	v_div_fmas_f64 v[204:205], v[204:205], v[206:207], v[214:215]
	v_div_fixup_f64 v[204:205], v[204:205], v[210:211], v[208:209]
	v_fmac_f64_e32 v[210:211], v[208:209], v[204:205]
	v_div_scale_f64 v[206:207], s[10:11], v[210:211], v[210:211], 1.0
	v_rcp_f64_e32 v[208:209], v[206:207]
	s_nop 0
	v_fma_f64 v[212:213], -v[206:207], v[208:209], 1.0
	v_fmac_f64_e32 v[208:209], v[208:209], v[212:213]
	v_fma_f64 v[212:213], -v[206:207], v[208:209], 1.0
	v_fmac_f64_e32 v[208:209], v[208:209], v[212:213]
	v_div_scale_f64 v[212:213], vcc, 1.0, v[210:211], 1.0
	v_mul_f64 v[214:215], v[212:213], v[208:209]
	v_fma_f64 v[206:207], -v[206:207], v[214:215], v[212:213]
	s_nop 1
	v_div_fmas_f64 v[206:207], v[206:207], v[208:209], v[214:215]
	v_div_fixup_f64 v[206:207], v[206:207], v[210:211], 1.0
	v_mul_f64 v[204:205], v[204:205], v[206:207]
	v_xor_b32_e32 v207, 0x80000000, v207
                                        ; implicit-def: $vgpr208_vgpr209
.LBB119_491:
	s_andn2_saveexec_b64 s[2:3], s[2:3]
	s_cbranch_execz .LBB119_493
; %bb.492:
	v_div_scale_f64 v[204:205], s[10:11], v[208:209], v[208:209], v[210:211]
	v_rcp_f64_e32 v[206:207], v[204:205]
	v_div_scale_f64 v[212:213], vcc, v[210:211], v[208:209], v[210:211]
	v_fma_f64 v[214:215], -v[204:205], v[206:207], 1.0
	v_fmac_f64_e32 v[206:207], v[206:207], v[214:215]
	v_fma_f64 v[214:215], -v[204:205], v[206:207], 1.0
	v_fmac_f64_e32 v[206:207], v[206:207], v[214:215]
	v_mul_f64 v[214:215], v[212:213], v[206:207]
	v_fma_f64 v[204:205], -v[204:205], v[214:215], v[212:213]
	v_div_fmas_f64 v[204:205], v[204:205], v[206:207], v[214:215]
	v_div_fixup_f64 v[206:207], v[204:205], v[208:209], v[210:211]
	v_fmac_f64_e32 v[208:209], v[210:211], v[206:207]
	v_div_scale_f64 v[204:205], s[10:11], v[208:209], v[208:209], 1.0
	v_rcp_f64_e32 v[210:211], v[204:205]
	s_nop 0
	v_fma_f64 v[212:213], -v[204:205], v[210:211], 1.0
	v_fmac_f64_e32 v[210:211], v[210:211], v[212:213]
	v_fma_f64 v[212:213], -v[204:205], v[210:211], 1.0
	v_fmac_f64_e32 v[210:211], v[210:211], v[212:213]
	v_div_scale_f64 v[212:213], vcc, 1.0, v[208:209], 1.0
	v_mul_f64 v[214:215], v[212:213], v[210:211]
	v_fma_f64 v[204:205], -v[204:205], v[214:215], v[212:213]
	s_nop 1
	v_div_fmas_f64 v[204:205], v[204:205], v[210:211], v[214:215]
	v_div_fixup_f64 v[204:205], v[204:205], v[208:209], 1.0
	v_mul_f64 v[206:207], v[206:207], -v[204:205]
.LBB119_493:
	s_or_b64 exec, exec, s[2:3]
	ds_write2_b64 v201, v[204:205], v[206:207] offset1:1
.LBB119_494:
	s_or_b64 exec, exec, s[4:5]
	s_waitcnt lgkmcnt(0)
	s_barrier
	ds_read2_b64 v[224:227], v201 offset1:1
	v_cmp_lt_u32_e32 vcc, 54, v200
	s_and_saveexec_b64 s[2:3], vcc
	s_cbranch_execz .LBB119_496
; %bb.495:
	ds_read2_b64 v[204:207], v202 offset0:110 offset1:111
	s_waitcnt lgkmcnt(1)
	v_mul_f64 v[208:209], v[224:225], v[18:19]
	v_fmac_f64_e32 v[208:209], v[226:227], v[16:17]
	v_mul_f64 v[18:19], v[226:227], v[18:19]
	v_fma_f64 v[16:17], v[224:225], v[16:17], -v[18:19]
	s_waitcnt lgkmcnt(0)
	v_mul_f64 v[18:19], v[206:207], v[208:209]
	v_fma_f64 v[18:19], v[204:205], v[16:17], -v[18:19]
	v_mul_f64 v[204:205], v[204:205], v[208:209]
	v_fmac_f64_e32 v[204:205], v[206:207], v[16:17]
	v_add_f64 v[14:15], v[14:15], -v[204:205]
	ds_read2_b64 v[204:207], v202 offset0:112 offset1:113
	v_add_f64 v[12:13], v[12:13], -v[18:19]
	s_waitcnt lgkmcnt(0)
	v_mul_f64 v[18:19], v[206:207], v[208:209]
	v_fma_f64 v[18:19], v[204:205], v[16:17], -v[18:19]
	v_mul_f64 v[204:205], v[204:205], v[208:209]
	v_fmac_f64_e32 v[204:205], v[206:207], v[16:17]
	v_add_f64 v[10:11], v[10:11], -v[204:205]
	ds_read2_b64 v[204:207], v202 offset0:114 offset1:115
	v_add_f64 v[8:9], v[8:9], -v[18:19]
	;; [unrolled: 8-line block ×4, first 2 shown]
	s_waitcnt lgkmcnt(0)
	v_mul_f64 v[18:19], v[206:207], v[208:209]
	v_fma_f64 v[18:19], v[204:205], v[16:17], -v[18:19]
	v_mul_f64 v[204:205], v[204:205], v[208:209]
	v_fmac_f64_e32 v[204:205], v[206:207], v[16:17]
	v_add_f64 v[236:237], v[236:237], -v[18:19]
	v_add_f64 v[238:239], v[238:239], -v[204:205]
	v_mov_b64_e32 v[18:19], v[208:209]
.LBB119_496:
	s_or_b64 exec, exec, s[2:3]
	v_cmp_eq_u32_e32 vcc, 55, v200
	s_waitcnt lgkmcnt(0)
	s_barrier
	s_and_saveexec_b64 s[4:5], vcc
	s_cbranch_execz .LBB119_503
; %bb.497:
	ds_write2_b64 v201, v[12:13], v[14:15] offset1:1
	ds_write2_b64 v202, v[8:9], v[10:11] offset0:112 offset1:113
	ds_write2_b64 v202, v[4:5], v[6:7] offset0:114 offset1:115
	;; [unrolled: 1-line block ×4, first 2 shown]
	ds_read2_b64 v[208:211], v201 offset1:1
	s_waitcnt lgkmcnt(0)
	v_cmp_neq_f64_e32 vcc, 0, v[208:209]
	v_cmp_neq_f64_e64 s[2:3], 0, v[210:211]
	s_or_b64 s[2:3], vcc, s[2:3]
	s_and_b64 exec, exec, s[2:3]
	s_cbranch_execz .LBB119_503
; %bb.498:
	v_cmp_ngt_f64_e64 s[2:3], |v[208:209]|, |v[210:211]|
                                        ; implicit-def: $vgpr204_vgpr205
	s_and_saveexec_b64 s[10:11], s[2:3]
	s_xor_b64 s[2:3], exec, s[10:11]
                                        ; implicit-def: $vgpr206_vgpr207
	s_cbranch_execz .LBB119_500
; %bb.499:
	v_div_scale_f64 v[204:205], s[10:11], v[210:211], v[210:211], v[208:209]
	v_rcp_f64_e32 v[206:207], v[204:205]
	v_div_scale_f64 v[212:213], vcc, v[208:209], v[210:211], v[208:209]
	v_fma_f64 v[214:215], -v[204:205], v[206:207], 1.0
	v_fmac_f64_e32 v[206:207], v[206:207], v[214:215]
	v_fma_f64 v[214:215], -v[204:205], v[206:207], 1.0
	v_fmac_f64_e32 v[206:207], v[206:207], v[214:215]
	v_mul_f64 v[214:215], v[212:213], v[206:207]
	v_fma_f64 v[204:205], -v[204:205], v[214:215], v[212:213]
	v_div_fmas_f64 v[204:205], v[204:205], v[206:207], v[214:215]
	v_div_fixup_f64 v[204:205], v[204:205], v[210:211], v[208:209]
	v_fmac_f64_e32 v[210:211], v[208:209], v[204:205]
	v_div_scale_f64 v[206:207], s[10:11], v[210:211], v[210:211], 1.0
	v_rcp_f64_e32 v[208:209], v[206:207]
	s_nop 0
	v_fma_f64 v[212:213], -v[206:207], v[208:209], 1.0
	v_fmac_f64_e32 v[208:209], v[208:209], v[212:213]
	v_fma_f64 v[212:213], -v[206:207], v[208:209], 1.0
	v_fmac_f64_e32 v[208:209], v[208:209], v[212:213]
	v_div_scale_f64 v[212:213], vcc, 1.0, v[210:211], 1.0
	v_mul_f64 v[214:215], v[212:213], v[208:209]
	v_fma_f64 v[206:207], -v[206:207], v[214:215], v[212:213]
	s_nop 1
	v_div_fmas_f64 v[206:207], v[206:207], v[208:209], v[214:215]
	v_div_fixup_f64 v[206:207], v[206:207], v[210:211], 1.0
	v_mul_f64 v[204:205], v[204:205], v[206:207]
	v_xor_b32_e32 v207, 0x80000000, v207
                                        ; implicit-def: $vgpr208_vgpr209
.LBB119_500:
	s_andn2_saveexec_b64 s[2:3], s[2:3]
	s_cbranch_execz .LBB119_502
; %bb.501:
	v_div_scale_f64 v[204:205], s[10:11], v[208:209], v[208:209], v[210:211]
	v_rcp_f64_e32 v[206:207], v[204:205]
	v_div_scale_f64 v[212:213], vcc, v[210:211], v[208:209], v[210:211]
	v_fma_f64 v[214:215], -v[204:205], v[206:207], 1.0
	v_fmac_f64_e32 v[206:207], v[206:207], v[214:215]
	v_fma_f64 v[214:215], -v[204:205], v[206:207], 1.0
	v_fmac_f64_e32 v[206:207], v[206:207], v[214:215]
	v_mul_f64 v[214:215], v[212:213], v[206:207]
	v_fma_f64 v[204:205], -v[204:205], v[214:215], v[212:213]
	v_div_fmas_f64 v[204:205], v[204:205], v[206:207], v[214:215]
	v_div_fixup_f64 v[206:207], v[204:205], v[208:209], v[210:211]
	v_fmac_f64_e32 v[208:209], v[210:211], v[206:207]
	v_div_scale_f64 v[204:205], s[10:11], v[208:209], v[208:209], 1.0
	v_rcp_f64_e32 v[210:211], v[204:205]
	s_nop 0
	v_fma_f64 v[212:213], -v[204:205], v[210:211], 1.0
	v_fmac_f64_e32 v[210:211], v[210:211], v[212:213]
	v_fma_f64 v[212:213], -v[204:205], v[210:211], 1.0
	v_fmac_f64_e32 v[210:211], v[210:211], v[212:213]
	v_div_scale_f64 v[212:213], vcc, 1.0, v[208:209], 1.0
	v_mul_f64 v[214:215], v[212:213], v[210:211]
	v_fma_f64 v[204:205], -v[204:205], v[214:215], v[212:213]
	s_nop 1
	v_div_fmas_f64 v[204:205], v[204:205], v[210:211], v[214:215]
	v_div_fixup_f64 v[204:205], v[204:205], v[208:209], 1.0
	v_mul_f64 v[206:207], v[206:207], -v[204:205]
.LBB119_502:
	s_or_b64 exec, exec, s[2:3]
	ds_write2_b64 v201, v[204:205], v[206:207] offset1:1
.LBB119_503:
	s_or_b64 exec, exec, s[4:5]
	s_waitcnt lgkmcnt(0)
	s_barrier
	ds_read2_b64 v[220:223], v201 offset1:1
	v_cmp_lt_u32_e32 vcc, 55, v200
	s_and_saveexec_b64 s[2:3], vcc
	s_cbranch_execz .LBB119_505
; %bb.504:
	ds_read2_b64 v[204:207], v202 offset0:112 offset1:113
	s_waitcnt lgkmcnt(1)
	v_mul_f64 v[208:209], v[220:221], v[14:15]
	v_fmac_f64_e32 v[208:209], v[222:223], v[12:13]
	v_mul_f64 v[14:15], v[222:223], v[14:15]
	v_fma_f64 v[12:13], v[220:221], v[12:13], -v[14:15]
	s_waitcnt lgkmcnt(0)
	v_mul_f64 v[14:15], v[206:207], v[208:209]
	v_fma_f64 v[14:15], v[204:205], v[12:13], -v[14:15]
	v_mul_f64 v[204:205], v[204:205], v[208:209]
	v_fmac_f64_e32 v[204:205], v[206:207], v[12:13]
	v_add_f64 v[10:11], v[10:11], -v[204:205]
	ds_read2_b64 v[204:207], v202 offset0:114 offset1:115
	v_add_f64 v[8:9], v[8:9], -v[14:15]
	s_waitcnt lgkmcnt(0)
	v_mul_f64 v[14:15], v[206:207], v[208:209]
	v_fma_f64 v[14:15], v[204:205], v[12:13], -v[14:15]
	v_mul_f64 v[204:205], v[204:205], v[208:209]
	v_fmac_f64_e32 v[204:205], v[206:207], v[12:13]
	v_add_f64 v[6:7], v[6:7], -v[204:205]
	ds_read2_b64 v[204:207], v202 offset0:116 offset1:117
	v_add_f64 v[4:5], v[4:5], -v[14:15]
	;; [unrolled: 8-line block ×3, first 2 shown]
	s_waitcnt lgkmcnt(0)
	v_mul_f64 v[14:15], v[206:207], v[208:209]
	v_fma_f64 v[14:15], v[204:205], v[12:13], -v[14:15]
	v_mul_f64 v[204:205], v[204:205], v[208:209]
	v_fmac_f64_e32 v[204:205], v[206:207], v[12:13]
	v_add_f64 v[236:237], v[236:237], -v[14:15]
	v_add_f64 v[238:239], v[238:239], -v[204:205]
	v_mov_b64_e32 v[14:15], v[208:209]
.LBB119_505:
	s_or_b64 exec, exec, s[2:3]
	v_cmp_eq_u32_e32 vcc, 56, v200
	s_waitcnt lgkmcnt(0)
	s_barrier
	s_and_saveexec_b64 s[4:5], vcc
	s_cbranch_execz .LBB119_512
; %bb.506:
	ds_write2_b64 v201, v[8:9], v[10:11] offset1:1
	ds_write2_b64 v202, v[4:5], v[6:7] offset0:114 offset1:115
	ds_write2_b64 v202, v[0:1], v[2:3] offset0:116 offset1:117
	;; [unrolled: 1-line block ×3, first 2 shown]
	ds_read2_b64 v[208:211], v201 offset1:1
	s_waitcnt lgkmcnt(0)
	v_cmp_neq_f64_e32 vcc, 0, v[208:209]
	v_cmp_neq_f64_e64 s[2:3], 0, v[210:211]
	s_or_b64 s[2:3], vcc, s[2:3]
	s_and_b64 exec, exec, s[2:3]
	s_cbranch_execz .LBB119_512
; %bb.507:
	v_cmp_ngt_f64_e64 s[2:3], |v[208:209]|, |v[210:211]|
                                        ; implicit-def: $vgpr204_vgpr205
	s_and_saveexec_b64 s[10:11], s[2:3]
	s_xor_b64 s[2:3], exec, s[10:11]
                                        ; implicit-def: $vgpr206_vgpr207
	s_cbranch_execz .LBB119_509
; %bb.508:
	v_div_scale_f64 v[204:205], s[10:11], v[210:211], v[210:211], v[208:209]
	v_rcp_f64_e32 v[206:207], v[204:205]
	v_div_scale_f64 v[212:213], vcc, v[208:209], v[210:211], v[208:209]
	v_fma_f64 v[214:215], -v[204:205], v[206:207], 1.0
	v_fmac_f64_e32 v[206:207], v[206:207], v[214:215]
	v_fma_f64 v[214:215], -v[204:205], v[206:207], 1.0
	v_fmac_f64_e32 v[206:207], v[206:207], v[214:215]
	v_mul_f64 v[214:215], v[212:213], v[206:207]
	v_fma_f64 v[204:205], -v[204:205], v[214:215], v[212:213]
	v_div_fmas_f64 v[204:205], v[204:205], v[206:207], v[214:215]
	v_div_fixup_f64 v[204:205], v[204:205], v[210:211], v[208:209]
	v_fmac_f64_e32 v[210:211], v[208:209], v[204:205]
	v_div_scale_f64 v[206:207], s[10:11], v[210:211], v[210:211], 1.0
	v_rcp_f64_e32 v[208:209], v[206:207]
	s_nop 0
	v_fma_f64 v[212:213], -v[206:207], v[208:209], 1.0
	v_fmac_f64_e32 v[208:209], v[208:209], v[212:213]
	v_fma_f64 v[212:213], -v[206:207], v[208:209], 1.0
	v_fmac_f64_e32 v[208:209], v[208:209], v[212:213]
	v_div_scale_f64 v[212:213], vcc, 1.0, v[210:211], 1.0
	v_mul_f64 v[214:215], v[212:213], v[208:209]
	v_fma_f64 v[206:207], -v[206:207], v[214:215], v[212:213]
	s_nop 1
	v_div_fmas_f64 v[206:207], v[206:207], v[208:209], v[214:215]
	v_div_fixup_f64 v[206:207], v[206:207], v[210:211], 1.0
	v_mul_f64 v[204:205], v[204:205], v[206:207]
	v_xor_b32_e32 v207, 0x80000000, v207
                                        ; implicit-def: $vgpr208_vgpr209
.LBB119_509:
	s_andn2_saveexec_b64 s[2:3], s[2:3]
	s_cbranch_execz .LBB119_511
; %bb.510:
	v_div_scale_f64 v[204:205], s[10:11], v[208:209], v[208:209], v[210:211]
	v_rcp_f64_e32 v[206:207], v[204:205]
	v_div_scale_f64 v[212:213], vcc, v[210:211], v[208:209], v[210:211]
	v_fma_f64 v[214:215], -v[204:205], v[206:207], 1.0
	v_fmac_f64_e32 v[206:207], v[206:207], v[214:215]
	v_fma_f64 v[214:215], -v[204:205], v[206:207], 1.0
	v_fmac_f64_e32 v[206:207], v[206:207], v[214:215]
	v_mul_f64 v[214:215], v[212:213], v[206:207]
	v_fma_f64 v[204:205], -v[204:205], v[214:215], v[212:213]
	v_div_fmas_f64 v[204:205], v[204:205], v[206:207], v[214:215]
	v_div_fixup_f64 v[206:207], v[204:205], v[208:209], v[210:211]
	v_fmac_f64_e32 v[208:209], v[210:211], v[206:207]
	v_div_scale_f64 v[204:205], s[10:11], v[208:209], v[208:209], 1.0
	v_rcp_f64_e32 v[210:211], v[204:205]
	s_nop 0
	v_fma_f64 v[212:213], -v[204:205], v[210:211], 1.0
	v_fmac_f64_e32 v[210:211], v[210:211], v[212:213]
	v_fma_f64 v[212:213], -v[204:205], v[210:211], 1.0
	v_fmac_f64_e32 v[210:211], v[210:211], v[212:213]
	v_div_scale_f64 v[212:213], vcc, 1.0, v[208:209], 1.0
	v_mul_f64 v[214:215], v[212:213], v[210:211]
	v_fma_f64 v[204:205], -v[204:205], v[214:215], v[212:213]
	s_nop 1
	v_div_fmas_f64 v[204:205], v[204:205], v[210:211], v[214:215]
	v_div_fixup_f64 v[204:205], v[204:205], v[208:209], 1.0
	v_mul_f64 v[206:207], v[206:207], -v[204:205]
.LBB119_511:
	s_or_b64 exec, exec, s[2:3]
	ds_write2_b64 v201, v[204:205], v[206:207] offset1:1
.LBB119_512:
	s_or_b64 exec, exec, s[4:5]
	s_waitcnt lgkmcnt(0)
	s_barrier
	ds_read2_b64 v[240:243], v201 offset1:1
	v_cmp_lt_u32_e32 vcc, 56, v200
	s_and_saveexec_b64 s[2:3], vcc
	s_cbranch_execz .LBB119_514
; %bb.513:
	ds_read2_b64 v[204:207], v202 offset0:114 offset1:115
	s_waitcnt lgkmcnt(1)
	v_mul_f64 v[208:209], v[240:241], v[10:11]
	v_fmac_f64_e32 v[208:209], v[242:243], v[8:9]
	v_mul_f64 v[10:11], v[242:243], v[10:11]
	v_fma_f64 v[8:9], v[240:241], v[8:9], -v[10:11]
	s_waitcnt lgkmcnt(0)
	v_mul_f64 v[10:11], v[206:207], v[208:209]
	v_fma_f64 v[10:11], v[204:205], v[8:9], -v[10:11]
	v_mul_f64 v[204:205], v[204:205], v[208:209]
	v_fmac_f64_e32 v[204:205], v[206:207], v[8:9]
	v_add_f64 v[6:7], v[6:7], -v[204:205]
	ds_read2_b64 v[204:207], v202 offset0:116 offset1:117
	v_add_f64 v[4:5], v[4:5], -v[10:11]
	s_waitcnt lgkmcnt(0)
	v_mul_f64 v[10:11], v[206:207], v[208:209]
	v_fma_f64 v[10:11], v[204:205], v[8:9], -v[10:11]
	v_mul_f64 v[204:205], v[204:205], v[208:209]
	v_fmac_f64_e32 v[204:205], v[206:207], v[8:9]
	v_add_f64 v[2:3], v[2:3], -v[204:205]
	ds_read2_b64 v[204:207], v202 offset0:118 offset1:119
	v_add_f64 v[0:1], v[0:1], -v[10:11]
	s_waitcnt lgkmcnt(0)
	v_mul_f64 v[10:11], v[206:207], v[208:209]
	v_fma_f64 v[10:11], v[204:205], v[8:9], -v[10:11]
	v_mul_f64 v[204:205], v[204:205], v[208:209]
	v_fmac_f64_e32 v[204:205], v[206:207], v[8:9]
	v_add_f64 v[236:237], v[236:237], -v[10:11]
	v_add_f64 v[238:239], v[238:239], -v[204:205]
	v_mov_b64_e32 v[10:11], v[208:209]
.LBB119_514:
	s_or_b64 exec, exec, s[2:3]
	v_cmp_eq_u32_e32 vcc, 57, v200
	s_waitcnt lgkmcnt(0)
	s_barrier
	s_and_saveexec_b64 s[4:5], vcc
	s_cbranch_execz .LBB119_521
; %bb.515:
	ds_write2_b64 v201, v[4:5], v[6:7] offset1:1
	ds_write2_b64 v202, v[0:1], v[2:3] offset0:116 offset1:117
	ds_write2_b64 v202, v[236:237], v[238:239] offset0:118 offset1:119
	ds_read2_b64 v[208:211], v201 offset1:1
	s_waitcnt lgkmcnt(0)
	v_cmp_neq_f64_e32 vcc, 0, v[208:209]
	v_cmp_neq_f64_e64 s[2:3], 0, v[210:211]
	s_or_b64 s[2:3], vcc, s[2:3]
	s_and_b64 exec, exec, s[2:3]
	s_cbranch_execz .LBB119_521
; %bb.516:
	v_cmp_ngt_f64_e64 s[2:3], |v[208:209]|, |v[210:211]|
                                        ; implicit-def: $vgpr204_vgpr205
	s_and_saveexec_b64 s[10:11], s[2:3]
	s_xor_b64 s[2:3], exec, s[10:11]
                                        ; implicit-def: $vgpr206_vgpr207
	s_cbranch_execz .LBB119_518
; %bb.517:
	v_div_scale_f64 v[204:205], s[10:11], v[210:211], v[210:211], v[208:209]
	v_rcp_f64_e32 v[206:207], v[204:205]
	v_div_scale_f64 v[212:213], vcc, v[208:209], v[210:211], v[208:209]
	v_fma_f64 v[214:215], -v[204:205], v[206:207], 1.0
	v_fmac_f64_e32 v[206:207], v[206:207], v[214:215]
	v_fma_f64 v[214:215], -v[204:205], v[206:207], 1.0
	v_fmac_f64_e32 v[206:207], v[206:207], v[214:215]
	v_mul_f64 v[214:215], v[212:213], v[206:207]
	v_fma_f64 v[204:205], -v[204:205], v[214:215], v[212:213]
	v_div_fmas_f64 v[204:205], v[204:205], v[206:207], v[214:215]
	v_div_fixup_f64 v[204:205], v[204:205], v[210:211], v[208:209]
	v_fmac_f64_e32 v[210:211], v[208:209], v[204:205]
	v_div_scale_f64 v[206:207], s[10:11], v[210:211], v[210:211], 1.0
	v_rcp_f64_e32 v[208:209], v[206:207]
	s_nop 0
	v_fma_f64 v[212:213], -v[206:207], v[208:209], 1.0
	v_fmac_f64_e32 v[208:209], v[208:209], v[212:213]
	v_fma_f64 v[212:213], -v[206:207], v[208:209], 1.0
	v_fmac_f64_e32 v[208:209], v[208:209], v[212:213]
	v_div_scale_f64 v[212:213], vcc, 1.0, v[210:211], 1.0
	v_mul_f64 v[214:215], v[212:213], v[208:209]
	v_fma_f64 v[206:207], -v[206:207], v[214:215], v[212:213]
	s_nop 1
	v_div_fmas_f64 v[206:207], v[206:207], v[208:209], v[214:215]
	v_div_fixup_f64 v[206:207], v[206:207], v[210:211], 1.0
	v_mul_f64 v[204:205], v[204:205], v[206:207]
	v_xor_b32_e32 v207, 0x80000000, v207
                                        ; implicit-def: $vgpr208_vgpr209
.LBB119_518:
	s_andn2_saveexec_b64 s[2:3], s[2:3]
	s_cbranch_execz .LBB119_520
; %bb.519:
	v_div_scale_f64 v[204:205], s[10:11], v[208:209], v[208:209], v[210:211]
	v_rcp_f64_e32 v[206:207], v[204:205]
	v_div_scale_f64 v[212:213], vcc, v[210:211], v[208:209], v[210:211]
	v_fma_f64 v[214:215], -v[204:205], v[206:207], 1.0
	v_fmac_f64_e32 v[206:207], v[206:207], v[214:215]
	v_fma_f64 v[214:215], -v[204:205], v[206:207], 1.0
	v_fmac_f64_e32 v[206:207], v[206:207], v[214:215]
	v_mul_f64 v[214:215], v[212:213], v[206:207]
	v_fma_f64 v[204:205], -v[204:205], v[214:215], v[212:213]
	v_div_fmas_f64 v[204:205], v[204:205], v[206:207], v[214:215]
	v_div_fixup_f64 v[206:207], v[204:205], v[208:209], v[210:211]
	v_fmac_f64_e32 v[208:209], v[210:211], v[206:207]
	v_div_scale_f64 v[204:205], s[10:11], v[208:209], v[208:209], 1.0
	v_rcp_f64_e32 v[210:211], v[204:205]
	s_nop 0
	v_fma_f64 v[212:213], -v[204:205], v[210:211], 1.0
	v_fmac_f64_e32 v[210:211], v[210:211], v[212:213]
	v_fma_f64 v[212:213], -v[204:205], v[210:211], 1.0
	v_fmac_f64_e32 v[210:211], v[210:211], v[212:213]
	v_div_scale_f64 v[212:213], vcc, 1.0, v[208:209], 1.0
	v_mul_f64 v[214:215], v[212:213], v[210:211]
	v_fma_f64 v[204:205], -v[204:205], v[214:215], v[212:213]
	s_nop 1
	v_div_fmas_f64 v[204:205], v[204:205], v[210:211], v[214:215]
	v_div_fixup_f64 v[204:205], v[204:205], v[208:209], 1.0
	v_mul_f64 v[206:207], v[206:207], -v[204:205]
.LBB119_520:
	s_or_b64 exec, exec, s[2:3]
	ds_write2_b64 v201, v[204:205], v[206:207] offset1:1
.LBB119_521:
	s_or_b64 exec, exec, s[4:5]
	s_waitcnt lgkmcnt(0)
	s_barrier
	ds_read2_b64 v[216:219], v201 offset1:1
	v_cmp_lt_u32_e32 vcc, 57, v200
	s_and_saveexec_b64 s[2:3], vcc
	s_cbranch_execz .LBB119_523
; %bb.522:
	ds_read2_b64 v[204:207], v202 offset0:116 offset1:117
	s_waitcnt lgkmcnt(1)
	v_mul_f64 v[208:209], v[216:217], v[6:7]
	v_fmac_f64_e32 v[208:209], v[218:219], v[4:5]
	v_mul_f64 v[6:7], v[218:219], v[6:7]
	v_fma_f64 v[4:5], v[216:217], v[4:5], -v[6:7]
	s_waitcnt lgkmcnt(0)
	v_mul_f64 v[6:7], v[206:207], v[208:209]
	v_fma_f64 v[6:7], v[204:205], v[4:5], -v[6:7]
	v_mul_f64 v[204:205], v[204:205], v[208:209]
	v_fmac_f64_e32 v[204:205], v[206:207], v[4:5]
	v_add_f64 v[2:3], v[2:3], -v[204:205]
	ds_read2_b64 v[204:207], v202 offset0:118 offset1:119
	v_add_f64 v[0:1], v[0:1], -v[6:7]
	s_waitcnt lgkmcnt(0)
	v_mul_f64 v[6:7], v[206:207], v[208:209]
	v_fma_f64 v[6:7], v[204:205], v[4:5], -v[6:7]
	v_mul_f64 v[204:205], v[204:205], v[208:209]
	v_fmac_f64_e32 v[204:205], v[206:207], v[4:5]
	v_add_f64 v[236:237], v[236:237], -v[6:7]
	v_add_f64 v[238:239], v[238:239], -v[204:205]
	v_mov_b64_e32 v[6:7], v[208:209]
.LBB119_523:
	s_or_b64 exec, exec, s[2:3]
	v_cmp_eq_u32_e32 vcc, 58, v200
	s_waitcnt lgkmcnt(0)
	s_barrier
	s_and_saveexec_b64 s[4:5], vcc
	s_cbranch_execz .LBB119_530
; %bb.524:
	ds_write2_b64 v201, v[0:1], v[2:3] offset1:1
	ds_write2_b64 v202, v[236:237], v[238:239] offset0:118 offset1:119
	ds_read2_b64 v[208:211], v201 offset1:1
	s_waitcnt lgkmcnt(0)
	v_cmp_neq_f64_e32 vcc, 0, v[208:209]
	v_cmp_neq_f64_e64 s[2:3], 0, v[210:211]
	s_or_b64 s[2:3], vcc, s[2:3]
	s_and_b64 exec, exec, s[2:3]
	s_cbranch_execz .LBB119_530
; %bb.525:
	v_cmp_ngt_f64_e64 s[2:3], |v[208:209]|, |v[210:211]|
                                        ; implicit-def: $vgpr204_vgpr205
	s_and_saveexec_b64 s[10:11], s[2:3]
	s_xor_b64 s[2:3], exec, s[10:11]
                                        ; implicit-def: $vgpr206_vgpr207
	s_cbranch_execz .LBB119_527
; %bb.526:
	v_div_scale_f64 v[204:205], s[10:11], v[210:211], v[210:211], v[208:209]
	v_rcp_f64_e32 v[206:207], v[204:205]
	v_div_scale_f64 v[212:213], vcc, v[208:209], v[210:211], v[208:209]
	v_fma_f64 v[214:215], -v[204:205], v[206:207], 1.0
	v_fmac_f64_e32 v[206:207], v[206:207], v[214:215]
	v_fma_f64 v[214:215], -v[204:205], v[206:207], 1.0
	v_fmac_f64_e32 v[206:207], v[206:207], v[214:215]
	v_mul_f64 v[214:215], v[212:213], v[206:207]
	v_fma_f64 v[204:205], -v[204:205], v[214:215], v[212:213]
	v_div_fmas_f64 v[204:205], v[204:205], v[206:207], v[214:215]
	v_div_fixup_f64 v[204:205], v[204:205], v[210:211], v[208:209]
	v_fmac_f64_e32 v[210:211], v[208:209], v[204:205]
	v_div_scale_f64 v[206:207], s[10:11], v[210:211], v[210:211], 1.0
	v_rcp_f64_e32 v[208:209], v[206:207]
	s_nop 0
	v_fma_f64 v[212:213], -v[206:207], v[208:209], 1.0
	v_fmac_f64_e32 v[208:209], v[208:209], v[212:213]
	v_fma_f64 v[212:213], -v[206:207], v[208:209], 1.0
	v_fmac_f64_e32 v[208:209], v[208:209], v[212:213]
	v_div_scale_f64 v[212:213], vcc, 1.0, v[210:211], 1.0
	v_mul_f64 v[214:215], v[212:213], v[208:209]
	v_fma_f64 v[206:207], -v[206:207], v[214:215], v[212:213]
	s_nop 1
	v_div_fmas_f64 v[206:207], v[206:207], v[208:209], v[214:215]
	v_div_fixup_f64 v[206:207], v[206:207], v[210:211], 1.0
	v_mul_f64 v[204:205], v[204:205], v[206:207]
	v_xor_b32_e32 v207, 0x80000000, v207
                                        ; implicit-def: $vgpr208_vgpr209
.LBB119_527:
	s_andn2_saveexec_b64 s[2:3], s[2:3]
	s_cbranch_execz .LBB119_529
; %bb.528:
	v_div_scale_f64 v[204:205], s[10:11], v[208:209], v[208:209], v[210:211]
	v_rcp_f64_e32 v[206:207], v[204:205]
	v_div_scale_f64 v[212:213], vcc, v[210:211], v[208:209], v[210:211]
	v_fma_f64 v[214:215], -v[204:205], v[206:207], 1.0
	v_fmac_f64_e32 v[206:207], v[206:207], v[214:215]
	v_fma_f64 v[214:215], -v[204:205], v[206:207], 1.0
	v_fmac_f64_e32 v[206:207], v[206:207], v[214:215]
	v_mul_f64 v[214:215], v[212:213], v[206:207]
	v_fma_f64 v[204:205], -v[204:205], v[214:215], v[212:213]
	v_div_fmas_f64 v[204:205], v[204:205], v[206:207], v[214:215]
	v_div_fixup_f64 v[206:207], v[204:205], v[208:209], v[210:211]
	v_fmac_f64_e32 v[208:209], v[210:211], v[206:207]
	v_div_scale_f64 v[204:205], s[10:11], v[208:209], v[208:209], 1.0
	v_rcp_f64_e32 v[210:211], v[204:205]
	s_nop 0
	v_fma_f64 v[212:213], -v[204:205], v[210:211], 1.0
	v_fmac_f64_e32 v[210:211], v[210:211], v[212:213]
	v_fma_f64 v[212:213], -v[204:205], v[210:211], 1.0
	v_fmac_f64_e32 v[210:211], v[210:211], v[212:213]
	v_div_scale_f64 v[212:213], vcc, 1.0, v[208:209], 1.0
	v_mul_f64 v[214:215], v[212:213], v[210:211]
	v_fma_f64 v[204:205], -v[204:205], v[214:215], v[212:213]
	s_nop 1
	v_div_fmas_f64 v[204:205], v[204:205], v[210:211], v[214:215]
	v_div_fixup_f64 v[204:205], v[204:205], v[208:209], 1.0
	v_mul_f64 v[206:207], v[206:207], -v[204:205]
.LBB119_529:
	s_or_b64 exec, exec, s[2:3]
	ds_write2_b64 v201, v[204:205], v[206:207] offset1:1
.LBB119_530:
	s_or_b64 exec, exec, s[4:5]
	s_waitcnt lgkmcnt(0)
	s_barrier
	ds_read2_b64 v[212:215], v201 offset1:1
	v_cmp_lt_u32_e32 vcc, 58, v200
	s_and_saveexec_b64 s[2:3], vcc
	s_cbranch_execz .LBB119_532
; %bb.531:
	ds_read2_b64 v[202:205], v202 offset0:118 offset1:119
	s_waitcnt lgkmcnt(1)
	v_mul_f64 v[206:207], v[212:213], v[2:3]
	v_mul_f64 v[2:3], v[214:215], v[2:3]
	v_fmac_f64_e32 v[206:207], v[214:215], v[0:1]
	v_fma_f64 v[0:1], v[212:213], v[0:1], -v[2:3]
	s_waitcnt lgkmcnt(0)
	v_mul_f64 v[2:3], v[204:205], v[206:207]
	v_fma_f64 v[2:3], v[202:203], v[0:1], -v[2:3]
	v_mul_f64 v[202:203], v[202:203], v[206:207]
	v_fmac_f64_e32 v[202:203], v[204:205], v[0:1]
	v_add_f64 v[236:237], v[236:237], -v[2:3]
	v_add_f64 v[238:239], v[238:239], -v[202:203]
	v_mov_b64_e32 v[2:3], v[206:207]
.LBB119_532:
	s_or_b64 exec, exec, s[2:3]
	v_cmp_eq_u32_e32 vcc, 59, v200
	s_waitcnt lgkmcnt(0)
	s_barrier
	s_and_saveexec_b64 s[4:5], vcc
	s_cbranch_execz .LBB119_539
; %bb.533:
	v_cmp_neq_f64_e32 vcc, 0, v[236:237]
	v_cmp_neq_f64_e64 s[2:3], 0, v[238:239]
	s_or_b64 s[2:3], vcc, s[2:3]
	ds_write2_b64 v201, v[236:237], v[238:239] offset1:1
	s_and_b64 exec, exec, s[2:3]
	s_cbranch_execz .LBB119_539
; %bb.534:
	v_cmp_ngt_f64_e64 s[2:3], |v[236:237]|, |v[238:239]|
                                        ; implicit-def: $vgpr204_vgpr205
	s_and_saveexec_b64 s[10:11], s[2:3]
	s_xor_b64 s[2:3], exec, s[10:11]
                                        ; implicit-def: $vgpr206_vgpr207
	s_cbranch_execz .LBB119_536
; %bb.535:
	v_div_scale_f64 v[202:203], s[10:11], v[238:239], v[238:239], v[236:237]
	v_rcp_f64_e32 v[204:205], v[202:203]
	v_div_scale_f64 v[206:207], vcc, v[236:237], v[238:239], v[236:237]
	v_mov_b64_e32 v[192:193], v[196:197]
	v_fma_f64 v[208:209], -v[202:203], v[204:205], 1.0
	v_fmac_f64_e32 v[204:205], v[204:205], v[208:209]
	v_fma_f64 v[208:209], -v[202:203], v[204:205], 1.0
	v_fmac_f64_e32 v[204:205], v[204:205], v[208:209]
	v_mul_f64 v[208:209], v[206:207], v[204:205]
	v_fma_f64 v[202:203], -v[202:203], v[208:209], v[206:207]
	v_div_fmas_f64 v[202:203], v[202:203], v[204:205], v[208:209]
	v_div_fixup_f64 v[202:203], v[202:203], v[238:239], v[236:237]
	v_fma_f64 v[204:205], v[236:237], v[202:203], v[238:239]
	v_div_scale_f64 v[206:207], s[10:11], v[204:205], v[204:205], 1.0
	v_rcp_f64_e32 v[208:209], v[206:207]
	v_mov_b64_e32 v[194:195], v[198:199]
	v_fma_f64 v[210:211], -v[206:207], v[208:209], 1.0
	v_fmac_f64_e32 v[208:209], v[208:209], v[210:211]
	v_fma_f64 v[210:211], -v[206:207], v[208:209], 1.0
	v_fmac_f64_e32 v[208:209], v[208:209], v[210:211]
	v_div_scale_f64 v[210:211], vcc, 1.0, v[204:205], 1.0
	v_mul_f64 v[196:197], v[210:211], v[208:209]
	v_fma_f64 v[198:199], -v[206:207], v[196:197], v[210:211]
	s_nop 1
	v_div_fmas_f64 v[196:197], v[198:199], v[208:209], v[196:197]
	v_div_fixup_f64 v[206:207], v[196:197], v[204:205], 1.0
	v_mov_b64_e32 v[198:199], v[194:195]
	v_mov_b64_e32 v[196:197], v[192:193]
	v_mul_f64 v[204:205], v[202:203], v[206:207]
	v_xor_b32_e32 v207, 0x80000000, v207
.LBB119_536:
	s_andn2_saveexec_b64 s[2:3], s[2:3]
	s_cbranch_execz .LBB119_538
; %bb.537:
	v_mov_b64_e32 v[192:193], v[196:197]
	v_mov_b64_e32 v[194:195], v[198:199]
	v_div_scale_f64 v[196:197], s[10:11], v[236:237], v[236:237], v[238:239]
	v_rcp_f64_e32 v[198:199], v[196:197]
	v_div_scale_f64 v[202:203], vcc, v[238:239], v[236:237], v[238:239]
	v_fma_f64 v[204:205], -v[196:197], v[198:199], 1.0
	v_fmac_f64_e32 v[198:199], v[198:199], v[204:205]
	v_fma_f64 v[204:205], -v[196:197], v[198:199], 1.0
	v_fmac_f64_e32 v[198:199], v[198:199], v[204:205]
	v_mul_f64 v[204:205], v[202:203], v[198:199]
	v_fma_f64 v[196:197], -v[196:197], v[204:205], v[202:203]
	v_div_fmas_f64 v[196:197], v[196:197], v[198:199], v[204:205]
	v_div_fixup_f64 v[196:197], v[196:197], v[236:237], v[238:239]
	v_fma_f64 v[198:199], v[238:239], v[196:197], v[236:237]
	v_div_scale_f64 v[202:203], s[10:11], v[198:199], v[198:199], 1.0
	v_rcp_f64_e32 v[204:205], v[202:203]
	s_nop 0
	v_fma_f64 v[206:207], -v[202:203], v[204:205], 1.0
	v_fmac_f64_e32 v[204:205], v[204:205], v[206:207]
	v_fma_f64 v[206:207], -v[202:203], v[204:205], 1.0
	v_fmac_f64_e32 v[204:205], v[204:205], v[206:207]
	v_div_scale_f64 v[206:207], vcc, 1.0, v[198:199], 1.0
	v_mul_f64 v[208:209], v[206:207], v[204:205]
	v_fma_f64 v[202:203], -v[202:203], v[208:209], v[206:207]
	s_nop 1
	v_div_fmas_f64 v[202:203], v[202:203], v[204:205], v[208:209]
	v_div_fixup_f64 v[204:205], v[202:203], v[198:199], 1.0
	v_mul_f64 v[206:207], v[196:197], -v[204:205]
	v_mov_b64_e32 v[198:199], v[194:195]
	v_mov_b64_e32 v[196:197], v[192:193]
.LBB119_538:
	s_or_b64 exec, exec, s[2:3]
	ds_write2_b64 v201, v[204:205], v[206:207] offset1:1
.LBB119_539:
	s_or_b64 exec, exec, s[4:5]
	s_waitcnt lgkmcnt(0)
	s_barrier
	ds_read2_b64 v[208:211], v201 offset1:1
	v_mov_b64_e32 v[192:193], v[196:197]
	v_mov_b64_e32 v[194:195], v[198:199]
	s_waitcnt lgkmcnt(0)
	s_barrier
	s_and_saveexec_b64 s[2:3], s[0:1]
	s_cbranch_execz .LBB119_542
; %bb.540:
	scratch_load_dwordx4 v[196:199], off, off offset:640 ; 16-byte Folded Reload
	scratch_load_dwordx4 v[202:205], off, off offset:656 ; 16-byte Folded Reload
	s_waitcnt vmcnt(1)
	v_cmp_eq_f64_e32 vcc, 0, v[196:197]
	v_cmp_eq_f64_e64 s[0:1], 0, v[198:199]
	s_and_b64 s[4:5], vcc, s[0:1]
	s_waitcnt vmcnt(0)
	v_cmp_neq_f64_e32 vcc, 0, v[202:203]
	v_cmp_neq_f64_e64 s[0:1], 0, v[204:205]
	scratch_load_dwordx4 v[202:205], off, off offset:672 ; 16-byte Folded Reload
	s_or_b64 s[0:1], vcc, s[0:1]
	v_cndmask_b32_e64 v196, 0, 1, s[4:5]
	s_or_b64 vcc, s[0:1], s[4:5]
	v_cndmask_b32_e32 v196, 2, v196, vcc
	v_mov_b32_e32 v197, s7
	s_waitcnt vmcnt(0)
	v_cmp_eq_f64_e32 vcc, 0, v[202:203]
	v_cmp_eq_f64_e64 s[0:1], 0, v[204:205]
	scratch_load_dwordx4 v[202:205], off, off offset:688 ; 16-byte Folded Reload
	s_and_b64 s[0:1], vcc, s[0:1]
	v_cmp_eq_u32_e32 vcc, 0, v196
	s_and_b64 s[0:1], s[0:1], vcc
	v_cndmask_b32_e64 v196, v196, 3, s[0:1]
	s_waitcnt vmcnt(0)
	v_cmp_eq_f64_e32 vcc, 0, v[202:203]
	v_cmp_eq_f64_e64 s[0:1], 0, v[204:205]
	scratch_load_dwordx4 v[202:205], off, off offset:704 ; 16-byte Folded Reload
	s_and_b64 s[0:1], vcc, s[0:1]
	v_cmp_eq_u32_e32 vcc, 0, v196
	s_and_b64 s[0:1], s[0:1], vcc
	v_cndmask_b32_e64 v196, v196, 4, s[0:1]
	;; [unrolled: 8-line block ×44, first 2 shown]
	v_mov_b32_e32 v196, s6
	s_waitcnt vmcnt(0)
	v_cmp_eq_f64_e32 vcc, 0, v[202:203]
	scratch_load_dwordx2 v[202:203], off, off offset:1424 ; 8-byte Folded Reload
	v_cmp_eq_f64_e64 s[0:1], 0, v[204:205]
	s_and_b64 s[0:1], vcc, s[0:1]
	v_cmp_eq_u32_e32 vcc, 0, v198
	s_and_b64 s[0:1], s[0:1], vcc
	s_waitcnt vmcnt(0)
	v_lshl_add_u64 v[204:205], v[202:203], 2, v[196:197]
	v_cndmask_b32_e64 v197, v198, 47, s[0:1]
	v_mov_b32_e32 v202, v200
	v_mov_b64_e32 v[200:201], v[86:87]
	v_mov_b64_e32 v[198:199], v[84:85]
	;; [unrolled: 1-line block ×56, first 2 shown]
	scratch_load_dwordx4 v[244:247], off, off offset:1392 ; 16-byte Folded Reload
	global_load_dword v196, v[204:205], off
	s_waitcnt vmcnt(1)
	v_cmp_eq_f64_e32 vcc, 0, v[244:245]
	v_cmp_eq_f64_e64 s[0:1], 0, v[246:247]
	scratch_load_dwordx4 v[244:247], off, off offset:1408 ; 16-byte Folded Reload
	s_and_b64 s[0:1], vcc, s[0:1]
	v_cmp_eq_u32_e32 vcc, 0, v197
	s_and_b64 s[0:1], s[0:1], vcc
	v_cndmask_b32_e64 v197, v197, 48, s[0:1]
	v_cmp_eq_f64_e32 vcc, 0, v[188:189]
	v_cmp_eq_f64_e64 s[0:1], 0, v[190:191]
	s_and_b64 s[0:1], vcc, s[0:1]
	v_cmp_eq_u32_e32 vcc, 0, v197
	s_and_b64 s[0:1], s[0:1], vcc
	v_cndmask_b32_e64 v197, v197, 49, s[0:1]
	v_cmp_eq_f64_e32 vcc, 0, v[248:249]
	v_cmp_eq_f64_e64 s[0:1], 0, v[250:251]
	;; [unrolled: 6-line block ×3, first 2 shown]
	s_and_b64 s[0:1], vcc, s[0:1]
	v_cmp_eq_u32_e32 vcc, 0, v197
	s_and_b64 s[0:1], s[0:1], vcc
	v_mov_b64_e32 v[190:191], v[186:187]
	v_cndmask_b32_e64 v197, v197, 51, s[0:1]
	v_mov_b64_e32 v[188:189], v[184:185]
	v_mov_b64_e32 v[186:187], v[182:183]
	;; [unrolled: 1-line block ×53, first 2 shown]
	v_mov_b32_e32 v200, v202
	s_waitcnt vmcnt(0)
	v_cmp_eq_f64_e32 vcc, 0, v[244:245]
	v_cmp_eq_f64_e64 s[0:1], 0, v[246:247]
	s_and_b64 s[0:1], vcc, s[0:1]
	v_cmp_eq_u32_e32 vcc, 0, v197
	s_and_b64 s[0:1], s[0:1], vcc
	v_cndmask_b32_e64 v197, v197, 52, s[0:1]
	v_cmp_eq_f64_e32 vcc, 0, v[232:233]
	v_cmp_eq_f64_e64 s[0:1], 0, v[234:235]
	s_and_b64 s[0:1], vcc, s[0:1]
	v_cmp_eq_u32_e32 vcc, 0, v197
	s_and_b64 s[0:1], s[0:1], vcc
	v_cndmask_b32_e64 v197, v197, 53, s[0:1]
	;; [unrolled: 6-line block ×9, first 2 shown]
	v_cmp_eq_u32_e32 vcc, 0, v196
	v_cmp_ne_u32_e64 s[0:1], 0, v201
	s_and_b64 s[0:1], vcc, s[0:1]
	s_and_b64 exec, exec, s[0:1]
	s_cbranch_execz .LBB119_542
; %bb.541:
	v_add_u32_e32 v196, s9, v201
	global_store_dword v[204:205], v196, off
.LBB119_542:
	s_or_b64 exec, exec, s[2:3]
	v_mul_f64 v[196:197], v[210:211], v[238:239]
	v_mul_f64 v[198:199], v[208:209], v[238:239]
	v_cmp_lt_u32_e32 vcc, 59, v200
	v_fma_f64 v[196:197], v[208:209], v[236:237], -v[196:197]
	v_fmac_f64_e32 v[198:199], v[210:211], v[236:237]
	v_cndmask_b32_e32 v211, v239, v199, vcc
	v_cndmask_b32_e32 v210, v238, v198, vcc
	;; [unrolled: 1-line block ×4, first 2 shown]
	scratch_load_dwordx2 v[196:197], off, off offset:160 ; 8-byte Folded Reload
	scratch_load_dwordx4 v[198:201], off, off offset:144 ; 16-byte Folded Reload
	s_waitcnt vmcnt(0)
	global_store_dwordx4 v[196:197], v[198:201], off
	scratch_load_dwordx2 v[196:197], off, off offset:632 ; 8-byte Folded Reload
	s_nop 0
	scratch_load_dwordx4 v[198:201], off, off offset:128 ; 16-byte Folded Reload
	s_waitcnt vmcnt(0)
	global_store_dwordx4 v[196:197], v[198:201], off
	scratch_load_dwordx2 v[196:197], off, off offset:168 ; 8-byte Folded Reload
	s_nop 0
	;; [unrolled: 5-line block ×8, first 2 shown]
	scratch_load_dwordx4 v[198:201], off, off offset:16 ; 16-byte Folded Reload
	s_waitcnt vmcnt(0)
	global_store_dwordx4 v[196:197], v[198:201], off
	scratch_load_dwordx2 v[196:197], off, off offset:224 ; 8-byte Folded Reload
	s_waitcnt vmcnt(0)
	global_store_dwordx4 v[196:197], v[192:195], off
	scratch_load_dwordx2 v[196:197], off, off offset:232 ; 8-byte Folded Reload
	s_nop 0
	scratch_load_dwordx4 v[192:195], off, off ; 16-byte Folded Reload
	s_waitcnt vmcnt(0)
	global_store_dwordx4 v[196:197], v[192:195], off
	scratch_load_dwordx2 v[192:193], off, off offset:240 ; 8-byte Folded Reload
	s_waitcnt vmcnt(0)
	global_store_dwordx4 v[192:193], v[188:191], off
	scratch_load_dwordx2 v[188:189], off, off offset:248 ; 8-byte Folded Reload
	;; [unrolled: 3-line block ×49, first 2 shown]
	s_waitcnt vmcnt(0)
	global_store_dwordx4 v[0:1], v[208:211], off
.LBB119_543:
	s_endpgm
	.section	.rodata,"a",@progbits
	.p2align	6, 0x0
	.amdhsa_kernel _ZN9rocsolver6v33100L23getf2_npvt_small_kernelILi60E19rocblas_complex_numIdEiiPS3_EEvT1_T3_lS5_lPT2_S5_S5_
		.amdhsa_group_segment_fixed_size 0
		.amdhsa_private_segment_fixed_size 1436
		.amdhsa_kernarg_size 312
		.amdhsa_user_sgpr_count 2
		.amdhsa_user_sgpr_dispatch_ptr 0
		.amdhsa_user_sgpr_queue_ptr 0
		.amdhsa_user_sgpr_kernarg_segment_ptr 1
		.amdhsa_user_sgpr_dispatch_id 0
		.amdhsa_user_sgpr_kernarg_preload_length 0
		.amdhsa_user_sgpr_kernarg_preload_offset 0
		.amdhsa_user_sgpr_private_segment_size 0
		.amdhsa_uses_dynamic_stack 0
		.amdhsa_enable_private_segment 1
		.amdhsa_system_sgpr_workgroup_id_x 1
		.amdhsa_system_sgpr_workgroup_id_y 1
		.amdhsa_system_sgpr_workgroup_id_z 0
		.amdhsa_system_sgpr_workgroup_info 0
		.amdhsa_system_vgpr_workitem_id 1
		.amdhsa_next_free_vgpr 256
		.amdhsa_next_free_sgpr 18
		.amdhsa_accum_offset 256
		.amdhsa_reserve_vcc 1
		.amdhsa_float_round_mode_32 0
		.amdhsa_float_round_mode_16_64 0
		.amdhsa_float_denorm_mode_32 3
		.amdhsa_float_denorm_mode_16_64 3
		.amdhsa_dx10_clamp 1
		.amdhsa_ieee_mode 1
		.amdhsa_fp16_overflow 0
		.amdhsa_tg_split 0
		.amdhsa_exception_fp_ieee_invalid_op 0
		.amdhsa_exception_fp_denorm_src 0
		.amdhsa_exception_fp_ieee_div_zero 0
		.amdhsa_exception_fp_ieee_overflow 0
		.amdhsa_exception_fp_ieee_underflow 0
		.amdhsa_exception_fp_ieee_inexact 0
		.amdhsa_exception_int_div_zero 0
	.end_amdhsa_kernel
	.section	.text._ZN9rocsolver6v33100L23getf2_npvt_small_kernelILi60E19rocblas_complex_numIdEiiPS3_EEvT1_T3_lS5_lPT2_S5_S5_,"axG",@progbits,_ZN9rocsolver6v33100L23getf2_npvt_small_kernelILi60E19rocblas_complex_numIdEiiPS3_EEvT1_T3_lS5_lPT2_S5_S5_,comdat
.Lfunc_end119:
	.size	_ZN9rocsolver6v33100L23getf2_npvt_small_kernelILi60E19rocblas_complex_numIdEiiPS3_EEvT1_T3_lS5_lPT2_S5_S5_, .Lfunc_end119-_ZN9rocsolver6v33100L23getf2_npvt_small_kernelILi60E19rocblas_complex_numIdEiiPS3_EEvT1_T3_lS5_lPT2_S5_S5_
                                        ; -- End function
	.set _ZN9rocsolver6v33100L23getf2_npvt_small_kernelILi60E19rocblas_complex_numIdEiiPS3_EEvT1_T3_lS5_lPT2_S5_S5_.num_vgpr, 256
	.set _ZN9rocsolver6v33100L23getf2_npvt_small_kernelILi60E19rocblas_complex_numIdEiiPS3_EEvT1_T3_lS5_lPT2_S5_S5_.num_agpr, 0
	.set _ZN9rocsolver6v33100L23getf2_npvt_small_kernelILi60E19rocblas_complex_numIdEiiPS3_EEvT1_T3_lS5_lPT2_S5_S5_.numbered_sgpr, 18
	.set _ZN9rocsolver6v33100L23getf2_npvt_small_kernelILi60E19rocblas_complex_numIdEiiPS3_EEvT1_T3_lS5_lPT2_S5_S5_.num_named_barrier, 0
	.set _ZN9rocsolver6v33100L23getf2_npvt_small_kernelILi60E19rocblas_complex_numIdEiiPS3_EEvT1_T3_lS5_lPT2_S5_S5_.private_seg_size, 1436
	.set _ZN9rocsolver6v33100L23getf2_npvt_small_kernelILi60E19rocblas_complex_numIdEiiPS3_EEvT1_T3_lS5_lPT2_S5_S5_.uses_vcc, 1
	.set _ZN9rocsolver6v33100L23getf2_npvt_small_kernelILi60E19rocblas_complex_numIdEiiPS3_EEvT1_T3_lS5_lPT2_S5_S5_.uses_flat_scratch, 0
	.set _ZN9rocsolver6v33100L23getf2_npvt_small_kernelILi60E19rocblas_complex_numIdEiiPS3_EEvT1_T3_lS5_lPT2_S5_S5_.has_dyn_sized_stack, 0
	.set _ZN9rocsolver6v33100L23getf2_npvt_small_kernelILi60E19rocblas_complex_numIdEiiPS3_EEvT1_T3_lS5_lPT2_S5_S5_.has_recursion, 0
	.set _ZN9rocsolver6v33100L23getf2_npvt_small_kernelILi60E19rocblas_complex_numIdEiiPS3_EEvT1_T3_lS5_lPT2_S5_S5_.has_indirect_call, 0
	.section	.AMDGPU.csdata,"",@progbits
; Kernel info:
; codeLenInByte = 155768
; TotalNumSgprs: 24
; NumVgprs: 256
; NumAgprs: 0
; TotalNumVgprs: 256
; ScratchSize: 1436
; MemoryBound: 1
; FloatMode: 240
; IeeeMode: 1
; LDSByteSize: 0 bytes/workgroup (compile time only)
; SGPRBlocks: 2
; VGPRBlocks: 31
; NumSGPRsForWavesPerEU: 24
; NumVGPRsForWavesPerEU: 256
; AccumOffset: 256
; Occupancy: 2
; WaveLimiterHint : 0
; COMPUTE_PGM_RSRC2:SCRATCH_EN: 1
; COMPUTE_PGM_RSRC2:USER_SGPR: 2
; COMPUTE_PGM_RSRC2:TRAP_HANDLER: 0
; COMPUTE_PGM_RSRC2:TGID_X_EN: 1
; COMPUTE_PGM_RSRC2:TGID_Y_EN: 1
; COMPUTE_PGM_RSRC2:TGID_Z_EN: 0
; COMPUTE_PGM_RSRC2:TIDIG_COMP_CNT: 1
; COMPUTE_PGM_RSRC3_GFX90A:ACCUM_OFFSET: 63
; COMPUTE_PGM_RSRC3_GFX90A:TG_SPLIT: 0
	.section	.text._ZN9rocsolver6v33100L18getf2_small_kernelILi61E19rocblas_complex_numIdEiiPS3_EEvT1_T3_lS5_lPS5_llPT2_S5_S5_S7_l,"axG",@progbits,_ZN9rocsolver6v33100L18getf2_small_kernelILi61E19rocblas_complex_numIdEiiPS3_EEvT1_T3_lS5_lPS5_llPT2_S5_S5_S7_l,comdat
	.globl	_ZN9rocsolver6v33100L18getf2_small_kernelILi61E19rocblas_complex_numIdEiiPS3_EEvT1_T3_lS5_lPS5_llPT2_S5_S5_S7_l ; -- Begin function _ZN9rocsolver6v33100L18getf2_small_kernelILi61E19rocblas_complex_numIdEiiPS3_EEvT1_T3_lS5_lPS5_llPT2_S5_S5_S7_l
	.p2align	8
	.type	_ZN9rocsolver6v33100L18getf2_small_kernelILi61E19rocblas_complex_numIdEiiPS3_EEvT1_T3_lS5_lPS5_llPT2_S5_S5_S7_l,@function
_ZN9rocsolver6v33100L18getf2_small_kernelILi61E19rocblas_complex_numIdEiiPS3_EEvT1_T3_lS5_lPS5_llPT2_S5_S5_S7_l: ; @_ZN9rocsolver6v33100L18getf2_small_kernelILi61E19rocblas_complex_numIdEiiPS3_EEvT1_T3_lS5_lPS5_llPT2_S5_S5_S7_l
; %bb.0:
	s_load_dword s2, s[0:1], 0x6c
	s_load_dwordx2 s[52:53], s[0:1], 0x48
	v_bfe_u32 v6, v0, 10, 10
	s_waitcnt lgkmcnt(0)
	s_lshr_b32 s2, s2, 16
	s_mul_i32 s3, s3, s2
	v_add_u32_e32 v44, s3, v6
	v_cmp_gt_i32_e32 vcc, s52, v44
	s_and_saveexec_b64 s[2:3], vcc
	s_cbranch_execnz .LBB120_1
; %bb.1387:
	s_getpc_b64 s[98:99]
.Lpost_getpc17:
	s_add_u32 s98, s98, (.LBB120_1386-.Lpost_getpc17)&4294967295
	s_addc_u32 s99, s99, (.LBB120_1386-.Lpost_getpc17)>>32
	s_setpc_b64 s[98:99]
.LBB120_1:
	s_load_dwordx4 s[4:7], s[0:1], 0x50
                                        ; implicit-def: $vgpr128 : SGPR spill to VGPR lane
	v_ashrrev_i32_e32 v45, 31, v44
	v_writelane_b32 v128, s52, 0
	v_mov_b64_e32 v[46:47], 0
	s_waitcnt lgkmcnt(0)
	s_cmp_eq_u64 s[4:5], 0
	s_cselect_b64 s[18:19], -1, 0
	s_and_b64 vcc, exec, s[18:19]
	v_writelane_b32 v128, s53, 1
	s_cbranch_vccnz .LBB120_3
; %bb.2:
	v_mul_lo_u32 v1, s7, v44
	v_mul_lo_u32 v4, s6, v45
	v_mad_u64_u32 v[2:3], s[2:3], s6, v44, 0
	v_add3_u32 v3, v3, v4, v1
	v_lshl_add_u64 v[46:47], v[2:3], 2, s[4:5]
.LBB120_3:
	s_load_dwordx4 s[12:15], s[0:1], 0x8
	s_load_dwordx8 s[4:11], s[0:1], 0x20
	s_load_dword s2, s[0:1], 0x18
	s_load_dword s51, s[0:1], 0x0
	s_movk_i32 s20, 0x90
	s_waitcnt lgkmcnt(0)
	v_mov_b32_e32 v2, s12
	v_mul_lo_u32 v1, s5, v44
	v_mul_lo_u32 v7, s4, v45
	v_writelane_b32 v128, s4, 2
	v_mov_b32_e32 v3, s13
	s_add_i32 s3, s2, s2
	v_writelane_b32 v128, s5, 3
	v_writelane_b32 v128, s6, 4
	;; [unrolled: 1-line block ×7, first 2 shown]
	v_mad_u64_u32 v[4:5], s[4:5], s4, v44, 0
	v_add3_u32 v5, v5, v7, v1
	v_lshl_add_u64 v[2:3], v[4:5], 4, v[2:3]
	v_and_b32_e32 v7, 0x3ff, v0
	v_lshl_add_u64 v[48:49], s[14:15], 4, v[2:3]
	v_lshlrev_b32_e32 v4, 4, v7
	v_mov_b32_e32 v5, 0
	v_add_u32_e32 v0, s3, v7
	v_lshl_add_u64 v[62:63], v[48:49], 0, v[4:5]
	v_writelane_b32 v128, s3, 10
	s_ashr_i32 s3, s2, 31
	v_ashrrev_i32_e32 v1, 31, v0
	v_add_u32_e32 v2, s2, v0
	v_lshl_add_u64 v[20:21], s[2:3], 4, v[62:63]
	v_lshl_add_u64 v[0:1], v[0:1], 4, v[48:49]
	global_load_dwordx4 v[8:11], v[62:63], off
	v_ashrrev_i32_e32 v3, 31, v2
	global_load_dwordx4 v[12:15], v[20:21], off
	global_load_dwordx4 v[16:19], v[0:1], off
	v_add_u32_e32 v0, s2, v2
	v_lshl_add_u64 v[28:29], v[2:3], 4, v[48:49]
	v_ashrrev_i32_e32 v1, 31, v0
	v_add_u32_e32 v2, s2, v0
	v_lshl_add_u64 v[0:1], v[0:1], 4, v[48:49]
	v_ashrrev_i32_e32 v3, 31, v2
	v_add_u32_e32 v30, s2, v2
	global_load_dwordx4 v[20:23], v[28:29], off
	global_load_dwordx4 v[24:27], v[0:1], off
	v_lshl_add_u64 v[0:1], v[2:3], 4, v[48:49]
	v_add_u32_e32 v2, s2, v30
	v_ashrrev_i32_e32 v31, 31, v30
	v_ashrrev_i32_e32 v3, 31, v2
	v_add_u32_e32 v38, s2, v2
	v_lshl_add_u64 v[36:37], v[30:31], 4, v[48:49]
	global_load_dwordx4 v[28:31], v[0:1], off
	global_load_dwordx4 v[32:35], v[36:37], off
	v_lshl_add_u64 v[0:1], v[2:3], 4, v[48:49]
	v_ashrrev_i32_e32 v39, 31, v38
	v_add_u32_e32 v2, s2, v38
	v_lshl_add_u64 v[50:51], v[38:39], 4, v[48:49]
	global_load_dwordx4 v[36:39], v[0:1], off
	global_load_dwordx4 v[40:43], v[50:51], off
	v_ashrrev_i32_e32 v3, 31, v2
	v_lshl_add_u64 v[0:1], v[2:3], 4, v[48:49]
	global_load_dwordx4 v[50:53], v[0:1], off
	v_add_u32_e32 v0, s2, v2
	v_ashrrev_i32_e32 v1, 31, v0
	v_add_u32_e32 v64, s2, v0
	v_lshl_add_u64 v[0:1], v[0:1], 4, v[48:49]
	v_ashrrev_i32_e32 v65, 31, v64
	global_load_dwordx4 v[54:57], v[0:1], off
	v_lshl_add_u64 v[66:67], v[64:65], 4, v[48:49]
	global_load_dwordx4 v[58:61], v[66:67], off
	global_load_dwordx4 v[0:3], v[62:63], off
	v_add_u32_e32 v62, s2, v64
	v_add_u32_e32 v66, s2, v62
	;; [unrolled: 1-line block ×6, first 2 shown]
	v_ashrrev_i32_e32 v63, 31, v62
	v_ashrrev_i32_e32 v67, 31, v66
	;; [unrolled: 1-line block ×4, first 2 shown]
	v_add_u32_e32 v88, s2, v84
	v_lshl_add_u64 v[62:63], v[62:63], 4, v[48:49]
	v_lshl_add_u64 v[74:75], v[66:67], 4, v[48:49]
	;; [unrolled: 1-line block ×4, first 2 shown]
	v_ashrrev_i32_e32 v81, 31, v80
	v_ashrrev_i32_e32 v85, 31, v84
	;; [unrolled: 1-line block ×3, first 2 shown]
	global_load_dwordx4 v[62:65], v[62:63], off
	s_nop 0
	global_load_dwordx4 v[66:69], v[74:75], off
	global_load_dwordx4 v[70:73], v[78:79], off
	v_lshl_add_u64 v[86:87], v[80:81], 4, v[48:49]
	global_load_dwordx4 v[74:77], v[82:83], off
	global_load_dwordx4 v[78:81], v[86:87], off
	v_lshl_add_u64 v[82:83], v[84:85], 4, v[48:49]
	s_load_dwordx2 s[0:1], s[0:1], 0x40
	s_movk_i32 s12, 0x50
	s_movk_i32 s13, 0x60
	;; [unrolled: 1-line block ×4, first 2 shown]
	s_waitcnt lgkmcnt(0)
	v_writelane_b32 v128, s0, 11
	s_movk_i32 s21, 0xa0
	s_movk_i32 s22, 0xb0
	v_writelane_b32 v128, s1, 12
	s_max_i32 s0, s51, 61
	v_mul_lo_u32 v6, s0, v6
	s_waitcnt vmcnt(17)
	scratch_store_dwordx4 off, v[8:11], off
	s_waitcnt vmcnt(15)
	scratch_store_dwordx4 off, v[20:23], off offset:48
	scratch_store_dwordx4 off, v[12:15], off offset:16
	scratch_store_dwordx4 off, v[16:19], off offset:32
	s_waitcnt vmcnt(17)
	scratch_store_dwordx4 off, v[24:27], off offset:64
	s_waitcnt vmcnt(17)
	scratch_store_dwordx4 off, v[28:31], off offset:80
	;; [unrolled: 2-line block ×6, first 2 shown]
	v_lshl_add_u64 v[16:17], v[88:89], 4, v[48:49]
	global_load_dwordx4 v[8:11], v[82:83], off
	global_load_dwordx4 v[12:15], v[16:17], off
	v_add_u32_e32 v16, s2, v88
	v_ashrrev_i32_e32 v17, 31, v16
	v_add_u32_e32 v26, s2, v16
	v_lshl_add_u64 v[24:25], v[16:17], 4, v[48:49]
	v_ashrrev_i32_e32 v27, 31, v26
	v_lshl_add_u64 v[28:29], v[26:27], 4, v[48:49]
	global_load_dwordx4 v[16:19], v[24:25], off
	global_load_dwordx4 v[20:23], v[28:29], off
	v_add_u32_e32 v24, s2, v26
	v_ashrrev_i32_e32 v25, 31, v24
	v_add_u32_e32 v34, s2, v24
	v_lshl_add_u64 v[32:33], v[24:25], 4, v[48:49]
	v_ashrrev_i32_e32 v35, 31, v34
	v_lshl_add_u64 v[36:37], v[34:35], 4, v[48:49]
	global_load_dwordx4 v[24:27], v[32:33], off
	global_load_dwordx4 v[28:31], v[36:37], off
	v_add_u32_e32 v32, s2, v34
	v_ashrrev_i32_e32 v33, 31, v32
	v_add_u32_e32 v42, s2, v32
	s_waitcnt vmcnt(23)
	scratch_store_dwordx4 off, v[54:57], off offset:160
	s_waitcnt vmcnt(23)
	scratch_store_dwordx4 off, v[58:61], off offset:176
	v_lshl_add_u64 v[40:41], v[32:33], 4, v[48:49]
	v_ashrrev_i32_e32 v43, 31, v42
	v_lshl_add_u64 v[50:51], v[42:43], 4, v[48:49]
	global_load_dwordx4 v[32:35], v[40:41], off
	global_load_dwordx4 v[36:39], v[50:51], off
	v_add_u32_e32 v40, s2, v42
	v_ashrrev_i32_e32 v41, 31, v40
	v_add_u32_e32 v56, s2, v40
	v_lshl_add_u64 v[54:55], v[40:41], 4, v[48:49]
	v_ashrrev_i32_e32 v57, 31, v56
	v_lshl_add_u64 v[58:59], v[56:57], 4, v[48:49]
	global_load_dwordx4 v[40:43], v[54:55], off
	global_load_dwordx4 v[50:53], v[58:59], off
	v_add_u32_e32 v54, s2, v56
	v_ashrrev_i32_e32 v55, 31, v54
	v_add_u32_e32 v84, s2, v54
	v_lshl_add_u64 v[82:83], v[54:55], 4, v[48:49]
	v_ashrrev_i32_e32 v85, 31, v84
	v_lshl_add_u64 v[86:87], v[84:85], 4, v[48:49]
	global_load_dwordx4 v[54:57], v[82:83], off
	global_load_dwordx4 v[58:61], v[86:87], off
	v_add_u32_e32 v82, s2, v84
	v_ashrrev_i32_e32 v83, 31, v82
	v_add_u32_e32 v92, s2, v82
	v_lshl_add_u64 v[90:91], v[82:83], 4, v[48:49]
	v_ashrrev_i32_e32 v93, 31, v92
	v_lshl_add_u64 v[94:95], v[92:93], 4, v[48:49]
	global_load_dwordx4 v[82:85], v[90:91], off
	global_load_dwordx4 v[86:89], v[94:95], off
	v_add_u32_e32 v90, s2, v92
	v_ashrrev_i32_e32 v91, 31, v90
	v_add_u32_e32 v100, s2, v90
	v_lshl_add_u64 v[98:99], v[90:91], 4, v[48:49]
	v_ashrrev_i32_e32 v101, 31, v100
	v_lshl_add_u64 v[102:103], v[100:101], 4, v[48:49]
	global_load_dwordx4 v[90:93], v[98:99], off
	global_load_dwordx4 v[94:97], v[102:103], off
	v_add_u32_e32 v98, s2, v100
	v_ashrrev_i32_e32 v99, 31, v98
	v_add_u32_e32 v108, s2, v98
	v_lshl_add_u64 v[106:107], v[98:99], 4, v[48:49]
	v_ashrrev_i32_e32 v109, 31, v108
	v_lshl_add_u64 v[110:111], v[108:109], 4, v[48:49]
	global_load_dwordx4 v[98:101], v[106:107], off
	global_load_dwordx4 v[102:105], v[110:111], off
	v_add_u32_e32 v106, s2, v108
	v_ashrrev_i32_e32 v107, 31, v106
	v_add_u32_e32 v116, s2, v106
	v_lshl_add_u64 v[114:115], v[106:107], 4, v[48:49]
	v_ashrrev_i32_e32 v117, 31, v116
	v_lshl_add_u64 v[118:119], v[116:117], 4, v[48:49]
	global_load_dwordx4 v[106:109], v[114:115], off
	global_load_dwordx4 v[110:113], v[118:119], off
	v_add_u32_e32 v114, s2, v116
	v_ashrrev_i32_e32 v115, 31, v114
	v_add_u32_e32 v124, s2, v114
	v_lshl_add_u64 v[122:123], v[114:115], 4, v[48:49]
	v_ashrrev_i32_e32 v125, 31, v124
	v_lshl_add_u64 v[126:127], v[124:125], 4, v[48:49]
	global_load_dwordx4 v[114:117], v[122:123], off
	global_load_dwordx4 v[118:121], v[126:127], off
	s_waitcnt vmcnt(38)
	scratch_store_dwordx4 off, v[62:65], off offset:192
	s_waitcnt vmcnt(38)
	scratch_store_dwordx4 off, v[66:69], off offset:208
	;; [unrolled: 2-line block ×11, first 2 shown]
	v_add_u32_e32 v8, s2, v124
	v_ashrrev_i32_e32 v9, 31, v8
	v_add_u32_e32 v18, s2, v8
	v_lshl_add_u64 v[16:17], v[8:9], 4, v[48:49]
	v_ashrrev_i32_e32 v19, 31, v18
	v_lshl_add_u64 v[20:21], v[18:19], 4, v[48:49]
	global_load_dwordx4 v[8:11], v[16:17], off
	global_load_dwordx4 v[12:15], v[20:21], off
	v_add_u32_e32 v16, s2, v18
	v_ashrrev_i32_e32 v17, 31, v16
	v_add_u32_e32 v26, s2, v16
	v_lshl_add_u64 v[24:25], v[16:17], 4, v[48:49]
	v_ashrrev_i32_e32 v27, 31, v26
	v_lshl_add_u64 v[28:29], v[26:27], 4, v[48:49]
	global_load_dwordx4 v[16:19], v[24:25], off
	global_load_dwordx4 v[20:23], v[28:29], off
	;; [unrolled: 8-line block ×4, first 2 shown]
	v_add_u32_e32 v70, s2, v72
	v_add_u32_e32 v80, s2, v70
	v_ashrrev_i32_e32 v71, 31, v70
	v_ashrrev_i32_e32 v81, 31, v80
	v_lshl_add_u64 v[78:79], v[70:71], 4, v[48:49]
	v_lshl_add_u64 v[122:123], v[80:81], 4, v[48:49]
	global_load_dwordx4 v[70:73], v[78:79], off
	global_load_dwordx4 v[74:77], v[122:123], off
	v_add_u32_e32 v122, s2, v80
	v_ashrrev_i32_e32 v123, 31, v122
	v_lshl_add_u64 v[78:79], v[122:123], 4, v[48:49]
	global_load_dwordx4 v[78:81], v[78:79], off
	s_waitcnt vmcnt(37)
	scratch_store_dwordx4 off, v[32:35], off offset:368
	s_waitcnt vmcnt(37)
	scratch_store_dwordx4 off, v[36:39], off offset:384
	;; [unrolled: 2-line block ×16, first 2 shown]
	v_add_u32_e32 v36, s2, v122
	v_ashrrev_i32_e32 v37, 31, v36
	v_lshl_add_u64 v[32:33], v[36:37], 4, v[48:49]
	v_add_u32_e32 v36, s2, v36
	v_ashrrev_i32_e32 v37, 31, v36
	v_add_u32_e32 v52, s2, v36
	v_lshl_add_u64 v[50:51], v[36:37], 4, v[48:49]
	v_ashrrev_i32_e32 v53, 31, v52
	global_load_dwordx4 v[32:35], v[32:33], off
	v_lshl_add_u64 v[54:55], v[52:53], 4, v[48:49]
	global_load_dwordx4 v[36:39], v[50:51], off
	global_load_dwordx4 v[40:43], v[54:55], off
	v_add_u32_e32 v50, s2, v52
	v_ashrrev_i32_e32 v51, 31, v50
	v_add_u32_e32 v60, s2, v50
	v_lshl_add_u64 v[58:59], v[50:51], 4, v[48:49]
	v_ashrrev_i32_e32 v61, 31, v60
	v_lshl_add_u64 v[82:83], v[60:61], 4, v[48:49]
	global_load_dwordx4 v[50:53], v[58:59], off
	global_load_dwordx4 v[54:57], v[82:83], off
	v_add_u32_e32 v58, s2, v60
	v_ashrrev_i32_e32 v59, 31, v58
	v_add_u32_e32 v88, s2, v58
	v_lshl_add_u64 v[86:87], v[58:59], 4, v[48:49]
	v_ashrrev_i32_e32 v89, 31, v88
	v_lshl_add_u64 v[90:91], v[88:89], 4, v[48:49]
	global_load_dwordx4 v[58:61], v[86:87], off
	global_load_dwordx4 v[82:85], v[90:91], off
	v_add_u32_e32 v86, s2, v88
	v_ashrrev_i32_e32 v87, 31, v86
	v_add_u32_e32 v96, s2, v86
	v_lshl_add_u64 v[94:95], v[86:87], 4, v[48:49]
	v_ashrrev_i32_e32 v97, 31, v96
	v_lshl_add_u64 v[98:99], v[96:97], 4, v[48:49]
	global_load_dwordx4 v[86:89], v[94:95], off
	global_load_dwordx4 v[90:93], v[98:99], off
	v_add_u32_e32 v94, s2, v96
	v_ashrrev_i32_e32 v95, 31, v94
	v_lshl_add_u64 v[102:103], v[94:95], 4, v[48:49]
	v_add_u32_e32 v94, s2, v94
	v_ashrrev_i32_e32 v95, 31, v94
	v_lshl_add_u64 v[104:105], v[94:95], 4, v[48:49]
	global_load_dwordx4 v[94:97], v[102:103], off
	global_load_dwordx4 v[98:101], v[104:105], off
	s_waitcnt vmcnt(37)
	scratch_store_dwordx4 off, v[8:11], off offset:624
	s_waitcnt vmcnt(37)
	scratch_store_dwordx4 off, v[12:15], off offset:640
	;; [unrolled: 2-line block ×10, first 2 shown]
	s_movk_i32 s23, 0xc0
	s_movk_i32 s24, 0xd0
	;; [unrolled: 1-line block ×3, first 2 shown]
	s_waitcnt vmcnt(37)
	scratch_store_dwordx4 off, v[78:81], off offset:784
	s_movk_i32 s26, 0xf0
	s_movk_i32 s27, 0x100
	v_lshl_add_u32 v78, v6, 4, 0
	v_add_u32_e32 v4, v78, v4
	s_movk_i32 s28, 0x110
	s_movk_i32 s29, 0x120
	;; [unrolled: 1-line block ×22, first 2 shown]
	s_waitcnt vmcnt(21)
	scratch_store_dwordx4 off, v[32:35], off offset:800
	s_waitcnt vmcnt(21)
	scratch_store_dwordx4 off, v[36:39], off offset:816
	;; [unrolled: 2-line block ×3, first 2 shown]
	s_movk_i32 s86, 0x270
	s_movk_i32 s87, 0x280
	s_movk_i32 s88, 0x290
	s_movk_i32 s89, 0x2a0
	s_movk_i32 s90, 0x2b0
	s_waitcnt vmcnt(21)
	scratch_store_dwordx4 off, v[50:53], off offset:848
	s_waitcnt vmcnt(21)
	scratch_store_dwordx4 off, v[54:57], off offset:864
	s_movk_i32 s91, 0x2c0
	s_movk_i32 s92, 0x2d0
	s_movk_i32 s93, 0x2e0
	s_movk_i32 s94, 0x2f0
	s_movk_i32 s95, 0x300
	s_waitcnt vmcnt(21)
	scratch_store_dwordx4 off, v[58:61], off offset:880
	s_waitcnt vmcnt(21)
	scratch_store_dwordx4 off, v[82:85], off offset:896
	s_movk_i32 s96, 0x310
	s_movk_i32 s97, 0x320
	s_movk_i32 s4, 0x330
	s_movk_i32 s5, 0x340
	s_movk_i32 s16, 0x350
	s_waitcnt vmcnt(21)
	scratch_store_dwordx4 off, v[86:89], off offset:912
	s_waitcnt vmcnt(21)
	scratch_store_dwordx4 off, v[90:93], off offset:928
	s_waitcnt vmcnt(21)
	scratch_store_dwordx4 off, v[94:97], off offset:944
	s_waitcnt vmcnt(21)
	scratch_store_dwordx4 off, v[98:101], off offset:960
	ds_write2_b64 v4, v[0:1], v[2:3] offset1:1
	s_waitcnt lgkmcnt(0)
	s_barrier
	ds_read2_b64 v[0:3], v78 offset1:1
	s_movk_i32 s66, 0x360
	s_movk_i32 s67, 0x370
	;; [unrolled: 1-line block ×7, first 2 shown]
	s_cmp_lt_i32 s51, 2
	v_lshlrev_b32_e32 v82, 4, v6
	s_cbranch_scc1 .LBB120_6
; %bb.4:
	v_add3_u32 v4, v82, 0, 16
	s_mov_b32 s47, 1
	v_mov_b32_e32 v5, 0
.LBB120_5:                              ; =>This Inner Loop Header: Depth=1
	ds_read2_b64 v[8:11], v4 offset1:1
	s_waitcnt lgkmcnt(1)
	v_xor_b32_e32 v6, 0x80000000, v1
	v_xor_b32_e32 v15, 0x80000000, v3
	v_cmp_gt_f64_e32 vcc, 0, v[2:3]
	v_cmp_gt_f64_e64 s[0:1], 0, v[0:1]
	v_mov_b32_e32 v12, v0
	v_mov_b32_e32 v14, v2
	v_cndmask_b32_e64 v13, v1, v6, s[0:1]
	v_cndmask_b32_e32 v15, v3, v15, vcc
	s_waitcnt lgkmcnt(0)
	v_xor_b32_e32 v6, 0x80000000, v9
	v_xor_b32_e32 v17, 0x80000000, v11
	v_cmp_gt_f64_e32 vcc, 0, v[10:11]
	v_cmp_gt_f64_e64 s[0:1], 0, v[8:9]
	v_add_f64 v[12:13], v[12:13], v[14:15]
	v_mov_b32_e32 v14, v8
	v_mov_b32_e32 v16, v10
	v_cndmask_b32_e64 v15, v9, v6, s[0:1]
	v_cndmask_b32_e32 v17, v11, v17, vcc
	v_add_f64 v[14:15], v[14:15], v[16:17]
	v_mov_b32_e32 v18, s47
	s_add_i32 s47, s47, 1
	v_cmp_lt_f64_e32 vcc, v[12:13], v[14:15]
	v_add_u32_e32 v4, 16, v4
	s_cmp_eq_u32 s51, s47
	v_cndmask_b32_e32 v1, v1, v9, vcc
	v_cndmask_b32_e32 v0, v0, v8, vcc
	;; [unrolled: 1-line block ×5, first 2 shown]
	s_cbranch_scc0 .LBB120_5
.LBB120_6:
	s_waitcnt lgkmcnt(0)
	v_cmp_neq_f64_e32 vcc, 0, v[0:1]
	v_cmp_neq_f64_e64 s[0:1], 0, v[2:3]
	s_mov_b32 s6, s13
	s_mov_b32 s17, s14
	;; [unrolled: 1-line block ×55, first 2 shown]
	s_or_b64 s[4:5], vcc, s[0:1]
	v_mov_b32_e32 v79, 1
	v_mov_b32_e32 v83, 1
	s_mov_b32 s11, 16
	s_mov_b32 s10, 32
	;; [unrolled: 1-line block ×4, first 2 shown]
	s_and_saveexec_b64 s[0:1], s[4:5]
	s_mov_b32 s89, s12
	s_mov_b32 s90, s8
	;; [unrolled: 1-line block ×5, first 2 shown]
	s_cbranch_execz .LBB120_12
; %bb.7:
	v_cmp_ngt_f64_e64 s[4:5], |v[0:1]|, |v[2:3]|
	s_and_saveexec_b64 s[12:13], s[4:5]
	s_xor_b64 s[12:13], exec, s[12:13]
	s_cbranch_execz .LBB120_9
; %bb.8:
	v_div_scale_f64 v[8:9], s[4:5], v[2:3], v[2:3], v[0:1]
	v_rcp_f64_e32 v[10:11], v[8:9]
	v_div_scale_f64 v[12:13], vcc, v[0:1], v[2:3], v[0:1]
	v_fma_f64 v[14:15], -v[8:9], v[10:11], 1.0
	v_fmac_f64_e32 v[10:11], v[10:11], v[14:15]
	v_fma_f64 v[14:15], -v[8:9], v[10:11], 1.0
	v_fmac_f64_e32 v[10:11], v[10:11], v[14:15]
	v_mul_f64 v[14:15], v[12:13], v[10:11]
	v_fma_f64 v[8:9], -v[8:9], v[14:15], v[12:13]
	v_div_fmas_f64 v[8:9], v[8:9], v[10:11], v[14:15]
	v_div_fixup_f64 v[8:9], v[8:9], v[2:3], v[0:1]
	v_fmac_f64_e32 v[2:3], v[0:1], v[8:9]
	v_div_scale_f64 v[0:1], s[4:5], v[2:3], v[2:3], 1.0
	v_rcp_f64_e32 v[10:11], v[0:1]
	s_nop 0
	v_fma_f64 v[12:13], -v[0:1], v[10:11], 1.0
	v_fmac_f64_e32 v[10:11], v[10:11], v[12:13]
	v_fma_f64 v[12:13], -v[0:1], v[10:11], 1.0
	v_fmac_f64_e32 v[10:11], v[10:11], v[12:13]
	v_div_scale_f64 v[12:13], vcc, 1.0, v[2:3], 1.0
	v_mul_f64 v[14:15], v[12:13], v[10:11]
	v_fma_f64 v[0:1], -v[0:1], v[14:15], v[12:13]
	s_nop 1
	v_div_fmas_f64 v[0:1], v[0:1], v[10:11], v[14:15]
	v_div_fixup_f64 v[2:3], v[0:1], v[2:3], 1.0
	v_mul_f64 v[0:1], v[8:9], v[2:3]
	v_xor_b32_e32 v3, 0x80000000, v3
.LBB120_9:
	s_andn2_saveexec_b64 s[12:13], s[12:13]
	s_cbranch_execz .LBB120_11
; %bb.10:
	v_div_scale_f64 v[8:9], s[4:5], v[0:1], v[0:1], v[2:3]
	v_rcp_f64_e32 v[10:11], v[8:9]
	v_div_scale_f64 v[12:13], vcc, v[2:3], v[0:1], v[2:3]
	v_fma_f64 v[14:15], -v[8:9], v[10:11], 1.0
	v_fmac_f64_e32 v[10:11], v[10:11], v[14:15]
	v_fma_f64 v[14:15], -v[8:9], v[10:11], 1.0
	v_fmac_f64_e32 v[10:11], v[10:11], v[14:15]
	v_mul_f64 v[14:15], v[12:13], v[10:11]
	v_fma_f64 v[8:9], -v[8:9], v[14:15], v[12:13]
	v_div_fmas_f64 v[8:9], v[8:9], v[10:11], v[14:15]
	v_div_fixup_f64 v[8:9], v[8:9], v[0:1], v[2:3]
	v_fmac_f64_e32 v[0:1], v[2:3], v[8:9]
	v_div_scale_f64 v[2:3], s[4:5], v[0:1], v[0:1], 1.0
	v_rcp_f64_e32 v[10:11], v[2:3]
	s_nop 0
	v_fma_f64 v[12:13], -v[2:3], v[10:11], 1.0
	v_fmac_f64_e32 v[10:11], v[10:11], v[12:13]
	v_fma_f64 v[12:13], -v[2:3], v[10:11], 1.0
	v_fmac_f64_e32 v[10:11], v[10:11], v[12:13]
	v_div_scale_f64 v[12:13], vcc, 1.0, v[0:1], 1.0
	v_mul_f64 v[14:15], v[12:13], v[10:11]
	v_fma_f64 v[2:3], -v[2:3], v[14:15], v[12:13]
	s_nop 1
	v_div_fmas_f64 v[2:3], v[2:3], v[10:11], v[14:15]
	v_div_fixup_f64 v[0:1], v[2:3], v[0:1], 1.0
	v_mul_f64 v[2:3], v[8:9], -v[0:1]
.LBB120_11:
	s_or_b64 exec, exec, s[12:13]
	v_mov_b32_e32 v83, 0
	v_mov_b32_e32 v79, 2
.LBB120_12:
	s_or_b64 exec, exec, s[0:1]
	v_cmp_ne_u32_e32 vcc, v7, v5
                                        ; implicit-def: $vgpr81
	s_and_saveexec_b64 s[0:1], vcc
	s_xor_b64 s[0:1], exec, s[0:1]
	s_cbranch_execz .LBB120_18
; %bb.13:
	v_cmp_eq_u32_e32 vcc, 0, v7
	s_and_saveexec_b64 s[12:13], vcc
	s_cbranch_execz .LBB120_17
; %bb.14:
	v_cmp_ne_u32_e32 vcc, 0, v5
	s_xor_b64 s[4:5], s[18:19], -1
	s_and_b64 s[4:5], s[4:5], vcc
	s_and_saveexec_b64 s[14:15], s[4:5]
	s_cbranch_execz .LBB120_16
; %bb.15:
	v_ashrrev_i32_e32 v7, 31, v5
	v_mov_b32_e32 v6, v5
	v_lshl_add_u64 v[6:7], v[6:7], 2, v[46:47]
	global_load_dword v4, v[6:7], off
	global_load_dword v8, v[46:47], off
	s_waitcnt vmcnt(1)
	global_store_dword v[46:47], v4, off
	s_waitcnt vmcnt(1)
	global_store_dword v[6:7], v8, off
.LBB120_16:
	s_or_b64 exec, exec, s[14:15]
	v_mov_b32_e32 v7, v5
.LBB120_17:
	s_or_b64 exec, exec, s[12:13]
	v_mov_b32_e32 v81, v7
                                        ; implicit-def: $vgpr7
.LBB120_18:
	s_or_saveexec_b64 s[0:1], s[0:1]
	v_mov_b32_e32 v80, v81
	s_xor_b64 exec, exec, s[0:1]
	s_cbranch_execz .LBB120_22
; %bb.19:
	s_mov_b32 s4, 0
	v_add3_u32 v4, v82, 0, 16
.LBB120_20:                             ; =>This Inner Loop Header: Depth=1
	s_add_i32 s12, s4, 16
	s_add_i32 s13, s4, 32
	;; [unrolled: 1-line block ×15, first 2 shown]
	scratch_load_dwordx4 v[8:11], off, s12
	scratch_load_dwordx4 v[12:15], off, s13
	scratch_load_dwordx4 v[16:19], off, s14
	scratch_load_dwordx4 v[20:23], off, s15
	scratch_load_dwordx4 v[24:27], off, s16
	scratch_load_dwordx4 v[28:31], off, s66
	scratch_load_dwordx4 v[32:35], off, s67
	scratch_load_dwordx4 v[36:39], off, s68
	scratch_load_dwordx4 v[40:43], off, s69
	scratch_load_dwordx4 v[50:53], off, s70
	scratch_load_dwordx4 v[54:57], off, s71
	scratch_load_dwordx4 v[58:61], off, s72
	scratch_load_dwordx4 v[62:65], off, s82
	scratch_load_dwordx4 v[66:69], off, s83
	scratch_load_dwordx4 v[70:73], off, s5
	v_add_u32_e32 v5, s4, v4
	s_addk_i32 s4, 0xf0
	s_cmpk_eq_i32 s4, 0x3c0
	s_waitcnt vmcnt(14)
	ds_write2_b64 v5, v[8:9], v[10:11] offset1:1
	s_waitcnt vmcnt(13)
	ds_write2_b64 v5, v[12:13], v[14:15] offset0:2 offset1:3
	s_waitcnt vmcnt(12)
	ds_write2_b64 v5, v[16:17], v[18:19] offset0:4 offset1:5
	;; [unrolled: 2-line block ×14, first 2 shown]
	s_cbranch_scc0 .LBB120_20
; %bb.21:
	v_mov_b32_e32 v81, 0
	v_mov_b32_e32 v80, v7
.LBB120_22:
	s_or_b64 exec, exec, s[0:1]
	s_mov_b32 s12, 0
	v_cmp_lt_i32_e32 vcc, 0, v81
	s_waitcnt lgkmcnt(0)
	s_barrier
	s_and_saveexec_b64 s[0:1], vcc
	s_cbranch_execz .LBB120_25
; %bb.23:
	scratch_load_dwordx4 v[8:11], off, off
	v_add3_u32 v84, v82, 0, 16
	s_waitcnt vmcnt(0)
	v_mul_f64 v[4:5], v[2:3], v[10:11]
	v_mul_f64 v[6:7], v[0:1], v[10:11]
	v_fma_f64 v[4:5], v[0:1], v[8:9], -v[4:5]
	v_fmac_f64_e32 v[6:7], v[2:3], v[8:9]
	scratch_store_dwordx4 off, v[4:7], off
.LBB120_24:                             ; =>This Inner Loop Header: Depth=1
	v_add_u32_e32 v0, s12, v84
	ds_read2_b64 v[16:19], v0 offset1:1
	ds_read2_b64 v[20:23], v0 offset0:2 offset1:3
	ds_read2_b64 v[24:27], v0 offset0:4 offset1:5
	;; [unrolled: 1-line block ×7, first 2 shown]
	s_waitcnt lgkmcnt(7)
	v_mul_f64 v[102:103], v[16:17], v[6:7]
	v_mul_f64 v[50:51], v[18:19], v[6:7]
	v_fmac_f64_e32 v[102:103], v[18:19], v[4:5]
	s_waitcnt lgkmcnt(6)
	v_mul_f64 v[104:105], v[20:21], v[6:7]
	s_waitcnt lgkmcnt(5)
	v_mul_f64 v[18:19], v[26:27], v[6:7]
	v_mul_f64 v[52:53], v[22:23], v[6:7]
	v_fmac_f64_e32 v[104:105], v[22:23], v[4:5]
	v_mul_f64 v[106:107], v[24:25], v[6:7]
	s_waitcnt lgkmcnt(4)
	v_mul_f64 v[22:23], v[30:31], v[6:7]
	v_fma_f64 v[24:25], v[24:25], v[4:5], -v[18:19]
	s_waitcnt lgkmcnt(3)
	v_mul_f64 v[18:19], v[34:35], v[6:7]
	s_add_i32 s13, s12, 16
	s_add_i32 s85, s12, 0x70
	;; [unrolled: 1-line block ×5, first 2 shown]
	v_fma_f64 v[16:17], v[16:17], v[4:5], -v[50:51]
	v_fma_f64 v[20:21], v[20:21], v[4:5], -v[52:53]
	v_mul_f64 v[50:51], v[28:29], v[6:7]
	v_fma_f64 v[54:55], v[28:29], v[4:5], -v[22:23]
	v_mul_f64 v[52:53], v[32:33], v[6:7]
	s_waitcnt lgkmcnt(2)
	v_mul_f64 v[22:23], v[38:39], v[6:7]
	v_fma_f64 v[58:59], v[32:33], v[4:5], -v[18:19]
	v_mul_f64 v[56:57], v[36:37], v[6:7]
	s_waitcnt lgkmcnt(1)
	v_mul_f64 v[18:19], v[42:43], v[6:7]
	v_mul_f64 v[60:61], v[40:41], v[6:7]
	s_add_i32 s14, s12, 32
	s_add_i32 s15, s12, 48
	;; [unrolled: 1-line block ×5, first 2 shown]
	ds_read2_b64 v[74:77], v0 offset0:16 offset1:17
	ds_read2_b64 v[86:89], v0 offset0:18 offset1:19
	scratch_load_dwordx4 v[90:93], off, s13
	scratch_load_dwordx4 v[94:97], off, s14
	;; [unrolled: 1-line block ×6, first 2 shown]
	v_fmac_f64_e32 v[50:51], v[30:31], v[4:5]
	v_fmac_f64_e32 v[52:53], v[34:35], v[4:5]
	v_fma_f64 v[62:63], v[36:37], v[4:5], -v[22:23]
	v_fmac_f64_e32 v[56:57], v[38:39], v[4:5]
	v_fma_f64 v[66:67], v[40:41], v[4:5], -v[18:19]
	v_fmac_f64_e32 v[60:61], v[42:43], v[4:5]
	scratch_load_dwordx4 v[28:31], off, s85
	scratch_load_dwordx4 v[32:35], off, s86
	;; [unrolled: 1-line block ×4, first 2 shown]
	s_waitcnt lgkmcnt(2)
	v_mul_f64 v[22:23], v[72:73], v[6:7]
	v_mul_f64 v[64:65], v[70:71], v[6:7]
	s_waitcnt lgkmcnt(1)
	v_mul_f64 v[18:19], v[76:77], v[6:7]
	v_fma_f64 v[70:71], v[70:71], v[4:5], -v[22:23]
	v_fmac_f64_e32 v[64:65], v[72:73], v[4:5]
	v_mul_f64 v[68:69], v[74:75], v[6:7]
	s_waitcnt lgkmcnt(0)
	v_mul_f64 v[22:23], v[88:89], v[6:7]
	v_mul_f64 v[72:73], v[86:87], v[6:7]
	s_addk_i32 s12, 0xa0
	v_fmac_f64_e32 v[106:107], v[26:27], v[4:5]
	v_fma_f64 v[74:75], v[74:75], v[4:5], -v[18:19]
	v_fmac_f64_e32 v[68:69], v[76:77], v[4:5]
	v_fma_f64 v[76:77], v[86:87], v[4:5], -v[22:23]
	v_fmac_f64_e32 v[72:73], v[88:89], v[4:5]
	s_cmpk_lg_i32 s12, 0x3c0
	s_waitcnt vmcnt(9)
	v_add_f64 v[16:17], v[90:91], -v[16:17]
	v_add_f64 v[18:19], v[92:93], -v[102:103]
	s_waitcnt vmcnt(8)
	v_add_f64 v[20:21], v[94:95], -v[20:21]
	v_add_f64 v[22:23], v[96:97], -v[104:105]
	;; [unrolled: 3-line block ×10, first 2 shown]
	scratch_store_dwordx4 off, v[16:19], s13
	scratch_store_dwordx4 off, v[20:23], s14
	;; [unrolled: 1-line block ×10, first 2 shown]
	s_cbranch_scc1 .LBB120_24
.LBB120_25:
	s_or_b64 exec, exec, s[0:1]
	s_barrier
	scratch_load_dwordx4 v[0:3], off, s93
	v_lshl_add_u32 v4, v81, 4, v78
	s_cmp_lt_i32 s51, 3
	s_mov_b32 s87, s73
	s_mov_b32 s88, s63
	s_waitcnt vmcnt(0)
	ds_write2_b64 v4, v[0:1], v[2:3] offset1:1
	s_waitcnt lgkmcnt(0)
	s_barrier
	ds_read2_b64 v[0:3], v78 offset0:2 offset1:3
	v_mov_b32_e32 v4, 1
	s_cbranch_scc1 .LBB120_29
; %bb.26:
	v_add3_u32 v5, v82, 0, 32
	s_mov_b32 s4, 2
	v_mov_b32_e32 v4, 1
	s_mov_b32 s73, s74
	s_mov_b32 s63, s60
.LBB120_27:                             ; =>This Inner Loop Header: Depth=1
	ds_read2_b64 v[6:9], v5 offset1:1
	s_waitcnt lgkmcnt(1)
	v_xor_b32_e32 v11, 0x80000000, v1
	v_xor_b32_e32 v13, 0x80000000, v3
	v_cmp_gt_f64_e32 vcc, 0, v[2:3]
	v_cmp_gt_f64_e64 s[0:1], 0, v[0:1]
	v_mov_b32_e32 v10, v0
	v_mov_b32_e32 v12, v2
	v_cndmask_b32_e64 v11, v1, v11, s[0:1]
	v_cndmask_b32_e32 v13, v3, v13, vcc
	v_add_f64 v[10:11], v[10:11], v[12:13]
	s_waitcnt lgkmcnt(0)
	v_xor_b32_e32 v13, 0x80000000, v7
	v_xor_b32_e32 v15, 0x80000000, v9
	v_cmp_gt_f64_e32 vcc, 0, v[8:9]
	v_cmp_gt_f64_e64 s[0:1], 0, v[6:7]
	v_mov_b32_e32 v12, v6
	v_mov_b32_e32 v14, v8
	v_cndmask_b32_e64 v13, v7, v13, s[0:1]
	v_cndmask_b32_e32 v15, v9, v15, vcc
	v_add_f64 v[12:13], v[12:13], v[14:15]
	v_mov_b32_e32 v16, s4
	s_add_i32 s4, s4, 1
	v_cmp_lt_f64_e32 vcc, v[10:11], v[12:13]
	v_add_u32_e32 v5, 16, v5
	s_cmp_lg_u32 s51, s4
	v_cndmask_b32_e32 v1, v1, v7, vcc
	v_cndmask_b32_e32 v0, v0, v6, vcc
	;; [unrolled: 1-line block ×5, first 2 shown]
	s_cbranch_scc1 .LBB120_27
; %bb.28:
	s_mov_b32 s74, s75
	s_branch .LBB120_30
.LBB120_29:
	s_mov_b32 s73, s74
	s_mov_b32 s74, s75
	;; [unrolled: 1-line block ×3, first 2 shown]
.LBB120_30:
	s_waitcnt lgkmcnt(0)
	v_cmp_neq_f64_e32 vcc, 0, v[0:1]
	v_cmp_neq_f64_e64 s[0:1], 0, v[2:3]
	s_mov_b32 s60, s52
	s_mov_b32 s75, s76
	;; [unrolled: 1-line block ×3, first 2 shown]
	s_or_b64 s[4:5], vcc, s[0:1]
	s_and_saveexec_b64 s[0:1], s[4:5]
	s_mov_b32 s76, s77
	s_mov_b32 s77, s78
	;; [unrolled: 1-line block ×8, first 2 shown]
	s_cbranch_execz .LBB120_36
; %bb.31:
	v_cmp_ngt_f64_e64 s[4:5], |v[0:1]|, |v[2:3]|
	s_and_saveexec_b64 s[12:13], s[4:5]
	s_xor_b64 s[12:13], exec, s[12:13]
	s_cbranch_execz .LBB120_33
; %bb.32:
	v_div_scale_f64 v[6:7], s[4:5], v[2:3], v[2:3], v[0:1]
	v_rcp_f64_e32 v[8:9], v[6:7]
	v_div_scale_f64 v[10:11], vcc, v[0:1], v[2:3], v[0:1]
	v_fma_f64 v[12:13], -v[6:7], v[8:9], 1.0
	v_fmac_f64_e32 v[8:9], v[8:9], v[12:13]
	v_fma_f64 v[12:13], -v[6:7], v[8:9], 1.0
	v_fmac_f64_e32 v[8:9], v[8:9], v[12:13]
	v_mul_f64 v[12:13], v[10:11], v[8:9]
	v_fma_f64 v[6:7], -v[6:7], v[12:13], v[10:11]
	v_div_fmas_f64 v[6:7], v[6:7], v[8:9], v[12:13]
	v_div_fixup_f64 v[6:7], v[6:7], v[2:3], v[0:1]
	v_fmac_f64_e32 v[2:3], v[0:1], v[6:7]
	v_div_scale_f64 v[0:1], s[4:5], v[2:3], v[2:3], 1.0
	v_rcp_f64_e32 v[8:9], v[0:1]
	s_nop 0
	v_fma_f64 v[10:11], -v[0:1], v[8:9], 1.0
	v_fmac_f64_e32 v[8:9], v[8:9], v[10:11]
	v_fma_f64 v[10:11], -v[0:1], v[8:9], 1.0
	v_fmac_f64_e32 v[8:9], v[8:9], v[10:11]
	v_div_scale_f64 v[10:11], vcc, 1.0, v[2:3], 1.0
	v_mul_f64 v[12:13], v[10:11], v[8:9]
	v_fma_f64 v[0:1], -v[0:1], v[12:13], v[10:11]
	s_nop 1
	v_div_fmas_f64 v[0:1], v[0:1], v[8:9], v[12:13]
	v_div_fixup_f64 v[2:3], v[0:1], v[2:3], 1.0
	v_mul_f64 v[0:1], v[6:7], v[2:3]
	v_xor_b32_e32 v3, 0x80000000, v3
.LBB120_33:
	s_andn2_saveexec_b64 s[12:13], s[12:13]
	s_cbranch_execz .LBB120_35
; %bb.34:
	v_div_scale_f64 v[6:7], s[4:5], v[0:1], v[0:1], v[2:3]
	v_rcp_f64_e32 v[8:9], v[6:7]
	v_div_scale_f64 v[10:11], vcc, v[2:3], v[0:1], v[2:3]
	v_fma_f64 v[12:13], -v[6:7], v[8:9], 1.0
	v_fmac_f64_e32 v[8:9], v[8:9], v[12:13]
	v_fma_f64 v[12:13], -v[6:7], v[8:9], 1.0
	v_fmac_f64_e32 v[8:9], v[8:9], v[12:13]
	v_mul_f64 v[12:13], v[10:11], v[8:9]
	v_fma_f64 v[6:7], -v[6:7], v[12:13], v[10:11]
	v_div_fmas_f64 v[6:7], v[6:7], v[8:9], v[12:13]
	v_div_fixup_f64 v[6:7], v[6:7], v[0:1], v[2:3]
	v_fmac_f64_e32 v[0:1], v[2:3], v[6:7]
	v_div_scale_f64 v[2:3], s[4:5], v[0:1], v[0:1], 1.0
	v_rcp_f64_e32 v[8:9], v[2:3]
	s_nop 0
	v_fma_f64 v[10:11], -v[2:3], v[8:9], 1.0
	v_fmac_f64_e32 v[8:9], v[8:9], v[10:11]
	v_fma_f64 v[10:11], -v[2:3], v[8:9], 1.0
	v_fmac_f64_e32 v[8:9], v[8:9], v[10:11]
	v_div_scale_f64 v[10:11], vcc, 1.0, v[0:1], 1.0
	v_mul_f64 v[12:13], v[10:11], v[8:9]
	v_fma_f64 v[2:3], -v[2:3], v[12:13], v[10:11]
	s_nop 1
	v_div_fmas_f64 v[2:3], v[2:3], v[8:9], v[12:13]
	v_div_fixup_f64 v[0:1], v[2:3], v[0:1], 1.0
	v_mul_f64 v[2:3], v[6:7], -v[0:1]
.LBB120_35:
	s_or_b64 exec, exec, s[12:13]
	v_mov_b32_e32 v79, v83
.LBB120_36:
	s_or_b64 exec, exec, s[0:1]
	v_cmp_ne_u32_e32 vcc, v81, v4
	s_and_saveexec_b64 s[0:1], vcc
	s_xor_b64 s[0:1], exec, s[0:1]
	s_cbranch_execz .LBB120_42
; %bb.37:
	v_cmp_eq_u32_e32 vcc, 1, v81
	s_and_saveexec_b64 s[12:13], vcc
	s_cbranch_execz .LBB120_41
; %bb.38:
	v_cmp_ne_u32_e32 vcc, 1, v4
	s_xor_b64 s[4:5], s[18:19], -1
	s_and_b64 s[4:5], s[4:5], vcc
	s_and_saveexec_b64 s[14:15], s[4:5]
	s_cbranch_execz .LBB120_40
; %bb.39:
	v_ashrrev_i32_e32 v5, 31, v4
	v_lshl_add_u64 v[6:7], v[4:5], 2, v[46:47]
	global_load_dword v5, v[6:7], off
	global_load_dword v8, v[46:47], off offset:4
	s_waitcnt vmcnt(1)
	global_store_dword v[46:47], v5, off offset:4
	s_waitcnt vmcnt(1)
	global_store_dword v[6:7], v8, off
.LBB120_40:
	s_or_b64 exec, exec, s[14:15]
	v_mov_b32_e32 v81, v4
	v_mov_b32_e32 v80, v4
.LBB120_41:
	s_or_b64 exec, exec, s[12:13]
.LBB120_42:
	s_andn2_saveexec_b64 s[0:1], s[0:1]
	s_cbranch_execz .LBB120_48
; %bb.43:
	s_mov_b32 s4, 0
	v_add3_u32 v4, v82, 0, 32
	s_branch .LBB120_45
.LBB120_44:                             ;   in Loop: Header=BB120_45 Depth=1
	s_andn2_b64 vcc, exec, s[12:13]
	s_cbranch_vccz .LBB120_47
.LBB120_45:                             ; =>This Inner Loop Header: Depth=1
	s_add_i32 s12, s4, 32
	s_add_i32 s13, s4, 48
	scratch_load_dwordx4 v[6:9], off, s12
	scratch_load_dwordx4 v[10:13], off, s13
	s_add_i32 s12, s4, 64
	scratch_load_dwordx4 v[14:17], off, s12
	s_mov_b32 s5, s4
	v_add_u32_e32 v5, s4, v4
	s_cmpk_eq_i32 s4, 0x380
	s_mov_b64 s[12:13], -1
	s_waitcnt vmcnt(2)
	ds_write2_b64 v5, v[6:7], v[8:9] offset1:1
	s_waitcnt vmcnt(1)
	ds_write2_b64 v5, v[10:11], v[12:13] offset0:2 offset1:3
	s_waitcnt vmcnt(0)
	ds_write2_b64 v5, v[14:15], v[16:17] offset0:4 offset1:5
	s_cbranch_scc1 .LBB120_44
; %bb.46:                               ;   in Loop: Header=BB120_45 Depth=1
	s_add_i32 s12, s5, 0x50
	s_add_i32 s13, s5, 0x60
	scratch_load_dwordx4 v[6:9], off, s12
	scratch_load_dwordx4 v[10:13], off, s13
	s_add_i32 s12, s5, 0x70
	s_add_i32 s13, s5, 0x80
	scratch_load_dwordx4 v[14:17], off, s12
	scratch_load_dwordx4 v[18:21], off, s13
	s_addk_i32 s5, 0x90
	scratch_load_dwordx4 v[22:25], off, s5
	s_addk_i32 s4, 0x80
	s_mov_b64 s[12:13], 0
	s_waitcnt vmcnt(4)
	ds_write2_b64 v5, v[6:7], v[8:9] offset0:6 offset1:7
	s_waitcnt vmcnt(3)
	ds_write2_b64 v5, v[10:11], v[12:13] offset0:8 offset1:9
	;; [unrolled: 2-line block ×5, first 2 shown]
	s_branch .LBB120_44
.LBB120_47:
	v_mov_b32_e32 v81, 1
.LBB120_48:
	s_or_b64 exec, exec, s[0:1]
	v_cmp_lt_i32_e32 vcc, 1, v81
	s_waitcnt lgkmcnt(0)
	s_barrier
	s_and_saveexec_b64 s[0:1], vcc
	s_cbranch_execz .LBB120_53
; %bb.49:
	scratch_load_dwordx4 v[8:11], off, off offset:16
	s_mov_b32 s14, 0
	s_waitcnt vmcnt(0)
	v_mul_f64 v[4:5], v[2:3], v[10:11]
	v_mul_f64 v[6:7], v[0:1], v[10:11]
	v_fma_f64 v[4:5], v[0:1], v[8:9], -v[4:5]
	v_fmac_f64_e32 v[6:7], v[2:3], v[8:9]
	v_add3_u32 v0, v82, 0, 32
	scratch_store_dwordx4 off, v[4:7], off offset:16
	s_branch .LBB120_51
.LBB120_50:                             ;   in Loop: Header=BB120_51 Depth=1
	s_andn2_b64 vcc, exec, s[12:13]
	s_cbranch_vccz .LBB120_53
.LBB120_51:                             ; =>This Inner Loop Header: Depth=1
	s_add_i32 s4, s14, 32
	scratch_load_dwordx4 v[8:11], off, s4
	s_add_i32 s5, s14, 48
	s_add_i32 s12, s14, 64
	scratch_load_dwordx4 v[12:15], off, s5
	scratch_load_dwordx4 v[16:19], off, s12
	v_add_u32_e32 v1, s14, v0
	ds_read2_b64 v[20:23], v1 offset1:1
	ds_read2_b64 v[24:27], v1 offset0:2 offset1:3
	ds_read2_b64 v[28:31], v1 offset0:4 offset1:5
	s_mov_b32 s15, s14
	s_cmpk_eq_i32 s14, 0x380
	s_waitcnt lgkmcnt(2)
	v_mul_f64 v[2:3], v[22:23], v[6:7]
	v_mul_f64 v[32:33], v[20:21], v[6:7]
	s_waitcnt lgkmcnt(1)
	v_mul_f64 v[34:35], v[26:27], v[6:7]
	v_mul_f64 v[36:37], v[24:25], v[6:7]
	;; [unrolled: 3-line block ×3, first 2 shown]
	v_fma_f64 v[2:3], v[20:21], v[4:5], -v[2:3]
	v_fmac_f64_e32 v[32:33], v[22:23], v[4:5]
	v_fma_f64 v[20:21], v[24:25], v[4:5], -v[34:35]
	v_fmac_f64_e32 v[36:37], v[26:27], v[4:5]
	;; [unrolled: 2-line block ×3, first 2 shown]
	s_waitcnt vmcnt(2)
	v_add_f64 v[8:9], v[8:9], -v[2:3]
	v_add_f64 v[10:11], v[10:11], -v[32:33]
	s_waitcnt vmcnt(1)
	v_add_f64 v[12:13], v[12:13], -v[20:21]
	v_add_f64 v[14:15], v[14:15], -v[36:37]
	;; [unrolled: 3-line block ×3, first 2 shown]
	scratch_store_dwordx4 off, v[8:11], s4
	scratch_store_dwordx4 off, v[12:15], s5
	;; [unrolled: 1-line block ×3, first 2 shown]
	s_mov_b64 s[12:13], -1
	s_cbranch_scc1 .LBB120_50
; %bb.52:                               ;   in Loop: Header=BB120_51 Depth=1
	s_add_i32 s4, s15, 0x50
	scratch_load_dwordx4 v[8:11], off, s4
	s_add_i32 s5, s15, 0x60
	s_add_i32 s12, s15, 0x70
	;; [unrolled: 1-line block ×3, first 2 shown]
	s_addk_i32 s15, 0x90
	scratch_load_dwordx4 v[12:15], off, s5
	scratch_load_dwordx4 v[16:19], off, s12
	;; [unrolled: 1-line block ×4, first 2 shown]
	ds_read2_b64 v[28:31], v1 offset0:6 offset1:7
	ds_read2_b64 v[32:35], v1 offset0:8 offset1:9
	;; [unrolled: 1-line block ×5, first 2 shown]
	s_waitcnt lgkmcnt(4)
	v_mul_f64 v[2:3], v[30:31], v[6:7]
	v_mul_f64 v[54:55], v[28:29], v[6:7]
	s_waitcnt lgkmcnt(3)
	v_mul_f64 v[56:57], v[34:35], v[6:7]
	v_mul_f64 v[58:59], v[32:33], v[6:7]
	;; [unrolled: 3-line block ×5, first 2 shown]
	v_fma_f64 v[2:3], v[28:29], v[4:5], -v[2:3]
	v_fmac_f64_e32 v[54:55], v[30:31], v[4:5]
	v_fma_f64 v[28:29], v[32:33], v[4:5], -v[56:57]
	v_fmac_f64_e32 v[58:59], v[34:35], v[4:5]
	;; [unrolled: 2-line block ×5, first 2 shown]
	s_addk_i32 s14, 0x80
	s_waitcnt vmcnt(4)
	v_add_f64 v[8:9], v[8:9], -v[2:3]
	v_add_f64 v[10:11], v[10:11], -v[54:55]
	s_waitcnt vmcnt(3)
	v_add_f64 v[12:13], v[12:13], -v[28:29]
	v_add_f64 v[14:15], v[14:15], -v[58:59]
	;; [unrolled: 3-line block ×5, first 2 shown]
	scratch_store_dwordx4 off, v[8:11], s4
	scratch_store_dwordx4 off, v[12:15], s5
	scratch_store_dwordx4 off, v[16:19], s12
	scratch_store_dwordx4 off, v[20:23], s13
	scratch_store_dwordx4 off, v[24:27], s15
	s_mov_b64 s[12:13], 0
	s_branch .LBB120_50
.LBB120_53:
	s_or_b64 exec, exec, s[0:1]
	s_barrier
	scratch_load_dwordx4 v[0:3], off, s92
	v_lshl_add_u32 v4, v81, 4, v78
	s_cmp_lt_i32 s51, 4
	s_waitcnt vmcnt(0)
	ds_write2_b64 v4, v[0:1], v[2:3] offset1:1
	s_waitcnt lgkmcnt(0)
	s_barrier
	ds_read2_b64 v[0:3], v78 offset0:4 offset1:5
	v_mov_b32_e32 v4, 2
	s_cbranch_scc1 .LBB120_56
; %bb.54:
	v_add3_u32 v5, v82, 0, 48
	s_mov_b32 s4, 3
	v_mov_b32_e32 v4, 2
.LBB120_55:                             ; =>This Inner Loop Header: Depth=1
	ds_read2_b64 v[6:9], v5 offset1:1
	s_waitcnt lgkmcnt(1)
	v_xor_b32_e32 v11, 0x80000000, v1
	v_xor_b32_e32 v13, 0x80000000, v3
	v_cmp_gt_f64_e32 vcc, 0, v[2:3]
	v_cmp_gt_f64_e64 s[0:1], 0, v[0:1]
	v_mov_b32_e32 v10, v0
	v_mov_b32_e32 v12, v2
	v_cndmask_b32_e64 v11, v1, v11, s[0:1]
	v_cndmask_b32_e32 v13, v3, v13, vcc
	v_add_f64 v[10:11], v[10:11], v[12:13]
	s_waitcnt lgkmcnt(0)
	v_xor_b32_e32 v13, 0x80000000, v7
	v_xor_b32_e32 v15, 0x80000000, v9
	v_cmp_gt_f64_e32 vcc, 0, v[8:9]
	v_cmp_gt_f64_e64 s[0:1], 0, v[6:7]
	v_mov_b32_e32 v12, v6
	v_mov_b32_e32 v14, v8
	v_cndmask_b32_e64 v13, v7, v13, s[0:1]
	v_cndmask_b32_e32 v15, v9, v15, vcc
	v_add_f64 v[12:13], v[12:13], v[14:15]
	v_mov_b32_e32 v16, s4
	s_add_i32 s4, s4, 1
	v_cmp_lt_f64_e32 vcc, v[10:11], v[12:13]
	v_add_u32_e32 v5, 16, v5
	s_cmp_lg_u32 s51, s4
	v_cndmask_b32_e32 v1, v1, v7, vcc
	v_cndmask_b32_e32 v0, v0, v6, vcc
	;; [unrolled: 1-line block ×5, first 2 shown]
	s_cbranch_scc1 .LBB120_55
.LBB120_56:
	s_waitcnt lgkmcnt(0)
	v_cmp_eq_f64_e32 vcc, 0, v[0:1]
	v_cmp_eq_f64_e64 s[0:1], 0, v[2:3]
	s_and_b64 s[0:1], vcc, s[0:1]
	s_and_saveexec_b64 s[4:5], s[0:1]
	s_xor_b64 s[0:1], exec, s[4:5]
; %bb.57:
	v_cmp_ne_u32_e32 vcc, 0, v79
	s_nop 1
	v_cndmask_b32_e32 v79, 3, v79, vcc
; %bb.58:
	s_andn2_saveexec_b64 s[0:1], s[0:1]
	s_cbranch_execz .LBB120_64
; %bb.59:
	v_cmp_ngt_f64_e64 s[4:5], |v[0:1]|, |v[2:3]|
	s_and_saveexec_b64 s[12:13], s[4:5]
	s_xor_b64 s[12:13], exec, s[12:13]
	s_cbranch_execz .LBB120_61
; %bb.60:
	v_div_scale_f64 v[6:7], s[4:5], v[2:3], v[2:3], v[0:1]
	v_rcp_f64_e32 v[8:9], v[6:7]
	v_div_scale_f64 v[10:11], vcc, v[0:1], v[2:3], v[0:1]
	v_fma_f64 v[12:13], -v[6:7], v[8:9], 1.0
	v_fmac_f64_e32 v[8:9], v[8:9], v[12:13]
	v_fma_f64 v[12:13], -v[6:7], v[8:9], 1.0
	v_fmac_f64_e32 v[8:9], v[8:9], v[12:13]
	v_mul_f64 v[12:13], v[10:11], v[8:9]
	v_fma_f64 v[6:7], -v[6:7], v[12:13], v[10:11]
	v_div_fmas_f64 v[6:7], v[6:7], v[8:9], v[12:13]
	v_div_fixup_f64 v[6:7], v[6:7], v[2:3], v[0:1]
	v_fmac_f64_e32 v[2:3], v[0:1], v[6:7]
	v_div_scale_f64 v[0:1], s[4:5], v[2:3], v[2:3], 1.0
	v_rcp_f64_e32 v[8:9], v[0:1]
	s_nop 0
	v_fma_f64 v[10:11], -v[0:1], v[8:9], 1.0
	v_fmac_f64_e32 v[8:9], v[8:9], v[10:11]
	v_fma_f64 v[10:11], -v[0:1], v[8:9], 1.0
	v_fmac_f64_e32 v[8:9], v[8:9], v[10:11]
	v_div_scale_f64 v[10:11], vcc, 1.0, v[2:3], 1.0
	v_mul_f64 v[12:13], v[10:11], v[8:9]
	v_fma_f64 v[0:1], -v[0:1], v[12:13], v[10:11]
	s_nop 1
	v_div_fmas_f64 v[0:1], v[0:1], v[8:9], v[12:13]
	v_div_fixup_f64 v[2:3], v[0:1], v[2:3], 1.0
	v_mul_f64 v[0:1], v[6:7], v[2:3]
	v_xor_b32_e32 v3, 0x80000000, v3
.LBB120_61:
	s_andn2_saveexec_b64 s[12:13], s[12:13]
	s_cbranch_execz .LBB120_63
; %bb.62:
	v_div_scale_f64 v[6:7], s[4:5], v[0:1], v[0:1], v[2:3]
	v_rcp_f64_e32 v[8:9], v[6:7]
	v_div_scale_f64 v[10:11], vcc, v[2:3], v[0:1], v[2:3]
	v_fma_f64 v[12:13], -v[6:7], v[8:9], 1.0
	v_fmac_f64_e32 v[8:9], v[8:9], v[12:13]
	v_fma_f64 v[12:13], -v[6:7], v[8:9], 1.0
	v_fmac_f64_e32 v[8:9], v[8:9], v[12:13]
	v_mul_f64 v[12:13], v[10:11], v[8:9]
	v_fma_f64 v[6:7], -v[6:7], v[12:13], v[10:11]
	v_div_fmas_f64 v[6:7], v[6:7], v[8:9], v[12:13]
	v_div_fixup_f64 v[6:7], v[6:7], v[0:1], v[2:3]
	v_fmac_f64_e32 v[0:1], v[2:3], v[6:7]
	v_div_scale_f64 v[2:3], s[4:5], v[0:1], v[0:1], 1.0
	v_rcp_f64_e32 v[8:9], v[2:3]
	s_nop 0
	v_fma_f64 v[10:11], -v[2:3], v[8:9], 1.0
	v_fmac_f64_e32 v[8:9], v[8:9], v[10:11]
	v_fma_f64 v[10:11], -v[2:3], v[8:9], 1.0
	v_fmac_f64_e32 v[8:9], v[8:9], v[10:11]
	v_div_scale_f64 v[10:11], vcc, 1.0, v[0:1], 1.0
	v_mul_f64 v[12:13], v[10:11], v[8:9]
	v_fma_f64 v[2:3], -v[2:3], v[12:13], v[10:11]
	s_nop 1
	v_div_fmas_f64 v[2:3], v[2:3], v[8:9], v[12:13]
	v_div_fixup_f64 v[0:1], v[2:3], v[0:1], 1.0
	v_mul_f64 v[2:3], v[6:7], -v[0:1]
.LBB120_63:
	s_or_b64 exec, exec, s[12:13]
.LBB120_64:
	s_or_b64 exec, exec, s[0:1]
	v_cmp_ne_u32_e32 vcc, v81, v4
	s_and_saveexec_b64 s[0:1], vcc
	s_xor_b64 s[0:1], exec, s[0:1]
	s_cbranch_execz .LBB120_70
; %bb.65:
	v_cmp_eq_u32_e32 vcc, 2, v81
	s_and_saveexec_b64 s[12:13], vcc
	s_cbranch_execz .LBB120_69
; %bb.66:
	v_cmp_ne_u32_e32 vcc, 2, v4
	s_xor_b64 s[4:5], s[18:19], -1
	s_and_b64 s[4:5], s[4:5], vcc
	s_and_saveexec_b64 s[14:15], s[4:5]
	s_cbranch_execz .LBB120_68
; %bb.67:
	v_ashrrev_i32_e32 v5, 31, v4
	v_lshl_add_u64 v[6:7], v[4:5], 2, v[46:47]
	global_load_dword v5, v[6:7], off
	global_load_dword v8, v[46:47], off offset:8
	s_waitcnt vmcnt(1)
	global_store_dword v[46:47], v5, off offset:8
	s_waitcnt vmcnt(1)
	global_store_dword v[6:7], v8, off
.LBB120_68:
	s_or_b64 exec, exec, s[14:15]
	v_mov_b32_e32 v81, v4
	v_mov_b32_e32 v80, v4
.LBB120_69:
	s_or_b64 exec, exec, s[12:13]
.LBB120_70:
	s_andn2_saveexec_b64 s[0:1], s[0:1]
	s_cbranch_execz .LBB120_74
; %bb.71:
	s_mov_b32 s4, 0
	v_add3_u32 v4, v82, 0, 48
.LBB120_72:                             ; =>This Inner Loop Header: Depth=1
	s_add_i32 s12, s4, 48
	s_add_i32 s5, s4, 64
	scratch_load_dwordx4 v[6:9], off, s12
	scratch_load_dwordx4 v[10:13], off, s5
	v_add_u32_e32 v5, s4, v4
	s_add_i32 s4, s4, 32
	s_cmpk_eq_i32 s4, 0x3a0
	s_waitcnt vmcnt(1)
	ds_write2_b64 v5, v[6:7], v[8:9] offset1:1
	s_waitcnt vmcnt(0)
	ds_write2_b64 v5, v[10:11], v[12:13] offset0:2 offset1:3
	s_cbranch_scc0 .LBB120_72
; %bb.73:
	v_mov_b32_e32 v81, 2
.LBB120_74:
	s_or_b64 exec, exec, s[0:1]
	v_cmp_lt_i32_e32 vcc, 2, v81
	s_waitcnt lgkmcnt(0)
	s_barrier
	s_and_saveexec_b64 s[0:1], vcc
	s_cbranch_execz .LBB120_77
; %bb.75:
	scratch_load_dwordx4 v[8:11], off, off offset:32
	s_mov_b32 s4, 0
	s_waitcnt vmcnt(0)
	v_mul_f64 v[4:5], v[2:3], v[10:11]
	v_mul_f64 v[6:7], v[0:1], v[10:11]
	v_fma_f64 v[4:5], v[0:1], v[8:9], -v[4:5]
	v_fmac_f64_e32 v[6:7], v[2:3], v[8:9]
	v_add3_u32 v0, v82, 0, 48
	scratch_store_dwordx4 off, v[4:7], off offset:32
.LBB120_76:                             ; =>This Inner Loop Header: Depth=1
	s_add_i32 s12, s4, 48
	s_add_i32 s5, s4, 64
	scratch_load_dwordx4 v[8:11], off, s12
	scratch_load_dwordx4 v[12:15], off, s5
	v_add_u32_e32 v1, s4, v0
	ds_read2_b64 v[16:19], v1 offset1:1
	ds_read2_b64 v[20:23], v1 offset0:2 offset1:3
	s_add_i32 s4, s4, 32
	s_cmpk_lg_i32 s4, 0x3a0
	s_waitcnt lgkmcnt(1)
	v_mul_f64 v[2:3], v[18:19], v[6:7]
	v_mul_f64 v[24:25], v[16:17], v[6:7]
	s_waitcnt lgkmcnt(0)
	v_mul_f64 v[26:27], v[22:23], v[6:7]
	v_mul_f64 v[28:29], v[20:21], v[6:7]
	v_fma_f64 v[2:3], v[16:17], v[4:5], -v[2:3]
	v_fmac_f64_e32 v[24:25], v[18:19], v[4:5]
	v_fma_f64 v[16:17], v[20:21], v[4:5], -v[26:27]
	v_fmac_f64_e32 v[28:29], v[22:23], v[4:5]
	s_waitcnt vmcnt(1)
	v_add_f64 v[8:9], v[8:9], -v[2:3]
	v_add_f64 v[10:11], v[10:11], -v[24:25]
	s_waitcnt vmcnt(0)
	v_add_f64 v[12:13], v[12:13], -v[16:17]
	v_add_f64 v[14:15], v[14:15], -v[28:29]
	scratch_store_dwordx4 off, v[8:11], s12
	scratch_store_dwordx4 off, v[12:15], s5
	s_cbranch_scc1 .LBB120_76
.LBB120_77:
	s_or_b64 exec, exec, s[0:1]
	s_barrier
	scratch_load_dwordx4 v[0:3], off, s91
	v_lshl_add_u32 v4, v81, 4, v78
	s_mov_b32 s4, 4
	s_cmp_lt_i32 s51, 5
	s_waitcnt vmcnt(0)
	ds_write2_b64 v4, v[0:1], v[2:3] offset1:1
	s_waitcnt lgkmcnt(0)
	s_barrier
	ds_read2_b64 v[0:3], v78 offset0:6 offset1:7
	v_mov_b32_e32 v4, 3
	s_cbranch_scc1 .LBB120_80
; %bb.78:
	v_add3_u32 v5, v82, 0, 64
	v_mov_b32_e32 v4, 3
.LBB120_79:                             ; =>This Inner Loop Header: Depth=1
	ds_read2_b64 v[6:9], v5 offset1:1
	s_waitcnt lgkmcnt(1)
	v_xor_b32_e32 v11, 0x80000000, v1
	v_xor_b32_e32 v13, 0x80000000, v3
	v_cmp_gt_f64_e32 vcc, 0, v[2:3]
	v_cmp_gt_f64_e64 s[0:1], 0, v[0:1]
	v_mov_b32_e32 v10, v0
	v_mov_b32_e32 v12, v2
	v_cndmask_b32_e64 v11, v1, v11, s[0:1]
	v_cndmask_b32_e32 v13, v3, v13, vcc
	v_add_f64 v[10:11], v[10:11], v[12:13]
	s_waitcnt lgkmcnt(0)
	v_xor_b32_e32 v13, 0x80000000, v7
	v_xor_b32_e32 v15, 0x80000000, v9
	v_cmp_gt_f64_e32 vcc, 0, v[8:9]
	v_cmp_gt_f64_e64 s[0:1], 0, v[6:7]
	v_mov_b32_e32 v12, v6
	v_mov_b32_e32 v14, v8
	v_cndmask_b32_e64 v13, v7, v13, s[0:1]
	v_cndmask_b32_e32 v15, v9, v15, vcc
	v_add_f64 v[12:13], v[12:13], v[14:15]
	v_mov_b32_e32 v16, s4
	s_add_i32 s4, s4, 1
	v_cmp_lt_f64_e32 vcc, v[10:11], v[12:13]
	v_add_u32_e32 v5, 16, v5
	s_cmp_lg_u32 s51, s4
	v_cndmask_b32_e32 v1, v1, v7, vcc
	v_cndmask_b32_e32 v0, v0, v6, vcc
	;; [unrolled: 1-line block ×5, first 2 shown]
	s_cbranch_scc1 .LBB120_79
.LBB120_80:
	s_waitcnt lgkmcnt(0)
	v_cmp_eq_f64_e32 vcc, 0, v[0:1]
	v_cmp_eq_f64_e64 s[0:1], 0, v[2:3]
	s_and_b64 s[0:1], vcc, s[0:1]
	s_and_saveexec_b64 s[4:5], s[0:1]
	s_xor_b64 s[0:1], exec, s[4:5]
; %bb.81:
	v_cmp_ne_u32_e32 vcc, 0, v79
	s_nop 1
	v_cndmask_b32_e32 v79, 4, v79, vcc
; %bb.82:
	s_andn2_saveexec_b64 s[0:1], s[0:1]
	s_cbranch_execz .LBB120_88
; %bb.83:
	v_cmp_ngt_f64_e64 s[4:5], |v[0:1]|, |v[2:3]|
	s_and_saveexec_b64 s[12:13], s[4:5]
	s_xor_b64 s[12:13], exec, s[12:13]
	s_cbranch_execz .LBB120_85
; %bb.84:
	v_div_scale_f64 v[6:7], s[4:5], v[2:3], v[2:3], v[0:1]
	v_rcp_f64_e32 v[8:9], v[6:7]
	v_div_scale_f64 v[10:11], vcc, v[0:1], v[2:3], v[0:1]
	v_fma_f64 v[12:13], -v[6:7], v[8:9], 1.0
	v_fmac_f64_e32 v[8:9], v[8:9], v[12:13]
	v_fma_f64 v[12:13], -v[6:7], v[8:9], 1.0
	v_fmac_f64_e32 v[8:9], v[8:9], v[12:13]
	v_mul_f64 v[12:13], v[10:11], v[8:9]
	v_fma_f64 v[6:7], -v[6:7], v[12:13], v[10:11]
	v_div_fmas_f64 v[6:7], v[6:7], v[8:9], v[12:13]
	v_div_fixup_f64 v[6:7], v[6:7], v[2:3], v[0:1]
	v_fmac_f64_e32 v[2:3], v[0:1], v[6:7]
	v_div_scale_f64 v[0:1], s[4:5], v[2:3], v[2:3], 1.0
	v_rcp_f64_e32 v[8:9], v[0:1]
	s_nop 0
	v_fma_f64 v[10:11], -v[0:1], v[8:9], 1.0
	v_fmac_f64_e32 v[8:9], v[8:9], v[10:11]
	v_fma_f64 v[10:11], -v[0:1], v[8:9], 1.0
	v_fmac_f64_e32 v[8:9], v[8:9], v[10:11]
	v_div_scale_f64 v[10:11], vcc, 1.0, v[2:3], 1.0
	v_mul_f64 v[12:13], v[10:11], v[8:9]
	v_fma_f64 v[0:1], -v[0:1], v[12:13], v[10:11]
	s_nop 1
	v_div_fmas_f64 v[0:1], v[0:1], v[8:9], v[12:13]
	v_div_fixup_f64 v[2:3], v[0:1], v[2:3], 1.0
	v_mul_f64 v[0:1], v[6:7], v[2:3]
	v_xor_b32_e32 v3, 0x80000000, v3
.LBB120_85:
	s_andn2_saveexec_b64 s[12:13], s[12:13]
	s_cbranch_execz .LBB120_87
; %bb.86:
	v_div_scale_f64 v[6:7], s[4:5], v[0:1], v[0:1], v[2:3]
	v_rcp_f64_e32 v[8:9], v[6:7]
	v_div_scale_f64 v[10:11], vcc, v[2:3], v[0:1], v[2:3]
	v_fma_f64 v[12:13], -v[6:7], v[8:9], 1.0
	v_fmac_f64_e32 v[8:9], v[8:9], v[12:13]
	v_fma_f64 v[12:13], -v[6:7], v[8:9], 1.0
	v_fmac_f64_e32 v[8:9], v[8:9], v[12:13]
	v_mul_f64 v[12:13], v[10:11], v[8:9]
	v_fma_f64 v[6:7], -v[6:7], v[12:13], v[10:11]
	v_div_fmas_f64 v[6:7], v[6:7], v[8:9], v[12:13]
	v_div_fixup_f64 v[6:7], v[6:7], v[0:1], v[2:3]
	v_fmac_f64_e32 v[0:1], v[2:3], v[6:7]
	v_div_scale_f64 v[2:3], s[4:5], v[0:1], v[0:1], 1.0
	v_rcp_f64_e32 v[8:9], v[2:3]
	s_nop 0
	v_fma_f64 v[10:11], -v[2:3], v[8:9], 1.0
	v_fmac_f64_e32 v[8:9], v[8:9], v[10:11]
	v_fma_f64 v[10:11], -v[2:3], v[8:9], 1.0
	v_fmac_f64_e32 v[8:9], v[8:9], v[10:11]
	v_div_scale_f64 v[10:11], vcc, 1.0, v[0:1], 1.0
	v_mul_f64 v[12:13], v[10:11], v[8:9]
	v_fma_f64 v[2:3], -v[2:3], v[12:13], v[10:11]
	s_nop 1
	v_div_fmas_f64 v[2:3], v[2:3], v[8:9], v[12:13]
	v_div_fixup_f64 v[0:1], v[2:3], v[0:1], 1.0
	v_mul_f64 v[2:3], v[6:7], -v[0:1]
.LBB120_87:
	s_or_b64 exec, exec, s[12:13]
.LBB120_88:
	s_or_b64 exec, exec, s[0:1]
	v_cmp_ne_u32_e32 vcc, v81, v4
	s_and_saveexec_b64 s[0:1], vcc
	s_xor_b64 s[0:1], exec, s[0:1]
	s_cbranch_execz .LBB120_94
; %bb.89:
	v_cmp_eq_u32_e32 vcc, 3, v81
	s_and_saveexec_b64 s[12:13], vcc
	s_cbranch_execz .LBB120_93
; %bb.90:
	v_cmp_ne_u32_e32 vcc, 3, v4
	s_xor_b64 s[4:5], s[18:19], -1
	s_and_b64 s[4:5], s[4:5], vcc
	s_and_saveexec_b64 s[14:15], s[4:5]
	s_cbranch_execz .LBB120_92
; %bb.91:
	v_ashrrev_i32_e32 v5, 31, v4
	v_lshl_add_u64 v[6:7], v[4:5], 2, v[46:47]
	global_load_dword v5, v[6:7], off
	global_load_dword v8, v[46:47], off offset:12
	s_waitcnt vmcnt(1)
	global_store_dword v[46:47], v5, off offset:12
	s_waitcnt vmcnt(1)
	global_store_dword v[6:7], v8, off
.LBB120_92:
	s_or_b64 exec, exec, s[14:15]
	v_mov_b32_e32 v81, v4
	v_mov_b32_e32 v80, v4
.LBB120_93:
	s_or_b64 exec, exec, s[12:13]
.LBB120_94:
	s_andn2_saveexec_b64 s[0:1], s[0:1]
	s_cbranch_execz .LBB120_98
; %bb.95:
	s_mov_b32 s4, 0
	v_add3_u32 v4, v82, 0, 64
.LBB120_96:                             ; =>This Inner Loop Header: Depth=1
	s_add_i32 s12, s4, 64
	s_add_i32 s13, s4, 0x50
	;; [unrolled: 1-line block ×3, first 2 shown]
	scratch_load_dwordx4 v[6:9], off, s12
	scratch_load_dwordx4 v[10:13], off, s13
	;; [unrolled: 1-line block ×3, first 2 shown]
	v_add_u32_e32 v5, s4, v4
	s_add_i32 s4, s4, 48
	s_cmpk_eq_i32 s4, 0x390
	s_waitcnt vmcnt(2)
	ds_write2_b64 v5, v[6:7], v[8:9] offset1:1
	s_waitcnt vmcnt(1)
	ds_write2_b64 v5, v[10:11], v[12:13] offset0:2 offset1:3
	s_waitcnt vmcnt(0)
	ds_write2_b64 v5, v[14:15], v[16:17] offset0:4 offset1:5
	s_cbranch_scc0 .LBB120_96
; %bb.97:
	v_mov_b32_e32 v81, 3
.LBB120_98:
	s_or_b64 exec, exec, s[0:1]
	v_cmp_lt_i32_e32 vcc, 3, v81
	s_waitcnt lgkmcnt(0)
	s_barrier
	s_and_saveexec_b64 s[0:1], vcc
	s_cbranch_execz .LBB120_101
; %bb.99:
	scratch_load_dwordx4 v[8:11], off, off offset:48
	s_mov_b32 s4, 0
	s_waitcnt vmcnt(0)
	v_mul_f64 v[4:5], v[2:3], v[10:11]
	v_mul_f64 v[6:7], v[0:1], v[10:11]
	v_fma_f64 v[4:5], v[0:1], v[8:9], -v[4:5]
	v_fmac_f64_e32 v[6:7], v[2:3], v[8:9]
	v_add3_u32 v0, v82, 0, 64
	scratch_store_dwordx4 off, v[4:7], off offset:48
.LBB120_100:                            ; =>This Inner Loop Header: Depth=1
	s_add_i32 s12, s4, 64
	s_add_i32 s13, s4, 0x50
	;; [unrolled: 1-line block ×3, first 2 shown]
	scratch_load_dwordx4 v[8:11], off, s12
	scratch_load_dwordx4 v[12:15], off, s13
	;; [unrolled: 1-line block ×3, first 2 shown]
	v_add_u32_e32 v1, s4, v0
	ds_read2_b64 v[20:23], v1 offset1:1
	ds_read2_b64 v[24:27], v1 offset0:2 offset1:3
	ds_read2_b64 v[28:31], v1 offset0:4 offset1:5
	s_add_i32 s4, s4, 48
	s_cmpk_lg_i32 s4, 0x390
	s_waitcnt lgkmcnt(2)
	v_mul_f64 v[2:3], v[22:23], v[6:7]
	v_mul_f64 v[32:33], v[20:21], v[6:7]
	s_waitcnt lgkmcnt(1)
	v_mul_f64 v[34:35], v[26:27], v[6:7]
	v_mul_f64 v[36:37], v[24:25], v[6:7]
	s_waitcnt lgkmcnt(0)
	v_mul_f64 v[38:39], v[30:31], v[6:7]
	v_mul_f64 v[40:41], v[28:29], v[6:7]
	v_fma_f64 v[2:3], v[20:21], v[4:5], -v[2:3]
	v_fmac_f64_e32 v[32:33], v[22:23], v[4:5]
	v_fma_f64 v[20:21], v[24:25], v[4:5], -v[34:35]
	v_fmac_f64_e32 v[36:37], v[26:27], v[4:5]
	;; [unrolled: 2-line block ×3, first 2 shown]
	s_waitcnt vmcnt(2)
	v_add_f64 v[8:9], v[8:9], -v[2:3]
	v_add_f64 v[10:11], v[10:11], -v[32:33]
	s_waitcnt vmcnt(1)
	v_add_f64 v[12:13], v[12:13], -v[20:21]
	v_add_f64 v[14:15], v[14:15], -v[36:37]
	;; [unrolled: 3-line block ×3, first 2 shown]
	scratch_store_dwordx4 off, v[8:11], s12
	scratch_store_dwordx4 off, v[12:15], s13
	;; [unrolled: 1-line block ×3, first 2 shown]
	s_cbranch_scc1 .LBB120_100
.LBB120_101:
	s_or_b64 exec, exec, s[0:1]
	s_barrier
	scratch_load_dwordx4 v[0:3], off, s90
	v_lshl_add_u32 v4, v81, 4, v78
	s_cmp_lt_i32 s51, 6
	s_waitcnt vmcnt(0)
	ds_write2_b64 v4, v[0:1], v[2:3] offset1:1
	s_waitcnt lgkmcnt(0)
	s_barrier
	ds_read2_b64 v[0:3], v78 offset0:8 offset1:9
	v_mov_b32_e32 v4, 4
	s_cbranch_scc1 .LBB120_104
; %bb.102:
	v_mov_b32_e32 v4, 4
	v_add_u32_e32 v5, 0x50, v78
	s_mov_b32 s4, 5
.LBB120_103:                            ; =>This Inner Loop Header: Depth=1
	ds_read2_b64 v[6:9], v5 offset1:1
	s_waitcnt lgkmcnt(1)
	v_xor_b32_e32 v11, 0x80000000, v1
	v_xor_b32_e32 v13, 0x80000000, v3
	v_cmp_gt_f64_e32 vcc, 0, v[2:3]
	v_cmp_gt_f64_e64 s[0:1], 0, v[0:1]
	v_mov_b32_e32 v10, v0
	v_mov_b32_e32 v12, v2
	v_cndmask_b32_e64 v11, v1, v11, s[0:1]
	v_cndmask_b32_e32 v13, v3, v13, vcc
	v_add_f64 v[10:11], v[10:11], v[12:13]
	s_waitcnt lgkmcnt(0)
	v_xor_b32_e32 v13, 0x80000000, v7
	v_xor_b32_e32 v15, 0x80000000, v9
	v_cmp_gt_f64_e32 vcc, 0, v[8:9]
	v_cmp_gt_f64_e64 s[0:1], 0, v[6:7]
	v_mov_b32_e32 v12, v6
	v_mov_b32_e32 v14, v8
	v_cndmask_b32_e64 v13, v7, v13, s[0:1]
	v_cndmask_b32_e32 v15, v9, v15, vcc
	v_add_f64 v[12:13], v[12:13], v[14:15]
	v_mov_b32_e32 v16, s4
	s_add_i32 s4, s4, 1
	v_cmp_lt_f64_e32 vcc, v[10:11], v[12:13]
	v_add_u32_e32 v5, 16, v5
	s_cmp_lg_u32 s51, s4
	v_cndmask_b32_e32 v1, v1, v7, vcc
	v_cndmask_b32_e32 v0, v0, v6, vcc
	;; [unrolled: 1-line block ×5, first 2 shown]
	s_cbranch_scc1 .LBB120_103
.LBB120_104:
	s_waitcnt lgkmcnt(0)
	v_cmp_eq_f64_e32 vcc, 0, v[0:1]
	v_cmp_eq_f64_e64 s[0:1], 0, v[2:3]
	s_and_b64 s[0:1], vcc, s[0:1]
	s_and_saveexec_b64 s[4:5], s[0:1]
	s_xor_b64 s[0:1], exec, s[4:5]
; %bb.105:
	v_cmp_ne_u32_e32 vcc, 0, v79
	s_nop 1
	v_cndmask_b32_e32 v79, 5, v79, vcc
; %bb.106:
	s_andn2_saveexec_b64 s[0:1], s[0:1]
	s_cbranch_execz .LBB120_112
; %bb.107:
	v_cmp_ngt_f64_e64 s[4:5], |v[0:1]|, |v[2:3]|
	s_and_saveexec_b64 s[12:13], s[4:5]
	s_xor_b64 s[12:13], exec, s[12:13]
	s_cbranch_execz .LBB120_109
; %bb.108:
	v_div_scale_f64 v[6:7], s[4:5], v[2:3], v[2:3], v[0:1]
	v_rcp_f64_e32 v[8:9], v[6:7]
	v_div_scale_f64 v[10:11], vcc, v[0:1], v[2:3], v[0:1]
	v_fma_f64 v[12:13], -v[6:7], v[8:9], 1.0
	v_fmac_f64_e32 v[8:9], v[8:9], v[12:13]
	v_fma_f64 v[12:13], -v[6:7], v[8:9], 1.0
	v_fmac_f64_e32 v[8:9], v[8:9], v[12:13]
	v_mul_f64 v[12:13], v[10:11], v[8:9]
	v_fma_f64 v[6:7], -v[6:7], v[12:13], v[10:11]
	v_div_fmas_f64 v[6:7], v[6:7], v[8:9], v[12:13]
	v_div_fixup_f64 v[6:7], v[6:7], v[2:3], v[0:1]
	v_fmac_f64_e32 v[2:3], v[0:1], v[6:7]
	v_div_scale_f64 v[0:1], s[4:5], v[2:3], v[2:3], 1.0
	v_rcp_f64_e32 v[8:9], v[0:1]
	s_nop 0
	v_fma_f64 v[10:11], -v[0:1], v[8:9], 1.0
	v_fmac_f64_e32 v[8:9], v[8:9], v[10:11]
	v_fma_f64 v[10:11], -v[0:1], v[8:9], 1.0
	v_fmac_f64_e32 v[8:9], v[8:9], v[10:11]
	v_div_scale_f64 v[10:11], vcc, 1.0, v[2:3], 1.0
	v_mul_f64 v[12:13], v[10:11], v[8:9]
	v_fma_f64 v[0:1], -v[0:1], v[12:13], v[10:11]
	s_nop 1
	v_div_fmas_f64 v[0:1], v[0:1], v[8:9], v[12:13]
	v_div_fixup_f64 v[2:3], v[0:1], v[2:3], 1.0
	v_mul_f64 v[0:1], v[6:7], v[2:3]
	v_xor_b32_e32 v3, 0x80000000, v3
.LBB120_109:
	s_andn2_saveexec_b64 s[12:13], s[12:13]
	s_cbranch_execz .LBB120_111
; %bb.110:
	v_div_scale_f64 v[6:7], s[4:5], v[0:1], v[0:1], v[2:3]
	v_rcp_f64_e32 v[8:9], v[6:7]
	v_div_scale_f64 v[10:11], vcc, v[2:3], v[0:1], v[2:3]
	v_fma_f64 v[12:13], -v[6:7], v[8:9], 1.0
	v_fmac_f64_e32 v[8:9], v[8:9], v[12:13]
	v_fma_f64 v[12:13], -v[6:7], v[8:9], 1.0
	v_fmac_f64_e32 v[8:9], v[8:9], v[12:13]
	v_mul_f64 v[12:13], v[10:11], v[8:9]
	v_fma_f64 v[6:7], -v[6:7], v[12:13], v[10:11]
	v_div_fmas_f64 v[6:7], v[6:7], v[8:9], v[12:13]
	v_div_fixup_f64 v[6:7], v[6:7], v[0:1], v[2:3]
	v_fmac_f64_e32 v[0:1], v[2:3], v[6:7]
	v_div_scale_f64 v[2:3], s[4:5], v[0:1], v[0:1], 1.0
	v_rcp_f64_e32 v[8:9], v[2:3]
	s_nop 0
	v_fma_f64 v[10:11], -v[2:3], v[8:9], 1.0
	v_fmac_f64_e32 v[8:9], v[8:9], v[10:11]
	v_fma_f64 v[10:11], -v[2:3], v[8:9], 1.0
	v_fmac_f64_e32 v[8:9], v[8:9], v[10:11]
	v_div_scale_f64 v[10:11], vcc, 1.0, v[0:1], 1.0
	v_mul_f64 v[12:13], v[10:11], v[8:9]
	v_fma_f64 v[2:3], -v[2:3], v[12:13], v[10:11]
	s_nop 1
	v_div_fmas_f64 v[2:3], v[2:3], v[8:9], v[12:13]
	v_div_fixup_f64 v[0:1], v[2:3], v[0:1], 1.0
	v_mul_f64 v[2:3], v[6:7], -v[0:1]
.LBB120_111:
	s_or_b64 exec, exec, s[12:13]
.LBB120_112:
	s_or_b64 exec, exec, s[0:1]
	v_cmp_ne_u32_e32 vcc, v81, v4
	s_and_saveexec_b64 s[0:1], vcc
	s_xor_b64 s[0:1], exec, s[0:1]
	s_cbranch_execz .LBB120_118
; %bb.113:
	v_cmp_eq_u32_e32 vcc, 4, v81
	s_and_saveexec_b64 s[12:13], vcc
	s_cbranch_execz .LBB120_117
; %bb.114:
	v_cmp_ne_u32_e32 vcc, 4, v4
	s_xor_b64 s[4:5], s[18:19], -1
	s_and_b64 s[4:5], s[4:5], vcc
	s_and_saveexec_b64 s[14:15], s[4:5]
	s_cbranch_execz .LBB120_116
; %bb.115:
	v_ashrrev_i32_e32 v5, 31, v4
	v_lshl_add_u64 v[6:7], v[4:5], 2, v[46:47]
	global_load_dword v5, v[6:7], off
	global_load_dword v8, v[46:47], off offset:16
	s_waitcnt vmcnt(1)
	global_store_dword v[46:47], v5, off offset:16
	s_waitcnt vmcnt(1)
	global_store_dword v[6:7], v8, off
.LBB120_116:
	s_or_b64 exec, exec, s[14:15]
	v_mov_b32_e32 v81, v4
	v_mov_b32_e32 v80, v4
.LBB120_117:
	s_or_b64 exec, exec, s[12:13]
.LBB120_118:
	s_andn2_saveexec_b64 s[0:1], s[0:1]
	s_cbranch_execz .LBB120_122
; %bb.119:
	s_mov_b32 s4, 0
	v_add_u32_e32 v4, 0x50, v78
.LBB120_120:                            ; =>This Inner Loop Header: Depth=1
	s_add_i32 s12, s4, 0x50
	s_add_i32 s13, s4, 0x60
	;; [unrolled: 1-line block ×14, first 2 shown]
	scratch_load_dwordx4 v[6:9], off, s12
	scratch_load_dwordx4 v[10:13], off, s13
	;; [unrolled: 1-line block ×14, first 2 shown]
	v_add_u32_e32 v5, s4, v4
	s_addk_i32 s4, 0xe0
	s_cmpk_eq_i32 s4, 0x380
	s_waitcnt vmcnt(13)
	ds_write2_b64 v5, v[6:7], v[8:9] offset1:1
	s_waitcnt vmcnt(12)
	ds_write2_b64 v5, v[10:11], v[12:13] offset0:2 offset1:3
	s_waitcnt vmcnt(11)
	ds_write2_b64 v5, v[14:15], v[16:17] offset0:4 offset1:5
	;; [unrolled: 2-line block ×13, first 2 shown]
	s_cbranch_scc0 .LBB120_120
; %bb.121:
	v_mov_b32_e32 v81, 4
.LBB120_122:
	s_or_b64 exec, exec, s[0:1]
	v_cmp_lt_i32_e32 vcc, 4, v81
	s_waitcnt lgkmcnt(0)
	s_barrier
	s_and_saveexec_b64 s[0:1], vcc
	s_cbranch_execz .LBB120_125
; %bb.123:
	scratch_load_dwordx4 v[8:11], off, off offset:64
	s_mov_b32 s12, 0
	s_waitcnt vmcnt(0)
	v_mul_f64 v[4:5], v[2:3], v[10:11]
	v_mul_f64 v[6:7], v[0:1], v[10:11]
	v_fma_f64 v[4:5], v[0:1], v[8:9], -v[4:5]
	v_fmac_f64_e32 v[6:7], v[2:3], v[8:9]
	v_add_u32_e32 v0, 0x50, v78
	scratch_store_dwordx4 off, v[4:7], off offset:64
.LBB120_124:                            ; =>This Inner Loop Header: Depth=1
	s_add_i32 s13, s12, 0x50
	s_add_i32 s14, s12, 0x60
	;; [unrolled: 1-line block ×8, first 2 shown]
	scratch_load_dwordx4 v[8:11], off, s13
	scratch_load_dwordx4 v[12:15], off, s14
	;; [unrolled: 1-line block ×8, first 2 shown]
	v_add_u32_e32 v1, s12, v0
	ds_read2_b64 v[40:43], v1 offset1:1
	ds_read2_b64 v[50:53], v1 offset0:2 offset1:3
	ds_read2_b64 v[54:57], v1 offset0:4 offset1:5
	;; [unrolled: 1-line block ×7, first 2 shown]
	s_waitcnt lgkmcnt(7)
	v_mul_f64 v[2:3], v[42:43], v[6:7]
	v_mul_f64 v[82:83], v[40:41], v[6:7]
	s_addk_i32 s12, 0x80
	s_waitcnt lgkmcnt(6)
	v_mul_f64 v[84:85], v[52:53], v[6:7]
	v_mul_f64 v[86:87], v[50:51], v[6:7]
	s_waitcnt lgkmcnt(5)
	v_mul_f64 v[88:89], v[56:57], v[6:7]
	v_mul_f64 v[90:91], v[54:55], v[6:7]
	s_waitcnt lgkmcnt(4)
	v_mul_f64 v[92:93], v[60:61], v[6:7]
	v_mul_f64 v[94:95], v[58:59], v[6:7]
	s_waitcnt lgkmcnt(3)
	v_mul_f64 v[96:97], v[64:65], v[6:7]
	v_mul_f64 v[98:99], v[62:63], v[6:7]
	s_waitcnt lgkmcnt(2)
	v_mul_f64 v[100:101], v[68:69], v[6:7]
	v_mul_f64 v[102:103], v[66:67], v[6:7]
	s_waitcnt lgkmcnt(1)
	v_mul_f64 v[104:105], v[72:73], v[6:7]
	v_mul_f64 v[106:107], v[70:71], v[6:7]
	s_waitcnt lgkmcnt(0)
	v_mul_f64 v[108:109], v[76:77], v[6:7]
	v_mul_f64 v[110:111], v[74:75], v[6:7]
	v_fma_f64 v[2:3], v[40:41], v[4:5], -v[2:3]
	v_fmac_f64_e32 v[82:83], v[42:43], v[4:5]
	s_cmpk_lg_i32 s12, 0x380
	v_fma_f64 v[40:41], v[50:51], v[4:5], -v[84:85]
	v_fmac_f64_e32 v[86:87], v[52:53], v[4:5]
	v_fma_f64 v[42:43], v[54:55], v[4:5], -v[88:89]
	v_fmac_f64_e32 v[90:91], v[56:57], v[4:5]
	;; [unrolled: 2-line block ×7, first 2 shown]
	s_waitcnt vmcnt(7)
	v_add_f64 v[8:9], v[8:9], -v[2:3]
	v_add_f64 v[10:11], v[10:11], -v[82:83]
	s_waitcnt vmcnt(6)
	v_add_f64 v[12:13], v[12:13], -v[40:41]
	v_add_f64 v[14:15], v[14:15], -v[86:87]
	s_waitcnt vmcnt(5)
	v_add_f64 v[16:17], v[16:17], -v[42:43]
	v_add_f64 v[18:19], v[18:19], -v[90:91]
	s_waitcnt vmcnt(4)
	v_add_f64 v[20:21], v[20:21], -v[50:51]
	v_add_f64 v[22:23], v[22:23], -v[94:95]
	s_waitcnt vmcnt(3)
	v_add_f64 v[24:25], v[24:25], -v[52:53]
	v_add_f64 v[26:27], v[26:27], -v[98:99]
	s_waitcnt vmcnt(2)
	v_add_f64 v[28:29], v[28:29], -v[54:55]
	v_add_f64 v[30:31], v[30:31], -v[102:103]
	s_waitcnt vmcnt(1)
	v_add_f64 v[32:33], v[32:33], -v[56:57]
	v_add_f64 v[34:35], v[34:35], -v[106:107]
	s_waitcnt vmcnt(0)
	v_add_f64 v[36:37], v[36:37], -v[58:59]
	v_add_f64 v[38:39], v[38:39], -v[110:111]
	scratch_store_dwordx4 off, v[8:11], s13
	scratch_store_dwordx4 off, v[12:15], s14
	;; [unrolled: 1-line block ×8, first 2 shown]
	s_cbranch_scc1 .LBB120_124
.LBB120_125:
	s_or_b64 exec, exec, s[0:1]
	s_barrier
	scratch_load_dwordx4 v[0:3], off, s89
	v_lshl_add_u32 v4, v81, 4, v78
	s_cmp_lt_i32 s51, 7
	s_waitcnt vmcnt(0)
	ds_write2_b64 v4, v[0:1], v[2:3] offset1:1
	s_waitcnt lgkmcnt(0)
	s_barrier
	ds_read2_b64 v[0:3], v78 offset0:10 offset1:11
	v_mov_b32_e32 v4, 5
	s_cbranch_scc1 .LBB120_128
; %bb.126:
	v_add_u32_e32 v5, 0x60, v78
	s_mov_b32 s4, 6
	v_mov_b32_e32 v4, 5
.LBB120_127:                            ; =>This Inner Loop Header: Depth=1
	ds_read2_b64 v[6:9], v5 offset1:1
	s_waitcnt lgkmcnt(1)
	v_xor_b32_e32 v11, 0x80000000, v1
	v_xor_b32_e32 v13, 0x80000000, v3
	v_cmp_gt_f64_e32 vcc, 0, v[2:3]
	v_cmp_gt_f64_e64 s[0:1], 0, v[0:1]
	v_mov_b32_e32 v10, v0
	v_mov_b32_e32 v12, v2
	v_cndmask_b32_e64 v11, v1, v11, s[0:1]
	v_cndmask_b32_e32 v13, v3, v13, vcc
	v_add_f64 v[10:11], v[10:11], v[12:13]
	s_waitcnt lgkmcnt(0)
	v_xor_b32_e32 v13, 0x80000000, v7
	v_xor_b32_e32 v15, 0x80000000, v9
	v_cmp_gt_f64_e32 vcc, 0, v[8:9]
	v_cmp_gt_f64_e64 s[0:1], 0, v[6:7]
	v_mov_b32_e32 v12, v6
	v_mov_b32_e32 v14, v8
	v_cndmask_b32_e64 v13, v7, v13, s[0:1]
	v_cndmask_b32_e32 v15, v9, v15, vcc
	v_add_f64 v[12:13], v[12:13], v[14:15]
	v_mov_b32_e32 v16, s4
	s_add_i32 s4, s4, 1
	v_cmp_lt_f64_e32 vcc, v[10:11], v[12:13]
	v_add_u32_e32 v5, 16, v5
	s_cmp_lg_u32 s51, s4
	v_cndmask_b32_e32 v1, v1, v7, vcc
	v_cndmask_b32_e32 v0, v0, v6, vcc
	;; [unrolled: 1-line block ×5, first 2 shown]
	s_cbranch_scc1 .LBB120_127
.LBB120_128:
	s_waitcnt lgkmcnt(0)
	v_cmp_eq_f64_e32 vcc, 0, v[0:1]
	v_cmp_eq_f64_e64 s[0:1], 0, v[2:3]
	s_and_b64 s[0:1], vcc, s[0:1]
	s_and_saveexec_b64 s[4:5], s[0:1]
	s_xor_b64 s[0:1], exec, s[4:5]
; %bb.129:
	v_cmp_ne_u32_e32 vcc, 0, v79
	s_nop 1
	v_cndmask_b32_e32 v79, 6, v79, vcc
; %bb.130:
	s_andn2_saveexec_b64 s[0:1], s[0:1]
	s_cbranch_execz .LBB120_136
; %bb.131:
	v_cmp_ngt_f64_e64 s[4:5], |v[0:1]|, |v[2:3]|
	s_and_saveexec_b64 s[12:13], s[4:5]
	s_xor_b64 s[12:13], exec, s[12:13]
	s_cbranch_execz .LBB120_133
; %bb.132:
	v_div_scale_f64 v[6:7], s[4:5], v[2:3], v[2:3], v[0:1]
	v_rcp_f64_e32 v[8:9], v[6:7]
	v_div_scale_f64 v[10:11], vcc, v[0:1], v[2:3], v[0:1]
	v_fma_f64 v[12:13], -v[6:7], v[8:9], 1.0
	v_fmac_f64_e32 v[8:9], v[8:9], v[12:13]
	v_fma_f64 v[12:13], -v[6:7], v[8:9], 1.0
	v_fmac_f64_e32 v[8:9], v[8:9], v[12:13]
	v_mul_f64 v[12:13], v[10:11], v[8:9]
	v_fma_f64 v[6:7], -v[6:7], v[12:13], v[10:11]
	v_div_fmas_f64 v[6:7], v[6:7], v[8:9], v[12:13]
	v_div_fixup_f64 v[6:7], v[6:7], v[2:3], v[0:1]
	v_fmac_f64_e32 v[2:3], v[0:1], v[6:7]
	v_div_scale_f64 v[0:1], s[4:5], v[2:3], v[2:3], 1.0
	v_rcp_f64_e32 v[8:9], v[0:1]
	s_nop 0
	v_fma_f64 v[10:11], -v[0:1], v[8:9], 1.0
	v_fmac_f64_e32 v[8:9], v[8:9], v[10:11]
	v_fma_f64 v[10:11], -v[0:1], v[8:9], 1.0
	v_fmac_f64_e32 v[8:9], v[8:9], v[10:11]
	v_div_scale_f64 v[10:11], vcc, 1.0, v[2:3], 1.0
	v_mul_f64 v[12:13], v[10:11], v[8:9]
	v_fma_f64 v[0:1], -v[0:1], v[12:13], v[10:11]
	s_nop 1
	v_div_fmas_f64 v[0:1], v[0:1], v[8:9], v[12:13]
	v_div_fixup_f64 v[2:3], v[0:1], v[2:3], 1.0
	v_mul_f64 v[0:1], v[6:7], v[2:3]
	v_xor_b32_e32 v3, 0x80000000, v3
.LBB120_133:
	s_andn2_saveexec_b64 s[12:13], s[12:13]
	s_cbranch_execz .LBB120_135
; %bb.134:
	v_div_scale_f64 v[6:7], s[4:5], v[0:1], v[0:1], v[2:3]
	v_rcp_f64_e32 v[8:9], v[6:7]
	v_div_scale_f64 v[10:11], vcc, v[2:3], v[0:1], v[2:3]
	v_fma_f64 v[12:13], -v[6:7], v[8:9], 1.0
	v_fmac_f64_e32 v[8:9], v[8:9], v[12:13]
	v_fma_f64 v[12:13], -v[6:7], v[8:9], 1.0
	v_fmac_f64_e32 v[8:9], v[8:9], v[12:13]
	v_mul_f64 v[12:13], v[10:11], v[8:9]
	v_fma_f64 v[6:7], -v[6:7], v[12:13], v[10:11]
	v_div_fmas_f64 v[6:7], v[6:7], v[8:9], v[12:13]
	v_div_fixup_f64 v[6:7], v[6:7], v[0:1], v[2:3]
	v_fmac_f64_e32 v[0:1], v[2:3], v[6:7]
	v_div_scale_f64 v[2:3], s[4:5], v[0:1], v[0:1], 1.0
	v_rcp_f64_e32 v[8:9], v[2:3]
	s_nop 0
	v_fma_f64 v[10:11], -v[2:3], v[8:9], 1.0
	v_fmac_f64_e32 v[8:9], v[8:9], v[10:11]
	v_fma_f64 v[10:11], -v[2:3], v[8:9], 1.0
	v_fmac_f64_e32 v[8:9], v[8:9], v[10:11]
	v_div_scale_f64 v[10:11], vcc, 1.0, v[0:1], 1.0
	v_mul_f64 v[12:13], v[10:11], v[8:9]
	v_fma_f64 v[2:3], -v[2:3], v[12:13], v[10:11]
	s_nop 1
	v_div_fmas_f64 v[2:3], v[2:3], v[8:9], v[12:13]
	v_div_fixup_f64 v[0:1], v[2:3], v[0:1], 1.0
	v_mul_f64 v[2:3], v[6:7], -v[0:1]
.LBB120_135:
	s_or_b64 exec, exec, s[12:13]
.LBB120_136:
	s_or_b64 exec, exec, s[0:1]
	v_cmp_ne_u32_e32 vcc, v81, v4
	s_and_saveexec_b64 s[0:1], vcc
	s_xor_b64 s[0:1], exec, s[0:1]
	s_cbranch_execz .LBB120_142
; %bb.137:
	v_cmp_eq_u32_e32 vcc, 5, v81
	s_and_saveexec_b64 s[12:13], vcc
	s_cbranch_execz .LBB120_141
; %bb.138:
	v_cmp_ne_u32_e32 vcc, 5, v4
	s_xor_b64 s[4:5], s[18:19], -1
	s_and_b64 s[4:5], s[4:5], vcc
	s_and_saveexec_b64 s[14:15], s[4:5]
	s_cbranch_execz .LBB120_140
; %bb.139:
	v_ashrrev_i32_e32 v5, 31, v4
	v_lshl_add_u64 v[6:7], v[4:5], 2, v[46:47]
	global_load_dword v5, v[6:7], off
	global_load_dword v8, v[46:47], off offset:20
	s_waitcnt vmcnt(1)
	global_store_dword v[46:47], v5, off offset:20
	s_waitcnt vmcnt(1)
	global_store_dword v[6:7], v8, off
.LBB120_140:
	s_or_b64 exec, exec, s[14:15]
	v_mov_b32_e32 v81, v4
	v_mov_b32_e32 v80, v4
.LBB120_141:
	s_or_b64 exec, exec, s[12:13]
.LBB120_142:
	s_andn2_saveexec_b64 s[0:1], s[0:1]
	s_cbranch_execz .LBB120_146
; %bb.143:
	s_mov_b32 s4, 0
	v_add_u32_e32 v4, 0x60, v78
.LBB120_144:                            ; =>This Inner Loop Header: Depth=1
	s_add_i32 s12, s4, 0x60
	s_add_i32 s13, s4, 0x70
	;; [unrolled: 1-line block ×11, first 2 shown]
	scratch_load_dwordx4 v[6:9], off, s12
	scratch_load_dwordx4 v[10:13], off, s13
	;; [unrolled: 1-line block ×11, first 2 shown]
	v_add_u32_e32 v5, s4, v4
	s_addk_i32 s4, 0xb0
	s_cmpk_eq_i32 s4, 0x370
	s_waitcnt vmcnt(10)
	ds_write2_b64 v5, v[6:7], v[8:9] offset1:1
	s_waitcnt vmcnt(9)
	ds_write2_b64 v5, v[10:11], v[12:13] offset0:2 offset1:3
	s_waitcnt vmcnt(8)
	ds_write2_b64 v5, v[14:15], v[16:17] offset0:4 offset1:5
	s_waitcnt vmcnt(7)
	ds_write2_b64 v5, v[18:19], v[20:21] offset0:6 offset1:7
	s_waitcnt vmcnt(6)
	ds_write2_b64 v5, v[22:23], v[24:25] offset0:8 offset1:9
	s_waitcnt vmcnt(5)
	ds_write2_b64 v5, v[26:27], v[28:29] offset0:10 offset1:11
	s_waitcnt vmcnt(4)
	ds_write2_b64 v5, v[30:31], v[32:33] offset0:12 offset1:13
	s_waitcnt vmcnt(3)
	ds_write2_b64 v5, v[34:35], v[36:37] offset0:14 offset1:15
	s_waitcnt vmcnt(2)
	ds_write2_b64 v5, v[38:39], v[40:41] offset0:16 offset1:17
	s_waitcnt vmcnt(1)
	ds_write2_b64 v5, v[50:51], v[52:53] offset0:18 offset1:19
	s_waitcnt vmcnt(0)
	ds_write2_b64 v5, v[54:55], v[56:57] offset0:20 offset1:21
	s_cbranch_scc0 .LBB120_144
; %bb.145:
	v_mov_b32_e32 v81, 5
.LBB120_146:
	s_or_b64 exec, exec, s[0:1]
	v_cmp_lt_i32_e32 vcc, 5, v81
	s_waitcnt lgkmcnt(0)
	s_barrier
	s_and_saveexec_b64 s[0:1], vcc
	s_cbranch_execz .LBB120_149
; %bb.147:
	scratch_load_dwordx4 v[8:11], off, off offset:80
	s_mov_b32 s4, 0
	s_waitcnt vmcnt(0)
	v_mul_f64 v[4:5], v[2:3], v[10:11]
	v_mul_f64 v[6:7], v[0:1], v[10:11]
	v_fma_f64 v[4:5], v[0:1], v[8:9], -v[4:5]
	v_fmac_f64_e32 v[6:7], v[2:3], v[8:9]
	v_add_u32_e32 v0, 0x60, v78
	scratch_store_dwordx4 off, v[4:7], off offset:80
.LBB120_148:                            ; =>This Inner Loop Header: Depth=1
	s_add_i32 s12, s4, 0x60
	s_add_i32 s13, s4, 0x70
	;; [unrolled: 1-line block ×5, first 2 shown]
	scratch_load_dwordx4 v[8:11], off, s12
	scratch_load_dwordx4 v[12:15], off, s13
	;; [unrolled: 1-line block ×5, first 2 shown]
	v_add_u32_e32 v1, s4, v0
	ds_read2_b64 v[28:31], v1 offset1:1
	ds_read2_b64 v[32:35], v1 offset0:2 offset1:3
	ds_read2_b64 v[36:39], v1 offset0:4 offset1:5
	;; [unrolled: 1-line block ×4, first 2 shown]
	s_waitcnt lgkmcnt(4)
	v_mul_f64 v[2:3], v[30:31], v[6:7]
	v_mul_f64 v[54:55], v[28:29], v[6:7]
	s_addk_i32 s4, 0x50
	s_waitcnt lgkmcnt(3)
	v_mul_f64 v[56:57], v[34:35], v[6:7]
	v_mul_f64 v[58:59], v[32:33], v[6:7]
	s_waitcnt lgkmcnt(2)
	v_mul_f64 v[60:61], v[38:39], v[6:7]
	v_mul_f64 v[62:63], v[36:37], v[6:7]
	;; [unrolled: 3-line block ×4, first 2 shown]
	v_fma_f64 v[2:3], v[28:29], v[4:5], -v[2:3]
	v_fmac_f64_e32 v[54:55], v[30:31], v[4:5]
	s_cmpk_lg_i32 s4, 0x370
	v_fma_f64 v[28:29], v[32:33], v[4:5], -v[56:57]
	v_fmac_f64_e32 v[58:59], v[34:35], v[4:5]
	v_fma_f64 v[30:31], v[36:37], v[4:5], -v[60:61]
	v_fmac_f64_e32 v[62:63], v[38:39], v[4:5]
	;; [unrolled: 2-line block ×4, first 2 shown]
	s_waitcnt vmcnt(4)
	v_add_f64 v[8:9], v[8:9], -v[2:3]
	v_add_f64 v[10:11], v[10:11], -v[54:55]
	s_waitcnt vmcnt(3)
	v_add_f64 v[12:13], v[12:13], -v[28:29]
	v_add_f64 v[14:15], v[14:15], -v[58:59]
	;; [unrolled: 3-line block ×5, first 2 shown]
	scratch_store_dwordx4 off, v[8:11], s12
	scratch_store_dwordx4 off, v[12:15], s13
	;; [unrolled: 1-line block ×5, first 2 shown]
	s_cbranch_scc1 .LBB120_148
.LBB120_149:
	s_or_b64 exec, exec, s[0:1]
	s_barrier
	scratch_load_dwordx4 v[0:3], off, s50
	v_lshl_add_u32 v4, v81, 4, v78
	s_cmp_lt_i32 s51, 8
	s_waitcnt vmcnt(0)
	ds_write2_b64 v4, v[0:1], v[2:3] offset1:1
	s_waitcnt lgkmcnt(0)
	s_barrier
	ds_read2_b64 v[0:3], v78 offset0:12 offset1:13
	v_mov_b32_e32 v4, 6
	s_cbranch_scc1 .LBB120_152
; %bb.150:
	v_add_u32_e32 v5, 0x70, v78
	s_mov_b32 s4, 7
	v_mov_b32_e32 v4, 6
.LBB120_151:                            ; =>This Inner Loop Header: Depth=1
	ds_read2_b64 v[6:9], v5 offset1:1
	s_waitcnt lgkmcnt(1)
	v_xor_b32_e32 v11, 0x80000000, v1
	v_xor_b32_e32 v13, 0x80000000, v3
	v_cmp_gt_f64_e32 vcc, 0, v[2:3]
	v_cmp_gt_f64_e64 s[0:1], 0, v[0:1]
	v_mov_b32_e32 v10, v0
	v_mov_b32_e32 v12, v2
	v_cndmask_b32_e64 v11, v1, v11, s[0:1]
	v_cndmask_b32_e32 v13, v3, v13, vcc
	v_add_f64 v[10:11], v[10:11], v[12:13]
	s_waitcnt lgkmcnt(0)
	v_xor_b32_e32 v13, 0x80000000, v7
	v_xor_b32_e32 v15, 0x80000000, v9
	v_cmp_gt_f64_e32 vcc, 0, v[8:9]
	v_cmp_gt_f64_e64 s[0:1], 0, v[6:7]
	v_mov_b32_e32 v12, v6
	v_mov_b32_e32 v14, v8
	v_cndmask_b32_e64 v13, v7, v13, s[0:1]
	v_cndmask_b32_e32 v15, v9, v15, vcc
	v_add_f64 v[12:13], v[12:13], v[14:15]
	v_mov_b32_e32 v16, s4
	s_add_i32 s4, s4, 1
	v_cmp_lt_f64_e32 vcc, v[10:11], v[12:13]
	v_add_u32_e32 v5, 16, v5
	s_cmp_lg_u32 s51, s4
	v_cndmask_b32_e32 v1, v1, v7, vcc
	v_cndmask_b32_e32 v0, v0, v6, vcc
	;; [unrolled: 1-line block ×5, first 2 shown]
	s_cbranch_scc1 .LBB120_151
.LBB120_152:
	s_waitcnt lgkmcnt(0)
	v_cmp_eq_f64_e32 vcc, 0, v[0:1]
	v_cmp_eq_f64_e64 s[0:1], 0, v[2:3]
	s_and_b64 s[0:1], vcc, s[0:1]
	s_and_saveexec_b64 s[4:5], s[0:1]
	s_xor_b64 s[0:1], exec, s[4:5]
; %bb.153:
	v_cmp_ne_u32_e32 vcc, 0, v79
	s_nop 1
	v_cndmask_b32_e32 v79, 7, v79, vcc
; %bb.154:
	s_andn2_saveexec_b64 s[0:1], s[0:1]
	s_cbranch_execz .LBB120_160
; %bb.155:
	v_cmp_ngt_f64_e64 s[4:5], |v[0:1]|, |v[2:3]|
	s_and_saveexec_b64 s[12:13], s[4:5]
	s_xor_b64 s[12:13], exec, s[12:13]
	s_cbranch_execz .LBB120_157
; %bb.156:
	v_div_scale_f64 v[6:7], s[4:5], v[2:3], v[2:3], v[0:1]
	v_rcp_f64_e32 v[8:9], v[6:7]
	v_div_scale_f64 v[10:11], vcc, v[0:1], v[2:3], v[0:1]
	v_fma_f64 v[12:13], -v[6:7], v[8:9], 1.0
	v_fmac_f64_e32 v[8:9], v[8:9], v[12:13]
	v_fma_f64 v[12:13], -v[6:7], v[8:9], 1.0
	v_fmac_f64_e32 v[8:9], v[8:9], v[12:13]
	v_mul_f64 v[12:13], v[10:11], v[8:9]
	v_fma_f64 v[6:7], -v[6:7], v[12:13], v[10:11]
	v_div_fmas_f64 v[6:7], v[6:7], v[8:9], v[12:13]
	v_div_fixup_f64 v[6:7], v[6:7], v[2:3], v[0:1]
	v_fmac_f64_e32 v[2:3], v[0:1], v[6:7]
	v_div_scale_f64 v[0:1], s[4:5], v[2:3], v[2:3], 1.0
	v_rcp_f64_e32 v[8:9], v[0:1]
	s_nop 0
	v_fma_f64 v[10:11], -v[0:1], v[8:9], 1.0
	v_fmac_f64_e32 v[8:9], v[8:9], v[10:11]
	v_fma_f64 v[10:11], -v[0:1], v[8:9], 1.0
	v_fmac_f64_e32 v[8:9], v[8:9], v[10:11]
	v_div_scale_f64 v[10:11], vcc, 1.0, v[2:3], 1.0
	v_mul_f64 v[12:13], v[10:11], v[8:9]
	v_fma_f64 v[0:1], -v[0:1], v[12:13], v[10:11]
	s_nop 1
	v_div_fmas_f64 v[0:1], v[0:1], v[8:9], v[12:13]
	v_div_fixup_f64 v[2:3], v[0:1], v[2:3], 1.0
	v_mul_f64 v[0:1], v[6:7], v[2:3]
	v_xor_b32_e32 v3, 0x80000000, v3
.LBB120_157:
	s_andn2_saveexec_b64 s[12:13], s[12:13]
	s_cbranch_execz .LBB120_159
; %bb.158:
	v_div_scale_f64 v[6:7], s[4:5], v[0:1], v[0:1], v[2:3]
	v_rcp_f64_e32 v[8:9], v[6:7]
	v_div_scale_f64 v[10:11], vcc, v[2:3], v[0:1], v[2:3]
	v_fma_f64 v[12:13], -v[6:7], v[8:9], 1.0
	v_fmac_f64_e32 v[8:9], v[8:9], v[12:13]
	v_fma_f64 v[12:13], -v[6:7], v[8:9], 1.0
	v_fmac_f64_e32 v[8:9], v[8:9], v[12:13]
	v_mul_f64 v[12:13], v[10:11], v[8:9]
	v_fma_f64 v[6:7], -v[6:7], v[12:13], v[10:11]
	v_div_fmas_f64 v[6:7], v[6:7], v[8:9], v[12:13]
	v_div_fixup_f64 v[6:7], v[6:7], v[0:1], v[2:3]
	v_fmac_f64_e32 v[0:1], v[2:3], v[6:7]
	v_div_scale_f64 v[2:3], s[4:5], v[0:1], v[0:1], 1.0
	v_rcp_f64_e32 v[8:9], v[2:3]
	s_nop 0
	v_fma_f64 v[10:11], -v[2:3], v[8:9], 1.0
	v_fmac_f64_e32 v[8:9], v[8:9], v[10:11]
	v_fma_f64 v[10:11], -v[2:3], v[8:9], 1.0
	v_fmac_f64_e32 v[8:9], v[8:9], v[10:11]
	v_div_scale_f64 v[10:11], vcc, 1.0, v[0:1], 1.0
	v_mul_f64 v[12:13], v[10:11], v[8:9]
	v_fma_f64 v[2:3], -v[2:3], v[12:13], v[10:11]
	s_nop 1
	v_div_fmas_f64 v[2:3], v[2:3], v[8:9], v[12:13]
	v_div_fixup_f64 v[0:1], v[2:3], v[0:1], 1.0
	v_mul_f64 v[2:3], v[6:7], -v[0:1]
.LBB120_159:
	s_or_b64 exec, exec, s[12:13]
.LBB120_160:
	s_or_b64 exec, exec, s[0:1]
	v_cmp_ne_u32_e32 vcc, v81, v4
	s_and_saveexec_b64 s[0:1], vcc
	s_xor_b64 s[0:1], exec, s[0:1]
	s_cbranch_execz .LBB120_166
; %bb.161:
	v_cmp_eq_u32_e32 vcc, 6, v81
	s_and_saveexec_b64 s[12:13], vcc
	s_cbranch_execz .LBB120_165
; %bb.162:
	v_cmp_ne_u32_e32 vcc, 6, v4
	s_xor_b64 s[4:5], s[18:19], -1
	s_and_b64 s[4:5], s[4:5], vcc
	s_and_saveexec_b64 s[14:15], s[4:5]
	s_cbranch_execz .LBB120_164
; %bb.163:
	v_ashrrev_i32_e32 v5, 31, v4
	v_lshl_add_u64 v[6:7], v[4:5], 2, v[46:47]
	global_load_dword v5, v[6:7], off
	global_load_dword v8, v[46:47], off offset:24
	s_waitcnt vmcnt(1)
	global_store_dword v[46:47], v5, off offset:24
	s_waitcnt vmcnt(1)
	global_store_dword v[6:7], v8, off
.LBB120_164:
	s_or_b64 exec, exec, s[14:15]
	v_mov_b32_e32 v81, v4
	v_mov_b32_e32 v80, v4
.LBB120_165:
	s_or_b64 exec, exec, s[12:13]
.LBB120_166:
	s_andn2_saveexec_b64 s[0:1], s[0:1]
	s_cbranch_execz .LBB120_170
; %bb.167:
	s_mov_b32 s4, 0
	v_add_u32_e32 v4, 0x70, v78
.LBB120_168:                            ; =>This Inner Loop Header: Depth=1
	s_add_i32 s12, s4, 0x70
	s_add_i32 s13, s4, 0x80
	;; [unrolled: 1-line block ×18, first 2 shown]
	scratch_load_dwordx4 v[6:9], off, s12
	scratch_load_dwordx4 v[10:13], off, s13
	;; [unrolled: 1-line block ×18, first 2 shown]
	v_add_u32_e32 v5, s4, v4
	s_addk_i32 s4, 0x120
	s_cmpk_eq_i32 s4, 0x360
	s_waitcnt vmcnt(17)
	ds_write2_b64 v5, v[6:7], v[8:9] offset1:1
	s_waitcnt vmcnt(16)
	ds_write2_b64 v5, v[10:11], v[12:13] offset0:2 offset1:3
	s_waitcnt vmcnt(15)
	ds_write2_b64 v5, v[14:15], v[16:17] offset0:4 offset1:5
	;; [unrolled: 2-line block ×17, first 2 shown]
	s_cbranch_scc0 .LBB120_168
; %bb.169:
	v_mov_b32_e32 v81, 6
.LBB120_170:
	s_or_b64 exec, exec, s[0:1]
	v_cmp_lt_i32_e32 vcc, 6, v81
	s_waitcnt lgkmcnt(0)
	s_barrier
	s_and_saveexec_b64 s[0:1], vcc
	s_cbranch_execz .LBB120_173
; %bb.171:
	scratch_load_dwordx4 v[8:11], off, off offset:96
	s_mov_b32 s12, 0
	s_waitcnt vmcnt(0)
	v_mul_f64 v[4:5], v[2:3], v[10:11]
	v_mul_f64 v[6:7], v[0:1], v[10:11]
	v_fma_f64 v[4:5], v[0:1], v[8:9], -v[4:5]
	v_fmac_f64_e32 v[6:7], v[2:3], v[8:9]
	v_add_u32_e32 v0, 0x70, v78
	scratch_store_dwordx4 off, v[4:7], off offset:96
.LBB120_172:                            ; =>This Inner Loop Header: Depth=1
	v_add_u32_e32 v1, s12, v0
	ds_read2_b64 v[8:11], v1 offset1:1
	ds_read2_b64 v[12:15], v1 offset0:2 offset1:3
	ds_read2_b64 v[16:19], v1 offset0:4 offset1:5
	;; [unrolled: 1-line block ×5, first 2 shown]
	s_add_i32 s13, s12, 0x70
	s_waitcnt lgkmcnt(5)
	v_mul_f64 v[2:3], v[10:11], v[6:7]
	v_mul_f64 v[70:71], v[8:9], v[6:7]
	s_waitcnt lgkmcnt(4)
	v_mul_f64 v[72:73], v[14:15], v[6:7]
	v_mul_f64 v[74:75], v[12:13], v[6:7]
	;; [unrolled: 3-line block ×6, first 2 shown]
	s_add_i32 s14, s12, 0x80
	s_add_i32 s15, s12, 0x90
	;; [unrolled: 1-line block ×8, first 2 shown]
	scratch_load_dwordx4 v[32:35], off, s13
	scratch_load_dwordx4 v[36:39], off, s14
	;; [unrolled: 1-line block ×8, first 2 shown]
	v_fma_f64 v[2:3], v[8:9], v[4:5], -v[2:3]
	v_fmac_f64_e32 v[70:71], v[10:11], v[4:5]
	v_fma_f64 v[72:73], v[12:13], v[4:5], -v[72:73]
	v_fmac_f64_e32 v[74:75], v[14:15], v[4:5]
	;; [unrolled: 2-line block ×6, first 2 shown]
	scratch_load_dwordx4 v[4:7], off, off offset:96
	scratch_load_dwordx4 v[8:11], off, s4
	ds_read2_b64 v[12:15], v1 offset0:12 offset1:13
	ds_read2_b64 v[16:19], v1 offset0:14 offset1:15
	;; [unrolled: 1-line block ×3, first 2 shown]
	s_addk_i32 s12, 0x90
	s_cmpk_lg_i32 s12, 0x360
	s_waitcnt vmcnt(9)
	v_add_f64 v[24:25], v[32:33], -v[2:3]
	v_add_f64 v[26:27], v[34:35], -v[70:71]
	s_waitcnt vmcnt(8)
	v_add_f64 v[28:29], v[36:37], -v[72:73]
	v_add_f64 v[30:31], v[38:39], -v[74:75]
	;; [unrolled: 3-line block ×6, first 2 shown]
	scratch_store_dwordx4 off, v[24:27], s13
	scratch_store_dwordx4 off, v[28:31], s14
	scratch_store_dwordx4 off, v[32:35], s15
	scratch_store_dwordx4 off, v[36:39], s5
	scratch_store_dwordx4 off, v[40:43], s16
	scratch_store_dwordx4 off, v[50:53], s66
	s_waitcnt vmcnt(7) lgkmcnt(2)
	v_mul_f64 v[2:3], v[14:15], v[6:7]
	v_mul_f64 v[24:25], v[12:13], v[6:7]
	s_waitcnt lgkmcnt(1)
	v_mul_f64 v[26:27], v[18:19], v[6:7]
	v_mul_f64 v[28:29], v[16:17], v[6:7]
	s_waitcnt lgkmcnt(0)
	v_mul_f64 v[30:31], v[22:23], v[6:7]
	v_mul_f64 v[32:33], v[20:21], v[6:7]
	v_fma_f64 v[2:3], v[12:13], v[4:5], -v[2:3]
	v_fmac_f64_e32 v[24:25], v[14:15], v[4:5]
	v_fma_f64 v[16:17], v[16:17], v[4:5], -v[26:27]
	v_fmac_f64_e32 v[28:29], v[18:19], v[4:5]
	;; [unrolled: 2-line block ×3, first 2 shown]
	v_add_f64 v[12:13], v[62:63], -v[2:3]
	v_add_f64 v[14:15], v[64:65], -v[24:25]
	;; [unrolled: 1-line block ×4, first 2 shown]
	s_waitcnt vmcnt(6)
	v_add_f64 v[8:9], v[8:9], -v[20:21]
	v_add_f64 v[10:11], v[10:11], -v[32:33]
	scratch_store_dwordx4 off, v[12:15], s67
	scratch_store_dwordx4 off, v[16:19], s68
	;; [unrolled: 1-line block ×3, first 2 shown]
	s_cbranch_scc1 .LBB120_172
.LBB120_173:
	s_or_b64 exec, exec, s[0:1]
	s_barrier
	scratch_load_dwordx4 v[0:3], off, s81
	v_lshl_add_u32 v4, v81, 4, v78
	s_cmp_lt_i32 s51, 9
	s_waitcnt vmcnt(0)
	ds_write2_b64 v4, v[0:1], v[2:3] offset1:1
	s_waitcnt lgkmcnt(0)
	s_barrier
	ds_read2_b64 v[0:3], v78 offset0:14 offset1:15
	v_mov_b32_e32 v4, 7
	s_cbranch_scc1 .LBB120_176
; %bb.174:
	v_add_u32_e32 v5, 0x80, v78
	s_mov_b32 s4, 8
	v_mov_b32_e32 v4, 7
.LBB120_175:                            ; =>This Inner Loop Header: Depth=1
	ds_read2_b64 v[6:9], v5 offset1:1
	s_waitcnt lgkmcnt(1)
	v_xor_b32_e32 v11, 0x80000000, v1
	v_xor_b32_e32 v13, 0x80000000, v3
	v_cmp_gt_f64_e32 vcc, 0, v[2:3]
	v_cmp_gt_f64_e64 s[0:1], 0, v[0:1]
	v_mov_b32_e32 v10, v0
	v_mov_b32_e32 v12, v2
	v_cndmask_b32_e64 v11, v1, v11, s[0:1]
	v_cndmask_b32_e32 v13, v3, v13, vcc
	v_add_f64 v[10:11], v[10:11], v[12:13]
	s_waitcnt lgkmcnt(0)
	v_xor_b32_e32 v13, 0x80000000, v7
	v_xor_b32_e32 v15, 0x80000000, v9
	v_cmp_gt_f64_e32 vcc, 0, v[8:9]
	v_cmp_gt_f64_e64 s[0:1], 0, v[6:7]
	v_mov_b32_e32 v12, v6
	v_mov_b32_e32 v14, v8
	v_cndmask_b32_e64 v13, v7, v13, s[0:1]
	v_cndmask_b32_e32 v15, v9, v15, vcc
	v_add_f64 v[12:13], v[12:13], v[14:15]
	v_mov_b32_e32 v16, s4
	s_add_i32 s4, s4, 1
	v_cmp_lt_f64_e32 vcc, v[10:11], v[12:13]
	v_add_u32_e32 v5, 16, v5
	s_cmp_lg_u32 s51, s4
	v_cndmask_b32_e32 v1, v1, v7, vcc
	v_cndmask_b32_e32 v0, v0, v6, vcc
	v_cndmask_b32_e32 v3, v3, v9, vcc
	v_cndmask_b32_e32 v2, v2, v8, vcc
	v_cndmask_b32_e32 v4, v4, v16, vcc
	s_cbranch_scc1 .LBB120_175
.LBB120_176:
	s_waitcnt lgkmcnt(0)
	v_cmp_eq_f64_e32 vcc, 0, v[0:1]
	v_cmp_eq_f64_e64 s[0:1], 0, v[2:3]
	s_and_b64 s[0:1], vcc, s[0:1]
	s_and_saveexec_b64 s[4:5], s[0:1]
	s_xor_b64 s[0:1], exec, s[4:5]
; %bb.177:
	v_cmp_ne_u32_e32 vcc, 0, v79
	s_nop 1
	v_cndmask_b32_e32 v79, 8, v79, vcc
; %bb.178:
	s_andn2_saveexec_b64 s[0:1], s[0:1]
	s_cbranch_execz .LBB120_184
; %bb.179:
	v_cmp_ngt_f64_e64 s[4:5], |v[0:1]|, |v[2:3]|
	s_and_saveexec_b64 s[12:13], s[4:5]
	s_xor_b64 s[12:13], exec, s[12:13]
	s_cbranch_execz .LBB120_181
; %bb.180:
	v_div_scale_f64 v[6:7], s[4:5], v[2:3], v[2:3], v[0:1]
	v_rcp_f64_e32 v[8:9], v[6:7]
	v_div_scale_f64 v[10:11], vcc, v[0:1], v[2:3], v[0:1]
	v_fma_f64 v[12:13], -v[6:7], v[8:9], 1.0
	v_fmac_f64_e32 v[8:9], v[8:9], v[12:13]
	v_fma_f64 v[12:13], -v[6:7], v[8:9], 1.0
	v_fmac_f64_e32 v[8:9], v[8:9], v[12:13]
	v_mul_f64 v[12:13], v[10:11], v[8:9]
	v_fma_f64 v[6:7], -v[6:7], v[12:13], v[10:11]
	v_div_fmas_f64 v[6:7], v[6:7], v[8:9], v[12:13]
	v_div_fixup_f64 v[6:7], v[6:7], v[2:3], v[0:1]
	v_fmac_f64_e32 v[2:3], v[0:1], v[6:7]
	v_div_scale_f64 v[0:1], s[4:5], v[2:3], v[2:3], 1.0
	v_rcp_f64_e32 v[8:9], v[0:1]
	s_nop 0
	v_fma_f64 v[10:11], -v[0:1], v[8:9], 1.0
	v_fmac_f64_e32 v[8:9], v[8:9], v[10:11]
	v_fma_f64 v[10:11], -v[0:1], v[8:9], 1.0
	v_fmac_f64_e32 v[8:9], v[8:9], v[10:11]
	v_div_scale_f64 v[10:11], vcc, 1.0, v[2:3], 1.0
	v_mul_f64 v[12:13], v[10:11], v[8:9]
	v_fma_f64 v[0:1], -v[0:1], v[12:13], v[10:11]
	s_nop 1
	v_div_fmas_f64 v[0:1], v[0:1], v[8:9], v[12:13]
	v_div_fixup_f64 v[2:3], v[0:1], v[2:3], 1.0
	v_mul_f64 v[0:1], v[6:7], v[2:3]
	v_xor_b32_e32 v3, 0x80000000, v3
.LBB120_181:
	s_andn2_saveexec_b64 s[12:13], s[12:13]
	s_cbranch_execz .LBB120_183
; %bb.182:
	v_div_scale_f64 v[6:7], s[4:5], v[0:1], v[0:1], v[2:3]
	v_rcp_f64_e32 v[8:9], v[6:7]
	v_div_scale_f64 v[10:11], vcc, v[2:3], v[0:1], v[2:3]
	v_fma_f64 v[12:13], -v[6:7], v[8:9], 1.0
	v_fmac_f64_e32 v[8:9], v[8:9], v[12:13]
	v_fma_f64 v[12:13], -v[6:7], v[8:9], 1.0
	v_fmac_f64_e32 v[8:9], v[8:9], v[12:13]
	v_mul_f64 v[12:13], v[10:11], v[8:9]
	v_fma_f64 v[6:7], -v[6:7], v[12:13], v[10:11]
	v_div_fmas_f64 v[6:7], v[6:7], v[8:9], v[12:13]
	v_div_fixup_f64 v[6:7], v[6:7], v[0:1], v[2:3]
	v_fmac_f64_e32 v[0:1], v[2:3], v[6:7]
	v_div_scale_f64 v[2:3], s[4:5], v[0:1], v[0:1], 1.0
	v_rcp_f64_e32 v[8:9], v[2:3]
	s_nop 0
	v_fma_f64 v[10:11], -v[2:3], v[8:9], 1.0
	v_fmac_f64_e32 v[8:9], v[8:9], v[10:11]
	v_fma_f64 v[10:11], -v[2:3], v[8:9], 1.0
	v_fmac_f64_e32 v[8:9], v[8:9], v[10:11]
	v_div_scale_f64 v[10:11], vcc, 1.0, v[0:1], 1.0
	v_mul_f64 v[12:13], v[10:11], v[8:9]
	v_fma_f64 v[2:3], -v[2:3], v[12:13], v[10:11]
	s_nop 1
	v_div_fmas_f64 v[2:3], v[2:3], v[8:9], v[12:13]
	v_div_fixup_f64 v[0:1], v[2:3], v[0:1], 1.0
	v_mul_f64 v[2:3], v[6:7], -v[0:1]
.LBB120_183:
	s_or_b64 exec, exec, s[12:13]
.LBB120_184:
	s_or_b64 exec, exec, s[0:1]
	v_cmp_ne_u32_e32 vcc, v81, v4
	s_and_saveexec_b64 s[0:1], vcc
	s_xor_b64 s[0:1], exec, s[0:1]
	s_cbranch_execz .LBB120_190
; %bb.185:
	v_cmp_eq_u32_e32 vcc, 7, v81
	s_and_saveexec_b64 s[12:13], vcc
	s_cbranch_execz .LBB120_189
; %bb.186:
	v_cmp_ne_u32_e32 vcc, 7, v4
	s_xor_b64 s[4:5], s[18:19], -1
	s_and_b64 s[4:5], s[4:5], vcc
	s_and_saveexec_b64 s[14:15], s[4:5]
	s_cbranch_execz .LBB120_188
; %bb.187:
	v_ashrrev_i32_e32 v5, 31, v4
	v_lshl_add_u64 v[6:7], v[4:5], 2, v[46:47]
	global_load_dword v5, v[6:7], off
	global_load_dword v8, v[46:47], off offset:28
	s_waitcnt vmcnt(1)
	global_store_dword v[46:47], v5, off offset:28
	s_waitcnt vmcnt(1)
	global_store_dword v[6:7], v8, off
.LBB120_188:
	s_or_b64 exec, exec, s[14:15]
	v_mov_b32_e32 v81, v4
	v_mov_b32_e32 v80, v4
.LBB120_189:
	s_or_b64 exec, exec, s[12:13]
.LBB120_190:
	s_andn2_saveexec_b64 s[0:1], s[0:1]
	s_cbranch_execz .LBB120_196
; %bb.191:
	s_mov_b32 s4, 0
	v_add_u32_e32 v4, 0x80, v78
	s_branch .LBB120_193
.LBB120_192:                            ;   in Loop: Header=BB120_193 Depth=1
	s_andn2_b64 vcc, exec, s[12:13]
	s_cbranch_vccz .LBB120_195
.LBB120_193:                            ; =>This Inner Loop Header: Depth=1
	s_add_i32 s12, s4, 0x80
	s_add_i32 s13, s4, 0x90
	scratch_load_dwordx4 v[6:9], off, s12
	scratch_load_dwordx4 v[10:13], off, s13
	s_add_i32 s12, s4, 0xa0
	s_add_i32 s13, s4, 0xb0
	scratch_load_dwordx4 v[14:17], off, s12
	scratch_load_dwordx4 v[18:21], off, s13
	s_add_i32 s12, s4, 0xc0
	scratch_load_dwordx4 v[22:25], off, s12
	s_mov_b32 s5, s4
	v_add_u32_e32 v5, s4, v4
	s_cmpk_eq_i32 s4, 0x300
	s_mov_b64 s[12:13], -1
	s_waitcnt vmcnt(4)
	ds_write2_b64 v5, v[6:7], v[8:9] offset1:1
	s_waitcnt vmcnt(3)
	ds_write2_b64 v5, v[10:11], v[12:13] offset0:2 offset1:3
	s_waitcnt vmcnt(2)
	ds_write2_b64 v5, v[14:15], v[16:17] offset0:4 offset1:5
	;; [unrolled: 2-line block ×4, first 2 shown]
	s_cbranch_scc1 .LBB120_192
; %bb.194:                              ;   in Loop: Header=BB120_193 Depth=1
	s_add_i32 s12, s5, 0xd0
	s_add_i32 s13, s5, 0xe0
	scratch_load_dwordx4 v[6:9], off, s12
	scratch_load_dwordx4 v[10:13], off, s13
	s_addk_i32 s5, 0xf0
	scratch_load_dwordx4 v[14:17], off, s5
	s_addk_i32 s4, 0x80
	s_mov_b64 s[12:13], 0
	s_waitcnt vmcnt(2)
	ds_write2_b64 v5, v[6:7], v[8:9] offset0:10 offset1:11
	s_waitcnt vmcnt(1)
	ds_write2_b64 v5, v[10:11], v[12:13] offset0:12 offset1:13
	;; [unrolled: 2-line block ×3, first 2 shown]
	s_branch .LBB120_192
.LBB120_195:
	v_mov_b32_e32 v81, 7
.LBB120_196:
	s_or_b64 exec, exec, s[0:1]
	v_cmp_lt_i32_e32 vcc, 7, v81
	s_waitcnt lgkmcnt(0)
	s_barrier
	s_and_saveexec_b64 s[0:1], vcc
	s_cbranch_execz .LBB120_201
; %bb.197:
	scratch_load_dwordx4 v[8:11], off, off offset:112
	s_mov_b32 s14, 0
	s_waitcnt vmcnt(0)
	v_mul_f64 v[4:5], v[2:3], v[10:11]
	v_mul_f64 v[6:7], v[0:1], v[10:11]
	v_fma_f64 v[4:5], v[0:1], v[8:9], -v[4:5]
	v_fmac_f64_e32 v[6:7], v[2:3], v[8:9]
	v_add_u32_e32 v0, 0x80, v78
	scratch_store_dwordx4 off, v[4:7], off offset:112
	s_branch .LBB120_199
.LBB120_198:                            ;   in Loop: Header=BB120_199 Depth=1
	s_andn2_b64 vcc, exec, s[12:13]
	s_cbranch_vccz .LBB120_201
.LBB120_199:                            ; =>This Inner Loop Header: Depth=1
	s_add_i32 s4, s14, 0x80
	scratch_load_dwordx4 v[8:11], off, s4
	s_add_i32 s5, s14, 0x90
	s_add_i32 s12, s14, 0xa0
	;; [unrolled: 1-line block ×4, first 2 shown]
	scratch_load_dwordx4 v[12:15], off, s5
	scratch_load_dwordx4 v[16:19], off, s12
	;; [unrolled: 1-line block ×4, first 2 shown]
	v_add_u32_e32 v1, s14, v0
	ds_read2_b64 v[28:31], v1 offset1:1
	ds_read2_b64 v[32:35], v1 offset0:2 offset1:3
	ds_read2_b64 v[36:39], v1 offset0:4 offset1:5
	;; [unrolled: 1-line block ×4, first 2 shown]
	s_waitcnt lgkmcnt(4)
	v_mul_f64 v[2:3], v[30:31], v[6:7]
	v_mul_f64 v[54:55], v[28:29], v[6:7]
	s_waitcnt lgkmcnt(3)
	v_mul_f64 v[56:57], v[34:35], v[6:7]
	v_mul_f64 v[58:59], v[32:33], v[6:7]
	;; [unrolled: 3-line block ×5, first 2 shown]
	v_fma_f64 v[2:3], v[28:29], v[4:5], -v[2:3]
	v_fmac_f64_e32 v[54:55], v[30:31], v[4:5]
	v_fma_f64 v[28:29], v[32:33], v[4:5], -v[56:57]
	v_fmac_f64_e32 v[58:59], v[34:35], v[4:5]
	;; [unrolled: 2-line block ×5, first 2 shown]
	s_mov_b32 s15, s14
	s_cmpk_eq_i32 s14, 0x300
	s_waitcnt vmcnt(4)
	v_add_f64 v[8:9], v[8:9], -v[2:3]
	v_add_f64 v[10:11], v[10:11], -v[54:55]
	s_waitcnt vmcnt(3)
	v_add_f64 v[12:13], v[12:13], -v[28:29]
	v_add_f64 v[14:15], v[14:15], -v[58:59]
	;; [unrolled: 3-line block ×5, first 2 shown]
	scratch_store_dwordx4 off, v[8:11], s4
	scratch_store_dwordx4 off, v[12:15], s5
	scratch_store_dwordx4 off, v[16:19], s12
	scratch_store_dwordx4 off, v[20:23], s13
	scratch_store_dwordx4 off, v[24:27], s16
	s_mov_b64 s[12:13], -1
	s_cbranch_scc1 .LBB120_198
; %bb.200:                              ;   in Loop: Header=BB120_199 Depth=1
	s_add_i32 s4, s15, 0xd0
	scratch_load_dwordx4 v[8:11], off, s4
	s_add_i32 s5, s15, 0xe0
	s_addk_i32 s15, 0xf0
	scratch_load_dwordx4 v[12:15], off, s5
	scratch_load_dwordx4 v[16:19], off, s15
	ds_read2_b64 v[20:23], v1 offset0:10 offset1:11
	ds_read2_b64 v[24:27], v1 offset0:12 offset1:13
	;; [unrolled: 1-line block ×3, first 2 shown]
	s_addk_i32 s14, 0x80
	s_mov_b64 s[12:13], 0
	s_waitcnt lgkmcnt(2)
	v_mul_f64 v[2:3], v[22:23], v[6:7]
	v_mul_f64 v[32:33], v[20:21], v[6:7]
	s_waitcnt lgkmcnt(1)
	v_mul_f64 v[34:35], v[26:27], v[6:7]
	v_mul_f64 v[36:37], v[24:25], v[6:7]
	s_waitcnt lgkmcnt(0)
	v_mul_f64 v[38:39], v[30:31], v[6:7]
	v_mul_f64 v[40:41], v[28:29], v[6:7]
	v_fma_f64 v[2:3], v[20:21], v[4:5], -v[2:3]
	v_fmac_f64_e32 v[32:33], v[22:23], v[4:5]
	v_fma_f64 v[20:21], v[24:25], v[4:5], -v[34:35]
	v_fmac_f64_e32 v[36:37], v[26:27], v[4:5]
	;; [unrolled: 2-line block ×3, first 2 shown]
	s_waitcnt vmcnt(2)
	v_add_f64 v[8:9], v[8:9], -v[2:3]
	v_add_f64 v[10:11], v[10:11], -v[32:33]
	s_waitcnt vmcnt(1)
	v_add_f64 v[12:13], v[12:13], -v[20:21]
	v_add_f64 v[14:15], v[14:15], -v[36:37]
	;; [unrolled: 3-line block ×3, first 2 shown]
	scratch_store_dwordx4 off, v[8:11], s4
	scratch_store_dwordx4 off, v[12:15], s5
	scratch_store_dwordx4 off, v[16:19], s15
	s_branch .LBB120_198
.LBB120_201:
	s_or_b64 exec, exec, s[0:1]
	s_barrier
	scratch_load_dwordx4 v[0:3], off, s80
	v_lshl_add_u32 v4, v81, 4, v78
	s_cmp_lt_i32 s51, 10
	s_waitcnt vmcnt(0)
	ds_write2_b64 v4, v[0:1], v[2:3] offset1:1
	s_waitcnt lgkmcnt(0)
	s_barrier
	ds_read2_b64 v[0:3], v78 offset0:16 offset1:17
	v_mov_b32_e32 v4, 8
	s_cbranch_scc1 .LBB120_204
; %bb.202:
	v_add_u32_e32 v5, 0x90, v78
	s_mov_b32 s4, 9
	v_mov_b32_e32 v4, 8
.LBB120_203:                            ; =>This Inner Loop Header: Depth=1
	ds_read2_b64 v[6:9], v5 offset1:1
	s_waitcnt lgkmcnt(1)
	v_xor_b32_e32 v11, 0x80000000, v1
	v_xor_b32_e32 v13, 0x80000000, v3
	v_cmp_gt_f64_e32 vcc, 0, v[2:3]
	v_cmp_gt_f64_e64 s[0:1], 0, v[0:1]
	v_mov_b32_e32 v10, v0
	v_mov_b32_e32 v12, v2
	v_cndmask_b32_e64 v11, v1, v11, s[0:1]
	v_cndmask_b32_e32 v13, v3, v13, vcc
	v_add_f64 v[10:11], v[10:11], v[12:13]
	s_waitcnt lgkmcnt(0)
	v_xor_b32_e32 v13, 0x80000000, v7
	v_xor_b32_e32 v15, 0x80000000, v9
	v_cmp_gt_f64_e32 vcc, 0, v[8:9]
	v_cmp_gt_f64_e64 s[0:1], 0, v[6:7]
	v_mov_b32_e32 v12, v6
	v_mov_b32_e32 v14, v8
	v_cndmask_b32_e64 v13, v7, v13, s[0:1]
	v_cndmask_b32_e32 v15, v9, v15, vcc
	v_add_f64 v[12:13], v[12:13], v[14:15]
	v_mov_b32_e32 v16, s4
	s_add_i32 s4, s4, 1
	v_cmp_lt_f64_e32 vcc, v[10:11], v[12:13]
	v_add_u32_e32 v5, 16, v5
	s_cmp_lg_u32 s51, s4
	v_cndmask_b32_e32 v1, v1, v7, vcc
	v_cndmask_b32_e32 v0, v0, v6, vcc
	;; [unrolled: 1-line block ×5, first 2 shown]
	s_cbranch_scc1 .LBB120_203
.LBB120_204:
	s_waitcnt lgkmcnt(0)
	v_cmp_eq_f64_e32 vcc, 0, v[0:1]
	v_cmp_eq_f64_e64 s[0:1], 0, v[2:3]
	s_and_b64 s[0:1], vcc, s[0:1]
	s_and_saveexec_b64 s[4:5], s[0:1]
	s_xor_b64 s[0:1], exec, s[4:5]
; %bb.205:
	v_cmp_ne_u32_e32 vcc, 0, v79
	s_nop 1
	v_cndmask_b32_e32 v79, 9, v79, vcc
; %bb.206:
	s_andn2_saveexec_b64 s[0:1], s[0:1]
	s_cbranch_execz .LBB120_212
; %bb.207:
	v_cmp_ngt_f64_e64 s[4:5], |v[0:1]|, |v[2:3]|
	s_and_saveexec_b64 s[12:13], s[4:5]
	s_xor_b64 s[12:13], exec, s[12:13]
	s_cbranch_execz .LBB120_209
; %bb.208:
	v_div_scale_f64 v[6:7], s[4:5], v[2:3], v[2:3], v[0:1]
	v_rcp_f64_e32 v[8:9], v[6:7]
	v_div_scale_f64 v[10:11], vcc, v[0:1], v[2:3], v[0:1]
	v_fma_f64 v[12:13], -v[6:7], v[8:9], 1.0
	v_fmac_f64_e32 v[8:9], v[8:9], v[12:13]
	v_fma_f64 v[12:13], -v[6:7], v[8:9], 1.0
	v_fmac_f64_e32 v[8:9], v[8:9], v[12:13]
	v_mul_f64 v[12:13], v[10:11], v[8:9]
	v_fma_f64 v[6:7], -v[6:7], v[12:13], v[10:11]
	v_div_fmas_f64 v[6:7], v[6:7], v[8:9], v[12:13]
	v_div_fixup_f64 v[6:7], v[6:7], v[2:3], v[0:1]
	v_fmac_f64_e32 v[2:3], v[0:1], v[6:7]
	v_div_scale_f64 v[0:1], s[4:5], v[2:3], v[2:3], 1.0
	v_rcp_f64_e32 v[8:9], v[0:1]
	s_nop 0
	v_fma_f64 v[10:11], -v[0:1], v[8:9], 1.0
	v_fmac_f64_e32 v[8:9], v[8:9], v[10:11]
	v_fma_f64 v[10:11], -v[0:1], v[8:9], 1.0
	v_fmac_f64_e32 v[8:9], v[8:9], v[10:11]
	v_div_scale_f64 v[10:11], vcc, 1.0, v[2:3], 1.0
	v_mul_f64 v[12:13], v[10:11], v[8:9]
	v_fma_f64 v[0:1], -v[0:1], v[12:13], v[10:11]
	s_nop 1
	v_div_fmas_f64 v[0:1], v[0:1], v[8:9], v[12:13]
	v_div_fixup_f64 v[2:3], v[0:1], v[2:3], 1.0
	v_mul_f64 v[0:1], v[6:7], v[2:3]
	v_xor_b32_e32 v3, 0x80000000, v3
.LBB120_209:
	s_andn2_saveexec_b64 s[12:13], s[12:13]
	s_cbranch_execz .LBB120_211
; %bb.210:
	v_div_scale_f64 v[6:7], s[4:5], v[0:1], v[0:1], v[2:3]
	v_rcp_f64_e32 v[8:9], v[6:7]
	v_div_scale_f64 v[10:11], vcc, v[2:3], v[0:1], v[2:3]
	v_fma_f64 v[12:13], -v[6:7], v[8:9], 1.0
	v_fmac_f64_e32 v[8:9], v[8:9], v[12:13]
	v_fma_f64 v[12:13], -v[6:7], v[8:9], 1.0
	v_fmac_f64_e32 v[8:9], v[8:9], v[12:13]
	v_mul_f64 v[12:13], v[10:11], v[8:9]
	v_fma_f64 v[6:7], -v[6:7], v[12:13], v[10:11]
	v_div_fmas_f64 v[6:7], v[6:7], v[8:9], v[12:13]
	v_div_fixup_f64 v[6:7], v[6:7], v[0:1], v[2:3]
	v_fmac_f64_e32 v[0:1], v[2:3], v[6:7]
	v_div_scale_f64 v[2:3], s[4:5], v[0:1], v[0:1], 1.0
	v_rcp_f64_e32 v[8:9], v[2:3]
	s_nop 0
	v_fma_f64 v[10:11], -v[2:3], v[8:9], 1.0
	v_fmac_f64_e32 v[8:9], v[8:9], v[10:11]
	v_fma_f64 v[10:11], -v[2:3], v[8:9], 1.0
	v_fmac_f64_e32 v[8:9], v[8:9], v[10:11]
	v_div_scale_f64 v[10:11], vcc, 1.0, v[0:1], 1.0
	v_mul_f64 v[12:13], v[10:11], v[8:9]
	v_fma_f64 v[2:3], -v[2:3], v[12:13], v[10:11]
	s_nop 1
	v_div_fmas_f64 v[2:3], v[2:3], v[8:9], v[12:13]
	v_div_fixup_f64 v[0:1], v[2:3], v[0:1], 1.0
	v_mul_f64 v[2:3], v[6:7], -v[0:1]
.LBB120_211:
	s_or_b64 exec, exec, s[12:13]
.LBB120_212:
	s_or_b64 exec, exec, s[0:1]
	v_cmp_ne_u32_e32 vcc, v81, v4
	s_and_saveexec_b64 s[0:1], vcc
	s_xor_b64 s[0:1], exec, s[0:1]
	s_cbranch_execz .LBB120_218
; %bb.213:
	v_cmp_eq_u32_e32 vcc, 8, v81
	s_and_saveexec_b64 s[12:13], vcc
	s_cbranch_execz .LBB120_217
; %bb.214:
	v_cmp_ne_u32_e32 vcc, 8, v4
	s_xor_b64 s[4:5], s[18:19], -1
	s_and_b64 s[4:5], s[4:5], vcc
	s_and_saveexec_b64 s[14:15], s[4:5]
	s_cbranch_execz .LBB120_216
; %bb.215:
	v_ashrrev_i32_e32 v5, 31, v4
	v_lshl_add_u64 v[6:7], v[4:5], 2, v[46:47]
	global_load_dword v5, v[6:7], off
	global_load_dword v8, v[46:47], off offset:32
	s_waitcnt vmcnt(1)
	global_store_dword v[46:47], v5, off offset:32
	s_waitcnt vmcnt(1)
	global_store_dword v[6:7], v8, off
.LBB120_216:
	s_or_b64 exec, exec, s[14:15]
	v_mov_b32_e32 v81, v4
	v_mov_b32_e32 v80, v4
.LBB120_217:
	s_or_b64 exec, exec, s[12:13]
.LBB120_218:
	s_andn2_saveexec_b64 s[0:1], s[0:1]
	s_cbranch_execz .LBB120_222
; %bb.219:
	s_mov_b32 s4, 0
	v_add_u32_e32 v4, 0x90, v78
.LBB120_220:                            ; =>This Inner Loop Header: Depth=1
	s_add_i32 s12, s4, 0x90
	s_add_i32 s13, s4, 0xa0
	;; [unrolled: 1-line block ×13, first 2 shown]
	scratch_load_dwordx4 v[6:9], off, s12
	scratch_load_dwordx4 v[10:13], off, s13
	;; [unrolled: 1-line block ×13, first 2 shown]
	v_add_u32_e32 v5, s4, v4
	s_addk_i32 s4, 0xd0
	s_cmpk_eq_i32 s4, 0x340
	s_waitcnt vmcnt(12)
	ds_write2_b64 v5, v[6:7], v[8:9] offset1:1
	s_waitcnt vmcnt(11)
	ds_write2_b64 v5, v[10:11], v[12:13] offset0:2 offset1:3
	s_waitcnt vmcnt(10)
	ds_write2_b64 v5, v[14:15], v[16:17] offset0:4 offset1:5
	;; [unrolled: 2-line block ×12, first 2 shown]
	s_cbranch_scc0 .LBB120_220
; %bb.221:
	v_mov_b32_e32 v81, 8
.LBB120_222:
	s_or_b64 exec, exec, s[0:1]
	v_cmp_lt_i32_e32 vcc, 8, v81
	s_waitcnt lgkmcnt(0)
	s_barrier
	s_and_saveexec_b64 s[0:1], vcc
	s_cbranch_execz .LBB120_225
; %bb.223:
	scratch_load_dwordx4 v[8:11], off, off offset:128
	s_mov_b32 s4, 0
	s_waitcnt vmcnt(0)
	v_mul_f64 v[4:5], v[2:3], v[10:11]
	v_mul_f64 v[6:7], v[0:1], v[10:11]
	v_fma_f64 v[4:5], v[0:1], v[8:9], -v[4:5]
	v_fmac_f64_e32 v[6:7], v[2:3], v[8:9]
	v_add_u32_e32 v0, 0x90, v78
	scratch_store_dwordx4 off, v[4:7], off offset:128
.LBB120_224:                            ; =>This Inner Loop Header: Depth=1
	s_add_i32 s12, s4, 0x90
	s_add_i32 s13, s4, 0xa0
	;; [unrolled: 1-line block ×4, first 2 shown]
	scratch_load_dwordx4 v[8:11], off, s12
	scratch_load_dwordx4 v[12:15], off, s13
	;; [unrolled: 1-line block ×4, first 2 shown]
	v_add_u32_e32 v1, s4, v0
	ds_read2_b64 v[24:27], v1 offset1:1
	ds_read2_b64 v[28:31], v1 offset0:2 offset1:3
	ds_read2_b64 v[32:35], v1 offset0:4 offset1:5
	;; [unrolled: 1-line block ×3, first 2 shown]
	s_add_i32 s4, s4, 64
	s_waitcnt lgkmcnt(3)
	v_mul_f64 v[2:3], v[26:27], v[6:7]
	v_mul_f64 v[40:41], v[24:25], v[6:7]
	s_waitcnt lgkmcnt(2)
	v_mul_f64 v[42:43], v[30:31], v[6:7]
	v_mul_f64 v[50:51], v[28:29], v[6:7]
	s_waitcnt lgkmcnt(1)
	v_mul_f64 v[52:53], v[34:35], v[6:7]
	v_mul_f64 v[54:55], v[32:33], v[6:7]
	s_waitcnt lgkmcnt(0)
	v_mul_f64 v[56:57], v[38:39], v[6:7]
	v_mul_f64 v[58:59], v[36:37], v[6:7]
	v_fma_f64 v[2:3], v[24:25], v[4:5], -v[2:3]
	v_fmac_f64_e32 v[40:41], v[26:27], v[4:5]
	s_cmpk_lg_i32 s4, 0x340
	v_fma_f64 v[24:25], v[28:29], v[4:5], -v[42:43]
	v_fmac_f64_e32 v[50:51], v[30:31], v[4:5]
	v_fma_f64 v[26:27], v[32:33], v[4:5], -v[52:53]
	v_fmac_f64_e32 v[54:55], v[34:35], v[4:5]
	v_fma_f64 v[28:29], v[36:37], v[4:5], -v[56:57]
	v_fmac_f64_e32 v[58:59], v[38:39], v[4:5]
	s_waitcnt vmcnt(3)
	v_add_f64 v[8:9], v[8:9], -v[2:3]
	v_add_f64 v[10:11], v[10:11], -v[40:41]
	s_waitcnt vmcnt(2)
	v_add_f64 v[12:13], v[12:13], -v[24:25]
	v_add_f64 v[14:15], v[14:15], -v[50:51]
	;; [unrolled: 3-line block ×4, first 2 shown]
	scratch_store_dwordx4 off, v[8:11], s12
	scratch_store_dwordx4 off, v[12:15], s13
	scratch_store_dwordx4 off, v[16:19], s14
	scratch_store_dwordx4 off, v[20:23], s5
	s_cbranch_scc1 .LBB120_224
.LBB120_225:
	s_or_b64 exec, exec, s[0:1]
	s_barrier
	scratch_load_dwordx4 v[0:3], off, s79
	v_lshl_add_u32 v4, v81, 4, v78
	s_cmp_lt_i32 s51, 11
	s_waitcnt vmcnt(0)
	ds_write2_b64 v4, v[0:1], v[2:3] offset1:1
	s_waitcnt lgkmcnt(0)
	s_barrier
	ds_read2_b64 v[0:3], v78 offset0:18 offset1:19
	v_mov_b32_e32 v4, 9
	s_cbranch_scc1 .LBB120_228
; %bb.226:
	v_add_u32_e32 v5, 0xa0, v78
	s_mov_b32 s4, 10
	v_mov_b32_e32 v4, 9
.LBB120_227:                            ; =>This Inner Loop Header: Depth=1
	ds_read2_b64 v[6:9], v5 offset1:1
	s_waitcnt lgkmcnt(1)
	v_xor_b32_e32 v11, 0x80000000, v1
	v_xor_b32_e32 v13, 0x80000000, v3
	v_cmp_gt_f64_e32 vcc, 0, v[2:3]
	v_cmp_gt_f64_e64 s[0:1], 0, v[0:1]
	v_mov_b32_e32 v10, v0
	v_mov_b32_e32 v12, v2
	v_cndmask_b32_e64 v11, v1, v11, s[0:1]
	v_cndmask_b32_e32 v13, v3, v13, vcc
	v_add_f64 v[10:11], v[10:11], v[12:13]
	s_waitcnt lgkmcnt(0)
	v_xor_b32_e32 v13, 0x80000000, v7
	v_xor_b32_e32 v15, 0x80000000, v9
	v_cmp_gt_f64_e32 vcc, 0, v[8:9]
	v_cmp_gt_f64_e64 s[0:1], 0, v[6:7]
	v_mov_b32_e32 v12, v6
	v_mov_b32_e32 v14, v8
	v_cndmask_b32_e64 v13, v7, v13, s[0:1]
	v_cndmask_b32_e32 v15, v9, v15, vcc
	v_add_f64 v[12:13], v[12:13], v[14:15]
	v_mov_b32_e32 v16, s4
	s_add_i32 s4, s4, 1
	v_cmp_lt_f64_e32 vcc, v[10:11], v[12:13]
	v_add_u32_e32 v5, 16, v5
	s_cmp_lg_u32 s51, s4
	v_cndmask_b32_e32 v1, v1, v7, vcc
	v_cndmask_b32_e32 v0, v0, v6, vcc
	;; [unrolled: 1-line block ×5, first 2 shown]
	s_cbranch_scc1 .LBB120_227
.LBB120_228:
	s_waitcnt lgkmcnt(0)
	v_cmp_eq_f64_e32 vcc, 0, v[0:1]
	v_cmp_eq_f64_e64 s[0:1], 0, v[2:3]
	s_and_b64 s[0:1], vcc, s[0:1]
	s_and_saveexec_b64 s[4:5], s[0:1]
	s_xor_b64 s[0:1], exec, s[4:5]
; %bb.229:
	v_cmp_ne_u32_e32 vcc, 0, v79
	s_nop 1
	v_cndmask_b32_e32 v79, 10, v79, vcc
; %bb.230:
	s_andn2_saveexec_b64 s[0:1], s[0:1]
	s_cbranch_execz .LBB120_236
; %bb.231:
	v_cmp_ngt_f64_e64 s[4:5], |v[0:1]|, |v[2:3]|
	s_and_saveexec_b64 s[12:13], s[4:5]
	s_xor_b64 s[12:13], exec, s[12:13]
	s_cbranch_execz .LBB120_233
; %bb.232:
	v_div_scale_f64 v[6:7], s[4:5], v[2:3], v[2:3], v[0:1]
	v_rcp_f64_e32 v[8:9], v[6:7]
	v_div_scale_f64 v[10:11], vcc, v[0:1], v[2:3], v[0:1]
	v_fma_f64 v[12:13], -v[6:7], v[8:9], 1.0
	v_fmac_f64_e32 v[8:9], v[8:9], v[12:13]
	v_fma_f64 v[12:13], -v[6:7], v[8:9], 1.0
	v_fmac_f64_e32 v[8:9], v[8:9], v[12:13]
	v_mul_f64 v[12:13], v[10:11], v[8:9]
	v_fma_f64 v[6:7], -v[6:7], v[12:13], v[10:11]
	v_div_fmas_f64 v[6:7], v[6:7], v[8:9], v[12:13]
	v_div_fixup_f64 v[6:7], v[6:7], v[2:3], v[0:1]
	v_fmac_f64_e32 v[2:3], v[0:1], v[6:7]
	v_div_scale_f64 v[0:1], s[4:5], v[2:3], v[2:3], 1.0
	v_rcp_f64_e32 v[8:9], v[0:1]
	s_nop 0
	v_fma_f64 v[10:11], -v[0:1], v[8:9], 1.0
	v_fmac_f64_e32 v[8:9], v[8:9], v[10:11]
	v_fma_f64 v[10:11], -v[0:1], v[8:9], 1.0
	v_fmac_f64_e32 v[8:9], v[8:9], v[10:11]
	v_div_scale_f64 v[10:11], vcc, 1.0, v[2:3], 1.0
	v_mul_f64 v[12:13], v[10:11], v[8:9]
	v_fma_f64 v[0:1], -v[0:1], v[12:13], v[10:11]
	s_nop 1
	v_div_fmas_f64 v[0:1], v[0:1], v[8:9], v[12:13]
	v_div_fixup_f64 v[2:3], v[0:1], v[2:3], 1.0
	v_mul_f64 v[0:1], v[6:7], v[2:3]
	v_xor_b32_e32 v3, 0x80000000, v3
.LBB120_233:
	s_andn2_saveexec_b64 s[12:13], s[12:13]
	s_cbranch_execz .LBB120_235
; %bb.234:
	v_div_scale_f64 v[6:7], s[4:5], v[0:1], v[0:1], v[2:3]
	v_rcp_f64_e32 v[8:9], v[6:7]
	v_div_scale_f64 v[10:11], vcc, v[2:3], v[0:1], v[2:3]
	v_fma_f64 v[12:13], -v[6:7], v[8:9], 1.0
	v_fmac_f64_e32 v[8:9], v[8:9], v[12:13]
	v_fma_f64 v[12:13], -v[6:7], v[8:9], 1.0
	v_fmac_f64_e32 v[8:9], v[8:9], v[12:13]
	v_mul_f64 v[12:13], v[10:11], v[8:9]
	v_fma_f64 v[6:7], -v[6:7], v[12:13], v[10:11]
	v_div_fmas_f64 v[6:7], v[6:7], v[8:9], v[12:13]
	v_div_fixup_f64 v[6:7], v[6:7], v[0:1], v[2:3]
	v_fmac_f64_e32 v[0:1], v[2:3], v[6:7]
	v_div_scale_f64 v[2:3], s[4:5], v[0:1], v[0:1], 1.0
	v_rcp_f64_e32 v[8:9], v[2:3]
	s_nop 0
	v_fma_f64 v[10:11], -v[2:3], v[8:9], 1.0
	v_fmac_f64_e32 v[8:9], v[8:9], v[10:11]
	v_fma_f64 v[10:11], -v[2:3], v[8:9], 1.0
	v_fmac_f64_e32 v[8:9], v[8:9], v[10:11]
	v_div_scale_f64 v[10:11], vcc, 1.0, v[0:1], 1.0
	v_mul_f64 v[12:13], v[10:11], v[8:9]
	v_fma_f64 v[2:3], -v[2:3], v[12:13], v[10:11]
	s_nop 1
	v_div_fmas_f64 v[2:3], v[2:3], v[8:9], v[12:13]
	v_div_fixup_f64 v[0:1], v[2:3], v[0:1], 1.0
	v_mul_f64 v[2:3], v[6:7], -v[0:1]
.LBB120_235:
	s_or_b64 exec, exec, s[12:13]
.LBB120_236:
	s_or_b64 exec, exec, s[0:1]
	v_cmp_ne_u32_e32 vcc, v81, v4
	s_and_saveexec_b64 s[0:1], vcc
	s_xor_b64 s[0:1], exec, s[0:1]
	s_cbranch_execz .LBB120_242
; %bb.237:
	v_cmp_eq_u32_e32 vcc, 9, v81
	s_and_saveexec_b64 s[12:13], vcc
	s_cbranch_execz .LBB120_241
; %bb.238:
	v_cmp_ne_u32_e32 vcc, 9, v4
	s_xor_b64 s[4:5], s[18:19], -1
	s_and_b64 s[4:5], s[4:5], vcc
	s_and_saveexec_b64 s[14:15], s[4:5]
	s_cbranch_execz .LBB120_240
; %bb.239:
	v_ashrrev_i32_e32 v5, 31, v4
	v_lshl_add_u64 v[6:7], v[4:5], 2, v[46:47]
	global_load_dword v5, v[6:7], off
	global_load_dword v8, v[46:47], off offset:36
	s_waitcnt vmcnt(1)
	global_store_dword v[46:47], v5, off offset:36
	s_waitcnt vmcnt(1)
	global_store_dword v[6:7], v8, off
.LBB120_240:
	s_or_b64 exec, exec, s[14:15]
	v_mov_b32_e32 v81, v4
	v_mov_b32_e32 v80, v4
.LBB120_241:
	s_or_b64 exec, exec, s[12:13]
.LBB120_242:
	s_andn2_saveexec_b64 s[0:1], s[0:1]
	s_cbranch_execz .LBB120_246
; %bb.243:
	s_mov_b32 s4, 0
	v_add_u32_e32 v4, 0xa0, v78
.LBB120_244:                            ; =>This Inner Loop Header: Depth=1
	s_add_i32 s12, s4, 0xa0
	s_add_i32 s13, s4, 0xb0
	;; [unrolled: 1-line block ×17, first 2 shown]
	scratch_load_dwordx4 v[6:9], off, s12
	scratch_load_dwordx4 v[10:13], off, s13
	;; [unrolled: 1-line block ×17, first 2 shown]
	v_add_u32_e32 v5, s4, v4
	s_addk_i32 s4, 0x110
	s_cmpk_eq_i32 s4, 0x330
	s_waitcnt vmcnt(16)
	ds_write2_b64 v5, v[6:7], v[8:9] offset1:1
	s_waitcnt vmcnt(15)
	ds_write2_b64 v5, v[10:11], v[12:13] offset0:2 offset1:3
	s_waitcnt vmcnt(14)
	ds_write2_b64 v5, v[14:15], v[16:17] offset0:4 offset1:5
	;; [unrolled: 2-line block ×16, first 2 shown]
	s_cbranch_scc0 .LBB120_244
; %bb.245:
	v_mov_b32_e32 v81, 9
.LBB120_246:
	s_or_b64 exec, exec, s[0:1]
	v_cmp_lt_i32_e32 vcc, 9, v81
	s_waitcnt lgkmcnt(0)
	s_barrier
	s_and_saveexec_b64 s[0:1], vcc
	s_cbranch_execz .LBB120_249
; %bb.247:
	scratch_load_dwordx4 v[8:11], off, off offset:144
	s_mov_b32 s4, 0
	s_waitcnt vmcnt(0)
	v_mul_f64 v[4:5], v[2:3], v[10:11]
	v_mul_f64 v[6:7], v[0:1], v[10:11]
	v_fma_f64 v[4:5], v[0:1], v[8:9], -v[4:5]
	v_fmac_f64_e32 v[6:7], v[2:3], v[8:9]
	v_add_u32_e32 v0, 0xa0, v78
	scratch_store_dwordx4 off, v[4:7], off offset:144
.LBB120_248:                            ; =>This Inner Loop Header: Depth=1
	s_add_i32 s12, s4, 0xa0
	s_add_i32 s13, s4, 0xb0
	;; [unrolled: 1-line block ×3, first 2 shown]
	scratch_load_dwordx4 v[8:11], off, s12
	scratch_load_dwordx4 v[12:15], off, s13
	;; [unrolled: 1-line block ×3, first 2 shown]
	v_add_u32_e32 v1, s4, v0
	ds_read2_b64 v[20:23], v1 offset1:1
	ds_read2_b64 v[24:27], v1 offset0:2 offset1:3
	ds_read2_b64 v[28:31], v1 offset0:4 offset1:5
	s_add_i32 s4, s4, 48
	s_cmpk_lg_i32 s4, 0x330
	s_waitcnt lgkmcnt(2)
	v_mul_f64 v[2:3], v[22:23], v[6:7]
	v_mul_f64 v[32:33], v[20:21], v[6:7]
	s_waitcnt lgkmcnt(1)
	v_mul_f64 v[34:35], v[26:27], v[6:7]
	v_mul_f64 v[36:37], v[24:25], v[6:7]
	;; [unrolled: 3-line block ×3, first 2 shown]
	v_fma_f64 v[2:3], v[20:21], v[4:5], -v[2:3]
	v_fmac_f64_e32 v[32:33], v[22:23], v[4:5]
	v_fma_f64 v[20:21], v[24:25], v[4:5], -v[34:35]
	v_fmac_f64_e32 v[36:37], v[26:27], v[4:5]
	;; [unrolled: 2-line block ×3, first 2 shown]
	s_waitcnt vmcnt(2)
	v_add_f64 v[8:9], v[8:9], -v[2:3]
	v_add_f64 v[10:11], v[10:11], -v[32:33]
	s_waitcnt vmcnt(1)
	v_add_f64 v[12:13], v[12:13], -v[20:21]
	v_add_f64 v[14:15], v[14:15], -v[36:37]
	;; [unrolled: 3-line block ×3, first 2 shown]
	scratch_store_dwordx4 off, v[8:11], s12
	scratch_store_dwordx4 off, v[12:15], s13
	;; [unrolled: 1-line block ×3, first 2 shown]
	s_cbranch_scc1 .LBB120_248
.LBB120_249:
	s_or_b64 exec, exec, s[0:1]
	s_barrier
	scratch_load_dwordx4 v[0:3], off, s78
	v_lshl_add_u32 v4, v81, 4, v78
	s_cmp_lt_i32 s51, 12
	s_waitcnt vmcnt(0)
	ds_write2_b64 v4, v[0:1], v[2:3] offset1:1
	s_waitcnt lgkmcnt(0)
	s_barrier
	ds_read2_b64 v[0:3], v78 offset0:20 offset1:21
	v_mov_b32_e32 v4, 10
	s_cbranch_scc1 .LBB120_252
; %bb.250:
	v_add_u32_e32 v5, 0xb0, v78
	s_mov_b32 s4, 11
	v_mov_b32_e32 v4, 10
.LBB120_251:                            ; =>This Inner Loop Header: Depth=1
	ds_read2_b64 v[6:9], v5 offset1:1
	s_waitcnt lgkmcnt(1)
	v_xor_b32_e32 v11, 0x80000000, v1
	v_xor_b32_e32 v13, 0x80000000, v3
	v_cmp_gt_f64_e32 vcc, 0, v[2:3]
	v_cmp_gt_f64_e64 s[0:1], 0, v[0:1]
	v_mov_b32_e32 v10, v0
	v_mov_b32_e32 v12, v2
	v_cndmask_b32_e64 v11, v1, v11, s[0:1]
	v_cndmask_b32_e32 v13, v3, v13, vcc
	v_add_f64 v[10:11], v[10:11], v[12:13]
	s_waitcnt lgkmcnt(0)
	v_xor_b32_e32 v13, 0x80000000, v7
	v_xor_b32_e32 v15, 0x80000000, v9
	v_cmp_gt_f64_e32 vcc, 0, v[8:9]
	v_cmp_gt_f64_e64 s[0:1], 0, v[6:7]
	v_mov_b32_e32 v12, v6
	v_mov_b32_e32 v14, v8
	v_cndmask_b32_e64 v13, v7, v13, s[0:1]
	v_cndmask_b32_e32 v15, v9, v15, vcc
	v_add_f64 v[12:13], v[12:13], v[14:15]
	v_mov_b32_e32 v16, s4
	s_add_i32 s4, s4, 1
	v_cmp_lt_f64_e32 vcc, v[10:11], v[12:13]
	v_add_u32_e32 v5, 16, v5
	s_cmp_lg_u32 s51, s4
	v_cndmask_b32_e32 v1, v1, v7, vcc
	v_cndmask_b32_e32 v0, v0, v6, vcc
	v_cndmask_b32_e32 v3, v3, v9, vcc
	v_cndmask_b32_e32 v2, v2, v8, vcc
	v_cndmask_b32_e32 v4, v4, v16, vcc
	s_cbranch_scc1 .LBB120_251
.LBB120_252:
	s_waitcnt lgkmcnt(0)
	v_cmp_eq_f64_e32 vcc, 0, v[0:1]
	v_cmp_eq_f64_e64 s[0:1], 0, v[2:3]
	s_and_b64 s[0:1], vcc, s[0:1]
	s_and_saveexec_b64 s[4:5], s[0:1]
	s_xor_b64 s[0:1], exec, s[4:5]
; %bb.253:
	v_cmp_ne_u32_e32 vcc, 0, v79
	s_nop 1
	v_cndmask_b32_e32 v79, 11, v79, vcc
; %bb.254:
	s_andn2_saveexec_b64 s[0:1], s[0:1]
	s_cbranch_execz .LBB120_260
; %bb.255:
	v_cmp_ngt_f64_e64 s[4:5], |v[0:1]|, |v[2:3]|
	s_and_saveexec_b64 s[12:13], s[4:5]
	s_xor_b64 s[12:13], exec, s[12:13]
	s_cbranch_execz .LBB120_257
; %bb.256:
	v_div_scale_f64 v[6:7], s[4:5], v[2:3], v[2:3], v[0:1]
	v_rcp_f64_e32 v[8:9], v[6:7]
	v_div_scale_f64 v[10:11], vcc, v[0:1], v[2:3], v[0:1]
	v_fma_f64 v[12:13], -v[6:7], v[8:9], 1.0
	v_fmac_f64_e32 v[8:9], v[8:9], v[12:13]
	v_fma_f64 v[12:13], -v[6:7], v[8:9], 1.0
	v_fmac_f64_e32 v[8:9], v[8:9], v[12:13]
	v_mul_f64 v[12:13], v[10:11], v[8:9]
	v_fma_f64 v[6:7], -v[6:7], v[12:13], v[10:11]
	v_div_fmas_f64 v[6:7], v[6:7], v[8:9], v[12:13]
	v_div_fixup_f64 v[6:7], v[6:7], v[2:3], v[0:1]
	v_fmac_f64_e32 v[2:3], v[0:1], v[6:7]
	v_div_scale_f64 v[0:1], s[4:5], v[2:3], v[2:3], 1.0
	v_rcp_f64_e32 v[8:9], v[0:1]
	s_nop 0
	v_fma_f64 v[10:11], -v[0:1], v[8:9], 1.0
	v_fmac_f64_e32 v[8:9], v[8:9], v[10:11]
	v_fma_f64 v[10:11], -v[0:1], v[8:9], 1.0
	v_fmac_f64_e32 v[8:9], v[8:9], v[10:11]
	v_div_scale_f64 v[10:11], vcc, 1.0, v[2:3], 1.0
	v_mul_f64 v[12:13], v[10:11], v[8:9]
	v_fma_f64 v[0:1], -v[0:1], v[12:13], v[10:11]
	s_nop 1
	v_div_fmas_f64 v[0:1], v[0:1], v[8:9], v[12:13]
	v_div_fixup_f64 v[2:3], v[0:1], v[2:3], 1.0
	v_mul_f64 v[0:1], v[6:7], v[2:3]
	v_xor_b32_e32 v3, 0x80000000, v3
.LBB120_257:
	s_andn2_saveexec_b64 s[12:13], s[12:13]
	s_cbranch_execz .LBB120_259
; %bb.258:
	v_div_scale_f64 v[6:7], s[4:5], v[0:1], v[0:1], v[2:3]
	v_rcp_f64_e32 v[8:9], v[6:7]
	v_div_scale_f64 v[10:11], vcc, v[2:3], v[0:1], v[2:3]
	v_fma_f64 v[12:13], -v[6:7], v[8:9], 1.0
	v_fmac_f64_e32 v[8:9], v[8:9], v[12:13]
	v_fma_f64 v[12:13], -v[6:7], v[8:9], 1.0
	v_fmac_f64_e32 v[8:9], v[8:9], v[12:13]
	v_mul_f64 v[12:13], v[10:11], v[8:9]
	v_fma_f64 v[6:7], -v[6:7], v[12:13], v[10:11]
	v_div_fmas_f64 v[6:7], v[6:7], v[8:9], v[12:13]
	v_div_fixup_f64 v[6:7], v[6:7], v[0:1], v[2:3]
	v_fmac_f64_e32 v[0:1], v[2:3], v[6:7]
	v_div_scale_f64 v[2:3], s[4:5], v[0:1], v[0:1], 1.0
	v_rcp_f64_e32 v[8:9], v[2:3]
	s_nop 0
	v_fma_f64 v[10:11], -v[2:3], v[8:9], 1.0
	v_fmac_f64_e32 v[8:9], v[8:9], v[10:11]
	v_fma_f64 v[10:11], -v[2:3], v[8:9], 1.0
	v_fmac_f64_e32 v[8:9], v[8:9], v[10:11]
	v_div_scale_f64 v[10:11], vcc, 1.0, v[0:1], 1.0
	v_mul_f64 v[12:13], v[10:11], v[8:9]
	v_fma_f64 v[2:3], -v[2:3], v[12:13], v[10:11]
	s_nop 1
	v_div_fmas_f64 v[2:3], v[2:3], v[8:9], v[12:13]
	v_div_fixup_f64 v[0:1], v[2:3], v[0:1], 1.0
	v_mul_f64 v[2:3], v[6:7], -v[0:1]
.LBB120_259:
	s_or_b64 exec, exec, s[12:13]
.LBB120_260:
	s_or_b64 exec, exec, s[0:1]
	v_cmp_ne_u32_e32 vcc, v81, v4
	s_and_saveexec_b64 s[0:1], vcc
	s_xor_b64 s[0:1], exec, s[0:1]
	s_cbranch_execz .LBB120_266
; %bb.261:
	v_cmp_eq_u32_e32 vcc, 10, v81
	s_and_saveexec_b64 s[12:13], vcc
	s_cbranch_execz .LBB120_265
; %bb.262:
	v_cmp_ne_u32_e32 vcc, 10, v4
	s_xor_b64 s[4:5], s[18:19], -1
	s_and_b64 s[4:5], s[4:5], vcc
	s_and_saveexec_b64 s[14:15], s[4:5]
	s_cbranch_execz .LBB120_264
; %bb.263:
	v_ashrrev_i32_e32 v5, 31, v4
	v_lshl_add_u64 v[6:7], v[4:5], 2, v[46:47]
	global_load_dword v5, v[6:7], off
	global_load_dword v8, v[46:47], off offset:40
	s_waitcnt vmcnt(1)
	global_store_dword v[46:47], v5, off offset:40
	s_waitcnt vmcnt(1)
	global_store_dword v[6:7], v8, off
.LBB120_264:
	s_or_b64 exec, exec, s[14:15]
	v_mov_b32_e32 v81, v4
	v_mov_b32_e32 v80, v4
.LBB120_265:
	s_or_b64 exec, exec, s[12:13]
.LBB120_266:
	s_andn2_saveexec_b64 s[0:1], s[0:1]
	s_cbranch_execz .LBB120_270
; %bb.267:
	s_mov_b32 s4, 0
	v_add_u32_e32 v4, 0xb0, v78
.LBB120_268:                            ; =>This Inner Loop Header: Depth=1
	s_add_i32 s12, s4, 0xb0
	s_add_i32 s13, s4, 0xc0
	s_add_i32 s14, s4, 0xd0
	s_add_i32 s15, s4, 0xe0
	s_add_i32 s16, s4, 0xf0
	s_add_i32 s66, s4, 0x100
	s_add_i32 s67, s4, 0x110
	s_add_i32 s68, s4, 0x120
	s_add_i32 s69, s4, 0x130
	s_add_i32 s5, s4, 0x140
	scratch_load_dwordx4 v[6:9], off, s12
	scratch_load_dwordx4 v[10:13], off, s13
	;; [unrolled: 1-line block ×10, first 2 shown]
	v_add_u32_e32 v5, s4, v4
	s_addk_i32 s4, 0xa0
	s_cmpk_eq_i32 s4, 0x320
	s_waitcnt vmcnt(9)
	ds_write2_b64 v5, v[6:7], v[8:9] offset1:1
	s_waitcnt vmcnt(8)
	ds_write2_b64 v5, v[10:11], v[12:13] offset0:2 offset1:3
	s_waitcnt vmcnt(7)
	ds_write2_b64 v5, v[14:15], v[16:17] offset0:4 offset1:5
	;; [unrolled: 2-line block ×9, first 2 shown]
	s_cbranch_scc0 .LBB120_268
; %bb.269:
	v_mov_b32_e32 v81, 10
.LBB120_270:
	s_or_b64 exec, exec, s[0:1]
	v_cmp_lt_i32_e32 vcc, 10, v81
	s_waitcnt lgkmcnt(0)
	s_barrier
	s_and_saveexec_b64 s[0:1], vcc
	s_cbranch_execz .LBB120_273
; %bb.271:
	scratch_load_dwordx4 v[8:11], off, off offset:160
	s_mov_b32 s4, 0
	s_waitcnt vmcnt(0)
	v_mul_f64 v[4:5], v[2:3], v[10:11]
	v_mul_f64 v[6:7], v[0:1], v[10:11]
	v_fma_f64 v[4:5], v[0:1], v[8:9], -v[4:5]
	v_fmac_f64_e32 v[6:7], v[2:3], v[8:9]
	v_add_u32_e32 v0, 0xb0, v78
	scratch_store_dwordx4 off, v[4:7], off offset:160
.LBB120_272:                            ; =>This Inner Loop Header: Depth=1
	s_add_i32 s12, s4, 0xb0
	s_add_i32 s13, s4, 0xc0
	;; [unrolled: 1-line block ×5, first 2 shown]
	scratch_load_dwordx4 v[8:11], off, s12
	scratch_load_dwordx4 v[12:15], off, s13
	;; [unrolled: 1-line block ×5, first 2 shown]
	v_add_u32_e32 v1, s4, v0
	ds_read2_b64 v[28:31], v1 offset1:1
	ds_read2_b64 v[32:35], v1 offset0:2 offset1:3
	ds_read2_b64 v[36:39], v1 offset0:4 offset1:5
	;; [unrolled: 1-line block ×4, first 2 shown]
	s_waitcnt lgkmcnt(4)
	v_mul_f64 v[2:3], v[30:31], v[6:7]
	v_mul_f64 v[54:55], v[28:29], v[6:7]
	s_addk_i32 s4, 0x50
	s_waitcnt lgkmcnt(3)
	v_mul_f64 v[56:57], v[34:35], v[6:7]
	v_mul_f64 v[58:59], v[32:33], v[6:7]
	s_waitcnt lgkmcnt(2)
	v_mul_f64 v[60:61], v[38:39], v[6:7]
	v_mul_f64 v[62:63], v[36:37], v[6:7]
	;; [unrolled: 3-line block ×4, first 2 shown]
	v_fma_f64 v[2:3], v[28:29], v[4:5], -v[2:3]
	v_fmac_f64_e32 v[54:55], v[30:31], v[4:5]
	s_cmpk_lg_i32 s4, 0x320
	v_fma_f64 v[28:29], v[32:33], v[4:5], -v[56:57]
	v_fmac_f64_e32 v[58:59], v[34:35], v[4:5]
	v_fma_f64 v[30:31], v[36:37], v[4:5], -v[60:61]
	v_fmac_f64_e32 v[62:63], v[38:39], v[4:5]
	;; [unrolled: 2-line block ×4, first 2 shown]
	s_waitcnt vmcnt(4)
	v_add_f64 v[8:9], v[8:9], -v[2:3]
	v_add_f64 v[10:11], v[10:11], -v[54:55]
	s_waitcnt vmcnt(3)
	v_add_f64 v[12:13], v[12:13], -v[28:29]
	v_add_f64 v[14:15], v[14:15], -v[58:59]
	;; [unrolled: 3-line block ×5, first 2 shown]
	scratch_store_dwordx4 off, v[8:11], s12
	scratch_store_dwordx4 off, v[12:15], s13
	;; [unrolled: 1-line block ×5, first 2 shown]
	s_cbranch_scc1 .LBB120_272
.LBB120_273:
	s_or_b64 exec, exec, s[0:1]
	s_barrier
	scratch_load_dwordx4 v[0:3], off, s77
	v_lshl_add_u32 v4, v81, 4, v78
	s_cmp_lt_i32 s51, 13
	s_waitcnt vmcnt(0)
	ds_write2_b64 v4, v[0:1], v[2:3] offset1:1
	s_waitcnt lgkmcnt(0)
	s_barrier
	ds_read2_b64 v[0:3], v78 offset0:22 offset1:23
	v_mov_b32_e32 v4, 11
	s_cbranch_scc1 .LBB120_276
; %bb.274:
	v_add_u32_e32 v5, 0xc0, v78
	s_mov_b32 s4, 12
	v_mov_b32_e32 v4, 11
.LBB120_275:                            ; =>This Inner Loop Header: Depth=1
	ds_read2_b64 v[6:9], v5 offset1:1
	s_waitcnt lgkmcnt(1)
	v_xor_b32_e32 v11, 0x80000000, v1
	v_xor_b32_e32 v13, 0x80000000, v3
	v_cmp_gt_f64_e32 vcc, 0, v[2:3]
	v_cmp_gt_f64_e64 s[0:1], 0, v[0:1]
	v_mov_b32_e32 v10, v0
	v_mov_b32_e32 v12, v2
	v_cndmask_b32_e64 v11, v1, v11, s[0:1]
	v_cndmask_b32_e32 v13, v3, v13, vcc
	v_add_f64 v[10:11], v[10:11], v[12:13]
	s_waitcnt lgkmcnt(0)
	v_xor_b32_e32 v13, 0x80000000, v7
	v_xor_b32_e32 v15, 0x80000000, v9
	v_cmp_gt_f64_e32 vcc, 0, v[8:9]
	v_cmp_gt_f64_e64 s[0:1], 0, v[6:7]
	v_mov_b32_e32 v12, v6
	v_mov_b32_e32 v14, v8
	v_cndmask_b32_e64 v13, v7, v13, s[0:1]
	v_cndmask_b32_e32 v15, v9, v15, vcc
	v_add_f64 v[12:13], v[12:13], v[14:15]
	v_mov_b32_e32 v16, s4
	s_add_i32 s4, s4, 1
	v_cmp_lt_f64_e32 vcc, v[10:11], v[12:13]
	v_add_u32_e32 v5, 16, v5
	s_cmp_lg_u32 s51, s4
	v_cndmask_b32_e32 v1, v1, v7, vcc
	v_cndmask_b32_e32 v0, v0, v6, vcc
	;; [unrolled: 1-line block ×5, first 2 shown]
	s_cbranch_scc1 .LBB120_275
.LBB120_276:
	s_waitcnt lgkmcnt(0)
	v_cmp_eq_f64_e32 vcc, 0, v[0:1]
	v_cmp_eq_f64_e64 s[0:1], 0, v[2:3]
	s_and_b64 s[0:1], vcc, s[0:1]
	s_and_saveexec_b64 s[4:5], s[0:1]
	s_xor_b64 s[0:1], exec, s[4:5]
; %bb.277:
	v_cmp_ne_u32_e32 vcc, 0, v79
	s_nop 1
	v_cndmask_b32_e32 v79, 12, v79, vcc
; %bb.278:
	s_andn2_saveexec_b64 s[0:1], s[0:1]
	s_cbranch_execz .LBB120_284
; %bb.279:
	v_cmp_ngt_f64_e64 s[4:5], |v[0:1]|, |v[2:3]|
	s_and_saveexec_b64 s[12:13], s[4:5]
	s_xor_b64 s[12:13], exec, s[12:13]
	s_cbranch_execz .LBB120_281
; %bb.280:
	v_div_scale_f64 v[6:7], s[4:5], v[2:3], v[2:3], v[0:1]
	v_rcp_f64_e32 v[8:9], v[6:7]
	v_div_scale_f64 v[10:11], vcc, v[0:1], v[2:3], v[0:1]
	v_fma_f64 v[12:13], -v[6:7], v[8:9], 1.0
	v_fmac_f64_e32 v[8:9], v[8:9], v[12:13]
	v_fma_f64 v[12:13], -v[6:7], v[8:9], 1.0
	v_fmac_f64_e32 v[8:9], v[8:9], v[12:13]
	v_mul_f64 v[12:13], v[10:11], v[8:9]
	v_fma_f64 v[6:7], -v[6:7], v[12:13], v[10:11]
	v_div_fmas_f64 v[6:7], v[6:7], v[8:9], v[12:13]
	v_div_fixup_f64 v[6:7], v[6:7], v[2:3], v[0:1]
	v_fmac_f64_e32 v[2:3], v[0:1], v[6:7]
	v_div_scale_f64 v[0:1], s[4:5], v[2:3], v[2:3], 1.0
	v_rcp_f64_e32 v[8:9], v[0:1]
	s_nop 0
	v_fma_f64 v[10:11], -v[0:1], v[8:9], 1.0
	v_fmac_f64_e32 v[8:9], v[8:9], v[10:11]
	v_fma_f64 v[10:11], -v[0:1], v[8:9], 1.0
	v_fmac_f64_e32 v[8:9], v[8:9], v[10:11]
	v_div_scale_f64 v[10:11], vcc, 1.0, v[2:3], 1.0
	v_mul_f64 v[12:13], v[10:11], v[8:9]
	v_fma_f64 v[0:1], -v[0:1], v[12:13], v[10:11]
	s_nop 1
	v_div_fmas_f64 v[0:1], v[0:1], v[8:9], v[12:13]
	v_div_fixup_f64 v[2:3], v[0:1], v[2:3], 1.0
	v_mul_f64 v[0:1], v[6:7], v[2:3]
	v_xor_b32_e32 v3, 0x80000000, v3
.LBB120_281:
	s_andn2_saveexec_b64 s[12:13], s[12:13]
	s_cbranch_execz .LBB120_283
; %bb.282:
	v_div_scale_f64 v[6:7], s[4:5], v[0:1], v[0:1], v[2:3]
	v_rcp_f64_e32 v[8:9], v[6:7]
	v_div_scale_f64 v[10:11], vcc, v[2:3], v[0:1], v[2:3]
	v_fma_f64 v[12:13], -v[6:7], v[8:9], 1.0
	v_fmac_f64_e32 v[8:9], v[8:9], v[12:13]
	v_fma_f64 v[12:13], -v[6:7], v[8:9], 1.0
	v_fmac_f64_e32 v[8:9], v[8:9], v[12:13]
	v_mul_f64 v[12:13], v[10:11], v[8:9]
	v_fma_f64 v[6:7], -v[6:7], v[12:13], v[10:11]
	v_div_fmas_f64 v[6:7], v[6:7], v[8:9], v[12:13]
	v_div_fixup_f64 v[6:7], v[6:7], v[0:1], v[2:3]
	v_fmac_f64_e32 v[0:1], v[2:3], v[6:7]
	v_div_scale_f64 v[2:3], s[4:5], v[0:1], v[0:1], 1.0
	v_rcp_f64_e32 v[8:9], v[2:3]
	s_nop 0
	v_fma_f64 v[10:11], -v[2:3], v[8:9], 1.0
	v_fmac_f64_e32 v[8:9], v[8:9], v[10:11]
	v_fma_f64 v[10:11], -v[2:3], v[8:9], 1.0
	v_fmac_f64_e32 v[8:9], v[8:9], v[10:11]
	v_div_scale_f64 v[10:11], vcc, 1.0, v[0:1], 1.0
	v_mul_f64 v[12:13], v[10:11], v[8:9]
	v_fma_f64 v[2:3], -v[2:3], v[12:13], v[10:11]
	s_nop 1
	v_div_fmas_f64 v[2:3], v[2:3], v[8:9], v[12:13]
	v_div_fixup_f64 v[0:1], v[2:3], v[0:1], 1.0
	v_mul_f64 v[2:3], v[6:7], -v[0:1]
.LBB120_283:
	s_or_b64 exec, exec, s[12:13]
.LBB120_284:
	s_or_b64 exec, exec, s[0:1]
	v_cmp_ne_u32_e32 vcc, v81, v4
	s_and_saveexec_b64 s[0:1], vcc
	s_xor_b64 s[0:1], exec, s[0:1]
	s_cbranch_execz .LBB120_290
; %bb.285:
	v_cmp_eq_u32_e32 vcc, 11, v81
	s_and_saveexec_b64 s[12:13], vcc
	s_cbranch_execz .LBB120_289
; %bb.286:
	v_cmp_ne_u32_e32 vcc, 11, v4
	s_xor_b64 s[4:5], s[18:19], -1
	s_and_b64 s[4:5], s[4:5], vcc
	s_and_saveexec_b64 s[14:15], s[4:5]
	s_cbranch_execz .LBB120_288
; %bb.287:
	v_ashrrev_i32_e32 v5, 31, v4
	v_lshl_add_u64 v[6:7], v[4:5], 2, v[46:47]
	global_load_dword v5, v[6:7], off
	global_load_dword v8, v[46:47], off offset:44
	s_waitcnt vmcnt(1)
	global_store_dword v[46:47], v5, off offset:44
	s_waitcnt vmcnt(1)
	global_store_dword v[6:7], v8, off
.LBB120_288:
	s_or_b64 exec, exec, s[14:15]
	v_mov_b32_e32 v81, v4
	v_mov_b32_e32 v80, v4
.LBB120_289:
	s_or_b64 exec, exec, s[12:13]
.LBB120_290:
	s_andn2_saveexec_b64 s[0:1], s[0:1]
	s_cbranch_execz .LBB120_294
; %bb.291:
	s_mov_b32 s4, 0
	v_add_u32_e32 v4, 0xc0, v78
.LBB120_292:                            ; =>This Inner Loop Header: Depth=1
	s_add_i32 s12, s4, 0xc0
	s_add_i32 s13, s4, 0xd0
	;; [unrolled: 1-line block ×7, first 2 shown]
	scratch_load_dwordx4 v[6:9], off, s12
	scratch_load_dwordx4 v[10:13], off, s13
	;; [unrolled: 1-line block ×7, first 2 shown]
	v_add_u32_e32 v5, s4, v4
	s_addk_i32 s4, 0x70
	s_cmpk_eq_i32 s4, 0x310
	s_waitcnt vmcnt(6)
	ds_write2_b64 v5, v[6:7], v[8:9] offset1:1
	s_waitcnt vmcnt(5)
	ds_write2_b64 v5, v[10:11], v[12:13] offset0:2 offset1:3
	s_waitcnt vmcnt(4)
	ds_write2_b64 v5, v[14:15], v[16:17] offset0:4 offset1:5
	;; [unrolled: 2-line block ×6, first 2 shown]
	s_cbranch_scc0 .LBB120_292
; %bb.293:
	v_mov_b32_e32 v81, 11
.LBB120_294:
	s_or_b64 exec, exec, s[0:1]
	v_cmp_lt_i32_e32 vcc, 11, v81
	s_waitcnt lgkmcnt(0)
	s_barrier
	s_and_saveexec_b64 s[0:1], vcc
	s_cbranch_execz .LBB120_297
; %bb.295:
	scratch_load_dwordx4 v[8:11], off, off offset:176
	s_mov_b32 s12, 0
	s_waitcnt vmcnt(0)
	v_mul_f64 v[4:5], v[2:3], v[10:11]
	v_mul_f64 v[6:7], v[0:1], v[10:11]
	v_fma_f64 v[4:5], v[0:1], v[8:9], -v[4:5]
	v_fmac_f64_e32 v[6:7], v[2:3], v[8:9]
	v_add_u32_e32 v0, 0xc0, v78
	scratch_store_dwordx4 off, v[4:7], off offset:176
.LBB120_296:                            ; =>This Inner Loop Header: Depth=1
	v_add_u32_e32 v1, s12, v0
	ds_read2_b64 v[8:11], v1 offset1:1
	ds_read2_b64 v[12:15], v1 offset0:2 offset1:3
	ds_read2_b64 v[16:19], v1 offset0:4 offset1:5
	;; [unrolled: 1-line block ×5, first 2 shown]
	s_add_i32 s13, s12, 0xc0
	s_add_i32 s5, s12, 0xd0
	;; [unrolled: 1-line block ×6, first 2 shown]
	scratch_load_dwordx4 v[32:35], off, s13
	scratch_load_dwordx4 v[36:39], off, s5
	;; [unrolled: 1-line block ×6, first 2 shown]
	s_waitcnt lgkmcnt(5)
	v_mul_f64 v[2:3], v[10:11], v[6:7]
	v_mul_f64 v[62:63], v[8:9], v[6:7]
	s_waitcnt lgkmcnt(4)
	v_mul_f64 v[64:65], v[14:15], v[6:7]
	v_mul_f64 v[66:67], v[12:13], v[6:7]
	;; [unrolled: 3-line block ×6, first 2 shown]
	s_add_i32 s4, s12, 0x120
	v_fma_f64 v[2:3], v[8:9], v[4:5], -v[2:3]
	v_fmac_f64_e32 v[62:63], v[10:11], v[4:5]
	v_fma_f64 v[64:65], v[12:13], v[4:5], -v[64:65]
	v_fmac_f64_e32 v[66:67], v[14:15], v[4:5]
	;; [unrolled: 2-line block ×6, first 2 shown]
	scratch_load_dwordx4 v[4:7], off, off offset:176
	scratch_load_dwordx4 v[8:11], off, s4
	ds_read2_b64 v[12:15], v1 offset0:12 offset1:13
	s_addk_i32 s12, 0x70
	s_cmpk_lg_i32 s12, 0x310
	s_waitcnt vmcnt(7)
	v_add_f64 v[16:17], v[32:33], -v[2:3]
	v_add_f64 v[18:19], v[34:35], -v[62:63]
	s_waitcnt vmcnt(6)
	v_add_f64 v[20:21], v[36:37], -v[64:65]
	v_add_f64 v[22:23], v[38:39], -v[66:67]
	;; [unrolled: 3-line block ×6, first 2 shown]
	scratch_store_dwordx4 off, v[16:19], s13
	scratch_store_dwordx4 off, v[20:23], s5
	;; [unrolled: 1-line block ×6, first 2 shown]
	s_waitcnt vmcnt(7) lgkmcnt(0)
	v_mul_f64 v[2:3], v[14:15], v[6:7]
	v_mul_f64 v[16:17], v[12:13], v[6:7]
	v_fma_f64 v[2:3], v[12:13], v[4:5], -v[2:3]
	v_fmac_f64_e32 v[16:17], v[14:15], v[4:5]
	s_waitcnt vmcnt(6)
	v_add_f64 v[8:9], v[8:9], -v[2:3]
	v_add_f64 v[10:11], v[10:11], -v[16:17]
	scratch_store_dwordx4 off, v[8:11], s4
	s_cbranch_scc1 .LBB120_296
.LBB120_297:
	s_or_b64 exec, exec, s[0:1]
	s_barrier
	scratch_load_dwordx4 v[0:3], off, s76
	v_lshl_add_u32 v4, v81, 4, v78
	s_cmp_lt_i32 s51, 14
	s_waitcnt vmcnt(0)
	ds_write2_b64 v4, v[0:1], v[2:3] offset1:1
	s_waitcnt lgkmcnt(0)
	s_barrier
	ds_read2_b64 v[0:3], v78 offset0:24 offset1:25
	v_mov_b32_e32 v4, 12
	s_cbranch_scc1 .LBB120_300
; %bb.298:
	v_add_u32_e32 v5, 0xd0, v78
	s_mov_b32 s4, 13
	v_mov_b32_e32 v4, 12
.LBB120_299:                            ; =>This Inner Loop Header: Depth=1
	ds_read2_b64 v[6:9], v5 offset1:1
	s_waitcnt lgkmcnt(1)
	v_xor_b32_e32 v11, 0x80000000, v1
	v_xor_b32_e32 v13, 0x80000000, v3
	v_cmp_gt_f64_e32 vcc, 0, v[2:3]
	v_cmp_gt_f64_e64 s[0:1], 0, v[0:1]
	v_mov_b32_e32 v10, v0
	v_mov_b32_e32 v12, v2
	v_cndmask_b32_e64 v11, v1, v11, s[0:1]
	v_cndmask_b32_e32 v13, v3, v13, vcc
	v_add_f64 v[10:11], v[10:11], v[12:13]
	s_waitcnt lgkmcnt(0)
	v_xor_b32_e32 v13, 0x80000000, v7
	v_xor_b32_e32 v15, 0x80000000, v9
	v_cmp_gt_f64_e32 vcc, 0, v[8:9]
	v_cmp_gt_f64_e64 s[0:1], 0, v[6:7]
	v_mov_b32_e32 v12, v6
	v_mov_b32_e32 v14, v8
	v_cndmask_b32_e64 v13, v7, v13, s[0:1]
	v_cndmask_b32_e32 v15, v9, v15, vcc
	v_add_f64 v[12:13], v[12:13], v[14:15]
	v_mov_b32_e32 v16, s4
	s_add_i32 s4, s4, 1
	v_cmp_lt_f64_e32 vcc, v[10:11], v[12:13]
	v_add_u32_e32 v5, 16, v5
	s_cmp_lg_u32 s51, s4
	v_cndmask_b32_e32 v1, v1, v7, vcc
	v_cndmask_b32_e32 v0, v0, v6, vcc
	;; [unrolled: 1-line block ×5, first 2 shown]
	s_cbranch_scc1 .LBB120_299
.LBB120_300:
	s_waitcnt lgkmcnt(0)
	v_cmp_eq_f64_e32 vcc, 0, v[0:1]
	v_cmp_eq_f64_e64 s[0:1], 0, v[2:3]
	s_and_b64 s[0:1], vcc, s[0:1]
	s_and_saveexec_b64 s[4:5], s[0:1]
	s_xor_b64 s[0:1], exec, s[4:5]
; %bb.301:
	v_cmp_ne_u32_e32 vcc, 0, v79
	s_nop 1
	v_cndmask_b32_e32 v79, 13, v79, vcc
; %bb.302:
	s_andn2_saveexec_b64 s[0:1], s[0:1]
	s_cbranch_execz .LBB120_308
; %bb.303:
	v_cmp_ngt_f64_e64 s[4:5], |v[0:1]|, |v[2:3]|
	s_and_saveexec_b64 s[12:13], s[4:5]
	s_xor_b64 s[12:13], exec, s[12:13]
	s_cbranch_execz .LBB120_305
; %bb.304:
	v_div_scale_f64 v[6:7], s[4:5], v[2:3], v[2:3], v[0:1]
	v_rcp_f64_e32 v[8:9], v[6:7]
	v_div_scale_f64 v[10:11], vcc, v[0:1], v[2:3], v[0:1]
	v_fma_f64 v[12:13], -v[6:7], v[8:9], 1.0
	v_fmac_f64_e32 v[8:9], v[8:9], v[12:13]
	v_fma_f64 v[12:13], -v[6:7], v[8:9], 1.0
	v_fmac_f64_e32 v[8:9], v[8:9], v[12:13]
	v_mul_f64 v[12:13], v[10:11], v[8:9]
	v_fma_f64 v[6:7], -v[6:7], v[12:13], v[10:11]
	v_div_fmas_f64 v[6:7], v[6:7], v[8:9], v[12:13]
	v_div_fixup_f64 v[6:7], v[6:7], v[2:3], v[0:1]
	v_fmac_f64_e32 v[2:3], v[0:1], v[6:7]
	v_div_scale_f64 v[0:1], s[4:5], v[2:3], v[2:3], 1.0
	v_rcp_f64_e32 v[8:9], v[0:1]
	s_nop 0
	v_fma_f64 v[10:11], -v[0:1], v[8:9], 1.0
	v_fmac_f64_e32 v[8:9], v[8:9], v[10:11]
	v_fma_f64 v[10:11], -v[0:1], v[8:9], 1.0
	v_fmac_f64_e32 v[8:9], v[8:9], v[10:11]
	v_div_scale_f64 v[10:11], vcc, 1.0, v[2:3], 1.0
	v_mul_f64 v[12:13], v[10:11], v[8:9]
	v_fma_f64 v[0:1], -v[0:1], v[12:13], v[10:11]
	s_nop 1
	v_div_fmas_f64 v[0:1], v[0:1], v[8:9], v[12:13]
	v_div_fixup_f64 v[2:3], v[0:1], v[2:3], 1.0
	v_mul_f64 v[0:1], v[6:7], v[2:3]
	v_xor_b32_e32 v3, 0x80000000, v3
.LBB120_305:
	s_andn2_saveexec_b64 s[12:13], s[12:13]
	s_cbranch_execz .LBB120_307
; %bb.306:
	v_div_scale_f64 v[6:7], s[4:5], v[0:1], v[0:1], v[2:3]
	v_rcp_f64_e32 v[8:9], v[6:7]
	v_div_scale_f64 v[10:11], vcc, v[2:3], v[0:1], v[2:3]
	v_fma_f64 v[12:13], -v[6:7], v[8:9], 1.0
	v_fmac_f64_e32 v[8:9], v[8:9], v[12:13]
	v_fma_f64 v[12:13], -v[6:7], v[8:9], 1.0
	v_fmac_f64_e32 v[8:9], v[8:9], v[12:13]
	v_mul_f64 v[12:13], v[10:11], v[8:9]
	v_fma_f64 v[6:7], -v[6:7], v[12:13], v[10:11]
	v_div_fmas_f64 v[6:7], v[6:7], v[8:9], v[12:13]
	v_div_fixup_f64 v[6:7], v[6:7], v[0:1], v[2:3]
	v_fmac_f64_e32 v[0:1], v[2:3], v[6:7]
	v_div_scale_f64 v[2:3], s[4:5], v[0:1], v[0:1], 1.0
	v_rcp_f64_e32 v[8:9], v[2:3]
	s_nop 0
	v_fma_f64 v[10:11], -v[2:3], v[8:9], 1.0
	v_fmac_f64_e32 v[8:9], v[8:9], v[10:11]
	v_fma_f64 v[10:11], -v[2:3], v[8:9], 1.0
	v_fmac_f64_e32 v[8:9], v[8:9], v[10:11]
	v_div_scale_f64 v[10:11], vcc, 1.0, v[0:1], 1.0
	v_mul_f64 v[12:13], v[10:11], v[8:9]
	v_fma_f64 v[2:3], -v[2:3], v[12:13], v[10:11]
	s_nop 1
	v_div_fmas_f64 v[2:3], v[2:3], v[8:9], v[12:13]
	v_div_fixup_f64 v[0:1], v[2:3], v[0:1], 1.0
	v_mul_f64 v[2:3], v[6:7], -v[0:1]
.LBB120_307:
	s_or_b64 exec, exec, s[12:13]
.LBB120_308:
	s_or_b64 exec, exec, s[0:1]
	v_cmp_ne_u32_e32 vcc, v81, v4
	s_and_saveexec_b64 s[0:1], vcc
	s_xor_b64 s[0:1], exec, s[0:1]
	s_cbranch_execz .LBB120_314
; %bb.309:
	v_cmp_eq_u32_e32 vcc, 12, v81
	s_and_saveexec_b64 s[12:13], vcc
	s_cbranch_execz .LBB120_313
; %bb.310:
	v_cmp_ne_u32_e32 vcc, 12, v4
	s_xor_b64 s[4:5], s[18:19], -1
	s_and_b64 s[4:5], s[4:5], vcc
	s_and_saveexec_b64 s[14:15], s[4:5]
	s_cbranch_execz .LBB120_312
; %bb.311:
	v_ashrrev_i32_e32 v5, 31, v4
	v_lshl_add_u64 v[6:7], v[4:5], 2, v[46:47]
	global_load_dword v5, v[6:7], off
	global_load_dword v8, v[46:47], off offset:48
	s_waitcnt vmcnt(1)
	global_store_dword v[46:47], v5, off offset:48
	s_waitcnt vmcnt(1)
	global_store_dword v[6:7], v8, off
.LBB120_312:
	s_or_b64 exec, exec, s[14:15]
	v_mov_b32_e32 v81, v4
	v_mov_b32_e32 v80, v4
.LBB120_313:
	s_or_b64 exec, exec, s[12:13]
.LBB120_314:
	s_andn2_saveexec_b64 s[0:1], s[0:1]
	s_cbranch_execz .LBB120_318
; %bb.315:
	s_mov_b32 s4, 0
	v_add_u32_e32 v4, 0xd0, v78
.LBB120_316:                            ; =>This Inner Loop Header: Depth=1
	s_add_i32 s12, s4, 0xd0
	s_add_i32 s13, s4, 0xe0
	;; [unrolled: 1-line block ×16, first 2 shown]
	scratch_load_dwordx4 v[6:9], off, s12
	scratch_load_dwordx4 v[10:13], off, s13
	;; [unrolled: 1-line block ×16, first 2 shown]
	v_add_u32_e32 v5, s4, v4
	s_addk_i32 s4, 0x100
	s_cmpk_eq_i32 s4, 0x300
	s_waitcnt vmcnt(15)
	ds_write2_b64 v5, v[6:7], v[8:9] offset1:1
	s_waitcnt vmcnt(14)
	ds_write2_b64 v5, v[10:11], v[12:13] offset0:2 offset1:3
	s_waitcnt vmcnt(13)
	ds_write2_b64 v5, v[14:15], v[16:17] offset0:4 offset1:5
	;; [unrolled: 2-line block ×15, first 2 shown]
	s_cbranch_scc0 .LBB120_316
; %bb.317:
	v_mov_b32_e32 v81, 12
.LBB120_318:
	s_or_b64 exec, exec, s[0:1]
	v_cmp_lt_i32_e32 vcc, 12, v81
	s_waitcnt lgkmcnt(0)
	s_barrier
	s_and_saveexec_b64 s[0:1], vcc
	s_cbranch_execz .LBB120_321
; %bb.319:
	scratch_load_dwordx4 v[8:11], off, off offset:192
	s_mov_b32 s12, 0
	s_waitcnt vmcnt(0)
	v_mul_f64 v[4:5], v[2:3], v[10:11]
	v_mul_f64 v[6:7], v[0:1], v[10:11]
	v_fma_f64 v[4:5], v[0:1], v[8:9], -v[4:5]
	v_fmac_f64_e32 v[6:7], v[2:3], v[8:9]
	v_add_u32_e32 v0, 0xd0, v78
	scratch_store_dwordx4 off, v[4:7], off offset:192
.LBB120_320:                            ; =>This Inner Loop Header: Depth=1
	v_add_u32_e32 v1, s12, v0
	ds_read2_b64 v[8:11], v1 offset1:1
	ds_read2_b64 v[12:15], v1 offset0:2 offset1:3
	ds_read2_b64 v[16:19], v1 offset0:4 offset1:5
	;; [unrolled: 1-line block ×5, first 2 shown]
	s_add_i32 s13, s12, 0xd0
	s_waitcnt lgkmcnt(5)
	v_mul_f64 v[2:3], v[10:11], v[6:7]
	v_mul_f64 v[66:67], v[8:9], v[6:7]
	s_waitcnt lgkmcnt(4)
	v_mul_f64 v[68:69], v[14:15], v[6:7]
	v_mul_f64 v[70:71], v[12:13], v[6:7]
	;; [unrolled: 3-line block ×6, first 2 shown]
	s_add_i32 s14, s12, 0xe0
	s_add_i32 s5, s12, 0xf0
	;; [unrolled: 1-line block ×7, first 2 shown]
	scratch_load_dwordx4 v[32:35], off, s13
	scratch_load_dwordx4 v[36:39], off, s14
	;; [unrolled: 1-line block ×7, first 2 shown]
	v_fma_f64 v[2:3], v[8:9], v[4:5], -v[2:3]
	v_fmac_f64_e32 v[66:67], v[10:11], v[4:5]
	v_fma_f64 v[68:69], v[12:13], v[4:5], -v[68:69]
	v_fmac_f64_e32 v[70:71], v[14:15], v[4:5]
	;; [unrolled: 2-line block ×6, first 2 shown]
	scratch_load_dwordx4 v[4:7], off, off offset:192
	scratch_load_dwordx4 v[8:11], off, s4
	ds_read2_b64 v[12:15], v1 offset0:12 offset1:13
	ds_read2_b64 v[16:19], v1 offset0:14 offset1:15
	s_addk_i32 s12, 0x80
	s_cmpk_lg_i32 s12, 0x300
	s_waitcnt vmcnt(8)
	v_add_f64 v[20:21], v[32:33], -v[2:3]
	v_add_f64 v[22:23], v[34:35], -v[66:67]
	s_waitcnt vmcnt(7)
	v_add_f64 v[24:25], v[36:37], -v[68:69]
	v_add_f64 v[26:27], v[38:39], -v[70:71]
	;; [unrolled: 3-line block ×6, first 2 shown]
	scratch_store_dwordx4 off, v[20:23], s13
	scratch_store_dwordx4 off, v[24:27], s14
	;; [unrolled: 1-line block ×6, first 2 shown]
	s_waitcnt vmcnt(7) lgkmcnt(1)
	v_mul_f64 v[2:3], v[14:15], v[6:7]
	v_mul_f64 v[20:21], v[12:13], v[6:7]
	s_waitcnt lgkmcnt(0)
	v_mul_f64 v[22:23], v[18:19], v[6:7]
	v_mul_f64 v[24:25], v[16:17], v[6:7]
	v_fma_f64 v[2:3], v[12:13], v[4:5], -v[2:3]
	v_fmac_f64_e32 v[20:21], v[14:15], v[4:5]
	v_fma_f64 v[16:17], v[16:17], v[4:5], -v[22:23]
	v_fmac_f64_e32 v[24:25], v[18:19], v[4:5]
	v_add_f64 v[12:13], v[62:63], -v[2:3]
	v_add_f64 v[14:15], v[64:65], -v[20:21]
	s_waitcnt vmcnt(6)
	v_add_f64 v[8:9], v[8:9], -v[16:17]
	v_add_f64 v[10:11], v[10:11], -v[24:25]
	scratch_store_dwordx4 off, v[12:15], s67
	scratch_store_dwordx4 off, v[8:11], s4
	s_cbranch_scc1 .LBB120_320
.LBB120_321:
	s_or_b64 exec, exec, s[0:1]
	s_barrier
	scratch_load_dwordx4 v[0:3], off, s75
	v_lshl_add_u32 v4, v81, 4, v78
	s_cmp_lt_i32 s51, 15
	s_waitcnt vmcnt(0)
	ds_write2_b64 v4, v[0:1], v[2:3] offset1:1
	s_waitcnt lgkmcnt(0)
	s_barrier
	ds_read2_b64 v[0:3], v78 offset0:26 offset1:27
	v_mov_b32_e32 v4, 13
	s_cbranch_scc1 .LBB120_324
; %bb.322:
	v_add_u32_e32 v5, 0xe0, v78
	s_mov_b32 s4, 14
	v_mov_b32_e32 v4, 13
.LBB120_323:                            ; =>This Inner Loop Header: Depth=1
	ds_read2_b64 v[6:9], v5 offset1:1
	s_waitcnt lgkmcnt(1)
	v_xor_b32_e32 v11, 0x80000000, v1
	v_xor_b32_e32 v13, 0x80000000, v3
	v_cmp_gt_f64_e32 vcc, 0, v[2:3]
	v_cmp_gt_f64_e64 s[0:1], 0, v[0:1]
	v_mov_b32_e32 v10, v0
	v_mov_b32_e32 v12, v2
	v_cndmask_b32_e64 v11, v1, v11, s[0:1]
	v_cndmask_b32_e32 v13, v3, v13, vcc
	v_add_f64 v[10:11], v[10:11], v[12:13]
	s_waitcnt lgkmcnt(0)
	v_xor_b32_e32 v13, 0x80000000, v7
	v_xor_b32_e32 v15, 0x80000000, v9
	v_cmp_gt_f64_e32 vcc, 0, v[8:9]
	v_cmp_gt_f64_e64 s[0:1], 0, v[6:7]
	v_mov_b32_e32 v12, v6
	v_mov_b32_e32 v14, v8
	v_cndmask_b32_e64 v13, v7, v13, s[0:1]
	v_cndmask_b32_e32 v15, v9, v15, vcc
	v_add_f64 v[12:13], v[12:13], v[14:15]
	v_mov_b32_e32 v16, s4
	s_add_i32 s4, s4, 1
	v_cmp_lt_f64_e32 vcc, v[10:11], v[12:13]
	v_add_u32_e32 v5, 16, v5
	s_cmp_lg_u32 s51, s4
	v_cndmask_b32_e32 v1, v1, v7, vcc
	v_cndmask_b32_e32 v0, v0, v6, vcc
	;; [unrolled: 1-line block ×5, first 2 shown]
	s_cbranch_scc1 .LBB120_323
.LBB120_324:
	s_waitcnt lgkmcnt(0)
	v_cmp_eq_f64_e32 vcc, 0, v[0:1]
	v_cmp_eq_f64_e64 s[0:1], 0, v[2:3]
	s_and_b64 s[0:1], vcc, s[0:1]
	s_and_saveexec_b64 s[4:5], s[0:1]
	s_xor_b64 s[0:1], exec, s[4:5]
; %bb.325:
	v_cmp_ne_u32_e32 vcc, 0, v79
	s_nop 1
	v_cndmask_b32_e32 v79, 14, v79, vcc
; %bb.326:
	s_andn2_saveexec_b64 s[0:1], s[0:1]
	s_cbranch_execz .LBB120_332
; %bb.327:
	v_cmp_ngt_f64_e64 s[4:5], |v[0:1]|, |v[2:3]|
	s_and_saveexec_b64 s[12:13], s[4:5]
	s_xor_b64 s[12:13], exec, s[12:13]
	s_cbranch_execz .LBB120_329
; %bb.328:
	v_div_scale_f64 v[6:7], s[4:5], v[2:3], v[2:3], v[0:1]
	v_rcp_f64_e32 v[8:9], v[6:7]
	v_div_scale_f64 v[10:11], vcc, v[0:1], v[2:3], v[0:1]
	v_fma_f64 v[12:13], -v[6:7], v[8:9], 1.0
	v_fmac_f64_e32 v[8:9], v[8:9], v[12:13]
	v_fma_f64 v[12:13], -v[6:7], v[8:9], 1.0
	v_fmac_f64_e32 v[8:9], v[8:9], v[12:13]
	v_mul_f64 v[12:13], v[10:11], v[8:9]
	v_fma_f64 v[6:7], -v[6:7], v[12:13], v[10:11]
	v_div_fmas_f64 v[6:7], v[6:7], v[8:9], v[12:13]
	v_div_fixup_f64 v[6:7], v[6:7], v[2:3], v[0:1]
	v_fmac_f64_e32 v[2:3], v[0:1], v[6:7]
	v_div_scale_f64 v[0:1], s[4:5], v[2:3], v[2:3], 1.0
	v_rcp_f64_e32 v[8:9], v[0:1]
	s_nop 0
	v_fma_f64 v[10:11], -v[0:1], v[8:9], 1.0
	v_fmac_f64_e32 v[8:9], v[8:9], v[10:11]
	v_fma_f64 v[10:11], -v[0:1], v[8:9], 1.0
	v_fmac_f64_e32 v[8:9], v[8:9], v[10:11]
	v_div_scale_f64 v[10:11], vcc, 1.0, v[2:3], 1.0
	v_mul_f64 v[12:13], v[10:11], v[8:9]
	v_fma_f64 v[0:1], -v[0:1], v[12:13], v[10:11]
	s_nop 1
	v_div_fmas_f64 v[0:1], v[0:1], v[8:9], v[12:13]
	v_div_fixup_f64 v[2:3], v[0:1], v[2:3], 1.0
	v_mul_f64 v[0:1], v[6:7], v[2:3]
	v_xor_b32_e32 v3, 0x80000000, v3
.LBB120_329:
	s_andn2_saveexec_b64 s[12:13], s[12:13]
	s_cbranch_execz .LBB120_331
; %bb.330:
	v_div_scale_f64 v[6:7], s[4:5], v[0:1], v[0:1], v[2:3]
	v_rcp_f64_e32 v[8:9], v[6:7]
	v_div_scale_f64 v[10:11], vcc, v[2:3], v[0:1], v[2:3]
	v_fma_f64 v[12:13], -v[6:7], v[8:9], 1.0
	v_fmac_f64_e32 v[8:9], v[8:9], v[12:13]
	v_fma_f64 v[12:13], -v[6:7], v[8:9], 1.0
	v_fmac_f64_e32 v[8:9], v[8:9], v[12:13]
	v_mul_f64 v[12:13], v[10:11], v[8:9]
	v_fma_f64 v[6:7], -v[6:7], v[12:13], v[10:11]
	v_div_fmas_f64 v[6:7], v[6:7], v[8:9], v[12:13]
	v_div_fixup_f64 v[6:7], v[6:7], v[0:1], v[2:3]
	v_fmac_f64_e32 v[0:1], v[2:3], v[6:7]
	v_div_scale_f64 v[2:3], s[4:5], v[0:1], v[0:1], 1.0
	v_rcp_f64_e32 v[8:9], v[2:3]
	s_nop 0
	v_fma_f64 v[10:11], -v[2:3], v[8:9], 1.0
	v_fmac_f64_e32 v[8:9], v[8:9], v[10:11]
	v_fma_f64 v[10:11], -v[2:3], v[8:9], 1.0
	v_fmac_f64_e32 v[8:9], v[8:9], v[10:11]
	v_div_scale_f64 v[10:11], vcc, 1.0, v[0:1], 1.0
	v_mul_f64 v[12:13], v[10:11], v[8:9]
	v_fma_f64 v[2:3], -v[2:3], v[12:13], v[10:11]
	s_nop 1
	v_div_fmas_f64 v[2:3], v[2:3], v[8:9], v[12:13]
	v_div_fixup_f64 v[0:1], v[2:3], v[0:1], 1.0
	v_mul_f64 v[2:3], v[6:7], -v[0:1]
.LBB120_331:
	s_or_b64 exec, exec, s[12:13]
.LBB120_332:
	s_or_b64 exec, exec, s[0:1]
	v_cmp_ne_u32_e32 vcc, v81, v4
	s_and_saveexec_b64 s[0:1], vcc
	s_xor_b64 s[0:1], exec, s[0:1]
	s_cbranch_execz .LBB120_338
; %bb.333:
	v_cmp_eq_u32_e32 vcc, 13, v81
	s_and_saveexec_b64 s[12:13], vcc
	s_cbranch_execz .LBB120_337
; %bb.334:
	v_cmp_ne_u32_e32 vcc, 13, v4
	s_xor_b64 s[4:5], s[18:19], -1
	s_and_b64 s[4:5], s[4:5], vcc
	s_and_saveexec_b64 s[14:15], s[4:5]
	s_cbranch_execz .LBB120_336
; %bb.335:
	v_ashrrev_i32_e32 v5, 31, v4
	v_lshl_add_u64 v[6:7], v[4:5], 2, v[46:47]
	global_load_dword v5, v[6:7], off
	global_load_dword v8, v[46:47], off offset:52
	s_waitcnt vmcnt(1)
	global_store_dword v[46:47], v5, off offset:52
	s_waitcnt vmcnt(1)
	global_store_dword v[6:7], v8, off
.LBB120_336:
	s_or_b64 exec, exec, s[14:15]
	v_mov_b32_e32 v81, v4
	v_mov_b32_e32 v80, v4
.LBB120_337:
	s_or_b64 exec, exec, s[12:13]
.LBB120_338:
	s_andn2_saveexec_b64 s[0:1], s[0:1]
	s_cbranch_execz .LBB120_344
; %bb.339:
	s_mov_b32 s4, 0
	v_add_u32_e32 v4, 0xe0, v78
	s_branch .LBB120_341
.LBB120_340:                            ;   in Loop: Header=BB120_341 Depth=1
	s_andn2_b64 vcc, exec, s[12:13]
	s_cbranch_vccz .LBB120_343
.LBB120_341:                            ; =>This Inner Loop Header: Depth=1
	s_add_i32 s12, s4, 0xe0
	s_add_i32 s13, s4, 0xf0
	scratch_load_dwordx4 v[6:9], off, s12
	scratch_load_dwordx4 v[10:13], off, s13
	s_add_i32 s12, s4, 0x100
	s_add_i32 s13, s4, 0x110
	scratch_load_dwordx4 v[14:17], off, s12
	scratch_load_dwordx4 v[18:21], off, s13
	;; [unrolled: 4-line block ×3, first 2 shown]
	s_add_i32 s12, s4, 0x140
	scratch_load_dwordx4 v[30:33], off, s12
	s_mov_b32 s5, s4
	v_add_u32_e32 v5, s4, v4
	s_cmpk_eq_i32 s4, 0x280
	s_mov_b64 s[12:13], -1
	s_waitcnt vmcnt(6)
	ds_write2_b64 v5, v[6:7], v[8:9] offset1:1
	s_waitcnt vmcnt(5)
	ds_write2_b64 v5, v[10:11], v[12:13] offset0:2 offset1:3
	s_waitcnt vmcnt(4)
	ds_write2_b64 v5, v[14:15], v[16:17] offset0:4 offset1:5
	;; [unrolled: 2-line block ×6, first 2 shown]
	s_cbranch_scc1 .LBB120_340
; %bb.342:                              ;   in Loop: Header=BB120_341 Depth=1
	s_addk_i32 s5, 0x150
	scratch_load_dwordx4 v[6:9], off, s5
	s_addk_i32 s4, 0x80
	s_mov_b64 s[12:13], 0
	s_waitcnt vmcnt(0)
	ds_write2_b64 v5, v[6:7], v[8:9] offset0:14 offset1:15
	s_branch .LBB120_340
.LBB120_343:
	v_mov_b32_e32 v81, 13
.LBB120_344:
	s_or_b64 exec, exec, s[0:1]
	v_cmp_lt_i32_e32 vcc, 13, v81
	s_waitcnt lgkmcnt(0)
	s_barrier
	s_and_saveexec_b64 s[0:1], vcc
	s_cbranch_execz .LBB120_349
; %bb.345:
	scratch_load_dwordx4 v[8:11], off, off offset:208
	s_mov_b32 s14, 0
	s_waitcnt vmcnt(0)
	v_mul_f64 v[4:5], v[2:3], v[10:11]
	v_mul_f64 v[6:7], v[0:1], v[10:11]
	v_fma_f64 v[4:5], v[0:1], v[8:9], -v[4:5]
	v_fmac_f64_e32 v[6:7], v[2:3], v[8:9]
	v_add_u32_e32 v0, 0xe0, v78
	scratch_store_dwordx4 off, v[4:7], off offset:208
	s_branch .LBB120_347
.LBB120_346:                            ;   in Loop: Header=BB120_347 Depth=1
	s_andn2_b64 vcc, exec, s[12:13]
	s_cbranch_vccz .LBB120_349
.LBB120_347:                            ; =>This Inner Loop Header: Depth=1
	s_add_i32 s4, s14, 0xe0
	scratch_load_dwordx4 v[8:11], off, s4
	s_add_i32 s5, s14, 0xf0
	s_add_i32 s12, s14, 0x100
	;; [unrolled: 1-line block ×5, first 2 shown]
	scratch_load_dwordx4 v[12:15], off, s5
	scratch_load_dwordx4 v[16:19], off, s12
	;; [unrolled: 1-line block ×5, first 2 shown]
	v_add_u32_e32 v1, s14, v0
	ds_read2_b64 v[32:35], v1 offset1:1
	ds_read2_b64 v[36:39], v1 offset0:2 offset1:3
	ds_read2_b64 v[40:43], v1 offset0:4 offset1:5
	;; [unrolled: 1-line block ×5, first 2 shown]
	s_waitcnt lgkmcnt(5)
	v_mul_f64 v[2:3], v[34:35], v[6:7]
	v_mul_f64 v[62:63], v[32:33], v[6:7]
	s_waitcnt lgkmcnt(4)
	v_mul_f64 v[64:65], v[38:39], v[6:7]
	v_mul_f64 v[66:67], v[36:37], v[6:7]
	;; [unrolled: 3-line block ×6, first 2 shown]
	v_fma_f64 v[2:3], v[32:33], v[4:5], -v[2:3]
	v_fmac_f64_e32 v[62:63], v[34:35], v[4:5]
	v_fma_f64 v[6:7], v[36:37], v[4:5], -v[64:65]
	v_fmac_f64_e32 v[66:67], v[38:39], v[4:5]
	;; [unrolled: 2-line block ×6, first 2 shown]
	s_mov_b32 s15, s14
	s_waitcnt vmcnt(5)
	v_add_f64 v[2:3], v[8:9], -v[2:3]
	v_add_f64 v[4:5], v[10:11], -v[62:63]
	s_waitcnt vmcnt(4)
	v_add_f64 v[6:7], v[12:13], -v[6:7]
	v_add_f64 v[8:9], v[14:15], -v[66:67]
	;; [unrolled: 3-line block ×6, first 2 shown]
	scratch_store_dwordx4 off, v[2:5], s4
	scratch_store_dwordx4 off, v[6:9], s5
	;; [unrolled: 1-line block ×6, first 2 shown]
	scratch_load_dwordx4 v[4:7], off, off offset:208
	s_add_i32 s4, s14, 0x140
	scratch_load_dwordx4 v[8:11], off, s4
	ds_read2_b64 v[12:15], v1 offset0:12 offset1:13
	s_cmpk_eq_i32 s14, 0x280
	s_mov_b64 s[12:13], -1
	s_waitcnt vmcnt(1) lgkmcnt(0)
	v_mul_f64 v[2:3], v[14:15], v[6:7]
	v_mul_f64 v[16:17], v[12:13], v[6:7]
	v_fma_f64 v[2:3], v[12:13], v[4:5], -v[2:3]
	v_fmac_f64_e32 v[16:17], v[14:15], v[4:5]
	s_waitcnt vmcnt(0)
	v_add_f64 v[8:9], v[8:9], -v[2:3]
	v_add_f64 v[10:11], v[10:11], -v[16:17]
	scratch_store_dwordx4 off, v[8:11], s4
	s_cbranch_scc1 .LBB120_346
; %bb.348:                              ;   in Loop: Header=BB120_347 Depth=1
	s_addk_i32 s15, 0x150
	scratch_load_dwordx4 v[8:11], off, s15
	ds_read2_b64 v[12:15], v1 offset0:14 offset1:15
	s_addk_i32 s14, 0x80
	s_mov_b64 s[12:13], 0
	s_waitcnt lgkmcnt(0)
	v_mul_f64 v[2:3], v[14:15], v[6:7]
	v_mul_f64 v[16:17], v[12:13], v[6:7]
	v_fma_f64 v[2:3], v[12:13], v[4:5], -v[2:3]
	v_fmac_f64_e32 v[16:17], v[14:15], v[4:5]
	s_waitcnt vmcnt(0)
	v_add_f64 v[8:9], v[8:9], -v[2:3]
	v_add_f64 v[10:11], v[10:11], -v[16:17]
	scratch_store_dwordx4 off, v[8:11], s15
	s_branch .LBB120_346
.LBB120_349:
	s_or_b64 exec, exec, s[0:1]
	s_barrier
	scratch_load_dwordx4 v[0:3], off, s74
	v_lshl_add_u32 v4, v81, 4, v78
	s_cmp_lt_i32 s51, 16
	s_waitcnt vmcnt(0)
	ds_write2_b64 v4, v[0:1], v[2:3] offset1:1
	s_waitcnt lgkmcnt(0)
	s_barrier
	ds_read2_b64 v[0:3], v78 offset0:28 offset1:29
	v_mov_b32_e32 v4, 14
	s_cbranch_scc1 .LBB120_352
; %bb.350:
	v_add_u32_e32 v5, 0xf0, v78
	s_mov_b32 s4, 15
	v_mov_b32_e32 v4, 14
.LBB120_351:                            ; =>This Inner Loop Header: Depth=1
	ds_read2_b64 v[6:9], v5 offset1:1
	s_waitcnt lgkmcnt(1)
	v_xor_b32_e32 v11, 0x80000000, v1
	v_xor_b32_e32 v13, 0x80000000, v3
	v_cmp_gt_f64_e32 vcc, 0, v[2:3]
	v_cmp_gt_f64_e64 s[0:1], 0, v[0:1]
	v_mov_b32_e32 v10, v0
	v_mov_b32_e32 v12, v2
	v_cndmask_b32_e64 v11, v1, v11, s[0:1]
	v_cndmask_b32_e32 v13, v3, v13, vcc
	v_add_f64 v[10:11], v[10:11], v[12:13]
	s_waitcnt lgkmcnt(0)
	v_xor_b32_e32 v13, 0x80000000, v7
	v_xor_b32_e32 v15, 0x80000000, v9
	v_cmp_gt_f64_e32 vcc, 0, v[8:9]
	v_cmp_gt_f64_e64 s[0:1], 0, v[6:7]
	v_mov_b32_e32 v12, v6
	v_mov_b32_e32 v14, v8
	v_cndmask_b32_e64 v13, v7, v13, s[0:1]
	v_cndmask_b32_e32 v15, v9, v15, vcc
	v_add_f64 v[12:13], v[12:13], v[14:15]
	v_mov_b32_e32 v16, s4
	s_add_i32 s4, s4, 1
	v_cmp_lt_f64_e32 vcc, v[10:11], v[12:13]
	v_add_u32_e32 v5, 16, v5
	s_cmp_lg_u32 s51, s4
	v_cndmask_b32_e32 v1, v1, v7, vcc
	v_cndmask_b32_e32 v0, v0, v6, vcc
	;; [unrolled: 1-line block ×5, first 2 shown]
	s_cbranch_scc1 .LBB120_351
.LBB120_352:
	s_waitcnt lgkmcnt(0)
	v_cmp_eq_f64_e32 vcc, 0, v[0:1]
	v_cmp_eq_f64_e64 s[0:1], 0, v[2:3]
	s_and_b64 s[0:1], vcc, s[0:1]
	s_and_saveexec_b64 s[4:5], s[0:1]
	s_xor_b64 s[0:1], exec, s[4:5]
; %bb.353:
	v_cmp_ne_u32_e32 vcc, 0, v79
	s_nop 1
	v_cndmask_b32_e32 v79, 15, v79, vcc
; %bb.354:
	s_andn2_saveexec_b64 s[0:1], s[0:1]
	s_cbranch_execz .LBB120_360
; %bb.355:
	v_cmp_ngt_f64_e64 s[4:5], |v[0:1]|, |v[2:3]|
	s_and_saveexec_b64 s[12:13], s[4:5]
	s_xor_b64 s[12:13], exec, s[12:13]
	s_cbranch_execz .LBB120_357
; %bb.356:
	v_div_scale_f64 v[6:7], s[4:5], v[2:3], v[2:3], v[0:1]
	v_rcp_f64_e32 v[8:9], v[6:7]
	v_div_scale_f64 v[10:11], vcc, v[0:1], v[2:3], v[0:1]
	v_fma_f64 v[12:13], -v[6:7], v[8:9], 1.0
	v_fmac_f64_e32 v[8:9], v[8:9], v[12:13]
	v_fma_f64 v[12:13], -v[6:7], v[8:9], 1.0
	v_fmac_f64_e32 v[8:9], v[8:9], v[12:13]
	v_mul_f64 v[12:13], v[10:11], v[8:9]
	v_fma_f64 v[6:7], -v[6:7], v[12:13], v[10:11]
	v_div_fmas_f64 v[6:7], v[6:7], v[8:9], v[12:13]
	v_div_fixup_f64 v[6:7], v[6:7], v[2:3], v[0:1]
	v_fmac_f64_e32 v[2:3], v[0:1], v[6:7]
	v_div_scale_f64 v[0:1], s[4:5], v[2:3], v[2:3], 1.0
	v_rcp_f64_e32 v[8:9], v[0:1]
	s_nop 0
	v_fma_f64 v[10:11], -v[0:1], v[8:9], 1.0
	v_fmac_f64_e32 v[8:9], v[8:9], v[10:11]
	v_fma_f64 v[10:11], -v[0:1], v[8:9], 1.0
	v_fmac_f64_e32 v[8:9], v[8:9], v[10:11]
	v_div_scale_f64 v[10:11], vcc, 1.0, v[2:3], 1.0
	v_mul_f64 v[12:13], v[10:11], v[8:9]
	v_fma_f64 v[0:1], -v[0:1], v[12:13], v[10:11]
	s_nop 1
	v_div_fmas_f64 v[0:1], v[0:1], v[8:9], v[12:13]
	v_div_fixup_f64 v[2:3], v[0:1], v[2:3], 1.0
	v_mul_f64 v[0:1], v[6:7], v[2:3]
	v_xor_b32_e32 v3, 0x80000000, v3
.LBB120_357:
	s_andn2_saveexec_b64 s[12:13], s[12:13]
	s_cbranch_execz .LBB120_359
; %bb.358:
	v_div_scale_f64 v[6:7], s[4:5], v[0:1], v[0:1], v[2:3]
	v_rcp_f64_e32 v[8:9], v[6:7]
	v_div_scale_f64 v[10:11], vcc, v[2:3], v[0:1], v[2:3]
	v_fma_f64 v[12:13], -v[6:7], v[8:9], 1.0
	v_fmac_f64_e32 v[8:9], v[8:9], v[12:13]
	v_fma_f64 v[12:13], -v[6:7], v[8:9], 1.0
	v_fmac_f64_e32 v[8:9], v[8:9], v[12:13]
	v_mul_f64 v[12:13], v[10:11], v[8:9]
	v_fma_f64 v[6:7], -v[6:7], v[12:13], v[10:11]
	v_div_fmas_f64 v[6:7], v[6:7], v[8:9], v[12:13]
	v_div_fixup_f64 v[6:7], v[6:7], v[0:1], v[2:3]
	v_fmac_f64_e32 v[0:1], v[2:3], v[6:7]
	v_div_scale_f64 v[2:3], s[4:5], v[0:1], v[0:1], 1.0
	v_rcp_f64_e32 v[8:9], v[2:3]
	s_nop 0
	v_fma_f64 v[10:11], -v[2:3], v[8:9], 1.0
	v_fmac_f64_e32 v[8:9], v[8:9], v[10:11]
	v_fma_f64 v[10:11], -v[2:3], v[8:9], 1.0
	v_fmac_f64_e32 v[8:9], v[8:9], v[10:11]
	v_div_scale_f64 v[10:11], vcc, 1.0, v[0:1], 1.0
	v_mul_f64 v[12:13], v[10:11], v[8:9]
	v_fma_f64 v[2:3], -v[2:3], v[12:13], v[10:11]
	s_nop 1
	v_div_fmas_f64 v[2:3], v[2:3], v[8:9], v[12:13]
	v_div_fixup_f64 v[0:1], v[2:3], v[0:1], 1.0
	v_mul_f64 v[2:3], v[6:7], -v[0:1]
.LBB120_359:
	s_or_b64 exec, exec, s[12:13]
.LBB120_360:
	s_or_b64 exec, exec, s[0:1]
	v_cmp_ne_u32_e32 vcc, v81, v4
	s_and_saveexec_b64 s[0:1], vcc
	s_xor_b64 s[0:1], exec, s[0:1]
	s_cbranch_execz .LBB120_366
; %bb.361:
	v_cmp_eq_u32_e32 vcc, 14, v81
	s_and_saveexec_b64 s[12:13], vcc
	s_cbranch_execz .LBB120_365
; %bb.362:
	v_cmp_ne_u32_e32 vcc, 14, v4
	s_xor_b64 s[4:5], s[18:19], -1
	s_and_b64 s[4:5], s[4:5], vcc
	s_and_saveexec_b64 s[14:15], s[4:5]
	s_cbranch_execz .LBB120_364
; %bb.363:
	v_ashrrev_i32_e32 v5, 31, v4
	v_lshl_add_u64 v[6:7], v[4:5], 2, v[46:47]
	global_load_dword v5, v[6:7], off
	global_load_dword v8, v[46:47], off offset:56
	s_waitcnt vmcnt(1)
	global_store_dword v[46:47], v5, off offset:56
	s_waitcnt vmcnt(1)
	global_store_dword v[6:7], v8, off
.LBB120_364:
	s_or_b64 exec, exec, s[14:15]
	v_mov_b32_e32 v81, v4
	v_mov_b32_e32 v80, v4
.LBB120_365:
	s_or_b64 exec, exec, s[12:13]
.LBB120_366:
	s_andn2_saveexec_b64 s[0:1], s[0:1]
	s_cbranch_execz .LBB120_370
; %bb.367:
	s_mov_b32 s4, 0
	v_add_u32_e32 v4, 0xf0, v78
.LBB120_368:                            ; =>This Inner Loop Header: Depth=1
	s_add_i32 s12, s4, 0xf0
	s_add_i32 s5, s4, 0x100
	scratch_load_dwordx4 v[6:9], off, s12
	scratch_load_dwordx4 v[10:13], off, s5
	v_add_u32_e32 v5, s4, v4
	s_add_i32 s4, s4, 32
	s_cmpk_eq_i32 s4, 0x2e0
	s_waitcnt vmcnt(1)
	ds_write2_b64 v5, v[6:7], v[8:9] offset1:1
	s_waitcnt vmcnt(0)
	ds_write2_b64 v5, v[10:11], v[12:13] offset0:2 offset1:3
	s_cbranch_scc0 .LBB120_368
; %bb.369:
	v_mov_b32_e32 v81, 14
.LBB120_370:
	s_or_b64 exec, exec, s[0:1]
	v_cmp_lt_i32_e32 vcc, 14, v81
	s_waitcnt lgkmcnt(0)
	s_barrier
	s_and_saveexec_b64 s[0:1], vcc
	s_cbranch_execz .LBB120_373
; %bb.371:
	scratch_load_dwordx4 v[8:11], off, off offset:224
	s_mov_b32 s4, 0
	s_waitcnt vmcnt(0)
	v_mul_f64 v[4:5], v[2:3], v[10:11]
	v_mul_f64 v[6:7], v[0:1], v[10:11]
	v_fma_f64 v[4:5], v[0:1], v[8:9], -v[4:5]
	v_fmac_f64_e32 v[6:7], v[2:3], v[8:9]
	v_add_u32_e32 v0, 0xf0, v78
	scratch_store_dwordx4 off, v[4:7], off offset:224
.LBB120_372:                            ; =>This Inner Loop Header: Depth=1
	s_add_i32 s12, s4, 0xf0
	s_add_i32 s5, s4, 0x100
	scratch_load_dwordx4 v[8:11], off, s12
	scratch_load_dwordx4 v[12:15], off, s5
	v_add_u32_e32 v1, s4, v0
	ds_read2_b64 v[16:19], v1 offset1:1
	ds_read2_b64 v[20:23], v1 offset0:2 offset1:3
	s_add_i32 s4, s4, 32
	s_cmpk_lg_i32 s4, 0x2e0
	s_waitcnt lgkmcnt(1)
	v_mul_f64 v[2:3], v[18:19], v[6:7]
	v_mul_f64 v[24:25], v[16:17], v[6:7]
	s_waitcnt lgkmcnt(0)
	v_mul_f64 v[26:27], v[22:23], v[6:7]
	v_mul_f64 v[28:29], v[20:21], v[6:7]
	v_fma_f64 v[2:3], v[16:17], v[4:5], -v[2:3]
	v_fmac_f64_e32 v[24:25], v[18:19], v[4:5]
	v_fma_f64 v[16:17], v[20:21], v[4:5], -v[26:27]
	v_fmac_f64_e32 v[28:29], v[22:23], v[4:5]
	s_waitcnt vmcnt(1)
	v_add_f64 v[8:9], v[8:9], -v[2:3]
	v_add_f64 v[10:11], v[10:11], -v[24:25]
	s_waitcnt vmcnt(0)
	v_add_f64 v[12:13], v[12:13], -v[16:17]
	v_add_f64 v[14:15], v[14:15], -v[28:29]
	scratch_store_dwordx4 off, v[8:11], s12
	scratch_store_dwordx4 off, v[12:15], s5
	s_cbranch_scc1 .LBB120_372
.LBB120_373:
	s_or_b64 exec, exec, s[0:1]
	s_barrier
	scratch_load_dwordx4 v[0:3], off, s73
	v_lshl_add_u32 v4, v81, 4, v78
	s_cmp_lt_i32 s51, 17
	s_waitcnt vmcnt(0)
	ds_write2_b64 v4, v[0:1], v[2:3] offset1:1
	s_waitcnt lgkmcnt(0)
	s_barrier
	ds_read2_b64 v[0:3], v78 offset0:30 offset1:31
	v_mov_b32_e32 v4, 15
	s_cbranch_scc1 .LBB120_376
; %bb.374:
	v_add_u32_e32 v5, 0x100, v78
	s_mov_b32 s4, 16
	v_mov_b32_e32 v4, 15
.LBB120_375:                            ; =>This Inner Loop Header: Depth=1
	ds_read2_b64 v[6:9], v5 offset1:1
	s_waitcnt lgkmcnt(1)
	v_xor_b32_e32 v11, 0x80000000, v1
	v_xor_b32_e32 v13, 0x80000000, v3
	v_cmp_gt_f64_e32 vcc, 0, v[2:3]
	v_cmp_gt_f64_e64 s[0:1], 0, v[0:1]
	v_mov_b32_e32 v10, v0
	v_mov_b32_e32 v12, v2
	v_cndmask_b32_e64 v11, v1, v11, s[0:1]
	v_cndmask_b32_e32 v13, v3, v13, vcc
	v_add_f64 v[10:11], v[10:11], v[12:13]
	s_waitcnt lgkmcnt(0)
	v_xor_b32_e32 v13, 0x80000000, v7
	v_xor_b32_e32 v15, 0x80000000, v9
	v_cmp_gt_f64_e32 vcc, 0, v[8:9]
	v_cmp_gt_f64_e64 s[0:1], 0, v[6:7]
	v_mov_b32_e32 v12, v6
	v_mov_b32_e32 v14, v8
	v_cndmask_b32_e64 v13, v7, v13, s[0:1]
	v_cndmask_b32_e32 v15, v9, v15, vcc
	v_add_f64 v[12:13], v[12:13], v[14:15]
	v_mov_b32_e32 v16, s4
	s_add_i32 s4, s4, 1
	v_cmp_lt_f64_e32 vcc, v[10:11], v[12:13]
	v_add_u32_e32 v5, 16, v5
	s_cmp_lg_u32 s51, s4
	v_cndmask_b32_e32 v1, v1, v7, vcc
	v_cndmask_b32_e32 v0, v0, v6, vcc
	v_cndmask_b32_e32 v3, v3, v9, vcc
	v_cndmask_b32_e32 v2, v2, v8, vcc
	v_cndmask_b32_e32 v4, v4, v16, vcc
	s_cbranch_scc1 .LBB120_375
.LBB120_376:
	s_waitcnt lgkmcnt(0)
	v_cmp_eq_f64_e32 vcc, 0, v[0:1]
	v_cmp_eq_f64_e64 s[0:1], 0, v[2:3]
	s_and_b64 s[0:1], vcc, s[0:1]
	s_and_saveexec_b64 s[4:5], s[0:1]
	s_xor_b64 s[0:1], exec, s[4:5]
; %bb.377:
	v_cmp_ne_u32_e32 vcc, 0, v79
	s_nop 1
	v_cndmask_b32_e32 v79, 16, v79, vcc
; %bb.378:
	s_andn2_saveexec_b64 s[0:1], s[0:1]
	s_cbranch_execz .LBB120_384
; %bb.379:
	v_cmp_ngt_f64_e64 s[4:5], |v[0:1]|, |v[2:3]|
	s_and_saveexec_b64 s[12:13], s[4:5]
	s_xor_b64 s[12:13], exec, s[12:13]
	s_cbranch_execz .LBB120_381
; %bb.380:
	v_div_scale_f64 v[6:7], s[4:5], v[2:3], v[2:3], v[0:1]
	v_rcp_f64_e32 v[8:9], v[6:7]
	v_div_scale_f64 v[10:11], vcc, v[0:1], v[2:3], v[0:1]
	v_fma_f64 v[12:13], -v[6:7], v[8:9], 1.0
	v_fmac_f64_e32 v[8:9], v[8:9], v[12:13]
	v_fma_f64 v[12:13], -v[6:7], v[8:9], 1.0
	v_fmac_f64_e32 v[8:9], v[8:9], v[12:13]
	v_mul_f64 v[12:13], v[10:11], v[8:9]
	v_fma_f64 v[6:7], -v[6:7], v[12:13], v[10:11]
	v_div_fmas_f64 v[6:7], v[6:7], v[8:9], v[12:13]
	v_div_fixup_f64 v[6:7], v[6:7], v[2:3], v[0:1]
	v_fmac_f64_e32 v[2:3], v[0:1], v[6:7]
	v_div_scale_f64 v[0:1], s[4:5], v[2:3], v[2:3], 1.0
	v_rcp_f64_e32 v[8:9], v[0:1]
	s_nop 0
	v_fma_f64 v[10:11], -v[0:1], v[8:9], 1.0
	v_fmac_f64_e32 v[8:9], v[8:9], v[10:11]
	v_fma_f64 v[10:11], -v[0:1], v[8:9], 1.0
	v_fmac_f64_e32 v[8:9], v[8:9], v[10:11]
	v_div_scale_f64 v[10:11], vcc, 1.0, v[2:3], 1.0
	v_mul_f64 v[12:13], v[10:11], v[8:9]
	v_fma_f64 v[0:1], -v[0:1], v[12:13], v[10:11]
	s_nop 1
	v_div_fmas_f64 v[0:1], v[0:1], v[8:9], v[12:13]
	v_div_fixup_f64 v[2:3], v[0:1], v[2:3], 1.0
	v_mul_f64 v[0:1], v[6:7], v[2:3]
	v_xor_b32_e32 v3, 0x80000000, v3
.LBB120_381:
	s_andn2_saveexec_b64 s[12:13], s[12:13]
	s_cbranch_execz .LBB120_383
; %bb.382:
	v_div_scale_f64 v[6:7], s[4:5], v[0:1], v[0:1], v[2:3]
	v_rcp_f64_e32 v[8:9], v[6:7]
	v_div_scale_f64 v[10:11], vcc, v[2:3], v[0:1], v[2:3]
	v_fma_f64 v[12:13], -v[6:7], v[8:9], 1.0
	v_fmac_f64_e32 v[8:9], v[8:9], v[12:13]
	v_fma_f64 v[12:13], -v[6:7], v[8:9], 1.0
	v_fmac_f64_e32 v[8:9], v[8:9], v[12:13]
	v_mul_f64 v[12:13], v[10:11], v[8:9]
	v_fma_f64 v[6:7], -v[6:7], v[12:13], v[10:11]
	v_div_fmas_f64 v[6:7], v[6:7], v[8:9], v[12:13]
	v_div_fixup_f64 v[6:7], v[6:7], v[0:1], v[2:3]
	v_fmac_f64_e32 v[0:1], v[2:3], v[6:7]
	v_div_scale_f64 v[2:3], s[4:5], v[0:1], v[0:1], 1.0
	v_rcp_f64_e32 v[8:9], v[2:3]
	s_nop 0
	v_fma_f64 v[10:11], -v[2:3], v[8:9], 1.0
	v_fmac_f64_e32 v[8:9], v[8:9], v[10:11]
	v_fma_f64 v[10:11], -v[2:3], v[8:9], 1.0
	v_fmac_f64_e32 v[8:9], v[8:9], v[10:11]
	v_div_scale_f64 v[10:11], vcc, 1.0, v[0:1], 1.0
	v_mul_f64 v[12:13], v[10:11], v[8:9]
	v_fma_f64 v[2:3], -v[2:3], v[12:13], v[10:11]
	s_nop 1
	v_div_fmas_f64 v[2:3], v[2:3], v[8:9], v[12:13]
	v_div_fixup_f64 v[0:1], v[2:3], v[0:1], 1.0
	v_mul_f64 v[2:3], v[6:7], -v[0:1]
.LBB120_383:
	s_or_b64 exec, exec, s[12:13]
.LBB120_384:
	s_or_b64 exec, exec, s[0:1]
	v_cmp_ne_u32_e32 vcc, v81, v4
	s_and_saveexec_b64 s[0:1], vcc
	s_xor_b64 s[0:1], exec, s[0:1]
	s_cbranch_execz .LBB120_390
; %bb.385:
	v_cmp_eq_u32_e32 vcc, 15, v81
	s_and_saveexec_b64 s[12:13], vcc
	s_cbranch_execz .LBB120_389
; %bb.386:
	v_cmp_ne_u32_e32 vcc, 15, v4
	s_xor_b64 s[4:5], s[18:19], -1
	s_and_b64 s[4:5], s[4:5], vcc
	s_and_saveexec_b64 s[14:15], s[4:5]
	s_cbranch_execz .LBB120_388
; %bb.387:
	v_ashrrev_i32_e32 v5, 31, v4
	v_lshl_add_u64 v[6:7], v[4:5], 2, v[46:47]
	global_load_dword v5, v[6:7], off
	global_load_dword v8, v[46:47], off offset:60
	s_waitcnt vmcnt(1)
	global_store_dword v[46:47], v5, off offset:60
	s_waitcnt vmcnt(1)
	global_store_dword v[6:7], v8, off
.LBB120_388:
	s_or_b64 exec, exec, s[14:15]
	v_mov_b32_e32 v81, v4
	v_mov_b32_e32 v80, v4
.LBB120_389:
	s_or_b64 exec, exec, s[12:13]
.LBB120_390:
	s_andn2_saveexec_b64 s[0:1], s[0:1]
	s_cbranch_execz .LBB120_394
; %bb.391:
	s_mov_b32 s4, 0
	v_add_u32_e32 v4, 0x100, v78
.LBB120_392:                            ; =>This Inner Loop Header: Depth=1
	s_add_i32 s12, s4, 0x100
	s_add_i32 s13, s4, 0x110
	;; [unrolled: 1-line block ×15, first 2 shown]
	scratch_load_dwordx4 v[6:9], off, s12
	scratch_load_dwordx4 v[10:13], off, s13
	;; [unrolled: 1-line block ×15, first 2 shown]
	v_add_u32_e32 v5, s4, v4
	s_addk_i32 s4, 0xf0
	s_cmpk_eq_i32 s4, 0x2d0
	s_waitcnt vmcnt(14)
	ds_write2_b64 v5, v[6:7], v[8:9] offset1:1
	s_waitcnt vmcnt(13)
	ds_write2_b64 v5, v[10:11], v[12:13] offset0:2 offset1:3
	s_waitcnt vmcnt(12)
	ds_write2_b64 v5, v[14:15], v[16:17] offset0:4 offset1:5
	;; [unrolled: 2-line block ×14, first 2 shown]
	s_cbranch_scc0 .LBB120_392
; %bb.393:
	v_mov_b32_e32 v81, 15
.LBB120_394:
	s_or_b64 exec, exec, s[0:1]
	v_cmp_lt_i32_e32 vcc, 15, v81
	s_waitcnt lgkmcnt(0)
	s_barrier
	s_and_saveexec_b64 s[0:1], vcc
	s_cbranch_execz .LBB120_397
; %bb.395:
	scratch_load_dwordx4 v[8:11], off, off offset:240
	s_mov_b32 s12, 0
	s_waitcnt vmcnt(0)
	v_mul_f64 v[4:5], v[2:3], v[10:11]
	v_mul_f64 v[6:7], v[0:1], v[10:11]
	v_fma_f64 v[4:5], v[0:1], v[8:9], -v[4:5]
	v_fmac_f64_e32 v[6:7], v[2:3], v[8:9]
	v_add_u32_e32 v0, 0x100, v78
	scratch_store_dwordx4 off, v[4:7], off offset:240
.LBB120_396:                            ; =>This Inner Loop Header: Depth=1
	v_add_u32_e32 v1, s12, v0
	ds_read2_b64 v[8:11], v1 offset1:1
	ds_read2_b64 v[12:15], v1 offset0:2 offset1:3
	ds_read2_b64 v[16:19], v1 offset0:4 offset1:5
	;; [unrolled: 1-line block ×5, first 2 shown]
	s_add_i32 s13, s12, 0x100
	s_waitcnt lgkmcnt(5)
	v_mul_f64 v[2:3], v[10:11], v[6:7]
	v_mul_f64 v[70:71], v[8:9], v[6:7]
	s_waitcnt lgkmcnt(4)
	v_mul_f64 v[72:73], v[14:15], v[6:7]
	v_mul_f64 v[74:75], v[12:13], v[6:7]
	;; [unrolled: 3-line block ×6, first 2 shown]
	s_add_i32 s14, s12, 0x110
	s_add_i32 s15, s12, 0x120
	;; [unrolled: 1-line block ×8, first 2 shown]
	scratch_load_dwordx4 v[32:35], off, s13
	scratch_load_dwordx4 v[36:39], off, s14
	scratch_load_dwordx4 v[40:43], off, s15
	scratch_load_dwordx4 v[50:53], off, s5
	scratch_load_dwordx4 v[54:57], off, s16
	scratch_load_dwordx4 v[58:61], off, s66
	scratch_load_dwordx4 v[62:65], off, s67
	scratch_load_dwordx4 v[66:69], off, s68
	v_fma_f64 v[2:3], v[8:9], v[4:5], -v[2:3]
	v_fmac_f64_e32 v[70:71], v[10:11], v[4:5]
	v_fma_f64 v[72:73], v[12:13], v[4:5], -v[72:73]
	v_fmac_f64_e32 v[74:75], v[14:15], v[4:5]
	;; [unrolled: 2-line block ×6, first 2 shown]
	scratch_load_dwordx4 v[4:7], off, off offset:240
	scratch_load_dwordx4 v[8:11], off, s4
	ds_read2_b64 v[12:15], v1 offset0:12 offset1:13
	ds_read2_b64 v[16:19], v1 offset0:14 offset1:15
	;; [unrolled: 1-line block ×3, first 2 shown]
	s_addk_i32 s12, 0x90
	s_cmpk_lg_i32 s12, 0x2d0
	s_waitcnt vmcnt(9)
	v_add_f64 v[24:25], v[32:33], -v[2:3]
	v_add_f64 v[26:27], v[34:35], -v[70:71]
	s_waitcnt vmcnt(8)
	v_add_f64 v[28:29], v[36:37], -v[72:73]
	v_add_f64 v[30:31], v[38:39], -v[74:75]
	;; [unrolled: 3-line block ×6, first 2 shown]
	scratch_store_dwordx4 off, v[24:27], s13
	scratch_store_dwordx4 off, v[28:31], s14
	;; [unrolled: 1-line block ×6, first 2 shown]
	s_waitcnt vmcnt(7) lgkmcnt(2)
	v_mul_f64 v[2:3], v[14:15], v[6:7]
	v_mul_f64 v[24:25], v[12:13], v[6:7]
	s_waitcnt lgkmcnt(1)
	v_mul_f64 v[26:27], v[18:19], v[6:7]
	v_mul_f64 v[28:29], v[16:17], v[6:7]
	s_waitcnt lgkmcnt(0)
	v_mul_f64 v[30:31], v[22:23], v[6:7]
	v_mul_f64 v[32:33], v[20:21], v[6:7]
	v_fma_f64 v[2:3], v[12:13], v[4:5], -v[2:3]
	v_fmac_f64_e32 v[24:25], v[14:15], v[4:5]
	v_fma_f64 v[16:17], v[16:17], v[4:5], -v[26:27]
	v_fmac_f64_e32 v[28:29], v[18:19], v[4:5]
	;; [unrolled: 2-line block ×3, first 2 shown]
	v_add_f64 v[12:13], v[62:63], -v[2:3]
	v_add_f64 v[14:15], v[64:65], -v[24:25]
	;; [unrolled: 1-line block ×4, first 2 shown]
	s_waitcnt vmcnt(6)
	v_add_f64 v[8:9], v[8:9], -v[20:21]
	v_add_f64 v[10:11], v[10:11], -v[32:33]
	scratch_store_dwordx4 off, v[12:15], s67
	scratch_store_dwordx4 off, v[16:19], s68
	;; [unrolled: 1-line block ×3, first 2 shown]
	s_cbranch_scc1 .LBB120_396
.LBB120_397:
	s_or_b64 exec, exec, s[0:1]
	s_barrier
	scratch_load_dwordx4 v[0:3], off, s87
	v_lshl_add_u32 v4, v81, 4, v78
	s_cmp_lt_i32 s51, 18
	s_waitcnt vmcnt(0)
	ds_write2_b64 v4, v[0:1], v[2:3] offset1:1
	s_waitcnt lgkmcnt(0)
	s_barrier
	ds_read2_b64 v[0:3], v78 offset0:32 offset1:33
	v_mov_b32_e32 v4, 16
	s_cbranch_scc1 .LBB120_400
; %bb.398:
	v_add_u32_e32 v5, 0x110, v78
	s_mov_b32 s4, 17
	v_mov_b32_e32 v4, 16
.LBB120_399:                            ; =>This Inner Loop Header: Depth=1
	ds_read2_b64 v[6:9], v5 offset1:1
	s_waitcnt lgkmcnt(1)
	v_xor_b32_e32 v11, 0x80000000, v1
	v_xor_b32_e32 v13, 0x80000000, v3
	v_cmp_gt_f64_e32 vcc, 0, v[2:3]
	v_cmp_gt_f64_e64 s[0:1], 0, v[0:1]
	v_mov_b32_e32 v10, v0
	v_mov_b32_e32 v12, v2
	v_cndmask_b32_e64 v11, v1, v11, s[0:1]
	v_cndmask_b32_e32 v13, v3, v13, vcc
	v_add_f64 v[10:11], v[10:11], v[12:13]
	s_waitcnt lgkmcnt(0)
	v_xor_b32_e32 v13, 0x80000000, v7
	v_xor_b32_e32 v15, 0x80000000, v9
	v_cmp_gt_f64_e32 vcc, 0, v[8:9]
	v_cmp_gt_f64_e64 s[0:1], 0, v[6:7]
	v_mov_b32_e32 v12, v6
	v_mov_b32_e32 v14, v8
	v_cndmask_b32_e64 v13, v7, v13, s[0:1]
	v_cndmask_b32_e32 v15, v9, v15, vcc
	v_add_f64 v[12:13], v[12:13], v[14:15]
	v_mov_b32_e32 v16, s4
	s_add_i32 s4, s4, 1
	v_cmp_lt_f64_e32 vcc, v[10:11], v[12:13]
	v_add_u32_e32 v5, 16, v5
	s_cmp_lg_u32 s51, s4
	v_cndmask_b32_e32 v1, v1, v7, vcc
	v_cndmask_b32_e32 v0, v0, v6, vcc
	;; [unrolled: 1-line block ×5, first 2 shown]
	s_cbranch_scc1 .LBB120_399
.LBB120_400:
	s_waitcnt lgkmcnt(0)
	v_cmp_eq_f64_e32 vcc, 0, v[0:1]
	v_cmp_eq_f64_e64 s[0:1], 0, v[2:3]
	s_and_b64 s[0:1], vcc, s[0:1]
	s_and_saveexec_b64 s[4:5], s[0:1]
	s_xor_b64 s[0:1], exec, s[4:5]
; %bb.401:
	v_cmp_ne_u32_e32 vcc, 0, v79
	s_nop 1
	v_cndmask_b32_e32 v79, 17, v79, vcc
; %bb.402:
	s_andn2_saveexec_b64 s[0:1], s[0:1]
	s_cbranch_execz .LBB120_408
; %bb.403:
	v_cmp_ngt_f64_e64 s[4:5], |v[0:1]|, |v[2:3]|
	s_and_saveexec_b64 s[12:13], s[4:5]
	s_xor_b64 s[12:13], exec, s[12:13]
	s_cbranch_execz .LBB120_405
; %bb.404:
	v_div_scale_f64 v[6:7], s[4:5], v[2:3], v[2:3], v[0:1]
	v_rcp_f64_e32 v[8:9], v[6:7]
	v_div_scale_f64 v[10:11], vcc, v[0:1], v[2:3], v[0:1]
	v_fma_f64 v[12:13], -v[6:7], v[8:9], 1.0
	v_fmac_f64_e32 v[8:9], v[8:9], v[12:13]
	v_fma_f64 v[12:13], -v[6:7], v[8:9], 1.0
	v_fmac_f64_e32 v[8:9], v[8:9], v[12:13]
	v_mul_f64 v[12:13], v[10:11], v[8:9]
	v_fma_f64 v[6:7], -v[6:7], v[12:13], v[10:11]
	v_div_fmas_f64 v[6:7], v[6:7], v[8:9], v[12:13]
	v_div_fixup_f64 v[6:7], v[6:7], v[2:3], v[0:1]
	v_fmac_f64_e32 v[2:3], v[0:1], v[6:7]
	v_div_scale_f64 v[0:1], s[4:5], v[2:3], v[2:3], 1.0
	v_rcp_f64_e32 v[8:9], v[0:1]
	s_nop 0
	v_fma_f64 v[10:11], -v[0:1], v[8:9], 1.0
	v_fmac_f64_e32 v[8:9], v[8:9], v[10:11]
	v_fma_f64 v[10:11], -v[0:1], v[8:9], 1.0
	v_fmac_f64_e32 v[8:9], v[8:9], v[10:11]
	v_div_scale_f64 v[10:11], vcc, 1.0, v[2:3], 1.0
	v_mul_f64 v[12:13], v[10:11], v[8:9]
	v_fma_f64 v[0:1], -v[0:1], v[12:13], v[10:11]
	s_nop 1
	v_div_fmas_f64 v[0:1], v[0:1], v[8:9], v[12:13]
	v_div_fixup_f64 v[2:3], v[0:1], v[2:3], 1.0
	v_mul_f64 v[0:1], v[6:7], v[2:3]
	v_xor_b32_e32 v3, 0x80000000, v3
.LBB120_405:
	s_andn2_saveexec_b64 s[12:13], s[12:13]
	s_cbranch_execz .LBB120_407
; %bb.406:
	v_div_scale_f64 v[6:7], s[4:5], v[0:1], v[0:1], v[2:3]
	v_rcp_f64_e32 v[8:9], v[6:7]
	v_div_scale_f64 v[10:11], vcc, v[2:3], v[0:1], v[2:3]
	v_fma_f64 v[12:13], -v[6:7], v[8:9], 1.0
	v_fmac_f64_e32 v[8:9], v[8:9], v[12:13]
	v_fma_f64 v[12:13], -v[6:7], v[8:9], 1.0
	v_fmac_f64_e32 v[8:9], v[8:9], v[12:13]
	v_mul_f64 v[12:13], v[10:11], v[8:9]
	v_fma_f64 v[6:7], -v[6:7], v[12:13], v[10:11]
	v_div_fmas_f64 v[6:7], v[6:7], v[8:9], v[12:13]
	v_div_fixup_f64 v[6:7], v[6:7], v[0:1], v[2:3]
	v_fmac_f64_e32 v[0:1], v[2:3], v[6:7]
	v_div_scale_f64 v[2:3], s[4:5], v[0:1], v[0:1], 1.0
	v_rcp_f64_e32 v[8:9], v[2:3]
	s_nop 0
	v_fma_f64 v[10:11], -v[2:3], v[8:9], 1.0
	v_fmac_f64_e32 v[8:9], v[8:9], v[10:11]
	v_fma_f64 v[10:11], -v[2:3], v[8:9], 1.0
	v_fmac_f64_e32 v[8:9], v[8:9], v[10:11]
	v_div_scale_f64 v[10:11], vcc, 1.0, v[0:1], 1.0
	v_mul_f64 v[12:13], v[10:11], v[8:9]
	v_fma_f64 v[2:3], -v[2:3], v[12:13], v[10:11]
	s_nop 1
	v_div_fmas_f64 v[2:3], v[2:3], v[8:9], v[12:13]
	v_div_fixup_f64 v[0:1], v[2:3], v[0:1], 1.0
	v_mul_f64 v[2:3], v[6:7], -v[0:1]
.LBB120_407:
	s_or_b64 exec, exec, s[12:13]
.LBB120_408:
	s_or_b64 exec, exec, s[0:1]
	v_cmp_ne_u32_e32 vcc, v81, v4
	s_and_saveexec_b64 s[0:1], vcc
	s_xor_b64 s[0:1], exec, s[0:1]
	s_cbranch_execz .LBB120_414
; %bb.409:
	v_cmp_eq_u32_e32 vcc, 16, v81
	s_and_saveexec_b64 s[12:13], vcc
	s_cbranch_execz .LBB120_413
; %bb.410:
	v_cmp_ne_u32_e32 vcc, 16, v4
	s_xor_b64 s[4:5], s[18:19], -1
	s_and_b64 s[4:5], s[4:5], vcc
	s_and_saveexec_b64 s[14:15], s[4:5]
	s_cbranch_execz .LBB120_412
; %bb.411:
	v_ashrrev_i32_e32 v5, 31, v4
	v_lshl_add_u64 v[6:7], v[4:5], 2, v[46:47]
	global_load_dword v5, v[6:7], off
	global_load_dword v8, v[46:47], off offset:64
	s_waitcnt vmcnt(1)
	global_store_dword v[46:47], v5, off offset:64
	s_waitcnt vmcnt(1)
	global_store_dword v[6:7], v8, off
.LBB120_412:
	s_or_b64 exec, exec, s[14:15]
	v_mov_b32_e32 v81, v4
	v_mov_b32_e32 v80, v4
.LBB120_413:
	s_or_b64 exec, exec, s[12:13]
.LBB120_414:
	s_andn2_saveexec_b64 s[0:1], s[0:1]
	s_cbranch_execz .LBB120_418
; %bb.415:
	s_mov_b32 s4, 0
	v_add_u32_e32 v4, 0x110, v78
.LBB120_416:                            ; =>This Inner Loop Header: Depth=1
	s_add_i32 s12, s4, 0x110
	s_add_i32 s13, s4, 0x120
	;; [unrolled: 1-line block ×11, first 2 shown]
	scratch_load_dwordx4 v[6:9], off, s12
	scratch_load_dwordx4 v[10:13], off, s13
	;; [unrolled: 1-line block ×11, first 2 shown]
	v_add_u32_e32 v5, s4, v4
	s_addk_i32 s4, 0xb0
	s_cmpk_eq_i32 s4, 0x2c0
	s_waitcnt vmcnt(10)
	ds_write2_b64 v5, v[6:7], v[8:9] offset1:1
	s_waitcnt vmcnt(9)
	ds_write2_b64 v5, v[10:11], v[12:13] offset0:2 offset1:3
	s_waitcnt vmcnt(8)
	ds_write2_b64 v5, v[14:15], v[16:17] offset0:4 offset1:5
	s_waitcnt vmcnt(7)
	ds_write2_b64 v5, v[18:19], v[20:21] offset0:6 offset1:7
	s_waitcnt vmcnt(6)
	ds_write2_b64 v5, v[22:23], v[24:25] offset0:8 offset1:9
	s_waitcnt vmcnt(5)
	ds_write2_b64 v5, v[26:27], v[28:29] offset0:10 offset1:11
	s_waitcnt vmcnt(4)
	ds_write2_b64 v5, v[30:31], v[32:33] offset0:12 offset1:13
	s_waitcnt vmcnt(3)
	ds_write2_b64 v5, v[34:35], v[36:37] offset0:14 offset1:15
	s_waitcnt vmcnt(2)
	ds_write2_b64 v5, v[38:39], v[40:41] offset0:16 offset1:17
	s_waitcnt vmcnt(1)
	ds_write2_b64 v5, v[50:51], v[52:53] offset0:18 offset1:19
	s_waitcnt vmcnt(0)
	ds_write2_b64 v5, v[54:55], v[56:57] offset0:20 offset1:21
	s_cbranch_scc0 .LBB120_416
; %bb.417:
	v_mov_b32_e32 v81, 16
.LBB120_418:
	s_or_b64 exec, exec, s[0:1]
	v_cmp_lt_i32_e32 vcc, 16, v81
	s_waitcnt lgkmcnt(0)
	s_barrier
	s_and_saveexec_b64 s[0:1], vcc
	s_cbranch_execz .LBB120_421
; %bb.419:
	scratch_load_dwordx4 v[8:11], off, off offset:256
	s_mov_b32 s4, 0
	s_waitcnt vmcnt(0)
	v_mul_f64 v[4:5], v[2:3], v[10:11]
	v_mul_f64 v[6:7], v[0:1], v[10:11]
	v_fma_f64 v[4:5], v[0:1], v[8:9], -v[4:5]
	v_fmac_f64_e32 v[6:7], v[2:3], v[8:9]
	v_add_u32_e32 v0, 0x110, v78
	scratch_store_dwordx4 off, v[4:7], off offset:256
.LBB120_420:                            ; =>This Inner Loop Header: Depth=1
	s_add_i32 s12, s4, 0x110
	s_add_i32 s13, s4, 0x120
	;; [unrolled: 1-line block ×4, first 2 shown]
	scratch_load_dwordx4 v[8:11], off, s12
	scratch_load_dwordx4 v[12:15], off, s13
	scratch_load_dwordx4 v[16:19], off, s14
	scratch_load_dwordx4 v[20:23], off, s5
	v_add_u32_e32 v1, s4, v0
	ds_read2_b64 v[24:27], v1 offset1:1
	ds_read2_b64 v[28:31], v1 offset0:2 offset1:3
	ds_read2_b64 v[32:35], v1 offset0:4 offset1:5
	;; [unrolled: 1-line block ×3, first 2 shown]
	s_add_i32 s4, s4, 64
	s_waitcnt lgkmcnt(3)
	v_mul_f64 v[2:3], v[26:27], v[6:7]
	v_mul_f64 v[40:41], v[24:25], v[6:7]
	s_waitcnt lgkmcnt(2)
	v_mul_f64 v[42:43], v[30:31], v[6:7]
	v_mul_f64 v[50:51], v[28:29], v[6:7]
	;; [unrolled: 3-line block ×4, first 2 shown]
	v_fma_f64 v[2:3], v[24:25], v[4:5], -v[2:3]
	v_fmac_f64_e32 v[40:41], v[26:27], v[4:5]
	s_cmpk_lg_i32 s4, 0x2c0
	v_fma_f64 v[24:25], v[28:29], v[4:5], -v[42:43]
	v_fmac_f64_e32 v[50:51], v[30:31], v[4:5]
	v_fma_f64 v[26:27], v[32:33], v[4:5], -v[52:53]
	v_fmac_f64_e32 v[54:55], v[34:35], v[4:5]
	;; [unrolled: 2-line block ×3, first 2 shown]
	s_waitcnt vmcnt(3)
	v_add_f64 v[8:9], v[8:9], -v[2:3]
	v_add_f64 v[10:11], v[10:11], -v[40:41]
	s_waitcnt vmcnt(2)
	v_add_f64 v[12:13], v[12:13], -v[24:25]
	v_add_f64 v[14:15], v[14:15], -v[50:51]
	;; [unrolled: 3-line block ×4, first 2 shown]
	scratch_store_dwordx4 off, v[8:11], s12
	scratch_store_dwordx4 off, v[12:15], s13
	;; [unrolled: 1-line block ×4, first 2 shown]
	s_cbranch_scc1 .LBB120_420
.LBB120_421:
	s_or_b64 exec, exec, s[0:1]
	s_barrier
	scratch_load_dwordx4 v[0:3], off, s54
	v_lshl_add_u32 v4, v81, 4, v78
	s_cmp_lt_i32 s51, 19
	s_waitcnt vmcnt(0)
	ds_write2_b64 v4, v[0:1], v[2:3] offset1:1
	s_waitcnt lgkmcnt(0)
	s_barrier
	ds_read2_b64 v[0:3], v78 offset0:34 offset1:35
	v_mov_b32_e32 v4, 17
	s_cbranch_scc1 .LBB120_424
; %bb.422:
	v_add_u32_e32 v5, 0x120, v78
	s_mov_b32 s4, 18
	v_mov_b32_e32 v4, 17
.LBB120_423:                            ; =>This Inner Loop Header: Depth=1
	ds_read2_b64 v[6:9], v5 offset1:1
	s_waitcnt lgkmcnt(1)
	v_xor_b32_e32 v11, 0x80000000, v1
	v_xor_b32_e32 v13, 0x80000000, v3
	v_cmp_gt_f64_e32 vcc, 0, v[2:3]
	v_cmp_gt_f64_e64 s[0:1], 0, v[0:1]
	v_mov_b32_e32 v10, v0
	v_mov_b32_e32 v12, v2
	v_cndmask_b32_e64 v11, v1, v11, s[0:1]
	v_cndmask_b32_e32 v13, v3, v13, vcc
	v_add_f64 v[10:11], v[10:11], v[12:13]
	s_waitcnt lgkmcnt(0)
	v_xor_b32_e32 v13, 0x80000000, v7
	v_xor_b32_e32 v15, 0x80000000, v9
	v_cmp_gt_f64_e32 vcc, 0, v[8:9]
	v_cmp_gt_f64_e64 s[0:1], 0, v[6:7]
	v_mov_b32_e32 v12, v6
	v_mov_b32_e32 v14, v8
	v_cndmask_b32_e64 v13, v7, v13, s[0:1]
	v_cndmask_b32_e32 v15, v9, v15, vcc
	v_add_f64 v[12:13], v[12:13], v[14:15]
	v_mov_b32_e32 v16, s4
	s_add_i32 s4, s4, 1
	v_cmp_lt_f64_e32 vcc, v[10:11], v[12:13]
	v_add_u32_e32 v5, 16, v5
	s_cmp_lg_u32 s51, s4
	v_cndmask_b32_e32 v1, v1, v7, vcc
	v_cndmask_b32_e32 v0, v0, v6, vcc
	;; [unrolled: 1-line block ×5, first 2 shown]
	s_cbranch_scc1 .LBB120_423
.LBB120_424:
	s_waitcnt lgkmcnt(0)
	v_cmp_eq_f64_e32 vcc, 0, v[0:1]
	v_cmp_eq_f64_e64 s[0:1], 0, v[2:3]
	s_and_b64 s[0:1], vcc, s[0:1]
	s_and_saveexec_b64 s[4:5], s[0:1]
	s_xor_b64 s[0:1], exec, s[4:5]
; %bb.425:
	v_cmp_ne_u32_e32 vcc, 0, v79
	s_nop 1
	v_cndmask_b32_e32 v79, 18, v79, vcc
; %bb.426:
	s_andn2_saveexec_b64 s[0:1], s[0:1]
	s_cbranch_execz .LBB120_432
; %bb.427:
	v_cmp_ngt_f64_e64 s[4:5], |v[0:1]|, |v[2:3]|
	s_and_saveexec_b64 s[12:13], s[4:5]
	s_xor_b64 s[12:13], exec, s[12:13]
	s_cbranch_execz .LBB120_429
; %bb.428:
	v_div_scale_f64 v[6:7], s[4:5], v[2:3], v[2:3], v[0:1]
	v_rcp_f64_e32 v[8:9], v[6:7]
	v_div_scale_f64 v[10:11], vcc, v[0:1], v[2:3], v[0:1]
	v_fma_f64 v[12:13], -v[6:7], v[8:9], 1.0
	v_fmac_f64_e32 v[8:9], v[8:9], v[12:13]
	v_fma_f64 v[12:13], -v[6:7], v[8:9], 1.0
	v_fmac_f64_e32 v[8:9], v[8:9], v[12:13]
	v_mul_f64 v[12:13], v[10:11], v[8:9]
	v_fma_f64 v[6:7], -v[6:7], v[12:13], v[10:11]
	v_div_fmas_f64 v[6:7], v[6:7], v[8:9], v[12:13]
	v_div_fixup_f64 v[6:7], v[6:7], v[2:3], v[0:1]
	v_fmac_f64_e32 v[2:3], v[0:1], v[6:7]
	v_div_scale_f64 v[0:1], s[4:5], v[2:3], v[2:3], 1.0
	v_rcp_f64_e32 v[8:9], v[0:1]
	s_nop 0
	v_fma_f64 v[10:11], -v[0:1], v[8:9], 1.0
	v_fmac_f64_e32 v[8:9], v[8:9], v[10:11]
	v_fma_f64 v[10:11], -v[0:1], v[8:9], 1.0
	v_fmac_f64_e32 v[8:9], v[8:9], v[10:11]
	v_div_scale_f64 v[10:11], vcc, 1.0, v[2:3], 1.0
	v_mul_f64 v[12:13], v[10:11], v[8:9]
	v_fma_f64 v[0:1], -v[0:1], v[12:13], v[10:11]
	s_nop 1
	v_div_fmas_f64 v[0:1], v[0:1], v[8:9], v[12:13]
	v_div_fixup_f64 v[2:3], v[0:1], v[2:3], 1.0
	v_mul_f64 v[0:1], v[6:7], v[2:3]
	v_xor_b32_e32 v3, 0x80000000, v3
.LBB120_429:
	s_andn2_saveexec_b64 s[12:13], s[12:13]
	s_cbranch_execz .LBB120_431
; %bb.430:
	v_div_scale_f64 v[6:7], s[4:5], v[0:1], v[0:1], v[2:3]
	v_rcp_f64_e32 v[8:9], v[6:7]
	v_div_scale_f64 v[10:11], vcc, v[2:3], v[0:1], v[2:3]
	v_fma_f64 v[12:13], -v[6:7], v[8:9], 1.0
	v_fmac_f64_e32 v[8:9], v[8:9], v[12:13]
	v_fma_f64 v[12:13], -v[6:7], v[8:9], 1.0
	v_fmac_f64_e32 v[8:9], v[8:9], v[12:13]
	v_mul_f64 v[12:13], v[10:11], v[8:9]
	v_fma_f64 v[6:7], -v[6:7], v[12:13], v[10:11]
	v_div_fmas_f64 v[6:7], v[6:7], v[8:9], v[12:13]
	v_div_fixup_f64 v[6:7], v[6:7], v[0:1], v[2:3]
	v_fmac_f64_e32 v[0:1], v[2:3], v[6:7]
	v_div_scale_f64 v[2:3], s[4:5], v[0:1], v[0:1], 1.0
	v_rcp_f64_e32 v[8:9], v[2:3]
	s_nop 0
	v_fma_f64 v[10:11], -v[2:3], v[8:9], 1.0
	v_fmac_f64_e32 v[8:9], v[8:9], v[10:11]
	v_fma_f64 v[10:11], -v[2:3], v[8:9], 1.0
	v_fmac_f64_e32 v[8:9], v[8:9], v[10:11]
	v_div_scale_f64 v[10:11], vcc, 1.0, v[0:1], 1.0
	v_mul_f64 v[12:13], v[10:11], v[8:9]
	v_fma_f64 v[2:3], -v[2:3], v[12:13], v[10:11]
	s_nop 1
	v_div_fmas_f64 v[2:3], v[2:3], v[8:9], v[12:13]
	v_div_fixup_f64 v[0:1], v[2:3], v[0:1], 1.0
	v_mul_f64 v[2:3], v[6:7], -v[0:1]
.LBB120_431:
	s_or_b64 exec, exec, s[12:13]
.LBB120_432:
	s_or_b64 exec, exec, s[0:1]
	v_cmp_ne_u32_e32 vcc, v81, v4
	s_and_saveexec_b64 s[0:1], vcc
	s_xor_b64 s[0:1], exec, s[0:1]
	s_cbranch_execz .LBB120_438
; %bb.433:
	v_cmp_eq_u32_e32 vcc, 17, v81
	s_and_saveexec_b64 s[12:13], vcc
	s_cbranch_execz .LBB120_437
; %bb.434:
	v_cmp_ne_u32_e32 vcc, 17, v4
	s_xor_b64 s[4:5], s[18:19], -1
	s_and_b64 s[4:5], s[4:5], vcc
	s_and_saveexec_b64 s[14:15], s[4:5]
	s_cbranch_execz .LBB120_436
; %bb.435:
	v_ashrrev_i32_e32 v5, 31, v4
	v_lshl_add_u64 v[6:7], v[4:5], 2, v[46:47]
	global_load_dword v5, v[6:7], off
	global_load_dword v8, v[46:47], off offset:68
	s_waitcnt vmcnt(1)
	global_store_dword v[46:47], v5, off offset:68
	s_waitcnt vmcnt(1)
	global_store_dword v[6:7], v8, off
.LBB120_436:
	s_or_b64 exec, exec, s[14:15]
	v_mov_b32_e32 v81, v4
	v_mov_b32_e32 v80, v4
.LBB120_437:
	s_or_b64 exec, exec, s[12:13]
.LBB120_438:
	s_andn2_saveexec_b64 s[0:1], s[0:1]
	s_cbranch_execz .LBB120_444
; %bb.439:
	s_mov_b32 s4, 0
	v_add_u32_e32 v4, 0x120, v78
	s_branch .LBB120_441
.LBB120_440:                            ;   in Loop: Header=BB120_441 Depth=1
	s_andn2_b64 vcc, exec, s[12:13]
	s_cbranch_vccz .LBB120_443
.LBB120_441:                            ; =>This Inner Loop Header: Depth=1
	s_add_i32 s12, s4, 0x120
	s_add_i32 s13, s4, 0x130
	scratch_load_dwordx4 v[6:9], off, s12
	scratch_load_dwordx4 v[10:13], off, s13
	s_add_i32 s12, s4, 0x140
	scratch_load_dwordx4 v[14:17], off, s12
	s_mov_b32 s5, s4
	v_add_u32_e32 v5, s4, v4
	s_cmpk_eq_i32 s4, 0x280
	s_mov_b64 s[12:13], -1
	s_waitcnt vmcnt(2)
	ds_write2_b64 v5, v[6:7], v[8:9] offset1:1
	s_waitcnt vmcnt(1)
	ds_write2_b64 v5, v[10:11], v[12:13] offset0:2 offset1:3
	s_waitcnt vmcnt(0)
	ds_write2_b64 v5, v[14:15], v[16:17] offset0:4 offset1:5
	s_cbranch_scc1 .LBB120_440
; %bb.442:                              ;   in Loop: Header=BB120_441 Depth=1
	s_add_i32 s12, s5, 0x150
	s_add_i32 s13, s5, 0x160
	scratch_load_dwordx4 v[6:9], off, s12
	scratch_load_dwordx4 v[10:13], off, s13
	s_add_i32 s12, s5, 0x170
	s_add_i32 s13, s5, 0x180
	scratch_load_dwordx4 v[14:17], off, s12
	scratch_load_dwordx4 v[18:21], off, s13
	s_addk_i32 s5, 0x190
	scratch_load_dwordx4 v[22:25], off, s5
	s_addk_i32 s4, 0x80
	s_mov_b64 s[12:13], 0
	s_waitcnt vmcnt(4)
	ds_write2_b64 v5, v[6:7], v[8:9] offset0:6 offset1:7
	s_waitcnt vmcnt(3)
	ds_write2_b64 v5, v[10:11], v[12:13] offset0:8 offset1:9
	;; [unrolled: 2-line block ×5, first 2 shown]
	s_branch .LBB120_440
.LBB120_443:
	v_mov_b32_e32 v81, 17
.LBB120_444:
	s_or_b64 exec, exec, s[0:1]
	v_cmp_lt_i32_e32 vcc, 17, v81
	s_waitcnt lgkmcnt(0)
	s_barrier
	s_and_saveexec_b64 s[0:1], vcc
	s_cbranch_execz .LBB120_449
; %bb.445:
	scratch_load_dwordx4 v[8:11], off, off offset:272
	s_mov_b32 s14, 0
	s_waitcnt vmcnt(0)
	v_mul_f64 v[4:5], v[2:3], v[10:11]
	v_mul_f64 v[6:7], v[0:1], v[10:11]
	v_fma_f64 v[4:5], v[0:1], v[8:9], -v[4:5]
	v_fmac_f64_e32 v[6:7], v[2:3], v[8:9]
	v_add_u32_e32 v0, 0x120, v78
	scratch_store_dwordx4 off, v[4:7], off offset:272
	s_branch .LBB120_447
.LBB120_446:                            ;   in Loop: Header=BB120_447 Depth=1
	s_andn2_b64 vcc, exec, s[12:13]
	s_cbranch_vccz .LBB120_449
.LBB120_447:                            ; =>This Inner Loop Header: Depth=1
	s_add_i32 s4, s14, 0x120
	scratch_load_dwordx4 v[8:11], off, s4
	s_add_i32 s5, s14, 0x130
	s_add_i32 s12, s14, 0x140
	scratch_load_dwordx4 v[12:15], off, s5
	scratch_load_dwordx4 v[16:19], off, s12
	v_add_u32_e32 v1, s14, v0
	ds_read2_b64 v[20:23], v1 offset1:1
	ds_read2_b64 v[24:27], v1 offset0:2 offset1:3
	ds_read2_b64 v[28:31], v1 offset0:4 offset1:5
	s_mov_b32 s15, s14
	s_cmpk_eq_i32 s14, 0x280
	s_waitcnt lgkmcnt(2)
	v_mul_f64 v[2:3], v[22:23], v[6:7]
	v_mul_f64 v[32:33], v[20:21], v[6:7]
	s_waitcnt lgkmcnt(1)
	v_mul_f64 v[34:35], v[26:27], v[6:7]
	v_mul_f64 v[36:37], v[24:25], v[6:7]
	s_waitcnt lgkmcnt(0)
	v_mul_f64 v[38:39], v[30:31], v[6:7]
	v_mul_f64 v[40:41], v[28:29], v[6:7]
	v_fma_f64 v[2:3], v[20:21], v[4:5], -v[2:3]
	v_fmac_f64_e32 v[32:33], v[22:23], v[4:5]
	v_fma_f64 v[20:21], v[24:25], v[4:5], -v[34:35]
	v_fmac_f64_e32 v[36:37], v[26:27], v[4:5]
	;; [unrolled: 2-line block ×3, first 2 shown]
	s_waitcnt vmcnt(2)
	v_add_f64 v[8:9], v[8:9], -v[2:3]
	v_add_f64 v[10:11], v[10:11], -v[32:33]
	s_waitcnt vmcnt(1)
	v_add_f64 v[12:13], v[12:13], -v[20:21]
	v_add_f64 v[14:15], v[14:15], -v[36:37]
	;; [unrolled: 3-line block ×3, first 2 shown]
	scratch_store_dwordx4 off, v[8:11], s4
	scratch_store_dwordx4 off, v[12:15], s5
	;; [unrolled: 1-line block ×3, first 2 shown]
	s_mov_b64 s[12:13], -1
	s_cbranch_scc1 .LBB120_446
; %bb.448:                              ;   in Loop: Header=BB120_447 Depth=1
	s_add_i32 s4, s15, 0x150
	scratch_load_dwordx4 v[8:11], off, s4
	s_add_i32 s5, s15, 0x160
	s_add_i32 s12, s15, 0x170
	;; [unrolled: 1-line block ×3, first 2 shown]
	s_addk_i32 s15, 0x190
	scratch_load_dwordx4 v[12:15], off, s5
	scratch_load_dwordx4 v[16:19], off, s12
	;; [unrolled: 1-line block ×4, first 2 shown]
	ds_read2_b64 v[28:31], v1 offset0:6 offset1:7
	ds_read2_b64 v[32:35], v1 offset0:8 offset1:9
	;; [unrolled: 1-line block ×5, first 2 shown]
	s_waitcnt lgkmcnt(4)
	v_mul_f64 v[2:3], v[30:31], v[6:7]
	v_mul_f64 v[54:55], v[28:29], v[6:7]
	s_waitcnt lgkmcnt(3)
	v_mul_f64 v[56:57], v[34:35], v[6:7]
	v_mul_f64 v[58:59], v[32:33], v[6:7]
	;; [unrolled: 3-line block ×5, first 2 shown]
	v_fma_f64 v[2:3], v[28:29], v[4:5], -v[2:3]
	v_fmac_f64_e32 v[54:55], v[30:31], v[4:5]
	v_fma_f64 v[28:29], v[32:33], v[4:5], -v[56:57]
	v_fmac_f64_e32 v[58:59], v[34:35], v[4:5]
	;; [unrolled: 2-line block ×5, first 2 shown]
	s_addk_i32 s14, 0x80
	s_waitcnt vmcnt(4)
	v_add_f64 v[8:9], v[8:9], -v[2:3]
	v_add_f64 v[10:11], v[10:11], -v[54:55]
	s_waitcnt vmcnt(3)
	v_add_f64 v[12:13], v[12:13], -v[28:29]
	v_add_f64 v[14:15], v[14:15], -v[58:59]
	;; [unrolled: 3-line block ×5, first 2 shown]
	scratch_store_dwordx4 off, v[8:11], s4
	scratch_store_dwordx4 off, v[12:15], s5
	;; [unrolled: 1-line block ×5, first 2 shown]
	s_mov_b64 s[12:13], 0
	s_branch .LBB120_446
.LBB120_449:
	s_or_b64 exec, exec, s[0:1]
	s_barrier
	scratch_load_dwordx4 v[0:3], off, s57
	v_lshl_add_u32 v4, v81, 4, v78
	s_cmp_lt_i32 s51, 20
	s_waitcnt vmcnt(0)
	ds_write2_b64 v4, v[0:1], v[2:3] offset1:1
	s_waitcnt lgkmcnt(0)
	s_barrier
	ds_read2_b64 v[0:3], v78 offset0:36 offset1:37
	v_mov_b32_e32 v4, 18
	s_cbranch_scc1 .LBB120_452
; %bb.450:
	v_add_u32_e32 v5, 0x130, v78
	s_mov_b32 s4, 19
	v_mov_b32_e32 v4, 18
.LBB120_451:                            ; =>This Inner Loop Header: Depth=1
	ds_read2_b64 v[6:9], v5 offset1:1
	s_waitcnt lgkmcnt(1)
	v_xor_b32_e32 v11, 0x80000000, v1
	v_xor_b32_e32 v13, 0x80000000, v3
	v_cmp_gt_f64_e32 vcc, 0, v[2:3]
	v_cmp_gt_f64_e64 s[0:1], 0, v[0:1]
	v_mov_b32_e32 v10, v0
	v_mov_b32_e32 v12, v2
	v_cndmask_b32_e64 v11, v1, v11, s[0:1]
	v_cndmask_b32_e32 v13, v3, v13, vcc
	v_add_f64 v[10:11], v[10:11], v[12:13]
	s_waitcnt lgkmcnt(0)
	v_xor_b32_e32 v13, 0x80000000, v7
	v_xor_b32_e32 v15, 0x80000000, v9
	v_cmp_gt_f64_e32 vcc, 0, v[8:9]
	v_cmp_gt_f64_e64 s[0:1], 0, v[6:7]
	v_mov_b32_e32 v12, v6
	v_mov_b32_e32 v14, v8
	v_cndmask_b32_e64 v13, v7, v13, s[0:1]
	v_cndmask_b32_e32 v15, v9, v15, vcc
	v_add_f64 v[12:13], v[12:13], v[14:15]
	v_mov_b32_e32 v16, s4
	s_add_i32 s4, s4, 1
	v_cmp_lt_f64_e32 vcc, v[10:11], v[12:13]
	v_add_u32_e32 v5, 16, v5
	s_cmp_lg_u32 s51, s4
	v_cndmask_b32_e32 v1, v1, v7, vcc
	v_cndmask_b32_e32 v0, v0, v6, vcc
	;; [unrolled: 1-line block ×5, first 2 shown]
	s_cbranch_scc1 .LBB120_451
.LBB120_452:
	s_waitcnt lgkmcnt(0)
	v_cmp_eq_f64_e32 vcc, 0, v[0:1]
	v_cmp_eq_f64_e64 s[0:1], 0, v[2:3]
	s_and_b64 s[0:1], vcc, s[0:1]
	s_and_saveexec_b64 s[4:5], s[0:1]
	s_xor_b64 s[0:1], exec, s[4:5]
; %bb.453:
	v_cmp_ne_u32_e32 vcc, 0, v79
	s_nop 1
	v_cndmask_b32_e32 v79, 19, v79, vcc
; %bb.454:
	s_andn2_saveexec_b64 s[0:1], s[0:1]
	s_cbranch_execz .LBB120_460
; %bb.455:
	v_cmp_ngt_f64_e64 s[4:5], |v[0:1]|, |v[2:3]|
	s_and_saveexec_b64 s[12:13], s[4:5]
	s_xor_b64 s[12:13], exec, s[12:13]
	s_cbranch_execz .LBB120_457
; %bb.456:
	v_div_scale_f64 v[6:7], s[4:5], v[2:3], v[2:3], v[0:1]
	v_rcp_f64_e32 v[8:9], v[6:7]
	v_div_scale_f64 v[10:11], vcc, v[0:1], v[2:3], v[0:1]
	v_fma_f64 v[12:13], -v[6:7], v[8:9], 1.0
	v_fmac_f64_e32 v[8:9], v[8:9], v[12:13]
	v_fma_f64 v[12:13], -v[6:7], v[8:9], 1.0
	v_fmac_f64_e32 v[8:9], v[8:9], v[12:13]
	v_mul_f64 v[12:13], v[10:11], v[8:9]
	v_fma_f64 v[6:7], -v[6:7], v[12:13], v[10:11]
	v_div_fmas_f64 v[6:7], v[6:7], v[8:9], v[12:13]
	v_div_fixup_f64 v[6:7], v[6:7], v[2:3], v[0:1]
	v_fmac_f64_e32 v[2:3], v[0:1], v[6:7]
	v_div_scale_f64 v[0:1], s[4:5], v[2:3], v[2:3], 1.0
	v_rcp_f64_e32 v[8:9], v[0:1]
	s_nop 0
	v_fma_f64 v[10:11], -v[0:1], v[8:9], 1.0
	v_fmac_f64_e32 v[8:9], v[8:9], v[10:11]
	v_fma_f64 v[10:11], -v[0:1], v[8:9], 1.0
	v_fmac_f64_e32 v[8:9], v[8:9], v[10:11]
	v_div_scale_f64 v[10:11], vcc, 1.0, v[2:3], 1.0
	v_mul_f64 v[12:13], v[10:11], v[8:9]
	v_fma_f64 v[0:1], -v[0:1], v[12:13], v[10:11]
	s_nop 1
	v_div_fmas_f64 v[0:1], v[0:1], v[8:9], v[12:13]
	v_div_fixup_f64 v[2:3], v[0:1], v[2:3], 1.0
	v_mul_f64 v[0:1], v[6:7], v[2:3]
	v_xor_b32_e32 v3, 0x80000000, v3
.LBB120_457:
	s_andn2_saveexec_b64 s[12:13], s[12:13]
	s_cbranch_execz .LBB120_459
; %bb.458:
	v_div_scale_f64 v[6:7], s[4:5], v[0:1], v[0:1], v[2:3]
	v_rcp_f64_e32 v[8:9], v[6:7]
	v_div_scale_f64 v[10:11], vcc, v[2:3], v[0:1], v[2:3]
	v_fma_f64 v[12:13], -v[6:7], v[8:9], 1.0
	v_fmac_f64_e32 v[8:9], v[8:9], v[12:13]
	v_fma_f64 v[12:13], -v[6:7], v[8:9], 1.0
	v_fmac_f64_e32 v[8:9], v[8:9], v[12:13]
	v_mul_f64 v[12:13], v[10:11], v[8:9]
	v_fma_f64 v[6:7], -v[6:7], v[12:13], v[10:11]
	v_div_fmas_f64 v[6:7], v[6:7], v[8:9], v[12:13]
	v_div_fixup_f64 v[6:7], v[6:7], v[0:1], v[2:3]
	v_fmac_f64_e32 v[0:1], v[2:3], v[6:7]
	v_div_scale_f64 v[2:3], s[4:5], v[0:1], v[0:1], 1.0
	v_rcp_f64_e32 v[8:9], v[2:3]
	s_nop 0
	v_fma_f64 v[10:11], -v[2:3], v[8:9], 1.0
	v_fmac_f64_e32 v[8:9], v[8:9], v[10:11]
	v_fma_f64 v[10:11], -v[2:3], v[8:9], 1.0
	v_fmac_f64_e32 v[8:9], v[8:9], v[10:11]
	v_div_scale_f64 v[10:11], vcc, 1.0, v[0:1], 1.0
	v_mul_f64 v[12:13], v[10:11], v[8:9]
	v_fma_f64 v[2:3], -v[2:3], v[12:13], v[10:11]
	s_nop 1
	v_div_fmas_f64 v[2:3], v[2:3], v[8:9], v[12:13]
	v_div_fixup_f64 v[0:1], v[2:3], v[0:1], 1.0
	v_mul_f64 v[2:3], v[6:7], -v[0:1]
.LBB120_459:
	s_or_b64 exec, exec, s[12:13]
.LBB120_460:
	s_or_b64 exec, exec, s[0:1]
	v_cmp_ne_u32_e32 vcc, v81, v4
	s_and_saveexec_b64 s[0:1], vcc
	s_xor_b64 s[0:1], exec, s[0:1]
	s_cbranch_execz .LBB120_466
; %bb.461:
	v_cmp_eq_u32_e32 vcc, 18, v81
	s_and_saveexec_b64 s[12:13], vcc
	s_cbranch_execz .LBB120_465
; %bb.462:
	v_cmp_ne_u32_e32 vcc, 18, v4
	s_xor_b64 s[4:5], s[18:19], -1
	s_and_b64 s[4:5], s[4:5], vcc
	s_and_saveexec_b64 s[14:15], s[4:5]
	s_cbranch_execz .LBB120_464
; %bb.463:
	v_ashrrev_i32_e32 v5, 31, v4
	v_lshl_add_u64 v[6:7], v[4:5], 2, v[46:47]
	global_load_dword v5, v[6:7], off
	global_load_dword v8, v[46:47], off offset:72
	s_waitcnt vmcnt(1)
	global_store_dword v[46:47], v5, off offset:72
	s_waitcnt vmcnt(1)
	global_store_dword v[6:7], v8, off
.LBB120_464:
	s_or_b64 exec, exec, s[14:15]
	v_mov_b32_e32 v81, v4
	v_mov_b32_e32 v80, v4
.LBB120_465:
	s_or_b64 exec, exec, s[12:13]
.LBB120_466:
	s_andn2_saveexec_b64 s[0:1], s[0:1]
	s_cbranch_execz .LBB120_470
; %bb.467:
	s_mov_b32 s4, 0
	v_add_u32_e32 v4, 0x130, v78
.LBB120_468:                            ; =>This Inner Loop Header: Depth=1
	s_add_i32 s12, s4, 0x130
	s_add_i32 s13, s4, 0x140
	;; [unrolled: 1-line block ×14, first 2 shown]
	scratch_load_dwordx4 v[6:9], off, s12
	scratch_load_dwordx4 v[10:13], off, s13
	;; [unrolled: 1-line block ×14, first 2 shown]
	v_add_u32_e32 v5, s4, v4
	s_addk_i32 s4, 0xe0
	s_cmpk_eq_i32 s4, 0x2a0
	s_waitcnt vmcnt(13)
	ds_write2_b64 v5, v[6:7], v[8:9] offset1:1
	s_waitcnt vmcnt(12)
	ds_write2_b64 v5, v[10:11], v[12:13] offset0:2 offset1:3
	s_waitcnt vmcnt(11)
	ds_write2_b64 v5, v[14:15], v[16:17] offset0:4 offset1:5
	;; [unrolled: 2-line block ×13, first 2 shown]
	s_cbranch_scc0 .LBB120_468
; %bb.469:
	v_mov_b32_e32 v81, 18
.LBB120_470:
	s_or_b64 exec, exec, s[0:1]
	v_cmp_lt_i32_e32 vcc, 18, v81
	s_waitcnt lgkmcnt(0)
	s_barrier
	s_and_saveexec_b64 s[0:1], vcc
	s_cbranch_execz .LBB120_473
; %bb.471:
	scratch_load_dwordx4 v[8:11], off, off offset:288
	s_mov_b32 s12, 0
	s_waitcnt vmcnt(0)
	v_mul_f64 v[4:5], v[2:3], v[10:11]
	v_mul_f64 v[6:7], v[0:1], v[10:11]
	v_fma_f64 v[4:5], v[0:1], v[8:9], -v[4:5]
	v_fmac_f64_e32 v[6:7], v[2:3], v[8:9]
	v_add_u32_e32 v0, 0x130, v78
	scratch_store_dwordx4 off, v[4:7], off offset:288
.LBB120_472:                            ; =>This Inner Loop Header: Depth=1
	v_add_u32_e32 v1, s12, v0
	ds_read2_b64 v[8:11], v1 offset1:1
	ds_read2_b64 v[12:15], v1 offset0:2 offset1:3
	ds_read2_b64 v[16:19], v1 offset0:4 offset1:5
	;; [unrolled: 1-line block ×5, first 2 shown]
	s_add_i32 s13, s12, 0x130
	s_add_i32 s5, s12, 0x140
	;; [unrolled: 1-line block ×6, first 2 shown]
	scratch_load_dwordx4 v[32:35], off, s13
	scratch_load_dwordx4 v[36:39], off, s5
	scratch_load_dwordx4 v[40:43], off, s14
	scratch_load_dwordx4 v[50:53], off, s15
	scratch_load_dwordx4 v[54:57], off, s16
	scratch_load_dwordx4 v[58:61], off, s66
	s_waitcnt lgkmcnt(5)
	v_mul_f64 v[2:3], v[10:11], v[6:7]
	v_mul_f64 v[62:63], v[8:9], v[6:7]
	s_waitcnt lgkmcnt(4)
	v_mul_f64 v[64:65], v[14:15], v[6:7]
	v_mul_f64 v[66:67], v[12:13], v[6:7]
	;; [unrolled: 3-line block ×6, first 2 shown]
	s_add_i32 s4, s12, 0x190
	v_fma_f64 v[2:3], v[8:9], v[4:5], -v[2:3]
	v_fmac_f64_e32 v[62:63], v[10:11], v[4:5]
	v_fma_f64 v[64:65], v[12:13], v[4:5], -v[64:65]
	v_fmac_f64_e32 v[66:67], v[14:15], v[4:5]
	v_fma_f64 v[68:69], v[16:17], v[4:5], -v[68:69]
	v_fmac_f64_e32 v[70:71], v[18:19], v[4:5]
	v_fma_f64 v[72:73], v[20:21], v[4:5], -v[72:73]
	v_fmac_f64_e32 v[74:75], v[22:23], v[4:5]
	v_fma_f64 v[76:77], v[24:25], v[4:5], -v[76:77]
	v_fmac_f64_e32 v[82:83], v[26:27], v[4:5]
	v_fma_f64 v[84:85], v[28:29], v[4:5], -v[84:85]
	v_fmac_f64_e32 v[86:87], v[30:31], v[4:5]
	scratch_load_dwordx4 v[4:7], off, off offset:288
	scratch_load_dwordx4 v[8:11], off, s4
	ds_read2_b64 v[12:15], v1 offset0:12 offset1:13
	s_addk_i32 s12, 0x70
	s_cmpk_lg_i32 s12, 0x2a0
	s_waitcnt vmcnt(7)
	v_add_f64 v[16:17], v[32:33], -v[2:3]
	v_add_f64 v[18:19], v[34:35], -v[62:63]
	s_waitcnt vmcnt(6)
	v_add_f64 v[20:21], v[36:37], -v[64:65]
	v_add_f64 v[22:23], v[38:39], -v[66:67]
	;; [unrolled: 3-line block ×6, first 2 shown]
	scratch_store_dwordx4 off, v[16:19], s13
	scratch_store_dwordx4 off, v[20:23], s5
	;; [unrolled: 1-line block ×6, first 2 shown]
	s_waitcnt vmcnt(7) lgkmcnt(0)
	v_mul_f64 v[2:3], v[14:15], v[6:7]
	v_mul_f64 v[16:17], v[12:13], v[6:7]
	v_fma_f64 v[2:3], v[12:13], v[4:5], -v[2:3]
	v_fmac_f64_e32 v[16:17], v[14:15], v[4:5]
	s_waitcnt vmcnt(6)
	v_add_f64 v[8:9], v[8:9], -v[2:3]
	v_add_f64 v[10:11], v[10:11], -v[16:17]
	scratch_store_dwordx4 off, v[8:11], s4
	s_cbranch_scc1 .LBB120_472
.LBB120_473:
	s_or_b64 exec, exec, s[0:1]
	s_barrier
	scratch_load_dwordx4 v[0:3], off, s55
	v_lshl_add_u32 v4, v81, 4, v78
	s_cmp_lt_i32 s51, 21
	s_waitcnt vmcnt(0)
	ds_write2_b64 v4, v[0:1], v[2:3] offset1:1
	s_waitcnt lgkmcnt(0)
	s_barrier
	ds_read2_b64 v[0:3], v78 offset0:38 offset1:39
	v_mov_b32_e32 v4, 19
	s_cbranch_scc1 .LBB120_476
; %bb.474:
	v_add_u32_e32 v5, 0x140, v78
	s_mov_b32 s4, 20
	v_mov_b32_e32 v4, 19
.LBB120_475:                            ; =>This Inner Loop Header: Depth=1
	ds_read2_b64 v[6:9], v5 offset1:1
	s_waitcnt lgkmcnt(1)
	v_xor_b32_e32 v11, 0x80000000, v1
	v_xor_b32_e32 v13, 0x80000000, v3
	v_cmp_gt_f64_e32 vcc, 0, v[2:3]
	v_cmp_gt_f64_e64 s[0:1], 0, v[0:1]
	v_mov_b32_e32 v10, v0
	v_mov_b32_e32 v12, v2
	v_cndmask_b32_e64 v11, v1, v11, s[0:1]
	v_cndmask_b32_e32 v13, v3, v13, vcc
	v_add_f64 v[10:11], v[10:11], v[12:13]
	s_waitcnt lgkmcnt(0)
	v_xor_b32_e32 v13, 0x80000000, v7
	v_xor_b32_e32 v15, 0x80000000, v9
	v_cmp_gt_f64_e32 vcc, 0, v[8:9]
	v_cmp_gt_f64_e64 s[0:1], 0, v[6:7]
	v_mov_b32_e32 v12, v6
	v_mov_b32_e32 v14, v8
	v_cndmask_b32_e64 v13, v7, v13, s[0:1]
	v_cndmask_b32_e32 v15, v9, v15, vcc
	v_add_f64 v[12:13], v[12:13], v[14:15]
	v_mov_b32_e32 v16, s4
	s_add_i32 s4, s4, 1
	v_cmp_lt_f64_e32 vcc, v[10:11], v[12:13]
	v_add_u32_e32 v5, 16, v5
	s_cmp_lg_u32 s51, s4
	v_cndmask_b32_e32 v1, v1, v7, vcc
	v_cndmask_b32_e32 v0, v0, v6, vcc
	;; [unrolled: 1-line block ×5, first 2 shown]
	s_cbranch_scc1 .LBB120_475
.LBB120_476:
	s_waitcnt lgkmcnt(0)
	v_cmp_eq_f64_e32 vcc, 0, v[0:1]
	v_cmp_eq_f64_e64 s[0:1], 0, v[2:3]
	s_and_b64 s[0:1], vcc, s[0:1]
	s_and_saveexec_b64 s[4:5], s[0:1]
	s_xor_b64 s[0:1], exec, s[4:5]
; %bb.477:
	v_cmp_ne_u32_e32 vcc, 0, v79
	s_nop 1
	v_cndmask_b32_e32 v79, 20, v79, vcc
; %bb.478:
	s_andn2_saveexec_b64 s[0:1], s[0:1]
	s_cbranch_execz .LBB120_484
; %bb.479:
	v_cmp_ngt_f64_e64 s[4:5], |v[0:1]|, |v[2:3]|
	s_and_saveexec_b64 s[12:13], s[4:5]
	s_xor_b64 s[12:13], exec, s[12:13]
	s_cbranch_execz .LBB120_481
; %bb.480:
	v_div_scale_f64 v[6:7], s[4:5], v[2:3], v[2:3], v[0:1]
	v_rcp_f64_e32 v[8:9], v[6:7]
	v_div_scale_f64 v[10:11], vcc, v[0:1], v[2:3], v[0:1]
	v_fma_f64 v[12:13], -v[6:7], v[8:9], 1.0
	v_fmac_f64_e32 v[8:9], v[8:9], v[12:13]
	v_fma_f64 v[12:13], -v[6:7], v[8:9], 1.0
	v_fmac_f64_e32 v[8:9], v[8:9], v[12:13]
	v_mul_f64 v[12:13], v[10:11], v[8:9]
	v_fma_f64 v[6:7], -v[6:7], v[12:13], v[10:11]
	v_div_fmas_f64 v[6:7], v[6:7], v[8:9], v[12:13]
	v_div_fixup_f64 v[6:7], v[6:7], v[2:3], v[0:1]
	v_fmac_f64_e32 v[2:3], v[0:1], v[6:7]
	v_div_scale_f64 v[0:1], s[4:5], v[2:3], v[2:3], 1.0
	v_rcp_f64_e32 v[8:9], v[0:1]
	s_nop 0
	v_fma_f64 v[10:11], -v[0:1], v[8:9], 1.0
	v_fmac_f64_e32 v[8:9], v[8:9], v[10:11]
	v_fma_f64 v[10:11], -v[0:1], v[8:9], 1.0
	v_fmac_f64_e32 v[8:9], v[8:9], v[10:11]
	v_div_scale_f64 v[10:11], vcc, 1.0, v[2:3], 1.0
	v_mul_f64 v[12:13], v[10:11], v[8:9]
	v_fma_f64 v[0:1], -v[0:1], v[12:13], v[10:11]
	s_nop 1
	v_div_fmas_f64 v[0:1], v[0:1], v[8:9], v[12:13]
	v_div_fixup_f64 v[2:3], v[0:1], v[2:3], 1.0
	v_mul_f64 v[0:1], v[6:7], v[2:3]
	v_xor_b32_e32 v3, 0x80000000, v3
.LBB120_481:
	s_andn2_saveexec_b64 s[12:13], s[12:13]
	s_cbranch_execz .LBB120_483
; %bb.482:
	v_div_scale_f64 v[6:7], s[4:5], v[0:1], v[0:1], v[2:3]
	v_rcp_f64_e32 v[8:9], v[6:7]
	v_div_scale_f64 v[10:11], vcc, v[2:3], v[0:1], v[2:3]
	v_fma_f64 v[12:13], -v[6:7], v[8:9], 1.0
	v_fmac_f64_e32 v[8:9], v[8:9], v[12:13]
	v_fma_f64 v[12:13], -v[6:7], v[8:9], 1.0
	v_fmac_f64_e32 v[8:9], v[8:9], v[12:13]
	v_mul_f64 v[12:13], v[10:11], v[8:9]
	v_fma_f64 v[6:7], -v[6:7], v[12:13], v[10:11]
	v_div_fmas_f64 v[6:7], v[6:7], v[8:9], v[12:13]
	v_div_fixup_f64 v[6:7], v[6:7], v[0:1], v[2:3]
	v_fmac_f64_e32 v[0:1], v[2:3], v[6:7]
	v_div_scale_f64 v[2:3], s[4:5], v[0:1], v[0:1], 1.0
	v_rcp_f64_e32 v[8:9], v[2:3]
	s_nop 0
	v_fma_f64 v[10:11], -v[2:3], v[8:9], 1.0
	v_fmac_f64_e32 v[8:9], v[8:9], v[10:11]
	v_fma_f64 v[10:11], -v[2:3], v[8:9], 1.0
	v_fmac_f64_e32 v[8:9], v[8:9], v[10:11]
	v_div_scale_f64 v[10:11], vcc, 1.0, v[0:1], 1.0
	v_mul_f64 v[12:13], v[10:11], v[8:9]
	v_fma_f64 v[2:3], -v[2:3], v[12:13], v[10:11]
	s_nop 1
	v_div_fmas_f64 v[2:3], v[2:3], v[8:9], v[12:13]
	v_div_fixup_f64 v[0:1], v[2:3], v[0:1], 1.0
	v_mul_f64 v[2:3], v[6:7], -v[0:1]
.LBB120_483:
	s_or_b64 exec, exec, s[12:13]
.LBB120_484:
	s_or_b64 exec, exec, s[0:1]
	v_cmp_ne_u32_e32 vcc, v81, v4
	s_and_saveexec_b64 s[0:1], vcc
	s_xor_b64 s[0:1], exec, s[0:1]
	s_cbranch_execz .LBB120_490
; %bb.485:
	v_cmp_eq_u32_e32 vcc, 19, v81
	s_and_saveexec_b64 s[12:13], vcc
	s_cbranch_execz .LBB120_489
; %bb.486:
	v_cmp_ne_u32_e32 vcc, 19, v4
	s_xor_b64 s[4:5], s[18:19], -1
	s_and_b64 s[4:5], s[4:5], vcc
	s_and_saveexec_b64 s[14:15], s[4:5]
	s_cbranch_execz .LBB120_488
; %bb.487:
	v_ashrrev_i32_e32 v5, 31, v4
	v_lshl_add_u64 v[6:7], v[4:5], 2, v[46:47]
	global_load_dword v5, v[6:7], off
	global_load_dword v8, v[46:47], off offset:76
	s_waitcnt vmcnt(1)
	global_store_dword v[46:47], v5, off offset:76
	s_waitcnt vmcnt(1)
	global_store_dword v[6:7], v8, off
.LBB120_488:
	s_or_b64 exec, exec, s[14:15]
	v_mov_b32_e32 v81, v4
	v_mov_b32_e32 v80, v4
.LBB120_489:
	s_or_b64 exec, exec, s[12:13]
.LBB120_490:
	s_andn2_saveexec_b64 s[0:1], s[0:1]
	s_cbranch_execz .LBB120_496
; %bb.491:
	s_mov_b32 s4, 0
	v_add_u32_e32 v4, 0x140, v78
	s_branch .LBB120_493
.LBB120_492:                            ;   in Loop: Header=BB120_493 Depth=1
	s_andn2_b64 vcc, exec, s[12:13]
	s_cbranch_vccz .LBB120_495
.LBB120_493:                            ; =>This Inner Loop Header: Depth=1
	s_add_i32 s12, s4, 0x140
	scratch_load_dwordx4 v[6:9], off, s12
	s_mov_b32 s5, s4
	v_add_u32_e32 v5, s4, v4
	s_cmpk_eq_i32 s4, 0x280
	s_mov_b64 s[12:13], -1
	s_waitcnt vmcnt(0)
	ds_write2_b64 v5, v[6:7], v[8:9] offset1:1
	s_cbranch_scc1 .LBB120_492
; %bb.494:                              ;   in Loop: Header=BB120_493 Depth=1
	s_add_i32 s12, s5, 0x150
	s_add_i32 s13, s5, 0x160
	scratch_load_dwordx4 v[6:9], off, s12
	scratch_load_dwordx4 v[10:13], off, s13
	s_add_i32 s12, s5, 0x170
	s_add_i32 s13, s5, 0x180
	scratch_load_dwordx4 v[14:17], off, s12
	scratch_load_dwordx4 v[18:21], off, s13
	;; [unrolled: 4-line block ×3, first 2 shown]
	s_addk_i32 s5, 0x1b0
	scratch_load_dwordx4 v[30:33], off, s5
	s_addk_i32 s4, 0x80
	s_mov_b64 s[12:13], 0
	s_waitcnt vmcnt(6)
	ds_write2_b64 v5, v[6:7], v[8:9] offset0:2 offset1:3
	s_waitcnt vmcnt(5)
	ds_write2_b64 v5, v[10:11], v[12:13] offset0:4 offset1:5
	s_waitcnt vmcnt(4)
	ds_write2_b64 v5, v[14:15], v[16:17] offset0:6 offset1:7
	s_waitcnt vmcnt(3)
	ds_write2_b64 v5, v[18:19], v[20:21] offset0:8 offset1:9
	s_waitcnt vmcnt(2)
	ds_write2_b64 v5, v[22:23], v[24:25] offset0:10 offset1:11
	s_waitcnt vmcnt(1)
	ds_write2_b64 v5, v[26:27], v[28:29] offset0:12 offset1:13
	s_waitcnt vmcnt(0)
	ds_write2_b64 v5, v[30:31], v[32:33] offset0:14 offset1:15
	s_branch .LBB120_492
.LBB120_495:
	v_mov_b32_e32 v81, 19
.LBB120_496:
	s_or_b64 exec, exec, s[0:1]
	v_cmp_lt_i32_e32 vcc, 19, v81
	s_waitcnt lgkmcnt(0)
	s_barrier
	s_and_saveexec_b64 s[0:1], vcc
	s_cbranch_execz .LBB120_501
; %bb.497:
	scratch_load_dwordx4 v[8:11], off, off offset:304
	s_mov_b32 s14, 0
	s_waitcnt vmcnt(0)
	v_mul_f64 v[4:5], v[2:3], v[10:11]
	v_mul_f64 v[6:7], v[0:1], v[10:11]
	v_fma_f64 v[4:5], v[0:1], v[8:9], -v[4:5]
	v_fmac_f64_e32 v[6:7], v[2:3], v[8:9]
	v_add_u32_e32 v0, 0x140, v78
	scratch_store_dwordx4 off, v[4:7], off offset:304
	s_branch .LBB120_499
.LBB120_498:                            ;   in Loop: Header=BB120_499 Depth=1
	s_andn2_b64 vcc, exec, s[12:13]
	s_cbranch_vccz .LBB120_501
.LBB120_499:                            ; =>This Inner Loop Header: Depth=1
	s_add_i32 s4, s14, 0x140
	scratch_load_dwordx4 v[8:11], off, s4
	v_add_u32_e32 v1, s14, v0
	ds_read2_b64 v[12:15], v1 offset1:1
	s_mov_b32 s15, s14
	s_cmpk_eq_i32 s14, 0x280
	s_mov_b64 s[12:13], -1
	s_waitcnt lgkmcnt(0)
	v_mul_f64 v[2:3], v[14:15], v[6:7]
	v_mul_f64 v[16:17], v[12:13], v[6:7]
	v_fma_f64 v[2:3], v[12:13], v[4:5], -v[2:3]
	v_fmac_f64_e32 v[16:17], v[14:15], v[4:5]
	s_waitcnt vmcnt(0)
	v_add_f64 v[8:9], v[8:9], -v[2:3]
	v_add_f64 v[10:11], v[10:11], -v[16:17]
	scratch_store_dwordx4 off, v[8:11], s4
	s_cbranch_scc1 .LBB120_498
; %bb.500:                              ;   in Loop: Header=BB120_499 Depth=1
	s_add_i32 s4, s15, 0x150
	scratch_load_dwordx4 v[8:11], off, s4
	s_add_i32 s5, s15, 0x160
	s_add_i32 s12, s15, 0x170
	;; [unrolled: 1-line block ×5, first 2 shown]
	scratch_load_dwordx4 v[12:15], off, s5
	scratch_load_dwordx4 v[16:19], off, s12
	;; [unrolled: 1-line block ×5, first 2 shown]
	ds_read2_b64 v[32:35], v1 offset0:2 offset1:3
	ds_read2_b64 v[36:39], v1 offset0:4 offset1:5
	;; [unrolled: 1-line block ×6, first 2 shown]
	s_waitcnt lgkmcnt(5)
	v_mul_f64 v[2:3], v[34:35], v[6:7]
	v_mul_f64 v[62:63], v[32:33], v[6:7]
	s_waitcnt lgkmcnt(4)
	v_mul_f64 v[64:65], v[38:39], v[6:7]
	v_mul_f64 v[66:67], v[36:37], v[6:7]
	;; [unrolled: 3-line block ×6, first 2 shown]
	v_fma_f64 v[2:3], v[32:33], v[4:5], -v[2:3]
	v_fmac_f64_e32 v[62:63], v[34:35], v[4:5]
	v_fma_f64 v[6:7], v[36:37], v[4:5], -v[64:65]
	v_fmac_f64_e32 v[66:67], v[38:39], v[4:5]
	;; [unrolled: 2-line block ×6, first 2 shown]
	s_addk_i32 s15, 0x1b0
	s_addk_i32 s14, 0x80
	s_waitcnt vmcnt(5)
	v_add_f64 v[2:3], v[8:9], -v[2:3]
	v_add_f64 v[4:5], v[10:11], -v[62:63]
	s_waitcnt vmcnt(4)
	v_add_f64 v[6:7], v[12:13], -v[6:7]
	v_add_f64 v[8:9], v[14:15], -v[66:67]
	;; [unrolled: 3-line block ×6, first 2 shown]
	scratch_store_dwordx4 off, v[2:5], s4
	scratch_store_dwordx4 off, v[6:9], s5
	;; [unrolled: 1-line block ×6, first 2 shown]
	scratch_load_dwordx4 v[4:7], off, off offset:304
	ds_read2_b64 v[12:15], v1 offset0:14 offset1:15
	scratch_load_dwordx4 v[8:11], off, s15
	s_mov_b64 s[12:13], 0
	s_waitcnt vmcnt(1) lgkmcnt(0)
	v_mul_f64 v[2:3], v[14:15], v[6:7]
	v_mul_f64 v[16:17], v[12:13], v[6:7]
	v_fma_f64 v[2:3], v[12:13], v[4:5], -v[2:3]
	v_fmac_f64_e32 v[16:17], v[14:15], v[4:5]
	s_waitcnt vmcnt(0)
	v_add_f64 v[8:9], v[8:9], -v[2:3]
	v_add_f64 v[10:11], v[10:11], -v[16:17]
	scratch_store_dwordx4 off, v[8:11], s15
	s_branch .LBB120_498
.LBB120_501:
	s_or_b64 exec, exec, s[0:1]
	s_barrier
	scratch_load_dwordx4 v[0:3], off, s61
	v_lshl_add_u32 v4, v81, 4, v78
	s_cmp_lt_i32 s51, 22
	s_waitcnt vmcnt(0)
	ds_write2_b64 v4, v[0:1], v[2:3] offset1:1
	s_waitcnt lgkmcnt(0)
	s_barrier
	ds_read2_b64 v[0:3], v78 offset0:40 offset1:41
	v_mov_b32_e32 v4, 20
	s_cbranch_scc1 .LBB120_504
; %bb.502:
	v_add_u32_e32 v5, 0x150, v78
	s_mov_b32 s4, 21
	v_mov_b32_e32 v4, 20
.LBB120_503:                            ; =>This Inner Loop Header: Depth=1
	ds_read2_b64 v[6:9], v5 offset1:1
	s_waitcnt lgkmcnt(1)
	v_xor_b32_e32 v11, 0x80000000, v1
	v_xor_b32_e32 v13, 0x80000000, v3
	v_cmp_gt_f64_e32 vcc, 0, v[2:3]
	v_cmp_gt_f64_e64 s[0:1], 0, v[0:1]
	v_mov_b32_e32 v10, v0
	v_mov_b32_e32 v12, v2
	v_cndmask_b32_e64 v11, v1, v11, s[0:1]
	v_cndmask_b32_e32 v13, v3, v13, vcc
	v_add_f64 v[10:11], v[10:11], v[12:13]
	s_waitcnt lgkmcnt(0)
	v_xor_b32_e32 v13, 0x80000000, v7
	v_xor_b32_e32 v15, 0x80000000, v9
	v_cmp_gt_f64_e32 vcc, 0, v[8:9]
	v_cmp_gt_f64_e64 s[0:1], 0, v[6:7]
	v_mov_b32_e32 v12, v6
	v_mov_b32_e32 v14, v8
	v_cndmask_b32_e64 v13, v7, v13, s[0:1]
	v_cndmask_b32_e32 v15, v9, v15, vcc
	v_add_f64 v[12:13], v[12:13], v[14:15]
	v_mov_b32_e32 v16, s4
	s_add_i32 s4, s4, 1
	v_cmp_lt_f64_e32 vcc, v[10:11], v[12:13]
	v_add_u32_e32 v5, 16, v5
	s_cmp_lg_u32 s51, s4
	v_cndmask_b32_e32 v1, v1, v7, vcc
	v_cndmask_b32_e32 v0, v0, v6, vcc
	;; [unrolled: 1-line block ×5, first 2 shown]
	s_cbranch_scc1 .LBB120_503
.LBB120_504:
	s_waitcnt lgkmcnt(0)
	v_cmp_eq_f64_e32 vcc, 0, v[0:1]
	v_cmp_eq_f64_e64 s[0:1], 0, v[2:3]
	s_and_b64 s[0:1], vcc, s[0:1]
	s_and_saveexec_b64 s[4:5], s[0:1]
	s_xor_b64 s[0:1], exec, s[4:5]
; %bb.505:
	v_cmp_ne_u32_e32 vcc, 0, v79
	s_nop 1
	v_cndmask_b32_e32 v79, 21, v79, vcc
; %bb.506:
	s_andn2_saveexec_b64 s[0:1], s[0:1]
	s_cbranch_execz .LBB120_512
; %bb.507:
	v_cmp_ngt_f64_e64 s[4:5], |v[0:1]|, |v[2:3]|
	s_and_saveexec_b64 s[12:13], s[4:5]
	s_xor_b64 s[12:13], exec, s[12:13]
	s_cbranch_execz .LBB120_509
; %bb.508:
	v_div_scale_f64 v[6:7], s[4:5], v[2:3], v[2:3], v[0:1]
	v_rcp_f64_e32 v[8:9], v[6:7]
	v_div_scale_f64 v[10:11], vcc, v[0:1], v[2:3], v[0:1]
	v_fma_f64 v[12:13], -v[6:7], v[8:9], 1.0
	v_fmac_f64_e32 v[8:9], v[8:9], v[12:13]
	v_fma_f64 v[12:13], -v[6:7], v[8:9], 1.0
	v_fmac_f64_e32 v[8:9], v[8:9], v[12:13]
	v_mul_f64 v[12:13], v[10:11], v[8:9]
	v_fma_f64 v[6:7], -v[6:7], v[12:13], v[10:11]
	v_div_fmas_f64 v[6:7], v[6:7], v[8:9], v[12:13]
	v_div_fixup_f64 v[6:7], v[6:7], v[2:3], v[0:1]
	v_fmac_f64_e32 v[2:3], v[0:1], v[6:7]
	v_div_scale_f64 v[0:1], s[4:5], v[2:3], v[2:3], 1.0
	v_rcp_f64_e32 v[8:9], v[0:1]
	s_nop 0
	v_fma_f64 v[10:11], -v[0:1], v[8:9], 1.0
	v_fmac_f64_e32 v[8:9], v[8:9], v[10:11]
	v_fma_f64 v[10:11], -v[0:1], v[8:9], 1.0
	v_fmac_f64_e32 v[8:9], v[8:9], v[10:11]
	v_div_scale_f64 v[10:11], vcc, 1.0, v[2:3], 1.0
	v_mul_f64 v[12:13], v[10:11], v[8:9]
	v_fma_f64 v[0:1], -v[0:1], v[12:13], v[10:11]
	s_nop 1
	v_div_fmas_f64 v[0:1], v[0:1], v[8:9], v[12:13]
	v_div_fixup_f64 v[2:3], v[0:1], v[2:3], 1.0
	v_mul_f64 v[0:1], v[6:7], v[2:3]
	v_xor_b32_e32 v3, 0x80000000, v3
.LBB120_509:
	s_andn2_saveexec_b64 s[12:13], s[12:13]
	s_cbranch_execz .LBB120_511
; %bb.510:
	v_div_scale_f64 v[6:7], s[4:5], v[0:1], v[0:1], v[2:3]
	v_rcp_f64_e32 v[8:9], v[6:7]
	v_div_scale_f64 v[10:11], vcc, v[2:3], v[0:1], v[2:3]
	v_fma_f64 v[12:13], -v[6:7], v[8:9], 1.0
	v_fmac_f64_e32 v[8:9], v[8:9], v[12:13]
	v_fma_f64 v[12:13], -v[6:7], v[8:9], 1.0
	v_fmac_f64_e32 v[8:9], v[8:9], v[12:13]
	v_mul_f64 v[12:13], v[10:11], v[8:9]
	v_fma_f64 v[6:7], -v[6:7], v[12:13], v[10:11]
	v_div_fmas_f64 v[6:7], v[6:7], v[8:9], v[12:13]
	v_div_fixup_f64 v[6:7], v[6:7], v[0:1], v[2:3]
	v_fmac_f64_e32 v[0:1], v[2:3], v[6:7]
	v_div_scale_f64 v[2:3], s[4:5], v[0:1], v[0:1], 1.0
	v_rcp_f64_e32 v[8:9], v[2:3]
	s_nop 0
	v_fma_f64 v[10:11], -v[2:3], v[8:9], 1.0
	v_fmac_f64_e32 v[8:9], v[8:9], v[10:11]
	v_fma_f64 v[10:11], -v[2:3], v[8:9], 1.0
	v_fmac_f64_e32 v[8:9], v[8:9], v[10:11]
	v_div_scale_f64 v[10:11], vcc, 1.0, v[0:1], 1.0
	v_mul_f64 v[12:13], v[10:11], v[8:9]
	v_fma_f64 v[2:3], -v[2:3], v[12:13], v[10:11]
	s_nop 1
	v_div_fmas_f64 v[2:3], v[2:3], v[8:9], v[12:13]
	v_div_fixup_f64 v[0:1], v[2:3], v[0:1], 1.0
	v_mul_f64 v[2:3], v[6:7], -v[0:1]
.LBB120_511:
	s_or_b64 exec, exec, s[12:13]
.LBB120_512:
	s_or_b64 exec, exec, s[0:1]
	v_cmp_ne_u32_e32 vcc, v81, v4
	s_and_saveexec_b64 s[0:1], vcc
	s_xor_b64 s[0:1], exec, s[0:1]
	s_cbranch_execz .LBB120_518
; %bb.513:
	v_cmp_eq_u32_e32 vcc, 20, v81
	s_and_saveexec_b64 s[12:13], vcc
	s_cbranch_execz .LBB120_517
; %bb.514:
	v_cmp_ne_u32_e32 vcc, 20, v4
	s_xor_b64 s[4:5], s[18:19], -1
	s_and_b64 s[4:5], s[4:5], vcc
	s_and_saveexec_b64 s[14:15], s[4:5]
	s_cbranch_execz .LBB120_516
; %bb.515:
	v_ashrrev_i32_e32 v5, 31, v4
	v_lshl_add_u64 v[6:7], v[4:5], 2, v[46:47]
	global_load_dword v5, v[6:7], off
	global_load_dword v8, v[46:47], off offset:80
	s_waitcnt vmcnt(1)
	global_store_dword v[46:47], v5, off offset:80
	s_waitcnt vmcnt(1)
	global_store_dword v[6:7], v8, off
.LBB120_516:
	s_or_b64 exec, exec, s[14:15]
	v_mov_b32_e32 v81, v4
	v_mov_b32_e32 v80, v4
.LBB120_517:
	s_or_b64 exec, exec, s[12:13]
.LBB120_518:
	s_andn2_saveexec_b64 s[0:1], s[0:1]
	s_cbranch_execz .LBB120_522
; %bb.519:
	s_mov_b32 s4, 0
	v_add_u32_e32 v4, 0x150, v78
.LBB120_520:                            ; =>This Inner Loop Header: Depth=1
	s_add_i32 s12, s4, 0x150
	s_add_i32 s13, s4, 0x160
	;; [unrolled: 1-line block ×10, first 2 shown]
	scratch_load_dwordx4 v[6:9], off, s12
	scratch_load_dwordx4 v[10:13], off, s13
	;; [unrolled: 1-line block ×10, first 2 shown]
	v_add_u32_e32 v5, s4, v4
	s_addk_i32 s4, 0xa0
	s_cmpk_eq_i32 s4, 0x280
	s_waitcnt vmcnt(9)
	ds_write2_b64 v5, v[6:7], v[8:9] offset1:1
	s_waitcnt vmcnt(8)
	ds_write2_b64 v5, v[10:11], v[12:13] offset0:2 offset1:3
	s_waitcnt vmcnt(7)
	ds_write2_b64 v5, v[14:15], v[16:17] offset0:4 offset1:5
	s_waitcnt vmcnt(6)
	ds_write2_b64 v5, v[18:19], v[20:21] offset0:6 offset1:7
	s_waitcnt vmcnt(5)
	ds_write2_b64 v5, v[22:23], v[24:25] offset0:8 offset1:9
	s_waitcnt vmcnt(4)
	ds_write2_b64 v5, v[26:27], v[28:29] offset0:10 offset1:11
	s_waitcnt vmcnt(3)
	ds_write2_b64 v5, v[30:31], v[32:33] offset0:12 offset1:13
	s_waitcnt vmcnt(2)
	ds_write2_b64 v5, v[34:35], v[36:37] offset0:14 offset1:15
	s_waitcnt vmcnt(1)
	ds_write2_b64 v5, v[38:39], v[40:41] offset0:16 offset1:17
	s_waitcnt vmcnt(0)
	ds_write2_b64 v5, v[50:51], v[52:53] offset0:18 offset1:19
	s_cbranch_scc0 .LBB120_520
; %bb.521:
	v_mov_b32_e32 v81, 20
.LBB120_522:
	s_or_b64 exec, exec, s[0:1]
	v_cmp_lt_i32_e32 vcc, 20, v81
	s_waitcnt lgkmcnt(0)
	s_barrier
	s_and_saveexec_b64 s[0:1], vcc
	s_cbranch_execz .LBB120_525
; %bb.523:
	scratch_load_dwordx4 v[8:11], off, off offset:320
	s_mov_b32 s12, 0
	s_waitcnt vmcnt(0)
	v_mul_f64 v[4:5], v[2:3], v[10:11]
	v_mul_f64 v[6:7], v[0:1], v[10:11]
	v_fma_f64 v[4:5], v[0:1], v[8:9], -v[4:5]
	v_fmac_f64_e32 v[6:7], v[2:3], v[8:9]
	v_add_u32_e32 v0, 0x150, v78
	scratch_store_dwordx4 off, v[4:7], off offset:320
.LBB120_524:                            ; =>This Inner Loop Header: Depth=1
	v_add_u32_e32 v1, s12, v0
	ds_read2_b64 v[8:11], v1 offset1:1
	ds_read2_b64 v[12:15], v1 offset0:2 offset1:3
	ds_read2_b64 v[16:19], v1 offset0:4 offset1:5
	;; [unrolled: 1-line block ×5, first 2 shown]
	s_add_i32 s13, s12, 0x150
	s_waitcnt lgkmcnt(5)
	v_mul_f64 v[2:3], v[10:11], v[6:7]
	v_mul_f64 v[66:67], v[8:9], v[6:7]
	s_waitcnt lgkmcnt(4)
	v_mul_f64 v[68:69], v[14:15], v[6:7]
	v_mul_f64 v[70:71], v[12:13], v[6:7]
	;; [unrolled: 3-line block ×6, first 2 shown]
	s_add_i32 s14, s12, 0x160
	s_add_i32 s5, s12, 0x170
	;; [unrolled: 1-line block ×7, first 2 shown]
	scratch_load_dwordx4 v[32:35], off, s13
	scratch_load_dwordx4 v[36:39], off, s14
	;; [unrolled: 1-line block ×7, first 2 shown]
	v_fma_f64 v[2:3], v[8:9], v[4:5], -v[2:3]
	v_fmac_f64_e32 v[66:67], v[10:11], v[4:5]
	v_fma_f64 v[68:69], v[12:13], v[4:5], -v[68:69]
	v_fmac_f64_e32 v[70:71], v[14:15], v[4:5]
	;; [unrolled: 2-line block ×6, first 2 shown]
	scratch_load_dwordx4 v[4:7], off, off offset:320
	scratch_load_dwordx4 v[8:11], off, s4
	ds_read2_b64 v[12:15], v1 offset0:12 offset1:13
	ds_read2_b64 v[16:19], v1 offset0:14 offset1:15
	s_addk_i32 s12, 0x80
	s_cmpk_lg_i32 s12, 0x280
	s_waitcnt vmcnt(8)
	v_add_f64 v[20:21], v[32:33], -v[2:3]
	v_add_f64 v[22:23], v[34:35], -v[66:67]
	s_waitcnt vmcnt(7)
	v_add_f64 v[24:25], v[36:37], -v[68:69]
	v_add_f64 v[26:27], v[38:39], -v[70:71]
	;; [unrolled: 3-line block ×6, first 2 shown]
	scratch_store_dwordx4 off, v[20:23], s13
	scratch_store_dwordx4 off, v[24:27], s14
	;; [unrolled: 1-line block ×6, first 2 shown]
	s_waitcnt vmcnt(7) lgkmcnt(1)
	v_mul_f64 v[2:3], v[14:15], v[6:7]
	v_mul_f64 v[20:21], v[12:13], v[6:7]
	s_waitcnt lgkmcnt(0)
	v_mul_f64 v[22:23], v[18:19], v[6:7]
	v_mul_f64 v[24:25], v[16:17], v[6:7]
	v_fma_f64 v[2:3], v[12:13], v[4:5], -v[2:3]
	v_fmac_f64_e32 v[20:21], v[14:15], v[4:5]
	v_fma_f64 v[16:17], v[16:17], v[4:5], -v[22:23]
	v_fmac_f64_e32 v[24:25], v[18:19], v[4:5]
	v_add_f64 v[12:13], v[62:63], -v[2:3]
	v_add_f64 v[14:15], v[64:65], -v[20:21]
	s_waitcnt vmcnt(6)
	v_add_f64 v[8:9], v[8:9], -v[16:17]
	v_add_f64 v[10:11], v[10:11], -v[24:25]
	scratch_store_dwordx4 off, v[12:15], s67
	scratch_store_dwordx4 off, v[8:11], s4
	s_cbranch_scc1 .LBB120_524
.LBB120_525:
	s_or_b64 exec, exec, s[0:1]
	s_barrier
	scratch_load_dwordx4 v[0:3], off, s58
	v_lshl_add_u32 v4, v81, 4, v78
	s_cmp_lt_i32 s51, 23
	s_waitcnt vmcnt(0)
	ds_write2_b64 v4, v[0:1], v[2:3] offset1:1
	s_waitcnt lgkmcnt(0)
	s_barrier
	ds_read2_b64 v[0:3], v78 offset0:42 offset1:43
	v_mov_b32_e32 v4, 21
	s_cbranch_scc1 .LBB120_528
; %bb.526:
	v_add_u32_e32 v5, 0x160, v78
	s_mov_b32 s4, 22
	v_mov_b32_e32 v4, 21
.LBB120_527:                            ; =>This Inner Loop Header: Depth=1
	ds_read2_b64 v[6:9], v5 offset1:1
	s_waitcnt lgkmcnt(1)
	v_xor_b32_e32 v11, 0x80000000, v1
	v_xor_b32_e32 v13, 0x80000000, v3
	v_cmp_gt_f64_e32 vcc, 0, v[2:3]
	v_cmp_gt_f64_e64 s[0:1], 0, v[0:1]
	v_mov_b32_e32 v10, v0
	v_mov_b32_e32 v12, v2
	v_cndmask_b32_e64 v11, v1, v11, s[0:1]
	v_cndmask_b32_e32 v13, v3, v13, vcc
	v_add_f64 v[10:11], v[10:11], v[12:13]
	s_waitcnt lgkmcnt(0)
	v_xor_b32_e32 v13, 0x80000000, v7
	v_xor_b32_e32 v15, 0x80000000, v9
	v_cmp_gt_f64_e32 vcc, 0, v[8:9]
	v_cmp_gt_f64_e64 s[0:1], 0, v[6:7]
	v_mov_b32_e32 v12, v6
	v_mov_b32_e32 v14, v8
	v_cndmask_b32_e64 v13, v7, v13, s[0:1]
	v_cndmask_b32_e32 v15, v9, v15, vcc
	v_add_f64 v[12:13], v[12:13], v[14:15]
	v_mov_b32_e32 v16, s4
	s_add_i32 s4, s4, 1
	v_cmp_lt_f64_e32 vcc, v[10:11], v[12:13]
	v_add_u32_e32 v5, 16, v5
	s_cmp_lg_u32 s51, s4
	v_cndmask_b32_e32 v1, v1, v7, vcc
	v_cndmask_b32_e32 v0, v0, v6, vcc
	;; [unrolled: 1-line block ×5, first 2 shown]
	s_cbranch_scc1 .LBB120_527
.LBB120_528:
	s_waitcnt lgkmcnt(0)
	v_cmp_eq_f64_e32 vcc, 0, v[0:1]
	v_cmp_eq_f64_e64 s[0:1], 0, v[2:3]
	s_and_b64 s[0:1], vcc, s[0:1]
	s_and_saveexec_b64 s[4:5], s[0:1]
	s_xor_b64 s[0:1], exec, s[4:5]
; %bb.529:
	v_cmp_ne_u32_e32 vcc, 0, v79
	s_nop 1
	v_cndmask_b32_e32 v79, 22, v79, vcc
; %bb.530:
	s_andn2_saveexec_b64 s[0:1], s[0:1]
	s_cbranch_execz .LBB120_536
; %bb.531:
	v_cmp_ngt_f64_e64 s[4:5], |v[0:1]|, |v[2:3]|
	s_and_saveexec_b64 s[12:13], s[4:5]
	s_xor_b64 s[12:13], exec, s[12:13]
	s_cbranch_execz .LBB120_533
; %bb.532:
	v_div_scale_f64 v[6:7], s[4:5], v[2:3], v[2:3], v[0:1]
	v_rcp_f64_e32 v[8:9], v[6:7]
	v_div_scale_f64 v[10:11], vcc, v[0:1], v[2:3], v[0:1]
	v_fma_f64 v[12:13], -v[6:7], v[8:9], 1.0
	v_fmac_f64_e32 v[8:9], v[8:9], v[12:13]
	v_fma_f64 v[12:13], -v[6:7], v[8:9], 1.0
	v_fmac_f64_e32 v[8:9], v[8:9], v[12:13]
	v_mul_f64 v[12:13], v[10:11], v[8:9]
	v_fma_f64 v[6:7], -v[6:7], v[12:13], v[10:11]
	v_div_fmas_f64 v[6:7], v[6:7], v[8:9], v[12:13]
	v_div_fixup_f64 v[6:7], v[6:7], v[2:3], v[0:1]
	v_fmac_f64_e32 v[2:3], v[0:1], v[6:7]
	v_div_scale_f64 v[0:1], s[4:5], v[2:3], v[2:3], 1.0
	v_rcp_f64_e32 v[8:9], v[0:1]
	s_nop 0
	v_fma_f64 v[10:11], -v[0:1], v[8:9], 1.0
	v_fmac_f64_e32 v[8:9], v[8:9], v[10:11]
	v_fma_f64 v[10:11], -v[0:1], v[8:9], 1.0
	v_fmac_f64_e32 v[8:9], v[8:9], v[10:11]
	v_div_scale_f64 v[10:11], vcc, 1.0, v[2:3], 1.0
	v_mul_f64 v[12:13], v[10:11], v[8:9]
	v_fma_f64 v[0:1], -v[0:1], v[12:13], v[10:11]
	s_nop 1
	v_div_fmas_f64 v[0:1], v[0:1], v[8:9], v[12:13]
	v_div_fixup_f64 v[2:3], v[0:1], v[2:3], 1.0
	v_mul_f64 v[0:1], v[6:7], v[2:3]
	v_xor_b32_e32 v3, 0x80000000, v3
.LBB120_533:
	s_andn2_saveexec_b64 s[12:13], s[12:13]
	s_cbranch_execz .LBB120_535
; %bb.534:
	v_div_scale_f64 v[6:7], s[4:5], v[0:1], v[0:1], v[2:3]
	v_rcp_f64_e32 v[8:9], v[6:7]
	v_div_scale_f64 v[10:11], vcc, v[2:3], v[0:1], v[2:3]
	v_fma_f64 v[12:13], -v[6:7], v[8:9], 1.0
	v_fmac_f64_e32 v[8:9], v[8:9], v[12:13]
	v_fma_f64 v[12:13], -v[6:7], v[8:9], 1.0
	v_fmac_f64_e32 v[8:9], v[8:9], v[12:13]
	v_mul_f64 v[12:13], v[10:11], v[8:9]
	v_fma_f64 v[6:7], -v[6:7], v[12:13], v[10:11]
	v_div_fmas_f64 v[6:7], v[6:7], v[8:9], v[12:13]
	v_div_fixup_f64 v[6:7], v[6:7], v[0:1], v[2:3]
	v_fmac_f64_e32 v[0:1], v[2:3], v[6:7]
	v_div_scale_f64 v[2:3], s[4:5], v[0:1], v[0:1], 1.0
	v_rcp_f64_e32 v[8:9], v[2:3]
	s_nop 0
	v_fma_f64 v[10:11], -v[2:3], v[8:9], 1.0
	v_fmac_f64_e32 v[8:9], v[8:9], v[10:11]
	v_fma_f64 v[10:11], -v[2:3], v[8:9], 1.0
	v_fmac_f64_e32 v[8:9], v[8:9], v[10:11]
	v_div_scale_f64 v[10:11], vcc, 1.0, v[0:1], 1.0
	v_mul_f64 v[12:13], v[10:11], v[8:9]
	v_fma_f64 v[2:3], -v[2:3], v[12:13], v[10:11]
	s_nop 1
	v_div_fmas_f64 v[2:3], v[2:3], v[8:9], v[12:13]
	v_div_fixup_f64 v[0:1], v[2:3], v[0:1], 1.0
	v_mul_f64 v[2:3], v[6:7], -v[0:1]
.LBB120_535:
	s_or_b64 exec, exec, s[12:13]
.LBB120_536:
	s_or_b64 exec, exec, s[0:1]
	v_cmp_ne_u32_e32 vcc, v81, v4
	s_and_saveexec_b64 s[0:1], vcc
	s_xor_b64 s[0:1], exec, s[0:1]
	s_cbranch_execz .LBB120_542
; %bb.537:
	v_cmp_eq_u32_e32 vcc, 21, v81
	s_and_saveexec_b64 s[12:13], vcc
	s_cbranch_execz .LBB120_541
; %bb.538:
	v_cmp_ne_u32_e32 vcc, 21, v4
	s_xor_b64 s[4:5], s[18:19], -1
	s_and_b64 s[4:5], s[4:5], vcc
	s_and_saveexec_b64 s[14:15], s[4:5]
	s_cbranch_execz .LBB120_540
; %bb.539:
	v_ashrrev_i32_e32 v5, 31, v4
	v_lshl_add_u64 v[6:7], v[4:5], 2, v[46:47]
	global_load_dword v5, v[6:7], off
	global_load_dword v8, v[46:47], off offset:84
	s_waitcnt vmcnt(1)
	global_store_dword v[46:47], v5, off offset:84
	s_waitcnt vmcnt(1)
	global_store_dword v[6:7], v8, off
.LBB120_540:
	s_or_b64 exec, exec, s[14:15]
	v_mov_b32_e32 v81, v4
	v_mov_b32_e32 v80, v4
.LBB120_541:
	s_or_b64 exec, exec, s[12:13]
.LBB120_542:
	s_andn2_saveexec_b64 s[0:1], s[0:1]
	s_cbranch_execz .LBB120_546
; %bb.543:
	s_mov_b32 s4, 0
	v_add_u32_e32 v4, 0x160, v78
.LBB120_544:                            ; =>This Inner Loop Header: Depth=1
	s_add_i32 s12, s4, 0x160
	s_add_i32 s13, s4, 0x170
	;; [unrolled: 1-line block ×13, first 2 shown]
	scratch_load_dwordx4 v[6:9], off, s12
	scratch_load_dwordx4 v[10:13], off, s13
	;; [unrolled: 1-line block ×13, first 2 shown]
	v_add_u32_e32 v5, s4, v4
	s_addk_i32 s4, 0xd0
	s_cmpk_eq_i32 s4, 0x270
	s_waitcnt vmcnt(12)
	ds_write2_b64 v5, v[6:7], v[8:9] offset1:1
	s_waitcnt vmcnt(11)
	ds_write2_b64 v5, v[10:11], v[12:13] offset0:2 offset1:3
	s_waitcnt vmcnt(10)
	ds_write2_b64 v5, v[14:15], v[16:17] offset0:4 offset1:5
	;; [unrolled: 2-line block ×12, first 2 shown]
	s_cbranch_scc0 .LBB120_544
; %bb.545:
	v_mov_b32_e32 v81, 21
.LBB120_546:
	s_or_b64 exec, exec, s[0:1]
	v_cmp_lt_i32_e32 vcc, 21, v81
	s_waitcnt lgkmcnt(0)
	s_barrier
	s_and_saveexec_b64 s[0:1], vcc
	s_cbranch_execz .LBB120_549
; %bb.547:
	scratch_load_dwordx4 v[8:11], off, off offset:336
	s_mov_b32 s4, 0
	s_waitcnt vmcnt(0)
	v_mul_f64 v[4:5], v[2:3], v[10:11]
	v_mul_f64 v[6:7], v[0:1], v[10:11]
	v_fma_f64 v[4:5], v[0:1], v[8:9], -v[4:5]
	v_fmac_f64_e32 v[6:7], v[2:3], v[8:9]
	v_add_u32_e32 v0, 0x160, v78
	scratch_store_dwordx4 off, v[4:7], off offset:336
.LBB120_548:                            ; =>This Inner Loop Header: Depth=1
	s_add_i32 s12, s4, 0x160
	s_add_i32 s13, s4, 0x170
	;; [unrolled: 1-line block ×3, first 2 shown]
	scratch_load_dwordx4 v[8:11], off, s12
	scratch_load_dwordx4 v[12:15], off, s13
	;; [unrolled: 1-line block ×3, first 2 shown]
	v_add_u32_e32 v1, s4, v0
	ds_read2_b64 v[20:23], v1 offset1:1
	ds_read2_b64 v[24:27], v1 offset0:2 offset1:3
	ds_read2_b64 v[28:31], v1 offset0:4 offset1:5
	s_add_i32 s4, s4, 48
	s_cmpk_lg_i32 s4, 0x270
	s_waitcnt lgkmcnt(2)
	v_mul_f64 v[2:3], v[22:23], v[6:7]
	v_mul_f64 v[32:33], v[20:21], v[6:7]
	s_waitcnt lgkmcnt(1)
	v_mul_f64 v[34:35], v[26:27], v[6:7]
	v_mul_f64 v[36:37], v[24:25], v[6:7]
	;; [unrolled: 3-line block ×3, first 2 shown]
	v_fma_f64 v[2:3], v[20:21], v[4:5], -v[2:3]
	v_fmac_f64_e32 v[32:33], v[22:23], v[4:5]
	v_fma_f64 v[20:21], v[24:25], v[4:5], -v[34:35]
	v_fmac_f64_e32 v[36:37], v[26:27], v[4:5]
	;; [unrolled: 2-line block ×3, first 2 shown]
	s_waitcnt vmcnt(2)
	v_add_f64 v[8:9], v[8:9], -v[2:3]
	v_add_f64 v[10:11], v[10:11], -v[32:33]
	s_waitcnt vmcnt(1)
	v_add_f64 v[12:13], v[12:13], -v[20:21]
	v_add_f64 v[14:15], v[14:15], -v[36:37]
	;; [unrolled: 3-line block ×3, first 2 shown]
	scratch_store_dwordx4 off, v[8:11], s12
	scratch_store_dwordx4 off, v[12:15], s13
	;; [unrolled: 1-line block ×3, first 2 shown]
	s_cbranch_scc1 .LBB120_548
.LBB120_549:
	s_or_b64 exec, exec, s[0:1]
	s_barrier
	scratch_load_dwordx4 v[0:3], off, s56
	v_lshl_add_u32 v4, v81, 4, v78
	s_cmp_lt_i32 s51, 24
	s_waitcnt vmcnt(0)
	ds_write2_b64 v4, v[0:1], v[2:3] offset1:1
	s_waitcnt lgkmcnt(0)
	s_barrier
	ds_read2_b64 v[0:3], v78 offset0:44 offset1:45
	v_mov_b32_e32 v4, 22
	s_cbranch_scc1 .LBB120_552
; %bb.550:
	v_add_u32_e32 v5, 0x170, v78
	s_mov_b32 s4, 23
	v_mov_b32_e32 v4, 22
.LBB120_551:                            ; =>This Inner Loop Header: Depth=1
	ds_read2_b64 v[6:9], v5 offset1:1
	s_waitcnt lgkmcnt(1)
	v_xor_b32_e32 v11, 0x80000000, v1
	v_xor_b32_e32 v13, 0x80000000, v3
	v_cmp_gt_f64_e32 vcc, 0, v[2:3]
	v_cmp_gt_f64_e64 s[0:1], 0, v[0:1]
	v_mov_b32_e32 v10, v0
	v_mov_b32_e32 v12, v2
	v_cndmask_b32_e64 v11, v1, v11, s[0:1]
	v_cndmask_b32_e32 v13, v3, v13, vcc
	v_add_f64 v[10:11], v[10:11], v[12:13]
	s_waitcnt lgkmcnt(0)
	v_xor_b32_e32 v13, 0x80000000, v7
	v_xor_b32_e32 v15, 0x80000000, v9
	v_cmp_gt_f64_e32 vcc, 0, v[8:9]
	v_cmp_gt_f64_e64 s[0:1], 0, v[6:7]
	v_mov_b32_e32 v12, v6
	v_mov_b32_e32 v14, v8
	v_cndmask_b32_e64 v13, v7, v13, s[0:1]
	v_cndmask_b32_e32 v15, v9, v15, vcc
	v_add_f64 v[12:13], v[12:13], v[14:15]
	v_mov_b32_e32 v16, s4
	s_add_i32 s4, s4, 1
	v_cmp_lt_f64_e32 vcc, v[10:11], v[12:13]
	v_add_u32_e32 v5, 16, v5
	s_cmp_lg_u32 s51, s4
	v_cndmask_b32_e32 v1, v1, v7, vcc
	v_cndmask_b32_e32 v0, v0, v6, vcc
	;; [unrolled: 1-line block ×5, first 2 shown]
	s_cbranch_scc1 .LBB120_551
.LBB120_552:
	s_waitcnt lgkmcnt(0)
	v_cmp_eq_f64_e32 vcc, 0, v[0:1]
	v_cmp_eq_f64_e64 s[0:1], 0, v[2:3]
	s_and_b64 s[0:1], vcc, s[0:1]
	s_and_saveexec_b64 s[4:5], s[0:1]
	s_xor_b64 s[0:1], exec, s[4:5]
; %bb.553:
	v_cmp_ne_u32_e32 vcc, 0, v79
	s_nop 1
	v_cndmask_b32_e32 v79, 23, v79, vcc
; %bb.554:
	s_andn2_saveexec_b64 s[0:1], s[0:1]
	s_cbranch_execz .LBB120_560
; %bb.555:
	v_cmp_ngt_f64_e64 s[4:5], |v[0:1]|, |v[2:3]|
	s_and_saveexec_b64 s[12:13], s[4:5]
	s_xor_b64 s[12:13], exec, s[12:13]
	s_cbranch_execz .LBB120_557
; %bb.556:
	v_div_scale_f64 v[6:7], s[4:5], v[2:3], v[2:3], v[0:1]
	v_rcp_f64_e32 v[8:9], v[6:7]
	v_div_scale_f64 v[10:11], vcc, v[0:1], v[2:3], v[0:1]
	v_fma_f64 v[12:13], -v[6:7], v[8:9], 1.0
	v_fmac_f64_e32 v[8:9], v[8:9], v[12:13]
	v_fma_f64 v[12:13], -v[6:7], v[8:9], 1.0
	v_fmac_f64_e32 v[8:9], v[8:9], v[12:13]
	v_mul_f64 v[12:13], v[10:11], v[8:9]
	v_fma_f64 v[6:7], -v[6:7], v[12:13], v[10:11]
	v_div_fmas_f64 v[6:7], v[6:7], v[8:9], v[12:13]
	v_div_fixup_f64 v[6:7], v[6:7], v[2:3], v[0:1]
	v_fmac_f64_e32 v[2:3], v[0:1], v[6:7]
	v_div_scale_f64 v[0:1], s[4:5], v[2:3], v[2:3], 1.0
	v_rcp_f64_e32 v[8:9], v[0:1]
	s_nop 0
	v_fma_f64 v[10:11], -v[0:1], v[8:9], 1.0
	v_fmac_f64_e32 v[8:9], v[8:9], v[10:11]
	v_fma_f64 v[10:11], -v[0:1], v[8:9], 1.0
	v_fmac_f64_e32 v[8:9], v[8:9], v[10:11]
	v_div_scale_f64 v[10:11], vcc, 1.0, v[2:3], 1.0
	v_mul_f64 v[12:13], v[10:11], v[8:9]
	v_fma_f64 v[0:1], -v[0:1], v[12:13], v[10:11]
	s_nop 1
	v_div_fmas_f64 v[0:1], v[0:1], v[8:9], v[12:13]
	v_div_fixup_f64 v[2:3], v[0:1], v[2:3], 1.0
	v_mul_f64 v[0:1], v[6:7], v[2:3]
	v_xor_b32_e32 v3, 0x80000000, v3
.LBB120_557:
	s_andn2_saveexec_b64 s[12:13], s[12:13]
	s_cbranch_execz .LBB120_559
; %bb.558:
	v_div_scale_f64 v[6:7], s[4:5], v[0:1], v[0:1], v[2:3]
	v_rcp_f64_e32 v[8:9], v[6:7]
	v_div_scale_f64 v[10:11], vcc, v[2:3], v[0:1], v[2:3]
	v_fma_f64 v[12:13], -v[6:7], v[8:9], 1.0
	v_fmac_f64_e32 v[8:9], v[8:9], v[12:13]
	v_fma_f64 v[12:13], -v[6:7], v[8:9], 1.0
	v_fmac_f64_e32 v[8:9], v[8:9], v[12:13]
	v_mul_f64 v[12:13], v[10:11], v[8:9]
	v_fma_f64 v[6:7], -v[6:7], v[12:13], v[10:11]
	v_div_fmas_f64 v[6:7], v[6:7], v[8:9], v[12:13]
	v_div_fixup_f64 v[6:7], v[6:7], v[0:1], v[2:3]
	v_fmac_f64_e32 v[0:1], v[2:3], v[6:7]
	v_div_scale_f64 v[2:3], s[4:5], v[0:1], v[0:1], 1.0
	v_rcp_f64_e32 v[8:9], v[2:3]
	s_nop 0
	v_fma_f64 v[10:11], -v[2:3], v[8:9], 1.0
	v_fmac_f64_e32 v[8:9], v[8:9], v[10:11]
	v_fma_f64 v[10:11], -v[2:3], v[8:9], 1.0
	v_fmac_f64_e32 v[8:9], v[8:9], v[10:11]
	v_div_scale_f64 v[10:11], vcc, 1.0, v[0:1], 1.0
	v_mul_f64 v[12:13], v[10:11], v[8:9]
	v_fma_f64 v[2:3], -v[2:3], v[12:13], v[10:11]
	s_nop 1
	v_div_fmas_f64 v[2:3], v[2:3], v[8:9], v[12:13]
	v_div_fixup_f64 v[0:1], v[2:3], v[0:1], 1.0
	v_mul_f64 v[2:3], v[6:7], -v[0:1]
.LBB120_559:
	s_or_b64 exec, exec, s[12:13]
.LBB120_560:
	s_or_b64 exec, exec, s[0:1]
	v_cmp_ne_u32_e32 vcc, v81, v4
	s_and_saveexec_b64 s[0:1], vcc
	s_xor_b64 s[0:1], exec, s[0:1]
	s_cbranch_execz .LBB120_566
; %bb.561:
	v_cmp_eq_u32_e32 vcc, 22, v81
	s_and_saveexec_b64 s[12:13], vcc
	s_cbranch_execz .LBB120_565
; %bb.562:
	v_cmp_ne_u32_e32 vcc, 22, v4
	s_xor_b64 s[4:5], s[18:19], -1
	s_and_b64 s[4:5], s[4:5], vcc
	s_and_saveexec_b64 s[14:15], s[4:5]
	s_cbranch_execz .LBB120_564
; %bb.563:
	v_ashrrev_i32_e32 v5, 31, v4
	v_lshl_add_u64 v[6:7], v[4:5], 2, v[46:47]
	global_load_dword v5, v[6:7], off
	global_load_dword v8, v[46:47], off offset:88
	s_waitcnt vmcnt(1)
	global_store_dword v[46:47], v5, off offset:88
	s_waitcnt vmcnt(1)
	global_store_dword v[6:7], v8, off
.LBB120_564:
	s_or_b64 exec, exec, s[14:15]
	v_mov_b32_e32 v81, v4
	v_mov_b32_e32 v80, v4
.LBB120_565:
	s_or_b64 exec, exec, s[12:13]
.LBB120_566:
	s_andn2_saveexec_b64 s[0:1], s[0:1]
	s_cbranch_execz .LBB120_570
; %bb.567:
	s_mov_b32 s4, 0
	v_add_u32_e32 v4, 0x170, v78
.LBB120_568:                            ; =>This Inner Loop Header: Depth=1
	s_add_i32 s12, s4, 0x170
	s_add_i32 s5, s4, 0x180
	scratch_load_dwordx4 v[6:9], off, s12
	scratch_load_dwordx4 v[10:13], off, s5
	v_add_u32_e32 v5, s4, v4
	s_add_i32 s4, s4, 32
	s_cmpk_eq_i32 s4, 0x260
	s_waitcnt vmcnt(1)
	ds_write2_b64 v5, v[6:7], v[8:9] offset1:1
	s_waitcnt vmcnt(0)
	ds_write2_b64 v5, v[10:11], v[12:13] offset0:2 offset1:3
	s_cbranch_scc0 .LBB120_568
; %bb.569:
	v_mov_b32_e32 v81, 22
.LBB120_570:
	s_or_b64 exec, exec, s[0:1]
	v_cmp_lt_i32_e32 vcc, 22, v81
	s_waitcnt lgkmcnt(0)
	s_barrier
	s_and_saveexec_b64 s[0:1], vcc
	s_cbranch_execz .LBB120_573
; %bb.571:
	scratch_load_dwordx4 v[8:11], off, off offset:352
	s_mov_b32 s4, 0
	s_waitcnt vmcnt(0)
	v_mul_f64 v[4:5], v[2:3], v[10:11]
	v_mul_f64 v[6:7], v[0:1], v[10:11]
	v_fma_f64 v[4:5], v[0:1], v[8:9], -v[4:5]
	v_fmac_f64_e32 v[6:7], v[2:3], v[8:9]
	v_add_u32_e32 v0, 0x170, v78
	scratch_store_dwordx4 off, v[4:7], off offset:352
.LBB120_572:                            ; =>This Inner Loop Header: Depth=1
	s_add_i32 s12, s4, 0x170
	s_add_i32 s5, s4, 0x180
	scratch_load_dwordx4 v[8:11], off, s12
	scratch_load_dwordx4 v[12:15], off, s5
	v_add_u32_e32 v1, s4, v0
	ds_read2_b64 v[16:19], v1 offset1:1
	ds_read2_b64 v[20:23], v1 offset0:2 offset1:3
	s_add_i32 s4, s4, 32
	s_cmpk_lg_i32 s4, 0x260
	s_waitcnt lgkmcnt(1)
	v_mul_f64 v[2:3], v[18:19], v[6:7]
	v_mul_f64 v[24:25], v[16:17], v[6:7]
	s_waitcnt lgkmcnt(0)
	v_mul_f64 v[26:27], v[22:23], v[6:7]
	v_mul_f64 v[28:29], v[20:21], v[6:7]
	v_fma_f64 v[2:3], v[16:17], v[4:5], -v[2:3]
	v_fmac_f64_e32 v[24:25], v[18:19], v[4:5]
	v_fma_f64 v[16:17], v[20:21], v[4:5], -v[26:27]
	v_fmac_f64_e32 v[28:29], v[22:23], v[4:5]
	s_waitcnt vmcnt(1)
	v_add_f64 v[8:9], v[8:9], -v[2:3]
	v_add_f64 v[10:11], v[10:11], -v[24:25]
	s_waitcnt vmcnt(0)
	v_add_f64 v[12:13], v[12:13], -v[16:17]
	v_add_f64 v[14:15], v[14:15], -v[28:29]
	scratch_store_dwordx4 off, v[8:11], s12
	scratch_store_dwordx4 off, v[12:15], s5
	s_cbranch_scc1 .LBB120_572
.LBB120_573:
	s_or_b64 exec, exec, s[0:1]
	s_barrier
	scratch_load_dwordx4 v[0:3], off, s62
	v_lshl_add_u32 v4, v81, 4, v78
	s_cmp_lt_i32 s51, 25
	s_waitcnt vmcnt(0)
	ds_write2_b64 v4, v[0:1], v[2:3] offset1:1
	s_waitcnt lgkmcnt(0)
	s_barrier
	ds_read2_b64 v[0:3], v78 offset0:46 offset1:47
	v_mov_b32_e32 v4, 23
	s_cbranch_scc1 .LBB120_576
; %bb.574:
	v_add_u32_e32 v5, 0x180, v78
	s_mov_b32 s4, 24
	v_mov_b32_e32 v4, 23
.LBB120_575:                            ; =>This Inner Loop Header: Depth=1
	ds_read2_b64 v[6:9], v5 offset1:1
	s_waitcnt lgkmcnt(1)
	v_xor_b32_e32 v11, 0x80000000, v1
	v_xor_b32_e32 v13, 0x80000000, v3
	v_cmp_gt_f64_e32 vcc, 0, v[2:3]
	v_cmp_gt_f64_e64 s[0:1], 0, v[0:1]
	v_mov_b32_e32 v10, v0
	v_mov_b32_e32 v12, v2
	v_cndmask_b32_e64 v11, v1, v11, s[0:1]
	v_cndmask_b32_e32 v13, v3, v13, vcc
	v_add_f64 v[10:11], v[10:11], v[12:13]
	s_waitcnt lgkmcnt(0)
	v_xor_b32_e32 v13, 0x80000000, v7
	v_xor_b32_e32 v15, 0x80000000, v9
	v_cmp_gt_f64_e32 vcc, 0, v[8:9]
	v_cmp_gt_f64_e64 s[0:1], 0, v[6:7]
	v_mov_b32_e32 v12, v6
	v_mov_b32_e32 v14, v8
	v_cndmask_b32_e64 v13, v7, v13, s[0:1]
	v_cndmask_b32_e32 v15, v9, v15, vcc
	v_add_f64 v[12:13], v[12:13], v[14:15]
	v_mov_b32_e32 v16, s4
	s_add_i32 s4, s4, 1
	v_cmp_lt_f64_e32 vcc, v[10:11], v[12:13]
	v_add_u32_e32 v5, 16, v5
	s_cmp_lg_u32 s51, s4
	v_cndmask_b32_e32 v1, v1, v7, vcc
	v_cndmask_b32_e32 v0, v0, v6, vcc
	;; [unrolled: 1-line block ×5, first 2 shown]
	s_cbranch_scc1 .LBB120_575
.LBB120_576:
	s_waitcnt lgkmcnt(0)
	v_cmp_eq_f64_e32 vcc, 0, v[0:1]
	v_cmp_eq_f64_e64 s[0:1], 0, v[2:3]
	s_and_b64 s[0:1], vcc, s[0:1]
	s_and_saveexec_b64 s[4:5], s[0:1]
	s_xor_b64 s[0:1], exec, s[4:5]
; %bb.577:
	v_cmp_ne_u32_e32 vcc, 0, v79
	s_nop 1
	v_cndmask_b32_e32 v79, 24, v79, vcc
; %bb.578:
	s_andn2_saveexec_b64 s[0:1], s[0:1]
	s_cbranch_execz .LBB120_584
; %bb.579:
	v_cmp_ngt_f64_e64 s[4:5], |v[0:1]|, |v[2:3]|
	s_and_saveexec_b64 s[12:13], s[4:5]
	s_xor_b64 s[12:13], exec, s[12:13]
	s_cbranch_execz .LBB120_581
; %bb.580:
	v_div_scale_f64 v[6:7], s[4:5], v[2:3], v[2:3], v[0:1]
	v_rcp_f64_e32 v[8:9], v[6:7]
	v_div_scale_f64 v[10:11], vcc, v[0:1], v[2:3], v[0:1]
	v_fma_f64 v[12:13], -v[6:7], v[8:9], 1.0
	v_fmac_f64_e32 v[8:9], v[8:9], v[12:13]
	v_fma_f64 v[12:13], -v[6:7], v[8:9], 1.0
	v_fmac_f64_e32 v[8:9], v[8:9], v[12:13]
	v_mul_f64 v[12:13], v[10:11], v[8:9]
	v_fma_f64 v[6:7], -v[6:7], v[12:13], v[10:11]
	v_div_fmas_f64 v[6:7], v[6:7], v[8:9], v[12:13]
	v_div_fixup_f64 v[6:7], v[6:7], v[2:3], v[0:1]
	v_fmac_f64_e32 v[2:3], v[0:1], v[6:7]
	v_div_scale_f64 v[0:1], s[4:5], v[2:3], v[2:3], 1.0
	v_rcp_f64_e32 v[8:9], v[0:1]
	s_nop 0
	v_fma_f64 v[10:11], -v[0:1], v[8:9], 1.0
	v_fmac_f64_e32 v[8:9], v[8:9], v[10:11]
	v_fma_f64 v[10:11], -v[0:1], v[8:9], 1.0
	v_fmac_f64_e32 v[8:9], v[8:9], v[10:11]
	v_div_scale_f64 v[10:11], vcc, 1.0, v[2:3], 1.0
	v_mul_f64 v[12:13], v[10:11], v[8:9]
	v_fma_f64 v[0:1], -v[0:1], v[12:13], v[10:11]
	s_nop 1
	v_div_fmas_f64 v[0:1], v[0:1], v[8:9], v[12:13]
	v_div_fixup_f64 v[2:3], v[0:1], v[2:3], 1.0
	v_mul_f64 v[0:1], v[6:7], v[2:3]
	v_xor_b32_e32 v3, 0x80000000, v3
.LBB120_581:
	s_andn2_saveexec_b64 s[12:13], s[12:13]
	s_cbranch_execz .LBB120_583
; %bb.582:
	v_div_scale_f64 v[6:7], s[4:5], v[0:1], v[0:1], v[2:3]
	v_rcp_f64_e32 v[8:9], v[6:7]
	v_div_scale_f64 v[10:11], vcc, v[2:3], v[0:1], v[2:3]
	v_fma_f64 v[12:13], -v[6:7], v[8:9], 1.0
	v_fmac_f64_e32 v[8:9], v[8:9], v[12:13]
	v_fma_f64 v[12:13], -v[6:7], v[8:9], 1.0
	v_fmac_f64_e32 v[8:9], v[8:9], v[12:13]
	v_mul_f64 v[12:13], v[10:11], v[8:9]
	v_fma_f64 v[6:7], -v[6:7], v[12:13], v[10:11]
	v_div_fmas_f64 v[6:7], v[6:7], v[8:9], v[12:13]
	v_div_fixup_f64 v[6:7], v[6:7], v[0:1], v[2:3]
	v_fmac_f64_e32 v[0:1], v[2:3], v[6:7]
	v_div_scale_f64 v[2:3], s[4:5], v[0:1], v[0:1], 1.0
	v_rcp_f64_e32 v[8:9], v[2:3]
	s_nop 0
	v_fma_f64 v[10:11], -v[2:3], v[8:9], 1.0
	v_fmac_f64_e32 v[8:9], v[8:9], v[10:11]
	v_fma_f64 v[10:11], -v[2:3], v[8:9], 1.0
	v_fmac_f64_e32 v[8:9], v[8:9], v[10:11]
	v_div_scale_f64 v[10:11], vcc, 1.0, v[0:1], 1.0
	v_mul_f64 v[12:13], v[10:11], v[8:9]
	v_fma_f64 v[2:3], -v[2:3], v[12:13], v[10:11]
	s_nop 1
	v_div_fmas_f64 v[2:3], v[2:3], v[8:9], v[12:13]
	v_div_fixup_f64 v[0:1], v[2:3], v[0:1], 1.0
	v_mul_f64 v[2:3], v[6:7], -v[0:1]
.LBB120_583:
	s_or_b64 exec, exec, s[12:13]
.LBB120_584:
	s_or_b64 exec, exec, s[0:1]
	v_cmp_ne_u32_e32 vcc, v81, v4
	s_and_saveexec_b64 s[0:1], vcc
	s_xor_b64 s[0:1], exec, s[0:1]
	s_cbranch_execz .LBB120_590
; %bb.585:
	v_cmp_eq_u32_e32 vcc, 23, v81
	s_and_saveexec_b64 s[12:13], vcc
	s_cbranch_execz .LBB120_589
; %bb.586:
	v_cmp_ne_u32_e32 vcc, 23, v4
	s_xor_b64 s[4:5], s[18:19], -1
	s_and_b64 s[4:5], s[4:5], vcc
	s_and_saveexec_b64 s[14:15], s[4:5]
	s_cbranch_execz .LBB120_588
; %bb.587:
	v_ashrrev_i32_e32 v5, 31, v4
	v_lshl_add_u64 v[6:7], v[4:5], 2, v[46:47]
	global_load_dword v5, v[6:7], off
	global_load_dword v8, v[46:47], off offset:92
	s_waitcnt vmcnt(1)
	global_store_dword v[46:47], v5, off offset:92
	s_waitcnt vmcnt(1)
	global_store_dword v[6:7], v8, off
.LBB120_588:
	s_or_b64 exec, exec, s[14:15]
	v_mov_b32_e32 v81, v4
	v_mov_b32_e32 v80, v4
.LBB120_589:
	s_or_b64 exec, exec, s[12:13]
.LBB120_590:
	s_andn2_saveexec_b64 s[0:1], s[0:1]
	s_cbranch_execz .LBB120_596
; %bb.591:
	s_mov_b32 s4, 0
	v_add_u32_e32 v4, 0x180, v78
	s_branch .LBB120_593
.LBB120_592:                            ;   in Loop: Header=BB120_593 Depth=1
	s_andn2_b64 vcc, exec, s[12:13]
	s_cbranch_vccz .LBB120_595
.LBB120_593:                            ; =>This Inner Loop Header: Depth=1
	s_add_i32 s12, s4, 0x180
	s_add_i32 s13, s4, 0x190
	scratch_load_dwordx4 v[6:9], off, s12
	scratch_load_dwordx4 v[10:13], off, s13
	s_add_i32 s12, s4, 0x1a0
	s_add_i32 s13, s4, 0x1b0
	scratch_load_dwordx4 v[14:17], off, s12
	scratch_load_dwordx4 v[18:21], off, s13
	s_add_i32 s12, s4, 0x1c0
	scratch_load_dwordx4 v[22:25], off, s12
	s_mov_b32 s5, s4
	v_add_u32_e32 v5, s4, v4
	s_cmpk_eq_i32 s4, 0x200
	s_mov_b64 s[12:13], -1
	s_waitcnt vmcnt(4)
	ds_write2_b64 v5, v[6:7], v[8:9] offset1:1
	s_waitcnt vmcnt(3)
	ds_write2_b64 v5, v[10:11], v[12:13] offset0:2 offset1:3
	s_waitcnt vmcnt(2)
	ds_write2_b64 v5, v[14:15], v[16:17] offset0:4 offset1:5
	;; [unrolled: 2-line block ×4, first 2 shown]
	s_cbranch_scc1 .LBB120_592
; %bb.594:                              ;   in Loop: Header=BB120_593 Depth=1
	s_add_i32 s12, s5, 0x1d0
	s_add_i32 s13, s5, 0x1e0
	scratch_load_dwordx4 v[6:9], off, s12
	scratch_load_dwordx4 v[10:13], off, s13
	s_addk_i32 s5, 0x1f0
	scratch_load_dwordx4 v[14:17], off, s5
	s_addk_i32 s4, 0x80
	s_mov_b64 s[12:13], 0
	s_waitcnt vmcnt(2)
	ds_write2_b64 v5, v[6:7], v[8:9] offset0:10 offset1:11
	s_waitcnt vmcnt(1)
	ds_write2_b64 v5, v[10:11], v[12:13] offset0:12 offset1:13
	;; [unrolled: 2-line block ×3, first 2 shown]
	s_branch .LBB120_592
.LBB120_595:
	v_mov_b32_e32 v81, 23
.LBB120_596:
	s_or_b64 exec, exec, s[0:1]
	v_cmp_lt_i32_e32 vcc, 23, v81
	s_waitcnt lgkmcnt(0)
	s_barrier
	s_and_saveexec_b64 s[0:1], vcc
	s_cbranch_execz .LBB120_601
; %bb.597:
	scratch_load_dwordx4 v[8:11], off, off offset:368
	s_mov_b32 s14, 0
	s_waitcnt vmcnt(0)
	v_mul_f64 v[4:5], v[2:3], v[10:11]
	v_mul_f64 v[6:7], v[0:1], v[10:11]
	v_fma_f64 v[4:5], v[0:1], v[8:9], -v[4:5]
	v_fmac_f64_e32 v[6:7], v[2:3], v[8:9]
	v_add_u32_e32 v0, 0x180, v78
	scratch_store_dwordx4 off, v[4:7], off offset:368
	s_branch .LBB120_599
.LBB120_598:                            ;   in Loop: Header=BB120_599 Depth=1
	s_andn2_b64 vcc, exec, s[12:13]
	s_cbranch_vccz .LBB120_601
.LBB120_599:                            ; =>This Inner Loop Header: Depth=1
	s_add_i32 s4, s14, 0x180
	scratch_load_dwordx4 v[8:11], off, s4
	s_add_i32 s5, s14, 0x190
	s_add_i32 s12, s14, 0x1a0
	;; [unrolled: 1-line block ×4, first 2 shown]
	scratch_load_dwordx4 v[12:15], off, s5
	scratch_load_dwordx4 v[16:19], off, s12
	;; [unrolled: 1-line block ×4, first 2 shown]
	v_add_u32_e32 v1, s14, v0
	ds_read2_b64 v[28:31], v1 offset1:1
	ds_read2_b64 v[32:35], v1 offset0:2 offset1:3
	ds_read2_b64 v[36:39], v1 offset0:4 offset1:5
	;; [unrolled: 1-line block ×4, first 2 shown]
	s_waitcnt lgkmcnt(4)
	v_mul_f64 v[2:3], v[30:31], v[6:7]
	v_mul_f64 v[54:55], v[28:29], v[6:7]
	s_waitcnt lgkmcnt(3)
	v_mul_f64 v[56:57], v[34:35], v[6:7]
	v_mul_f64 v[58:59], v[32:33], v[6:7]
	;; [unrolled: 3-line block ×5, first 2 shown]
	v_fma_f64 v[2:3], v[28:29], v[4:5], -v[2:3]
	v_fmac_f64_e32 v[54:55], v[30:31], v[4:5]
	v_fma_f64 v[28:29], v[32:33], v[4:5], -v[56:57]
	v_fmac_f64_e32 v[58:59], v[34:35], v[4:5]
	;; [unrolled: 2-line block ×5, first 2 shown]
	s_mov_b32 s15, s14
	s_cmpk_eq_i32 s14, 0x200
	s_waitcnt vmcnt(4)
	v_add_f64 v[8:9], v[8:9], -v[2:3]
	v_add_f64 v[10:11], v[10:11], -v[54:55]
	s_waitcnt vmcnt(3)
	v_add_f64 v[12:13], v[12:13], -v[28:29]
	v_add_f64 v[14:15], v[14:15], -v[58:59]
	;; [unrolled: 3-line block ×5, first 2 shown]
	scratch_store_dwordx4 off, v[8:11], s4
	scratch_store_dwordx4 off, v[12:15], s5
	;; [unrolled: 1-line block ×5, first 2 shown]
	s_mov_b64 s[12:13], -1
	s_cbranch_scc1 .LBB120_598
; %bb.600:                              ;   in Loop: Header=BB120_599 Depth=1
	s_add_i32 s4, s15, 0x1d0
	scratch_load_dwordx4 v[8:11], off, s4
	s_add_i32 s5, s15, 0x1e0
	s_addk_i32 s15, 0x1f0
	scratch_load_dwordx4 v[12:15], off, s5
	scratch_load_dwordx4 v[16:19], off, s15
	ds_read2_b64 v[20:23], v1 offset0:10 offset1:11
	ds_read2_b64 v[24:27], v1 offset0:12 offset1:13
	;; [unrolled: 1-line block ×3, first 2 shown]
	s_addk_i32 s14, 0x80
	s_mov_b64 s[12:13], 0
	s_waitcnt lgkmcnt(2)
	v_mul_f64 v[2:3], v[22:23], v[6:7]
	v_mul_f64 v[32:33], v[20:21], v[6:7]
	s_waitcnt lgkmcnt(1)
	v_mul_f64 v[34:35], v[26:27], v[6:7]
	v_mul_f64 v[36:37], v[24:25], v[6:7]
	;; [unrolled: 3-line block ×3, first 2 shown]
	v_fma_f64 v[2:3], v[20:21], v[4:5], -v[2:3]
	v_fmac_f64_e32 v[32:33], v[22:23], v[4:5]
	v_fma_f64 v[20:21], v[24:25], v[4:5], -v[34:35]
	v_fmac_f64_e32 v[36:37], v[26:27], v[4:5]
	v_fma_f64 v[22:23], v[28:29], v[4:5], -v[38:39]
	v_fmac_f64_e32 v[40:41], v[30:31], v[4:5]
	s_waitcnt vmcnt(2)
	v_add_f64 v[8:9], v[8:9], -v[2:3]
	v_add_f64 v[10:11], v[10:11], -v[32:33]
	s_waitcnt vmcnt(1)
	v_add_f64 v[12:13], v[12:13], -v[20:21]
	v_add_f64 v[14:15], v[14:15], -v[36:37]
	;; [unrolled: 3-line block ×3, first 2 shown]
	scratch_store_dwordx4 off, v[8:11], s4
	scratch_store_dwordx4 off, v[12:15], s5
	;; [unrolled: 1-line block ×3, first 2 shown]
	s_branch .LBB120_598
.LBB120_601:
	s_or_b64 exec, exec, s[0:1]
	s_barrier
	scratch_load_dwordx4 v[0:3], off, s59
	v_lshl_add_u32 v4, v81, 4, v78
	s_cmp_lt_i32 s51, 26
	s_waitcnt vmcnt(0)
	ds_write2_b64 v4, v[0:1], v[2:3] offset1:1
	s_waitcnt lgkmcnt(0)
	s_barrier
	ds_read2_b64 v[0:3], v78 offset0:48 offset1:49
	v_mov_b32_e32 v4, 24
	s_cbranch_scc1 .LBB120_604
; %bb.602:
	v_add_u32_e32 v5, 0x190, v78
	s_mov_b32 s4, 25
	v_mov_b32_e32 v4, 24
.LBB120_603:                            ; =>This Inner Loop Header: Depth=1
	ds_read2_b64 v[6:9], v5 offset1:1
	s_waitcnt lgkmcnt(1)
	v_xor_b32_e32 v11, 0x80000000, v1
	v_xor_b32_e32 v13, 0x80000000, v3
	v_cmp_gt_f64_e32 vcc, 0, v[2:3]
	v_cmp_gt_f64_e64 s[0:1], 0, v[0:1]
	v_mov_b32_e32 v10, v0
	v_mov_b32_e32 v12, v2
	v_cndmask_b32_e64 v11, v1, v11, s[0:1]
	v_cndmask_b32_e32 v13, v3, v13, vcc
	v_add_f64 v[10:11], v[10:11], v[12:13]
	s_waitcnt lgkmcnt(0)
	v_xor_b32_e32 v13, 0x80000000, v7
	v_xor_b32_e32 v15, 0x80000000, v9
	v_cmp_gt_f64_e32 vcc, 0, v[8:9]
	v_cmp_gt_f64_e64 s[0:1], 0, v[6:7]
	v_mov_b32_e32 v12, v6
	v_mov_b32_e32 v14, v8
	v_cndmask_b32_e64 v13, v7, v13, s[0:1]
	v_cndmask_b32_e32 v15, v9, v15, vcc
	v_add_f64 v[12:13], v[12:13], v[14:15]
	v_mov_b32_e32 v16, s4
	s_add_i32 s4, s4, 1
	v_cmp_lt_f64_e32 vcc, v[10:11], v[12:13]
	v_add_u32_e32 v5, 16, v5
	s_cmp_lg_u32 s51, s4
	v_cndmask_b32_e32 v1, v1, v7, vcc
	v_cndmask_b32_e32 v0, v0, v6, vcc
	;; [unrolled: 1-line block ×5, first 2 shown]
	s_cbranch_scc1 .LBB120_603
.LBB120_604:
	s_waitcnt lgkmcnt(0)
	v_cmp_eq_f64_e32 vcc, 0, v[0:1]
	v_cmp_eq_f64_e64 s[0:1], 0, v[2:3]
	s_and_b64 s[0:1], vcc, s[0:1]
	s_and_saveexec_b64 s[4:5], s[0:1]
	s_xor_b64 s[0:1], exec, s[4:5]
; %bb.605:
	v_cmp_ne_u32_e32 vcc, 0, v79
	s_nop 1
	v_cndmask_b32_e32 v79, 25, v79, vcc
; %bb.606:
	s_andn2_saveexec_b64 s[0:1], s[0:1]
	s_cbranch_execz .LBB120_612
; %bb.607:
	v_cmp_ngt_f64_e64 s[4:5], |v[0:1]|, |v[2:3]|
	s_and_saveexec_b64 s[12:13], s[4:5]
	s_xor_b64 s[12:13], exec, s[12:13]
	s_cbranch_execz .LBB120_609
; %bb.608:
	v_div_scale_f64 v[6:7], s[4:5], v[2:3], v[2:3], v[0:1]
	v_rcp_f64_e32 v[8:9], v[6:7]
	v_div_scale_f64 v[10:11], vcc, v[0:1], v[2:3], v[0:1]
	v_fma_f64 v[12:13], -v[6:7], v[8:9], 1.0
	v_fmac_f64_e32 v[8:9], v[8:9], v[12:13]
	v_fma_f64 v[12:13], -v[6:7], v[8:9], 1.0
	v_fmac_f64_e32 v[8:9], v[8:9], v[12:13]
	v_mul_f64 v[12:13], v[10:11], v[8:9]
	v_fma_f64 v[6:7], -v[6:7], v[12:13], v[10:11]
	v_div_fmas_f64 v[6:7], v[6:7], v[8:9], v[12:13]
	v_div_fixup_f64 v[6:7], v[6:7], v[2:3], v[0:1]
	v_fmac_f64_e32 v[2:3], v[0:1], v[6:7]
	v_div_scale_f64 v[0:1], s[4:5], v[2:3], v[2:3], 1.0
	v_rcp_f64_e32 v[8:9], v[0:1]
	s_nop 0
	v_fma_f64 v[10:11], -v[0:1], v[8:9], 1.0
	v_fmac_f64_e32 v[8:9], v[8:9], v[10:11]
	v_fma_f64 v[10:11], -v[0:1], v[8:9], 1.0
	v_fmac_f64_e32 v[8:9], v[8:9], v[10:11]
	v_div_scale_f64 v[10:11], vcc, 1.0, v[2:3], 1.0
	v_mul_f64 v[12:13], v[10:11], v[8:9]
	v_fma_f64 v[0:1], -v[0:1], v[12:13], v[10:11]
	s_nop 1
	v_div_fmas_f64 v[0:1], v[0:1], v[8:9], v[12:13]
	v_div_fixup_f64 v[2:3], v[0:1], v[2:3], 1.0
	v_mul_f64 v[0:1], v[6:7], v[2:3]
	v_xor_b32_e32 v3, 0x80000000, v3
.LBB120_609:
	s_andn2_saveexec_b64 s[12:13], s[12:13]
	s_cbranch_execz .LBB120_611
; %bb.610:
	v_div_scale_f64 v[6:7], s[4:5], v[0:1], v[0:1], v[2:3]
	v_rcp_f64_e32 v[8:9], v[6:7]
	v_div_scale_f64 v[10:11], vcc, v[2:3], v[0:1], v[2:3]
	v_fma_f64 v[12:13], -v[6:7], v[8:9], 1.0
	v_fmac_f64_e32 v[8:9], v[8:9], v[12:13]
	v_fma_f64 v[12:13], -v[6:7], v[8:9], 1.0
	v_fmac_f64_e32 v[8:9], v[8:9], v[12:13]
	v_mul_f64 v[12:13], v[10:11], v[8:9]
	v_fma_f64 v[6:7], -v[6:7], v[12:13], v[10:11]
	v_div_fmas_f64 v[6:7], v[6:7], v[8:9], v[12:13]
	v_div_fixup_f64 v[6:7], v[6:7], v[0:1], v[2:3]
	v_fmac_f64_e32 v[0:1], v[2:3], v[6:7]
	v_div_scale_f64 v[2:3], s[4:5], v[0:1], v[0:1], 1.0
	v_rcp_f64_e32 v[8:9], v[2:3]
	s_nop 0
	v_fma_f64 v[10:11], -v[2:3], v[8:9], 1.0
	v_fmac_f64_e32 v[8:9], v[8:9], v[10:11]
	v_fma_f64 v[10:11], -v[2:3], v[8:9], 1.0
	v_fmac_f64_e32 v[8:9], v[8:9], v[10:11]
	v_div_scale_f64 v[10:11], vcc, 1.0, v[0:1], 1.0
	v_mul_f64 v[12:13], v[10:11], v[8:9]
	v_fma_f64 v[2:3], -v[2:3], v[12:13], v[10:11]
	s_nop 1
	v_div_fmas_f64 v[2:3], v[2:3], v[8:9], v[12:13]
	v_div_fixup_f64 v[0:1], v[2:3], v[0:1], 1.0
	v_mul_f64 v[2:3], v[6:7], -v[0:1]
.LBB120_611:
	s_or_b64 exec, exec, s[12:13]
.LBB120_612:
	s_or_b64 exec, exec, s[0:1]
	v_cmp_ne_u32_e32 vcc, v81, v4
	s_and_saveexec_b64 s[0:1], vcc
	s_xor_b64 s[0:1], exec, s[0:1]
	s_cbranch_execz .LBB120_618
; %bb.613:
	v_cmp_eq_u32_e32 vcc, 24, v81
	s_and_saveexec_b64 s[12:13], vcc
	s_cbranch_execz .LBB120_617
; %bb.614:
	v_cmp_ne_u32_e32 vcc, 24, v4
	s_xor_b64 s[4:5], s[18:19], -1
	s_and_b64 s[4:5], s[4:5], vcc
	s_and_saveexec_b64 s[14:15], s[4:5]
	s_cbranch_execz .LBB120_616
; %bb.615:
	v_ashrrev_i32_e32 v5, 31, v4
	v_lshl_add_u64 v[6:7], v[4:5], 2, v[46:47]
	global_load_dword v5, v[6:7], off
	global_load_dword v8, v[46:47], off offset:96
	s_waitcnt vmcnt(1)
	global_store_dword v[46:47], v5, off offset:96
	s_waitcnt vmcnt(1)
	global_store_dword v[6:7], v8, off
.LBB120_616:
	s_or_b64 exec, exec, s[14:15]
	v_mov_b32_e32 v81, v4
	v_mov_b32_e32 v80, v4
.LBB120_617:
	s_or_b64 exec, exec, s[12:13]
.LBB120_618:
	s_andn2_saveexec_b64 s[0:1], s[0:1]
	s_cbranch_execz .LBB120_620
; %bb.619:
	scratch_load_dwordx4 v[4:7], off, s64
	v_mov_b32_e32 v81, 24
	s_waitcnt vmcnt(0)
	ds_write2_b64 v78, v[4:5], v[6:7] offset0:50 offset1:51
	scratch_load_dwordx4 v[4:7], off, s88
	s_waitcnt vmcnt(0)
	ds_write2_b64 v78, v[4:5], v[6:7] offset0:52 offset1:53
	scratch_load_dwordx4 v[4:7], off, s60
	;; [unrolled: 3-line block ×35, first 2 shown]
	s_waitcnt vmcnt(0)
	ds_write2_b64 v78, v[4:5], v[6:7] offset0:120 offset1:121
.LBB120_620:
	s_or_b64 exec, exec, s[0:1]
	v_cmp_lt_i32_e32 vcc, 24, v81
	s_waitcnt lgkmcnt(0)
	s_barrier
	s_and_saveexec_b64 s[0:1], vcc
	s_cbranch_execz .LBB120_623
; %bb.621:
	scratch_load_dwordx4 v[8:11], off, off offset:384
	s_mov_b32 s12, 0
	s_waitcnt vmcnt(0)
	v_mul_f64 v[4:5], v[2:3], v[10:11]
	v_mul_f64 v[6:7], v[0:1], v[10:11]
	v_fma_f64 v[4:5], v[0:1], v[8:9], -v[4:5]
	v_fmac_f64_e32 v[6:7], v[2:3], v[8:9]
	v_add_u32_e32 v0, 0x190, v78
	scratch_store_dwordx4 off, v[4:7], off offset:384
.LBB120_622:                            ; =>This Inner Loop Header: Depth=1
	v_add_u32_e32 v1, s12, v0
	ds_read2_b64 v[8:11], v1 offset1:1
	ds_read2_b64 v[12:15], v1 offset0:2 offset1:3
	ds_read2_b64 v[16:19], v1 offset0:4 offset1:5
	;; [unrolled: 1-line block ×5, first 2 shown]
	s_add_i32 s13, s12, 0x190
	s_waitcnt lgkmcnt(5)
	v_mul_f64 v[2:3], v[10:11], v[6:7]
	v_mul_f64 v[70:71], v[8:9], v[6:7]
	s_waitcnt lgkmcnt(4)
	v_mul_f64 v[72:73], v[14:15], v[6:7]
	v_mul_f64 v[74:75], v[12:13], v[6:7]
	;; [unrolled: 3-line block ×6, first 2 shown]
	s_add_i32 s14, s12, 0x1a0
	s_add_i32 s15, s12, 0x1b0
	;; [unrolled: 1-line block ×8, first 2 shown]
	scratch_load_dwordx4 v[32:35], off, s13
	scratch_load_dwordx4 v[36:39], off, s14
	;; [unrolled: 1-line block ×8, first 2 shown]
	v_fma_f64 v[2:3], v[8:9], v[4:5], -v[2:3]
	v_fmac_f64_e32 v[70:71], v[10:11], v[4:5]
	v_fma_f64 v[72:73], v[12:13], v[4:5], -v[72:73]
	v_fmac_f64_e32 v[74:75], v[14:15], v[4:5]
	;; [unrolled: 2-line block ×6, first 2 shown]
	scratch_load_dwordx4 v[4:7], off, off offset:384
	scratch_load_dwordx4 v[8:11], off, s4
	ds_read2_b64 v[12:15], v1 offset0:12 offset1:13
	ds_read2_b64 v[16:19], v1 offset0:14 offset1:15
	;; [unrolled: 1-line block ×3, first 2 shown]
	s_addk_i32 s12, 0x90
	s_cmpk_lg_i32 s12, 0x240
	s_waitcnt vmcnt(9)
	v_add_f64 v[24:25], v[32:33], -v[2:3]
	v_add_f64 v[26:27], v[34:35], -v[70:71]
	s_waitcnt vmcnt(8)
	v_add_f64 v[28:29], v[36:37], -v[72:73]
	v_add_f64 v[30:31], v[38:39], -v[74:75]
	;; [unrolled: 3-line block ×6, first 2 shown]
	scratch_store_dwordx4 off, v[24:27], s13
	scratch_store_dwordx4 off, v[28:31], s14
	;; [unrolled: 1-line block ×6, first 2 shown]
	s_waitcnt vmcnt(7) lgkmcnt(2)
	v_mul_f64 v[2:3], v[14:15], v[6:7]
	v_mul_f64 v[24:25], v[12:13], v[6:7]
	s_waitcnt lgkmcnt(1)
	v_mul_f64 v[26:27], v[18:19], v[6:7]
	v_mul_f64 v[28:29], v[16:17], v[6:7]
	s_waitcnt lgkmcnt(0)
	v_mul_f64 v[30:31], v[22:23], v[6:7]
	v_mul_f64 v[32:33], v[20:21], v[6:7]
	v_fma_f64 v[2:3], v[12:13], v[4:5], -v[2:3]
	v_fmac_f64_e32 v[24:25], v[14:15], v[4:5]
	v_fma_f64 v[16:17], v[16:17], v[4:5], -v[26:27]
	v_fmac_f64_e32 v[28:29], v[18:19], v[4:5]
	;; [unrolled: 2-line block ×3, first 2 shown]
	v_add_f64 v[12:13], v[62:63], -v[2:3]
	v_add_f64 v[14:15], v[64:65], -v[24:25]
	v_add_f64 v[16:17], v[66:67], -v[16:17]
	v_add_f64 v[18:19], v[68:69], -v[28:29]
	s_waitcnt vmcnt(6)
	v_add_f64 v[8:9], v[8:9], -v[20:21]
	v_add_f64 v[10:11], v[10:11], -v[32:33]
	scratch_store_dwordx4 off, v[12:15], s67
	scratch_store_dwordx4 off, v[16:19], s68
	;; [unrolled: 1-line block ×3, first 2 shown]
	s_cbranch_scc1 .LBB120_622
.LBB120_623:
	s_or_b64 exec, exec, s[0:1]
	s_barrier
	scratch_load_dwordx4 v[0:3], off, s64
	v_lshl_add_u32 v4, v81, 4, v78
	s_cmp_lt_i32 s51, 27
	s_waitcnt vmcnt(0)
	ds_write2_b64 v4, v[0:1], v[2:3] offset1:1
	s_waitcnt lgkmcnt(0)
	s_barrier
	ds_read2_b64 v[0:3], v78 offset0:50 offset1:51
	v_mov_b32_e32 v4, 25
	s_cbranch_scc1 .LBB120_626
; %bb.624:
	v_add_u32_e32 v5, 0x1a0, v78
	s_mov_b32 s4, 26
	v_mov_b32_e32 v4, 25
.LBB120_625:                            ; =>This Inner Loop Header: Depth=1
	ds_read2_b64 v[6:9], v5 offset1:1
	s_waitcnt lgkmcnt(1)
	v_xor_b32_e32 v11, 0x80000000, v1
	v_xor_b32_e32 v13, 0x80000000, v3
	v_cmp_gt_f64_e32 vcc, 0, v[2:3]
	v_cmp_gt_f64_e64 s[0:1], 0, v[0:1]
	v_mov_b32_e32 v10, v0
	v_mov_b32_e32 v12, v2
	v_cndmask_b32_e64 v11, v1, v11, s[0:1]
	v_cndmask_b32_e32 v13, v3, v13, vcc
	v_add_f64 v[10:11], v[10:11], v[12:13]
	s_waitcnt lgkmcnt(0)
	v_xor_b32_e32 v13, 0x80000000, v7
	v_xor_b32_e32 v15, 0x80000000, v9
	v_cmp_gt_f64_e32 vcc, 0, v[8:9]
	v_cmp_gt_f64_e64 s[0:1], 0, v[6:7]
	v_mov_b32_e32 v12, v6
	v_mov_b32_e32 v14, v8
	v_cndmask_b32_e64 v13, v7, v13, s[0:1]
	v_cndmask_b32_e32 v15, v9, v15, vcc
	v_add_f64 v[12:13], v[12:13], v[14:15]
	v_mov_b32_e32 v16, s4
	s_add_i32 s4, s4, 1
	v_cmp_lt_f64_e32 vcc, v[10:11], v[12:13]
	v_add_u32_e32 v5, 16, v5
	s_cmp_lg_u32 s51, s4
	v_cndmask_b32_e32 v1, v1, v7, vcc
	v_cndmask_b32_e32 v0, v0, v6, vcc
	;; [unrolled: 1-line block ×5, first 2 shown]
	s_cbranch_scc1 .LBB120_625
.LBB120_626:
	s_waitcnt lgkmcnt(0)
	v_cmp_eq_f64_e32 vcc, 0, v[0:1]
	v_cmp_eq_f64_e64 s[0:1], 0, v[2:3]
	s_and_b64 s[0:1], vcc, s[0:1]
	s_and_saveexec_b64 s[4:5], s[0:1]
	s_xor_b64 s[0:1], exec, s[4:5]
; %bb.627:
	v_cmp_ne_u32_e32 vcc, 0, v79
	s_nop 1
	v_cndmask_b32_e32 v79, 26, v79, vcc
; %bb.628:
	s_andn2_saveexec_b64 s[0:1], s[0:1]
	s_cbranch_execz .LBB120_634
; %bb.629:
	v_cmp_ngt_f64_e64 s[4:5], |v[0:1]|, |v[2:3]|
	s_and_saveexec_b64 s[12:13], s[4:5]
	s_xor_b64 s[12:13], exec, s[12:13]
	s_cbranch_execz .LBB120_631
; %bb.630:
	v_div_scale_f64 v[6:7], s[4:5], v[2:3], v[2:3], v[0:1]
	v_rcp_f64_e32 v[8:9], v[6:7]
	v_div_scale_f64 v[10:11], vcc, v[0:1], v[2:3], v[0:1]
	v_fma_f64 v[12:13], -v[6:7], v[8:9], 1.0
	v_fmac_f64_e32 v[8:9], v[8:9], v[12:13]
	v_fma_f64 v[12:13], -v[6:7], v[8:9], 1.0
	v_fmac_f64_e32 v[8:9], v[8:9], v[12:13]
	v_mul_f64 v[12:13], v[10:11], v[8:9]
	v_fma_f64 v[6:7], -v[6:7], v[12:13], v[10:11]
	v_div_fmas_f64 v[6:7], v[6:7], v[8:9], v[12:13]
	v_div_fixup_f64 v[6:7], v[6:7], v[2:3], v[0:1]
	v_fmac_f64_e32 v[2:3], v[0:1], v[6:7]
	v_div_scale_f64 v[0:1], s[4:5], v[2:3], v[2:3], 1.0
	v_rcp_f64_e32 v[8:9], v[0:1]
	s_nop 0
	v_fma_f64 v[10:11], -v[0:1], v[8:9], 1.0
	v_fmac_f64_e32 v[8:9], v[8:9], v[10:11]
	v_fma_f64 v[10:11], -v[0:1], v[8:9], 1.0
	v_fmac_f64_e32 v[8:9], v[8:9], v[10:11]
	v_div_scale_f64 v[10:11], vcc, 1.0, v[2:3], 1.0
	v_mul_f64 v[12:13], v[10:11], v[8:9]
	v_fma_f64 v[0:1], -v[0:1], v[12:13], v[10:11]
	s_nop 1
	v_div_fmas_f64 v[0:1], v[0:1], v[8:9], v[12:13]
	v_div_fixup_f64 v[2:3], v[0:1], v[2:3], 1.0
	v_mul_f64 v[0:1], v[6:7], v[2:3]
	v_xor_b32_e32 v3, 0x80000000, v3
.LBB120_631:
	s_andn2_saveexec_b64 s[12:13], s[12:13]
	s_cbranch_execz .LBB120_633
; %bb.632:
	v_div_scale_f64 v[6:7], s[4:5], v[0:1], v[0:1], v[2:3]
	v_rcp_f64_e32 v[8:9], v[6:7]
	v_div_scale_f64 v[10:11], vcc, v[2:3], v[0:1], v[2:3]
	v_fma_f64 v[12:13], -v[6:7], v[8:9], 1.0
	v_fmac_f64_e32 v[8:9], v[8:9], v[12:13]
	v_fma_f64 v[12:13], -v[6:7], v[8:9], 1.0
	v_fmac_f64_e32 v[8:9], v[8:9], v[12:13]
	v_mul_f64 v[12:13], v[10:11], v[8:9]
	v_fma_f64 v[6:7], -v[6:7], v[12:13], v[10:11]
	v_div_fmas_f64 v[6:7], v[6:7], v[8:9], v[12:13]
	v_div_fixup_f64 v[6:7], v[6:7], v[0:1], v[2:3]
	v_fmac_f64_e32 v[0:1], v[2:3], v[6:7]
	v_div_scale_f64 v[2:3], s[4:5], v[0:1], v[0:1], 1.0
	v_rcp_f64_e32 v[8:9], v[2:3]
	s_nop 0
	v_fma_f64 v[10:11], -v[2:3], v[8:9], 1.0
	v_fmac_f64_e32 v[8:9], v[8:9], v[10:11]
	v_fma_f64 v[10:11], -v[2:3], v[8:9], 1.0
	v_fmac_f64_e32 v[8:9], v[8:9], v[10:11]
	v_div_scale_f64 v[10:11], vcc, 1.0, v[0:1], 1.0
	v_mul_f64 v[12:13], v[10:11], v[8:9]
	v_fma_f64 v[2:3], -v[2:3], v[12:13], v[10:11]
	s_nop 1
	v_div_fmas_f64 v[2:3], v[2:3], v[8:9], v[12:13]
	v_div_fixup_f64 v[0:1], v[2:3], v[0:1], 1.0
	v_mul_f64 v[2:3], v[6:7], -v[0:1]
.LBB120_633:
	s_or_b64 exec, exec, s[12:13]
.LBB120_634:
	s_or_b64 exec, exec, s[0:1]
	v_cmp_ne_u32_e32 vcc, v81, v4
	s_and_saveexec_b64 s[0:1], vcc
	s_xor_b64 s[0:1], exec, s[0:1]
	s_cbranch_execz .LBB120_640
; %bb.635:
	v_cmp_eq_u32_e32 vcc, 25, v81
	s_and_saveexec_b64 s[12:13], vcc
	s_cbranch_execz .LBB120_639
; %bb.636:
	v_cmp_ne_u32_e32 vcc, 25, v4
	s_xor_b64 s[4:5], s[18:19], -1
	s_and_b64 s[4:5], s[4:5], vcc
	s_and_saveexec_b64 s[14:15], s[4:5]
	s_cbranch_execz .LBB120_638
; %bb.637:
	v_ashrrev_i32_e32 v5, 31, v4
	v_lshl_add_u64 v[6:7], v[4:5], 2, v[46:47]
	global_load_dword v5, v[6:7], off
	global_load_dword v8, v[46:47], off offset:100
	s_waitcnt vmcnt(1)
	global_store_dword v[46:47], v5, off offset:100
	s_waitcnt vmcnt(1)
	global_store_dword v[6:7], v8, off
.LBB120_638:
	s_or_b64 exec, exec, s[14:15]
	v_mov_b32_e32 v81, v4
	v_mov_b32_e32 v80, v4
.LBB120_639:
	s_or_b64 exec, exec, s[12:13]
.LBB120_640:
	s_andn2_saveexec_b64 s[0:1], s[0:1]
	s_cbranch_execz .LBB120_642
; %bb.641:
	scratch_load_dwordx4 v[4:7], off, s88
	v_mov_b32_e32 v81, 25
	s_waitcnt vmcnt(0)
	ds_write2_b64 v78, v[4:5], v[6:7] offset0:52 offset1:53
	scratch_load_dwordx4 v[4:7], off, s60
	s_waitcnt vmcnt(0)
	ds_write2_b64 v78, v[4:5], v[6:7] offset0:54 offset1:55
	scratch_load_dwordx4 v[4:7], off, s65
	s_waitcnt vmcnt(0)
	ds_write2_b64 v78, v[4:5], v[6:7] offset0:56 offset1:57
	scratch_load_dwordx4 v[4:7], off, s63
	s_waitcnt vmcnt(0)
	ds_write2_b64 v78, v[4:5], v[6:7] offset0:58 offset1:59
	scratch_load_dwordx4 v[4:7], off, s52
	s_waitcnt vmcnt(0)
	ds_write2_b64 v78, v[4:5], v[6:7] offset0:60 offset1:61
	scratch_load_dwordx4 v[4:7], off, s53
	s_waitcnt vmcnt(0)
	ds_write2_b64 v78, v[4:5], v[6:7] offset0:62 offset1:63
	scratch_load_dwordx4 v[4:7], off, s49
	s_waitcnt vmcnt(0)
	ds_write2_b64 v78, v[4:5], v[6:7] offset0:64 offset1:65
	scratch_load_dwordx4 v[4:7], off, s48
	s_waitcnt vmcnt(0)
	ds_write2_b64 v78, v[4:5], v[6:7] offset0:66 offset1:67
	scratch_load_dwordx4 v[4:7], off, s47
	s_waitcnt vmcnt(0)
	ds_write2_b64 v78, v[4:5], v[6:7] offset0:68 offset1:69
	scratch_load_dwordx4 v[4:7], off, s46
	s_waitcnt vmcnt(0)
	ds_write2_b64 v78, v[4:5], v[6:7] offset0:70 offset1:71
	scratch_load_dwordx4 v[4:7], off, s45
	s_waitcnt vmcnt(0)
	ds_write2_b64 v78, v[4:5], v[6:7] offset0:72 offset1:73
	scratch_load_dwordx4 v[4:7], off, s44
	s_waitcnt vmcnt(0)
	ds_write2_b64 v78, v[4:5], v[6:7] offset0:74 offset1:75
	scratch_load_dwordx4 v[4:7], off, s43
	s_waitcnt vmcnt(0)
	ds_write2_b64 v78, v[4:5], v[6:7] offset0:76 offset1:77
	scratch_load_dwordx4 v[4:7], off, s42
	s_waitcnt vmcnt(0)
	ds_write2_b64 v78, v[4:5], v[6:7] offset0:78 offset1:79
	scratch_load_dwordx4 v[4:7], off, s41
	s_waitcnt vmcnt(0)
	ds_write2_b64 v78, v[4:5], v[6:7] offset0:80 offset1:81
	scratch_load_dwordx4 v[4:7], off, s40
	s_waitcnt vmcnt(0)
	ds_write2_b64 v78, v[4:5], v[6:7] offset0:82 offset1:83
	scratch_load_dwordx4 v[4:7], off, s39
	s_waitcnt vmcnt(0)
	ds_write2_b64 v78, v[4:5], v[6:7] offset0:84 offset1:85
	scratch_load_dwordx4 v[4:7], off, s38
	s_waitcnt vmcnt(0)
	ds_write2_b64 v78, v[4:5], v[6:7] offset0:86 offset1:87
	scratch_load_dwordx4 v[4:7], off, s37
	s_waitcnt vmcnt(0)
	ds_write2_b64 v78, v[4:5], v[6:7] offset0:88 offset1:89
	scratch_load_dwordx4 v[4:7], off, s36
	s_waitcnt vmcnt(0)
	ds_write2_b64 v78, v[4:5], v[6:7] offset0:90 offset1:91
	scratch_load_dwordx4 v[4:7], off, s35
	s_waitcnt vmcnt(0)
	ds_write2_b64 v78, v[4:5], v[6:7] offset0:92 offset1:93
	scratch_load_dwordx4 v[4:7], off, s34
	s_waitcnt vmcnt(0)
	ds_write2_b64 v78, v[4:5], v[6:7] offset0:94 offset1:95
	scratch_load_dwordx4 v[4:7], off, s33
	s_waitcnt vmcnt(0)
	ds_write2_b64 v78, v[4:5], v[6:7] offset0:96 offset1:97
	scratch_load_dwordx4 v[4:7], off, s31
	s_waitcnt vmcnt(0)
	ds_write2_b64 v78, v[4:5], v[6:7] offset0:98 offset1:99
	scratch_load_dwordx4 v[4:7], off, s30
	s_waitcnt vmcnt(0)
	ds_write2_b64 v78, v[4:5], v[6:7] offset0:100 offset1:101
	scratch_load_dwordx4 v[4:7], off, s29
	s_waitcnt vmcnt(0)
	ds_write2_b64 v78, v[4:5], v[6:7] offset0:102 offset1:103
	scratch_load_dwordx4 v[4:7], off, s28
	s_waitcnt vmcnt(0)
	ds_write2_b64 v78, v[4:5], v[6:7] offset0:104 offset1:105
	scratch_load_dwordx4 v[4:7], off, s27
	s_waitcnt vmcnt(0)
	ds_write2_b64 v78, v[4:5], v[6:7] offset0:106 offset1:107
	scratch_load_dwordx4 v[4:7], off, s26
	s_waitcnt vmcnt(0)
	ds_write2_b64 v78, v[4:5], v[6:7] offset0:108 offset1:109
	scratch_load_dwordx4 v[4:7], off, s25
	s_waitcnt vmcnt(0)
	ds_write2_b64 v78, v[4:5], v[6:7] offset0:110 offset1:111
	scratch_load_dwordx4 v[4:7], off, s24
	s_waitcnt vmcnt(0)
	ds_write2_b64 v78, v[4:5], v[6:7] offset0:112 offset1:113
	scratch_load_dwordx4 v[4:7], off, s23
	s_waitcnt vmcnt(0)
	ds_write2_b64 v78, v[4:5], v[6:7] offset0:114 offset1:115
	scratch_load_dwordx4 v[4:7], off, s22
	s_waitcnt vmcnt(0)
	ds_write2_b64 v78, v[4:5], v[6:7] offset0:116 offset1:117
	scratch_load_dwordx4 v[4:7], off, s21
	s_waitcnt vmcnt(0)
	ds_write2_b64 v78, v[4:5], v[6:7] offset0:118 offset1:119
	scratch_load_dwordx4 v[4:7], off, s20
	s_waitcnt vmcnt(0)
	ds_write2_b64 v78, v[4:5], v[6:7] offset0:120 offset1:121
.LBB120_642:
	s_or_b64 exec, exec, s[0:1]
	v_cmp_lt_i32_e32 vcc, 25, v81
	s_waitcnt lgkmcnt(0)
	s_barrier
	s_and_saveexec_b64 s[0:1], vcc
	s_cbranch_execz .LBB120_645
; %bb.643:
	scratch_load_dwordx4 v[8:11], off, off offset:400
	s_mov_b32 s12, 0
	s_waitcnt vmcnt(0)
	v_mul_f64 v[4:5], v[2:3], v[10:11]
	v_mul_f64 v[6:7], v[0:1], v[10:11]
	v_fma_f64 v[4:5], v[0:1], v[8:9], -v[4:5]
	v_fmac_f64_e32 v[6:7], v[2:3], v[8:9]
	v_add_u32_e32 v0, 0x1a0, v78
	scratch_store_dwordx4 off, v[4:7], off offset:400
.LBB120_644:                            ; =>This Inner Loop Header: Depth=1
	v_add_u32_e32 v1, s12, v0
	ds_read2_b64 v[8:11], v1 offset1:1
	ds_read2_b64 v[12:15], v1 offset0:2 offset1:3
	ds_read2_b64 v[16:19], v1 offset0:4 offset1:5
	;; [unrolled: 1-line block ×5, first 2 shown]
	s_add_i32 s13, s12, 0x1a0
	s_add_i32 s5, s12, 0x1b0
	;; [unrolled: 1-line block ×6, first 2 shown]
	scratch_load_dwordx4 v[32:35], off, s13
	scratch_load_dwordx4 v[36:39], off, s5
	;; [unrolled: 1-line block ×6, first 2 shown]
	s_waitcnt lgkmcnt(5)
	v_mul_f64 v[2:3], v[10:11], v[6:7]
	v_mul_f64 v[62:63], v[8:9], v[6:7]
	s_waitcnt lgkmcnt(4)
	v_mul_f64 v[64:65], v[14:15], v[6:7]
	v_mul_f64 v[66:67], v[12:13], v[6:7]
	s_waitcnt lgkmcnt(3)
	v_mul_f64 v[68:69], v[18:19], v[6:7]
	v_mul_f64 v[70:71], v[16:17], v[6:7]
	s_waitcnt lgkmcnt(2)
	v_mul_f64 v[72:73], v[22:23], v[6:7]
	v_mul_f64 v[74:75], v[20:21], v[6:7]
	s_waitcnt lgkmcnt(1)
	v_mul_f64 v[76:77], v[26:27], v[6:7]
	v_mul_f64 v[82:83], v[24:25], v[6:7]
	s_waitcnt lgkmcnt(0)
	v_mul_f64 v[84:85], v[30:31], v[6:7]
	v_mul_f64 v[86:87], v[28:29], v[6:7]
	s_add_i32 s4, s12, 0x200
	v_fma_f64 v[2:3], v[8:9], v[4:5], -v[2:3]
	v_fmac_f64_e32 v[62:63], v[10:11], v[4:5]
	v_fma_f64 v[64:65], v[12:13], v[4:5], -v[64:65]
	v_fmac_f64_e32 v[66:67], v[14:15], v[4:5]
	v_fma_f64 v[68:69], v[16:17], v[4:5], -v[68:69]
	v_fmac_f64_e32 v[70:71], v[18:19], v[4:5]
	v_fma_f64 v[72:73], v[20:21], v[4:5], -v[72:73]
	v_fmac_f64_e32 v[74:75], v[22:23], v[4:5]
	v_fma_f64 v[76:77], v[24:25], v[4:5], -v[76:77]
	v_fmac_f64_e32 v[82:83], v[26:27], v[4:5]
	v_fma_f64 v[84:85], v[28:29], v[4:5], -v[84:85]
	v_fmac_f64_e32 v[86:87], v[30:31], v[4:5]
	scratch_load_dwordx4 v[4:7], off, off offset:400
	scratch_load_dwordx4 v[8:11], off, s4
	ds_read2_b64 v[12:15], v1 offset0:12 offset1:13
	s_addk_i32 s12, 0x70
	s_cmpk_lg_i32 s12, 0x230
	s_waitcnt vmcnt(7)
	v_add_f64 v[16:17], v[32:33], -v[2:3]
	v_add_f64 v[18:19], v[34:35], -v[62:63]
	s_waitcnt vmcnt(6)
	v_add_f64 v[20:21], v[36:37], -v[64:65]
	v_add_f64 v[22:23], v[38:39], -v[66:67]
	;; [unrolled: 3-line block ×6, first 2 shown]
	scratch_store_dwordx4 off, v[16:19], s13
	scratch_store_dwordx4 off, v[20:23], s5
	scratch_store_dwordx4 off, v[24:27], s14
	scratch_store_dwordx4 off, v[28:31], s15
	scratch_store_dwordx4 off, v[32:35], s16
	scratch_store_dwordx4 off, v[36:39], s66
	s_waitcnt vmcnt(7) lgkmcnt(0)
	v_mul_f64 v[2:3], v[14:15], v[6:7]
	v_mul_f64 v[16:17], v[12:13], v[6:7]
	v_fma_f64 v[2:3], v[12:13], v[4:5], -v[2:3]
	v_fmac_f64_e32 v[16:17], v[14:15], v[4:5]
	s_waitcnt vmcnt(6)
	v_add_f64 v[8:9], v[8:9], -v[2:3]
	v_add_f64 v[10:11], v[10:11], -v[16:17]
	scratch_store_dwordx4 off, v[8:11], s4
	s_cbranch_scc1 .LBB120_644
.LBB120_645:
	s_or_b64 exec, exec, s[0:1]
	s_barrier
	scratch_load_dwordx4 v[0:3], off, s88
	v_lshl_add_u32 v4, v81, 4, v78
	v_readlane_b32 s16, v128, 0
	s_cmp_lt_i32 s51, 28
	v_readlane_b32 s17, v128, 1
	s_waitcnt vmcnt(0)
	ds_write2_b64 v4, v[0:1], v[2:3] offset1:1
	s_waitcnt lgkmcnt(0)
	s_barrier
	ds_read2_b64 v[0:3], v78 offset0:52 offset1:53
	v_mov_b32_e32 v4, 26
	s_cbranch_scc1 .LBB120_648
; %bb.646:
	v_add_u32_e32 v5, 0x1b0, v78
	s_mov_b32 s4, 27
	v_mov_b32_e32 v4, 26
.LBB120_647:                            ; =>This Inner Loop Header: Depth=1
	ds_read2_b64 v[6:9], v5 offset1:1
	s_waitcnt lgkmcnt(1)
	v_xor_b32_e32 v11, 0x80000000, v1
	v_xor_b32_e32 v13, 0x80000000, v3
	v_cmp_gt_f64_e32 vcc, 0, v[2:3]
	v_cmp_gt_f64_e64 s[0:1], 0, v[0:1]
	v_mov_b32_e32 v10, v0
	v_mov_b32_e32 v12, v2
	v_cndmask_b32_e64 v11, v1, v11, s[0:1]
	v_cndmask_b32_e32 v13, v3, v13, vcc
	v_add_f64 v[10:11], v[10:11], v[12:13]
	s_waitcnt lgkmcnt(0)
	v_xor_b32_e32 v13, 0x80000000, v7
	v_xor_b32_e32 v15, 0x80000000, v9
	v_cmp_gt_f64_e32 vcc, 0, v[8:9]
	v_cmp_gt_f64_e64 s[0:1], 0, v[6:7]
	v_mov_b32_e32 v12, v6
	v_mov_b32_e32 v14, v8
	v_cndmask_b32_e64 v13, v7, v13, s[0:1]
	v_cndmask_b32_e32 v15, v9, v15, vcc
	v_add_f64 v[12:13], v[12:13], v[14:15]
	v_mov_b32_e32 v16, s4
	s_add_i32 s4, s4, 1
	v_cmp_lt_f64_e32 vcc, v[10:11], v[12:13]
	v_add_u32_e32 v5, 16, v5
	s_cmp_lg_u32 s51, s4
	v_cndmask_b32_e32 v1, v1, v7, vcc
	v_cndmask_b32_e32 v0, v0, v6, vcc
	;; [unrolled: 1-line block ×5, first 2 shown]
	s_cbranch_scc1 .LBB120_647
.LBB120_648:
	s_waitcnt lgkmcnt(0)
	v_cmp_eq_f64_e32 vcc, 0, v[0:1]
	v_cmp_eq_f64_e64 s[0:1], 0, v[2:3]
	s_and_b64 s[0:1], vcc, s[0:1]
	s_and_saveexec_b64 s[4:5], s[0:1]
	s_xor_b64 s[0:1], exec, s[4:5]
; %bb.649:
	v_cmp_ne_u32_e32 vcc, 0, v79
	s_nop 1
	v_cndmask_b32_e32 v79, 27, v79, vcc
; %bb.650:
	s_andn2_saveexec_b64 s[0:1], s[0:1]
	s_cbranch_execz .LBB120_656
; %bb.651:
	v_cmp_ngt_f64_e64 s[4:5], |v[0:1]|, |v[2:3]|
	s_and_saveexec_b64 s[12:13], s[4:5]
	s_xor_b64 s[12:13], exec, s[12:13]
	s_cbranch_execz .LBB120_653
; %bb.652:
	v_div_scale_f64 v[6:7], s[4:5], v[2:3], v[2:3], v[0:1]
	v_rcp_f64_e32 v[8:9], v[6:7]
	v_div_scale_f64 v[10:11], vcc, v[0:1], v[2:3], v[0:1]
	v_fma_f64 v[12:13], -v[6:7], v[8:9], 1.0
	v_fmac_f64_e32 v[8:9], v[8:9], v[12:13]
	v_fma_f64 v[12:13], -v[6:7], v[8:9], 1.0
	v_fmac_f64_e32 v[8:9], v[8:9], v[12:13]
	v_mul_f64 v[12:13], v[10:11], v[8:9]
	v_fma_f64 v[6:7], -v[6:7], v[12:13], v[10:11]
	v_div_fmas_f64 v[6:7], v[6:7], v[8:9], v[12:13]
	v_div_fixup_f64 v[6:7], v[6:7], v[2:3], v[0:1]
	v_fmac_f64_e32 v[2:3], v[0:1], v[6:7]
	v_div_scale_f64 v[0:1], s[4:5], v[2:3], v[2:3], 1.0
	v_rcp_f64_e32 v[8:9], v[0:1]
	s_nop 0
	v_fma_f64 v[10:11], -v[0:1], v[8:9], 1.0
	v_fmac_f64_e32 v[8:9], v[8:9], v[10:11]
	v_fma_f64 v[10:11], -v[0:1], v[8:9], 1.0
	v_fmac_f64_e32 v[8:9], v[8:9], v[10:11]
	v_div_scale_f64 v[10:11], vcc, 1.0, v[2:3], 1.0
	v_mul_f64 v[12:13], v[10:11], v[8:9]
	v_fma_f64 v[0:1], -v[0:1], v[12:13], v[10:11]
	s_nop 1
	v_div_fmas_f64 v[0:1], v[0:1], v[8:9], v[12:13]
	v_div_fixup_f64 v[2:3], v[0:1], v[2:3], 1.0
	v_mul_f64 v[0:1], v[6:7], v[2:3]
	v_xor_b32_e32 v3, 0x80000000, v3
.LBB120_653:
	s_andn2_saveexec_b64 s[12:13], s[12:13]
	s_cbranch_execz .LBB120_655
; %bb.654:
	v_div_scale_f64 v[6:7], s[4:5], v[0:1], v[0:1], v[2:3]
	v_rcp_f64_e32 v[8:9], v[6:7]
	v_div_scale_f64 v[10:11], vcc, v[2:3], v[0:1], v[2:3]
	v_fma_f64 v[12:13], -v[6:7], v[8:9], 1.0
	v_fmac_f64_e32 v[8:9], v[8:9], v[12:13]
	v_fma_f64 v[12:13], -v[6:7], v[8:9], 1.0
	v_fmac_f64_e32 v[8:9], v[8:9], v[12:13]
	v_mul_f64 v[12:13], v[10:11], v[8:9]
	v_fma_f64 v[6:7], -v[6:7], v[12:13], v[10:11]
	v_div_fmas_f64 v[6:7], v[6:7], v[8:9], v[12:13]
	v_div_fixup_f64 v[6:7], v[6:7], v[0:1], v[2:3]
	v_fmac_f64_e32 v[0:1], v[2:3], v[6:7]
	v_div_scale_f64 v[2:3], s[4:5], v[0:1], v[0:1], 1.0
	v_rcp_f64_e32 v[8:9], v[2:3]
	s_nop 0
	v_fma_f64 v[10:11], -v[2:3], v[8:9], 1.0
	v_fmac_f64_e32 v[8:9], v[8:9], v[10:11]
	v_fma_f64 v[10:11], -v[2:3], v[8:9], 1.0
	v_fmac_f64_e32 v[8:9], v[8:9], v[10:11]
	v_div_scale_f64 v[10:11], vcc, 1.0, v[0:1], 1.0
	v_mul_f64 v[12:13], v[10:11], v[8:9]
	v_fma_f64 v[2:3], -v[2:3], v[12:13], v[10:11]
	s_nop 1
	v_div_fmas_f64 v[2:3], v[2:3], v[8:9], v[12:13]
	v_div_fixup_f64 v[0:1], v[2:3], v[0:1], 1.0
	v_mul_f64 v[2:3], v[6:7], -v[0:1]
.LBB120_655:
	s_or_b64 exec, exec, s[12:13]
.LBB120_656:
	s_or_b64 exec, exec, s[0:1]
	v_cmp_ne_u32_e32 vcc, v81, v4
	s_and_saveexec_b64 s[0:1], vcc
	s_xor_b64 s[0:1], exec, s[0:1]
	s_cbranch_execz .LBB120_662
; %bb.657:
	v_cmp_eq_u32_e32 vcc, 26, v81
	s_and_saveexec_b64 s[12:13], vcc
	s_cbranch_execz .LBB120_661
; %bb.658:
	v_cmp_ne_u32_e32 vcc, 26, v4
	s_xor_b64 s[4:5], s[18:19], -1
	s_and_b64 s[4:5], s[4:5], vcc
	s_and_saveexec_b64 s[14:15], s[4:5]
	s_cbranch_execz .LBB120_660
; %bb.659:
	v_ashrrev_i32_e32 v5, 31, v4
	v_lshl_add_u64 v[6:7], v[4:5], 2, v[46:47]
	global_load_dword v5, v[6:7], off
	global_load_dword v8, v[46:47], off offset:104
	s_waitcnt vmcnt(1)
	global_store_dword v[46:47], v5, off offset:104
	s_waitcnt vmcnt(1)
	global_store_dword v[6:7], v8, off
.LBB120_660:
	s_or_b64 exec, exec, s[14:15]
	v_mov_b32_e32 v81, v4
	v_mov_b32_e32 v80, v4
.LBB120_661:
	s_or_b64 exec, exec, s[12:13]
.LBB120_662:
	s_andn2_saveexec_b64 s[0:1], s[0:1]
	s_cbranch_execz .LBB120_664
; %bb.663:
	scratch_load_dwordx4 v[4:7], off, s60
	v_mov_b32_e32 v81, 26
	s_waitcnt vmcnt(0)
	ds_write2_b64 v78, v[4:5], v[6:7] offset0:54 offset1:55
	scratch_load_dwordx4 v[4:7], off, s65
	s_waitcnt vmcnt(0)
	ds_write2_b64 v78, v[4:5], v[6:7] offset0:56 offset1:57
	scratch_load_dwordx4 v[4:7], off, s63
	s_waitcnt vmcnt(0)
	ds_write2_b64 v78, v[4:5], v[6:7] offset0:58 offset1:59
	scratch_load_dwordx4 v[4:7], off, s52
	s_waitcnt vmcnt(0)
	ds_write2_b64 v78, v[4:5], v[6:7] offset0:60 offset1:61
	scratch_load_dwordx4 v[4:7], off, s53
	s_waitcnt vmcnt(0)
	ds_write2_b64 v78, v[4:5], v[6:7] offset0:62 offset1:63
	scratch_load_dwordx4 v[4:7], off, s49
	s_waitcnt vmcnt(0)
	ds_write2_b64 v78, v[4:5], v[6:7] offset0:64 offset1:65
	scratch_load_dwordx4 v[4:7], off, s48
	s_waitcnt vmcnt(0)
	ds_write2_b64 v78, v[4:5], v[6:7] offset0:66 offset1:67
	scratch_load_dwordx4 v[4:7], off, s47
	s_waitcnt vmcnt(0)
	ds_write2_b64 v78, v[4:5], v[6:7] offset0:68 offset1:69
	scratch_load_dwordx4 v[4:7], off, s46
	s_waitcnt vmcnt(0)
	ds_write2_b64 v78, v[4:5], v[6:7] offset0:70 offset1:71
	scratch_load_dwordx4 v[4:7], off, s45
	s_waitcnt vmcnt(0)
	ds_write2_b64 v78, v[4:5], v[6:7] offset0:72 offset1:73
	scratch_load_dwordx4 v[4:7], off, s44
	s_waitcnt vmcnt(0)
	ds_write2_b64 v78, v[4:5], v[6:7] offset0:74 offset1:75
	scratch_load_dwordx4 v[4:7], off, s43
	s_waitcnt vmcnt(0)
	ds_write2_b64 v78, v[4:5], v[6:7] offset0:76 offset1:77
	scratch_load_dwordx4 v[4:7], off, s42
	s_waitcnt vmcnt(0)
	ds_write2_b64 v78, v[4:5], v[6:7] offset0:78 offset1:79
	scratch_load_dwordx4 v[4:7], off, s41
	s_waitcnt vmcnt(0)
	ds_write2_b64 v78, v[4:5], v[6:7] offset0:80 offset1:81
	scratch_load_dwordx4 v[4:7], off, s40
	s_waitcnt vmcnt(0)
	ds_write2_b64 v78, v[4:5], v[6:7] offset0:82 offset1:83
	scratch_load_dwordx4 v[4:7], off, s39
	s_waitcnt vmcnt(0)
	ds_write2_b64 v78, v[4:5], v[6:7] offset0:84 offset1:85
	scratch_load_dwordx4 v[4:7], off, s38
	s_waitcnt vmcnt(0)
	ds_write2_b64 v78, v[4:5], v[6:7] offset0:86 offset1:87
	scratch_load_dwordx4 v[4:7], off, s37
	s_waitcnt vmcnt(0)
	ds_write2_b64 v78, v[4:5], v[6:7] offset0:88 offset1:89
	scratch_load_dwordx4 v[4:7], off, s36
	s_waitcnt vmcnt(0)
	ds_write2_b64 v78, v[4:5], v[6:7] offset0:90 offset1:91
	scratch_load_dwordx4 v[4:7], off, s35
	s_waitcnt vmcnt(0)
	ds_write2_b64 v78, v[4:5], v[6:7] offset0:92 offset1:93
	scratch_load_dwordx4 v[4:7], off, s34
	s_waitcnt vmcnt(0)
	ds_write2_b64 v78, v[4:5], v[6:7] offset0:94 offset1:95
	scratch_load_dwordx4 v[4:7], off, s33
	s_waitcnt vmcnt(0)
	ds_write2_b64 v78, v[4:5], v[6:7] offset0:96 offset1:97
	scratch_load_dwordx4 v[4:7], off, s31
	s_waitcnt vmcnt(0)
	ds_write2_b64 v78, v[4:5], v[6:7] offset0:98 offset1:99
	scratch_load_dwordx4 v[4:7], off, s30
	s_waitcnt vmcnt(0)
	ds_write2_b64 v78, v[4:5], v[6:7] offset0:100 offset1:101
	scratch_load_dwordx4 v[4:7], off, s29
	s_waitcnt vmcnt(0)
	ds_write2_b64 v78, v[4:5], v[6:7] offset0:102 offset1:103
	scratch_load_dwordx4 v[4:7], off, s28
	s_waitcnt vmcnt(0)
	ds_write2_b64 v78, v[4:5], v[6:7] offset0:104 offset1:105
	scratch_load_dwordx4 v[4:7], off, s27
	s_waitcnt vmcnt(0)
	ds_write2_b64 v78, v[4:5], v[6:7] offset0:106 offset1:107
	scratch_load_dwordx4 v[4:7], off, s26
	s_waitcnt vmcnt(0)
	ds_write2_b64 v78, v[4:5], v[6:7] offset0:108 offset1:109
	scratch_load_dwordx4 v[4:7], off, s25
	s_waitcnt vmcnt(0)
	ds_write2_b64 v78, v[4:5], v[6:7] offset0:110 offset1:111
	scratch_load_dwordx4 v[4:7], off, s24
	s_waitcnt vmcnt(0)
	ds_write2_b64 v78, v[4:5], v[6:7] offset0:112 offset1:113
	scratch_load_dwordx4 v[4:7], off, s23
	s_waitcnt vmcnt(0)
	ds_write2_b64 v78, v[4:5], v[6:7] offset0:114 offset1:115
	scratch_load_dwordx4 v[4:7], off, s22
	s_waitcnt vmcnt(0)
	ds_write2_b64 v78, v[4:5], v[6:7] offset0:116 offset1:117
	scratch_load_dwordx4 v[4:7], off, s21
	s_waitcnt vmcnt(0)
	ds_write2_b64 v78, v[4:5], v[6:7] offset0:118 offset1:119
	scratch_load_dwordx4 v[4:7], off, s20
	s_waitcnt vmcnt(0)
	ds_write2_b64 v78, v[4:5], v[6:7] offset0:120 offset1:121
.LBB120_664:
	s_or_b64 exec, exec, s[0:1]
	v_cmp_lt_i32_e32 vcc, 26, v81
	s_waitcnt lgkmcnt(0)
	s_barrier
	s_and_saveexec_b64 s[0:1], vcc
	s_cbranch_execz .LBB120_667
; %bb.665:
	scratch_load_dwordx4 v[8:11], off, off offset:416
	s_mov_b32 s4, 0
	s_waitcnt vmcnt(0)
	v_mul_f64 v[4:5], v[2:3], v[10:11]
	v_mul_f64 v[6:7], v[0:1], v[10:11]
	v_fma_f64 v[4:5], v[0:1], v[8:9], -v[4:5]
	v_fmac_f64_e32 v[6:7], v[2:3], v[8:9]
	v_add_u32_e32 v0, 0x1b0, v78
	scratch_store_dwordx4 off, v[4:7], off offset:416
.LBB120_666:                            ; =>This Inner Loop Header: Depth=1
	s_add_i32 s12, s4, 0x1b0
	s_add_i32 s5, s4, 0x1c0
	scratch_load_dwordx4 v[8:11], off, s12
	scratch_load_dwordx4 v[12:15], off, s5
	v_add_u32_e32 v1, s4, v0
	ds_read2_b64 v[16:19], v1 offset1:1
	ds_read2_b64 v[20:23], v1 offset0:2 offset1:3
	s_add_i32 s4, s4, 32
	s_cmpk_lg_i32 s4, 0x220
	s_waitcnt lgkmcnt(1)
	v_mul_f64 v[2:3], v[18:19], v[6:7]
	v_mul_f64 v[24:25], v[16:17], v[6:7]
	s_waitcnt lgkmcnt(0)
	v_mul_f64 v[26:27], v[22:23], v[6:7]
	v_mul_f64 v[28:29], v[20:21], v[6:7]
	v_fma_f64 v[2:3], v[16:17], v[4:5], -v[2:3]
	v_fmac_f64_e32 v[24:25], v[18:19], v[4:5]
	v_fma_f64 v[16:17], v[20:21], v[4:5], -v[26:27]
	v_fmac_f64_e32 v[28:29], v[22:23], v[4:5]
	s_waitcnt vmcnt(1)
	v_add_f64 v[8:9], v[8:9], -v[2:3]
	v_add_f64 v[10:11], v[10:11], -v[24:25]
	s_waitcnt vmcnt(0)
	v_add_f64 v[12:13], v[12:13], -v[16:17]
	v_add_f64 v[14:15], v[14:15], -v[28:29]
	scratch_store_dwordx4 off, v[8:11], s12
	scratch_store_dwordx4 off, v[12:15], s5
	s_cbranch_scc1 .LBB120_666
.LBB120_667:
	s_or_b64 exec, exec, s[0:1]
	s_barrier
	scratch_load_dwordx4 v[0:3], off, s60
	v_lshl_add_u32 v4, v81, 4, v78
	s_cmp_lt_i32 s51, 29
	s_waitcnt vmcnt(0)
	ds_write2_b64 v4, v[0:1], v[2:3] offset1:1
	s_waitcnt lgkmcnt(0)
	s_barrier
	ds_read2_b64 v[0:3], v78 offset0:54 offset1:55
	v_mov_b32_e32 v4, 27
	s_cbranch_scc1 .LBB120_670
; %bb.668:
	v_add_u32_e32 v5, 0x1c0, v78
	s_mov_b32 s4, 28
	v_mov_b32_e32 v4, 27
.LBB120_669:                            ; =>This Inner Loop Header: Depth=1
	ds_read2_b64 v[6:9], v5 offset1:1
	s_waitcnt lgkmcnt(1)
	v_xor_b32_e32 v11, 0x80000000, v1
	v_xor_b32_e32 v13, 0x80000000, v3
	v_cmp_gt_f64_e32 vcc, 0, v[2:3]
	v_cmp_gt_f64_e64 s[0:1], 0, v[0:1]
	v_mov_b32_e32 v10, v0
	v_mov_b32_e32 v12, v2
	v_cndmask_b32_e64 v11, v1, v11, s[0:1]
	v_cndmask_b32_e32 v13, v3, v13, vcc
	v_add_f64 v[10:11], v[10:11], v[12:13]
	s_waitcnt lgkmcnt(0)
	v_xor_b32_e32 v13, 0x80000000, v7
	v_xor_b32_e32 v15, 0x80000000, v9
	v_cmp_gt_f64_e32 vcc, 0, v[8:9]
	v_cmp_gt_f64_e64 s[0:1], 0, v[6:7]
	v_mov_b32_e32 v12, v6
	v_mov_b32_e32 v14, v8
	v_cndmask_b32_e64 v13, v7, v13, s[0:1]
	v_cndmask_b32_e32 v15, v9, v15, vcc
	v_add_f64 v[12:13], v[12:13], v[14:15]
	v_mov_b32_e32 v16, s4
	s_add_i32 s4, s4, 1
	v_cmp_lt_f64_e32 vcc, v[10:11], v[12:13]
	v_add_u32_e32 v5, 16, v5
	s_cmp_lg_u32 s51, s4
	v_cndmask_b32_e32 v1, v1, v7, vcc
	v_cndmask_b32_e32 v0, v0, v6, vcc
	;; [unrolled: 1-line block ×5, first 2 shown]
	s_cbranch_scc1 .LBB120_669
.LBB120_670:
	s_waitcnt lgkmcnt(0)
	v_cmp_eq_f64_e32 vcc, 0, v[0:1]
	v_cmp_eq_f64_e64 s[0:1], 0, v[2:3]
	s_and_b64 s[0:1], vcc, s[0:1]
	s_and_saveexec_b64 s[4:5], s[0:1]
	s_xor_b64 s[0:1], exec, s[4:5]
; %bb.671:
	v_cmp_ne_u32_e32 vcc, 0, v79
	s_nop 1
	v_cndmask_b32_e32 v79, 28, v79, vcc
; %bb.672:
	s_andn2_saveexec_b64 s[0:1], s[0:1]
	s_cbranch_execz .LBB120_678
; %bb.673:
	v_cmp_ngt_f64_e64 s[4:5], |v[0:1]|, |v[2:3]|
	s_and_saveexec_b64 s[12:13], s[4:5]
	s_xor_b64 s[12:13], exec, s[12:13]
	s_cbranch_execz .LBB120_675
; %bb.674:
	v_div_scale_f64 v[6:7], s[4:5], v[2:3], v[2:3], v[0:1]
	v_rcp_f64_e32 v[8:9], v[6:7]
	v_div_scale_f64 v[10:11], vcc, v[0:1], v[2:3], v[0:1]
	v_fma_f64 v[12:13], -v[6:7], v[8:9], 1.0
	v_fmac_f64_e32 v[8:9], v[8:9], v[12:13]
	v_fma_f64 v[12:13], -v[6:7], v[8:9], 1.0
	v_fmac_f64_e32 v[8:9], v[8:9], v[12:13]
	v_mul_f64 v[12:13], v[10:11], v[8:9]
	v_fma_f64 v[6:7], -v[6:7], v[12:13], v[10:11]
	v_div_fmas_f64 v[6:7], v[6:7], v[8:9], v[12:13]
	v_div_fixup_f64 v[6:7], v[6:7], v[2:3], v[0:1]
	v_fmac_f64_e32 v[2:3], v[0:1], v[6:7]
	v_div_scale_f64 v[0:1], s[4:5], v[2:3], v[2:3], 1.0
	v_rcp_f64_e32 v[8:9], v[0:1]
	s_nop 0
	v_fma_f64 v[10:11], -v[0:1], v[8:9], 1.0
	v_fmac_f64_e32 v[8:9], v[8:9], v[10:11]
	v_fma_f64 v[10:11], -v[0:1], v[8:9], 1.0
	v_fmac_f64_e32 v[8:9], v[8:9], v[10:11]
	v_div_scale_f64 v[10:11], vcc, 1.0, v[2:3], 1.0
	v_mul_f64 v[12:13], v[10:11], v[8:9]
	v_fma_f64 v[0:1], -v[0:1], v[12:13], v[10:11]
	s_nop 1
	v_div_fmas_f64 v[0:1], v[0:1], v[8:9], v[12:13]
	v_div_fixup_f64 v[2:3], v[0:1], v[2:3], 1.0
	v_mul_f64 v[0:1], v[6:7], v[2:3]
	v_xor_b32_e32 v3, 0x80000000, v3
.LBB120_675:
	s_andn2_saveexec_b64 s[12:13], s[12:13]
	s_cbranch_execz .LBB120_677
; %bb.676:
	v_div_scale_f64 v[6:7], s[4:5], v[0:1], v[0:1], v[2:3]
	v_rcp_f64_e32 v[8:9], v[6:7]
	v_div_scale_f64 v[10:11], vcc, v[2:3], v[0:1], v[2:3]
	v_fma_f64 v[12:13], -v[6:7], v[8:9], 1.0
	v_fmac_f64_e32 v[8:9], v[8:9], v[12:13]
	v_fma_f64 v[12:13], -v[6:7], v[8:9], 1.0
	v_fmac_f64_e32 v[8:9], v[8:9], v[12:13]
	v_mul_f64 v[12:13], v[10:11], v[8:9]
	v_fma_f64 v[6:7], -v[6:7], v[12:13], v[10:11]
	v_div_fmas_f64 v[6:7], v[6:7], v[8:9], v[12:13]
	v_div_fixup_f64 v[6:7], v[6:7], v[0:1], v[2:3]
	v_fmac_f64_e32 v[0:1], v[2:3], v[6:7]
	v_div_scale_f64 v[2:3], s[4:5], v[0:1], v[0:1], 1.0
	v_rcp_f64_e32 v[8:9], v[2:3]
	s_nop 0
	v_fma_f64 v[10:11], -v[2:3], v[8:9], 1.0
	v_fmac_f64_e32 v[8:9], v[8:9], v[10:11]
	v_fma_f64 v[10:11], -v[2:3], v[8:9], 1.0
	v_fmac_f64_e32 v[8:9], v[8:9], v[10:11]
	v_div_scale_f64 v[10:11], vcc, 1.0, v[0:1], 1.0
	v_mul_f64 v[12:13], v[10:11], v[8:9]
	v_fma_f64 v[2:3], -v[2:3], v[12:13], v[10:11]
	s_nop 1
	v_div_fmas_f64 v[2:3], v[2:3], v[8:9], v[12:13]
	v_div_fixup_f64 v[0:1], v[2:3], v[0:1], 1.0
	v_mul_f64 v[2:3], v[6:7], -v[0:1]
.LBB120_677:
	s_or_b64 exec, exec, s[12:13]
.LBB120_678:
	s_or_b64 exec, exec, s[0:1]
	v_cmp_ne_u32_e32 vcc, v81, v4
	s_and_saveexec_b64 s[0:1], vcc
	s_xor_b64 s[0:1], exec, s[0:1]
	s_cbranch_execz .LBB120_684
; %bb.679:
	v_cmp_eq_u32_e32 vcc, 27, v81
	s_and_saveexec_b64 s[12:13], vcc
	s_cbranch_execz .LBB120_683
; %bb.680:
	v_cmp_ne_u32_e32 vcc, 27, v4
	s_xor_b64 s[4:5], s[18:19], -1
	s_and_b64 s[4:5], s[4:5], vcc
	s_and_saveexec_b64 s[14:15], s[4:5]
	s_cbranch_execz .LBB120_682
; %bb.681:
	v_ashrrev_i32_e32 v5, 31, v4
	v_lshl_add_u64 v[6:7], v[4:5], 2, v[46:47]
	global_load_dword v5, v[6:7], off
	global_load_dword v8, v[46:47], off offset:108
	s_waitcnt vmcnt(1)
	global_store_dword v[46:47], v5, off offset:108
	s_waitcnt vmcnt(1)
	global_store_dword v[6:7], v8, off
.LBB120_682:
	s_or_b64 exec, exec, s[14:15]
	v_mov_b32_e32 v81, v4
	v_mov_b32_e32 v80, v4
.LBB120_683:
	s_or_b64 exec, exec, s[12:13]
.LBB120_684:
	s_andn2_saveexec_b64 s[0:1], s[0:1]
	s_cbranch_execz .LBB120_686
; %bb.685:
	scratch_load_dwordx4 v[4:7], off, s65
	v_mov_b32_e32 v81, 27
	s_waitcnt vmcnt(0)
	ds_write2_b64 v78, v[4:5], v[6:7] offset0:56 offset1:57
	scratch_load_dwordx4 v[4:7], off, s63
	s_waitcnt vmcnt(0)
	ds_write2_b64 v78, v[4:5], v[6:7] offset0:58 offset1:59
	scratch_load_dwordx4 v[4:7], off, s52
	;; [unrolled: 3-line block ×32, first 2 shown]
	s_waitcnt vmcnt(0)
	ds_write2_b64 v78, v[4:5], v[6:7] offset0:120 offset1:121
.LBB120_686:
	s_or_b64 exec, exec, s[0:1]
	v_cmp_lt_i32_e32 vcc, 27, v81
	s_waitcnt lgkmcnt(0)
	s_barrier
	s_and_saveexec_b64 s[0:1], vcc
	s_cbranch_execz .LBB120_689
; %bb.687:
	scratch_load_dwordx4 v[8:11], off, off offset:432
	s_mov_b32 s4, 0
	s_waitcnt vmcnt(0)
	v_mul_f64 v[4:5], v[2:3], v[10:11]
	v_mul_f64 v[6:7], v[0:1], v[10:11]
	v_fma_f64 v[4:5], v[0:1], v[8:9], -v[4:5]
	v_fmac_f64_e32 v[6:7], v[2:3], v[8:9]
	v_add_u32_e32 v0, 0x1c0, v78
	scratch_store_dwordx4 off, v[4:7], off offset:432
.LBB120_688:                            ; =>This Inner Loop Header: Depth=1
	s_add_i32 s12, s4, 0x1c0
	s_add_i32 s13, s4, 0x1d0
	;; [unrolled: 1-line block ×3, first 2 shown]
	scratch_load_dwordx4 v[8:11], off, s12
	scratch_load_dwordx4 v[12:15], off, s13
	scratch_load_dwordx4 v[16:19], off, s5
	v_add_u32_e32 v1, s4, v0
	ds_read2_b64 v[20:23], v1 offset1:1
	ds_read2_b64 v[24:27], v1 offset0:2 offset1:3
	ds_read2_b64 v[28:31], v1 offset0:4 offset1:5
	s_add_i32 s4, s4, 48
	s_cmpk_lg_i32 s4, 0x210
	s_waitcnt lgkmcnt(2)
	v_mul_f64 v[2:3], v[22:23], v[6:7]
	v_mul_f64 v[32:33], v[20:21], v[6:7]
	s_waitcnt lgkmcnt(1)
	v_mul_f64 v[34:35], v[26:27], v[6:7]
	v_mul_f64 v[36:37], v[24:25], v[6:7]
	;; [unrolled: 3-line block ×3, first 2 shown]
	v_fma_f64 v[2:3], v[20:21], v[4:5], -v[2:3]
	v_fmac_f64_e32 v[32:33], v[22:23], v[4:5]
	v_fma_f64 v[20:21], v[24:25], v[4:5], -v[34:35]
	v_fmac_f64_e32 v[36:37], v[26:27], v[4:5]
	;; [unrolled: 2-line block ×3, first 2 shown]
	s_waitcnt vmcnt(2)
	v_add_f64 v[8:9], v[8:9], -v[2:3]
	v_add_f64 v[10:11], v[10:11], -v[32:33]
	s_waitcnt vmcnt(1)
	v_add_f64 v[12:13], v[12:13], -v[20:21]
	v_add_f64 v[14:15], v[14:15], -v[36:37]
	;; [unrolled: 3-line block ×3, first 2 shown]
	scratch_store_dwordx4 off, v[8:11], s12
	scratch_store_dwordx4 off, v[12:15], s13
	;; [unrolled: 1-line block ×3, first 2 shown]
	s_cbranch_scc1 .LBB120_688
.LBB120_689:
	s_or_b64 exec, exec, s[0:1]
	s_barrier
	scratch_load_dwordx4 v[0:3], off, s65
	v_lshl_add_u32 v4, v81, 4, v78
	s_cmp_lt_i32 s51, 30
	s_waitcnt vmcnt(0)
	ds_write2_b64 v4, v[0:1], v[2:3] offset1:1
	s_waitcnt lgkmcnt(0)
	s_barrier
	ds_read2_b64 v[0:3], v78 offset0:56 offset1:57
	v_mov_b32_e32 v4, 28
	s_cbranch_scc1 .LBB120_692
; %bb.690:
	v_add_u32_e32 v5, 0x1d0, v78
	s_mov_b32 s4, 29
	v_mov_b32_e32 v4, 28
.LBB120_691:                            ; =>This Inner Loop Header: Depth=1
	ds_read2_b64 v[6:9], v5 offset1:1
	s_waitcnt lgkmcnt(1)
	v_xor_b32_e32 v11, 0x80000000, v1
	v_xor_b32_e32 v13, 0x80000000, v3
	v_cmp_gt_f64_e32 vcc, 0, v[2:3]
	v_cmp_gt_f64_e64 s[0:1], 0, v[0:1]
	v_mov_b32_e32 v10, v0
	v_mov_b32_e32 v12, v2
	v_cndmask_b32_e64 v11, v1, v11, s[0:1]
	v_cndmask_b32_e32 v13, v3, v13, vcc
	v_add_f64 v[10:11], v[10:11], v[12:13]
	s_waitcnt lgkmcnt(0)
	v_xor_b32_e32 v13, 0x80000000, v7
	v_xor_b32_e32 v15, 0x80000000, v9
	v_cmp_gt_f64_e32 vcc, 0, v[8:9]
	v_cmp_gt_f64_e64 s[0:1], 0, v[6:7]
	v_mov_b32_e32 v12, v6
	v_mov_b32_e32 v14, v8
	v_cndmask_b32_e64 v13, v7, v13, s[0:1]
	v_cndmask_b32_e32 v15, v9, v15, vcc
	v_add_f64 v[12:13], v[12:13], v[14:15]
	v_mov_b32_e32 v16, s4
	s_add_i32 s4, s4, 1
	v_cmp_lt_f64_e32 vcc, v[10:11], v[12:13]
	v_add_u32_e32 v5, 16, v5
	s_cmp_lg_u32 s51, s4
	v_cndmask_b32_e32 v1, v1, v7, vcc
	v_cndmask_b32_e32 v0, v0, v6, vcc
	;; [unrolled: 1-line block ×5, first 2 shown]
	s_cbranch_scc1 .LBB120_691
.LBB120_692:
	s_waitcnt lgkmcnt(0)
	v_cmp_eq_f64_e32 vcc, 0, v[0:1]
	v_cmp_eq_f64_e64 s[0:1], 0, v[2:3]
	s_and_b64 s[0:1], vcc, s[0:1]
	s_and_saveexec_b64 s[4:5], s[0:1]
	s_xor_b64 s[0:1], exec, s[4:5]
; %bb.693:
	v_cmp_ne_u32_e32 vcc, 0, v79
	s_nop 1
	v_cndmask_b32_e32 v79, 29, v79, vcc
; %bb.694:
	s_andn2_saveexec_b64 s[0:1], s[0:1]
	s_cbranch_execz .LBB120_700
; %bb.695:
	v_cmp_ngt_f64_e64 s[4:5], |v[0:1]|, |v[2:3]|
	s_and_saveexec_b64 s[12:13], s[4:5]
	s_xor_b64 s[12:13], exec, s[12:13]
	s_cbranch_execz .LBB120_697
; %bb.696:
	v_div_scale_f64 v[6:7], s[4:5], v[2:3], v[2:3], v[0:1]
	v_rcp_f64_e32 v[8:9], v[6:7]
	v_div_scale_f64 v[10:11], vcc, v[0:1], v[2:3], v[0:1]
	v_fma_f64 v[12:13], -v[6:7], v[8:9], 1.0
	v_fmac_f64_e32 v[8:9], v[8:9], v[12:13]
	v_fma_f64 v[12:13], -v[6:7], v[8:9], 1.0
	v_fmac_f64_e32 v[8:9], v[8:9], v[12:13]
	v_mul_f64 v[12:13], v[10:11], v[8:9]
	v_fma_f64 v[6:7], -v[6:7], v[12:13], v[10:11]
	v_div_fmas_f64 v[6:7], v[6:7], v[8:9], v[12:13]
	v_div_fixup_f64 v[6:7], v[6:7], v[2:3], v[0:1]
	v_fmac_f64_e32 v[2:3], v[0:1], v[6:7]
	v_div_scale_f64 v[0:1], s[4:5], v[2:3], v[2:3], 1.0
	v_rcp_f64_e32 v[8:9], v[0:1]
	s_nop 0
	v_fma_f64 v[10:11], -v[0:1], v[8:9], 1.0
	v_fmac_f64_e32 v[8:9], v[8:9], v[10:11]
	v_fma_f64 v[10:11], -v[0:1], v[8:9], 1.0
	v_fmac_f64_e32 v[8:9], v[8:9], v[10:11]
	v_div_scale_f64 v[10:11], vcc, 1.0, v[2:3], 1.0
	v_mul_f64 v[12:13], v[10:11], v[8:9]
	v_fma_f64 v[0:1], -v[0:1], v[12:13], v[10:11]
	s_nop 1
	v_div_fmas_f64 v[0:1], v[0:1], v[8:9], v[12:13]
	v_div_fixup_f64 v[2:3], v[0:1], v[2:3], 1.0
	v_mul_f64 v[0:1], v[6:7], v[2:3]
	v_xor_b32_e32 v3, 0x80000000, v3
.LBB120_697:
	s_andn2_saveexec_b64 s[12:13], s[12:13]
	s_cbranch_execz .LBB120_699
; %bb.698:
	v_div_scale_f64 v[6:7], s[4:5], v[0:1], v[0:1], v[2:3]
	v_rcp_f64_e32 v[8:9], v[6:7]
	v_div_scale_f64 v[10:11], vcc, v[2:3], v[0:1], v[2:3]
	v_fma_f64 v[12:13], -v[6:7], v[8:9], 1.0
	v_fmac_f64_e32 v[8:9], v[8:9], v[12:13]
	v_fma_f64 v[12:13], -v[6:7], v[8:9], 1.0
	v_fmac_f64_e32 v[8:9], v[8:9], v[12:13]
	v_mul_f64 v[12:13], v[10:11], v[8:9]
	v_fma_f64 v[6:7], -v[6:7], v[12:13], v[10:11]
	v_div_fmas_f64 v[6:7], v[6:7], v[8:9], v[12:13]
	v_div_fixup_f64 v[6:7], v[6:7], v[0:1], v[2:3]
	v_fmac_f64_e32 v[0:1], v[2:3], v[6:7]
	v_div_scale_f64 v[2:3], s[4:5], v[0:1], v[0:1], 1.0
	v_rcp_f64_e32 v[8:9], v[2:3]
	s_nop 0
	v_fma_f64 v[10:11], -v[2:3], v[8:9], 1.0
	v_fmac_f64_e32 v[8:9], v[8:9], v[10:11]
	v_fma_f64 v[10:11], -v[2:3], v[8:9], 1.0
	v_fmac_f64_e32 v[8:9], v[8:9], v[10:11]
	v_div_scale_f64 v[10:11], vcc, 1.0, v[0:1], 1.0
	v_mul_f64 v[12:13], v[10:11], v[8:9]
	v_fma_f64 v[2:3], -v[2:3], v[12:13], v[10:11]
	s_nop 1
	v_div_fmas_f64 v[2:3], v[2:3], v[8:9], v[12:13]
	v_div_fixup_f64 v[0:1], v[2:3], v[0:1], 1.0
	v_mul_f64 v[2:3], v[6:7], -v[0:1]
.LBB120_699:
	s_or_b64 exec, exec, s[12:13]
.LBB120_700:
	s_or_b64 exec, exec, s[0:1]
	v_cmp_ne_u32_e32 vcc, v81, v4
	s_and_saveexec_b64 s[0:1], vcc
	s_xor_b64 s[0:1], exec, s[0:1]
	s_cbranch_execz .LBB120_706
; %bb.701:
	v_cmp_eq_u32_e32 vcc, 28, v81
	s_and_saveexec_b64 s[12:13], vcc
	s_cbranch_execz .LBB120_705
; %bb.702:
	v_cmp_ne_u32_e32 vcc, 28, v4
	s_xor_b64 s[4:5], s[18:19], -1
	s_and_b64 s[4:5], s[4:5], vcc
	s_and_saveexec_b64 s[14:15], s[4:5]
	s_cbranch_execz .LBB120_704
; %bb.703:
	v_ashrrev_i32_e32 v5, 31, v4
	v_lshl_add_u64 v[6:7], v[4:5], 2, v[46:47]
	global_load_dword v5, v[6:7], off
	global_load_dword v8, v[46:47], off offset:112
	s_waitcnt vmcnt(1)
	global_store_dword v[46:47], v5, off offset:112
	s_waitcnt vmcnt(1)
	global_store_dword v[6:7], v8, off
.LBB120_704:
	s_or_b64 exec, exec, s[14:15]
	v_mov_b32_e32 v81, v4
	v_mov_b32_e32 v80, v4
.LBB120_705:
	s_or_b64 exec, exec, s[12:13]
.LBB120_706:
	s_andn2_saveexec_b64 s[0:1], s[0:1]
	s_cbranch_execz .LBB120_708
; %bb.707:
	scratch_load_dwordx4 v[4:7], off, s63
	v_mov_b32_e32 v81, 28
	s_waitcnt vmcnt(0)
	ds_write2_b64 v78, v[4:5], v[6:7] offset0:58 offset1:59
	scratch_load_dwordx4 v[4:7], off, s52
	s_waitcnt vmcnt(0)
	ds_write2_b64 v78, v[4:5], v[6:7] offset0:60 offset1:61
	scratch_load_dwordx4 v[4:7], off, s53
	s_waitcnt vmcnt(0)
	ds_write2_b64 v78, v[4:5], v[6:7] offset0:62 offset1:63
	scratch_load_dwordx4 v[4:7], off, s49
	s_waitcnt vmcnt(0)
	ds_write2_b64 v78, v[4:5], v[6:7] offset0:64 offset1:65
	scratch_load_dwordx4 v[4:7], off, s48
	s_waitcnt vmcnt(0)
	ds_write2_b64 v78, v[4:5], v[6:7] offset0:66 offset1:67
	scratch_load_dwordx4 v[4:7], off, s47
	s_waitcnt vmcnt(0)
	ds_write2_b64 v78, v[4:5], v[6:7] offset0:68 offset1:69
	scratch_load_dwordx4 v[4:7], off, s46
	s_waitcnt vmcnt(0)
	ds_write2_b64 v78, v[4:5], v[6:7] offset0:70 offset1:71
	scratch_load_dwordx4 v[4:7], off, s45
	s_waitcnt vmcnt(0)
	ds_write2_b64 v78, v[4:5], v[6:7] offset0:72 offset1:73
	scratch_load_dwordx4 v[4:7], off, s44
	s_waitcnt vmcnt(0)
	ds_write2_b64 v78, v[4:5], v[6:7] offset0:74 offset1:75
	scratch_load_dwordx4 v[4:7], off, s43
	s_waitcnt vmcnt(0)
	ds_write2_b64 v78, v[4:5], v[6:7] offset0:76 offset1:77
	scratch_load_dwordx4 v[4:7], off, s42
	s_waitcnt vmcnt(0)
	ds_write2_b64 v78, v[4:5], v[6:7] offset0:78 offset1:79
	scratch_load_dwordx4 v[4:7], off, s41
	s_waitcnt vmcnt(0)
	ds_write2_b64 v78, v[4:5], v[6:7] offset0:80 offset1:81
	scratch_load_dwordx4 v[4:7], off, s40
	s_waitcnt vmcnt(0)
	ds_write2_b64 v78, v[4:5], v[6:7] offset0:82 offset1:83
	scratch_load_dwordx4 v[4:7], off, s39
	s_waitcnt vmcnt(0)
	ds_write2_b64 v78, v[4:5], v[6:7] offset0:84 offset1:85
	scratch_load_dwordx4 v[4:7], off, s38
	s_waitcnt vmcnt(0)
	ds_write2_b64 v78, v[4:5], v[6:7] offset0:86 offset1:87
	scratch_load_dwordx4 v[4:7], off, s37
	s_waitcnt vmcnt(0)
	ds_write2_b64 v78, v[4:5], v[6:7] offset0:88 offset1:89
	scratch_load_dwordx4 v[4:7], off, s36
	s_waitcnt vmcnt(0)
	ds_write2_b64 v78, v[4:5], v[6:7] offset0:90 offset1:91
	scratch_load_dwordx4 v[4:7], off, s35
	s_waitcnt vmcnt(0)
	ds_write2_b64 v78, v[4:5], v[6:7] offset0:92 offset1:93
	scratch_load_dwordx4 v[4:7], off, s34
	s_waitcnt vmcnt(0)
	ds_write2_b64 v78, v[4:5], v[6:7] offset0:94 offset1:95
	scratch_load_dwordx4 v[4:7], off, s33
	s_waitcnt vmcnt(0)
	ds_write2_b64 v78, v[4:5], v[6:7] offset0:96 offset1:97
	scratch_load_dwordx4 v[4:7], off, s31
	s_waitcnt vmcnt(0)
	ds_write2_b64 v78, v[4:5], v[6:7] offset0:98 offset1:99
	scratch_load_dwordx4 v[4:7], off, s30
	s_waitcnt vmcnt(0)
	ds_write2_b64 v78, v[4:5], v[6:7] offset0:100 offset1:101
	scratch_load_dwordx4 v[4:7], off, s29
	s_waitcnt vmcnt(0)
	ds_write2_b64 v78, v[4:5], v[6:7] offset0:102 offset1:103
	scratch_load_dwordx4 v[4:7], off, s28
	s_waitcnt vmcnt(0)
	ds_write2_b64 v78, v[4:5], v[6:7] offset0:104 offset1:105
	scratch_load_dwordx4 v[4:7], off, s27
	s_waitcnt vmcnt(0)
	ds_write2_b64 v78, v[4:5], v[6:7] offset0:106 offset1:107
	scratch_load_dwordx4 v[4:7], off, s26
	s_waitcnt vmcnt(0)
	ds_write2_b64 v78, v[4:5], v[6:7] offset0:108 offset1:109
	scratch_load_dwordx4 v[4:7], off, s25
	s_waitcnt vmcnt(0)
	ds_write2_b64 v78, v[4:5], v[6:7] offset0:110 offset1:111
	scratch_load_dwordx4 v[4:7], off, s24
	s_waitcnt vmcnt(0)
	ds_write2_b64 v78, v[4:5], v[6:7] offset0:112 offset1:113
	scratch_load_dwordx4 v[4:7], off, s23
	s_waitcnt vmcnt(0)
	ds_write2_b64 v78, v[4:5], v[6:7] offset0:114 offset1:115
	scratch_load_dwordx4 v[4:7], off, s22
	s_waitcnt vmcnt(0)
	ds_write2_b64 v78, v[4:5], v[6:7] offset0:116 offset1:117
	scratch_load_dwordx4 v[4:7], off, s21
	s_waitcnt vmcnt(0)
	ds_write2_b64 v78, v[4:5], v[6:7] offset0:118 offset1:119
	scratch_load_dwordx4 v[4:7], off, s20
	s_waitcnt vmcnt(0)
	ds_write2_b64 v78, v[4:5], v[6:7] offset0:120 offset1:121
.LBB120_708:
	s_or_b64 exec, exec, s[0:1]
	v_cmp_lt_i32_e32 vcc, 28, v81
	s_waitcnt lgkmcnt(0)
	s_barrier
	s_and_saveexec_b64 s[0:1], vcc
	s_cbranch_execz .LBB120_710
; %bb.709:
	scratch_load_dwordx4 v[4:7], off, off offset:448
	s_waitcnt vmcnt(0)
	v_mul_f64 v[8:9], v[2:3], v[6:7]
	v_mul_f64 v[10:11], v[0:1], v[6:7]
	v_fma_f64 v[8:9], v[0:1], v[4:5], -v[8:9]
	v_fmac_f64_e32 v[10:11], v[2:3], v[4:5]
	ds_read2_b64 v[0:3], v78 offset0:58 offset1:59
	scratch_store_dwordx4 off, v[8:11], off offset:448
	s_waitcnt lgkmcnt(0)
	v_mul_f64 v[4:5], v[2:3], v[10:11]
	v_mul_f64 v[6:7], v[0:1], v[10:11]
	v_fma_f64 v[4:5], v[0:1], v[8:9], -v[4:5]
	v_fmac_f64_e32 v[6:7], v[2:3], v[8:9]
	scratch_load_dwordx4 v[0:3], off, off offset:464
	s_waitcnt vmcnt(0)
	v_add_f64 v[0:1], v[0:1], -v[4:5]
	v_add_f64 v[2:3], v[2:3], -v[6:7]
	scratch_store_dwordx4 off, v[0:3], off offset:464
	ds_read2_b64 v[0:3], v78 offset0:60 offset1:61
	s_waitcnt lgkmcnt(0)
	v_mul_f64 v[4:5], v[2:3], v[10:11]
	v_mul_f64 v[6:7], v[0:1], v[10:11]
	v_fma_f64 v[4:5], v[0:1], v[8:9], -v[4:5]
	v_fmac_f64_e32 v[6:7], v[2:3], v[8:9]
	scratch_load_dwordx4 v[0:3], off, off offset:480
	s_waitcnt vmcnt(0)
	v_add_f64 v[0:1], v[0:1], -v[4:5]
	v_add_f64 v[2:3], v[2:3], -v[6:7]
	scratch_store_dwordx4 off, v[0:3], off offset:480
	ds_read2_b64 v[0:3], v78 offset0:62 offset1:63
	;; [unrolled: 11-line block ×6, first 2 shown]
	scratch_load_dwordx2 v[8:9], off, off offset:448
	scratch_load_dwordx4 v[0:3], off, off offset:448
	s_waitcnt vmcnt(0) lgkmcnt(0)
	v_mul_f64 v[10:11], v[6:7], v[2:3]
	v_mul_f64 v[12:13], v[4:5], v[2:3]
	v_fma_f64 v[10:11], v[4:5], v[8:9], -v[10:11]
	v_fmac_f64_e32 v[12:13], v[6:7], v[8:9]
	scratch_load_dwordx4 v[4:7], off, off offset:560
	s_waitcnt vmcnt(0)
	v_add_f64 v[4:5], v[4:5], -v[10:11]
	v_add_f64 v[6:7], v[6:7], -v[12:13]
	scratch_store_dwordx4 off, v[4:7], off offset:560
	ds_read2_b64 v[4:7], v78 offset0:72 offset1:73
	s_waitcnt lgkmcnt(0)
	v_mul_f64 v[10:11], v[6:7], v[2:3]
	v_mul_f64 v[12:13], v[4:5], v[2:3]
	v_fma_f64 v[10:11], v[4:5], v[8:9], -v[10:11]
	v_fmac_f64_e32 v[12:13], v[6:7], v[8:9]
	scratch_load_dwordx4 v[4:7], off, off offset:576
	s_waitcnt vmcnt(0)
	v_add_f64 v[4:5], v[4:5], -v[10:11]
	v_add_f64 v[6:7], v[6:7], -v[12:13]
	scratch_store_dwordx4 off, v[4:7], off offset:576
	ds_read2_b64 v[4:7], v78 offset0:74 offset1:75
	s_waitcnt lgkmcnt(0)
	;; [unrolled: 11-line block ×5, first 2 shown]
	v_mul_f64 v[10:11], v[6:7], v[2:3]
	v_fma_f64 v[10:11], v[4:5], v[8:9], -v[10:11]
	v_mul_f64 v[12:13], v[4:5], v[2:3]
	scratch_load_dwordx4 v[2:5], off, off offset:640
	v_fmac_f64_e32 v[12:13], v[6:7], v[8:9]
	ds_read2_b64 v[6:9], v78 offset0:82 offset1:83
	s_waitcnt vmcnt(0)
	v_add_f64 v[2:3], v[2:3], -v[10:11]
	v_add_f64 v[4:5], v[4:5], -v[12:13]
	scratch_store_dwordx4 off, v[2:5], off offset:640
	scratch_load_dwordx2 v[2:3], off, off offset:448
	s_nop 0
	scratch_load_dwordx2 v[4:5], off, off offset:456
	s_waitcnt vmcnt(0) lgkmcnt(0)
	v_mul_f64 v[10:11], v[8:9], v[4:5]
	v_mul_f64 v[12:13], v[6:7], v[4:5]
	v_fma_f64 v[10:11], v[6:7], v[2:3], -v[10:11]
	v_fmac_f64_e32 v[12:13], v[8:9], v[2:3]
	scratch_load_dwordx4 v[6:9], off, off offset:656
	s_waitcnt vmcnt(0)
	v_add_f64 v[6:7], v[6:7], -v[10:11]
	v_add_f64 v[8:9], v[8:9], -v[12:13]
	scratch_store_dwordx4 off, v[6:9], off offset:656
	ds_read2_b64 v[6:9], v78 offset0:84 offset1:85
	s_waitcnt lgkmcnt(0)
	v_mul_f64 v[10:11], v[8:9], v[4:5]
	v_mul_f64 v[12:13], v[6:7], v[4:5]
	v_fma_f64 v[10:11], v[6:7], v[2:3], -v[10:11]
	v_fmac_f64_e32 v[12:13], v[8:9], v[2:3]
	scratch_load_dwordx4 v[6:9], off, off offset:672
	s_waitcnt vmcnt(0)
	v_add_f64 v[6:7], v[6:7], -v[10:11]
	v_add_f64 v[8:9], v[8:9], -v[12:13]
	scratch_store_dwordx4 off, v[6:9], off offset:672
	ds_read2_b64 v[6:9], v78 offset0:86 offset1:87
	s_waitcnt lgkmcnt(0)
	;; [unrolled: 11-line block ×5, first 2 shown]
	v_mul_f64 v[10:11], v[8:9], v[4:5]
	v_fma_f64 v[10:11], v[6:7], v[2:3], -v[10:11]
	v_mul_f64 v[6:7], v[6:7], v[4:5]
	v_fmac_f64_e32 v[6:7], v[8:9], v[2:3]
	scratch_load_dwordx4 v[2:5], off, off offset:736
	s_waitcnt vmcnt(0)
	v_add_f64 v[2:3], v[2:3], -v[10:11]
	v_add_f64 v[4:5], v[4:5], -v[6:7]
	scratch_store_dwordx4 off, v[2:5], off offset:736
	ds_read2_b64 v[6:9], v78 offset0:94 offset1:95
	scratch_load_dwordx2 v[2:3], off, off offset:448
	scratch_load_dwordx2 v[4:5], off, off offset:456
	s_waitcnt vmcnt(0) lgkmcnt(0)
	v_mul_f64 v[10:11], v[8:9], v[4:5]
	v_mul_f64 v[12:13], v[6:7], v[4:5]
	v_fma_f64 v[10:11], v[6:7], v[2:3], -v[10:11]
	v_fmac_f64_e32 v[12:13], v[8:9], v[2:3]
	scratch_load_dwordx4 v[6:9], off, off offset:752
	s_waitcnt vmcnt(0)
	v_add_f64 v[6:7], v[6:7], -v[10:11]
	v_add_f64 v[8:9], v[8:9], -v[12:13]
	scratch_store_dwordx4 off, v[6:9], off offset:752
	ds_read2_b64 v[6:9], v78 offset0:96 offset1:97
	s_waitcnt lgkmcnt(0)
	v_mul_f64 v[10:11], v[8:9], v[4:5]
	v_mul_f64 v[12:13], v[6:7], v[4:5]
	v_fma_f64 v[10:11], v[6:7], v[2:3], -v[10:11]
	v_fmac_f64_e32 v[12:13], v[8:9], v[2:3]
	scratch_load_dwordx4 v[6:9], off, off offset:768
	s_waitcnt vmcnt(0)
	v_add_f64 v[6:7], v[6:7], -v[10:11]
	v_add_f64 v[8:9], v[8:9], -v[12:13]
	scratch_store_dwordx4 off, v[6:9], off offset:768
	ds_read2_b64 v[6:9], v78 offset0:98 offset1:99
	s_waitcnt lgkmcnt(0)
	;; [unrolled: 11-line block ×5, first 2 shown]
	v_mul_f64 v[10:11], v[8:9], v[4:5]
	v_fma_f64 v[10:11], v[6:7], v[2:3], -v[10:11]
	v_mul_f64 v[6:7], v[6:7], v[4:5]
	v_fmac_f64_e32 v[6:7], v[8:9], v[2:3]
	scratch_load_dwordx4 v[2:5], off, off offset:832
	s_waitcnt vmcnt(0)
	v_add_f64 v[2:3], v[2:3], -v[10:11]
	v_add_f64 v[4:5], v[4:5], -v[6:7]
	scratch_store_dwordx4 off, v[2:5], off offset:832
	ds_read2_b64 v[2:5], v78 offset0:106 offset1:107
	scratch_load_dwordx2 v[6:7], off, off offset:448
	scratch_load_dwordx2 v[8:9], off, off offset:456
	s_waitcnt vmcnt(0) lgkmcnt(0)
	v_mul_f64 v[10:11], v[4:5], v[8:9]
	v_mul_f64 v[12:13], v[2:3], v[8:9]
	v_fma_f64 v[10:11], v[2:3], v[6:7], -v[10:11]
	v_fmac_f64_e32 v[12:13], v[4:5], v[6:7]
	scratch_load_dwordx4 v[2:5], off, off offset:848
	s_waitcnt vmcnt(0)
	v_add_f64 v[2:3], v[2:3], -v[10:11]
	v_add_f64 v[4:5], v[4:5], -v[12:13]
	scratch_store_dwordx4 off, v[2:5], off offset:848
	ds_read2_b64 v[2:5], v78 offset0:108 offset1:109
	s_waitcnt lgkmcnt(0)
	v_mul_f64 v[10:11], v[4:5], v[8:9]
	v_mul_f64 v[12:13], v[2:3], v[8:9]
	v_fma_f64 v[10:11], v[2:3], v[6:7], -v[10:11]
	v_fmac_f64_e32 v[12:13], v[4:5], v[6:7]
	scratch_load_dwordx4 v[2:5], off, off offset:864
	s_waitcnt vmcnt(0)
	v_add_f64 v[2:3], v[2:3], -v[10:11]
	v_add_f64 v[4:5], v[4:5], -v[12:13]
	scratch_store_dwordx4 off, v[2:5], off offset:864
	ds_read2_b64 v[2:5], v78 offset0:110 offset1:111
	s_waitcnt lgkmcnt(0)
	;; [unrolled: 11-line block ×5, first 2 shown]
	v_mul_f64 v[10:11], v[4:5], v[8:9]
	v_mul_f64 v[8:9], v[2:3], v[8:9]
	v_fma_f64 v[10:11], v[2:3], v[6:7], -v[10:11]
	v_fmac_f64_e32 v[8:9], v[4:5], v[6:7]
	scratch_load_dwordx4 v[2:5], off, off offset:928
	scratch_load_dwordx2 v[6:7], off, off offset:456
	s_waitcnt vmcnt(1)
	v_add_f64 v[2:3], v[2:3], -v[10:11]
	v_add_f64 v[4:5], v[4:5], -v[8:9]
	scratch_store_dwordx4 off, v[2:5], off offset:928
	ds_read2_b64 v[2:5], v78 offset0:118 offset1:119
	s_waitcnt vmcnt(1) lgkmcnt(0)
	v_mul_f64 v[8:9], v[4:5], v[6:7]
	v_mul_f64 v[10:11], v[2:3], v[6:7]
	v_fma_f64 v[8:9], v[2:3], v[0:1], -v[8:9]
	v_fmac_f64_e32 v[10:11], v[4:5], v[0:1]
	scratch_load_dwordx4 v[2:5], off, off offset:944
	s_waitcnt vmcnt(0)
	v_add_f64 v[2:3], v[2:3], -v[8:9]
	v_add_f64 v[4:5], v[4:5], -v[10:11]
	scratch_store_dwordx4 off, v[2:5], off offset:944
	ds_read2_b64 v[2:5], v78 offset0:120 offset1:121
	s_waitcnt lgkmcnt(0)
	v_mul_f64 v[8:9], v[4:5], v[6:7]
	v_mul_f64 v[6:7], v[2:3], v[6:7]
	v_fma_f64 v[8:9], v[2:3], v[0:1], -v[8:9]
	v_fmac_f64_e32 v[6:7], v[4:5], v[0:1]
	scratch_load_dwordx4 v[0:3], off, off offset:960
	s_waitcnt vmcnt(0)
	v_add_f64 v[0:1], v[0:1], -v[8:9]
	v_add_f64 v[2:3], v[2:3], -v[6:7]
	scratch_store_dwordx4 off, v[0:3], off offset:960
.LBB120_710:
	s_or_b64 exec, exec, s[0:1]
	s_barrier
	scratch_load_dwordx4 v[0:3], off, s63
	v_lshl_add_u32 v4, v81, 4, v78
	s_cmp_lt_i32 s51, 31
	s_waitcnt vmcnt(0)
	ds_write2_b64 v4, v[0:1], v[2:3] offset1:1
	s_waitcnt lgkmcnt(0)
	s_barrier
	ds_read2_b64 v[0:3], v78 offset0:58 offset1:59
	v_mov_b32_e32 v4, 29
	s_cbranch_scc1 .LBB120_713
; %bb.711:
	v_add_u32_e32 v5, 0x1e0, v78
	s_mov_b32 s4, 30
	v_mov_b32_e32 v4, 29
.LBB120_712:                            ; =>This Inner Loop Header: Depth=1
	ds_read2_b64 v[6:9], v5 offset1:1
	s_waitcnt lgkmcnt(1)
	v_xor_b32_e32 v11, 0x80000000, v1
	v_xor_b32_e32 v13, 0x80000000, v3
	v_cmp_gt_f64_e32 vcc, 0, v[2:3]
	v_cmp_gt_f64_e64 s[0:1], 0, v[0:1]
	v_mov_b32_e32 v10, v0
	v_mov_b32_e32 v12, v2
	v_cndmask_b32_e64 v11, v1, v11, s[0:1]
	v_cndmask_b32_e32 v13, v3, v13, vcc
	v_add_f64 v[10:11], v[10:11], v[12:13]
	s_waitcnt lgkmcnt(0)
	v_xor_b32_e32 v13, 0x80000000, v7
	v_xor_b32_e32 v15, 0x80000000, v9
	v_cmp_gt_f64_e32 vcc, 0, v[8:9]
	v_cmp_gt_f64_e64 s[0:1], 0, v[6:7]
	v_mov_b32_e32 v12, v6
	v_mov_b32_e32 v14, v8
	v_cndmask_b32_e64 v13, v7, v13, s[0:1]
	v_cndmask_b32_e32 v15, v9, v15, vcc
	v_add_f64 v[12:13], v[12:13], v[14:15]
	v_mov_b32_e32 v16, s4
	s_add_i32 s4, s4, 1
	v_cmp_lt_f64_e32 vcc, v[10:11], v[12:13]
	v_add_u32_e32 v5, 16, v5
	s_cmp_lg_u32 s51, s4
	v_cndmask_b32_e32 v1, v1, v7, vcc
	v_cndmask_b32_e32 v0, v0, v6, vcc
	;; [unrolled: 1-line block ×5, first 2 shown]
	s_cbranch_scc1 .LBB120_712
.LBB120_713:
	s_waitcnt lgkmcnt(0)
	v_cmp_eq_f64_e32 vcc, 0, v[0:1]
	v_cmp_eq_f64_e64 s[0:1], 0, v[2:3]
	s_and_b64 s[0:1], vcc, s[0:1]
	s_and_saveexec_b64 s[4:5], s[0:1]
	s_xor_b64 s[0:1], exec, s[4:5]
; %bb.714:
	v_cmp_ne_u32_e32 vcc, 0, v79
	s_nop 1
	v_cndmask_b32_e32 v79, 30, v79, vcc
; %bb.715:
	s_andn2_saveexec_b64 s[0:1], s[0:1]
	s_cbranch_execz .LBB120_721
; %bb.716:
	v_cmp_ngt_f64_e64 s[4:5], |v[0:1]|, |v[2:3]|
	s_and_saveexec_b64 s[12:13], s[4:5]
	s_xor_b64 s[12:13], exec, s[12:13]
	s_cbranch_execz .LBB120_718
; %bb.717:
	v_div_scale_f64 v[6:7], s[4:5], v[2:3], v[2:3], v[0:1]
	v_rcp_f64_e32 v[8:9], v[6:7]
	v_div_scale_f64 v[10:11], vcc, v[0:1], v[2:3], v[0:1]
	v_fma_f64 v[12:13], -v[6:7], v[8:9], 1.0
	v_fmac_f64_e32 v[8:9], v[8:9], v[12:13]
	v_fma_f64 v[12:13], -v[6:7], v[8:9], 1.0
	v_fmac_f64_e32 v[8:9], v[8:9], v[12:13]
	v_mul_f64 v[12:13], v[10:11], v[8:9]
	v_fma_f64 v[6:7], -v[6:7], v[12:13], v[10:11]
	v_div_fmas_f64 v[6:7], v[6:7], v[8:9], v[12:13]
	v_div_fixup_f64 v[6:7], v[6:7], v[2:3], v[0:1]
	v_fmac_f64_e32 v[2:3], v[0:1], v[6:7]
	v_div_scale_f64 v[0:1], s[4:5], v[2:3], v[2:3], 1.0
	v_rcp_f64_e32 v[8:9], v[0:1]
	s_nop 0
	v_fma_f64 v[10:11], -v[0:1], v[8:9], 1.0
	v_fmac_f64_e32 v[8:9], v[8:9], v[10:11]
	v_fma_f64 v[10:11], -v[0:1], v[8:9], 1.0
	v_fmac_f64_e32 v[8:9], v[8:9], v[10:11]
	v_div_scale_f64 v[10:11], vcc, 1.0, v[2:3], 1.0
	v_mul_f64 v[12:13], v[10:11], v[8:9]
	v_fma_f64 v[0:1], -v[0:1], v[12:13], v[10:11]
	s_nop 1
	v_div_fmas_f64 v[0:1], v[0:1], v[8:9], v[12:13]
	v_div_fixup_f64 v[2:3], v[0:1], v[2:3], 1.0
	v_mul_f64 v[0:1], v[6:7], v[2:3]
	v_xor_b32_e32 v3, 0x80000000, v3
.LBB120_718:
	s_andn2_saveexec_b64 s[12:13], s[12:13]
	s_cbranch_execz .LBB120_720
; %bb.719:
	v_div_scale_f64 v[6:7], s[4:5], v[0:1], v[0:1], v[2:3]
	v_rcp_f64_e32 v[8:9], v[6:7]
	v_div_scale_f64 v[10:11], vcc, v[2:3], v[0:1], v[2:3]
	v_fma_f64 v[12:13], -v[6:7], v[8:9], 1.0
	v_fmac_f64_e32 v[8:9], v[8:9], v[12:13]
	v_fma_f64 v[12:13], -v[6:7], v[8:9], 1.0
	v_fmac_f64_e32 v[8:9], v[8:9], v[12:13]
	v_mul_f64 v[12:13], v[10:11], v[8:9]
	v_fma_f64 v[6:7], -v[6:7], v[12:13], v[10:11]
	v_div_fmas_f64 v[6:7], v[6:7], v[8:9], v[12:13]
	v_div_fixup_f64 v[6:7], v[6:7], v[0:1], v[2:3]
	v_fmac_f64_e32 v[0:1], v[2:3], v[6:7]
	v_div_scale_f64 v[2:3], s[4:5], v[0:1], v[0:1], 1.0
	v_rcp_f64_e32 v[8:9], v[2:3]
	s_nop 0
	v_fma_f64 v[10:11], -v[2:3], v[8:9], 1.0
	v_fmac_f64_e32 v[8:9], v[8:9], v[10:11]
	v_fma_f64 v[10:11], -v[2:3], v[8:9], 1.0
	v_fmac_f64_e32 v[8:9], v[8:9], v[10:11]
	v_div_scale_f64 v[10:11], vcc, 1.0, v[0:1], 1.0
	v_mul_f64 v[12:13], v[10:11], v[8:9]
	v_fma_f64 v[2:3], -v[2:3], v[12:13], v[10:11]
	s_nop 1
	v_div_fmas_f64 v[2:3], v[2:3], v[8:9], v[12:13]
	v_div_fixup_f64 v[0:1], v[2:3], v[0:1], 1.0
	v_mul_f64 v[2:3], v[6:7], -v[0:1]
.LBB120_720:
	s_or_b64 exec, exec, s[12:13]
.LBB120_721:
	s_or_b64 exec, exec, s[0:1]
	v_cmp_ne_u32_e32 vcc, v81, v4
	s_and_saveexec_b64 s[0:1], vcc
	s_xor_b64 s[0:1], exec, s[0:1]
	s_cbranch_execz .LBB120_727
; %bb.722:
	v_cmp_eq_u32_e32 vcc, 29, v81
	s_and_saveexec_b64 s[12:13], vcc
	s_cbranch_execz .LBB120_726
; %bb.723:
	v_cmp_ne_u32_e32 vcc, 29, v4
	s_xor_b64 s[4:5], s[18:19], -1
	s_and_b64 s[4:5], s[4:5], vcc
	s_and_saveexec_b64 s[14:15], s[4:5]
	s_cbranch_execz .LBB120_725
; %bb.724:
	v_ashrrev_i32_e32 v5, 31, v4
	v_lshl_add_u64 v[6:7], v[4:5], 2, v[46:47]
	global_load_dword v5, v[6:7], off
	global_load_dword v8, v[46:47], off offset:116
	s_waitcnt vmcnt(1)
	global_store_dword v[46:47], v5, off offset:116
	s_waitcnt vmcnt(1)
	global_store_dword v[6:7], v8, off
.LBB120_725:
	s_or_b64 exec, exec, s[14:15]
	v_mov_b32_e32 v81, v4
	v_mov_b32_e32 v80, v4
.LBB120_726:
	s_or_b64 exec, exec, s[12:13]
.LBB120_727:
	s_andn2_saveexec_b64 s[0:1], s[0:1]
	s_cbranch_execz .LBB120_729
; %bb.728:
	scratch_load_dwordx4 v[4:7], off, s52
	v_mov_b32_e32 v81, 29
	s_waitcnt vmcnt(0)
	ds_write2_b64 v78, v[4:5], v[6:7] offset0:60 offset1:61
	scratch_load_dwordx4 v[4:7], off, s53
	s_waitcnt vmcnt(0)
	ds_write2_b64 v78, v[4:5], v[6:7] offset0:62 offset1:63
	scratch_load_dwordx4 v[4:7], off, s49
	;; [unrolled: 3-line block ×30, first 2 shown]
	s_waitcnt vmcnt(0)
	ds_write2_b64 v78, v[4:5], v[6:7] offset0:120 offset1:121
.LBB120_729:
	s_or_b64 exec, exec, s[0:1]
	v_cmp_lt_i32_e32 vcc, 29, v81
	s_waitcnt lgkmcnt(0)
	s_barrier
	s_and_saveexec_b64 s[0:1], vcc
	s_cbranch_execz .LBB120_731
; %bb.730:
	scratch_load_dwordx4 v[4:7], off, off offset:464
	s_waitcnt vmcnt(0)
	v_mul_f64 v[8:9], v[2:3], v[6:7]
	v_mul_f64 v[10:11], v[0:1], v[6:7]
	v_fma_f64 v[8:9], v[0:1], v[4:5], -v[8:9]
	v_fmac_f64_e32 v[10:11], v[2:3], v[4:5]
	ds_read2_b64 v[0:3], v78 offset0:60 offset1:61
	scratch_store_dwordx4 off, v[8:11], off offset:464
	s_waitcnt lgkmcnt(0)
	v_mul_f64 v[4:5], v[2:3], v[10:11]
	v_mul_f64 v[6:7], v[0:1], v[10:11]
	v_fma_f64 v[4:5], v[0:1], v[8:9], -v[4:5]
	v_fmac_f64_e32 v[6:7], v[2:3], v[8:9]
	scratch_load_dwordx4 v[0:3], off, off offset:480
	s_waitcnt vmcnt(0)
	v_add_f64 v[0:1], v[0:1], -v[4:5]
	v_add_f64 v[2:3], v[2:3], -v[6:7]
	scratch_store_dwordx4 off, v[0:3], off offset:480
	ds_read2_b64 v[0:3], v78 offset0:62 offset1:63
	s_waitcnt lgkmcnt(0)
	v_mul_f64 v[4:5], v[2:3], v[10:11]
	v_mul_f64 v[6:7], v[0:1], v[10:11]
	v_fma_f64 v[4:5], v[0:1], v[8:9], -v[4:5]
	v_fmac_f64_e32 v[6:7], v[2:3], v[8:9]
	scratch_load_dwordx4 v[0:3], off, off offset:496
	s_waitcnt vmcnt(0)
	v_add_f64 v[0:1], v[0:1], -v[4:5]
	v_add_f64 v[2:3], v[2:3], -v[6:7]
	scratch_store_dwordx4 off, v[0:3], off offset:496
	ds_read2_b64 v[0:3], v78 offset0:64 offset1:65
	;; [unrolled: 11-line block ×6, first 2 shown]
	scratch_load_dwordx2 v[8:9], off, off offset:464
	scratch_load_dwordx4 v[0:3], off, off offset:464
	s_waitcnt vmcnt(0) lgkmcnt(0)
	v_mul_f64 v[10:11], v[6:7], v[2:3]
	v_mul_f64 v[12:13], v[4:5], v[2:3]
	v_fma_f64 v[10:11], v[4:5], v[8:9], -v[10:11]
	v_fmac_f64_e32 v[12:13], v[6:7], v[8:9]
	scratch_load_dwordx4 v[4:7], off, off offset:576
	s_waitcnt vmcnt(0)
	v_add_f64 v[4:5], v[4:5], -v[10:11]
	v_add_f64 v[6:7], v[6:7], -v[12:13]
	scratch_store_dwordx4 off, v[4:7], off offset:576
	ds_read2_b64 v[4:7], v78 offset0:74 offset1:75
	s_waitcnt lgkmcnt(0)
	v_mul_f64 v[10:11], v[6:7], v[2:3]
	v_mul_f64 v[12:13], v[4:5], v[2:3]
	v_fma_f64 v[10:11], v[4:5], v[8:9], -v[10:11]
	v_fmac_f64_e32 v[12:13], v[6:7], v[8:9]
	scratch_load_dwordx4 v[4:7], off, off offset:592
	s_waitcnt vmcnt(0)
	v_add_f64 v[4:5], v[4:5], -v[10:11]
	v_add_f64 v[6:7], v[6:7], -v[12:13]
	scratch_store_dwordx4 off, v[4:7], off offset:592
	ds_read2_b64 v[4:7], v78 offset0:76 offset1:77
	s_waitcnt lgkmcnt(0)
	;; [unrolled: 11-line block ×5, first 2 shown]
	v_mul_f64 v[10:11], v[6:7], v[2:3]
	v_fma_f64 v[10:11], v[4:5], v[8:9], -v[10:11]
	v_mul_f64 v[12:13], v[4:5], v[2:3]
	scratch_load_dwordx4 v[2:5], off, off offset:656
	v_fmac_f64_e32 v[12:13], v[6:7], v[8:9]
	ds_read2_b64 v[6:9], v78 offset0:84 offset1:85
	s_waitcnt vmcnt(0)
	v_add_f64 v[2:3], v[2:3], -v[10:11]
	v_add_f64 v[4:5], v[4:5], -v[12:13]
	scratch_store_dwordx4 off, v[2:5], off offset:656
	scratch_load_dwordx2 v[2:3], off, off offset:464
	s_nop 0
	scratch_load_dwordx2 v[4:5], off, off offset:472
	s_waitcnt vmcnt(0) lgkmcnt(0)
	v_mul_f64 v[10:11], v[8:9], v[4:5]
	v_mul_f64 v[12:13], v[6:7], v[4:5]
	v_fma_f64 v[10:11], v[6:7], v[2:3], -v[10:11]
	v_fmac_f64_e32 v[12:13], v[8:9], v[2:3]
	scratch_load_dwordx4 v[6:9], off, off offset:672
	s_waitcnt vmcnt(0)
	v_add_f64 v[6:7], v[6:7], -v[10:11]
	v_add_f64 v[8:9], v[8:9], -v[12:13]
	scratch_store_dwordx4 off, v[6:9], off offset:672
	ds_read2_b64 v[6:9], v78 offset0:86 offset1:87
	s_waitcnt lgkmcnt(0)
	v_mul_f64 v[10:11], v[8:9], v[4:5]
	v_mul_f64 v[12:13], v[6:7], v[4:5]
	v_fma_f64 v[10:11], v[6:7], v[2:3], -v[10:11]
	v_fmac_f64_e32 v[12:13], v[8:9], v[2:3]
	scratch_load_dwordx4 v[6:9], off, off offset:688
	s_waitcnt vmcnt(0)
	v_add_f64 v[6:7], v[6:7], -v[10:11]
	v_add_f64 v[8:9], v[8:9], -v[12:13]
	scratch_store_dwordx4 off, v[6:9], off offset:688
	ds_read2_b64 v[6:9], v78 offset0:88 offset1:89
	s_waitcnt lgkmcnt(0)
	;; [unrolled: 11-line block ×5, first 2 shown]
	v_mul_f64 v[10:11], v[8:9], v[4:5]
	v_fma_f64 v[10:11], v[6:7], v[2:3], -v[10:11]
	v_mul_f64 v[6:7], v[6:7], v[4:5]
	v_fmac_f64_e32 v[6:7], v[8:9], v[2:3]
	scratch_load_dwordx4 v[2:5], off, off offset:752
	s_waitcnt vmcnt(0)
	v_add_f64 v[2:3], v[2:3], -v[10:11]
	v_add_f64 v[4:5], v[4:5], -v[6:7]
	scratch_store_dwordx4 off, v[2:5], off offset:752
	ds_read2_b64 v[6:9], v78 offset0:96 offset1:97
	scratch_load_dwordx2 v[2:3], off, off offset:464
	scratch_load_dwordx2 v[4:5], off, off offset:472
	s_waitcnt vmcnt(0) lgkmcnt(0)
	v_mul_f64 v[10:11], v[8:9], v[4:5]
	v_mul_f64 v[12:13], v[6:7], v[4:5]
	v_fma_f64 v[10:11], v[6:7], v[2:3], -v[10:11]
	v_fmac_f64_e32 v[12:13], v[8:9], v[2:3]
	scratch_load_dwordx4 v[6:9], off, off offset:768
	s_waitcnt vmcnt(0)
	v_add_f64 v[6:7], v[6:7], -v[10:11]
	v_add_f64 v[8:9], v[8:9], -v[12:13]
	scratch_store_dwordx4 off, v[6:9], off offset:768
	ds_read2_b64 v[6:9], v78 offset0:98 offset1:99
	s_waitcnt lgkmcnt(0)
	v_mul_f64 v[10:11], v[8:9], v[4:5]
	v_mul_f64 v[12:13], v[6:7], v[4:5]
	v_fma_f64 v[10:11], v[6:7], v[2:3], -v[10:11]
	v_fmac_f64_e32 v[12:13], v[8:9], v[2:3]
	scratch_load_dwordx4 v[6:9], off, off offset:784
	s_waitcnt vmcnt(0)
	v_add_f64 v[6:7], v[6:7], -v[10:11]
	v_add_f64 v[8:9], v[8:9], -v[12:13]
	scratch_store_dwordx4 off, v[6:9], off offset:784
	ds_read2_b64 v[6:9], v78 offset0:100 offset1:101
	s_waitcnt lgkmcnt(0)
	;; [unrolled: 11-line block ×5, first 2 shown]
	v_mul_f64 v[10:11], v[8:9], v[4:5]
	v_fma_f64 v[10:11], v[6:7], v[2:3], -v[10:11]
	v_mul_f64 v[6:7], v[6:7], v[4:5]
	v_fmac_f64_e32 v[6:7], v[8:9], v[2:3]
	scratch_load_dwordx4 v[2:5], off, off offset:848
	s_waitcnt vmcnt(0)
	v_add_f64 v[2:3], v[2:3], -v[10:11]
	v_add_f64 v[4:5], v[4:5], -v[6:7]
	scratch_store_dwordx4 off, v[2:5], off offset:848
	ds_read2_b64 v[6:9], v78 offset0:108 offset1:109
	scratch_load_dwordx2 v[2:3], off, off offset:464
	scratch_load_dwordx2 v[4:5], off, off offset:472
	s_waitcnt vmcnt(0) lgkmcnt(0)
	v_mul_f64 v[10:11], v[8:9], v[4:5]
	v_mul_f64 v[12:13], v[6:7], v[4:5]
	v_fma_f64 v[10:11], v[6:7], v[2:3], -v[10:11]
	v_fmac_f64_e32 v[12:13], v[8:9], v[2:3]
	scratch_load_dwordx4 v[6:9], off, off offset:864
	s_waitcnt vmcnt(0)
	v_add_f64 v[6:7], v[6:7], -v[10:11]
	v_add_f64 v[8:9], v[8:9], -v[12:13]
	scratch_store_dwordx4 off, v[6:9], off offset:864
	ds_read2_b64 v[6:9], v78 offset0:110 offset1:111
	s_waitcnt lgkmcnt(0)
	v_mul_f64 v[10:11], v[8:9], v[4:5]
	v_mul_f64 v[12:13], v[6:7], v[4:5]
	v_fma_f64 v[10:11], v[6:7], v[2:3], -v[10:11]
	v_fmac_f64_e32 v[12:13], v[8:9], v[2:3]
	scratch_load_dwordx4 v[6:9], off, off offset:880
	s_waitcnt vmcnt(0)
	v_add_f64 v[6:7], v[6:7], -v[10:11]
	v_add_f64 v[8:9], v[8:9], -v[12:13]
	scratch_store_dwordx4 off, v[6:9], off offset:880
	ds_read2_b64 v[6:9], v78 offset0:112 offset1:113
	s_waitcnt lgkmcnt(0)
	v_mul_f64 v[10:11], v[8:9], v[4:5]
	v_mul_f64 v[12:13], v[6:7], v[4:5]
	v_fma_f64 v[10:11], v[6:7], v[2:3], -v[10:11]
	v_fmac_f64_e32 v[12:13], v[8:9], v[2:3]
	scratch_load_dwordx4 v[6:9], off, off offset:896
	s_waitcnt vmcnt(0)
	v_add_f64 v[6:7], v[6:7], -v[10:11]
	v_add_f64 v[8:9], v[8:9], -v[12:13]
	scratch_store_dwordx4 off, v[6:9], off offset:896
	ds_read2_b64 v[6:9], v78 offset0:114 offset1:115
	s_waitcnt lgkmcnt(0)
	v_mul_f64 v[10:11], v[8:9], v[4:5]
	v_mul_f64 v[12:13], v[6:7], v[4:5]
	v_fma_f64 v[10:11], v[6:7], v[2:3], -v[10:11]
	v_fmac_f64_e32 v[12:13], v[8:9], v[2:3]
	scratch_load_dwordx4 v[6:9], off, off offset:912
	s_waitcnt vmcnt(0)
	v_add_f64 v[6:7], v[6:7], -v[10:11]
	v_add_f64 v[8:9], v[8:9], -v[12:13]
	scratch_store_dwordx4 off, v[6:9], off offset:912
	ds_read2_b64 v[6:9], v78 offset0:116 offset1:117
	s_waitcnt lgkmcnt(0)
	v_mul_f64 v[10:11], v[8:9], v[4:5]
	v_mul_f64 v[12:13], v[6:7], v[4:5]
	v_fma_f64 v[10:11], v[6:7], v[2:3], -v[10:11]
	v_fmac_f64_e32 v[12:13], v[8:9], v[2:3]
	scratch_load_dwordx4 v[6:9], off, off offset:928
	s_waitcnt vmcnt(0)
	v_add_f64 v[6:7], v[6:7], -v[10:11]
	v_add_f64 v[8:9], v[8:9], -v[12:13]
	scratch_store_dwordx4 off, v[6:9], off offset:928
	ds_read2_b64 v[6:9], v78 offset0:118 offset1:119
	s_waitcnt lgkmcnt(0)
	v_mul_f64 v[10:11], v[8:9], v[4:5]
	v_fma_f64 v[10:11], v[6:7], v[2:3], -v[10:11]
	v_mul_f64 v[6:7], v[6:7], v[4:5]
	v_fmac_f64_e32 v[6:7], v[8:9], v[2:3]
	scratch_load_dwordx4 v[2:5], off, off offset:944
	s_waitcnt vmcnt(0)
	v_add_f64 v[4:5], v[4:5], -v[6:7]
	scratch_load_dwordx2 v[6:7], off, off offset:472
	v_add_f64 v[2:3], v[2:3], -v[10:11]
	scratch_store_dwordx4 off, v[2:5], off offset:944
	ds_read2_b64 v[2:5], v78 offset0:120 offset1:121
	s_waitcnt vmcnt(1) lgkmcnt(0)
	v_mul_f64 v[8:9], v[4:5], v[6:7]
	v_mul_f64 v[6:7], v[2:3], v[6:7]
	v_fma_f64 v[8:9], v[2:3], v[0:1], -v[8:9]
	v_fmac_f64_e32 v[6:7], v[4:5], v[0:1]
	scratch_load_dwordx4 v[0:3], off, off offset:960
	s_waitcnt vmcnt(0)
	v_add_f64 v[0:1], v[0:1], -v[8:9]
	v_add_f64 v[2:3], v[2:3], -v[6:7]
	scratch_store_dwordx4 off, v[0:3], off offset:960
.LBB120_731:
	s_or_b64 exec, exec, s[0:1]
	s_barrier
	scratch_load_dwordx4 v[0:3], off, s52
	v_lshl_add_u32 v4, v81, 4, v78
	s_cmp_lt_i32 s51, 32
	s_waitcnt vmcnt(0)
	ds_write2_b64 v4, v[0:1], v[2:3] offset1:1
	s_waitcnt lgkmcnt(0)
	s_barrier
	ds_read2_b64 v[0:3], v78 offset0:60 offset1:61
	v_mov_b32_e32 v4, 30
	s_cbranch_scc1 .LBB120_734
; %bb.732:
	v_add_u32_e32 v5, 0x1f0, v78
	s_mov_b32 s4, 31
	v_mov_b32_e32 v4, 30
.LBB120_733:                            ; =>This Inner Loop Header: Depth=1
	ds_read2_b64 v[6:9], v5 offset1:1
	s_waitcnt lgkmcnt(1)
	v_xor_b32_e32 v11, 0x80000000, v1
	v_xor_b32_e32 v13, 0x80000000, v3
	v_cmp_gt_f64_e32 vcc, 0, v[2:3]
	v_cmp_gt_f64_e64 s[0:1], 0, v[0:1]
	v_mov_b32_e32 v10, v0
	v_mov_b32_e32 v12, v2
	v_cndmask_b32_e64 v11, v1, v11, s[0:1]
	v_cndmask_b32_e32 v13, v3, v13, vcc
	v_add_f64 v[10:11], v[10:11], v[12:13]
	s_waitcnt lgkmcnt(0)
	v_xor_b32_e32 v13, 0x80000000, v7
	v_xor_b32_e32 v15, 0x80000000, v9
	v_cmp_gt_f64_e32 vcc, 0, v[8:9]
	v_cmp_gt_f64_e64 s[0:1], 0, v[6:7]
	v_mov_b32_e32 v12, v6
	v_mov_b32_e32 v14, v8
	v_cndmask_b32_e64 v13, v7, v13, s[0:1]
	v_cndmask_b32_e32 v15, v9, v15, vcc
	v_add_f64 v[12:13], v[12:13], v[14:15]
	v_mov_b32_e32 v16, s4
	s_add_i32 s4, s4, 1
	v_cmp_lt_f64_e32 vcc, v[10:11], v[12:13]
	v_add_u32_e32 v5, 16, v5
	s_cmp_lg_u32 s51, s4
	v_cndmask_b32_e32 v1, v1, v7, vcc
	v_cndmask_b32_e32 v0, v0, v6, vcc
	;; [unrolled: 1-line block ×5, first 2 shown]
	s_cbranch_scc1 .LBB120_733
.LBB120_734:
	s_waitcnt lgkmcnt(0)
	v_cmp_eq_f64_e32 vcc, 0, v[0:1]
	v_cmp_eq_f64_e64 s[0:1], 0, v[2:3]
	s_and_b64 s[0:1], vcc, s[0:1]
	s_and_saveexec_b64 s[4:5], s[0:1]
	s_xor_b64 s[0:1], exec, s[4:5]
; %bb.735:
	v_cmp_ne_u32_e32 vcc, 0, v79
	s_nop 1
	v_cndmask_b32_e32 v79, 31, v79, vcc
; %bb.736:
	s_andn2_saveexec_b64 s[0:1], s[0:1]
	s_cbranch_execz .LBB120_742
; %bb.737:
	v_cmp_ngt_f64_e64 s[4:5], |v[0:1]|, |v[2:3]|
	s_and_saveexec_b64 s[12:13], s[4:5]
	s_xor_b64 s[12:13], exec, s[12:13]
	s_cbranch_execz .LBB120_739
; %bb.738:
	v_div_scale_f64 v[6:7], s[4:5], v[2:3], v[2:3], v[0:1]
	v_rcp_f64_e32 v[8:9], v[6:7]
	v_div_scale_f64 v[10:11], vcc, v[0:1], v[2:3], v[0:1]
	v_fma_f64 v[12:13], -v[6:7], v[8:9], 1.0
	v_fmac_f64_e32 v[8:9], v[8:9], v[12:13]
	v_fma_f64 v[12:13], -v[6:7], v[8:9], 1.0
	v_fmac_f64_e32 v[8:9], v[8:9], v[12:13]
	v_mul_f64 v[12:13], v[10:11], v[8:9]
	v_fma_f64 v[6:7], -v[6:7], v[12:13], v[10:11]
	v_div_fmas_f64 v[6:7], v[6:7], v[8:9], v[12:13]
	v_div_fixup_f64 v[6:7], v[6:7], v[2:3], v[0:1]
	v_fmac_f64_e32 v[2:3], v[0:1], v[6:7]
	v_div_scale_f64 v[0:1], s[4:5], v[2:3], v[2:3], 1.0
	v_rcp_f64_e32 v[8:9], v[0:1]
	s_nop 0
	v_fma_f64 v[10:11], -v[0:1], v[8:9], 1.0
	v_fmac_f64_e32 v[8:9], v[8:9], v[10:11]
	v_fma_f64 v[10:11], -v[0:1], v[8:9], 1.0
	v_fmac_f64_e32 v[8:9], v[8:9], v[10:11]
	v_div_scale_f64 v[10:11], vcc, 1.0, v[2:3], 1.0
	v_mul_f64 v[12:13], v[10:11], v[8:9]
	v_fma_f64 v[0:1], -v[0:1], v[12:13], v[10:11]
	s_nop 1
	v_div_fmas_f64 v[0:1], v[0:1], v[8:9], v[12:13]
	v_div_fixup_f64 v[2:3], v[0:1], v[2:3], 1.0
	v_mul_f64 v[0:1], v[6:7], v[2:3]
	v_xor_b32_e32 v3, 0x80000000, v3
.LBB120_739:
	s_andn2_saveexec_b64 s[12:13], s[12:13]
	s_cbranch_execz .LBB120_741
; %bb.740:
	v_div_scale_f64 v[6:7], s[4:5], v[0:1], v[0:1], v[2:3]
	v_rcp_f64_e32 v[8:9], v[6:7]
	v_div_scale_f64 v[10:11], vcc, v[2:3], v[0:1], v[2:3]
	v_fma_f64 v[12:13], -v[6:7], v[8:9], 1.0
	v_fmac_f64_e32 v[8:9], v[8:9], v[12:13]
	v_fma_f64 v[12:13], -v[6:7], v[8:9], 1.0
	v_fmac_f64_e32 v[8:9], v[8:9], v[12:13]
	v_mul_f64 v[12:13], v[10:11], v[8:9]
	v_fma_f64 v[6:7], -v[6:7], v[12:13], v[10:11]
	v_div_fmas_f64 v[6:7], v[6:7], v[8:9], v[12:13]
	v_div_fixup_f64 v[6:7], v[6:7], v[0:1], v[2:3]
	v_fmac_f64_e32 v[0:1], v[2:3], v[6:7]
	v_div_scale_f64 v[2:3], s[4:5], v[0:1], v[0:1], 1.0
	v_rcp_f64_e32 v[8:9], v[2:3]
	s_nop 0
	v_fma_f64 v[10:11], -v[2:3], v[8:9], 1.0
	v_fmac_f64_e32 v[8:9], v[8:9], v[10:11]
	v_fma_f64 v[10:11], -v[2:3], v[8:9], 1.0
	v_fmac_f64_e32 v[8:9], v[8:9], v[10:11]
	v_div_scale_f64 v[10:11], vcc, 1.0, v[0:1], 1.0
	v_mul_f64 v[12:13], v[10:11], v[8:9]
	v_fma_f64 v[2:3], -v[2:3], v[12:13], v[10:11]
	s_nop 1
	v_div_fmas_f64 v[2:3], v[2:3], v[8:9], v[12:13]
	v_div_fixup_f64 v[0:1], v[2:3], v[0:1], 1.0
	v_mul_f64 v[2:3], v[6:7], -v[0:1]
.LBB120_741:
	s_or_b64 exec, exec, s[12:13]
.LBB120_742:
	s_or_b64 exec, exec, s[0:1]
	v_cmp_ne_u32_e32 vcc, v81, v4
	s_and_saveexec_b64 s[0:1], vcc
	s_xor_b64 s[0:1], exec, s[0:1]
	s_cbranch_execz .LBB120_748
; %bb.743:
	v_cmp_eq_u32_e32 vcc, 30, v81
	s_and_saveexec_b64 s[12:13], vcc
	s_cbranch_execz .LBB120_747
; %bb.744:
	v_cmp_ne_u32_e32 vcc, 30, v4
	s_xor_b64 s[4:5], s[18:19], -1
	s_and_b64 s[4:5], s[4:5], vcc
	s_and_saveexec_b64 s[14:15], s[4:5]
	s_cbranch_execz .LBB120_746
; %bb.745:
	v_ashrrev_i32_e32 v5, 31, v4
	v_lshl_add_u64 v[6:7], v[4:5], 2, v[46:47]
	global_load_dword v5, v[6:7], off
	global_load_dword v8, v[46:47], off offset:120
	s_waitcnt vmcnt(1)
	global_store_dword v[46:47], v5, off offset:120
	s_waitcnt vmcnt(1)
	global_store_dword v[6:7], v8, off
.LBB120_746:
	s_or_b64 exec, exec, s[14:15]
	v_mov_b32_e32 v81, v4
	v_mov_b32_e32 v80, v4
.LBB120_747:
	s_or_b64 exec, exec, s[12:13]
.LBB120_748:
	s_andn2_saveexec_b64 s[0:1], s[0:1]
	s_cbranch_execz .LBB120_750
; %bb.749:
	scratch_load_dwordx4 v[4:7], off, s53
	v_mov_b32_e32 v81, 30
	s_waitcnt vmcnt(0)
	ds_write2_b64 v78, v[4:5], v[6:7] offset0:62 offset1:63
	scratch_load_dwordx4 v[4:7], off, s49
	s_waitcnt vmcnt(0)
	ds_write2_b64 v78, v[4:5], v[6:7] offset0:64 offset1:65
	scratch_load_dwordx4 v[4:7], off, s48
	;; [unrolled: 3-line block ×29, first 2 shown]
	s_waitcnt vmcnt(0)
	ds_write2_b64 v78, v[4:5], v[6:7] offset0:120 offset1:121
.LBB120_750:
	s_or_b64 exec, exec, s[0:1]
	v_cmp_lt_i32_e32 vcc, 30, v81
	s_waitcnt lgkmcnt(0)
	s_barrier
	s_and_saveexec_b64 s[0:1], vcc
	s_cbranch_execz .LBB120_752
; %bb.751:
	scratch_load_dwordx4 v[4:7], off, off offset:480
	s_waitcnt vmcnt(0)
	v_mul_f64 v[8:9], v[2:3], v[6:7]
	v_mul_f64 v[10:11], v[0:1], v[6:7]
	v_fma_f64 v[8:9], v[0:1], v[4:5], -v[8:9]
	v_fmac_f64_e32 v[10:11], v[2:3], v[4:5]
	ds_read2_b64 v[0:3], v78 offset0:62 offset1:63
	scratch_store_dwordx4 off, v[8:11], off offset:480
	s_waitcnt lgkmcnt(0)
	v_mul_f64 v[4:5], v[2:3], v[10:11]
	v_mul_f64 v[6:7], v[0:1], v[10:11]
	v_fma_f64 v[4:5], v[0:1], v[8:9], -v[4:5]
	v_fmac_f64_e32 v[6:7], v[2:3], v[8:9]
	scratch_load_dwordx4 v[0:3], off, off offset:496
	s_waitcnt vmcnt(0)
	v_add_f64 v[0:1], v[0:1], -v[4:5]
	v_add_f64 v[2:3], v[2:3], -v[6:7]
	scratch_store_dwordx4 off, v[0:3], off offset:496
	ds_read2_b64 v[0:3], v78 offset0:64 offset1:65
	s_waitcnt lgkmcnt(0)
	v_mul_f64 v[4:5], v[2:3], v[10:11]
	v_mul_f64 v[6:7], v[0:1], v[10:11]
	v_fma_f64 v[4:5], v[0:1], v[8:9], -v[4:5]
	v_fmac_f64_e32 v[6:7], v[2:3], v[8:9]
	scratch_load_dwordx4 v[0:3], off, off offset:512
	s_waitcnt vmcnt(0)
	v_add_f64 v[0:1], v[0:1], -v[4:5]
	v_add_f64 v[2:3], v[2:3], -v[6:7]
	scratch_store_dwordx4 off, v[0:3], off offset:512
	ds_read2_b64 v[0:3], v78 offset0:66 offset1:67
	;; [unrolled: 11-line block ×6, first 2 shown]
	scratch_load_dwordx2 v[8:9], off, off offset:480
	scratch_load_dwordx4 v[0:3], off, off offset:480
	s_waitcnt vmcnt(0) lgkmcnt(0)
	v_mul_f64 v[10:11], v[6:7], v[2:3]
	v_mul_f64 v[12:13], v[4:5], v[2:3]
	v_fma_f64 v[10:11], v[4:5], v[8:9], -v[10:11]
	v_fmac_f64_e32 v[12:13], v[6:7], v[8:9]
	scratch_load_dwordx4 v[4:7], off, off offset:592
	s_waitcnt vmcnt(0)
	v_add_f64 v[4:5], v[4:5], -v[10:11]
	v_add_f64 v[6:7], v[6:7], -v[12:13]
	scratch_store_dwordx4 off, v[4:7], off offset:592
	ds_read2_b64 v[4:7], v78 offset0:76 offset1:77
	s_waitcnt lgkmcnt(0)
	v_mul_f64 v[10:11], v[6:7], v[2:3]
	v_mul_f64 v[12:13], v[4:5], v[2:3]
	v_fma_f64 v[10:11], v[4:5], v[8:9], -v[10:11]
	v_fmac_f64_e32 v[12:13], v[6:7], v[8:9]
	scratch_load_dwordx4 v[4:7], off, off offset:608
	s_waitcnt vmcnt(0)
	v_add_f64 v[4:5], v[4:5], -v[10:11]
	v_add_f64 v[6:7], v[6:7], -v[12:13]
	scratch_store_dwordx4 off, v[4:7], off offset:608
	ds_read2_b64 v[4:7], v78 offset0:78 offset1:79
	s_waitcnt lgkmcnt(0)
	;; [unrolled: 11-line block ×5, first 2 shown]
	v_mul_f64 v[10:11], v[6:7], v[2:3]
	v_fma_f64 v[10:11], v[4:5], v[8:9], -v[10:11]
	v_mul_f64 v[12:13], v[4:5], v[2:3]
	scratch_load_dwordx4 v[2:5], off, off offset:672
	v_fmac_f64_e32 v[12:13], v[6:7], v[8:9]
	s_waitcnt vmcnt(0)
	v_add_f64 v[2:3], v[2:3], -v[10:11]
	v_add_f64 v[4:5], v[4:5], -v[12:13]
	scratch_store_dwordx4 off, v[2:5], off offset:672
	ds_read2_b64 v[2:5], v78 offset0:86 offset1:87
	scratch_load_dwordx2 v[6:7], off, off offset:480
	scratch_load_dwordx2 v[8:9], off, off offset:488
	s_waitcnt vmcnt(0) lgkmcnt(0)
	v_mul_f64 v[10:11], v[4:5], v[8:9]
	v_mul_f64 v[12:13], v[2:3], v[8:9]
	v_fma_f64 v[10:11], v[2:3], v[6:7], -v[10:11]
	v_fmac_f64_e32 v[12:13], v[4:5], v[6:7]
	scratch_load_dwordx4 v[2:5], off, off offset:688
	s_waitcnt vmcnt(0)
	v_add_f64 v[2:3], v[2:3], -v[10:11]
	v_add_f64 v[4:5], v[4:5], -v[12:13]
	scratch_store_dwordx4 off, v[2:5], off offset:688
	ds_read2_b64 v[2:5], v78 offset0:88 offset1:89
	s_waitcnt lgkmcnt(0)
	v_mul_f64 v[10:11], v[4:5], v[8:9]
	v_mul_f64 v[12:13], v[2:3], v[8:9]
	v_fma_f64 v[10:11], v[2:3], v[6:7], -v[10:11]
	v_fmac_f64_e32 v[12:13], v[4:5], v[6:7]
	scratch_load_dwordx4 v[2:5], off, off offset:704
	s_waitcnt vmcnt(0)
	v_add_f64 v[2:3], v[2:3], -v[10:11]
	v_add_f64 v[4:5], v[4:5], -v[12:13]
	scratch_store_dwordx4 off, v[2:5], off offset:704
	ds_read2_b64 v[2:5], v78 offset0:90 offset1:91
	s_waitcnt lgkmcnt(0)
	;; [unrolled: 11-line block ×5, first 2 shown]
	v_mul_f64 v[10:11], v[4:5], v[8:9]
	v_mul_f64 v[8:9], v[2:3], v[8:9]
	v_fma_f64 v[10:11], v[2:3], v[6:7], -v[10:11]
	v_fmac_f64_e32 v[8:9], v[4:5], v[6:7]
	scratch_load_dwordx4 v[2:5], off, off offset:768
	s_waitcnt vmcnt(0)
	v_add_f64 v[2:3], v[2:3], -v[10:11]
	v_add_f64 v[4:5], v[4:5], -v[8:9]
	scratch_store_dwordx4 off, v[2:5], off offset:768
	ds_read2_b64 v[2:5], v78 offset0:98 offset1:99
	scratch_load_dwordx2 v[6:7], off, off offset:480
	scratch_load_dwordx2 v[8:9], off, off offset:488
	s_waitcnt vmcnt(0) lgkmcnt(0)
	v_mul_f64 v[10:11], v[4:5], v[8:9]
	v_mul_f64 v[12:13], v[2:3], v[8:9]
	v_fma_f64 v[10:11], v[2:3], v[6:7], -v[10:11]
	v_fmac_f64_e32 v[12:13], v[4:5], v[6:7]
	scratch_load_dwordx4 v[2:5], off, off offset:784
	s_waitcnt vmcnt(0)
	v_add_f64 v[2:3], v[2:3], -v[10:11]
	v_add_f64 v[4:5], v[4:5], -v[12:13]
	scratch_store_dwordx4 off, v[2:5], off offset:784
	ds_read2_b64 v[2:5], v78 offset0:100 offset1:101
	s_waitcnt lgkmcnt(0)
	v_mul_f64 v[10:11], v[4:5], v[8:9]
	v_mul_f64 v[12:13], v[2:3], v[8:9]
	v_fma_f64 v[10:11], v[2:3], v[6:7], -v[10:11]
	v_fmac_f64_e32 v[12:13], v[4:5], v[6:7]
	scratch_load_dwordx4 v[2:5], off, off offset:800
	s_waitcnt vmcnt(0)
	v_add_f64 v[2:3], v[2:3], -v[10:11]
	v_add_f64 v[4:5], v[4:5], -v[12:13]
	scratch_store_dwordx4 off, v[2:5], off offset:800
	ds_read2_b64 v[2:5], v78 offset0:102 offset1:103
	s_waitcnt lgkmcnt(0)
	v_mul_f64 v[10:11], v[4:5], v[8:9]
	v_mul_f64 v[12:13], v[2:3], v[8:9]
	v_fma_f64 v[10:11], v[2:3], v[6:7], -v[10:11]
	v_fmac_f64_e32 v[12:13], v[4:5], v[6:7]
	scratch_load_dwordx4 v[2:5], off, off offset:816
	s_waitcnt vmcnt(0)
	v_add_f64 v[2:3], v[2:3], -v[10:11]
	v_add_f64 v[4:5], v[4:5], -v[12:13]
	scratch_store_dwordx4 off, v[2:5], off offset:816
	ds_read2_b64 v[2:5], v78 offset0:104 offset1:105
	s_waitcnt lgkmcnt(0)
	v_mul_f64 v[10:11], v[4:5], v[8:9]
	v_mul_f64 v[12:13], v[2:3], v[8:9]
	v_fma_f64 v[10:11], v[2:3], v[6:7], -v[10:11]
	v_fmac_f64_e32 v[12:13], v[4:5], v[6:7]
	scratch_load_dwordx4 v[2:5], off, off offset:832
	s_waitcnt vmcnt(0)
	v_add_f64 v[2:3], v[2:3], -v[10:11]
	v_add_f64 v[4:5], v[4:5], -v[12:13]
	scratch_store_dwordx4 off, v[2:5], off offset:832
	ds_read2_b64 v[2:5], v78 offset0:106 offset1:107
	s_waitcnt lgkmcnt(0)
	v_mul_f64 v[10:11], v[4:5], v[8:9]
	v_mul_f64 v[12:13], v[2:3], v[8:9]
	v_fma_f64 v[10:11], v[2:3], v[6:7], -v[10:11]
	v_fmac_f64_e32 v[12:13], v[4:5], v[6:7]
	scratch_load_dwordx4 v[2:5], off, off offset:848
	s_waitcnt vmcnt(0)
	v_add_f64 v[2:3], v[2:3], -v[10:11]
	v_add_f64 v[4:5], v[4:5], -v[12:13]
	scratch_store_dwordx4 off, v[2:5], off offset:848
	ds_read2_b64 v[2:5], v78 offset0:108 offset1:109
	s_waitcnt lgkmcnt(0)
	v_mul_f64 v[10:11], v[4:5], v[8:9]
	v_mul_f64 v[8:9], v[2:3], v[8:9]
	v_fma_f64 v[10:11], v[2:3], v[6:7], -v[10:11]
	v_fmac_f64_e32 v[8:9], v[4:5], v[6:7]
	scratch_load_dwordx4 v[2:5], off, off offset:864
	scratch_load_dwordx2 v[6:7], off, off offset:488
	s_waitcnt vmcnt(1)
	v_add_f64 v[2:3], v[2:3], -v[10:11]
	v_add_f64 v[4:5], v[4:5], -v[8:9]
	scratch_store_dwordx4 off, v[2:5], off offset:864
	ds_read2_b64 v[2:5], v78 offset0:110 offset1:111
	s_waitcnt vmcnt(1) lgkmcnt(0)
	v_mul_f64 v[8:9], v[4:5], v[6:7]
	v_mul_f64 v[10:11], v[2:3], v[6:7]
	v_fma_f64 v[8:9], v[2:3], v[0:1], -v[8:9]
	v_fmac_f64_e32 v[10:11], v[4:5], v[0:1]
	scratch_load_dwordx4 v[2:5], off, off offset:880
	s_waitcnt vmcnt(0)
	v_add_f64 v[2:3], v[2:3], -v[8:9]
	v_add_f64 v[4:5], v[4:5], -v[10:11]
	scratch_store_dwordx4 off, v[2:5], off offset:880
	ds_read2_b64 v[2:5], v78 offset0:112 offset1:113
	s_waitcnt lgkmcnt(0)
	v_mul_f64 v[8:9], v[4:5], v[6:7]
	v_mul_f64 v[10:11], v[2:3], v[6:7]
	v_fma_f64 v[8:9], v[2:3], v[0:1], -v[8:9]
	v_fmac_f64_e32 v[10:11], v[4:5], v[0:1]
	scratch_load_dwordx4 v[2:5], off, off offset:896
	s_waitcnt vmcnt(0)
	v_add_f64 v[2:3], v[2:3], -v[8:9]
	v_add_f64 v[4:5], v[4:5], -v[10:11]
	scratch_store_dwordx4 off, v[2:5], off offset:896
	ds_read2_b64 v[2:5], v78 offset0:114 offset1:115
	s_waitcnt lgkmcnt(0)
	;; [unrolled: 11-line block ×5, first 2 shown]
	v_mul_f64 v[8:9], v[4:5], v[6:7]
	v_mul_f64 v[6:7], v[2:3], v[6:7]
	v_fma_f64 v[8:9], v[2:3], v[0:1], -v[8:9]
	v_fmac_f64_e32 v[6:7], v[4:5], v[0:1]
	scratch_load_dwordx4 v[0:3], off, off offset:960
	s_waitcnt vmcnt(0)
	v_add_f64 v[0:1], v[0:1], -v[8:9]
	v_add_f64 v[2:3], v[2:3], -v[6:7]
	scratch_store_dwordx4 off, v[0:3], off offset:960
.LBB120_752:
	s_or_b64 exec, exec, s[0:1]
	s_barrier
	scratch_load_dwordx4 v[0:3], off, s53
	v_lshl_add_u32 v4, v81, 4, v78
	s_cmp_lt_i32 s51, 33
	s_waitcnt vmcnt(0)
	ds_write2_b64 v4, v[0:1], v[2:3] offset1:1
	s_waitcnt lgkmcnt(0)
	s_barrier
	ds_read2_b64 v[0:3], v78 offset0:62 offset1:63
	v_mov_b32_e32 v4, 31
	s_cbranch_scc1 .LBB120_755
; %bb.753:
	v_add_u32_e32 v5, 0x200, v78
	s_mov_b32 s4, 32
	v_mov_b32_e32 v4, 31
.LBB120_754:                            ; =>This Inner Loop Header: Depth=1
	ds_read2_b64 v[6:9], v5 offset1:1
	s_waitcnt lgkmcnt(1)
	v_xor_b32_e32 v11, 0x80000000, v1
	v_xor_b32_e32 v13, 0x80000000, v3
	v_cmp_gt_f64_e32 vcc, 0, v[2:3]
	v_cmp_gt_f64_e64 s[0:1], 0, v[0:1]
	v_mov_b32_e32 v10, v0
	v_mov_b32_e32 v12, v2
	v_cndmask_b32_e64 v11, v1, v11, s[0:1]
	v_cndmask_b32_e32 v13, v3, v13, vcc
	v_add_f64 v[10:11], v[10:11], v[12:13]
	s_waitcnt lgkmcnt(0)
	v_xor_b32_e32 v13, 0x80000000, v7
	v_xor_b32_e32 v15, 0x80000000, v9
	v_cmp_gt_f64_e32 vcc, 0, v[8:9]
	v_cmp_gt_f64_e64 s[0:1], 0, v[6:7]
	v_mov_b32_e32 v12, v6
	v_mov_b32_e32 v14, v8
	v_cndmask_b32_e64 v13, v7, v13, s[0:1]
	v_cndmask_b32_e32 v15, v9, v15, vcc
	v_add_f64 v[12:13], v[12:13], v[14:15]
	v_mov_b32_e32 v16, s4
	s_add_i32 s4, s4, 1
	v_cmp_lt_f64_e32 vcc, v[10:11], v[12:13]
	v_add_u32_e32 v5, 16, v5
	s_cmp_lg_u32 s51, s4
	v_cndmask_b32_e32 v1, v1, v7, vcc
	v_cndmask_b32_e32 v0, v0, v6, vcc
	v_cndmask_b32_e32 v3, v3, v9, vcc
	v_cndmask_b32_e32 v2, v2, v8, vcc
	v_cndmask_b32_e32 v4, v4, v16, vcc
	s_cbranch_scc1 .LBB120_754
.LBB120_755:
	s_waitcnt lgkmcnt(0)
	v_cmp_eq_f64_e32 vcc, 0, v[0:1]
	v_cmp_eq_f64_e64 s[0:1], 0, v[2:3]
	s_and_b64 s[0:1], vcc, s[0:1]
	s_and_saveexec_b64 s[4:5], s[0:1]
	s_xor_b64 s[0:1], exec, s[4:5]
; %bb.756:
	v_cmp_ne_u32_e32 vcc, 0, v79
	s_nop 1
	v_cndmask_b32_e32 v79, 32, v79, vcc
; %bb.757:
	s_andn2_saveexec_b64 s[0:1], s[0:1]
	s_cbranch_execz .LBB120_763
; %bb.758:
	v_cmp_ngt_f64_e64 s[4:5], |v[0:1]|, |v[2:3]|
	s_and_saveexec_b64 s[12:13], s[4:5]
	s_xor_b64 s[12:13], exec, s[12:13]
	s_cbranch_execz .LBB120_760
; %bb.759:
	v_div_scale_f64 v[6:7], s[4:5], v[2:3], v[2:3], v[0:1]
	v_rcp_f64_e32 v[8:9], v[6:7]
	v_div_scale_f64 v[10:11], vcc, v[0:1], v[2:3], v[0:1]
	v_fma_f64 v[12:13], -v[6:7], v[8:9], 1.0
	v_fmac_f64_e32 v[8:9], v[8:9], v[12:13]
	v_fma_f64 v[12:13], -v[6:7], v[8:9], 1.0
	v_fmac_f64_e32 v[8:9], v[8:9], v[12:13]
	v_mul_f64 v[12:13], v[10:11], v[8:9]
	v_fma_f64 v[6:7], -v[6:7], v[12:13], v[10:11]
	v_div_fmas_f64 v[6:7], v[6:7], v[8:9], v[12:13]
	v_div_fixup_f64 v[6:7], v[6:7], v[2:3], v[0:1]
	v_fmac_f64_e32 v[2:3], v[0:1], v[6:7]
	v_div_scale_f64 v[0:1], s[4:5], v[2:3], v[2:3], 1.0
	v_rcp_f64_e32 v[8:9], v[0:1]
	s_nop 0
	v_fma_f64 v[10:11], -v[0:1], v[8:9], 1.0
	v_fmac_f64_e32 v[8:9], v[8:9], v[10:11]
	v_fma_f64 v[10:11], -v[0:1], v[8:9], 1.0
	v_fmac_f64_e32 v[8:9], v[8:9], v[10:11]
	v_div_scale_f64 v[10:11], vcc, 1.0, v[2:3], 1.0
	v_mul_f64 v[12:13], v[10:11], v[8:9]
	v_fma_f64 v[0:1], -v[0:1], v[12:13], v[10:11]
	s_nop 1
	v_div_fmas_f64 v[0:1], v[0:1], v[8:9], v[12:13]
	v_div_fixup_f64 v[2:3], v[0:1], v[2:3], 1.0
	v_mul_f64 v[0:1], v[6:7], v[2:3]
	v_xor_b32_e32 v3, 0x80000000, v3
.LBB120_760:
	s_andn2_saveexec_b64 s[12:13], s[12:13]
	s_cbranch_execz .LBB120_762
; %bb.761:
	v_div_scale_f64 v[6:7], s[4:5], v[0:1], v[0:1], v[2:3]
	v_rcp_f64_e32 v[8:9], v[6:7]
	v_div_scale_f64 v[10:11], vcc, v[2:3], v[0:1], v[2:3]
	v_fma_f64 v[12:13], -v[6:7], v[8:9], 1.0
	v_fmac_f64_e32 v[8:9], v[8:9], v[12:13]
	v_fma_f64 v[12:13], -v[6:7], v[8:9], 1.0
	v_fmac_f64_e32 v[8:9], v[8:9], v[12:13]
	v_mul_f64 v[12:13], v[10:11], v[8:9]
	v_fma_f64 v[6:7], -v[6:7], v[12:13], v[10:11]
	v_div_fmas_f64 v[6:7], v[6:7], v[8:9], v[12:13]
	v_div_fixup_f64 v[6:7], v[6:7], v[0:1], v[2:3]
	v_fmac_f64_e32 v[0:1], v[2:3], v[6:7]
	v_div_scale_f64 v[2:3], s[4:5], v[0:1], v[0:1], 1.0
	v_rcp_f64_e32 v[8:9], v[2:3]
	s_nop 0
	v_fma_f64 v[10:11], -v[2:3], v[8:9], 1.0
	v_fmac_f64_e32 v[8:9], v[8:9], v[10:11]
	v_fma_f64 v[10:11], -v[2:3], v[8:9], 1.0
	v_fmac_f64_e32 v[8:9], v[8:9], v[10:11]
	v_div_scale_f64 v[10:11], vcc, 1.0, v[0:1], 1.0
	v_mul_f64 v[12:13], v[10:11], v[8:9]
	v_fma_f64 v[2:3], -v[2:3], v[12:13], v[10:11]
	s_nop 1
	v_div_fmas_f64 v[2:3], v[2:3], v[8:9], v[12:13]
	v_div_fixup_f64 v[0:1], v[2:3], v[0:1], 1.0
	v_mul_f64 v[2:3], v[6:7], -v[0:1]
.LBB120_762:
	s_or_b64 exec, exec, s[12:13]
.LBB120_763:
	s_or_b64 exec, exec, s[0:1]
	v_cmp_ne_u32_e32 vcc, v81, v4
	s_and_saveexec_b64 s[0:1], vcc
	s_xor_b64 s[0:1], exec, s[0:1]
	s_cbranch_execz .LBB120_769
; %bb.764:
	v_cmp_eq_u32_e32 vcc, 31, v81
	s_and_saveexec_b64 s[12:13], vcc
	s_cbranch_execz .LBB120_768
; %bb.765:
	v_cmp_ne_u32_e32 vcc, 31, v4
	s_xor_b64 s[4:5], s[18:19], -1
	s_and_b64 s[4:5], s[4:5], vcc
	s_and_saveexec_b64 s[14:15], s[4:5]
	s_cbranch_execz .LBB120_767
; %bb.766:
	v_ashrrev_i32_e32 v5, 31, v4
	v_lshl_add_u64 v[6:7], v[4:5], 2, v[46:47]
	global_load_dword v5, v[6:7], off
	global_load_dword v8, v[46:47], off offset:124
	s_waitcnt vmcnt(1)
	global_store_dword v[46:47], v5, off offset:124
	s_waitcnt vmcnt(1)
	global_store_dword v[6:7], v8, off
.LBB120_767:
	s_or_b64 exec, exec, s[14:15]
	v_mov_b32_e32 v81, v4
	v_mov_b32_e32 v80, v4
.LBB120_768:
	s_or_b64 exec, exec, s[12:13]
.LBB120_769:
	s_andn2_saveexec_b64 s[0:1], s[0:1]
	s_cbranch_execz .LBB120_771
; %bb.770:
	scratch_load_dwordx4 v[4:7], off, s49
	v_mov_b32_e32 v81, 31
	s_waitcnt vmcnt(0)
	ds_write2_b64 v78, v[4:5], v[6:7] offset0:64 offset1:65
	scratch_load_dwordx4 v[4:7], off, s48
	s_waitcnt vmcnt(0)
	ds_write2_b64 v78, v[4:5], v[6:7] offset0:66 offset1:67
	scratch_load_dwordx4 v[4:7], off, s47
	;; [unrolled: 3-line block ×28, first 2 shown]
	s_waitcnt vmcnt(0)
	ds_write2_b64 v78, v[4:5], v[6:7] offset0:120 offset1:121
.LBB120_771:
	s_or_b64 exec, exec, s[0:1]
	v_cmp_lt_i32_e32 vcc, 31, v81
	s_waitcnt lgkmcnt(0)
	s_barrier
	s_and_saveexec_b64 s[0:1], vcc
	s_cbranch_execz .LBB120_773
; %bb.772:
	scratch_load_dwordx4 v[4:7], off, off offset:496
	s_waitcnt vmcnt(0)
	v_mul_f64 v[8:9], v[2:3], v[6:7]
	v_mul_f64 v[10:11], v[0:1], v[6:7]
	v_fma_f64 v[8:9], v[0:1], v[4:5], -v[8:9]
	v_fmac_f64_e32 v[10:11], v[2:3], v[4:5]
	ds_read2_b64 v[0:3], v78 offset0:64 offset1:65
	scratch_store_dwordx4 off, v[8:11], off offset:496
	s_waitcnt lgkmcnt(0)
	v_mul_f64 v[4:5], v[2:3], v[10:11]
	v_mul_f64 v[6:7], v[0:1], v[10:11]
	v_fma_f64 v[4:5], v[0:1], v[8:9], -v[4:5]
	v_fmac_f64_e32 v[6:7], v[2:3], v[8:9]
	scratch_load_dwordx4 v[0:3], off, off offset:512
	s_waitcnt vmcnt(0)
	v_add_f64 v[0:1], v[0:1], -v[4:5]
	v_add_f64 v[2:3], v[2:3], -v[6:7]
	scratch_store_dwordx4 off, v[0:3], off offset:512
	ds_read2_b64 v[0:3], v78 offset0:66 offset1:67
	s_waitcnt lgkmcnt(0)
	v_mul_f64 v[4:5], v[2:3], v[10:11]
	v_mul_f64 v[6:7], v[0:1], v[10:11]
	v_fma_f64 v[4:5], v[0:1], v[8:9], -v[4:5]
	v_fmac_f64_e32 v[6:7], v[2:3], v[8:9]
	scratch_load_dwordx4 v[0:3], off, off offset:528
	s_waitcnt vmcnt(0)
	v_add_f64 v[0:1], v[0:1], -v[4:5]
	v_add_f64 v[2:3], v[2:3], -v[6:7]
	scratch_store_dwordx4 off, v[0:3], off offset:528
	ds_read2_b64 v[0:3], v78 offset0:68 offset1:69
	;; [unrolled: 11-line block ×6, first 2 shown]
	scratch_load_dwordx2 v[8:9], off, off offset:496
	scratch_load_dwordx4 v[0:3], off, off offset:496
	s_waitcnt vmcnt(0) lgkmcnt(0)
	v_mul_f64 v[10:11], v[6:7], v[2:3]
	v_mul_f64 v[12:13], v[4:5], v[2:3]
	v_fma_f64 v[10:11], v[4:5], v[8:9], -v[10:11]
	v_fmac_f64_e32 v[12:13], v[6:7], v[8:9]
	scratch_load_dwordx4 v[4:7], off, off offset:608
	s_waitcnt vmcnt(0)
	v_add_f64 v[4:5], v[4:5], -v[10:11]
	v_add_f64 v[6:7], v[6:7], -v[12:13]
	scratch_store_dwordx4 off, v[4:7], off offset:608
	ds_read2_b64 v[4:7], v78 offset0:78 offset1:79
	s_waitcnt lgkmcnt(0)
	v_mul_f64 v[10:11], v[6:7], v[2:3]
	v_mul_f64 v[12:13], v[4:5], v[2:3]
	v_fma_f64 v[10:11], v[4:5], v[8:9], -v[10:11]
	v_fmac_f64_e32 v[12:13], v[6:7], v[8:9]
	scratch_load_dwordx4 v[4:7], off, off offset:624
	s_waitcnt vmcnt(0)
	v_add_f64 v[4:5], v[4:5], -v[10:11]
	v_add_f64 v[6:7], v[6:7], -v[12:13]
	scratch_store_dwordx4 off, v[4:7], off offset:624
	ds_read2_b64 v[4:7], v78 offset0:80 offset1:81
	s_waitcnt lgkmcnt(0)
	;; [unrolled: 11-line block ×5, first 2 shown]
	v_mul_f64 v[10:11], v[6:7], v[2:3]
	v_fma_f64 v[10:11], v[4:5], v[8:9], -v[10:11]
	v_mul_f64 v[12:13], v[4:5], v[2:3]
	scratch_load_dwordx4 v[2:5], off, off offset:688
	v_fmac_f64_e32 v[12:13], v[6:7], v[8:9]
	s_waitcnt vmcnt(0)
	v_add_f64 v[2:3], v[2:3], -v[10:11]
	v_add_f64 v[4:5], v[4:5], -v[12:13]
	scratch_store_dwordx4 off, v[2:5], off offset:688
	ds_read2_b64 v[2:5], v78 offset0:88 offset1:89
	scratch_load_dwordx2 v[6:7], off, off offset:496
	scratch_load_dwordx2 v[8:9], off, off offset:504
	s_waitcnt vmcnt(0) lgkmcnt(0)
	v_mul_f64 v[10:11], v[4:5], v[8:9]
	v_mul_f64 v[12:13], v[2:3], v[8:9]
	v_fma_f64 v[10:11], v[2:3], v[6:7], -v[10:11]
	v_fmac_f64_e32 v[12:13], v[4:5], v[6:7]
	scratch_load_dwordx4 v[2:5], off, off offset:704
	s_waitcnt vmcnt(0)
	v_add_f64 v[2:3], v[2:3], -v[10:11]
	v_add_f64 v[4:5], v[4:5], -v[12:13]
	scratch_store_dwordx4 off, v[2:5], off offset:704
	ds_read2_b64 v[2:5], v78 offset0:90 offset1:91
	s_waitcnt lgkmcnt(0)
	v_mul_f64 v[10:11], v[4:5], v[8:9]
	v_mul_f64 v[12:13], v[2:3], v[8:9]
	v_fma_f64 v[10:11], v[2:3], v[6:7], -v[10:11]
	v_fmac_f64_e32 v[12:13], v[4:5], v[6:7]
	scratch_load_dwordx4 v[2:5], off, off offset:720
	s_waitcnt vmcnt(0)
	v_add_f64 v[2:3], v[2:3], -v[10:11]
	v_add_f64 v[4:5], v[4:5], -v[12:13]
	scratch_store_dwordx4 off, v[2:5], off offset:720
	ds_read2_b64 v[2:5], v78 offset0:92 offset1:93
	s_waitcnt lgkmcnt(0)
	;; [unrolled: 11-line block ×5, first 2 shown]
	v_mul_f64 v[10:11], v[4:5], v[8:9]
	v_mul_f64 v[8:9], v[2:3], v[8:9]
	v_fma_f64 v[10:11], v[2:3], v[6:7], -v[10:11]
	v_fmac_f64_e32 v[8:9], v[4:5], v[6:7]
	scratch_load_dwordx4 v[2:5], off, off offset:784
	s_waitcnt vmcnt(0)
	v_add_f64 v[2:3], v[2:3], -v[10:11]
	v_add_f64 v[4:5], v[4:5], -v[8:9]
	scratch_store_dwordx4 off, v[2:5], off offset:784
	ds_read2_b64 v[2:5], v78 offset0:100 offset1:101
	scratch_load_dwordx2 v[6:7], off, off offset:496
	scratch_load_dwordx2 v[8:9], off, off offset:504
	s_waitcnt vmcnt(0) lgkmcnt(0)
	v_mul_f64 v[10:11], v[4:5], v[8:9]
	v_mul_f64 v[12:13], v[2:3], v[8:9]
	v_fma_f64 v[10:11], v[2:3], v[6:7], -v[10:11]
	v_fmac_f64_e32 v[12:13], v[4:5], v[6:7]
	scratch_load_dwordx4 v[2:5], off, off offset:800
	s_waitcnt vmcnt(0)
	v_add_f64 v[2:3], v[2:3], -v[10:11]
	v_add_f64 v[4:5], v[4:5], -v[12:13]
	scratch_store_dwordx4 off, v[2:5], off offset:800
	ds_read2_b64 v[2:5], v78 offset0:102 offset1:103
	s_waitcnt lgkmcnt(0)
	v_mul_f64 v[10:11], v[4:5], v[8:9]
	v_mul_f64 v[12:13], v[2:3], v[8:9]
	v_fma_f64 v[10:11], v[2:3], v[6:7], -v[10:11]
	v_fmac_f64_e32 v[12:13], v[4:5], v[6:7]
	scratch_load_dwordx4 v[2:5], off, off offset:816
	s_waitcnt vmcnt(0)
	v_add_f64 v[2:3], v[2:3], -v[10:11]
	v_add_f64 v[4:5], v[4:5], -v[12:13]
	scratch_store_dwordx4 off, v[2:5], off offset:816
	ds_read2_b64 v[2:5], v78 offset0:104 offset1:105
	s_waitcnt lgkmcnt(0)
	;; [unrolled: 11-line block ×5, first 2 shown]
	v_mul_f64 v[10:11], v[4:5], v[8:9]
	v_mul_f64 v[8:9], v[2:3], v[8:9]
	v_fma_f64 v[10:11], v[2:3], v[6:7], -v[10:11]
	v_fmac_f64_e32 v[8:9], v[4:5], v[6:7]
	scratch_load_dwordx4 v[2:5], off, off offset:880
	scratch_load_dwordx2 v[6:7], off, off offset:504
	s_waitcnt vmcnt(1)
	v_add_f64 v[2:3], v[2:3], -v[10:11]
	v_add_f64 v[4:5], v[4:5], -v[8:9]
	scratch_store_dwordx4 off, v[2:5], off offset:880
	ds_read2_b64 v[2:5], v78 offset0:112 offset1:113
	s_waitcnt vmcnt(1) lgkmcnt(0)
	v_mul_f64 v[8:9], v[4:5], v[6:7]
	v_mul_f64 v[10:11], v[2:3], v[6:7]
	v_fma_f64 v[8:9], v[2:3], v[0:1], -v[8:9]
	v_fmac_f64_e32 v[10:11], v[4:5], v[0:1]
	scratch_load_dwordx4 v[2:5], off, off offset:896
	s_waitcnt vmcnt(0)
	v_add_f64 v[2:3], v[2:3], -v[8:9]
	v_add_f64 v[4:5], v[4:5], -v[10:11]
	scratch_store_dwordx4 off, v[2:5], off offset:896
	ds_read2_b64 v[2:5], v78 offset0:114 offset1:115
	s_waitcnt lgkmcnt(0)
	v_mul_f64 v[8:9], v[4:5], v[6:7]
	v_mul_f64 v[10:11], v[2:3], v[6:7]
	v_fma_f64 v[8:9], v[2:3], v[0:1], -v[8:9]
	v_fmac_f64_e32 v[10:11], v[4:5], v[0:1]
	scratch_load_dwordx4 v[2:5], off, off offset:912
	s_waitcnt vmcnt(0)
	v_add_f64 v[2:3], v[2:3], -v[8:9]
	v_add_f64 v[4:5], v[4:5], -v[10:11]
	scratch_store_dwordx4 off, v[2:5], off offset:912
	ds_read2_b64 v[2:5], v78 offset0:116 offset1:117
	s_waitcnt lgkmcnt(0)
	;; [unrolled: 11-line block ×4, first 2 shown]
	v_mul_f64 v[8:9], v[4:5], v[6:7]
	v_mul_f64 v[6:7], v[2:3], v[6:7]
	v_fma_f64 v[8:9], v[2:3], v[0:1], -v[8:9]
	v_fmac_f64_e32 v[6:7], v[4:5], v[0:1]
	scratch_load_dwordx4 v[0:3], off, off offset:960
	s_waitcnt vmcnt(0)
	v_add_f64 v[0:1], v[0:1], -v[8:9]
	v_add_f64 v[2:3], v[2:3], -v[6:7]
	scratch_store_dwordx4 off, v[0:3], off offset:960
.LBB120_773:
	s_or_b64 exec, exec, s[0:1]
	s_barrier
	scratch_load_dwordx4 v[0:3], off, s49
	v_lshl_add_u32 v4, v81, 4, v78
	s_cmp_lt_i32 s51, 34
	s_waitcnt vmcnt(0)
	ds_write2_b64 v4, v[0:1], v[2:3] offset1:1
	s_waitcnt lgkmcnt(0)
	s_barrier
	ds_read2_b64 v[0:3], v78 offset0:64 offset1:65
	v_mov_b32_e32 v4, 32
	s_cbranch_scc1 .LBB120_776
; %bb.774:
	v_add_u32_e32 v5, 0x210, v78
	s_mov_b32 s4, 33
	v_mov_b32_e32 v4, 32
.LBB120_775:                            ; =>This Inner Loop Header: Depth=1
	ds_read2_b64 v[6:9], v5 offset1:1
	s_waitcnt lgkmcnt(1)
	v_xor_b32_e32 v11, 0x80000000, v1
	v_xor_b32_e32 v13, 0x80000000, v3
	v_cmp_gt_f64_e32 vcc, 0, v[2:3]
	v_cmp_gt_f64_e64 s[0:1], 0, v[0:1]
	v_mov_b32_e32 v10, v0
	v_mov_b32_e32 v12, v2
	v_cndmask_b32_e64 v11, v1, v11, s[0:1]
	v_cndmask_b32_e32 v13, v3, v13, vcc
	v_add_f64 v[10:11], v[10:11], v[12:13]
	s_waitcnt lgkmcnt(0)
	v_xor_b32_e32 v13, 0x80000000, v7
	v_xor_b32_e32 v15, 0x80000000, v9
	v_cmp_gt_f64_e32 vcc, 0, v[8:9]
	v_cmp_gt_f64_e64 s[0:1], 0, v[6:7]
	v_mov_b32_e32 v12, v6
	v_mov_b32_e32 v14, v8
	v_cndmask_b32_e64 v13, v7, v13, s[0:1]
	v_cndmask_b32_e32 v15, v9, v15, vcc
	v_add_f64 v[12:13], v[12:13], v[14:15]
	v_mov_b32_e32 v16, s4
	s_add_i32 s4, s4, 1
	v_cmp_lt_f64_e32 vcc, v[10:11], v[12:13]
	v_add_u32_e32 v5, 16, v5
	s_cmp_lg_u32 s51, s4
	v_cndmask_b32_e32 v1, v1, v7, vcc
	v_cndmask_b32_e32 v0, v0, v6, vcc
	;; [unrolled: 1-line block ×5, first 2 shown]
	s_cbranch_scc1 .LBB120_775
.LBB120_776:
	s_waitcnt lgkmcnt(0)
	v_cmp_eq_f64_e32 vcc, 0, v[0:1]
	v_cmp_eq_f64_e64 s[0:1], 0, v[2:3]
	s_and_b64 s[0:1], vcc, s[0:1]
	s_and_saveexec_b64 s[4:5], s[0:1]
	s_xor_b64 s[0:1], exec, s[4:5]
; %bb.777:
	v_cmp_ne_u32_e32 vcc, 0, v79
	s_nop 1
	v_cndmask_b32_e32 v79, 33, v79, vcc
; %bb.778:
	s_andn2_saveexec_b64 s[0:1], s[0:1]
	s_cbranch_execz .LBB120_784
; %bb.779:
	v_cmp_ngt_f64_e64 s[4:5], |v[0:1]|, |v[2:3]|
	s_and_saveexec_b64 s[12:13], s[4:5]
	s_xor_b64 s[12:13], exec, s[12:13]
	s_cbranch_execz .LBB120_781
; %bb.780:
	v_div_scale_f64 v[6:7], s[4:5], v[2:3], v[2:3], v[0:1]
	v_rcp_f64_e32 v[8:9], v[6:7]
	v_div_scale_f64 v[10:11], vcc, v[0:1], v[2:3], v[0:1]
	v_fma_f64 v[12:13], -v[6:7], v[8:9], 1.0
	v_fmac_f64_e32 v[8:9], v[8:9], v[12:13]
	v_fma_f64 v[12:13], -v[6:7], v[8:9], 1.0
	v_fmac_f64_e32 v[8:9], v[8:9], v[12:13]
	v_mul_f64 v[12:13], v[10:11], v[8:9]
	v_fma_f64 v[6:7], -v[6:7], v[12:13], v[10:11]
	v_div_fmas_f64 v[6:7], v[6:7], v[8:9], v[12:13]
	v_div_fixup_f64 v[6:7], v[6:7], v[2:3], v[0:1]
	v_fmac_f64_e32 v[2:3], v[0:1], v[6:7]
	v_div_scale_f64 v[0:1], s[4:5], v[2:3], v[2:3], 1.0
	v_rcp_f64_e32 v[8:9], v[0:1]
	s_nop 0
	v_fma_f64 v[10:11], -v[0:1], v[8:9], 1.0
	v_fmac_f64_e32 v[8:9], v[8:9], v[10:11]
	v_fma_f64 v[10:11], -v[0:1], v[8:9], 1.0
	v_fmac_f64_e32 v[8:9], v[8:9], v[10:11]
	v_div_scale_f64 v[10:11], vcc, 1.0, v[2:3], 1.0
	v_mul_f64 v[12:13], v[10:11], v[8:9]
	v_fma_f64 v[0:1], -v[0:1], v[12:13], v[10:11]
	s_nop 1
	v_div_fmas_f64 v[0:1], v[0:1], v[8:9], v[12:13]
	v_div_fixup_f64 v[2:3], v[0:1], v[2:3], 1.0
	v_mul_f64 v[0:1], v[6:7], v[2:3]
	v_xor_b32_e32 v3, 0x80000000, v3
.LBB120_781:
	s_andn2_saveexec_b64 s[12:13], s[12:13]
	s_cbranch_execz .LBB120_783
; %bb.782:
	v_div_scale_f64 v[6:7], s[4:5], v[0:1], v[0:1], v[2:3]
	v_rcp_f64_e32 v[8:9], v[6:7]
	v_div_scale_f64 v[10:11], vcc, v[2:3], v[0:1], v[2:3]
	v_fma_f64 v[12:13], -v[6:7], v[8:9], 1.0
	v_fmac_f64_e32 v[8:9], v[8:9], v[12:13]
	v_fma_f64 v[12:13], -v[6:7], v[8:9], 1.0
	v_fmac_f64_e32 v[8:9], v[8:9], v[12:13]
	v_mul_f64 v[12:13], v[10:11], v[8:9]
	v_fma_f64 v[6:7], -v[6:7], v[12:13], v[10:11]
	v_div_fmas_f64 v[6:7], v[6:7], v[8:9], v[12:13]
	v_div_fixup_f64 v[6:7], v[6:7], v[0:1], v[2:3]
	v_fmac_f64_e32 v[0:1], v[2:3], v[6:7]
	v_div_scale_f64 v[2:3], s[4:5], v[0:1], v[0:1], 1.0
	v_rcp_f64_e32 v[8:9], v[2:3]
	s_nop 0
	v_fma_f64 v[10:11], -v[2:3], v[8:9], 1.0
	v_fmac_f64_e32 v[8:9], v[8:9], v[10:11]
	v_fma_f64 v[10:11], -v[2:3], v[8:9], 1.0
	v_fmac_f64_e32 v[8:9], v[8:9], v[10:11]
	v_div_scale_f64 v[10:11], vcc, 1.0, v[0:1], 1.0
	v_mul_f64 v[12:13], v[10:11], v[8:9]
	v_fma_f64 v[2:3], -v[2:3], v[12:13], v[10:11]
	s_nop 1
	v_div_fmas_f64 v[2:3], v[2:3], v[8:9], v[12:13]
	v_div_fixup_f64 v[0:1], v[2:3], v[0:1], 1.0
	v_mul_f64 v[2:3], v[6:7], -v[0:1]
.LBB120_783:
	s_or_b64 exec, exec, s[12:13]
.LBB120_784:
	s_or_b64 exec, exec, s[0:1]
	v_cmp_ne_u32_e32 vcc, v81, v4
	s_and_saveexec_b64 s[0:1], vcc
	s_xor_b64 s[0:1], exec, s[0:1]
	s_cbranch_execz .LBB120_790
; %bb.785:
	v_cmp_eq_u32_e32 vcc, 32, v81
	s_and_saveexec_b64 s[12:13], vcc
	s_cbranch_execz .LBB120_789
; %bb.786:
	v_cmp_ne_u32_e32 vcc, 32, v4
	s_xor_b64 s[4:5], s[18:19], -1
	s_and_b64 s[4:5], s[4:5], vcc
	s_and_saveexec_b64 s[14:15], s[4:5]
	s_cbranch_execz .LBB120_788
; %bb.787:
	v_ashrrev_i32_e32 v5, 31, v4
	v_lshl_add_u64 v[6:7], v[4:5], 2, v[46:47]
	global_load_dword v5, v[6:7], off
	global_load_dword v8, v[46:47], off offset:128
	s_waitcnt vmcnt(1)
	global_store_dword v[46:47], v5, off offset:128
	s_waitcnt vmcnt(1)
	global_store_dword v[6:7], v8, off
.LBB120_788:
	s_or_b64 exec, exec, s[14:15]
	v_mov_b32_e32 v81, v4
	v_mov_b32_e32 v80, v4
.LBB120_789:
	s_or_b64 exec, exec, s[12:13]
.LBB120_790:
	s_andn2_saveexec_b64 s[0:1], s[0:1]
	s_cbranch_execz .LBB120_792
; %bb.791:
	scratch_load_dwordx4 v[4:7], off, s48
	scratch_load_dwordx4 v[8:11], off, s47
	;; [unrolled: 1-line block ×28, first 2 shown]
	v_mov_b32_e32 v81, 32
	s_waitcnt vmcnt(27)
	ds_write2_b64 v78, v[4:5], v[6:7] offset0:66 offset1:67
	s_waitcnt vmcnt(26)
	ds_write2_b64 v78, v[8:9], v[10:11] offset0:68 offset1:69
	;; [unrolled: 2-line block ×28, first 2 shown]
.LBB120_792:
	s_or_b64 exec, exec, s[0:1]
	v_cmp_lt_i32_e32 vcc, 32, v81
	s_waitcnt lgkmcnt(0)
	s_barrier
	s_and_saveexec_b64 s[0:1], vcc
	s_cbranch_execz .LBB120_794
; %bb.793:
	scratch_load_dwordx4 v[4:7], off, off offset:512
	s_waitcnt vmcnt(0)
	v_mul_f64 v[8:9], v[2:3], v[6:7]
	v_mul_f64 v[10:11], v[0:1], v[6:7]
	v_fma_f64 v[8:9], v[0:1], v[4:5], -v[8:9]
	v_fmac_f64_e32 v[10:11], v[2:3], v[4:5]
	ds_read2_b64 v[0:3], v78 offset0:66 offset1:67
	scratch_store_dwordx4 off, v[8:11], off offset:512
	s_waitcnt lgkmcnt(0)
	v_mul_f64 v[4:5], v[2:3], v[10:11]
	v_mul_f64 v[6:7], v[0:1], v[10:11]
	v_fma_f64 v[4:5], v[0:1], v[8:9], -v[4:5]
	v_fmac_f64_e32 v[6:7], v[2:3], v[8:9]
	scratch_load_dwordx4 v[0:3], off, off offset:528
	s_waitcnt vmcnt(0)
	v_add_f64 v[0:1], v[0:1], -v[4:5]
	v_add_f64 v[2:3], v[2:3], -v[6:7]
	scratch_store_dwordx4 off, v[0:3], off offset:528
	ds_read2_b64 v[0:3], v78 offset0:68 offset1:69
	s_waitcnt lgkmcnt(0)
	v_mul_f64 v[4:5], v[2:3], v[10:11]
	v_mul_f64 v[6:7], v[0:1], v[10:11]
	v_fma_f64 v[4:5], v[0:1], v[8:9], -v[4:5]
	v_fmac_f64_e32 v[6:7], v[2:3], v[8:9]
	scratch_load_dwordx4 v[0:3], off, off offset:544
	s_waitcnt vmcnt(0)
	v_add_f64 v[0:1], v[0:1], -v[4:5]
	v_add_f64 v[2:3], v[2:3], -v[6:7]
	scratch_store_dwordx4 off, v[0:3], off offset:544
	ds_read2_b64 v[0:3], v78 offset0:70 offset1:71
	;; [unrolled: 11-line block ×6, first 2 shown]
	scratch_load_dwordx2 v[8:9], off, off offset:512
	scratch_load_dwordx4 v[0:3], off, off offset:512
	s_waitcnt vmcnt(0) lgkmcnt(0)
	v_mul_f64 v[10:11], v[6:7], v[2:3]
	v_mul_f64 v[12:13], v[4:5], v[2:3]
	v_fma_f64 v[10:11], v[4:5], v[8:9], -v[10:11]
	v_fmac_f64_e32 v[12:13], v[6:7], v[8:9]
	scratch_load_dwordx4 v[4:7], off, off offset:624
	s_waitcnt vmcnt(0)
	v_add_f64 v[4:5], v[4:5], -v[10:11]
	v_add_f64 v[6:7], v[6:7], -v[12:13]
	scratch_store_dwordx4 off, v[4:7], off offset:624
	ds_read2_b64 v[4:7], v78 offset0:80 offset1:81
	s_waitcnt lgkmcnt(0)
	v_mul_f64 v[10:11], v[6:7], v[2:3]
	v_mul_f64 v[12:13], v[4:5], v[2:3]
	v_fma_f64 v[10:11], v[4:5], v[8:9], -v[10:11]
	v_fmac_f64_e32 v[12:13], v[6:7], v[8:9]
	scratch_load_dwordx4 v[4:7], off, off offset:640
	s_waitcnt vmcnt(0)
	v_add_f64 v[4:5], v[4:5], -v[10:11]
	v_add_f64 v[6:7], v[6:7], -v[12:13]
	scratch_store_dwordx4 off, v[4:7], off offset:640
	ds_read2_b64 v[4:7], v78 offset0:82 offset1:83
	s_waitcnt lgkmcnt(0)
	;; [unrolled: 11-line block ×5, first 2 shown]
	v_mul_f64 v[10:11], v[6:7], v[2:3]
	v_fma_f64 v[10:11], v[4:5], v[8:9], -v[10:11]
	v_mul_f64 v[12:13], v[4:5], v[2:3]
	scratch_load_dwordx4 v[2:5], off, off offset:704
	v_fmac_f64_e32 v[12:13], v[6:7], v[8:9]
	s_waitcnt vmcnt(0)
	v_add_f64 v[2:3], v[2:3], -v[10:11]
	v_add_f64 v[4:5], v[4:5], -v[12:13]
	scratch_store_dwordx4 off, v[2:5], off offset:704
	ds_read2_b64 v[2:5], v78 offset0:90 offset1:91
	scratch_load_dwordx2 v[6:7], off, off offset:512
	scratch_load_dwordx2 v[8:9], off, off offset:520
	s_waitcnt vmcnt(0) lgkmcnt(0)
	v_mul_f64 v[10:11], v[4:5], v[8:9]
	v_mul_f64 v[12:13], v[2:3], v[8:9]
	v_fma_f64 v[10:11], v[2:3], v[6:7], -v[10:11]
	v_fmac_f64_e32 v[12:13], v[4:5], v[6:7]
	scratch_load_dwordx4 v[2:5], off, off offset:720
	s_waitcnt vmcnt(0)
	v_add_f64 v[2:3], v[2:3], -v[10:11]
	v_add_f64 v[4:5], v[4:5], -v[12:13]
	scratch_store_dwordx4 off, v[2:5], off offset:720
	ds_read2_b64 v[2:5], v78 offset0:92 offset1:93
	s_waitcnt lgkmcnt(0)
	v_mul_f64 v[10:11], v[4:5], v[8:9]
	v_mul_f64 v[12:13], v[2:3], v[8:9]
	v_fma_f64 v[10:11], v[2:3], v[6:7], -v[10:11]
	v_fmac_f64_e32 v[12:13], v[4:5], v[6:7]
	scratch_load_dwordx4 v[2:5], off, off offset:736
	s_waitcnt vmcnt(0)
	v_add_f64 v[2:3], v[2:3], -v[10:11]
	v_add_f64 v[4:5], v[4:5], -v[12:13]
	scratch_store_dwordx4 off, v[2:5], off offset:736
	ds_read2_b64 v[2:5], v78 offset0:94 offset1:95
	s_waitcnt lgkmcnt(0)
	;; [unrolled: 11-line block ×5, first 2 shown]
	v_mul_f64 v[10:11], v[4:5], v[8:9]
	v_mul_f64 v[8:9], v[2:3], v[8:9]
	v_fma_f64 v[10:11], v[2:3], v[6:7], -v[10:11]
	v_fmac_f64_e32 v[8:9], v[4:5], v[6:7]
	scratch_load_dwordx4 v[2:5], off, off offset:800
	s_waitcnt vmcnt(0)
	v_add_f64 v[2:3], v[2:3], -v[10:11]
	v_add_f64 v[4:5], v[4:5], -v[8:9]
	scratch_store_dwordx4 off, v[2:5], off offset:800
	ds_read2_b64 v[2:5], v78 offset0:102 offset1:103
	scratch_load_dwordx2 v[6:7], off, off offset:512
	scratch_load_dwordx2 v[8:9], off, off offset:520
	s_waitcnt vmcnt(0) lgkmcnt(0)
	v_mul_f64 v[10:11], v[4:5], v[8:9]
	v_mul_f64 v[12:13], v[2:3], v[8:9]
	v_fma_f64 v[10:11], v[2:3], v[6:7], -v[10:11]
	v_fmac_f64_e32 v[12:13], v[4:5], v[6:7]
	scratch_load_dwordx4 v[2:5], off, off offset:816
	s_waitcnt vmcnt(0)
	v_add_f64 v[2:3], v[2:3], -v[10:11]
	v_add_f64 v[4:5], v[4:5], -v[12:13]
	scratch_store_dwordx4 off, v[2:5], off offset:816
	ds_read2_b64 v[2:5], v78 offset0:104 offset1:105
	s_waitcnt lgkmcnt(0)
	v_mul_f64 v[10:11], v[4:5], v[8:9]
	v_mul_f64 v[12:13], v[2:3], v[8:9]
	v_fma_f64 v[10:11], v[2:3], v[6:7], -v[10:11]
	v_fmac_f64_e32 v[12:13], v[4:5], v[6:7]
	scratch_load_dwordx4 v[2:5], off, off offset:832
	s_waitcnt vmcnt(0)
	v_add_f64 v[2:3], v[2:3], -v[10:11]
	v_add_f64 v[4:5], v[4:5], -v[12:13]
	scratch_store_dwordx4 off, v[2:5], off offset:832
	ds_read2_b64 v[2:5], v78 offset0:106 offset1:107
	s_waitcnt lgkmcnt(0)
	;; [unrolled: 11-line block ×5, first 2 shown]
	v_mul_f64 v[10:11], v[4:5], v[8:9]
	v_mul_f64 v[8:9], v[2:3], v[8:9]
	v_fma_f64 v[10:11], v[2:3], v[6:7], -v[10:11]
	v_fmac_f64_e32 v[8:9], v[4:5], v[6:7]
	scratch_load_dwordx4 v[2:5], off, off offset:896
	scratch_load_dwordx2 v[6:7], off, off offset:520
	s_waitcnt vmcnt(1)
	v_add_f64 v[2:3], v[2:3], -v[10:11]
	v_add_f64 v[4:5], v[4:5], -v[8:9]
	scratch_store_dwordx4 off, v[2:5], off offset:896
	ds_read2_b64 v[2:5], v78 offset0:114 offset1:115
	s_waitcnt vmcnt(1) lgkmcnt(0)
	v_mul_f64 v[8:9], v[4:5], v[6:7]
	v_mul_f64 v[10:11], v[2:3], v[6:7]
	v_fma_f64 v[8:9], v[2:3], v[0:1], -v[8:9]
	v_fmac_f64_e32 v[10:11], v[4:5], v[0:1]
	scratch_load_dwordx4 v[2:5], off, off offset:912
	s_waitcnt vmcnt(0)
	v_add_f64 v[2:3], v[2:3], -v[8:9]
	v_add_f64 v[4:5], v[4:5], -v[10:11]
	scratch_store_dwordx4 off, v[2:5], off offset:912
	ds_read2_b64 v[2:5], v78 offset0:116 offset1:117
	s_waitcnt lgkmcnt(0)
	v_mul_f64 v[8:9], v[4:5], v[6:7]
	v_mul_f64 v[10:11], v[2:3], v[6:7]
	v_fma_f64 v[8:9], v[2:3], v[0:1], -v[8:9]
	v_fmac_f64_e32 v[10:11], v[4:5], v[0:1]
	scratch_load_dwordx4 v[2:5], off, off offset:928
	s_waitcnt vmcnt(0)
	v_add_f64 v[2:3], v[2:3], -v[8:9]
	v_add_f64 v[4:5], v[4:5], -v[10:11]
	scratch_store_dwordx4 off, v[2:5], off offset:928
	ds_read2_b64 v[2:5], v78 offset0:118 offset1:119
	s_waitcnt lgkmcnt(0)
	;; [unrolled: 11-line block ×3, first 2 shown]
	v_mul_f64 v[8:9], v[4:5], v[6:7]
	v_mul_f64 v[6:7], v[2:3], v[6:7]
	v_fma_f64 v[8:9], v[2:3], v[0:1], -v[8:9]
	v_fmac_f64_e32 v[6:7], v[4:5], v[0:1]
	scratch_load_dwordx4 v[0:3], off, off offset:960
	s_waitcnt vmcnt(0)
	v_add_f64 v[0:1], v[0:1], -v[8:9]
	v_add_f64 v[2:3], v[2:3], -v[6:7]
	scratch_store_dwordx4 off, v[0:3], off offset:960
.LBB120_794:
	s_or_b64 exec, exec, s[0:1]
	s_barrier
	scratch_load_dwordx4 v[0:3], off, s48
	v_lshl_add_u32 v4, v81, 4, v78
	s_cmp_lt_i32 s51, 35
	s_waitcnt vmcnt(0)
	ds_write2_b64 v4, v[0:1], v[2:3] offset1:1
	s_waitcnt lgkmcnt(0)
	s_barrier
	ds_read2_b64 v[0:3], v78 offset0:66 offset1:67
	v_mov_b32_e32 v4, 33
	s_cbranch_scc1 .LBB120_797
; %bb.795:
	v_add_u32_e32 v5, 0x220, v78
	s_mov_b32 s4, 34
	v_mov_b32_e32 v4, 33
.LBB120_796:                            ; =>This Inner Loop Header: Depth=1
	ds_read2_b64 v[6:9], v5 offset1:1
	s_waitcnt lgkmcnt(1)
	v_xor_b32_e32 v11, 0x80000000, v1
	v_xor_b32_e32 v13, 0x80000000, v3
	v_cmp_gt_f64_e32 vcc, 0, v[2:3]
	v_cmp_gt_f64_e64 s[0:1], 0, v[0:1]
	v_mov_b32_e32 v10, v0
	v_mov_b32_e32 v12, v2
	v_cndmask_b32_e64 v11, v1, v11, s[0:1]
	v_cndmask_b32_e32 v13, v3, v13, vcc
	v_add_f64 v[10:11], v[10:11], v[12:13]
	s_waitcnt lgkmcnt(0)
	v_xor_b32_e32 v13, 0x80000000, v7
	v_xor_b32_e32 v15, 0x80000000, v9
	v_cmp_gt_f64_e32 vcc, 0, v[8:9]
	v_cmp_gt_f64_e64 s[0:1], 0, v[6:7]
	v_mov_b32_e32 v12, v6
	v_mov_b32_e32 v14, v8
	v_cndmask_b32_e64 v13, v7, v13, s[0:1]
	v_cndmask_b32_e32 v15, v9, v15, vcc
	v_add_f64 v[12:13], v[12:13], v[14:15]
	v_mov_b32_e32 v16, s4
	s_add_i32 s4, s4, 1
	v_cmp_lt_f64_e32 vcc, v[10:11], v[12:13]
	v_add_u32_e32 v5, 16, v5
	s_cmp_lg_u32 s51, s4
	v_cndmask_b32_e32 v1, v1, v7, vcc
	v_cndmask_b32_e32 v0, v0, v6, vcc
	;; [unrolled: 1-line block ×5, first 2 shown]
	s_cbranch_scc1 .LBB120_796
.LBB120_797:
	s_waitcnt lgkmcnt(0)
	v_cmp_eq_f64_e32 vcc, 0, v[0:1]
	v_cmp_eq_f64_e64 s[0:1], 0, v[2:3]
	s_and_b64 s[0:1], vcc, s[0:1]
	s_and_saveexec_b64 s[4:5], s[0:1]
	s_xor_b64 s[0:1], exec, s[4:5]
; %bb.798:
	v_cmp_ne_u32_e32 vcc, 0, v79
	s_nop 1
	v_cndmask_b32_e32 v79, 34, v79, vcc
; %bb.799:
	s_andn2_saveexec_b64 s[0:1], s[0:1]
	s_cbranch_execz .LBB120_805
; %bb.800:
	v_cmp_ngt_f64_e64 s[4:5], |v[0:1]|, |v[2:3]|
	s_and_saveexec_b64 s[12:13], s[4:5]
	s_xor_b64 s[12:13], exec, s[12:13]
	s_cbranch_execz .LBB120_802
; %bb.801:
	v_div_scale_f64 v[6:7], s[4:5], v[2:3], v[2:3], v[0:1]
	v_rcp_f64_e32 v[8:9], v[6:7]
	v_div_scale_f64 v[10:11], vcc, v[0:1], v[2:3], v[0:1]
	v_fma_f64 v[12:13], -v[6:7], v[8:9], 1.0
	v_fmac_f64_e32 v[8:9], v[8:9], v[12:13]
	v_fma_f64 v[12:13], -v[6:7], v[8:9], 1.0
	v_fmac_f64_e32 v[8:9], v[8:9], v[12:13]
	v_mul_f64 v[12:13], v[10:11], v[8:9]
	v_fma_f64 v[6:7], -v[6:7], v[12:13], v[10:11]
	v_div_fmas_f64 v[6:7], v[6:7], v[8:9], v[12:13]
	v_div_fixup_f64 v[6:7], v[6:7], v[2:3], v[0:1]
	v_fmac_f64_e32 v[2:3], v[0:1], v[6:7]
	v_div_scale_f64 v[0:1], s[4:5], v[2:3], v[2:3], 1.0
	v_rcp_f64_e32 v[8:9], v[0:1]
	s_nop 0
	v_fma_f64 v[10:11], -v[0:1], v[8:9], 1.0
	v_fmac_f64_e32 v[8:9], v[8:9], v[10:11]
	v_fma_f64 v[10:11], -v[0:1], v[8:9], 1.0
	v_fmac_f64_e32 v[8:9], v[8:9], v[10:11]
	v_div_scale_f64 v[10:11], vcc, 1.0, v[2:3], 1.0
	v_mul_f64 v[12:13], v[10:11], v[8:9]
	v_fma_f64 v[0:1], -v[0:1], v[12:13], v[10:11]
	s_nop 1
	v_div_fmas_f64 v[0:1], v[0:1], v[8:9], v[12:13]
	v_div_fixup_f64 v[2:3], v[0:1], v[2:3], 1.0
	v_mul_f64 v[0:1], v[6:7], v[2:3]
	v_xor_b32_e32 v3, 0x80000000, v3
.LBB120_802:
	s_andn2_saveexec_b64 s[12:13], s[12:13]
	s_cbranch_execz .LBB120_804
; %bb.803:
	v_div_scale_f64 v[6:7], s[4:5], v[0:1], v[0:1], v[2:3]
	v_rcp_f64_e32 v[8:9], v[6:7]
	v_div_scale_f64 v[10:11], vcc, v[2:3], v[0:1], v[2:3]
	v_fma_f64 v[12:13], -v[6:7], v[8:9], 1.0
	v_fmac_f64_e32 v[8:9], v[8:9], v[12:13]
	v_fma_f64 v[12:13], -v[6:7], v[8:9], 1.0
	v_fmac_f64_e32 v[8:9], v[8:9], v[12:13]
	v_mul_f64 v[12:13], v[10:11], v[8:9]
	v_fma_f64 v[6:7], -v[6:7], v[12:13], v[10:11]
	v_div_fmas_f64 v[6:7], v[6:7], v[8:9], v[12:13]
	v_div_fixup_f64 v[6:7], v[6:7], v[0:1], v[2:3]
	v_fmac_f64_e32 v[0:1], v[2:3], v[6:7]
	v_div_scale_f64 v[2:3], s[4:5], v[0:1], v[0:1], 1.0
	v_rcp_f64_e32 v[8:9], v[2:3]
	s_nop 0
	v_fma_f64 v[10:11], -v[2:3], v[8:9], 1.0
	v_fmac_f64_e32 v[8:9], v[8:9], v[10:11]
	v_fma_f64 v[10:11], -v[2:3], v[8:9], 1.0
	v_fmac_f64_e32 v[8:9], v[8:9], v[10:11]
	v_div_scale_f64 v[10:11], vcc, 1.0, v[0:1], 1.0
	v_mul_f64 v[12:13], v[10:11], v[8:9]
	v_fma_f64 v[2:3], -v[2:3], v[12:13], v[10:11]
	s_nop 1
	v_div_fmas_f64 v[2:3], v[2:3], v[8:9], v[12:13]
	v_div_fixup_f64 v[0:1], v[2:3], v[0:1], 1.0
	v_mul_f64 v[2:3], v[6:7], -v[0:1]
.LBB120_804:
	s_or_b64 exec, exec, s[12:13]
.LBB120_805:
	s_or_b64 exec, exec, s[0:1]
	v_cmp_ne_u32_e32 vcc, v81, v4
	s_and_saveexec_b64 s[0:1], vcc
	s_xor_b64 s[0:1], exec, s[0:1]
	s_cbranch_execz .LBB120_811
; %bb.806:
	v_cmp_eq_u32_e32 vcc, 33, v81
	s_and_saveexec_b64 s[12:13], vcc
	s_cbranch_execz .LBB120_810
; %bb.807:
	v_cmp_ne_u32_e32 vcc, 33, v4
	s_xor_b64 s[4:5], s[18:19], -1
	s_and_b64 s[4:5], s[4:5], vcc
	s_and_saveexec_b64 s[14:15], s[4:5]
	s_cbranch_execz .LBB120_809
; %bb.808:
	v_ashrrev_i32_e32 v5, 31, v4
	v_lshl_add_u64 v[6:7], v[4:5], 2, v[46:47]
	global_load_dword v5, v[6:7], off
	global_load_dword v8, v[46:47], off offset:132
	s_waitcnt vmcnt(1)
	global_store_dword v[46:47], v5, off offset:132
	s_waitcnt vmcnt(1)
	global_store_dword v[6:7], v8, off
.LBB120_809:
	s_or_b64 exec, exec, s[14:15]
	v_mov_b32_e32 v81, v4
	v_mov_b32_e32 v80, v4
.LBB120_810:
	s_or_b64 exec, exec, s[12:13]
.LBB120_811:
	s_andn2_saveexec_b64 s[0:1], s[0:1]
	s_cbranch_execz .LBB120_813
; %bb.812:
	scratch_load_dwordx4 v[4:7], off, s47
	scratch_load_dwordx4 v[8:11], off, s46
	;; [unrolled: 1-line block ×27, first 2 shown]
	v_mov_b32_e32 v81, 33
	s_waitcnt vmcnt(26)
	ds_write2_b64 v78, v[4:5], v[6:7] offset0:68 offset1:69
	s_waitcnt vmcnt(25)
	ds_write2_b64 v78, v[8:9], v[10:11] offset0:70 offset1:71
	;; [unrolled: 2-line block ×27, first 2 shown]
.LBB120_813:
	s_or_b64 exec, exec, s[0:1]
	v_cmp_lt_i32_e32 vcc, 33, v81
	s_waitcnt lgkmcnt(0)
	s_barrier
	s_and_saveexec_b64 s[0:1], vcc
	s_cbranch_execz .LBB120_815
; %bb.814:
	scratch_load_dwordx4 v[4:7], off, off offset:528
	s_waitcnt vmcnt(0)
	v_mul_f64 v[8:9], v[2:3], v[6:7]
	v_mul_f64 v[10:11], v[0:1], v[6:7]
	v_fma_f64 v[8:9], v[0:1], v[4:5], -v[8:9]
	v_fmac_f64_e32 v[10:11], v[2:3], v[4:5]
	ds_read2_b64 v[0:3], v78 offset0:68 offset1:69
	scratch_store_dwordx4 off, v[8:11], off offset:528
	s_waitcnt lgkmcnt(0)
	v_mul_f64 v[4:5], v[2:3], v[10:11]
	v_mul_f64 v[6:7], v[0:1], v[10:11]
	v_fma_f64 v[4:5], v[0:1], v[8:9], -v[4:5]
	v_fmac_f64_e32 v[6:7], v[2:3], v[8:9]
	scratch_load_dwordx4 v[0:3], off, off offset:544
	s_waitcnt vmcnt(0)
	v_add_f64 v[0:1], v[0:1], -v[4:5]
	v_add_f64 v[2:3], v[2:3], -v[6:7]
	scratch_store_dwordx4 off, v[0:3], off offset:544
	ds_read2_b64 v[0:3], v78 offset0:70 offset1:71
	s_waitcnt lgkmcnt(0)
	v_mul_f64 v[4:5], v[2:3], v[10:11]
	v_mul_f64 v[6:7], v[0:1], v[10:11]
	v_fma_f64 v[4:5], v[0:1], v[8:9], -v[4:5]
	v_fmac_f64_e32 v[6:7], v[2:3], v[8:9]
	scratch_load_dwordx4 v[0:3], off, off offset:560
	s_waitcnt vmcnt(0)
	v_add_f64 v[0:1], v[0:1], -v[4:5]
	v_add_f64 v[2:3], v[2:3], -v[6:7]
	scratch_store_dwordx4 off, v[0:3], off offset:560
	ds_read2_b64 v[0:3], v78 offset0:72 offset1:73
	;; [unrolled: 11-line block ×6, first 2 shown]
	scratch_load_dwordx2 v[8:9], off, off offset:528
	scratch_load_dwordx4 v[0:3], off, off offset:528
	s_waitcnt vmcnt(0) lgkmcnt(0)
	v_mul_f64 v[10:11], v[6:7], v[2:3]
	v_mul_f64 v[12:13], v[4:5], v[2:3]
	v_fma_f64 v[10:11], v[4:5], v[8:9], -v[10:11]
	v_fmac_f64_e32 v[12:13], v[6:7], v[8:9]
	scratch_load_dwordx4 v[4:7], off, off offset:640
	s_waitcnt vmcnt(0)
	v_add_f64 v[4:5], v[4:5], -v[10:11]
	v_add_f64 v[6:7], v[6:7], -v[12:13]
	scratch_store_dwordx4 off, v[4:7], off offset:640
	ds_read2_b64 v[4:7], v78 offset0:82 offset1:83
	s_waitcnt lgkmcnt(0)
	v_mul_f64 v[10:11], v[6:7], v[2:3]
	v_mul_f64 v[12:13], v[4:5], v[2:3]
	v_fma_f64 v[10:11], v[4:5], v[8:9], -v[10:11]
	v_fmac_f64_e32 v[12:13], v[6:7], v[8:9]
	scratch_load_dwordx4 v[4:7], off, off offset:656
	s_waitcnt vmcnt(0)
	v_add_f64 v[4:5], v[4:5], -v[10:11]
	v_add_f64 v[6:7], v[6:7], -v[12:13]
	scratch_store_dwordx4 off, v[4:7], off offset:656
	ds_read2_b64 v[4:7], v78 offset0:84 offset1:85
	s_waitcnt lgkmcnt(0)
	v_mul_f64 v[10:11], v[6:7], v[2:3]
	v_mul_f64 v[12:13], v[4:5], v[2:3]
	v_fma_f64 v[10:11], v[4:5], v[8:9], -v[10:11]
	v_fmac_f64_e32 v[12:13], v[6:7], v[8:9]
	scratch_load_dwordx4 v[4:7], off, off offset:672
	s_waitcnt vmcnt(0)
	v_add_f64 v[4:5], v[4:5], -v[10:11]
	v_add_f64 v[6:7], v[6:7], -v[12:13]
	scratch_store_dwordx4 off, v[4:7], off offset:672
	ds_read2_b64 v[4:7], v78 offset0:86 offset1:87
	s_waitcnt lgkmcnt(0)
	v_mul_f64 v[10:11], v[6:7], v[2:3]
	v_mul_f64 v[12:13], v[4:5], v[2:3]
	v_fma_f64 v[10:11], v[4:5], v[8:9], -v[10:11]
	v_fmac_f64_e32 v[12:13], v[6:7], v[8:9]
	scratch_load_dwordx4 v[4:7], off, off offset:688
	s_waitcnt vmcnt(0)
	v_add_f64 v[4:5], v[4:5], -v[10:11]
	v_add_f64 v[6:7], v[6:7], -v[12:13]
	scratch_store_dwordx4 off, v[4:7], off offset:688
	ds_read2_b64 v[4:7], v78 offset0:88 offset1:89
	s_waitcnt lgkmcnt(0)
	v_mul_f64 v[10:11], v[6:7], v[2:3]
	v_mul_f64 v[12:13], v[4:5], v[2:3]
	v_fma_f64 v[10:11], v[4:5], v[8:9], -v[10:11]
	v_fmac_f64_e32 v[12:13], v[6:7], v[8:9]
	scratch_load_dwordx4 v[4:7], off, off offset:704
	s_waitcnt vmcnt(0)
	v_add_f64 v[4:5], v[4:5], -v[10:11]
	v_add_f64 v[6:7], v[6:7], -v[12:13]
	scratch_store_dwordx4 off, v[4:7], off offset:704
	ds_read2_b64 v[4:7], v78 offset0:90 offset1:91
	s_waitcnt lgkmcnt(0)
	v_mul_f64 v[10:11], v[6:7], v[2:3]
	v_fma_f64 v[10:11], v[4:5], v[8:9], -v[10:11]
	v_mul_f64 v[12:13], v[4:5], v[2:3]
	scratch_load_dwordx4 v[2:5], off, off offset:720
	v_fmac_f64_e32 v[12:13], v[6:7], v[8:9]
	s_waitcnt vmcnt(0)
	v_add_f64 v[2:3], v[2:3], -v[10:11]
	v_add_f64 v[4:5], v[4:5], -v[12:13]
	scratch_store_dwordx4 off, v[2:5], off offset:720
	ds_read2_b64 v[2:5], v78 offset0:92 offset1:93
	scratch_load_dwordx2 v[6:7], off, off offset:528
	scratch_load_dwordx2 v[8:9], off, off offset:536
	s_waitcnt vmcnt(0) lgkmcnt(0)
	v_mul_f64 v[10:11], v[4:5], v[8:9]
	v_mul_f64 v[12:13], v[2:3], v[8:9]
	v_fma_f64 v[10:11], v[2:3], v[6:7], -v[10:11]
	v_fmac_f64_e32 v[12:13], v[4:5], v[6:7]
	scratch_load_dwordx4 v[2:5], off, off offset:736
	s_waitcnt vmcnt(0)
	v_add_f64 v[2:3], v[2:3], -v[10:11]
	v_add_f64 v[4:5], v[4:5], -v[12:13]
	scratch_store_dwordx4 off, v[2:5], off offset:736
	ds_read2_b64 v[2:5], v78 offset0:94 offset1:95
	s_waitcnt lgkmcnt(0)
	v_mul_f64 v[10:11], v[4:5], v[8:9]
	v_mul_f64 v[12:13], v[2:3], v[8:9]
	v_fma_f64 v[10:11], v[2:3], v[6:7], -v[10:11]
	v_fmac_f64_e32 v[12:13], v[4:5], v[6:7]
	scratch_load_dwordx4 v[2:5], off, off offset:752
	s_waitcnt vmcnt(0)
	v_add_f64 v[2:3], v[2:3], -v[10:11]
	v_add_f64 v[4:5], v[4:5], -v[12:13]
	scratch_store_dwordx4 off, v[2:5], off offset:752
	ds_read2_b64 v[2:5], v78 offset0:96 offset1:97
	s_waitcnt lgkmcnt(0)
	;; [unrolled: 11-line block ×5, first 2 shown]
	v_mul_f64 v[10:11], v[4:5], v[8:9]
	v_mul_f64 v[8:9], v[2:3], v[8:9]
	v_fma_f64 v[10:11], v[2:3], v[6:7], -v[10:11]
	v_fmac_f64_e32 v[8:9], v[4:5], v[6:7]
	scratch_load_dwordx4 v[2:5], off, off offset:816
	s_waitcnt vmcnt(0)
	v_add_f64 v[2:3], v[2:3], -v[10:11]
	v_add_f64 v[4:5], v[4:5], -v[8:9]
	scratch_store_dwordx4 off, v[2:5], off offset:816
	ds_read2_b64 v[2:5], v78 offset0:104 offset1:105
	scratch_load_dwordx2 v[6:7], off, off offset:528
	scratch_load_dwordx2 v[8:9], off, off offset:536
	s_waitcnt vmcnt(0) lgkmcnt(0)
	v_mul_f64 v[10:11], v[4:5], v[8:9]
	v_mul_f64 v[12:13], v[2:3], v[8:9]
	v_fma_f64 v[10:11], v[2:3], v[6:7], -v[10:11]
	v_fmac_f64_e32 v[12:13], v[4:5], v[6:7]
	scratch_load_dwordx4 v[2:5], off, off offset:832
	s_waitcnt vmcnt(0)
	v_add_f64 v[2:3], v[2:3], -v[10:11]
	v_add_f64 v[4:5], v[4:5], -v[12:13]
	scratch_store_dwordx4 off, v[2:5], off offset:832
	ds_read2_b64 v[2:5], v78 offset0:106 offset1:107
	s_waitcnt lgkmcnt(0)
	v_mul_f64 v[10:11], v[4:5], v[8:9]
	v_mul_f64 v[12:13], v[2:3], v[8:9]
	v_fma_f64 v[10:11], v[2:3], v[6:7], -v[10:11]
	v_fmac_f64_e32 v[12:13], v[4:5], v[6:7]
	scratch_load_dwordx4 v[2:5], off, off offset:848
	s_waitcnt vmcnt(0)
	v_add_f64 v[2:3], v[2:3], -v[10:11]
	v_add_f64 v[4:5], v[4:5], -v[12:13]
	scratch_store_dwordx4 off, v[2:5], off offset:848
	ds_read2_b64 v[2:5], v78 offset0:108 offset1:109
	s_waitcnt lgkmcnt(0)
	;; [unrolled: 11-line block ×5, first 2 shown]
	v_mul_f64 v[10:11], v[4:5], v[8:9]
	v_mul_f64 v[8:9], v[2:3], v[8:9]
	v_fma_f64 v[10:11], v[2:3], v[6:7], -v[10:11]
	v_fmac_f64_e32 v[8:9], v[4:5], v[6:7]
	scratch_load_dwordx4 v[2:5], off, off offset:912
	s_waitcnt vmcnt(0)
	v_add_f64 v[4:5], v[4:5], -v[8:9]
	scratch_load_dwordx2 v[8:9], off, off offset:536
	v_add_f64 v[2:3], v[2:3], -v[10:11]
	scratch_store_dwordx4 off, v[2:5], off offset:912
	ds_read2_b64 v[2:5], v78 offset0:116 offset1:117
	s_waitcnt vmcnt(1) lgkmcnt(0)
	v_mul_f64 v[6:7], v[4:5], v[8:9]
	v_mul_f64 v[10:11], v[2:3], v[8:9]
	v_fma_f64 v[6:7], v[2:3], v[0:1], -v[6:7]
	v_fmac_f64_e32 v[10:11], v[4:5], v[0:1]
	scratch_load_dwordx4 v[2:5], off, off offset:928
	s_waitcnt vmcnt(0)
	v_add_f64 v[2:3], v[2:3], -v[6:7]
	v_add_f64 v[4:5], v[4:5], -v[10:11]
	scratch_store_dwordx4 off, v[2:5], off offset:928
	ds_read2_b64 v[2:5], v78 offset0:118 offset1:119
	s_waitcnt lgkmcnt(0)
	v_mul_f64 v[6:7], v[4:5], v[8:9]
	v_mul_f64 v[10:11], v[2:3], v[8:9]
	v_fma_f64 v[6:7], v[2:3], v[0:1], -v[6:7]
	v_fmac_f64_e32 v[10:11], v[4:5], v[0:1]
	scratch_load_dwordx4 v[2:5], off, off offset:944
	s_waitcnt vmcnt(0)
	v_add_f64 v[2:3], v[2:3], -v[6:7]
	v_add_f64 v[4:5], v[4:5], -v[10:11]
	scratch_store_dwordx4 off, v[2:5], off offset:944
	ds_read2_b64 v[4:7], v78 offset0:120 offset1:121
	s_waitcnt lgkmcnt(0)
	v_mul_f64 v[2:3], v[6:7], v[8:9]
	v_fma_f64 v[2:3], v[4:5], v[0:1], -v[2:3]
	v_mul_f64 v[4:5], v[4:5], v[8:9]
	v_fmac_f64_e32 v[4:5], v[6:7], v[0:1]
	scratch_load_dwordx4 v[6:9], off, off offset:960
	s_waitcnt vmcnt(0)
	v_add_f64 v[0:1], v[6:7], -v[2:3]
	v_add_f64 v[2:3], v[8:9], -v[4:5]
	scratch_store_dwordx4 off, v[0:3], off offset:960
.LBB120_815:
	s_or_b64 exec, exec, s[0:1]
	s_barrier
	scratch_load_dwordx4 v[0:3], off, s47
	v_lshl_add_u32 v4, v81, 4, v78
	s_cmp_lt_i32 s51, 36
	s_waitcnt vmcnt(0)
	ds_write2_b64 v4, v[0:1], v[2:3] offset1:1
	s_waitcnt lgkmcnt(0)
	s_barrier
	ds_read2_b64 v[0:3], v78 offset0:68 offset1:69
	v_mov_b32_e32 v4, 34
	s_cbranch_scc1 .LBB120_818
; %bb.816:
	v_add_u32_e32 v5, 0x230, v78
	s_mov_b32 s4, 35
	v_mov_b32_e32 v4, 34
.LBB120_817:                            ; =>This Inner Loop Header: Depth=1
	ds_read2_b64 v[6:9], v5 offset1:1
	s_waitcnt lgkmcnt(1)
	v_xor_b32_e32 v11, 0x80000000, v1
	v_xor_b32_e32 v13, 0x80000000, v3
	v_cmp_gt_f64_e32 vcc, 0, v[2:3]
	v_cmp_gt_f64_e64 s[0:1], 0, v[0:1]
	v_mov_b32_e32 v10, v0
	v_mov_b32_e32 v12, v2
	v_cndmask_b32_e64 v11, v1, v11, s[0:1]
	v_cndmask_b32_e32 v13, v3, v13, vcc
	v_add_f64 v[10:11], v[10:11], v[12:13]
	s_waitcnt lgkmcnt(0)
	v_xor_b32_e32 v13, 0x80000000, v7
	v_xor_b32_e32 v15, 0x80000000, v9
	v_cmp_gt_f64_e32 vcc, 0, v[8:9]
	v_cmp_gt_f64_e64 s[0:1], 0, v[6:7]
	v_mov_b32_e32 v12, v6
	v_mov_b32_e32 v14, v8
	v_cndmask_b32_e64 v13, v7, v13, s[0:1]
	v_cndmask_b32_e32 v15, v9, v15, vcc
	v_add_f64 v[12:13], v[12:13], v[14:15]
	v_mov_b32_e32 v16, s4
	s_add_i32 s4, s4, 1
	v_cmp_lt_f64_e32 vcc, v[10:11], v[12:13]
	v_add_u32_e32 v5, 16, v5
	s_cmp_lg_u32 s51, s4
	v_cndmask_b32_e32 v1, v1, v7, vcc
	v_cndmask_b32_e32 v0, v0, v6, vcc
	;; [unrolled: 1-line block ×5, first 2 shown]
	s_cbranch_scc1 .LBB120_817
.LBB120_818:
	s_waitcnt lgkmcnt(0)
	v_cmp_eq_f64_e32 vcc, 0, v[0:1]
	v_cmp_eq_f64_e64 s[0:1], 0, v[2:3]
	s_and_b64 s[0:1], vcc, s[0:1]
	s_and_saveexec_b64 s[4:5], s[0:1]
	s_xor_b64 s[0:1], exec, s[4:5]
; %bb.819:
	v_cmp_ne_u32_e32 vcc, 0, v79
	s_nop 1
	v_cndmask_b32_e32 v79, 35, v79, vcc
; %bb.820:
	s_andn2_saveexec_b64 s[0:1], s[0:1]
	s_cbranch_execz .LBB120_826
; %bb.821:
	v_cmp_ngt_f64_e64 s[4:5], |v[0:1]|, |v[2:3]|
	s_and_saveexec_b64 s[12:13], s[4:5]
	s_xor_b64 s[12:13], exec, s[12:13]
	s_cbranch_execz .LBB120_823
; %bb.822:
	v_div_scale_f64 v[6:7], s[4:5], v[2:3], v[2:3], v[0:1]
	v_rcp_f64_e32 v[8:9], v[6:7]
	v_div_scale_f64 v[10:11], vcc, v[0:1], v[2:3], v[0:1]
	v_fma_f64 v[12:13], -v[6:7], v[8:9], 1.0
	v_fmac_f64_e32 v[8:9], v[8:9], v[12:13]
	v_fma_f64 v[12:13], -v[6:7], v[8:9], 1.0
	v_fmac_f64_e32 v[8:9], v[8:9], v[12:13]
	v_mul_f64 v[12:13], v[10:11], v[8:9]
	v_fma_f64 v[6:7], -v[6:7], v[12:13], v[10:11]
	v_div_fmas_f64 v[6:7], v[6:7], v[8:9], v[12:13]
	v_div_fixup_f64 v[6:7], v[6:7], v[2:3], v[0:1]
	v_fmac_f64_e32 v[2:3], v[0:1], v[6:7]
	v_div_scale_f64 v[0:1], s[4:5], v[2:3], v[2:3], 1.0
	v_rcp_f64_e32 v[8:9], v[0:1]
	s_nop 0
	v_fma_f64 v[10:11], -v[0:1], v[8:9], 1.0
	v_fmac_f64_e32 v[8:9], v[8:9], v[10:11]
	v_fma_f64 v[10:11], -v[0:1], v[8:9], 1.0
	v_fmac_f64_e32 v[8:9], v[8:9], v[10:11]
	v_div_scale_f64 v[10:11], vcc, 1.0, v[2:3], 1.0
	v_mul_f64 v[12:13], v[10:11], v[8:9]
	v_fma_f64 v[0:1], -v[0:1], v[12:13], v[10:11]
	s_nop 1
	v_div_fmas_f64 v[0:1], v[0:1], v[8:9], v[12:13]
	v_div_fixup_f64 v[2:3], v[0:1], v[2:3], 1.0
	v_mul_f64 v[0:1], v[6:7], v[2:3]
	v_xor_b32_e32 v3, 0x80000000, v3
.LBB120_823:
	s_andn2_saveexec_b64 s[12:13], s[12:13]
	s_cbranch_execz .LBB120_825
; %bb.824:
	v_div_scale_f64 v[6:7], s[4:5], v[0:1], v[0:1], v[2:3]
	v_rcp_f64_e32 v[8:9], v[6:7]
	v_div_scale_f64 v[10:11], vcc, v[2:3], v[0:1], v[2:3]
	v_fma_f64 v[12:13], -v[6:7], v[8:9], 1.0
	v_fmac_f64_e32 v[8:9], v[8:9], v[12:13]
	v_fma_f64 v[12:13], -v[6:7], v[8:9], 1.0
	v_fmac_f64_e32 v[8:9], v[8:9], v[12:13]
	v_mul_f64 v[12:13], v[10:11], v[8:9]
	v_fma_f64 v[6:7], -v[6:7], v[12:13], v[10:11]
	v_div_fmas_f64 v[6:7], v[6:7], v[8:9], v[12:13]
	v_div_fixup_f64 v[6:7], v[6:7], v[0:1], v[2:3]
	v_fmac_f64_e32 v[0:1], v[2:3], v[6:7]
	v_div_scale_f64 v[2:3], s[4:5], v[0:1], v[0:1], 1.0
	v_rcp_f64_e32 v[8:9], v[2:3]
	s_nop 0
	v_fma_f64 v[10:11], -v[2:3], v[8:9], 1.0
	v_fmac_f64_e32 v[8:9], v[8:9], v[10:11]
	v_fma_f64 v[10:11], -v[2:3], v[8:9], 1.0
	v_fmac_f64_e32 v[8:9], v[8:9], v[10:11]
	v_div_scale_f64 v[10:11], vcc, 1.0, v[0:1], 1.0
	v_mul_f64 v[12:13], v[10:11], v[8:9]
	v_fma_f64 v[2:3], -v[2:3], v[12:13], v[10:11]
	s_nop 1
	v_div_fmas_f64 v[2:3], v[2:3], v[8:9], v[12:13]
	v_div_fixup_f64 v[0:1], v[2:3], v[0:1], 1.0
	v_mul_f64 v[2:3], v[6:7], -v[0:1]
.LBB120_825:
	s_or_b64 exec, exec, s[12:13]
.LBB120_826:
	s_or_b64 exec, exec, s[0:1]
	v_cmp_ne_u32_e32 vcc, v81, v4
	s_and_saveexec_b64 s[0:1], vcc
	s_xor_b64 s[0:1], exec, s[0:1]
	s_cbranch_execz .LBB120_832
; %bb.827:
	v_cmp_eq_u32_e32 vcc, 34, v81
	s_and_saveexec_b64 s[12:13], vcc
	s_cbranch_execz .LBB120_831
; %bb.828:
	v_cmp_ne_u32_e32 vcc, 34, v4
	s_xor_b64 s[4:5], s[18:19], -1
	s_and_b64 s[4:5], s[4:5], vcc
	s_and_saveexec_b64 s[14:15], s[4:5]
	s_cbranch_execz .LBB120_830
; %bb.829:
	v_ashrrev_i32_e32 v5, 31, v4
	v_lshl_add_u64 v[6:7], v[4:5], 2, v[46:47]
	global_load_dword v5, v[6:7], off
	global_load_dword v8, v[46:47], off offset:136
	s_waitcnt vmcnt(1)
	global_store_dword v[46:47], v5, off offset:136
	s_waitcnt vmcnt(1)
	global_store_dword v[6:7], v8, off
.LBB120_830:
	s_or_b64 exec, exec, s[14:15]
	v_mov_b32_e32 v81, v4
	v_mov_b32_e32 v80, v4
.LBB120_831:
	s_or_b64 exec, exec, s[12:13]
.LBB120_832:
	s_andn2_saveexec_b64 s[0:1], s[0:1]
	s_cbranch_execz .LBB120_834
; %bb.833:
	scratch_load_dwordx4 v[4:7], off, s46
	scratch_load_dwordx4 v[8:11], off, s45
	;; [unrolled: 1-line block ×26, first 2 shown]
	v_mov_b32_e32 v81, 34
	s_waitcnt vmcnt(25)
	ds_write2_b64 v78, v[4:5], v[6:7] offset0:70 offset1:71
	s_waitcnt vmcnt(24)
	ds_write2_b64 v78, v[8:9], v[10:11] offset0:72 offset1:73
	;; [unrolled: 2-line block ×26, first 2 shown]
.LBB120_834:
	s_or_b64 exec, exec, s[0:1]
	v_cmp_lt_i32_e32 vcc, 34, v81
	s_waitcnt lgkmcnt(0)
	s_barrier
	s_and_saveexec_b64 s[0:1], vcc
	s_cbranch_execz .LBB120_836
; %bb.835:
	scratch_load_dwordx4 v[4:7], off, off offset:544
	s_waitcnt vmcnt(0)
	v_mul_f64 v[8:9], v[2:3], v[6:7]
	v_mul_f64 v[10:11], v[0:1], v[6:7]
	v_fma_f64 v[8:9], v[0:1], v[4:5], -v[8:9]
	v_fmac_f64_e32 v[10:11], v[2:3], v[4:5]
	ds_read2_b64 v[0:3], v78 offset0:70 offset1:71
	scratch_store_dwordx4 off, v[8:11], off offset:544
	s_waitcnt lgkmcnt(0)
	v_mul_f64 v[4:5], v[2:3], v[10:11]
	v_mul_f64 v[6:7], v[0:1], v[10:11]
	v_fma_f64 v[4:5], v[0:1], v[8:9], -v[4:5]
	v_fmac_f64_e32 v[6:7], v[2:3], v[8:9]
	scratch_load_dwordx4 v[0:3], off, off offset:560
	s_waitcnt vmcnt(0)
	v_add_f64 v[0:1], v[0:1], -v[4:5]
	v_add_f64 v[2:3], v[2:3], -v[6:7]
	scratch_store_dwordx4 off, v[0:3], off offset:560
	ds_read2_b64 v[0:3], v78 offset0:72 offset1:73
	s_waitcnt lgkmcnt(0)
	v_mul_f64 v[4:5], v[2:3], v[10:11]
	v_mul_f64 v[6:7], v[0:1], v[10:11]
	v_fma_f64 v[4:5], v[0:1], v[8:9], -v[4:5]
	v_fmac_f64_e32 v[6:7], v[2:3], v[8:9]
	scratch_load_dwordx4 v[0:3], off, off offset:576
	s_waitcnt vmcnt(0)
	v_add_f64 v[0:1], v[0:1], -v[4:5]
	v_add_f64 v[2:3], v[2:3], -v[6:7]
	scratch_store_dwordx4 off, v[0:3], off offset:576
	ds_read2_b64 v[0:3], v78 offset0:74 offset1:75
	;; [unrolled: 11-line block ×6, first 2 shown]
	scratch_load_dwordx2 v[8:9], off, off offset:544
	scratch_load_dwordx4 v[0:3], off, off offset:544
	s_waitcnt vmcnt(0) lgkmcnt(0)
	v_mul_f64 v[10:11], v[6:7], v[2:3]
	v_mul_f64 v[12:13], v[4:5], v[2:3]
	v_fma_f64 v[10:11], v[4:5], v[8:9], -v[10:11]
	v_fmac_f64_e32 v[12:13], v[6:7], v[8:9]
	scratch_load_dwordx4 v[4:7], off, off offset:656
	s_waitcnt vmcnt(0)
	v_add_f64 v[4:5], v[4:5], -v[10:11]
	v_add_f64 v[6:7], v[6:7], -v[12:13]
	scratch_store_dwordx4 off, v[4:7], off offset:656
	ds_read2_b64 v[4:7], v78 offset0:84 offset1:85
	s_waitcnt lgkmcnt(0)
	v_mul_f64 v[10:11], v[6:7], v[2:3]
	v_mul_f64 v[12:13], v[4:5], v[2:3]
	v_fma_f64 v[10:11], v[4:5], v[8:9], -v[10:11]
	v_fmac_f64_e32 v[12:13], v[6:7], v[8:9]
	scratch_load_dwordx4 v[4:7], off, off offset:672
	s_waitcnt vmcnt(0)
	v_add_f64 v[4:5], v[4:5], -v[10:11]
	v_add_f64 v[6:7], v[6:7], -v[12:13]
	scratch_store_dwordx4 off, v[4:7], off offset:672
	ds_read2_b64 v[4:7], v78 offset0:86 offset1:87
	s_waitcnt lgkmcnt(0)
	;; [unrolled: 11-line block ×5, first 2 shown]
	v_mul_f64 v[10:11], v[6:7], v[2:3]
	v_fma_f64 v[10:11], v[4:5], v[8:9], -v[10:11]
	v_mul_f64 v[12:13], v[4:5], v[2:3]
	scratch_load_dwordx4 v[2:5], off, off offset:736
	v_fmac_f64_e32 v[12:13], v[6:7], v[8:9]
	s_waitcnt vmcnt(0)
	v_add_f64 v[2:3], v[2:3], -v[10:11]
	v_add_f64 v[4:5], v[4:5], -v[12:13]
	scratch_store_dwordx4 off, v[2:5], off offset:736
	ds_read2_b64 v[2:5], v78 offset0:94 offset1:95
	scratch_load_dwordx2 v[6:7], off, off offset:544
	scratch_load_dwordx2 v[8:9], off, off offset:552
	s_waitcnt vmcnt(0) lgkmcnt(0)
	v_mul_f64 v[10:11], v[4:5], v[8:9]
	v_mul_f64 v[12:13], v[2:3], v[8:9]
	v_fma_f64 v[10:11], v[2:3], v[6:7], -v[10:11]
	v_fmac_f64_e32 v[12:13], v[4:5], v[6:7]
	scratch_load_dwordx4 v[2:5], off, off offset:752
	s_waitcnt vmcnt(0)
	v_add_f64 v[2:3], v[2:3], -v[10:11]
	v_add_f64 v[4:5], v[4:5], -v[12:13]
	scratch_store_dwordx4 off, v[2:5], off offset:752
	ds_read2_b64 v[2:5], v78 offset0:96 offset1:97
	s_waitcnt lgkmcnt(0)
	v_mul_f64 v[10:11], v[4:5], v[8:9]
	v_mul_f64 v[12:13], v[2:3], v[8:9]
	v_fma_f64 v[10:11], v[2:3], v[6:7], -v[10:11]
	v_fmac_f64_e32 v[12:13], v[4:5], v[6:7]
	scratch_load_dwordx4 v[2:5], off, off offset:768
	s_waitcnt vmcnt(0)
	v_add_f64 v[2:3], v[2:3], -v[10:11]
	v_add_f64 v[4:5], v[4:5], -v[12:13]
	scratch_store_dwordx4 off, v[2:5], off offset:768
	ds_read2_b64 v[2:5], v78 offset0:98 offset1:99
	s_waitcnt lgkmcnt(0)
	;; [unrolled: 11-line block ×5, first 2 shown]
	v_mul_f64 v[10:11], v[4:5], v[8:9]
	v_mul_f64 v[8:9], v[2:3], v[8:9]
	v_fma_f64 v[10:11], v[2:3], v[6:7], -v[10:11]
	v_fmac_f64_e32 v[8:9], v[4:5], v[6:7]
	scratch_load_dwordx4 v[2:5], off, off offset:832
	s_waitcnt vmcnt(0)
	v_add_f64 v[2:3], v[2:3], -v[10:11]
	v_add_f64 v[4:5], v[4:5], -v[8:9]
	scratch_store_dwordx4 off, v[2:5], off offset:832
	ds_read2_b64 v[2:5], v78 offset0:106 offset1:107
	scratch_load_dwordx2 v[6:7], off, off offset:544
	scratch_load_dwordx2 v[8:9], off, off offset:552
	s_waitcnt vmcnt(0) lgkmcnt(0)
	v_mul_f64 v[10:11], v[4:5], v[8:9]
	v_mul_f64 v[12:13], v[2:3], v[8:9]
	v_fma_f64 v[10:11], v[2:3], v[6:7], -v[10:11]
	v_fmac_f64_e32 v[12:13], v[4:5], v[6:7]
	scratch_load_dwordx4 v[2:5], off, off offset:848
	s_waitcnt vmcnt(0)
	v_add_f64 v[2:3], v[2:3], -v[10:11]
	v_add_f64 v[4:5], v[4:5], -v[12:13]
	scratch_store_dwordx4 off, v[2:5], off offset:848
	ds_read2_b64 v[2:5], v78 offset0:108 offset1:109
	s_waitcnt lgkmcnt(0)
	v_mul_f64 v[10:11], v[4:5], v[8:9]
	v_mul_f64 v[12:13], v[2:3], v[8:9]
	v_fma_f64 v[10:11], v[2:3], v[6:7], -v[10:11]
	v_fmac_f64_e32 v[12:13], v[4:5], v[6:7]
	scratch_load_dwordx4 v[2:5], off, off offset:864
	s_waitcnt vmcnt(0)
	v_add_f64 v[2:3], v[2:3], -v[10:11]
	v_add_f64 v[4:5], v[4:5], -v[12:13]
	scratch_store_dwordx4 off, v[2:5], off offset:864
	ds_read2_b64 v[2:5], v78 offset0:110 offset1:111
	s_waitcnt lgkmcnt(0)
	;; [unrolled: 11-line block ×5, first 2 shown]
	v_mul_f64 v[10:11], v[4:5], v[8:9]
	v_mul_f64 v[8:9], v[2:3], v[8:9]
	v_fma_f64 v[10:11], v[2:3], v[6:7], -v[10:11]
	v_fmac_f64_e32 v[8:9], v[4:5], v[6:7]
	scratch_load_dwordx4 v[2:5], off, off offset:928
	s_waitcnt vmcnt(0)
	v_add_f64 v[4:5], v[4:5], -v[8:9]
	scratch_load_dwordx2 v[8:9], off, off offset:552
	v_add_f64 v[2:3], v[2:3], -v[10:11]
	scratch_store_dwordx4 off, v[2:5], off offset:928
	ds_read2_b64 v[2:5], v78 offset0:118 offset1:119
	s_waitcnt vmcnt(1) lgkmcnt(0)
	v_mul_f64 v[6:7], v[4:5], v[8:9]
	v_mul_f64 v[10:11], v[2:3], v[8:9]
	v_fma_f64 v[6:7], v[2:3], v[0:1], -v[6:7]
	v_fmac_f64_e32 v[10:11], v[4:5], v[0:1]
	scratch_load_dwordx4 v[2:5], off, off offset:944
	s_waitcnt vmcnt(0)
	v_add_f64 v[2:3], v[2:3], -v[6:7]
	v_add_f64 v[4:5], v[4:5], -v[10:11]
	scratch_store_dwordx4 off, v[2:5], off offset:944
	ds_read2_b64 v[4:7], v78 offset0:120 offset1:121
	s_waitcnt lgkmcnt(0)
	v_mul_f64 v[2:3], v[6:7], v[8:9]
	v_fma_f64 v[2:3], v[4:5], v[0:1], -v[2:3]
	v_mul_f64 v[4:5], v[4:5], v[8:9]
	v_fmac_f64_e32 v[4:5], v[6:7], v[0:1]
	scratch_load_dwordx4 v[6:9], off, off offset:960
	s_waitcnt vmcnt(0)
	v_add_f64 v[0:1], v[6:7], -v[2:3]
	v_add_f64 v[2:3], v[8:9], -v[4:5]
	scratch_store_dwordx4 off, v[0:3], off offset:960
.LBB120_836:
	s_or_b64 exec, exec, s[0:1]
	s_barrier
	scratch_load_dwordx4 v[0:3], off, s46
	v_lshl_add_u32 v4, v81, 4, v78
	s_cmp_lt_i32 s51, 37
	s_waitcnt vmcnt(0)
	ds_write2_b64 v4, v[0:1], v[2:3] offset1:1
	s_waitcnt lgkmcnt(0)
	s_barrier
	ds_read2_b64 v[0:3], v78 offset0:70 offset1:71
	v_mov_b32_e32 v4, 35
	s_cbranch_scc1 .LBB120_839
; %bb.837:
	v_add_u32_e32 v5, 0x240, v78
	s_mov_b32 s4, 36
	v_mov_b32_e32 v4, 35
.LBB120_838:                            ; =>This Inner Loop Header: Depth=1
	ds_read2_b64 v[6:9], v5 offset1:1
	s_waitcnt lgkmcnt(1)
	v_xor_b32_e32 v11, 0x80000000, v1
	v_xor_b32_e32 v13, 0x80000000, v3
	v_cmp_gt_f64_e32 vcc, 0, v[2:3]
	v_cmp_gt_f64_e64 s[0:1], 0, v[0:1]
	v_mov_b32_e32 v10, v0
	v_mov_b32_e32 v12, v2
	v_cndmask_b32_e64 v11, v1, v11, s[0:1]
	v_cndmask_b32_e32 v13, v3, v13, vcc
	v_add_f64 v[10:11], v[10:11], v[12:13]
	s_waitcnt lgkmcnt(0)
	v_xor_b32_e32 v13, 0x80000000, v7
	v_xor_b32_e32 v15, 0x80000000, v9
	v_cmp_gt_f64_e32 vcc, 0, v[8:9]
	v_cmp_gt_f64_e64 s[0:1], 0, v[6:7]
	v_mov_b32_e32 v12, v6
	v_mov_b32_e32 v14, v8
	v_cndmask_b32_e64 v13, v7, v13, s[0:1]
	v_cndmask_b32_e32 v15, v9, v15, vcc
	v_add_f64 v[12:13], v[12:13], v[14:15]
	v_mov_b32_e32 v16, s4
	s_add_i32 s4, s4, 1
	v_cmp_lt_f64_e32 vcc, v[10:11], v[12:13]
	v_add_u32_e32 v5, 16, v5
	s_cmp_lg_u32 s51, s4
	v_cndmask_b32_e32 v1, v1, v7, vcc
	v_cndmask_b32_e32 v0, v0, v6, vcc
	;; [unrolled: 1-line block ×5, first 2 shown]
	s_cbranch_scc1 .LBB120_838
.LBB120_839:
	s_waitcnt lgkmcnt(0)
	v_cmp_eq_f64_e32 vcc, 0, v[0:1]
	v_cmp_eq_f64_e64 s[0:1], 0, v[2:3]
	s_and_b64 s[0:1], vcc, s[0:1]
	s_and_saveexec_b64 s[4:5], s[0:1]
	s_xor_b64 s[0:1], exec, s[4:5]
; %bb.840:
	v_cmp_ne_u32_e32 vcc, 0, v79
	s_nop 1
	v_cndmask_b32_e32 v79, 36, v79, vcc
; %bb.841:
	s_andn2_saveexec_b64 s[0:1], s[0:1]
	s_cbranch_execz .LBB120_847
; %bb.842:
	v_cmp_ngt_f64_e64 s[4:5], |v[0:1]|, |v[2:3]|
	s_and_saveexec_b64 s[12:13], s[4:5]
	s_xor_b64 s[12:13], exec, s[12:13]
	s_cbranch_execz .LBB120_844
; %bb.843:
	v_div_scale_f64 v[6:7], s[4:5], v[2:3], v[2:3], v[0:1]
	v_rcp_f64_e32 v[8:9], v[6:7]
	v_div_scale_f64 v[10:11], vcc, v[0:1], v[2:3], v[0:1]
	v_fma_f64 v[12:13], -v[6:7], v[8:9], 1.0
	v_fmac_f64_e32 v[8:9], v[8:9], v[12:13]
	v_fma_f64 v[12:13], -v[6:7], v[8:9], 1.0
	v_fmac_f64_e32 v[8:9], v[8:9], v[12:13]
	v_mul_f64 v[12:13], v[10:11], v[8:9]
	v_fma_f64 v[6:7], -v[6:7], v[12:13], v[10:11]
	v_div_fmas_f64 v[6:7], v[6:7], v[8:9], v[12:13]
	v_div_fixup_f64 v[6:7], v[6:7], v[2:3], v[0:1]
	v_fmac_f64_e32 v[2:3], v[0:1], v[6:7]
	v_div_scale_f64 v[0:1], s[4:5], v[2:3], v[2:3], 1.0
	v_rcp_f64_e32 v[8:9], v[0:1]
	s_nop 0
	v_fma_f64 v[10:11], -v[0:1], v[8:9], 1.0
	v_fmac_f64_e32 v[8:9], v[8:9], v[10:11]
	v_fma_f64 v[10:11], -v[0:1], v[8:9], 1.0
	v_fmac_f64_e32 v[8:9], v[8:9], v[10:11]
	v_div_scale_f64 v[10:11], vcc, 1.0, v[2:3], 1.0
	v_mul_f64 v[12:13], v[10:11], v[8:9]
	v_fma_f64 v[0:1], -v[0:1], v[12:13], v[10:11]
	s_nop 1
	v_div_fmas_f64 v[0:1], v[0:1], v[8:9], v[12:13]
	v_div_fixup_f64 v[2:3], v[0:1], v[2:3], 1.0
	v_mul_f64 v[0:1], v[6:7], v[2:3]
	v_xor_b32_e32 v3, 0x80000000, v3
.LBB120_844:
	s_andn2_saveexec_b64 s[12:13], s[12:13]
	s_cbranch_execz .LBB120_846
; %bb.845:
	v_div_scale_f64 v[6:7], s[4:5], v[0:1], v[0:1], v[2:3]
	v_rcp_f64_e32 v[8:9], v[6:7]
	v_div_scale_f64 v[10:11], vcc, v[2:3], v[0:1], v[2:3]
	v_fma_f64 v[12:13], -v[6:7], v[8:9], 1.0
	v_fmac_f64_e32 v[8:9], v[8:9], v[12:13]
	v_fma_f64 v[12:13], -v[6:7], v[8:9], 1.0
	v_fmac_f64_e32 v[8:9], v[8:9], v[12:13]
	v_mul_f64 v[12:13], v[10:11], v[8:9]
	v_fma_f64 v[6:7], -v[6:7], v[12:13], v[10:11]
	v_div_fmas_f64 v[6:7], v[6:7], v[8:9], v[12:13]
	v_div_fixup_f64 v[6:7], v[6:7], v[0:1], v[2:3]
	v_fmac_f64_e32 v[0:1], v[2:3], v[6:7]
	v_div_scale_f64 v[2:3], s[4:5], v[0:1], v[0:1], 1.0
	v_rcp_f64_e32 v[8:9], v[2:3]
	s_nop 0
	v_fma_f64 v[10:11], -v[2:3], v[8:9], 1.0
	v_fmac_f64_e32 v[8:9], v[8:9], v[10:11]
	v_fma_f64 v[10:11], -v[2:3], v[8:9], 1.0
	v_fmac_f64_e32 v[8:9], v[8:9], v[10:11]
	v_div_scale_f64 v[10:11], vcc, 1.0, v[0:1], 1.0
	v_mul_f64 v[12:13], v[10:11], v[8:9]
	v_fma_f64 v[2:3], -v[2:3], v[12:13], v[10:11]
	s_nop 1
	v_div_fmas_f64 v[2:3], v[2:3], v[8:9], v[12:13]
	v_div_fixup_f64 v[0:1], v[2:3], v[0:1], 1.0
	v_mul_f64 v[2:3], v[6:7], -v[0:1]
.LBB120_846:
	s_or_b64 exec, exec, s[12:13]
.LBB120_847:
	s_or_b64 exec, exec, s[0:1]
	v_cmp_ne_u32_e32 vcc, v81, v4
	s_and_saveexec_b64 s[0:1], vcc
	s_xor_b64 s[0:1], exec, s[0:1]
	s_cbranch_execz .LBB120_853
; %bb.848:
	v_cmp_eq_u32_e32 vcc, 35, v81
	s_and_saveexec_b64 s[12:13], vcc
	s_cbranch_execz .LBB120_852
; %bb.849:
	v_cmp_ne_u32_e32 vcc, 35, v4
	s_xor_b64 s[4:5], s[18:19], -1
	s_and_b64 s[4:5], s[4:5], vcc
	s_and_saveexec_b64 s[14:15], s[4:5]
	s_cbranch_execz .LBB120_851
; %bb.850:
	v_ashrrev_i32_e32 v5, 31, v4
	v_lshl_add_u64 v[6:7], v[4:5], 2, v[46:47]
	global_load_dword v5, v[6:7], off
	global_load_dword v8, v[46:47], off offset:140
	s_waitcnt vmcnt(1)
	global_store_dword v[46:47], v5, off offset:140
	s_waitcnt vmcnt(1)
	global_store_dword v[6:7], v8, off
.LBB120_851:
	s_or_b64 exec, exec, s[14:15]
	v_mov_b32_e32 v81, v4
	v_mov_b32_e32 v80, v4
.LBB120_852:
	s_or_b64 exec, exec, s[12:13]
.LBB120_853:
	s_andn2_saveexec_b64 s[0:1], s[0:1]
	s_cbranch_execz .LBB120_855
; %bb.854:
	scratch_load_dwordx4 v[4:7], off, s45
	scratch_load_dwordx4 v[8:11], off, s44
	;; [unrolled: 1-line block ×25, first 2 shown]
	v_mov_b32_e32 v81, 35
	s_waitcnt vmcnt(24)
	ds_write2_b64 v78, v[4:5], v[6:7] offset0:72 offset1:73
	s_waitcnt vmcnt(23)
	ds_write2_b64 v78, v[8:9], v[10:11] offset0:74 offset1:75
	;; [unrolled: 2-line block ×25, first 2 shown]
.LBB120_855:
	s_or_b64 exec, exec, s[0:1]
	v_cmp_lt_i32_e32 vcc, 35, v81
	s_waitcnt lgkmcnt(0)
	s_barrier
	s_and_saveexec_b64 s[0:1], vcc
	s_cbranch_execz .LBB120_857
; %bb.856:
	scratch_load_dwordx4 v[4:7], off, off offset:560
	s_waitcnt vmcnt(0)
	v_mul_f64 v[8:9], v[2:3], v[6:7]
	v_mul_f64 v[10:11], v[0:1], v[6:7]
	v_fma_f64 v[8:9], v[0:1], v[4:5], -v[8:9]
	v_fmac_f64_e32 v[10:11], v[2:3], v[4:5]
	ds_read2_b64 v[0:3], v78 offset0:72 offset1:73
	scratch_store_dwordx4 off, v[8:11], off offset:560
	s_waitcnt lgkmcnt(0)
	v_mul_f64 v[4:5], v[2:3], v[10:11]
	v_mul_f64 v[6:7], v[0:1], v[10:11]
	v_fma_f64 v[4:5], v[0:1], v[8:9], -v[4:5]
	v_fmac_f64_e32 v[6:7], v[2:3], v[8:9]
	scratch_load_dwordx4 v[0:3], off, off offset:576
	s_waitcnt vmcnt(0)
	v_add_f64 v[0:1], v[0:1], -v[4:5]
	v_add_f64 v[2:3], v[2:3], -v[6:7]
	scratch_store_dwordx4 off, v[0:3], off offset:576
	ds_read2_b64 v[0:3], v78 offset0:74 offset1:75
	s_waitcnt lgkmcnt(0)
	v_mul_f64 v[4:5], v[2:3], v[10:11]
	v_mul_f64 v[6:7], v[0:1], v[10:11]
	v_fma_f64 v[4:5], v[0:1], v[8:9], -v[4:5]
	v_fmac_f64_e32 v[6:7], v[2:3], v[8:9]
	scratch_load_dwordx4 v[0:3], off, off offset:592
	s_waitcnt vmcnt(0)
	v_add_f64 v[0:1], v[0:1], -v[4:5]
	v_add_f64 v[2:3], v[2:3], -v[6:7]
	scratch_store_dwordx4 off, v[0:3], off offset:592
	ds_read2_b64 v[0:3], v78 offset0:76 offset1:77
	;; [unrolled: 11-line block ×6, first 2 shown]
	scratch_load_dwordx2 v[8:9], off, off offset:560
	scratch_load_dwordx4 v[0:3], off, off offset:560
	s_waitcnt vmcnt(0) lgkmcnt(0)
	v_mul_f64 v[10:11], v[6:7], v[2:3]
	v_mul_f64 v[12:13], v[4:5], v[2:3]
	v_fma_f64 v[10:11], v[4:5], v[8:9], -v[10:11]
	v_fmac_f64_e32 v[12:13], v[6:7], v[8:9]
	scratch_load_dwordx4 v[4:7], off, off offset:672
	s_waitcnt vmcnt(0)
	v_add_f64 v[4:5], v[4:5], -v[10:11]
	v_add_f64 v[6:7], v[6:7], -v[12:13]
	scratch_store_dwordx4 off, v[4:7], off offset:672
	ds_read2_b64 v[4:7], v78 offset0:86 offset1:87
	s_waitcnt lgkmcnt(0)
	v_mul_f64 v[10:11], v[6:7], v[2:3]
	v_mul_f64 v[12:13], v[4:5], v[2:3]
	v_fma_f64 v[10:11], v[4:5], v[8:9], -v[10:11]
	v_fmac_f64_e32 v[12:13], v[6:7], v[8:9]
	scratch_load_dwordx4 v[4:7], off, off offset:688
	s_waitcnt vmcnt(0)
	v_add_f64 v[4:5], v[4:5], -v[10:11]
	v_add_f64 v[6:7], v[6:7], -v[12:13]
	scratch_store_dwordx4 off, v[4:7], off offset:688
	ds_read2_b64 v[4:7], v78 offset0:88 offset1:89
	s_waitcnt lgkmcnt(0)
	v_mul_f64 v[10:11], v[6:7], v[2:3]
	v_mul_f64 v[12:13], v[4:5], v[2:3]
	v_fma_f64 v[10:11], v[4:5], v[8:9], -v[10:11]
	v_fmac_f64_e32 v[12:13], v[6:7], v[8:9]
	scratch_load_dwordx4 v[4:7], off, off offset:704
	s_waitcnt vmcnt(0)
	v_add_f64 v[4:5], v[4:5], -v[10:11]
	v_add_f64 v[6:7], v[6:7], -v[12:13]
	scratch_store_dwordx4 off, v[4:7], off offset:704
	ds_read2_b64 v[4:7], v78 offset0:90 offset1:91
	s_waitcnt lgkmcnt(0)
	v_mul_f64 v[10:11], v[6:7], v[2:3]
	v_mul_f64 v[12:13], v[4:5], v[2:3]
	v_fma_f64 v[10:11], v[4:5], v[8:9], -v[10:11]
	v_fmac_f64_e32 v[12:13], v[6:7], v[8:9]
	scratch_load_dwordx4 v[4:7], off, off offset:720
	s_waitcnt vmcnt(0)
	v_add_f64 v[4:5], v[4:5], -v[10:11]
	v_add_f64 v[6:7], v[6:7], -v[12:13]
	scratch_store_dwordx4 off, v[4:7], off offset:720
	ds_read2_b64 v[4:7], v78 offset0:92 offset1:93
	s_waitcnt lgkmcnt(0)
	v_mul_f64 v[10:11], v[6:7], v[2:3]
	v_mul_f64 v[12:13], v[4:5], v[2:3]
	v_fma_f64 v[10:11], v[4:5], v[8:9], -v[10:11]
	v_fmac_f64_e32 v[12:13], v[6:7], v[8:9]
	scratch_load_dwordx4 v[4:7], off, off offset:736
	s_waitcnt vmcnt(0)
	v_add_f64 v[4:5], v[4:5], -v[10:11]
	v_add_f64 v[6:7], v[6:7], -v[12:13]
	scratch_store_dwordx4 off, v[4:7], off offset:736
	ds_read2_b64 v[4:7], v78 offset0:94 offset1:95
	s_waitcnt lgkmcnt(0)
	v_mul_f64 v[10:11], v[6:7], v[2:3]
	v_fma_f64 v[10:11], v[4:5], v[8:9], -v[10:11]
	v_mul_f64 v[12:13], v[4:5], v[2:3]
	scratch_load_dwordx4 v[2:5], off, off offset:752
	v_fmac_f64_e32 v[12:13], v[6:7], v[8:9]
	s_waitcnt vmcnt(0)
	v_add_f64 v[2:3], v[2:3], -v[10:11]
	v_add_f64 v[4:5], v[4:5], -v[12:13]
	scratch_store_dwordx4 off, v[2:5], off offset:752
	ds_read2_b64 v[2:5], v78 offset0:96 offset1:97
	scratch_load_dwordx2 v[6:7], off, off offset:560
	scratch_load_dwordx2 v[8:9], off, off offset:568
	s_waitcnt vmcnt(0) lgkmcnt(0)
	v_mul_f64 v[10:11], v[4:5], v[8:9]
	v_mul_f64 v[12:13], v[2:3], v[8:9]
	v_fma_f64 v[10:11], v[2:3], v[6:7], -v[10:11]
	v_fmac_f64_e32 v[12:13], v[4:5], v[6:7]
	scratch_load_dwordx4 v[2:5], off, off offset:768
	s_waitcnt vmcnt(0)
	v_add_f64 v[2:3], v[2:3], -v[10:11]
	v_add_f64 v[4:5], v[4:5], -v[12:13]
	scratch_store_dwordx4 off, v[2:5], off offset:768
	ds_read2_b64 v[2:5], v78 offset0:98 offset1:99
	s_waitcnt lgkmcnt(0)
	v_mul_f64 v[10:11], v[4:5], v[8:9]
	v_mul_f64 v[12:13], v[2:3], v[8:9]
	v_fma_f64 v[10:11], v[2:3], v[6:7], -v[10:11]
	v_fmac_f64_e32 v[12:13], v[4:5], v[6:7]
	scratch_load_dwordx4 v[2:5], off, off offset:784
	s_waitcnt vmcnt(0)
	v_add_f64 v[2:3], v[2:3], -v[10:11]
	v_add_f64 v[4:5], v[4:5], -v[12:13]
	scratch_store_dwordx4 off, v[2:5], off offset:784
	ds_read2_b64 v[2:5], v78 offset0:100 offset1:101
	s_waitcnt lgkmcnt(0)
	;; [unrolled: 11-line block ×5, first 2 shown]
	v_mul_f64 v[10:11], v[4:5], v[8:9]
	v_mul_f64 v[8:9], v[2:3], v[8:9]
	v_fma_f64 v[10:11], v[2:3], v[6:7], -v[10:11]
	v_fmac_f64_e32 v[8:9], v[4:5], v[6:7]
	scratch_load_dwordx4 v[2:5], off, off offset:848
	s_waitcnt vmcnt(0)
	v_add_f64 v[2:3], v[2:3], -v[10:11]
	v_add_f64 v[4:5], v[4:5], -v[8:9]
	scratch_store_dwordx4 off, v[2:5], off offset:848
	ds_read2_b64 v[2:5], v78 offset0:108 offset1:109
	scratch_load_dwordx2 v[6:7], off, off offset:560
	scratch_load_dwordx2 v[8:9], off, off offset:568
	s_waitcnt vmcnt(0) lgkmcnt(0)
	v_mul_f64 v[10:11], v[4:5], v[8:9]
	v_mul_f64 v[12:13], v[2:3], v[8:9]
	v_fma_f64 v[10:11], v[2:3], v[6:7], -v[10:11]
	v_fmac_f64_e32 v[12:13], v[4:5], v[6:7]
	scratch_load_dwordx4 v[2:5], off, off offset:864
	s_waitcnt vmcnt(0)
	v_add_f64 v[2:3], v[2:3], -v[10:11]
	v_add_f64 v[4:5], v[4:5], -v[12:13]
	scratch_store_dwordx4 off, v[2:5], off offset:864
	ds_read2_b64 v[2:5], v78 offset0:110 offset1:111
	s_waitcnt lgkmcnt(0)
	v_mul_f64 v[10:11], v[4:5], v[8:9]
	v_mul_f64 v[12:13], v[2:3], v[8:9]
	v_fma_f64 v[10:11], v[2:3], v[6:7], -v[10:11]
	v_fmac_f64_e32 v[12:13], v[4:5], v[6:7]
	scratch_load_dwordx4 v[2:5], off, off offset:880
	s_waitcnt vmcnt(0)
	v_add_f64 v[2:3], v[2:3], -v[10:11]
	v_add_f64 v[4:5], v[4:5], -v[12:13]
	scratch_store_dwordx4 off, v[2:5], off offset:880
	ds_read2_b64 v[2:5], v78 offset0:112 offset1:113
	s_waitcnt lgkmcnt(0)
	;; [unrolled: 11-line block ×5, first 2 shown]
	v_mul_f64 v[10:11], v[4:5], v[8:9]
	v_mul_f64 v[8:9], v[2:3], v[8:9]
	v_fma_f64 v[10:11], v[2:3], v[6:7], -v[10:11]
	v_fmac_f64_e32 v[8:9], v[4:5], v[6:7]
	scratch_load_dwordx4 v[2:5], off, off offset:944
	s_waitcnt vmcnt(0)
	v_add_f64 v[4:5], v[4:5], -v[8:9]
	scratch_load_dwordx2 v[8:9], off, off offset:568
	v_add_f64 v[2:3], v[2:3], -v[10:11]
	scratch_store_dwordx4 off, v[2:5], off offset:944
	ds_read2_b64 v[2:5], v78 offset0:120 offset1:121
	s_waitcnt vmcnt(1) lgkmcnt(0)
	v_mul_f64 v[6:7], v[4:5], v[8:9]
	v_fma_f64 v[6:7], v[2:3], v[0:1], -v[6:7]
	v_mul_f64 v[2:3], v[2:3], v[8:9]
	scratch_load_dwordx4 v[8:11], off, off offset:960
	v_fmac_f64_e32 v[2:3], v[4:5], v[0:1]
	s_waitcnt vmcnt(0)
	v_add_f64 v[0:1], v[8:9], -v[6:7]
	v_add_f64 v[2:3], v[10:11], -v[2:3]
	scratch_store_dwordx4 off, v[0:3], off offset:960
.LBB120_857:
	s_or_b64 exec, exec, s[0:1]
	s_barrier
	scratch_load_dwordx4 v[0:3], off, s45
	v_lshl_add_u32 v4, v81, 4, v78
	s_cmp_lt_i32 s51, 38
	s_waitcnt vmcnt(0)
	ds_write2_b64 v4, v[0:1], v[2:3] offset1:1
	s_waitcnt lgkmcnt(0)
	s_barrier
	ds_read2_b64 v[0:3], v78 offset0:72 offset1:73
	v_mov_b32_e32 v4, 36
	s_cbranch_scc1 .LBB120_860
; %bb.858:
	v_add_u32_e32 v5, 0x250, v78
	s_mov_b32 s4, 37
	v_mov_b32_e32 v4, 36
.LBB120_859:                            ; =>This Inner Loop Header: Depth=1
	ds_read2_b64 v[6:9], v5 offset1:1
	s_waitcnt lgkmcnt(1)
	v_xor_b32_e32 v11, 0x80000000, v1
	v_xor_b32_e32 v13, 0x80000000, v3
	v_cmp_gt_f64_e32 vcc, 0, v[2:3]
	v_cmp_gt_f64_e64 s[0:1], 0, v[0:1]
	v_mov_b32_e32 v10, v0
	v_mov_b32_e32 v12, v2
	v_cndmask_b32_e64 v11, v1, v11, s[0:1]
	v_cndmask_b32_e32 v13, v3, v13, vcc
	v_add_f64 v[10:11], v[10:11], v[12:13]
	s_waitcnt lgkmcnt(0)
	v_xor_b32_e32 v13, 0x80000000, v7
	v_xor_b32_e32 v15, 0x80000000, v9
	v_cmp_gt_f64_e32 vcc, 0, v[8:9]
	v_cmp_gt_f64_e64 s[0:1], 0, v[6:7]
	v_mov_b32_e32 v12, v6
	v_mov_b32_e32 v14, v8
	v_cndmask_b32_e64 v13, v7, v13, s[0:1]
	v_cndmask_b32_e32 v15, v9, v15, vcc
	v_add_f64 v[12:13], v[12:13], v[14:15]
	v_mov_b32_e32 v16, s4
	s_add_i32 s4, s4, 1
	v_cmp_lt_f64_e32 vcc, v[10:11], v[12:13]
	v_add_u32_e32 v5, 16, v5
	s_cmp_lg_u32 s51, s4
	v_cndmask_b32_e32 v1, v1, v7, vcc
	v_cndmask_b32_e32 v0, v0, v6, vcc
	;; [unrolled: 1-line block ×5, first 2 shown]
	s_cbranch_scc1 .LBB120_859
.LBB120_860:
	s_waitcnt lgkmcnt(0)
	v_cmp_eq_f64_e32 vcc, 0, v[0:1]
	v_cmp_eq_f64_e64 s[0:1], 0, v[2:3]
	s_and_b64 s[0:1], vcc, s[0:1]
	s_and_saveexec_b64 s[4:5], s[0:1]
	s_xor_b64 s[0:1], exec, s[4:5]
; %bb.861:
	v_cmp_ne_u32_e32 vcc, 0, v79
	s_nop 1
	v_cndmask_b32_e32 v79, 37, v79, vcc
; %bb.862:
	s_andn2_saveexec_b64 s[0:1], s[0:1]
	s_cbranch_execz .LBB120_868
; %bb.863:
	v_cmp_ngt_f64_e64 s[4:5], |v[0:1]|, |v[2:3]|
	s_and_saveexec_b64 s[12:13], s[4:5]
	s_xor_b64 s[12:13], exec, s[12:13]
	s_cbranch_execz .LBB120_865
; %bb.864:
	v_div_scale_f64 v[6:7], s[4:5], v[2:3], v[2:3], v[0:1]
	v_rcp_f64_e32 v[8:9], v[6:7]
	v_div_scale_f64 v[10:11], vcc, v[0:1], v[2:3], v[0:1]
	v_fma_f64 v[12:13], -v[6:7], v[8:9], 1.0
	v_fmac_f64_e32 v[8:9], v[8:9], v[12:13]
	v_fma_f64 v[12:13], -v[6:7], v[8:9], 1.0
	v_fmac_f64_e32 v[8:9], v[8:9], v[12:13]
	v_mul_f64 v[12:13], v[10:11], v[8:9]
	v_fma_f64 v[6:7], -v[6:7], v[12:13], v[10:11]
	v_div_fmas_f64 v[6:7], v[6:7], v[8:9], v[12:13]
	v_div_fixup_f64 v[6:7], v[6:7], v[2:3], v[0:1]
	v_fmac_f64_e32 v[2:3], v[0:1], v[6:7]
	v_div_scale_f64 v[0:1], s[4:5], v[2:3], v[2:3], 1.0
	v_rcp_f64_e32 v[8:9], v[0:1]
	s_nop 0
	v_fma_f64 v[10:11], -v[0:1], v[8:9], 1.0
	v_fmac_f64_e32 v[8:9], v[8:9], v[10:11]
	v_fma_f64 v[10:11], -v[0:1], v[8:9], 1.0
	v_fmac_f64_e32 v[8:9], v[8:9], v[10:11]
	v_div_scale_f64 v[10:11], vcc, 1.0, v[2:3], 1.0
	v_mul_f64 v[12:13], v[10:11], v[8:9]
	v_fma_f64 v[0:1], -v[0:1], v[12:13], v[10:11]
	s_nop 1
	v_div_fmas_f64 v[0:1], v[0:1], v[8:9], v[12:13]
	v_div_fixup_f64 v[2:3], v[0:1], v[2:3], 1.0
	v_mul_f64 v[0:1], v[6:7], v[2:3]
	v_xor_b32_e32 v3, 0x80000000, v3
.LBB120_865:
	s_andn2_saveexec_b64 s[12:13], s[12:13]
	s_cbranch_execz .LBB120_867
; %bb.866:
	v_div_scale_f64 v[6:7], s[4:5], v[0:1], v[0:1], v[2:3]
	v_rcp_f64_e32 v[8:9], v[6:7]
	v_div_scale_f64 v[10:11], vcc, v[2:3], v[0:1], v[2:3]
	v_fma_f64 v[12:13], -v[6:7], v[8:9], 1.0
	v_fmac_f64_e32 v[8:9], v[8:9], v[12:13]
	v_fma_f64 v[12:13], -v[6:7], v[8:9], 1.0
	v_fmac_f64_e32 v[8:9], v[8:9], v[12:13]
	v_mul_f64 v[12:13], v[10:11], v[8:9]
	v_fma_f64 v[6:7], -v[6:7], v[12:13], v[10:11]
	v_div_fmas_f64 v[6:7], v[6:7], v[8:9], v[12:13]
	v_div_fixup_f64 v[6:7], v[6:7], v[0:1], v[2:3]
	v_fmac_f64_e32 v[0:1], v[2:3], v[6:7]
	v_div_scale_f64 v[2:3], s[4:5], v[0:1], v[0:1], 1.0
	v_rcp_f64_e32 v[8:9], v[2:3]
	s_nop 0
	v_fma_f64 v[10:11], -v[2:3], v[8:9], 1.0
	v_fmac_f64_e32 v[8:9], v[8:9], v[10:11]
	v_fma_f64 v[10:11], -v[2:3], v[8:9], 1.0
	v_fmac_f64_e32 v[8:9], v[8:9], v[10:11]
	v_div_scale_f64 v[10:11], vcc, 1.0, v[0:1], 1.0
	v_mul_f64 v[12:13], v[10:11], v[8:9]
	v_fma_f64 v[2:3], -v[2:3], v[12:13], v[10:11]
	s_nop 1
	v_div_fmas_f64 v[2:3], v[2:3], v[8:9], v[12:13]
	v_div_fixup_f64 v[0:1], v[2:3], v[0:1], 1.0
	v_mul_f64 v[2:3], v[6:7], -v[0:1]
.LBB120_867:
	s_or_b64 exec, exec, s[12:13]
.LBB120_868:
	s_or_b64 exec, exec, s[0:1]
	v_cmp_ne_u32_e32 vcc, v81, v4
	s_and_saveexec_b64 s[0:1], vcc
	s_xor_b64 s[0:1], exec, s[0:1]
	s_cbranch_execz .LBB120_874
; %bb.869:
	v_cmp_eq_u32_e32 vcc, 36, v81
	s_and_saveexec_b64 s[12:13], vcc
	s_cbranch_execz .LBB120_873
; %bb.870:
	v_cmp_ne_u32_e32 vcc, 36, v4
	s_xor_b64 s[4:5], s[18:19], -1
	s_and_b64 s[4:5], s[4:5], vcc
	s_and_saveexec_b64 s[14:15], s[4:5]
	s_cbranch_execz .LBB120_872
; %bb.871:
	v_ashrrev_i32_e32 v5, 31, v4
	v_lshl_add_u64 v[6:7], v[4:5], 2, v[46:47]
	global_load_dword v5, v[6:7], off
	global_load_dword v8, v[46:47], off offset:144
	s_waitcnt vmcnt(1)
	global_store_dword v[46:47], v5, off offset:144
	s_waitcnt vmcnt(1)
	global_store_dword v[6:7], v8, off
.LBB120_872:
	s_or_b64 exec, exec, s[14:15]
	v_mov_b32_e32 v81, v4
	v_mov_b32_e32 v80, v4
.LBB120_873:
	s_or_b64 exec, exec, s[12:13]
.LBB120_874:
	s_andn2_saveexec_b64 s[0:1], s[0:1]
	s_cbranch_execz .LBB120_876
; %bb.875:
	scratch_load_dwordx4 v[4:7], off, s44
	scratch_load_dwordx4 v[8:11], off, s43
	;; [unrolled: 1-line block ×24, first 2 shown]
	v_mov_b32_e32 v81, 36
	s_waitcnt vmcnt(23)
	ds_write2_b64 v78, v[4:5], v[6:7] offset0:74 offset1:75
	s_waitcnt vmcnt(22)
	ds_write2_b64 v78, v[8:9], v[10:11] offset0:76 offset1:77
	s_waitcnt vmcnt(21)
	ds_write2_b64 v78, v[12:13], v[14:15] offset0:78 offset1:79
	s_waitcnt vmcnt(20)
	ds_write2_b64 v78, v[16:17], v[18:19] offset0:80 offset1:81
	s_waitcnt vmcnt(19)
	ds_write2_b64 v78, v[20:21], v[22:23] offset0:82 offset1:83
	s_waitcnt vmcnt(18)
	ds_write2_b64 v78, v[24:25], v[26:27] offset0:84 offset1:85
	s_waitcnt vmcnt(17)
	ds_write2_b64 v78, v[28:29], v[30:31] offset0:86 offset1:87
	s_waitcnt vmcnt(16)
	ds_write2_b64 v78, v[32:33], v[34:35] offset0:88 offset1:89
	s_waitcnt vmcnt(15)
	ds_write2_b64 v78, v[36:37], v[38:39] offset0:90 offset1:91
	s_waitcnt vmcnt(14)
	ds_write2_b64 v78, v[40:41], v[42:43] offset0:92 offset1:93
	s_waitcnt vmcnt(13)
	ds_write2_b64 v78, v[50:51], v[52:53] offset0:94 offset1:95
	s_waitcnt vmcnt(12)
	ds_write2_b64 v78, v[54:55], v[56:57] offset0:96 offset1:97
	s_waitcnt vmcnt(11)
	ds_write2_b64 v78, v[58:59], v[60:61] offset0:98 offset1:99
	s_waitcnt vmcnt(10)
	ds_write2_b64 v78, v[62:63], v[64:65] offset0:100 offset1:101
	s_waitcnt vmcnt(9)
	ds_write2_b64 v78, v[66:67], v[68:69] offset0:102 offset1:103
	s_waitcnt vmcnt(8)
	ds_write2_b64 v78, v[70:71], v[72:73] offset0:104 offset1:105
	s_waitcnt vmcnt(7)
	ds_write2_b64 v78, v[74:75], v[76:77] offset0:106 offset1:107
	s_waitcnt vmcnt(6)
	ds_write2_b64 v78, v[82:83], v[84:85] offset0:108 offset1:109
	s_waitcnt vmcnt(5)
	ds_write2_b64 v78, v[86:87], v[88:89] offset0:110 offset1:111
	s_waitcnt vmcnt(4)
	ds_write2_b64 v78, v[90:91], v[92:93] offset0:112 offset1:113
	s_waitcnt vmcnt(3)
	ds_write2_b64 v78, v[94:95], v[96:97] offset0:114 offset1:115
	s_waitcnt vmcnt(2)
	ds_write2_b64 v78, v[98:99], v[100:101] offset0:116 offset1:117
	s_waitcnt vmcnt(1)
	ds_write2_b64 v78, v[102:103], v[104:105] offset0:118 offset1:119
	s_waitcnt vmcnt(0)
	ds_write2_b64 v78, v[106:107], v[108:109] offset0:120 offset1:121
.LBB120_876:
	s_or_b64 exec, exec, s[0:1]
	v_cmp_lt_i32_e32 vcc, 36, v81
	s_waitcnt lgkmcnt(0)
	s_barrier
	s_and_saveexec_b64 s[0:1], vcc
	s_cbranch_execz .LBB120_878
; %bb.877:
	scratch_load_dwordx4 v[4:7], off, off offset:576
	s_waitcnt vmcnt(0)
	v_mul_f64 v[8:9], v[2:3], v[6:7]
	v_mul_f64 v[10:11], v[0:1], v[6:7]
	v_fma_f64 v[8:9], v[0:1], v[4:5], -v[8:9]
	v_fmac_f64_e32 v[10:11], v[2:3], v[4:5]
	ds_read2_b64 v[0:3], v78 offset0:74 offset1:75
	scratch_store_dwordx4 off, v[8:11], off offset:576
	s_waitcnt lgkmcnt(0)
	v_mul_f64 v[4:5], v[2:3], v[10:11]
	v_mul_f64 v[6:7], v[0:1], v[10:11]
	v_fma_f64 v[4:5], v[0:1], v[8:9], -v[4:5]
	v_fmac_f64_e32 v[6:7], v[2:3], v[8:9]
	scratch_load_dwordx4 v[0:3], off, off offset:592
	s_waitcnt vmcnt(0)
	v_add_f64 v[0:1], v[0:1], -v[4:5]
	v_add_f64 v[2:3], v[2:3], -v[6:7]
	scratch_store_dwordx4 off, v[0:3], off offset:592
	ds_read2_b64 v[0:3], v78 offset0:76 offset1:77
	s_waitcnt lgkmcnt(0)
	v_mul_f64 v[4:5], v[2:3], v[10:11]
	v_mul_f64 v[6:7], v[0:1], v[10:11]
	v_fma_f64 v[4:5], v[0:1], v[8:9], -v[4:5]
	v_fmac_f64_e32 v[6:7], v[2:3], v[8:9]
	scratch_load_dwordx4 v[0:3], off, off offset:608
	s_waitcnt vmcnt(0)
	v_add_f64 v[0:1], v[0:1], -v[4:5]
	v_add_f64 v[2:3], v[2:3], -v[6:7]
	scratch_store_dwordx4 off, v[0:3], off offset:608
	ds_read2_b64 v[0:3], v78 offset0:78 offset1:79
	;; [unrolled: 11-line block ×6, first 2 shown]
	scratch_load_dwordx2 v[8:9], off, off offset:576
	scratch_load_dwordx4 v[0:3], off, off offset:576
	s_waitcnt vmcnt(0) lgkmcnt(0)
	v_mul_f64 v[10:11], v[6:7], v[2:3]
	v_mul_f64 v[12:13], v[4:5], v[2:3]
	v_fma_f64 v[10:11], v[4:5], v[8:9], -v[10:11]
	v_fmac_f64_e32 v[12:13], v[6:7], v[8:9]
	scratch_load_dwordx4 v[4:7], off, off offset:688
	s_waitcnt vmcnt(0)
	v_add_f64 v[4:5], v[4:5], -v[10:11]
	v_add_f64 v[6:7], v[6:7], -v[12:13]
	scratch_store_dwordx4 off, v[4:7], off offset:688
	ds_read2_b64 v[4:7], v78 offset0:88 offset1:89
	s_waitcnt lgkmcnt(0)
	v_mul_f64 v[10:11], v[6:7], v[2:3]
	v_mul_f64 v[12:13], v[4:5], v[2:3]
	v_fma_f64 v[10:11], v[4:5], v[8:9], -v[10:11]
	v_fmac_f64_e32 v[12:13], v[6:7], v[8:9]
	scratch_load_dwordx4 v[4:7], off, off offset:704
	s_waitcnt vmcnt(0)
	v_add_f64 v[4:5], v[4:5], -v[10:11]
	v_add_f64 v[6:7], v[6:7], -v[12:13]
	scratch_store_dwordx4 off, v[4:7], off offset:704
	ds_read2_b64 v[4:7], v78 offset0:90 offset1:91
	s_waitcnt lgkmcnt(0)
	;; [unrolled: 11-line block ×5, first 2 shown]
	v_mul_f64 v[10:11], v[6:7], v[2:3]
	v_fma_f64 v[10:11], v[4:5], v[8:9], -v[10:11]
	v_mul_f64 v[12:13], v[4:5], v[2:3]
	scratch_load_dwordx4 v[2:5], off, off offset:768
	v_fmac_f64_e32 v[12:13], v[6:7], v[8:9]
	ds_read2_b64 v[6:9], v78 offset0:98 offset1:99
	s_waitcnt vmcnt(0)
	v_add_f64 v[2:3], v[2:3], -v[10:11]
	v_add_f64 v[4:5], v[4:5], -v[12:13]
	scratch_store_dwordx4 off, v[2:5], off offset:768
	scratch_load_dwordx2 v[2:3], off, off offset:576
	s_nop 0
	scratch_load_dwordx2 v[4:5], off, off offset:584
	s_waitcnt vmcnt(0) lgkmcnt(0)
	v_mul_f64 v[10:11], v[8:9], v[4:5]
	v_mul_f64 v[12:13], v[6:7], v[4:5]
	v_fma_f64 v[10:11], v[6:7], v[2:3], -v[10:11]
	v_fmac_f64_e32 v[12:13], v[8:9], v[2:3]
	scratch_load_dwordx4 v[6:9], off, off offset:784
	s_waitcnt vmcnt(0)
	v_add_f64 v[6:7], v[6:7], -v[10:11]
	v_add_f64 v[8:9], v[8:9], -v[12:13]
	scratch_store_dwordx4 off, v[6:9], off offset:784
	ds_read2_b64 v[6:9], v78 offset0:100 offset1:101
	s_waitcnt lgkmcnt(0)
	v_mul_f64 v[10:11], v[8:9], v[4:5]
	v_mul_f64 v[12:13], v[6:7], v[4:5]
	v_fma_f64 v[10:11], v[6:7], v[2:3], -v[10:11]
	v_fmac_f64_e32 v[12:13], v[8:9], v[2:3]
	scratch_load_dwordx4 v[6:9], off, off offset:800
	s_waitcnt vmcnt(0)
	v_add_f64 v[6:7], v[6:7], -v[10:11]
	v_add_f64 v[8:9], v[8:9], -v[12:13]
	scratch_store_dwordx4 off, v[6:9], off offset:800
	ds_read2_b64 v[6:9], v78 offset0:102 offset1:103
	s_waitcnt lgkmcnt(0)
	;; [unrolled: 11-line block ×5, first 2 shown]
	v_mul_f64 v[10:11], v[8:9], v[4:5]
	v_fma_f64 v[10:11], v[6:7], v[2:3], -v[10:11]
	v_mul_f64 v[6:7], v[6:7], v[4:5]
	v_fmac_f64_e32 v[6:7], v[8:9], v[2:3]
	scratch_load_dwordx4 v[2:5], off, off offset:864
	s_waitcnt vmcnt(0)
	v_add_f64 v[4:5], v[4:5], -v[6:7]
	scratch_load_dwordx2 v[6:7], off, off offset:584
	v_add_f64 v[2:3], v[2:3], -v[10:11]
	scratch_store_dwordx4 off, v[2:5], off offset:864
	ds_read2_b64 v[2:5], v78 offset0:110 offset1:111
	s_waitcnt vmcnt(1) lgkmcnt(0)
	v_mul_f64 v[8:9], v[4:5], v[6:7]
	v_mul_f64 v[10:11], v[2:3], v[6:7]
	v_fma_f64 v[8:9], v[2:3], v[0:1], -v[8:9]
	v_fmac_f64_e32 v[10:11], v[4:5], v[0:1]
	scratch_load_dwordx4 v[2:5], off, off offset:880
	s_waitcnt vmcnt(0)
	v_add_f64 v[2:3], v[2:3], -v[8:9]
	v_add_f64 v[4:5], v[4:5], -v[10:11]
	scratch_store_dwordx4 off, v[2:5], off offset:880
	ds_read2_b64 v[2:5], v78 offset0:112 offset1:113
	s_waitcnt lgkmcnt(0)
	v_mul_f64 v[8:9], v[4:5], v[6:7]
	v_mul_f64 v[10:11], v[2:3], v[6:7]
	v_fma_f64 v[8:9], v[2:3], v[0:1], -v[8:9]
	v_fmac_f64_e32 v[10:11], v[4:5], v[0:1]
	scratch_load_dwordx4 v[2:5], off, off offset:896
	s_waitcnt vmcnt(0)
	v_add_f64 v[2:3], v[2:3], -v[8:9]
	v_add_f64 v[4:5], v[4:5], -v[10:11]
	scratch_store_dwordx4 off, v[2:5], off offset:896
	ds_read2_b64 v[2:5], v78 offset0:114 offset1:115
	s_waitcnt lgkmcnt(0)
	;; [unrolled: 11-line block ×5, first 2 shown]
	v_mul_f64 v[8:9], v[4:5], v[6:7]
	v_mul_f64 v[6:7], v[2:3], v[6:7]
	v_fma_f64 v[8:9], v[2:3], v[0:1], -v[8:9]
	v_fmac_f64_e32 v[6:7], v[4:5], v[0:1]
	scratch_load_dwordx4 v[0:3], off, off offset:960
	s_waitcnt vmcnt(0)
	v_add_f64 v[0:1], v[0:1], -v[8:9]
	v_add_f64 v[2:3], v[2:3], -v[6:7]
	scratch_store_dwordx4 off, v[0:3], off offset:960
.LBB120_878:
	s_or_b64 exec, exec, s[0:1]
	s_barrier
	scratch_load_dwordx4 v[0:3], off, s44
	v_lshl_add_u32 v4, v81, 4, v78
	s_cmp_lt_i32 s51, 39
	s_waitcnt vmcnt(0)
	ds_write2_b64 v4, v[0:1], v[2:3] offset1:1
	s_waitcnt lgkmcnt(0)
	s_barrier
	ds_read2_b64 v[0:3], v78 offset0:74 offset1:75
	v_mov_b32_e32 v4, 37
	s_cbranch_scc1 .LBB120_881
; %bb.879:
	v_add_u32_e32 v5, 0x260, v78
	s_mov_b32 s4, 38
	v_mov_b32_e32 v4, 37
.LBB120_880:                            ; =>This Inner Loop Header: Depth=1
	ds_read2_b64 v[6:9], v5 offset1:1
	s_waitcnt lgkmcnt(1)
	v_xor_b32_e32 v11, 0x80000000, v1
	v_xor_b32_e32 v13, 0x80000000, v3
	v_cmp_gt_f64_e32 vcc, 0, v[2:3]
	v_cmp_gt_f64_e64 s[0:1], 0, v[0:1]
	v_mov_b32_e32 v10, v0
	v_mov_b32_e32 v12, v2
	v_cndmask_b32_e64 v11, v1, v11, s[0:1]
	v_cndmask_b32_e32 v13, v3, v13, vcc
	v_add_f64 v[10:11], v[10:11], v[12:13]
	s_waitcnt lgkmcnt(0)
	v_xor_b32_e32 v13, 0x80000000, v7
	v_xor_b32_e32 v15, 0x80000000, v9
	v_cmp_gt_f64_e32 vcc, 0, v[8:9]
	v_cmp_gt_f64_e64 s[0:1], 0, v[6:7]
	v_mov_b32_e32 v12, v6
	v_mov_b32_e32 v14, v8
	v_cndmask_b32_e64 v13, v7, v13, s[0:1]
	v_cndmask_b32_e32 v15, v9, v15, vcc
	v_add_f64 v[12:13], v[12:13], v[14:15]
	v_mov_b32_e32 v16, s4
	s_add_i32 s4, s4, 1
	v_cmp_lt_f64_e32 vcc, v[10:11], v[12:13]
	v_add_u32_e32 v5, 16, v5
	s_cmp_lg_u32 s51, s4
	v_cndmask_b32_e32 v1, v1, v7, vcc
	v_cndmask_b32_e32 v0, v0, v6, vcc
	;; [unrolled: 1-line block ×5, first 2 shown]
	s_cbranch_scc1 .LBB120_880
.LBB120_881:
	s_waitcnt lgkmcnt(0)
	v_cmp_eq_f64_e32 vcc, 0, v[0:1]
	v_cmp_eq_f64_e64 s[0:1], 0, v[2:3]
	s_and_b64 s[0:1], vcc, s[0:1]
	s_and_saveexec_b64 s[4:5], s[0:1]
	s_xor_b64 s[0:1], exec, s[4:5]
; %bb.882:
	v_cmp_ne_u32_e32 vcc, 0, v79
	s_nop 1
	v_cndmask_b32_e32 v79, 38, v79, vcc
; %bb.883:
	s_andn2_saveexec_b64 s[0:1], s[0:1]
	s_cbranch_execz .LBB120_889
; %bb.884:
	v_cmp_ngt_f64_e64 s[4:5], |v[0:1]|, |v[2:3]|
	s_and_saveexec_b64 s[12:13], s[4:5]
	s_xor_b64 s[12:13], exec, s[12:13]
	s_cbranch_execz .LBB120_886
; %bb.885:
	v_div_scale_f64 v[6:7], s[4:5], v[2:3], v[2:3], v[0:1]
	v_rcp_f64_e32 v[8:9], v[6:7]
	v_div_scale_f64 v[10:11], vcc, v[0:1], v[2:3], v[0:1]
	v_fma_f64 v[12:13], -v[6:7], v[8:9], 1.0
	v_fmac_f64_e32 v[8:9], v[8:9], v[12:13]
	v_fma_f64 v[12:13], -v[6:7], v[8:9], 1.0
	v_fmac_f64_e32 v[8:9], v[8:9], v[12:13]
	v_mul_f64 v[12:13], v[10:11], v[8:9]
	v_fma_f64 v[6:7], -v[6:7], v[12:13], v[10:11]
	v_div_fmas_f64 v[6:7], v[6:7], v[8:9], v[12:13]
	v_div_fixup_f64 v[6:7], v[6:7], v[2:3], v[0:1]
	v_fmac_f64_e32 v[2:3], v[0:1], v[6:7]
	v_div_scale_f64 v[0:1], s[4:5], v[2:3], v[2:3], 1.0
	v_rcp_f64_e32 v[8:9], v[0:1]
	s_nop 0
	v_fma_f64 v[10:11], -v[0:1], v[8:9], 1.0
	v_fmac_f64_e32 v[8:9], v[8:9], v[10:11]
	v_fma_f64 v[10:11], -v[0:1], v[8:9], 1.0
	v_fmac_f64_e32 v[8:9], v[8:9], v[10:11]
	v_div_scale_f64 v[10:11], vcc, 1.0, v[2:3], 1.0
	v_mul_f64 v[12:13], v[10:11], v[8:9]
	v_fma_f64 v[0:1], -v[0:1], v[12:13], v[10:11]
	s_nop 1
	v_div_fmas_f64 v[0:1], v[0:1], v[8:9], v[12:13]
	v_div_fixup_f64 v[2:3], v[0:1], v[2:3], 1.0
	v_mul_f64 v[0:1], v[6:7], v[2:3]
	v_xor_b32_e32 v3, 0x80000000, v3
.LBB120_886:
	s_andn2_saveexec_b64 s[12:13], s[12:13]
	s_cbranch_execz .LBB120_888
; %bb.887:
	v_div_scale_f64 v[6:7], s[4:5], v[0:1], v[0:1], v[2:3]
	v_rcp_f64_e32 v[8:9], v[6:7]
	v_div_scale_f64 v[10:11], vcc, v[2:3], v[0:1], v[2:3]
	v_fma_f64 v[12:13], -v[6:7], v[8:9], 1.0
	v_fmac_f64_e32 v[8:9], v[8:9], v[12:13]
	v_fma_f64 v[12:13], -v[6:7], v[8:9], 1.0
	v_fmac_f64_e32 v[8:9], v[8:9], v[12:13]
	v_mul_f64 v[12:13], v[10:11], v[8:9]
	v_fma_f64 v[6:7], -v[6:7], v[12:13], v[10:11]
	v_div_fmas_f64 v[6:7], v[6:7], v[8:9], v[12:13]
	v_div_fixup_f64 v[6:7], v[6:7], v[0:1], v[2:3]
	v_fmac_f64_e32 v[0:1], v[2:3], v[6:7]
	v_div_scale_f64 v[2:3], s[4:5], v[0:1], v[0:1], 1.0
	v_rcp_f64_e32 v[8:9], v[2:3]
	s_nop 0
	v_fma_f64 v[10:11], -v[2:3], v[8:9], 1.0
	v_fmac_f64_e32 v[8:9], v[8:9], v[10:11]
	v_fma_f64 v[10:11], -v[2:3], v[8:9], 1.0
	v_fmac_f64_e32 v[8:9], v[8:9], v[10:11]
	v_div_scale_f64 v[10:11], vcc, 1.0, v[0:1], 1.0
	v_mul_f64 v[12:13], v[10:11], v[8:9]
	v_fma_f64 v[2:3], -v[2:3], v[12:13], v[10:11]
	s_nop 1
	v_div_fmas_f64 v[2:3], v[2:3], v[8:9], v[12:13]
	v_div_fixup_f64 v[0:1], v[2:3], v[0:1], 1.0
	v_mul_f64 v[2:3], v[6:7], -v[0:1]
.LBB120_888:
	s_or_b64 exec, exec, s[12:13]
.LBB120_889:
	s_or_b64 exec, exec, s[0:1]
	v_cmp_ne_u32_e32 vcc, v81, v4
	s_and_saveexec_b64 s[0:1], vcc
	s_xor_b64 s[0:1], exec, s[0:1]
	s_cbranch_execz .LBB120_895
; %bb.890:
	v_cmp_eq_u32_e32 vcc, 37, v81
	s_and_saveexec_b64 s[12:13], vcc
	s_cbranch_execz .LBB120_894
; %bb.891:
	v_cmp_ne_u32_e32 vcc, 37, v4
	s_xor_b64 s[4:5], s[18:19], -1
	s_and_b64 s[4:5], s[4:5], vcc
	s_and_saveexec_b64 s[14:15], s[4:5]
	s_cbranch_execz .LBB120_893
; %bb.892:
	v_ashrrev_i32_e32 v5, 31, v4
	v_lshl_add_u64 v[6:7], v[4:5], 2, v[46:47]
	global_load_dword v5, v[6:7], off
	global_load_dword v8, v[46:47], off offset:148
	s_waitcnt vmcnt(1)
	global_store_dword v[46:47], v5, off offset:148
	s_waitcnt vmcnt(1)
	global_store_dword v[6:7], v8, off
.LBB120_893:
	s_or_b64 exec, exec, s[14:15]
	v_mov_b32_e32 v81, v4
	v_mov_b32_e32 v80, v4
.LBB120_894:
	s_or_b64 exec, exec, s[12:13]
.LBB120_895:
	s_andn2_saveexec_b64 s[0:1], s[0:1]
	s_cbranch_execz .LBB120_897
; %bb.896:
	scratch_load_dwordx4 v[4:7], off, s43
	scratch_load_dwordx4 v[8:11], off, s42
	scratch_load_dwordx4 v[12:15], off, s41
	scratch_load_dwordx4 v[16:19], off, s40
	scratch_load_dwordx4 v[20:23], off, s39
	scratch_load_dwordx4 v[24:27], off, s38
	scratch_load_dwordx4 v[28:31], off, s37
	scratch_load_dwordx4 v[32:35], off, s36
	scratch_load_dwordx4 v[36:39], off, s35
	scratch_load_dwordx4 v[40:43], off, s34
	scratch_load_dwordx4 v[50:53], off, s33
	scratch_load_dwordx4 v[54:57], off, s31
	scratch_load_dwordx4 v[58:61], off, s30
	scratch_load_dwordx4 v[62:65], off, s29
	scratch_load_dwordx4 v[66:69], off, s28
	scratch_load_dwordx4 v[70:73], off, s27
	scratch_load_dwordx4 v[74:77], off, s26
	scratch_load_dwordx4 v[82:85], off, s25
	scratch_load_dwordx4 v[86:89], off, s24
	scratch_load_dwordx4 v[90:93], off, s23
	scratch_load_dwordx4 v[94:97], off, s22
	scratch_load_dwordx4 v[98:101], off, s21
	scratch_load_dwordx4 v[102:105], off, s20
	v_mov_b32_e32 v81, 37
	s_waitcnt vmcnt(22)
	ds_write2_b64 v78, v[4:5], v[6:7] offset0:76 offset1:77
	s_waitcnt vmcnt(21)
	ds_write2_b64 v78, v[8:9], v[10:11] offset0:78 offset1:79
	;; [unrolled: 2-line block ×23, first 2 shown]
.LBB120_897:
	s_or_b64 exec, exec, s[0:1]
	v_cmp_lt_i32_e32 vcc, 37, v81
	s_waitcnt lgkmcnt(0)
	s_barrier
	s_and_saveexec_b64 s[0:1], vcc
	s_cbranch_execz .LBB120_899
; %bb.898:
	scratch_load_dwordx4 v[4:7], off, off offset:592
	s_waitcnt vmcnt(0)
	v_mul_f64 v[8:9], v[2:3], v[6:7]
	v_mul_f64 v[10:11], v[0:1], v[6:7]
	v_fma_f64 v[8:9], v[0:1], v[4:5], -v[8:9]
	v_fmac_f64_e32 v[10:11], v[2:3], v[4:5]
	ds_read2_b64 v[0:3], v78 offset0:76 offset1:77
	scratch_store_dwordx4 off, v[8:11], off offset:592
	s_waitcnt lgkmcnt(0)
	v_mul_f64 v[4:5], v[2:3], v[10:11]
	v_mul_f64 v[6:7], v[0:1], v[10:11]
	v_fma_f64 v[4:5], v[0:1], v[8:9], -v[4:5]
	v_fmac_f64_e32 v[6:7], v[2:3], v[8:9]
	scratch_load_dwordx4 v[0:3], off, off offset:608
	s_waitcnt vmcnt(0)
	v_add_f64 v[0:1], v[0:1], -v[4:5]
	v_add_f64 v[2:3], v[2:3], -v[6:7]
	scratch_store_dwordx4 off, v[0:3], off offset:608
	ds_read2_b64 v[0:3], v78 offset0:78 offset1:79
	s_waitcnt lgkmcnt(0)
	v_mul_f64 v[4:5], v[2:3], v[10:11]
	v_mul_f64 v[6:7], v[0:1], v[10:11]
	v_fma_f64 v[4:5], v[0:1], v[8:9], -v[4:5]
	v_fmac_f64_e32 v[6:7], v[2:3], v[8:9]
	scratch_load_dwordx4 v[0:3], off, off offset:624
	s_waitcnt vmcnt(0)
	v_add_f64 v[0:1], v[0:1], -v[4:5]
	v_add_f64 v[2:3], v[2:3], -v[6:7]
	scratch_store_dwordx4 off, v[0:3], off offset:624
	ds_read2_b64 v[0:3], v78 offset0:80 offset1:81
	;; [unrolled: 11-line block ×6, first 2 shown]
	scratch_load_dwordx2 v[8:9], off, off offset:592
	scratch_load_dwordx4 v[0:3], off, off offset:592
	s_waitcnt vmcnt(0) lgkmcnt(0)
	v_mul_f64 v[10:11], v[6:7], v[2:3]
	v_mul_f64 v[12:13], v[4:5], v[2:3]
	v_fma_f64 v[10:11], v[4:5], v[8:9], -v[10:11]
	v_fmac_f64_e32 v[12:13], v[6:7], v[8:9]
	scratch_load_dwordx4 v[4:7], off, off offset:704
	s_waitcnt vmcnt(0)
	v_add_f64 v[4:5], v[4:5], -v[10:11]
	v_add_f64 v[6:7], v[6:7], -v[12:13]
	scratch_store_dwordx4 off, v[4:7], off offset:704
	ds_read2_b64 v[4:7], v78 offset0:90 offset1:91
	s_waitcnt lgkmcnt(0)
	v_mul_f64 v[10:11], v[6:7], v[2:3]
	v_mul_f64 v[12:13], v[4:5], v[2:3]
	v_fma_f64 v[10:11], v[4:5], v[8:9], -v[10:11]
	v_fmac_f64_e32 v[12:13], v[6:7], v[8:9]
	scratch_load_dwordx4 v[4:7], off, off offset:720
	s_waitcnt vmcnt(0)
	v_add_f64 v[4:5], v[4:5], -v[10:11]
	v_add_f64 v[6:7], v[6:7], -v[12:13]
	scratch_store_dwordx4 off, v[4:7], off offset:720
	ds_read2_b64 v[4:7], v78 offset0:92 offset1:93
	s_waitcnt lgkmcnt(0)
	;; [unrolled: 11-line block ×5, first 2 shown]
	v_mul_f64 v[10:11], v[6:7], v[2:3]
	v_fma_f64 v[10:11], v[4:5], v[8:9], -v[10:11]
	v_mul_f64 v[12:13], v[4:5], v[2:3]
	scratch_load_dwordx4 v[2:5], off, off offset:784
	v_fmac_f64_e32 v[12:13], v[6:7], v[8:9]
	ds_read2_b64 v[6:9], v78 offset0:100 offset1:101
	s_waitcnt vmcnt(0)
	v_add_f64 v[2:3], v[2:3], -v[10:11]
	v_add_f64 v[4:5], v[4:5], -v[12:13]
	scratch_store_dwordx4 off, v[2:5], off offset:784
	scratch_load_dwordx2 v[2:3], off, off offset:592
	s_nop 0
	scratch_load_dwordx2 v[4:5], off, off offset:600
	s_waitcnt vmcnt(0) lgkmcnt(0)
	v_mul_f64 v[10:11], v[8:9], v[4:5]
	v_mul_f64 v[12:13], v[6:7], v[4:5]
	v_fma_f64 v[10:11], v[6:7], v[2:3], -v[10:11]
	v_fmac_f64_e32 v[12:13], v[8:9], v[2:3]
	scratch_load_dwordx4 v[6:9], off, off offset:800
	s_waitcnt vmcnt(0)
	v_add_f64 v[6:7], v[6:7], -v[10:11]
	v_add_f64 v[8:9], v[8:9], -v[12:13]
	scratch_store_dwordx4 off, v[6:9], off offset:800
	ds_read2_b64 v[6:9], v78 offset0:102 offset1:103
	s_waitcnt lgkmcnt(0)
	v_mul_f64 v[10:11], v[8:9], v[4:5]
	v_mul_f64 v[12:13], v[6:7], v[4:5]
	v_fma_f64 v[10:11], v[6:7], v[2:3], -v[10:11]
	v_fmac_f64_e32 v[12:13], v[8:9], v[2:3]
	scratch_load_dwordx4 v[6:9], off, off offset:816
	s_waitcnt vmcnt(0)
	v_add_f64 v[6:7], v[6:7], -v[10:11]
	v_add_f64 v[8:9], v[8:9], -v[12:13]
	scratch_store_dwordx4 off, v[6:9], off offset:816
	ds_read2_b64 v[6:9], v78 offset0:104 offset1:105
	s_waitcnt lgkmcnt(0)
	;; [unrolled: 11-line block ×5, first 2 shown]
	v_mul_f64 v[10:11], v[8:9], v[4:5]
	v_fma_f64 v[10:11], v[6:7], v[2:3], -v[10:11]
	v_mul_f64 v[6:7], v[6:7], v[4:5]
	v_fmac_f64_e32 v[6:7], v[8:9], v[2:3]
	scratch_load_dwordx4 v[2:5], off, off offset:880
	s_waitcnt vmcnt(0)
	v_add_f64 v[4:5], v[4:5], -v[6:7]
	scratch_load_dwordx2 v[6:7], off, off offset:600
	v_add_f64 v[2:3], v[2:3], -v[10:11]
	scratch_store_dwordx4 off, v[2:5], off offset:880
	ds_read2_b64 v[2:5], v78 offset0:112 offset1:113
	s_waitcnt vmcnt(1) lgkmcnt(0)
	v_mul_f64 v[8:9], v[4:5], v[6:7]
	v_mul_f64 v[10:11], v[2:3], v[6:7]
	v_fma_f64 v[8:9], v[2:3], v[0:1], -v[8:9]
	v_fmac_f64_e32 v[10:11], v[4:5], v[0:1]
	scratch_load_dwordx4 v[2:5], off, off offset:896
	s_waitcnt vmcnt(0)
	v_add_f64 v[2:3], v[2:3], -v[8:9]
	v_add_f64 v[4:5], v[4:5], -v[10:11]
	scratch_store_dwordx4 off, v[2:5], off offset:896
	ds_read2_b64 v[2:5], v78 offset0:114 offset1:115
	s_waitcnt lgkmcnt(0)
	v_mul_f64 v[8:9], v[4:5], v[6:7]
	v_mul_f64 v[10:11], v[2:3], v[6:7]
	v_fma_f64 v[8:9], v[2:3], v[0:1], -v[8:9]
	v_fmac_f64_e32 v[10:11], v[4:5], v[0:1]
	scratch_load_dwordx4 v[2:5], off, off offset:912
	s_waitcnt vmcnt(0)
	v_add_f64 v[2:3], v[2:3], -v[8:9]
	v_add_f64 v[4:5], v[4:5], -v[10:11]
	scratch_store_dwordx4 off, v[2:5], off offset:912
	ds_read2_b64 v[2:5], v78 offset0:116 offset1:117
	s_waitcnt lgkmcnt(0)
	;; [unrolled: 11-line block ×4, first 2 shown]
	v_mul_f64 v[8:9], v[4:5], v[6:7]
	v_mul_f64 v[6:7], v[2:3], v[6:7]
	v_fma_f64 v[8:9], v[2:3], v[0:1], -v[8:9]
	v_fmac_f64_e32 v[6:7], v[4:5], v[0:1]
	scratch_load_dwordx4 v[0:3], off, off offset:960
	s_waitcnt vmcnt(0)
	v_add_f64 v[0:1], v[0:1], -v[8:9]
	v_add_f64 v[2:3], v[2:3], -v[6:7]
	scratch_store_dwordx4 off, v[0:3], off offset:960
.LBB120_899:
	s_or_b64 exec, exec, s[0:1]
	s_barrier
	scratch_load_dwordx4 v[0:3], off, s43
	v_lshl_add_u32 v4, v81, 4, v78
	s_cmp_lt_i32 s51, 40
	s_waitcnt vmcnt(0)
	ds_write2_b64 v4, v[0:1], v[2:3] offset1:1
	s_waitcnt lgkmcnt(0)
	s_barrier
	ds_read2_b64 v[0:3], v78 offset0:76 offset1:77
	v_mov_b32_e32 v4, 38
	s_cbranch_scc1 .LBB120_902
; %bb.900:
	v_add_u32_e32 v5, 0x270, v78
	s_mov_b32 s4, 39
	v_mov_b32_e32 v4, 38
.LBB120_901:                            ; =>This Inner Loop Header: Depth=1
	ds_read2_b64 v[6:9], v5 offset1:1
	s_waitcnt lgkmcnt(1)
	v_xor_b32_e32 v11, 0x80000000, v1
	v_xor_b32_e32 v13, 0x80000000, v3
	v_cmp_gt_f64_e32 vcc, 0, v[2:3]
	v_cmp_gt_f64_e64 s[0:1], 0, v[0:1]
	v_mov_b32_e32 v10, v0
	v_mov_b32_e32 v12, v2
	v_cndmask_b32_e64 v11, v1, v11, s[0:1]
	v_cndmask_b32_e32 v13, v3, v13, vcc
	v_add_f64 v[10:11], v[10:11], v[12:13]
	s_waitcnt lgkmcnt(0)
	v_xor_b32_e32 v13, 0x80000000, v7
	v_xor_b32_e32 v15, 0x80000000, v9
	v_cmp_gt_f64_e32 vcc, 0, v[8:9]
	v_cmp_gt_f64_e64 s[0:1], 0, v[6:7]
	v_mov_b32_e32 v12, v6
	v_mov_b32_e32 v14, v8
	v_cndmask_b32_e64 v13, v7, v13, s[0:1]
	v_cndmask_b32_e32 v15, v9, v15, vcc
	v_add_f64 v[12:13], v[12:13], v[14:15]
	v_mov_b32_e32 v16, s4
	s_add_i32 s4, s4, 1
	v_cmp_lt_f64_e32 vcc, v[10:11], v[12:13]
	v_add_u32_e32 v5, 16, v5
	s_cmp_lg_u32 s51, s4
	v_cndmask_b32_e32 v1, v1, v7, vcc
	v_cndmask_b32_e32 v0, v0, v6, vcc
	;; [unrolled: 1-line block ×5, first 2 shown]
	s_cbranch_scc1 .LBB120_901
.LBB120_902:
	s_waitcnt lgkmcnt(0)
	v_cmp_eq_f64_e32 vcc, 0, v[0:1]
	v_cmp_eq_f64_e64 s[0:1], 0, v[2:3]
	s_and_b64 s[0:1], vcc, s[0:1]
	s_and_saveexec_b64 s[4:5], s[0:1]
	s_xor_b64 s[0:1], exec, s[4:5]
; %bb.903:
	v_cmp_ne_u32_e32 vcc, 0, v79
	s_nop 1
	v_cndmask_b32_e32 v79, 39, v79, vcc
; %bb.904:
	s_andn2_saveexec_b64 s[0:1], s[0:1]
	s_cbranch_execz .LBB120_910
; %bb.905:
	v_cmp_ngt_f64_e64 s[4:5], |v[0:1]|, |v[2:3]|
	s_and_saveexec_b64 s[12:13], s[4:5]
	s_xor_b64 s[12:13], exec, s[12:13]
	s_cbranch_execz .LBB120_907
; %bb.906:
	v_div_scale_f64 v[6:7], s[4:5], v[2:3], v[2:3], v[0:1]
	v_rcp_f64_e32 v[8:9], v[6:7]
	v_div_scale_f64 v[10:11], vcc, v[0:1], v[2:3], v[0:1]
	v_fma_f64 v[12:13], -v[6:7], v[8:9], 1.0
	v_fmac_f64_e32 v[8:9], v[8:9], v[12:13]
	v_fma_f64 v[12:13], -v[6:7], v[8:9], 1.0
	v_fmac_f64_e32 v[8:9], v[8:9], v[12:13]
	v_mul_f64 v[12:13], v[10:11], v[8:9]
	v_fma_f64 v[6:7], -v[6:7], v[12:13], v[10:11]
	v_div_fmas_f64 v[6:7], v[6:7], v[8:9], v[12:13]
	v_div_fixup_f64 v[6:7], v[6:7], v[2:3], v[0:1]
	v_fmac_f64_e32 v[2:3], v[0:1], v[6:7]
	v_div_scale_f64 v[0:1], s[4:5], v[2:3], v[2:3], 1.0
	v_rcp_f64_e32 v[8:9], v[0:1]
	s_nop 0
	v_fma_f64 v[10:11], -v[0:1], v[8:9], 1.0
	v_fmac_f64_e32 v[8:9], v[8:9], v[10:11]
	v_fma_f64 v[10:11], -v[0:1], v[8:9], 1.0
	v_fmac_f64_e32 v[8:9], v[8:9], v[10:11]
	v_div_scale_f64 v[10:11], vcc, 1.0, v[2:3], 1.0
	v_mul_f64 v[12:13], v[10:11], v[8:9]
	v_fma_f64 v[0:1], -v[0:1], v[12:13], v[10:11]
	s_nop 1
	v_div_fmas_f64 v[0:1], v[0:1], v[8:9], v[12:13]
	v_div_fixup_f64 v[2:3], v[0:1], v[2:3], 1.0
	v_mul_f64 v[0:1], v[6:7], v[2:3]
	v_xor_b32_e32 v3, 0x80000000, v3
.LBB120_907:
	s_andn2_saveexec_b64 s[12:13], s[12:13]
	s_cbranch_execz .LBB120_909
; %bb.908:
	v_div_scale_f64 v[6:7], s[4:5], v[0:1], v[0:1], v[2:3]
	v_rcp_f64_e32 v[8:9], v[6:7]
	v_div_scale_f64 v[10:11], vcc, v[2:3], v[0:1], v[2:3]
	v_fma_f64 v[12:13], -v[6:7], v[8:9], 1.0
	v_fmac_f64_e32 v[8:9], v[8:9], v[12:13]
	v_fma_f64 v[12:13], -v[6:7], v[8:9], 1.0
	v_fmac_f64_e32 v[8:9], v[8:9], v[12:13]
	v_mul_f64 v[12:13], v[10:11], v[8:9]
	v_fma_f64 v[6:7], -v[6:7], v[12:13], v[10:11]
	v_div_fmas_f64 v[6:7], v[6:7], v[8:9], v[12:13]
	v_div_fixup_f64 v[6:7], v[6:7], v[0:1], v[2:3]
	v_fmac_f64_e32 v[0:1], v[2:3], v[6:7]
	v_div_scale_f64 v[2:3], s[4:5], v[0:1], v[0:1], 1.0
	v_rcp_f64_e32 v[8:9], v[2:3]
	s_nop 0
	v_fma_f64 v[10:11], -v[2:3], v[8:9], 1.0
	v_fmac_f64_e32 v[8:9], v[8:9], v[10:11]
	v_fma_f64 v[10:11], -v[2:3], v[8:9], 1.0
	v_fmac_f64_e32 v[8:9], v[8:9], v[10:11]
	v_div_scale_f64 v[10:11], vcc, 1.0, v[0:1], 1.0
	v_mul_f64 v[12:13], v[10:11], v[8:9]
	v_fma_f64 v[2:3], -v[2:3], v[12:13], v[10:11]
	s_nop 1
	v_div_fmas_f64 v[2:3], v[2:3], v[8:9], v[12:13]
	v_div_fixup_f64 v[0:1], v[2:3], v[0:1], 1.0
	v_mul_f64 v[2:3], v[6:7], -v[0:1]
.LBB120_909:
	s_or_b64 exec, exec, s[12:13]
.LBB120_910:
	s_or_b64 exec, exec, s[0:1]
	v_cmp_ne_u32_e32 vcc, v81, v4
	s_and_saveexec_b64 s[0:1], vcc
	s_xor_b64 s[0:1], exec, s[0:1]
	s_cbranch_execz .LBB120_916
; %bb.911:
	v_cmp_eq_u32_e32 vcc, 38, v81
	s_and_saveexec_b64 s[12:13], vcc
	s_cbranch_execz .LBB120_915
; %bb.912:
	v_cmp_ne_u32_e32 vcc, 38, v4
	s_xor_b64 s[4:5], s[18:19], -1
	s_and_b64 s[4:5], s[4:5], vcc
	s_and_saveexec_b64 s[14:15], s[4:5]
	s_cbranch_execz .LBB120_914
; %bb.913:
	v_ashrrev_i32_e32 v5, 31, v4
	v_lshl_add_u64 v[6:7], v[4:5], 2, v[46:47]
	global_load_dword v5, v[6:7], off
	global_load_dword v8, v[46:47], off offset:152
	s_waitcnt vmcnt(1)
	global_store_dword v[46:47], v5, off offset:152
	s_waitcnt vmcnt(1)
	global_store_dword v[6:7], v8, off
.LBB120_914:
	s_or_b64 exec, exec, s[14:15]
	v_mov_b32_e32 v81, v4
	v_mov_b32_e32 v80, v4
.LBB120_915:
	s_or_b64 exec, exec, s[12:13]
.LBB120_916:
	s_andn2_saveexec_b64 s[0:1], s[0:1]
	s_cbranch_execz .LBB120_918
; %bb.917:
	scratch_load_dwordx4 v[4:7], off, s42
	scratch_load_dwordx4 v[8:11], off, s41
	;; [unrolled: 1-line block ×22, first 2 shown]
	v_mov_b32_e32 v81, 38
	s_waitcnt vmcnt(21)
	ds_write2_b64 v78, v[4:5], v[6:7] offset0:78 offset1:79
	s_waitcnt vmcnt(20)
	ds_write2_b64 v78, v[8:9], v[10:11] offset0:80 offset1:81
	;; [unrolled: 2-line block ×22, first 2 shown]
.LBB120_918:
	s_or_b64 exec, exec, s[0:1]
	v_cmp_lt_i32_e32 vcc, 38, v81
	s_waitcnt lgkmcnt(0)
	s_barrier
	s_and_saveexec_b64 s[0:1], vcc
	s_cbranch_execz .LBB120_920
; %bb.919:
	scratch_load_dwordx4 v[4:7], off, off offset:608
	s_waitcnt vmcnt(0)
	v_mul_f64 v[8:9], v[2:3], v[6:7]
	v_mul_f64 v[10:11], v[0:1], v[6:7]
	v_fma_f64 v[8:9], v[0:1], v[4:5], -v[8:9]
	v_fmac_f64_e32 v[10:11], v[2:3], v[4:5]
	ds_read2_b64 v[0:3], v78 offset0:78 offset1:79
	scratch_store_dwordx4 off, v[8:11], off offset:608
	s_waitcnt lgkmcnt(0)
	v_mul_f64 v[4:5], v[2:3], v[10:11]
	v_mul_f64 v[6:7], v[0:1], v[10:11]
	v_fma_f64 v[4:5], v[0:1], v[8:9], -v[4:5]
	v_fmac_f64_e32 v[6:7], v[2:3], v[8:9]
	scratch_load_dwordx4 v[0:3], off, off offset:624
	s_waitcnt vmcnt(0)
	v_add_f64 v[0:1], v[0:1], -v[4:5]
	v_add_f64 v[2:3], v[2:3], -v[6:7]
	scratch_store_dwordx4 off, v[0:3], off offset:624
	ds_read2_b64 v[0:3], v78 offset0:80 offset1:81
	s_waitcnt lgkmcnt(0)
	v_mul_f64 v[4:5], v[2:3], v[10:11]
	v_mul_f64 v[6:7], v[0:1], v[10:11]
	v_fma_f64 v[4:5], v[0:1], v[8:9], -v[4:5]
	v_fmac_f64_e32 v[6:7], v[2:3], v[8:9]
	scratch_load_dwordx4 v[0:3], off, off offset:640
	s_waitcnt vmcnt(0)
	v_add_f64 v[0:1], v[0:1], -v[4:5]
	v_add_f64 v[2:3], v[2:3], -v[6:7]
	scratch_store_dwordx4 off, v[0:3], off offset:640
	ds_read2_b64 v[0:3], v78 offset0:82 offset1:83
	;; [unrolled: 11-line block ×6, first 2 shown]
	scratch_load_dwordx2 v[8:9], off, off offset:608
	scratch_load_dwordx4 v[0:3], off, off offset:608
	s_waitcnt vmcnt(0) lgkmcnt(0)
	v_mul_f64 v[10:11], v[6:7], v[2:3]
	v_mul_f64 v[12:13], v[4:5], v[2:3]
	v_fma_f64 v[10:11], v[4:5], v[8:9], -v[10:11]
	v_fmac_f64_e32 v[12:13], v[6:7], v[8:9]
	scratch_load_dwordx4 v[4:7], off, off offset:720
	s_waitcnt vmcnt(0)
	v_add_f64 v[4:5], v[4:5], -v[10:11]
	v_add_f64 v[6:7], v[6:7], -v[12:13]
	scratch_store_dwordx4 off, v[4:7], off offset:720
	ds_read2_b64 v[4:7], v78 offset0:92 offset1:93
	s_waitcnt lgkmcnt(0)
	v_mul_f64 v[10:11], v[6:7], v[2:3]
	v_mul_f64 v[12:13], v[4:5], v[2:3]
	v_fma_f64 v[10:11], v[4:5], v[8:9], -v[10:11]
	v_fmac_f64_e32 v[12:13], v[6:7], v[8:9]
	scratch_load_dwordx4 v[4:7], off, off offset:736
	s_waitcnt vmcnt(0)
	v_add_f64 v[4:5], v[4:5], -v[10:11]
	v_add_f64 v[6:7], v[6:7], -v[12:13]
	scratch_store_dwordx4 off, v[4:7], off offset:736
	ds_read2_b64 v[4:7], v78 offset0:94 offset1:95
	s_waitcnt lgkmcnt(0)
	v_mul_f64 v[10:11], v[6:7], v[2:3]
	v_mul_f64 v[12:13], v[4:5], v[2:3]
	v_fma_f64 v[10:11], v[4:5], v[8:9], -v[10:11]
	v_fmac_f64_e32 v[12:13], v[6:7], v[8:9]
	scratch_load_dwordx4 v[4:7], off, off offset:752
	s_waitcnt vmcnt(0)
	v_add_f64 v[4:5], v[4:5], -v[10:11]
	v_add_f64 v[6:7], v[6:7], -v[12:13]
	scratch_store_dwordx4 off, v[4:7], off offset:752
	ds_read2_b64 v[4:7], v78 offset0:96 offset1:97
	s_waitcnt lgkmcnt(0)
	v_mul_f64 v[10:11], v[6:7], v[2:3]
	v_mul_f64 v[12:13], v[4:5], v[2:3]
	v_fma_f64 v[10:11], v[4:5], v[8:9], -v[10:11]
	v_fmac_f64_e32 v[12:13], v[6:7], v[8:9]
	scratch_load_dwordx4 v[4:7], off, off offset:768
	s_waitcnt vmcnt(0)
	v_add_f64 v[4:5], v[4:5], -v[10:11]
	v_add_f64 v[6:7], v[6:7], -v[12:13]
	scratch_store_dwordx4 off, v[4:7], off offset:768
	ds_read2_b64 v[4:7], v78 offset0:98 offset1:99
	s_waitcnt lgkmcnt(0)
	v_mul_f64 v[10:11], v[6:7], v[2:3]
	v_mul_f64 v[12:13], v[4:5], v[2:3]
	v_fma_f64 v[10:11], v[4:5], v[8:9], -v[10:11]
	v_fmac_f64_e32 v[12:13], v[6:7], v[8:9]
	scratch_load_dwordx4 v[4:7], off, off offset:784
	s_waitcnt vmcnt(0)
	v_add_f64 v[4:5], v[4:5], -v[10:11]
	v_add_f64 v[6:7], v[6:7], -v[12:13]
	scratch_store_dwordx4 off, v[4:7], off offset:784
	ds_read2_b64 v[4:7], v78 offset0:100 offset1:101
	s_waitcnt lgkmcnt(0)
	v_mul_f64 v[10:11], v[6:7], v[2:3]
	v_fma_f64 v[10:11], v[4:5], v[8:9], -v[10:11]
	v_mul_f64 v[12:13], v[4:5], v[2:3]
	scratch_load_dwordx4 v[2:5], off, off offset:800
	v_fmac_f64_e32 v[12:13], v[6:7], v[8:9]
	ds_read2_b64 v[6:9], v78 offset0:102 offset1:103
	s_waitcnt vmcnt(0)
	v_add_f64 v[2:3], v[2:3], -v[10:11]
	v_add_f64 v[4:5], v[4:5], -v[12:13]
	scratch_store_dwordx4 off, v[2:5], off offset:800
	scratch_load_dwordx2 v[2:3], off, off offset:608
	s_nop 0
	scratch_load_dwordx2 v[4:5], off, off offset:616
	s_waitcnt vmcnt(0) lgkmcnt(0)
	v_mul_f64 v[10:11], v[8:9], v[4:5]
	v_mul_f64 v[12:13], v[6:7], v[4:5]
	v_fma_f64 v[10:11], v[6:7], v[2:3], -v[10:11]
	v_fmac_f64_e32 v[12:13], v[8:9], v[2:3]
	scratch_load_dwordx4 v[6:9], off, off offset:816
	s_waitcnt vmcnt(0)
	v_add_f64 v[6:7], v[6:7], -v[10:11]
	v_add_f64 v[8:9], v[8:9], -v[12:13]
	scratch_store_dwordx4 off, v[6:9], off offset:816
	ds_read2_b64 v[6:9], v78 offset0:104 offset1:105
	s_waitcnt lgkmcnt(0)
	v_mul_f64 v[10:11], v[8:9], v[4:5]
	v_mul_f64 v[12:13], v[6:7], v[4:5]
	v_fma_f64 v[10:11], v[6:7], v[2:3], -v[10:11]
	v_fmac_f64_e32 v[12:13], v[8:9], v[2:3]
	scratch_load_dwordx4 v[6:9], off, off offset:832
	s_waitcnt vmcnt(0)
	v_add_f64 v[6:7], v[6:7], -v[10:11]
	v_add_f64 v[8:9], v[8:9], -v[12:13]
	scratch_store_dwordx4 off, v[6:9], off offset:832
	ds_read2_b64 v[6:9], v78 offset0:106 offset1:107
	s_waitcnt lgkmcnt(0)
	v_mul_f64 v[10:11], v[8:9], v[4:5]
	v_mul_f64 v[12:13], v[6:7], v[4:5]
	v_fma_f64 v[10:11], v[6:7], v[2:3], -v[10:11]
	v_fmac_f64_e32 v[12:13], v[8:9], v[2:3]
	scratch_load_dwordx4 v[6:9], off, off offset:848
	s_waitcnt vmcnt(0)
	v_add_f64 v[6:7], v[6:7], -v[10:11]
	v_add_f64 v[8:9], v[8:9], -v[12:13]
	scratch_store_dwordx4 off, v[6:9], off offset:848
	ds_read2_b64 v[6:9], v78 offset0:108 offset1:109
	s_waitcnt lgkmcnt(0)
	v_mul_f64 v[10:11], v[8:9], v[4:5]
	v_mul_f64 v[12:13], v[6:7], v[4:5]
	v_fma_f64 v[10:11], v[6:7], v[2:3], -v[10:11]
	v_fmac_f64_e32 v[12:13], v[8:9], v[2:3]
	scratch_load_dwordx4 v[6:9], off, off offset:864
	s_waitcnt vmcnt(0)
	v_add_f64 v[6:7], v[6:7], -v[10:11]
	v_add_f64 v[8:9], v[8:9], -v[12:13]
	scratch_store_dwordx4 off, v[6:9], off offset:864
	ds_read2_b64 v[6:9], v78 offset0:110 offset1:111
	s_waitcnt lgkmcnt(0)
	v_mul_f64 v[10:11], v[8:9], v[4:5]
	v_mul_f64 v[12:13], v[6:7], v[4:5]
	v_fma_f64 v[10:11], v[6:7], v[2:3], -v[10:11]
	v_fmac_f64_e32 v[12:13], v[8:9], v[2:3]
	scratch_load_dwordx4 v[6:9], off, off offset:880
	s_waitcnt vmcnt(0)
	v_add_f64 v[6:7], v[6:7], -v[10:11]
	v_add_f64 v[8:9], v[8:9], -v[12:13]
	scratch_store_dwordx4 off, v[6:9], off offset:880
	ds_read2_b64 v[6:9], v78 offset0:112 offset1:113
	s_waitcnt lgkmcnt(0)
	v_mul_f64 v[10:11], v[8:9], v[4:5]
	v_fma_f64 v[10:11], v[6:7], v[2:3], -v[10:11]
	v_mul_f64 v[6:7], v[6:7], v[4:5]
	v_fmac_f64_e32 v[6:7], v[8:9], v[2:3]
	scratch_load_dwordx4 v[2:5], off, off offset:896
	s_waitcnt vmcnt(0)
	v_add_f64 v[4:5], v[4:5], -v[6:7]
	scratch_load_dwordx2 v[6:7], off, off offset:616
	v_add_f64 v[2:3], v[2:3], -v[10:11]
	scratch_store_dwordx4 off, v[2:5], off offset:896
	ds_read2_b64 v[2:5], v78 offset0:114 offset1:115
	s_waitcnt vmcnt(1) lgkmcnt(0)
	v_mul_f64 v[8:9], v[4:5], v[6:7]
	v_mul_f64 v[10:11], v[2:3], v[6:7]
	v_fma_f64 v[8:9], v[2:3], v[0:1], -v[8:9]
	v_fmac_f64_e32 v[10:11], v[4:5], v[0:1]
	scratch_load_dwordx4 v[2:5], off, off offset:912
	s_waitcnt vmcnt(0)
	v_add_f64 v[2:3], v[2:3], -v[8:9]
	v_add_f64 v[4:5], v[4:5], -v[10:11]
	scratch_store_dwordx4 off, v[2:5], off offset:912
	ds_read2_b64 v[2:5], v78 offset0:116 offset1:117
	s_waitcnt lgkmcnt(0)
	v_mul_f64 v[8:9], v[4:5], v[6:7]
	v_mul_f64 v[10:11], v[2:3], v[6:7]
	v_fma_f64 v[8:9], v[2:3], v[0:1], -v[8:9]
	v_fmac_f64_e32 v[10:11], v[4:5], v[0:1]
	scratch_load_dwordx4 v[2:5], off, off offset:928
	s_waitcnt vmcnt(0)
	v_add_f64 v[2:3], v[2:3], -v[8:9]
	v_add_f64 v[4:5], v[4:5], -v[10:11]
	scratch_store_dwordx4 off, v[2:5], off offset:928
	ds_read2_b64 v[2:5], v78 offset0:118 offset1:119
	s_waitcnt lgkmcnt(0)
	;; [unrolled: 11-line block ×3, first 2 shown]
	v_mul_f64 v[8:9], v[4:5], v[6:7]
	v_mul_f64 v[6:7], v[2:3], v[6:7]
	v_fma_f64 v[8:9], v[2:3], v[0:1], -v[8:9]
	v_fmac_f64_e32 v[6:7], v[4:5], v[0:1]
	scratch_load_dwordx4 v[0:3], off, off offset:960
	s_waitcnt vmcnt(0)
	v_add_f64 v[0:1], v[0:1], -v[8:9]
	v_add_f64 v[2:3], v[2:3], -v[6:7]
	scratch_store_dwordx4 off, v[0:3], off offset:960
.LBB120_920:
	s_or_b64 exec, exec, s[0:1]
	s_barrier
	scratch_load_dwordx4 v[0:3], off, s42
	v_lshl_add_u32 v4, v81, 4, v78
	s_cmp_lt_i32 s51, 41
	s_waitcnt vmcnt(0)
	ds_write2_b64 v4, v[0:1], v[2:3] offset1:1
	s_waitcnt lgkmcnt(0)
	s_barrier
	ds_read2_b64 v[0:3], v78 offset0:78 offset1:79
	v_mov_b32_e32 v4, 39
	s_cbranch_scc1 .LBB120_923
; %bb.921:
	v_add_u32_e32 v5, 0x280, v78
	s_mov_b32 s4, 40
	v_mov_b32_e32 v4, 39
.LBB120_922:                            ; =>This Inner Loop Header: Depth=1
	ds_read2_b64 v[6:9], v5 offset1:1
	s_waitcnt lgkmcnt(1)
	v_xor_b32_e32 v11, 0x80000000, v1
	v_xor_b32_e32 v13, 0x80000000, v3
	v_cmp_gt_f64_e32 vcc, 0, v[2:3]
	v_cmp_gt_f64_e64 s[0:1], 0, v[0:1]
	v_mov_b32_e32 v10, v0
	v_mov_b32_e32 v12, v2
	v_cndmask_b32_e64 v11, v1, v11, s[0:1]
	v_cndmask_b32_e32 v13, v3, v13, vcc
	v_add_f64 v[10:11], v[10:11], v[12:13]
	s_waitcnt lgkmcnt(0)
	v_xor_b32_e32 v13, 0x80000000, v7
	v_xor_b32_e32 v15, 0x80000000, v9
	v_cmp_gt_f64_e32 vcc, 0, v[8:9]
	v_cmp_gt_f64_e64 s[0:1], 0, v[6:7]
	v_mov_b32_e32 v12, v6
	v_mov_b32_e32 v14, v8
	v_cndmask_b32_e64 v13, v7, v13, s[0:1]
	v_cndmask_b32_e32 v15, v9, v15, vcc
	v_add_f64 v[12:13], v[12:13], v[14:15]
	v_mov_b32_e32 v16, s4
	s_add_i32 s4, s4, 1
	v_cmp_lt_f64_e32 vcc, v[10:11], v[12:13]
	v_add_u32_e32 v5, 16, v5
	s_cmp_lg_u32 s51, s4
	v_cndmask_b32_e32 v1, v1, v7, vcc
	v_cndmask_b32_e32 v0, v0, v6, vcc
	;; [unrolled: 1-line block ×5, first 2 shown]
	s_cbranch_scc1 .LBB120_922
.LBB120_923:
	s_waitcnt lgkmcnt(0)
	v_cmp_eq_f64_e32 vcc, 0, v[0:1]
	v_cmp_eq_f64_e64 s[0:1], 0, v[2:3]
	s_and_b64 s[0:1], vcc, s[0:1]
	s_and_saveexec_b64 s[4:5], s[0:1]
	s_xor_b64 s[0:1], exec, s[4:5]
; %bb.924:
	v_cmp_ne_u32_e32 vcc, 0, v79
	s_nop 1
	v_cndmask_b32_e32 v79, 40, v79, vcc
; %bb.925:
	s_andn2_saveexec_b64 s[0:1], s[0:1]
	s_cbranch_execz .LBB120_931
; %bb.926:
	v_cmp_ngt_f64_e64 s[4:5], |v[0:1]|, |v[2:3]|
	s_and_saveexec_b64 s[12:13], s[4:5]
	s_xor_b64 s[12:13], exec, s[12:13]
	s_cbranch_execz .LBB120_928
; %bb.927:
	v_div_scale_f64 v[6:7], s[4:5], v[2:3], v[2:3], v[0:1]
	v_rcp_f64_e32 v[8:9], v[6:7]
	v_div_scale_f64 v[10:11], vcc, v[0:1], v[2:3], v[0:1]
	v_fma_f64 v[12:13], -v[6:7], v[8:9], 1.0
	v_fmac_f64_e32 v[8:9], v[8:9], v[12:13]
	v_fma_f64 v[12:13], -v[6:7], v[8:9], 1.0
	v_fmac_f64_e32 v[8:9], v[8:9], v[12:13]
	v_mul_f64 v[12:13], v[10:11], v[8:9]
	v_fma_f64 v[6:7], -v[6:7], v[12:13], v[10:11]
	v_div_fmas_f64 v[6:7], v[6:7], v[8:9], v[12:13]
	v_div_fixup_f64 v[6:7], v[6:7], v[2:3], v[0:1]
	v_fmac_f64_e32 v[2:3], v[0:1], v[6:7]
	v_div_scale_f64 v[0:1], s[4:5], v[2:3], v[2:3], 1.0
	v_rcp_f64_e32 v[8:9], v[0:1]
	s_nop 0
	v_fma_f64 v[10:11], -v[0:1], v[8:9], 1.0
	v_fmac_f64_e32 v[8:9], v[8:9], v[10:11]
	v_fma_f64 v[10:11], -v[0:1], v[8:9], 1.0
	v_fmac_f64_e32 v[8:9], v[8:9], v[10:11]
	v_div_scale_f64 v[10:11], vcc, 1.0, v[2:3], 1.0
	v_mul_f64 v[12:13], v[10:11], v[8:9]
	v_fma_f64 v[0:1], -v[0:1], v[12:13], v[10:11]
	s_nop 1
	v_div_fmas_f64 v[0:1], v[0:1], v[8:9], v[12:13]
	v_div_fixup_f64 v[2:3], v[0:1], v[2:3], 1.0
	v_mul_f64 v[0:1], v[6:7], v[2:3]
	v_xor_b32_e32 v3, 0x80000000, v3
.LBB120_928:
	s_andn2_saveexec_b64 s[12:13], s[12:13]
	s_cbranch_execz .LBB120_930
; %bb.929:
	v_div_scale_f64 v[6:7], s[4:5], v[0:1], v[0:1], v[2:3]
	v_rcp_f64_e32 v[8:9], v[6:7]
	v_div_scale_f64 v[10:11], vcc, v[2:3], v[0:1], v[2:3]
	v_fma_f64 v[12:13], -v[6:7], v[8:9], 1.0
	v_fmac_f64_e32 v[8:9], v[8:9], v[12:13]
	v_fma_f64 v[12:13], -v[6:7], v[8:9], 1.0
	v_fmac_f64_e32 v[8:9], v[8:9], v[12:13]
	v_mul_f64 v[12:13], v[10:11], v[8:9]
	v_fma_f64 v[6:7], -v[6:7], v[12:13], v[10:11]
	v_div_fmas_f64 v[6:7], v[6:7], v[8:9], v[12:13]
	v_div_fixup_f64 v[6:7], v[6:7], v[0:1], v[2:3]
	v_fmac_f64_e32 v[0:1], v[2:3], v[6:7]
	v_div_scale_f64 v[2:3], s[4:5], v[0:1], v[0:1], 1.0
	v_rcp_f64_e32 v[8:9], v[2:3]
	s_nop 0
	v_fma_f64 v[10:11], -v[2:3], v[8:9], 1.0
	v_fmac_f64_e32 v[8:9], v[8:9], v[10:11]
	v_fma_f64 v[10:11], -v[2:3], v[8:9], 1.0
	v_fmac_f64_e32 v[8:9], v[8:9], v[10:11]
	v_div_scale_f64 v[10:11], vcc, 1.0, v[0:1], 1.0
	v_mul_f64 v[12:13], v[10:11], v[8:9]
	v_fma_f64 v[2:3], -v[2:3], v[12:13], v[10:11]
	s_nop 1
	v_div_fmas_f64 v[2:3], v[2:3], v[8:9], v[12:13]
	v_div_fixup_f64 v[0:1], v[2:3], v[0:1], 1.0
	v_mul_f64 v[2:3], v[6:7], -v[0:1]
.LBB120_930:
	s_or_b64 exec, exec, s[12:13]
.LBB120_931:
	s_or_b64 exec, exec, s[0:1]
	v_cmp_ne_u32_e32 vcc, v81, v4
	s_and_saveexec_b64 s[0:1], vcc
	s_xor_b64 s[0:1], exec, s[0:1]
	s_cbranch_execz .LBB120_937
; %bb.932:
	v_cmp_eq_u32_e32 vcc, 39, v81
	s_and_saveexec_b64 s[12:13], vcc
	s_cbranch_execz .LBB120_936
; %bb.933:
	v_cmp_ne_u32_e32 vcc, 39, v4
	s_xor_b64 s[4:5], s[18:19], -1
	s_and_b64 s[4:5], s[4:5], vcc
	s_and_saveexec_b64 s[14:15], s[4:5]
	s_cbranch_execz .LBB120_935
; %bb.934:
	v_ashrrev_i32_e32 v5, 31, v4
	v_lshl_add_u64 v[6:7], v[4:5], 2, v[46:47]
	global_load_dword v5, v[6:7], off
	global_load_dword v8, v[46:47], off offset:156
	s_waitcnt vmcnt(1)
	global_store_dword v[46:47], v5, off offset:156
	s_waitcnt vmcnt(1)
	global_store_dword v[6:7], v8, off
.LBB120_935:
	s_or_b64 exec, exec, s[14:15]
	v_mov_b32_e32 v81, v4
	v_mov_b32_e32 v80, v4
.LBB120_936:
	s_or_b64 exec, exec, s[12:13]
.LBB120_937:
	s_andn2_saveexec_b64 s[0:1], s[0:1]
	s_cbranch_execz .LBB120_939
; %bb.938:
	scratch_load_dwordx4 v[4:7], off, s41
	scratch_load_dwordx4 v[8:11], off, s40
	;; [unrolled: 1-line block ×21, first 2 shown]
	v_mov_b32_e32 v81, 39
	s_waitcnt vmcnt(20)
	ds_write2_b64 v78, v[4:5], v[6:7] offset0:80 offset1:81
	s_waitcnt vmcnt(19)
	ds_write2_b64 v78, v[8:9], v[10:11] offset0:82 offset1:83
	;; [unrolled: 2-line block ×21, first 2 shown]
.LBB120_939:
	s_or_b64 exec, exec, s[0:1]
	v_cmp_lt_i32_e32 vcc, 39, v81
	s_waitcnt lgkmcnt(0)
	s_barrier
	s_and_saveexec_b64 s[0:1], vcc
	s_cbranch_execz .LBB120_941
; %bb.940:
	scratch_load_dwordx4 v[4:7], off, off offset:624
	s_waitcnt vmcnt(0)
	v_mul_f64 v[8:9], v[2:3], v[6:7]
	v_mul_f64 v[10:11], v[0:1], v[6:7]
	v_fma_f64 v[8:9], v[0:1], v[4:5], -v[8:9]
	v_fmac_f64_e32 v[10:11], v[2:3], v[4:5]
	ds_read2_b64 v[0:3], v78 offset0:80 offset1:81
	scratch_store_dwordx4 off, v[8:11], off offset:624
	s_waitcnt lgkmcnt(0)
	v_mul_f64 v[4:5], v[2:3], v[10:11]
	v_mul_f64 v[6:7], v[0:1], v[10:11]
	v_fma_f64 v[4:5], v[0:1], v[8:9], -v[4:5]
	v_fmac_f64_e32 v[6:7], v[2:3], v[8:9]
	scratch_load_dwordx4 v[0:3], off, off offset:640
	s_waitcnt vmcnt(0)
	v_add_f64 v[0:1], v[0:1], -v[4:5]
	v_add_f64 v[2:3], v[2:3], -v[6:7]
	scratch_store_dwordx4 off, v[0:3], off offset:640
	ds_read2_b64 v[0:3], v78 offset0:82 offset1:83
	s_waitcnt lgkmcnt(0)
	v_mul_f64 v[4:5], v[2:3], v[10:11]
	v_mul_f64 v[6:7], v[0:1], v[10:11]
	v_fma_f64 v[4:5], v[0:1], v[8:9], -v[4:5]
	v_fmac_f64_e32 v[6:7], v[2:3], v[8:9]
	scratch_load_dwordx4 v[0:3], off, off offset:656
	s_waitcnt vmcnt(0)
	v_add_f64 v[0:1], v[0:1], -v[4:5]
	v_add_f64 v[2:3], v[2:3], -v[6:7]
	scratch_store_dwordx4 off, v[0:3], off offset:656
	ds_read2_b64 v[0:3], v78 offset0:84 offset1:85
	;; [unrolled: 11-line block ×6, first 2 shown]
	scratch_load_dwordx2 v[8:9], off, off offset:624
	scratch_load_dwordx4 v[0:3], off, off offset:624
	s_waitcnt vmcnt(0) lgkmcnt(0)
	v_mul_f64 v[10:11], v[6:7], v[2:3]
	v_mul_f64 v[12:13], v[4:5], v[2:3]
	v_fma_f64 v[10:11], v[4:5], v[8:9], -v[10:11]
	v_fmac_f64_e32 v[12:13], v[6:7], v[8:9]
	scratch_load_dwordx4 v[4:7], off, off offset:736
	s_waitcnt vmcnt(0)
	v_add_f64 v[4:5], v[4:5], -v[10:11]
	v_add_f64 v[6:7], v[6:7], -v[12:13]
	scratch_store_dwordx4 off, v[4:7], off offset:736
	ds_read2_b64 v[4:7], v78 offset0:94 offset1:95
	s_waitcnt lgkmcnt(0)
	v_mul_f64 v[10:11], v[6:7], v[2:3]
	v_mul_f64 v[12:13], v[4:5], v[2:3]
	v_fma_f64 v[10:11], v[4:5], v[8:9], -v[10:11]
	v_fmac_f64_e32 v[12:13], v[6:7], v[8:9]
	scratch_load_dwordx4 v[4:7], off, off offset:752
	s_waitcnt vmcnt(0)
	v_add_f64 v[4:5], v[4:5], -v[10:11]
	v_add_f64 v[6:7], v[6:7], -v[12:13]
	scratch_store_dwordx4 off, v[4:7], off offset:752
	ds_read2_b64 v[4:7], v78 offset0:96 offset1:97
	s_waitcnt lgkmcnt(0)
	;; [unrolled: 11-line block ×5, first 2 shown]
	v_mul_f64 v[10:11], v[6:7], v[2:3]
	v_fma_f64 v[10:11], v[4:5], v[8:9], -v[10:11]
	v_mul_f64 v[12:13], v[4:5], v[2:3]
	scratch_load_dwordx4 v[2:5], off, off offset:816
	v_fmac_f64_e32 v[12:13], v[6:7], v[8:9]
	ds_read2_b64 v[6:9], v78 offset0:104 offset1:105
	s_waitcnt vmcnt(0)
	v_add_f64 v[2:3], v[2:3], -v[10:11]
	v_add_f64 v[4:5], v[4:5], -v[12:13]
	scratch_store_dwordx4 off, v[2:5], off offset:816
	scratch_load_dwordx2 v[2:3], off, off offset:624
	s_nop 0
	scratch_load_dwordx2 v[4:5], off, off offset:632
	s_waitcnt vmcnt(0) lgkmcnt(0)
	v_mul_f64 v[10:11], v[8:9], v[4:5]
	v_mul_f64 v[12:13], v[6:7], v[4:5]
	v_fma_f64 v[10:11], v[6:7], v[2:3], -v[10:11]
	v_fmac_f64_e32 v[12:13], v[8:9], v[2:3]
	scratch_load_dwordx4 v[6:9], off, off offset:832
	s_waitcnt vmcnt(0)
	v_add_f64 v[6:7], v[6:7], -v[10:11]
	v_add_f64 v[8:9], v[8:9], -v[12:13]
	scratch_store_dwordx4 off, v[6:9], off offset:832
	ds_read2_b64 v[6:9], v78 offset0:106 offset1:107
	s_waitcnt lgkmcnt(0)
	v_mul_f64 v[10:11], v[8:9], v[4:5]
	v_mul_f64 v[12:13], v[6:7], v[4:5]
	v_fma_f64 v[10:11], v[6:7], v[2:3], -v[10:11]
	v_fmac_f64_e32 v[12:13], v[8:9], v[2:3]
	scratch_load_dwordx4 v[6:9], off, off offset:848
	s_waitcnt vmcnt(0)
	v_add_f64 v[6:7], v[6:7], -v[10:11]
	v_add_f64 v[8:9], v[8:9], -v[12:13]
	scratch_store_dwordx4 off, v[6:9], off offset:848
	ds_read2_b64 v[6:9], v78 offset0:108 offset1:109
	s_waitcnt lgkmcnt(0)
	;; [unrolled: 11-line block ×5, first 2 shown]
	v_mul_f64 v[10:11], v[8:9], v[4:5]
	v_fma_f64 v[10:11], v[6:7], v[2:3], -v[10:11]
	v_mul_f64 v[6:7], v[6:7], v[4:5]
	v_fmac_f64_e32 v[6:7], v[8:9], v[2:3]
	scratch_load_dwordx4 v[2:5], off, off offset:912
	scratch_load_dwordx2 v[8:9], off, off offset:632
	s_waitcnt vmcnt(1)
	v_add_f64 v[2:3], v[2:3], -v[10:11]
	v_add_f64 v[4:5], v[4:5], -v[6:7]
	scratch_store_dwordx4 off, v[2:5], off offset:912
	ds_read2_b64 v[2:5], v78 offset0:116 offset1:117
	s_waitcnt vmcnt(1) lgkmcnt(0)
	v_mul_f64 v[6:7], v[4:5], v[8:9]
	v_mul_f64 v[10:11], v[2:3], v[8:9]
	v_fma_f64 v[6:7], v[2:3], v[0:1], -v[6:7]
	v_fmac_f64_e32 v[10:11], v[4:5], v[0:1]
	scratch_load_dwordx4 v[2:5], off, off offset:928
	s_waitcnt vmcnt(0)
	v_add_f64 v[2:3], v[2:3], -v[6:7]
	v_add_f64 v[4:5], v[4:5], -v[10:11]
	scratch_store_dwordx4 off, v[2:5], off offset:928
	ds_read2_b64 v[2:5], v78 offset0:118 offset1:119
	s_waitcnt lgkmcnt(0)
	v_mul_f64 v[6:7], v[4:5], v[8:9]
	v_mul_f64 v[10:11], v[2:3], v[8:9]
	v_fma_f64 v[6:7], v[2:3], v[0:1], -v[6:7]
	v_fmac_f64_e32 v[10:11], v[4:5], v[0:1]
	scratch_load_dwordx4 v[2:5], off, off offset:944
	s_waitcnt vmcnt(0)
	v_add_f64 v[2:3], v[2:3], -v[6:7]
	v_add_f64 v[4:5], v[4:5], -v[10:11]
	scratch_store_dwordx4 off, v[2:5], off offset:944
	ds_read2_b64 v[4:7], v78 offset0:120 offset1:121
	s_waitcnt lgkmcnt(0)
	v_mul_f64 v[2:3], v[6:7], v[8:9]
	v_fma_f64 v[2:3], v[4:5], v[0:1], -v[2:3]
	v_mul_f64 v[4:5], v[4:5], v[8:9]
	v_fmac_f64_e32 v[4:5], v[6:7], v[0:1]
	scratch_load_dwordx4 v[6:9], off, off offset:960
	s_waitcnt vmcnt(0)
	v_add_f64 v[0:1], v[6:7], -v[2:3]
	v_add_f64 v[2:3], v[8:9], -v[4:5]
	scratch_store_dwordx4 off, v[0:3], off offset:960
.LBB120_941:
	s_or_b64 exec, exec, s[0:1]
	s_barrier
	scratch_load_dwordx4 v[0:3], off, s41
	v_lshl_add_u32 v4, v81, 4, v78
	s_cmp_lt_i32 s51, 42
	s_waitcnt vmcnt(0)
	ds_write2_b64 v4, v[0:1], v[2:3] offset1:1
	s_waitcnt lgkmcnt(0)
	s_barrier
	ds_read2_b64 v[0:3], v78 offset0:80 offset1:81
	v_mov_b32_e32 v4, 40
	s_cbranch_scc1 .LBB120_944
; %bb.942:
	v_add_u32_e32 v5, 0x290, v78
	s_mov_b32 s4, 41
	v_mov_b32_e32 v4, 40
.LBB120_943:                            ; =>This Inner Loop Header: Depth=1
	ds_read2_b64 v[6:9], v5 offset1:1
	s_waitcnt lgkmcnt(1)
	v_xor_b32_e32 v11, 0x80000000, v1
	v_xor_b32_e32 v13, 0x80000000, v3
	v_cmp_gt_f64_e32 vcc, 0, v[2:3]
	v_cmp_gt_f64_e64 s[0:1], 0, v[0:1]
	v_mov_b32_e32 v10, v0
	v_mov_b32_e32 v12, v2
	v_cndmask_b32_e64 v11, v1, v11, s[0:1]
	v_cndmask_b32_e32 v13, v3, v13, vcc
	v_add_f64 v[10:11], v[10:11], v[12:13]
	s_waitcnt lgkmcnt(0)
	v_xor_b32_e32 v13, 0x80000000, v7
	v_xor_b32_e32 v15, 0x80000000, v9
	v_cmp_gt_f64_e32 vcc, 0, v[8:9]
	v_cmp_gt_f64_e64 s[0:1], 0, v[6:7]
	v_mov_b32_e32 v12, v6
	v_mov_b32_e32 v14, v8
	v_cndmask_b32_e64 v13, v7, v13, s[0:1]
	v_cndmask_b32_e32 v15, v9, v15, vcc
	v_add_f64 v[12:13], v[12:13], v[14:15]
	v_mov_b32_e32 v16, s4
	s_add_i32 s4, s4, 1
	v_cmp_lt_f64_e32 vcc, v[10:11], v[12:13]
	v_add_u32_e32 v5, 16, v5
	s_cmp_lg_u32 s51, s4
	v_cndmask_b32_e32 v1, v1, v7, vcc
	v_cndmask_b32_e32 v0, v0, v6, vcc
	;; [unrolled: 1-line block ×5, first 2 shown]
	s_cbranch_scc1 .LBB120_943
.LBB120_944:
	s_waitcnt lgkmcnt(0)
	v_cmp_eq_f64_e32 vcc, 0, v[0:1]
	v_cmp_eq_f64_e64 s[0:1], 0, v[2:3]
	s_and_b64 s[0:1], vcc, s[0:1]
	s_and_saveexec_b64 s[4:5], s[0:1]
	s_xor_b64 s[0:1], exec, s[4:5]
; %bb.945:
	v_cmp_ne_u32_e32 vcc, 0, v79
	s_nop 1
	v_cndmask_b32_e32 v79, 41, v79, vcc
; %bb.946:
	s_andn2_saveexec_b64 s[0:1], s[0:1]
	s_cbranch_execz .LBB120_952
; %bb.947:
	v_cmp_ngt_f64_e64 s[4:5], |v[0:1]|, |v[2:3]|
	s_and_saveexec_b64 s[12:13], s[4:5]
	s_xor_b64 s[12:13], exec, s[12:13]
	s_cbranch_execz .LBB120_949
; %bb.948:
	v_div_scale_f64 v[6:7], s[4:5], v[2:3], v[2:3], v[0:1]
	v_rcp_f64_e32 v[8:9], v[6:7]
	v_div_scale_f64 v[10:11], vcc, v[0:1], v[2:3], v[0:1]
	v_fma_f64 v[12:13], -v[6:7], v[8:9], 1.0
	v_fmac_f64_e32 v[8:9], v[8:9], v[12:13]
	v_fma_f64 v[12:13], -v[6:7], v[8:9], 1.0
	v_fmac_f64_e32 v[8:9], v[8:9], v[12:13]
	v_mul_f64 v[12:13], v[10:11], v[8:9]
	v_fma_f64 v[6:7], -v[6:7], v[12:13], v[10:11]
	v_div_fmas_f64 v[6:7], v[6:7], v[8:9], v[12:13]
	v_div_fixup_f64 v[6:7], v[6:7], v[2:3], v[0:1]
	v_fmac_f64_e32 v[2:3], v[0:1], v[6:7]
	v_div_scale_f64 v[0:1], s[4:5], v[2:3], v[2:3], 1.0
	v_rcp_f64_e32 v[8:9], v[0:1]
	s_nop 0
	v_fma_f64 v[10:11], -v[0:1], v[8:9], 1.0
	v_fmac_f64_e32 v[8:9], v[8:9], v[10:11]
	v_fma_f64 v[10:11], -v[0:1], v[8:9], 1.0
	v_fmac_f64_e32 v[8:9], v[8:9], v[10:11]
	v_div_scale_f64 v[10:11], vcc, 1.0, v[2:3], 1.0
	v_mul_f64 v[12:13], v[10:11], v[8:9]
	v_fma_f64 v[0:1], -v[0:1], v[12:13], v[10:11]
	s_nop 1
	v_div_fmas_f64 v[0:1], v[0:1], v[8:9], v[12:13]
	v_div_fixup_f64 v[2:3], v[0:1], v[2:3], 1.0
	v_mul_f64 v[0:1], v[6:7], v[2:3]
	v_xor_b32_e32 v3, 0x80000000, v3
.LBB120_949:
	s_andn2_saveexec_b64 s[12:13], s[12:13]
	s_cbranch_execz .LBB120_951
; %bb.950:
	v_div_scale_f64 v[6:7], s[4:5], v[0:1], v[0:1], v[2:3]
	v_rcp_f64_e32 v[8:9], v[6:7]
	v_div_scale_f64 v[10:11], vcc, v[2:3], v[0:1], v[2:3]
	v_fma_f64 v[12:13], -v[6:7], v[8:9], 1.0
	v_fmac_f64_e32 v[8:9], v[8:9], v[12:13]
	v_fma_f64 v[12:13], -v[6:7], v[8:9], 1.0
	v_fmac_f64_e32 v[8:9], v[8:9], v[12:13]
	v_mul_f64 v[12:13], v[10:11], v[8:9]
	v_fma_f64 v[6:7], -v[6:7], v[12:13], v[10:11]
	v_div_fmas_f64 v[6:7], v[6:7], v[8:9], v[12:13]
	v_div_fixup_f64 v[6:7], v[6:7], v[0:1], v[2:3]
	v_fmac_f64_e32 v[0:1], v[2:3], v[6:7]
	v_div_scale_f64 v[2:3], s[4:5], v[0:1], v[0:1], 1.0
	v_rcp_f64_e32 v[8:9], v[2:3]
	s_nop 0
	v_fma_f64 v[10:11], -v[2:3], v[8:9], 1.0
	v_fmac_f64_e32 v[8:9], v[8:9], v[10:11]
	v_fma_f64 v[10:11], -v[2:3], v[8:9], 1.0
	v_fmac_f64_e32 v[8:9], v[8:9], v[10:11]
	v_div_scale_f64 v[10:11], vcc, 1.0, v[0:1], 1.0
	v_mul_f64 v[12:13], v[10:11], v[8:9]
	v_fma_f64 v[2:3], -v[2:3], v[12:13], v[10:11]
	s_nop 1
	v_div_fmas_f64 v[2:3], v[2:3], v[8:9], v[12:13]
	v_div_fixup_f64 v[0:1], v[2:3], v[0:1], 1.0
	v_mul_f64 v[2:3], v[6:7], -v[0:1]
.LBB120_951:
	s_or_b64 exec, exec, s[12:13]
.LBB120_952:
	s_or_b64 exec, exec, s[0:1]
	v_cmp_ne_u32_e32 vcc, v81, v4
	s_and_saveexec_b64 s[0:1], vcc
	s_xor_b64 s[0:1], exec, s[0:1]
	s_cbranch_execz .LBB120_958
; %bb.953:
	v_cmp_eq_u32_e32 vcc, 40, v81
	s_and_saveexec_b64 s[12:13], vcc
	s_cbranch_execz .LBB120_957
; %bb.954:
	v_cmp_ne_u32_e32 vcc, 40, v4
	s_xor_b64 s[4:5], s[18:19], -1
	s_and_b64 s[4:5], s[4:5], vcc
	s_and_saveexec_b64 s[14:15], s[4:5]
	s_cbranch_execz .LBB120_956
; %bb.955:
	v_ashrrev_i32_e32 v5, 31, v4
	v_lshl_add_u64 v[6:7], v[4:5], 2, v[46:47]
	global_load_dword v5, v[6:7], off
	global_load_dword v8, v[46:47], off offset:160
	s_waitcnt vmcnt(1)
	global_store_dword v[46:47], v5, off offset:160
	s_waitcnt vmcnt(1)
	global_store_dword v[6:7], v8, off
.LBB120_956:
	s_or_b64 exec, exec, s[14:15]
	v_mov_b32_e32 v81, v4
	v_mov_b32_e32 v80, v4
.LBB120_957:
	s_or_b64 exec, exec, s[12:13]
.LBB120_958:
	s_andn2_saveexec_b64 s[0:1], s[0:1]
	s_cbranch_execz .LBB120_960
; %bb.959:
	scratch_load_dwordx4 v[4:7], off, s40
	scratch_load_dwordx4 v[8:11], off, s39
	;; [unrolled: 1-line block ×20, first 2 shown]
	v_mov_b32_e32 v81, 40
	s_waitcnt vmcnt(19)
	ds_write2_b64 v78, v[4:5], v[6:7] offset0:82 offset1:83
	s_waitcnt vmcnt(18)
	ds_write2_b64 v78, v[8:9], v[10:11] offset0:84 offset1:85
	s_waitcnt vmcnt(17)
	ds_write2_b64 v78, v[12:13], v[14:15] offset0:86 offset1:87
	s_waitcnt vmcnt(16)
	ds_write2_b64 v78, v[16:17], v[18:19] offset0:88 offset1:89
	s_waitcnt vmcnt(15)
	ds_write2_b64 v78, v[20:21], v[22:23] offset0:90 offset1:91
	s_waitcnt vmcnt(14)
	ds_write2_b64 v78, v[24:25], v[26:27] offset0:92 offset1:93
	s_waitcnt vmcnt(13)
	ds_write2_b64 v78, v[28:29], v[30:31] offset0:94 offset1:95
	s_waitcnt vmcnt(12)
	ds_write2_b64 v78, v[32:33], v[34:35] offset0:96 offset1:97
	s_waitcnt vmcnt(11)
	ds_write2_b64 v78, v[36:37], v[38:39] offset0:98 offset1:99
	s_waitcnt vmcnt(10)
	ds_write2_b64 v78, v[40:41], v[42:43] offset0:100 offset1:101
	s_waitcnt vmcnt(9)
	ds_write2_b64 v78, v[50:51], v[52:53] offset0:102 offset1:103
	s_waitcnt vmcnt(8)
	ds_write2_b64 v78, v[54:55], v[56:57] offset0:104 offset1:105
	s_waitcnt vmcnt(7)
	ds_write2_b64 v78, v[58:59], v[60:61] offset0:106 offset1:107
	s_waitcnt vmcnt(6)
	ds_write2_b64 v78, v[62:63], v[64:65] offset0:108 offset1:109
	s_waitcnt vmcnt(5)
	ds_write2_b64 v78, v[66:67], v[68:69] offset0:110 offset1:111
	s_waitcnt vmcnt(4)
	ds_write2_b64 v78, v[70:71], v[72:73] offset0:112 offset1:113
	s_waitcnt vmcnt(3)
	ds_write2_b64 v78, v[74:75], v[76:77] offset0:114 offset1:115
	s_waitcnt vmcnt(2)
	ds_write2_b64 v78, v[82:83], v[84:85] offset0:116 offset1:117
	s_waitcnt vmcnt(1)
	ds_write2_b64 v78, v[86:87], v[88:89] offset0:118 offset1:119
	s_waitcnt vmcnt(0)
	ds_write2_b64 v78, v[90:91], v[92:93] offset0:120 offset1:121
.LBB120_960:
	s_or_b64 exec, exec, s[0:1]
	v_cmp_lt_i32_e32 vcc, 40, v81
	s_waitcnt lgkmcnt(0)
	s_barrier
	s_and_saveexec_b64 s[0:1], vcc
	s_cbranch_execz .LBB120_962
; %bb.961:
	scratch_load_dwordx4 v[4:7], off, off offset:640
	s_waitcnt vmcnt(0)
	v_mul_f64 v[8:9], v[2:3], v[6:7]
	v_mul_f64 v[10:11], v[0:1], v[6:7]
	v_fma_f64 v[8:9], v[0:1], v[4:5], -v[8:9]
	v_fmac_f64_e32 v[10:11], v[2:3], v[4:5]
	ds_read2_b64 v[0:3], v78 offset0:82 offset1:83
	scratch_store_dwordx4 off, v[8:11], off offset:640
	s_waitcnt lgkmcnt(0)
	v_mul_f64 v[4:5], v[2:3], v[10:11]
	v_mul_f64 v[6:7], v[0:1], v[10:11]
	v_fma_f64 v[4:5], v[0:1], v[8:9], -v[4:5]
	v_fmac_f64_e32 v[6:7], v[2:3], v[8:9]
	scratch_load_dwordx4 v[0:3], off, off offset:656
	s_waitcnt vmcnt(0)
	v_add_f64 v[0:1], v[0:1], -v[4:5]
	v_add_f64 v[2:3], v[2:3], -v[6:7]
	scratch_store_dwordx4 off, v[0:3], off offset:656
	ds_read2_b64 v[0:3], v78 offset0:84 offset1:85
	s_waitcnt lgkmcnt(0)
	v_mul_f64 v[4:5], v[2:3], v[10:11]
	v_mul_f64 v[6:7], v[0:1], v[10:11]
	v_fma_f64 v[4:5], v[0:1], v[8:9], -v[4:5]
	v_fmac_f64_e32 v[6:7], v[2:3], v[8:9]
	scratch_load_dwordx4 v[0:3], off, off offset:672
	s_waitcnt vmcnt(0)
	v_add_f64 v[0:1], v[0:1], -v[4:5]
	v_add_f64 v[2:3], v[2:3], -v[6:7]
	scratch_store_dwordx4 off, v[0:3], off offset:672
	ds_read2_b64 v[0:3], v78 offset0:86 offset1:87
	;; [unrolled: 11-line block ×6, first 2 shown]
	scratch_load_dwordx2 v[8:9], off, off offset:640
	scratch_load_dwordx4 v[0:3], off, off offset:640
	s_waitcnt vmcnt(0) lgkmcnt(0)
	v_mul_f64 v[10:11], v[6:7], v[2:3]
	v_mul_f64 v[12:13], v[4:5], v[2:3]
	v_fma_f64 v[10:11], v[4:5], v[8:9], -v[10:11]
	v_fmac_f64_e32 v[12:13], v[6:7], v[8:9]
	scratch_load_dwordx4 v[4:7], off, off offset:752
	s_waitcnt vmcnt(0)
	v_add_f64 v[4:5], v[4:5], -v[10:11]
	v_add_f64 v[6:7], v[6:7], -v[12:13]
	scratch_store_dwordx4 off, v[4:7], off offset:752
	ds_read2_b64 v[4:7], v78 offset0:96 offset1:97
	s_waitcnt lgkmcnt(0)
	v_mul_f64 v[10:11], v[6:7], v[2:3]
	v_mul_f64 v[12:13], v[4:5], v[2:3]
	v_fma_f64 v[10:11], v[4:5], v[8:9], -v[10:11]
	v_fmac_f64_e32 v[12:13], v[6:7], v[8:9]
	scratch_load_dwordx4 v[4:7], off, off offset:768
	s_waitcnt vmcnt(0)
	v_add_f64 v[4:5], v[4:5], -v[10:11]
	v_add_f64 v[6:7], v[6:7], -v[12:13]
	scratch_store_dwordx4 off, v[4:7], off offset:768
	ds_read2_b64 v[4:7], v78 offset0:98 offset1:99
	s_waitcnt lgkmcnt(0)
	;; [unrolled: 11-line block ×5, first 2 shown]
	v_mul_f64 v[10:11], v[6:7], v[2:3]
	v_fma_f64 v[10:11], v[4:5], v[8:9], -v[10:11]
	v_mul_f64 v[12:13], v[4:5], v[2:3]
	scratch_load_dwordx4 v[2:5], off, off offset:832
	v_fmac_f64_e32 v[12:13], v[6:7], v[8:9]
	ds_read2_b64 v[6:9], v78 offset0:106 offset1:107
	s_waitcnt vmcnt(0)
	v_add_f64 v[2:3], v[2:3], -v[10:11]
	v_add_f64 v[4:5], v[4:5], -v[12:13]
	scratch_store_dwordx4 off, v[2:5], off offset:832
	scratch_load_dwordx2 v[2:3], off, off offset:640
	s_nop 0
	scratch_load_dwordx2 v[4:5], off, off offset:648
	s_waitcnt vmcnt(0) lgkmcnt(0)
	v_mul_f64 v[10:11], v[8:9], v[4:5]
	v_mul_f64 v[12:13], v[6:7], v[4:5]
	v_fma_f64 v[10:11], v[6:7], v[2:3], -v[10:11]
	v_fmac_f64_e32 v[12:13], v[8:9], v[2:3]
	scratch_load_dwordx4 v[6:9], off, off offset:848
	s_waitcnt vmcnt(0)
	v_add_f64 v[6:7], v[6:7], -v[10:11]
	v_add_f64 v[8:9], v[8:9], -v[12:13]
	scratch_store_dwordx4 off, v[6:9], off offset:848
	ds_read2_b64 v[6:9], v78 offset0:108 offset1:109
	s_waitcnt lgkmcnt(0)
	v_mul_f64 v[10:11], v[8:9], v[4:5]
	v_mul_f64 v[12:13], v[6:7], v[4:5]
	v_fma_f64 v[10:11], v[6:7], v[2:3], -v[10:11]
	v_fmac_f64_e32 v[12:13], v[8:9], v[2:3]
	scratch_load_dwordx4 v[6:9], off, off offset:864
	s_waitcnt vmcnt(0)
	v_add_f64 v[6:7], v[6:7], -v[10:11]
	v_add_f64 v[8:9], v[8:9], -v[12:13]
	scratch_store_dwordx4 off, v[6:9], off offset:864
	ds_read2_b64 v[6:9], v78 offset0:110 offset1:111
	s_waitcnt lgkmcnt(0)
	;; [unrolled: 11-line block ×5, first 2 shown]
	v_mul_f64 v[10:11], v[8:9], v[4:5]
	v_fma_f64 v[10:11], v[6:7], v[2:3], -v[10:11]
	v_mul_f64 v[6:7], v[6:7], v[4:5]
	v_fmac_f64_e32 v[6:7], v[8:9], v[2:3]
	scratch_load_dwordx4 v[2:5], off, off offset:928
	s_waitcnt vmcnt(0)
	v_add_f64 v[4:5], v[4:5], -v[6:7]
	scratch_load_dwordx2 v[6:7], off, off offset:648
	v_add_f64 v[2:3], v[2:3], -v[10:11]
	scratch_store_dwordx4 off, v[2:5], off offset:928
	ds_read2_b64 v[2:5], v78 offset0:118 offset1:119
	s_waitcnt vmcnt(1) lgkmcnt(0)
	v_mul_f64 v[8:9], v[4:5], v[6:7]
	v_mul_f64 v[10:11], v[2:3], v[6:7]
	v_fma_f64 v[8:9], v[2:3], v[0:1], -v[8:9]
	v_fmac_f64_e32 v[10:11], v[4:5], v[0:1]
	scratch_load_dwordx4 v[2:5], off, off offset:944
	s_waitcnt vmcnt(0)
	v_add_f64 v[2:3], v[2:3], -v[8:9]
	v_add_f64 v[4:5], v[4:5], -v[10:11]
	scratch_store_dwordx4 off, v[2:5], off offset:944
	ds_read2_b64 v[2:5], v78 offset0:120 offset1:121
	s_waitcnt lgkmcnt(0)
	v_mul_f64 v[8:9], v[4:5], v[6:7]
	v_mul_f64 v[6:7], v[2:3], v[6:7]
	v_fma_f64 v[8:9], v[2:3], v[0:1], -v[8:9]
	v_fmac_f64_e32 v[6:7], v[4:5], v[0:1]
	scratch_load_dwordx4 v[0:3], off, off offset:960
	s_waitcnt vmcnt(0)
	v_add_f64 v[0:1], v[0:1], -v[8:9]
	v_add_f64 v[2:3], v[2:3], -v[6:7]
	scratch_store_dwordx4 off, v[0:3], off offset:960
.LBB120_962:
	s_or_b64 exec, exec, s[0:1]
	s_barrier
	scratch_load_dwordx4 v[0:3], off, s40
	v_lshl_add_u32 v4, v81, 4, v78
	s_cmp_lt_i32 s51, 43
	s_waitcnt vmcnt(0)
	ds_write2_b64 v4, v[0:1], v[2:3] offset1:1
	s_waitcnt lgkmcnt(0)
	s_barrier
	ds_read2_b64 v[0:3], v78 offset0:82 offset1:83
	v_mov_b32_e32 v4, 41
	s_cbranch_scc1 .LBB120_965
; %bb.963:
	v_add_u32_e32 v5, 0x2a0, v78
	s_mov_b32 s4, 42
	v_mov_b32_e32 v4, 41
.LBB120_964:                            ; =>This Inner Loop Header: Depth=1
	ds_read2_b64 v[6:9], v5 offset1:1
	s_waitcnt lgkmcnt(1)
	v_xor_b32_e32 v11, 0x80000000, v1
	v_xor_b32_e32 v13, 0x80000000, v3
	v_cmp_gt_f64_e32 vcc, 0, v[2:3]
	v_cmp_gt_f64_e64 s[0:1], 0, v[0:1]
	v_mov_b32_e32 v10, v0
	v_mov_b32_e32 v12, v2
	v_cndmask_b32_e64 v11, v1, v11, s[0:1]
	v_cndmask_b32_e32 v13, v3, v13, vcc
	v_add_f64 v[10:11], v[10:11], v[12:13]
	s_waitcnt lgkmcnt(0)
	v_xor_b32_e32 v13, 0x80000000, v7
	v_xor_b32_e32 v15, 0x80000000, v9
	v_cmp_gt_f64_e32 vcc, 0, v[8:9]
	v_cmp_gt_f64_e64 s[0:1], 0, v[6:7]
	v_mov_b32_e32 v12, v6
	v_mov_b32_e32 v14, v8
	v_cndmask_b32_e64 v13, v7, v13, s[0:1]
	v_cndmask_b32_e32 v15, v9, v15, vcc
	v_add_f64 v[12:13], v[12:13], v[14:15]
	v_mov_b32_e32 v16, s4
	s_add_i32 s4, s4, 1
	v_cmp_lt_f64_e32 vcc, v[10:11], v[12:13]
	v_add_u32_e32 v5, 16, v5
	s_cmp_lg_u32 s51, s4
	v_cndmask_b32_e32 v1, v1, v7, vcc
	v_cndmask_b32_e32 v0, v0, v6, vcc
	;; [unrolled: 1-line block ×5, first 2 shown]
	s_cbranch_scc1 .LBB120_964
.LBB120_965:
	s_waitcnt lgkmcnt(0)
	v_cmp_eq_f64_e32 vcc, 0, v[0:1]
	v_cmp_eq_f64_e64 s[0:1], 0, v[2:3]
	s_and_b64 s[0:1], vcc, s[0:1]
	s_and_saveexec_b64 s[4:5], s[0:1]
	s_xor_b64 s[0:1], exec, s[4:5]
; %bb.966:
	v_cmp_ne_u32_e32 vcc, 0, v79
	s_nop 1
	v_cndmask_b32_e32 v79, 42, v79, vcc
; %bb.967:
	s_andn2_saveexec_b64 s[0:1], s[0:1]
	s_cbranch_execz .LBB120_973
; %bb.968:
	v_cmp_ngt_f64_e64 s[4:5], |v[0:1]|, |v[2:3]|
	s_and_saveexec_b64 s[12:13], s[4:5]
	s_xor_b64 s[12:13], exec, s[12:13]
	s_cbranch_execz .LBB120_970
; %bb.969:
	v_div_scale_f64 v[6:7], s[4:5], v[2:3], v[2:3], v[0:1]
	v_rcp_f64_e32 v[8:9], v[6:7]
	v_div_scale_f64 v[10:11], vcc, v[0:1], v[2:3], v[0:1]
	v_fma_f64 v[12:13], -v[6:7], v[8:9], 1.0
	v_fmac_f64_e32 v[8:9], v[8:9], v[12:13]
	v_fma_f64 v[12:13], -v[6:7], v[8:9], 1.0
	v_fmac_f64_e32 v[8:9], v[8:9], v[12:13]
	v_mul_f64 v[12:13], v[10:11], v[8:9]
	v_fma_f64 v[6:7], -v[6:7], v[12:13], v[10:11]
	v_div_fmas_f64 v[6:7], v[6:7], v[8:9], v[12:13]
	v_div_fixup_f64 v[6:7], v[6:7], v[2:3], v[0:1]
	v_fmac_f64_e32 v[2:3], v[0:1], v[6:7]
	v_div_scale_f64 v[0:1], s[4:5], v[2:3], v[2:3], 1.0
	v_rcp_f64_e32 v[8:9], v[0:1]
	s_nop 0
	v_fma_f64 v[10:11], -v[0:1], v[8:9], 1.0
	v_fmac_f64_e32 v[8:9], v[8:9], v[10:11]
	v_fma_f64 v[10:11], -v[0:1], v[8:9], 1.0
	v_fmac_f64_e32 v[8:9], v[8:9], v[10:11]
	v_div_scale_f64 v[10:11], vcc, 1.0, v[2:3], 1.0
	v_mul_f64 v[12:13], v[10:11], v[8:9]
	v_fma_f64 v[0:1], -v[0:1], v[12:13], v[10:11]
	s_nop 1
	v_div_fmas_f64 v[0:1], v[0:1], v[8:9], v[12:13]
	v_div_fixup_f64 v[2:3], v[0:1], v[2:3], 1.0
	v_mul_f64 v[0:1], v[6:7], v[2:3]
	v_xor_b32_e32 v3, 0x80000000, v3
.LBB120_970:
	s_andn2_saveexec_b64 s[12:13], s[12:13]
	s_cbranch_execz .LBB120_972
; %bb.971:
	v_div_scale_f64 v[6:7], s[4:5], v[0:1], v[0:1], v[2:3]
	v_rcp_f64_e32 v[8:9], v[6:7]
	v_div_scale_f64 v[10:11], vcc, v[2:3], v[0:1], v[2:3]
	v_fma_f64 v[12:13], -v[6:7], v[8:9], 1.0
	v_fmac_f64_e32 v[8:9], v[8:9], v[12:13]
	v_fma_f64 v[12:13], -v[6:7], v[8:9], 1.0
	v_fmac_f64_e32 v[8:9], v[8:9], v[12:13]
	v_mul_f64 v[12:13], v[10:11], v[8:9]
	v_fma_f64 v[6:7], -v[6:7], v[12:13], v[10:11]
	v_div_fmas_f64 v[6:7], v[6:7], v[8:9], v[12:13]
	v_div_fixup_f64 v[6:7], v[6:7], v[0:1], v[2:3]
	v_fmac_f64_e32 v[0:1], v[2:3], v[6:7]
	v_div_scale_f64 v[2:3], s[4:5], v[0:1], v[0:1], 1.0
	v_rcp_f64_e32 v[8:9], v[2:3]
	s_nop 0
	v_fma_f64 v[10:11], -v[2:3], v[8:9], 1.0
	v_fmac_f64_e32 v[8:9], v[8:9], v[10:11]
	v_fma_f64 v[10:11], -v[2:3], v[8:9], 1.0
	v_fmac_f64_e32 v[8:9], v[8:9], v[10:11]
	v_div_scale_f64 v[10:11], vcc, 1.0, v[0:1], 1.0
	v_mul_f64 v[12:13], v[10:11], v[8:9]
	v_fma_f64 v[2:3], -v[2:3], v[12:13], v[10:11]
	s_nop 1
	v_div_fmas_f64 v[2:3], v[2:3], v[8:9], v[12:13]
	v_div_fixup_f64 v[0:1], v[2:3], v[0:1], 1.0
	v_mul_f64 v[2:3], v[6:7], -v[0:1]
.LBB120_972:
	s_or_b64 exec, exec, s[12:13]
.LBB120_973:
	s_or_b64 exec, exec, s[0:1]
	v_cmp_ne_u32_e32 vcc, v81, v4
	s_and_saveexec_b64 s[0:1], vcc
	s_xor_b64 s[0:1], exec, s[0:1]
	s_cbranch_execz .LBB120_979
; %bb.974:
	v_cmp_eq_u32_e32 vcc, 41, v81
	s_and_saveexec_b64 s[12:13], vcc
	s_cbranch_execz .LBB120_978
; %bb.975:
	v_cmp_ne_u32_e32 vcc, 41, v4
	s_xor_b64 s[4:5], s[18:19], -1
	s_and_b64 s[4:5], s[4:5], vcc
	s_and_saveexec_b64 s[14:15], s[4:5]
	s_cbranch_execz .LBB120_977
; %bb.976:
	v_ashrrev_i32_e32 v5, 31, v4
	v_lshl_add_u64 v[6:7], v[4:5], 2, v[46:47]
	global_load_dword v5, v[6:7], off
	global_load_dword v8, v[46:47], off offset:164
	s_waitcnt vmcnt(1)
	global_store_dword v[46:47], v5, off offset:164
	s_waitcnt vmcnt(1)
	global_store_dword v[6:7], v8, off
.LBB120_977:
	s_or_b64 exec, exec, s[14:15]
	v_mov_b32_e32 v81, v4
	v_mov_b32_e32 v80, v4
.LBB120_978:
	s_or_b64 exec, exec, s[12:13]
.LBB120_979:
	s_andn2_saveexec_b64 s[0:1], s[0:1]
	s_cbranch_execz .LBB120_981
; %bb.980:
	scratch_load_dwordx4 v[4:7], off, s39
	scratch_load_dwordx4 v[8:11], off, s38
	scratch_load_dwordx4 v[12:15], off, s37
	scratch_load_dwordx4 v[16:19], off, s36
	scratch_load_dwordx4 v[20:23], off, s35
	scratch_load_dwordx4 v[24:27], off, s34
	scratch_load_dwordx4 v[28:31], off, s33
	scratch_load_dwordx4 v[32:35], off, s31
	scratch_load_dwordx4 v[36:39], off, s30
	scratch_load_dwordx4 v[40:43], off, s29
	scratch_load_dwordx4 v[50:53], off, s28
	scratch_load_dwordx4 v[54:57], off, s27
	scratch_load_dwordx4 v[58:61], off, s26
	scratch_load_dwordx4 v[62:65], off, s25
	scratch_load_dwordx4 v[66:69], off, s24
	scratch_load_dwordx4 v[70:73], off, s23
	scratch_load_dwordx4 v[74:77], off, s22
	scratch_load_dwordx4 v[82:85], off, s21
	scratch_load_dwordx4 v[86:89], off, s20
	v_mov_b32_e32 v81, 41
	s_waitcnt vmcnt(18)
	ds_write2_b64 v78, v[4:5], v[6:7] offset0:84 offset1:85
	s_waitcnt vmcnt(17)
	ds_write2_b64 v78, v[8:9], v[10:11] offset0:86 offset1:87
	;; [unrolled: 2-line block ×19, first 2 shown]
.LBB120_981:
	s_or_b64 exec, exec, s[0:1]
	v_cmp_lt_i32_e32 vcc, 41, v81
	s_waitcnt lgkmcnt(0)
	s_barrier
	s_and_saveexec_b64 s[0:1], vcc
	s_cbranch_execz .LBB120_983
; %bb.982:
	scratch_load_dwordx4 v[4:7], off, off offset:656
	s_waitcnt vmcnt(0)
	v_mul_f64 v[8:9], v[2:3], v[6:7]
	v_mul_f64 v[10:11], v[0:1], v[6:7]
	v_fma_f64 v[8:9], v[0:1], v[4:5], -v[8:9]
	v_fmac_f64_e32 v[10:11], v[2:3], v[4:5]
	ds_read2_b64 v[0:3], v78 offset0:84 offset1:85
	scratch_store_dwordx4 off, v[8:11], off offset:656
	s_waitcnt lgkmcnt(0)
	v_mul_f64 v[4:5], v[2:3], v[10:11]
	v_mul_f64 v[6:7], v[0:1], v[10:11]
	v_fma_f64 v[4:5], v[0:1], v[8:9], -v[4:5]
	v_fmac_f64_e32 v[6:7], v[2:3], v[8:9]
	scratch_load_dwordx4 v[0:3], off, off offset:672
	s_waitcnt vmcnt(0)
	v_add_f64 v[0:1], v[0:1], -v[4:5]
	v_add_f64 v[2:3], v[2:3], -v[6:7]
	scratch_store_dwordx4 off, v[0:3], off offset:672
	ds_read2_b64 v[0:3], v78 offset0:86 offset1:87
	s_waitcnt lgkmcnt(0)
	v_mul_f64 v[4:5], v[2:3], v[10:11]
	v_mul_f64 v[6:7], v[0:1], v[10:11]
	v_fma_f64 v[4:5], v[0:1], v[8:9], -v[4:5]
	v_fmac_f64_e32 v[6:7], v[2:3], v[8:9]
	scratch_load_dwordx4 v[0:3], off, off offset:688
	s_waitcnt vmcnt(0)
	v_add_f64 v[0:1], v[0:1], -v[4:5]
	v_add_f64 v[2:3], v[2:3], -v[6:7]
	scratch_store_dwordx4 off, v[0:3], off offset:688
	ds_read2_b64 v[0:3], v78 offset0:88 offset1:89
	;; [unrolled: 11-line block ×6, first 2 shown]
	scratch_load_dwordx2 v[8:9], off, off offset:656
	scratch_load_dwordx4 v[0:3], off, off offset:656
	s_waitcnt vmcnt(0) lgkmcnt(0)
	v_mul_f64 v[10:11], v[6:7], v[2:3]
	v_mul_f64 v[12:13], v[4:5], v[2:3]
	v_fma_f64 v[10:11], v[4:5], v[8:9], -v[10:11]
	v_fmac_f64_e32 v[12:13], v[6:7], v[8:9]
	scratch_load_dwordx4 v[4:7], off, off offset:768
	s_waitcnt vmcnt(0)
	v_add_f64 v[4:5], v[4:5], -v[10:11]
	v_add_f64 v[6:7], v[6:7], -v[12:13]
	scratch_store_dwordx4 off, v[4:7], off offset:768
	ds_read2_b64 v[4:7], v78 offset0:98 offset1:99
	s_waitcnt lgkmcnt(0)
	v_mul_f64 v[10:11], v[6:7], v[2:3]
	v_mul_f64 v[12:13], v[4:5], v[2:3]
	v_fma_f64 v[10:11], v[4:5], v[8:9], -v[10:11]
	v_fmac_f64_e32 v[12:13], v[6:7], v[8:9]
	scratch_load_dwordx4 v[4:7], off, off offset:784
	s_waitcnt vmcnt(0)
	v_add_f64 v[4:5], v[4:5], -v[10:11]
	v_add_f64 v[6:7], v[6:7], -v[12:13]
	scratch_store_dwordx4 off, v[4:7], off offset:784
	ds_read2_b64 v[4:7], v78 offset0:100 offset1:101
	s_waitcnt lgkmcnt(0)
	;; [unrolled: 11-line block ×5, first 2 shown]
	v_mul_f64 v[10:11], v[6:7], v[2:3]
	v_fma_f64 v[10:11], v[4:5], v[8:9], -v[10:11]
	v_mul_f64 v[12:13], v[4:5], v[2:3]
	scratch_load_dwordx4 v[2:5], off, off offset:848
	v_fmac_f64_e32 v[12:13], v[6:7], v[8:9]
	ds_read2_b64 v[6:9], v78 offset0:108 offset1:109
	s_waitcnt vmcnt(0)
	v_add_f64 v[2:3], v[2:3], -v[10:11]
	v_add_f64 v[4:5], v[4:5], -v[12:13]
	scratch_store_dwordx4 off, v[2:5], off offset:848
	scratch_load_dwordx2 v[2:3], off, off offset:656
	s_nop 0
	scratch_load_dwordx2 v[4:5], off, off offset:664
	s_waitcnt vmcnt(0) lgkmcnt(0)
	v_mul_f64 v[10:11], v[8:9], v[4:5]
	v_mul_f64 v[12:13], v[6:7], v[4:5]
	v_fma_f64 v[10:11], v[6:7], v[2:3], -v[10:11]
	v_fmac_f64_e32 v[12:13], v[8:9], v[2:3]
	scratch_load_dwordx4 v[6:9], off, off offset:864
	s_waitcnt vmcnt(0)
	v_add_f64 v[6:7], v[6:7], -v[10:11]
	v_add_f64 v[8:9], v[8:9], -v[12:13]
	scratch_store_dwordx4 off, v[6:9], off offset:864
	ds_read2_b64 v[6:9], v78 offset0:110 offset1:111
	s_waitcnt lgkmcnt(0)
	v_mul_f64 v[10:11], v[8:9], v[4:5]
	v_mul_f64 v[12:13], v[6:7], v[4:5]
	v_fma_f64 v[10:11], v[6:7], v[2:3], -v[10:11]
	v_fmac_f64_e32 v[12:13], v[8:9], v[2:3]
	scratch_load_dwordx4 v[6:9], off, off offset:880
	s_waitcnt vmcnt(0)
	v_add_f64 v[6:7], v[6:7], -v[10:11]
	v_add_f64 v[8:9], v[8:9], -v[12:13]
	scratch_store_dwordx4 off, v[6:9], off offset:880
	ds_read2_b64 v[6:9], v78 offset0:112 offset1:113
	s_waitcnt lgkmcnt(0)
	;; [unrolled: 11-line block ×5, first 2 shown]
	v_mul_f64 v[10:11], v[8:9], v[4:5]
	v_fma_f64 v[10:11], v[6:7], v[2:3], -v[10:11]
	v_mul_f64 v[6:7], v[6:7], v[4:5]
	v_fmac_f64_e32 v[6:7], v[8:9], v[2:3]
	scratch_load_dwordx4 v[2:5], off, off offset:944
	s_waitcnt vmcnt(0)
	v_add_f64 v[4:5], v[4:5], -v[6:7]
	scratch_load_dwordx2 v[6:7], off, off offset:664
	v_add_f64 v[2:3], v[2:3], -v[10:11]
	scratch_store_dwordx4 off, v[2:5], off offset:944
	ds_read2_b64 v[2:5], v78 offset0:120 offset1:121
	s_waitcnt vmcnt(1) lgkmcnt(0)
	v_mul_f64 v[8:9], v[4:5], v[6:7]
	v_mul_f64 v[6:7], v[2:3], v[6:7]
	v_fma_f64 v[8:9], v[2:3], v[0:1], -v[8:9]
	v_fmac_f64_e32 v[6:7], v[4:5], v[0:1]
	scratch_load_dwordx4 v[0:3], off, off offset:960
	s_waitcnt vmcnt(0)
	v_add_f64 v[0:1], v[0:1], -v[8:9]
	v_add_f64 v[2:3], v[2:3], -v[6:7]
	scratch_store_dwordx4 off, v[0:3], off offset:960
.LBB120_983:
	s_or_b64 exec, exec, s[0:1]
	s_barrier
	scratch_load_dwordx4 v[0:3], off, s39
	v_lshl_add_u32 v4, v81, 4, v78
	s_cmp_lt_i32 s51, 44
	s_waitcnt vmcnt(0)
	ds_write2_b64 v4, v[0:1], v[2:3] offset1:1
	s_waitcnt lgkmcnt(0)
	s_barrier
	ds_read2_b64 v[0:3], v78 offset0:84 offset1:85
	v_mov_b32_e32 v4, 42
	s_cbranch_scc1 .LBB120_986
; %bb.984:
	v_add_u32_e32 v5, 0x2b0, v78
	s_mov_b32 s4, 43
	v_mov_b32_e32 v4, 42
.LBB120_985:                            ; =>This Inner Loop Header: Depth=1
	ds_read2_b64 v[6:9], v5 offset1:1
	s_waitcnt lgkmcnt(1)
	v_xor_b32_e32 v11, 0x80000000, v1
	v_xor_b32_e32 v13, 0x80000000, v3
	v_cmp_gt_f64_e32 vcc, 0, v[2:3]
	v_cmp_gt_f64_e64 s[0:1], 0, v[0:1]
	v_mov_b32_e32 v10, v0
	v_mov_b32_e32 v12, v2
	v_cndmask_b32_e64 v11, v1, v11, s[0:1]
	v_cndmask_b32_e32 v13, v3, v13, vcc
	v_add_f64 v[10:11], v[10:11], v[12:13]
	s_waitcnt lgkmcnt(0)
	v_xor_b32_e32 v13, 0x80000000, v7
	v_xor_b32_e32 v15, 0x80000000, v9
	v_cmp_gt_f64_e32 vcc, 0, v[8:9]
	v_cmp_gt_f64_e64 s[0:1], 0, v[6:7]
	v_mov_b32_e32 v12, v6
	v_mov_b32_e32 v14, v8
	v_cndmask_b32_e64 v13, v7, v13, s[0:1]
	v_cndmask_b32_e32 v15, v9, v15, vcc
	v_add_f64 v[12:13], v[12:13], v[14:15]
	v_mov_b32_e32 v16, s4
	s_add_i32 s4, s4, 1
	v_cmp_lt_f64_e32 vcc, v[10:11], v[12:13]
	v_add_u32_e32 v5, 16, v5
	s_cmp_lg_u32 s51, s4
	v_cndmask_b32_e32 v1, v1, v7, vcc
	v_cndmask_b32_e32 v0, v0, v6, vcc
	;; [unrolled: 1-line block ×5, first 2 shown]
	s_cbranch_scc1 .LBB120_985
.LBB120_986:
	s_waitcnt lgkmcnt(0)
	v_cmp_eq_f64_e32 vcc, 0, v[0:1]
	v_cmp_eq_f64_e64 s[0:1], 0, v[2:3]
	s_and_b64 s[0:1], vcc, s[0:1]
	s_and_saveexec_b64 s[4:5], s[0:1]
	s_xor_b64 s[0:1], exec, s[4:5]
; %bb.987:
	v_cmp_ne_u32_e32 vcc, 0, v79
	s_nop 1
	v_cndmask_b32_e32 v79, 43, v79, vcc
; %bb.988:
	s_andn2_saveexec_b64 s[0:1], s[0:1]
	s_cbranch_execz .LBB120_994
; %bb.989:
	v_cmp_ngt_f64_e64 s[4:5], |v[0:1]|, |v[2:3]|
	s_and_saveexec_b64 s[12:13], s[4:5]
	s_xor_b64 s[12:13], exec, s[12:13]
	s_cbranch_execz .LBB120_991
; %bb.990:
	v_div_scale_f64 v[6:7], s[4:5], v[2:3], v[2:3], v[0:1]
	v_rcp_f64_e32 v[8:9], v[6:7]
	v_div_scale_f64 v[10:11], vcc, v[0:1], v[2:3], v[0:1]
	v_fma_f64 v[12:13], -v[6:7], v[8:9], 1.0
	v_fmac_f64_e32 v[8:9], v[8:9], v[12:13]
	v_fma_f64 v[12:13], -v[6:7], v[8:9], 1.0
	v_fmac_f64_e32 v[8:9], v[8:9], v[12:13]
	v_mul_f64 v[12:13], v[10:11], v[8:9]
	v_fma_f64 v[6:7], -v[6:7], v[12:13], v[10:11]
	v_div_fmas_f64 v[6:7], v[6:7], v[8:9], v[12:13]
	v_div_fixup_f64 v[6:7], v[6:7], v[2:3], v[0:1]
	v_fmac_f64_e32 v[2:3], v[0:1], v[6:7]
	v_div_scale_f64 v[0:1], s[4:5], v[2:3], v[2:3], 1.0
	v_rcp_f64_e32 v[8:9], v[0:1]
	s_nop 0
	v_fma_f64 v[10:11], -v[0:1], v[8:9], 1.0
	v_fmac_f64_e32 v[8:9], v[8:9], v[10:11]
	v_fma_f64 v[10:11], -v[0:1], v[8:9], 1.0
	v_fmac_f64_e32 v[8:9], v[8:9], v[10:11]
	v_div_scale_f64 v[10:11], vcc, 1.0, v[2:3], 1.0
	v_mul_f64 v[12:13], v[10:11], v[8:9]
	v_fma_f64 v[0:1], -v[0:1], v[12:13], v[10:11]
	s_nop 1
	v_div_fmas_f64 v[0:1], v[0:1], v[8:9], v[12:13]
	v_div_fixup_f64 v[2:3], v[0:1], v[2:3], 1.0
	v_mul_f64 v[0:1], v[6:7], v[2:3]
	v_xor_b32_e32 v3, 0x80000000, v3
.LBB120_991:
	s_andn2_saveexec_b64 s[12:13], s[12:13]
	s_cbranch_execz .LBB120_993
; %bb.992:
	v_div_scale_f64 v[6:7], s[4:5], v[0:1], v[0:1], v[2:3]
	v_rcp_f64_e32 v[8:9], v[6:7]
	v_div_scale_f64 v[10:11], vcc, v[2:3], v[0:1], v[2:3]
	v_fma_f64 v[12:13], -v[6:7], v[8:9], 1.0
	v_fmac_f64_e32 v[8:9], v[8:9], v[12:13]
	v_fma_f64 v[12:13], -v[6:7], v[8:9], 1.0
	v_fmac_f64_e32 v[8:9], v[8:9], v[12:13]
	v_mul_f64 v[12:13], v[10:11], v[8:9]
	v_fma_f64 v[6:7], -v[6:7], v[12:13], v[10:11]
	v_div_fmas_f64 v[6:7], v[6:7], v[8:9], v[12:13]
	v_div_fixup_f64 v[6:7], v[6:7], v[0:1], v[2:3]
	v_fmac_f64_e32 v[0:1], v[2:3], v[6:7]
	v_div_scale_f64 v[2:3], s[4:5], v[0:1], v[0:1], 1.0
	v_rcp_f64_e32 v[8:9], v[2:3]
	s_nop 0
	v_fma_f64 v[10:11], -v[2:3], v[8:9], 1.0
	v_fmac_f64_e32 v[8:9], v[8:9], v[10:11]
	v_fma_f64 v[10:11], -v[2:3], v[8:9], 1.0
	v_fmac_f64_e32 v[8:9], v[8:9], v[10:11]
	v_div_scale_f64 v[10:11], vcc, 1.0, v[0:1], 1.0
	v_mul_f64 v[12:13], v[10:11], v[8:9]
	v_fma_f64 v[2:3], -v[2:3], v[12:13], v[10:11]
	s_nop 1
	v_div_fmas_f64 v[2:3], v[2:3], v[8:9], v[12:13]
	v_div_fixup_f64 v[0:1], v[2:3], v[0:1], 1.0
	v_mul_f64 v[2:3], v[6:7], -v[0:1]
.LBB120_993:
	s_or_b64 exec, exec, s[12:13]
.LBB120_994:
	s_or_b64 exec, exec, s[0:1]
	v_cmp_ne_u32_e32 vcc, v81, v4
	s_and_saveexec_b64 s[0:1], vcc
	s_xor_b64 s[0:1], exec, s[0:1]
	s_cbranch_execz .LBB120_1000
; %bb.995:
	v_cmp_eq_u32_e32 vcc, 42, v81
	s_and_saveexec_b64 s[12:13], vcc
	s_cbranch_execz .LBB120_999
; %bb.996:
	v_cmp_ne_u32_e32 vcc, 42, v4
	s_xor_b64 s[4:5], s[18:19], -1
	s_and_b64 s[4:5], s[4:5], vcc
	s_and_saveexec_b64 s[14:15], s[4:5]
	s_cbranch_execz .LBB120_998
; %bb.997:
	v_ashrrev_i32_e32 v5, 31, v4
	v_lshl_add_u64 v[6:7], v[4:5], 2, v[46:47]
	global_load_dword v5, v[6:7], off
	global_load_dword v8, v[46:47], off offset:168
	s_waitcnt vmcnt(1)
	global_store_dword v[46:47], v5, off offset:168
	s_waitcnt vmcnt(1)
	global_store_dword v[6:7], v8, off
.LBB120_998:
	s_or_b64 exec, exec, s[14:15]
	v_mov_b32_e32 v81, v4
	v_mov_b32_e32 v80, v4
.LBB120_999:
	s_or_b64 exec, exec, s[12:13]
.LBB120_1000:
	s_andn2_saveexec_b64 s[0:1], s[0:1]
	s_cbranch_execz .LBB120_1002
; %bb.1001:
	scratch_load_dwordx4 v[4:7], off, s38
	scratch_load_dwordx4 v[8:11], off, s37
	;; [unrolled: 1-line block ×18, first 2 shown]
	v_mov_b32_e32 v81, 42
	s_waitcnt vmcnt(17)
	ds_write2_b64 v78, v[4:5], v[6:7] offset0:86 offset1:87
	s_waitcnt vmcnt(16)
	ds_write2_b64 v78, v[8:9], v[10:11] offset0:88 offset1:89
	;; [unrolled: 2-line block ×18, first 2 shown]
.LBB120_1002:
	s_or_b64 exec, exec, s[0:1]
	v_cmp_lt_i32_e32 vcc, 42, v81
	s_waitcnt lgkmcnt(0)
	s_barrier
	s_and_saveexec_b64 s[0:1], vcc
	s_cbranch_execz .LBB120_1004
; %bb.1003:
	scratch_load_dwordx4 v[4:7], off, off offset:672
	s_waitcnt vmcnt(0)
	v_mul_f64 v[8:9], v[2:3], v[6:7]
	v_mul_f64 v[10:11], v[0:1], v[6:7]
	v_fma_f64 v[8:9], v[0:1], v[4:5], -v[8:9]
	v_fmac_f64_e32 v[10:11], v[2:3], v[4:5]
	ds_read2_b64 v[0:3], v78 offset0:86 offset1:87
	scratch_store_dwordx4 off, v[8:11], off offset:672
	s_waitcnt lgkmcnt(0)
	v_mul_f64 v[4:5], v[2:3], v[10:11]
	v_mul_f64 v[6:7], v[0:1], v[10:11]
	v_fma_f64 v[4:5], v[0:1], v[8:9], -v[4:5]
	v_fmac_f64_e32 v[6:7], v[2:3], v[8:9]
	scratch_load_dwordx4 v[0:3], off, off offset:688
	s_waitcnt vmcnt(0)
	v_add_f64 v[0:1], v[0:1], -v[4:5]
	v_add_f64 v[2:3], v[2:3], -v[6:7]
	scratch_store_dwordx4 off, v[0:3], off offset:688
	ds_read2_b64 v[0:3], v78 offset0:88 offset1:89
	s_waitcnt lgkmcnt(0)
	v_mul_f64 v[4:5], v[2:3], v[10:11]
	v_mul_f64 v[6:7], v[0:1], v[10:11]
	v_fma_f64 v[4:5], v[0:1], v[8:9], -v[4:5]
	v_fmac_f64_e32 v[6:7], v[2:3], v[8:9]
	scratch_load_dwordx4 v[0:3], off, off offset:704
	s_waitcnt vmcnt(0)
	v_add_f64 v[0:1], v[0:1], -v[4:5]
	v_add_f64 v[2:3], v[2:3], -v[6:7]
	scratch_store_dwordx4 off, v[0:3], off offset:704
	ds_read2_b64 v[0:3], v78 offset0:90 offset1:91
	;; [unrolled: 11-line block ×6, first 2 shown]
	scratch_load_dwordx2 v[8:9], off, off offset:672
	scratch_load_dwordx4 v[0:3], off, off offset:672
	s_waitcnt vmcnt(0) lgkmcnt(0)
	v_mul_f64 v[10:11], v[6:7], v[2:3]
	v_mul_f64 v[12:13], v[4:5], v[2:3]
	v_fma_f64 v[10:11], v[4:5], v[8:9], -v[10:11]
	v_fmac_f64_e32 v[12:13], v[6:7], v[8:9]
	scratch_load_dwordx4 v[4:7], off, off offset:784
	s_waitcnt vmcnt(0)
	v_add_f64 v[4:5], v[4:5], -v[10:11]
	v_add_f64 v[6:7], v[6:7], -v[12:13]
	scratch_store_dwordx4 off, v[4:7], off offset:784
	ds_read2_b64 v[4:7], v78 offset0:100 offset1:101
	s_waitcnt lgkmcnt(0)
	v_mul_f64 v[10:11], v[6:7], v[2:3]
	v_mul_f64 v[12:13], v[4:5], v[2:3]
	v_fma_f64 v[10:11], v[4:5], v[8:9], -v[10:11]
	v_fmac_f64_e32 v[12:13], v[6:7], v[8:9]
	scratch_load_dwordx4 v[4:7], off, off offset:800
	s_waitcnt vmcnt(0)
	v_add_f64 v[4:5], v[4:5], -v[10:11]
	v_add_f64 v[6:7], v[6:7], -v[12:13]
	scratch_store_dwordx4 off, v[4:7], off offset:800
	ds_read2_b64 v[4:7], v78 offset0:102 offset1:103
	s_waitcnt lgkmcnt(0)
	;; [unrolled: 11-line block ×5, first 2 shown]
	v_mul_f64 v[10:11], v[6:7], v[2:3]
	v_fma_f64 v[10:11], v[4:5], v[8:9], -v[10:11]
	v_mul_f64 v[12:13], v[4:5], v[2:3]
	scratch_load_dwordx4 v[2:5], off, off offset:864
	v_fmac_f64_e32 v[12:13], v[6:7], v[8:9]
	s_waitcnt vmcnt(0)
	v_add_f64 v[2:3], v[2:3], -v[10:11]
	v_add_f64 v[4:5], v[4:5], -v[12:13]
	scratch_store_dwordx4 off, v[2:5], off offset:864
	scratch_load_dwordx2 v[2:3], off, off offset:680
	ds_read2_b64 v[4:7], v78 offset0:110 offset1:111
	s_waitcnt vmcnt(0) lgkmcnt(0)
	v_mul_f64 v[8:9], v[6:7], v[2:3]
	v_mul_f64 v[10:11], v[4:5], v[2:3]
	v_fma_f64 v[8:9], v[4:5], v[0:1], -v[8:9]
	v_fmac_f64_e32 v[10:11], v[6:7], v[0:1]
	scratch_load_dwordx4 v[4:7], off, off offset:880
	s_waitcnt vmcnt(0)
	v_add_f64 v[4:5], v[4:5], -v[8:9]
	v_add_f64 v[6:7], v[6:7], -v[10:11]
	scratch_store_dwordx4 off, v[4:7], off offset:880
	ds_read2_b64 v[4:7], v78 offset0:112 offset1:113
	s_waitcnt lgkmcnt(0)
	v_mul_f64 v[8:9], v[6:7], v[2:3]
	v_mul_f64 v[10:11], v[4:5], v[2:3]
	v_fma_f64 v[8:9], v[4:5], v[0:1], -v[8:9]
	v_fmac_f64_e32 v[10:11], v[6:7], v[0:1]
	scratch_load_dwordx4 v[4:7], off, off offset:896
	s_waitcnt vmcnt(0)
	v_add_f64 v[4:5], v[4:5], -v[8:9]
	v_add_f64 v[6:7], v[6:7], -v[10:11]
	scratch_store_dwordx4 off, v[4:7], off offset:896
	ds_read2_b64 v[4:7], v78 offset0:114 offset1:115
	s_waitcnt lgkmcnt(0)
	;; [unrolled: 11-line block ×5, first 2 shown]
	v_mul_f64 v[8:9], v[6:7], v[2:3]
	v_fma_f64 v[8:9], v[4:5], v[0:1], -v[8:9]
	v_mul_f64 v[4:5], v[4:5], v[2:3]
	v_fmac_f64_e32 v[4:5], v[6:7], v[0:1]
	scratch_load_dwordx4 v[0:3], off, off offset:960
	s_waitcnt vmcnt(0)
	v_add_f64 v[0:1], v[0:1], -v[8:9]
	v_add_f64 v[2:3], v[2:3], -v[4:5]
	scratch_store_dwordx4 off, v[0:3], off offset:960
.LBB120_1004:
	s_or_b64 exec, exec, s[0:1]
	s_barrier
	scratch_load_dwordx4 v[0:3], off, s38
	v_lshl_add_u32 v4, v81, 4, v78
	s_cmp_lt_i32 s51, 45
	s_waitcnt vmcnt(0)
	ds_write2_b64 v4, v[0:1], v[2:3] offset1:1
	s_waitcnt lgkmcnt(0)
	s_barrier
	ds_read2_b64 v[0:3], v78 offset0:86 offset1:87
	v_mov_b32_e32 v4, 43
	s_cbranch_scc1 .LBB120_1007
; %bb.1005:
	v_add_u32_e32 v5, 0x2c0, v78
	s_mov_b32 s4, 44
	v_mov_b32_e32 v4, 43
.LBB120_1006:                           ; =>This Inner Loop Header: Depth=1
	ds_read2_b64 v[6:9], v5 offset1:1
	s_waitcnt lgkmcnt(1)
	v_xor_b32_e32 v11, 0x80000000, v1
	v_xor_b32_e32 v13, 0x80000000, v3
	v_cmp_gt_f64_e32 vcc, 0, v[2:3]
	v_cmp_gt_f64_e64 s[0:1], 0, v[0:1]
	v_mov_b32_e32 v10, v0
	v_mov_b32_e32 v12, v2
	v_cndmask_b32_e64 v11, v1, v11, s[0:1]
	v_cndmask_b32_e32 v13, v3, v13, vcc
	v_add_f64 v[10:11], v[10:11], v[12:13]
	s_waitcnt lgkmcnt(0)
	v_xor_b32_e32 v13, 0x80000000, v7
	v_xor_b32_e32 v15, 0x80000000, v9
	v_cmp_gt_f64_e32 vcc, 0, v[8:9]
	v_cmp_gt_f64_e64 s[0:1], 0, v[6:7]
	v_mov_b32_e32 v12, v6
	v_mov_b32_e32 v14, v8
	v_cndmask_b32_e64 v13, v7, v13, s[0:1]
	v_cndmask_b32_e32 v15, v9, v15, vcc
	v_add_f64 v[12:13], v[12:13], v[14:15]
	v_mov_b32_e32 v16, s4
	s_add_i32 s4, s4, 1
	v_cmp_lt_f64_e32 vcc, v[10:11], v[12:13]
	v_add_u32_e32 v5, 16, v5
	s_cmp_lg_u32 s51, s4
	v_cndmask_b32_e32 v1, v1, v7, vcc
	v_cndmask_b32_e32 v0, v0, v6, vcc
	;; [unrolled: 1-line block ×5, first 2 shown]
	s_cbranch_scc1 .LBB120_1006
.LBB120_1007:
	s_waitcnt lgkmcnt(0)
	v_cmp_eq_f64_e32 vcc, 0, v[0:1]
	v_cmp_eq_f64_e64 s[0:1], 0, v[2:3]
	s_and_b64 s[0:1], vcc, s[0:1]
	s_and_saveexec_b64 s[4:5], s[0:1]
	s_xor_b64 s[0:1], exec, s[4:5]
; %bb.1008:
	v_cmp_ne_u32_e32 vcc, 0, v79
	s_nop 1
	v_cndmask_b32_e32 v79, 44, v79, vcc
; %bb.1009:
	s_andn2_saveexec_b64 s[0:1], s[0:1]
	s_cbranch_execz .LBB120_1015
; %bb.1010:
	v_cmp_ngt_f64_e64 s[4:5], |v[0:1]|, |v[2:3]|
	s_and_saveexec_b64 s[12:13], s[4:5]
	s_xor_b64 s[12:13], exec, s[12:13]
	s_cbranch_execz .LBB120_1012
; %bb.1011:
	v_div_scale_f64 v[6:7], s[4:5], v[2:3], v[2:3], v[0:1]
	v_rcp_f64_e32 v[8:9], v[6:7]
	v_div_scale_f64 v[10:11], vcc, v[0:1], v[2:3], v[0:1]
	v_fma_f64 v[12:13], -v[6:7], v[8:9], 1.0
	v_fmac_f64_e32 v[8:9], v[8:9], v[12:13]
	v_fma_f64 v[12:13], -v[6:7], v[8:9], 1.0
	v_fmac_f64_e32 v[8:9], v[8:9], v[12:13]
	v_mul_f64 v[12:13], v[10:11], v[8:9]
	v_fma_f64 v[6:7], -v[6:7], v[12:13], v[10:11]
	v_div_fmas_f64 v[6:7], v[6:7], v[8:9], v[12:13]
	v_div_fixup_f64 v[6:7], v[6:7], v[2:3], v[0:1]
	v_fmac_f64_e32 v[2:3], v[0:1], v[6:7]
	v_div_scale_f64 v[0:1], s[4:5], v[2:3], v[2:3], 1.0
	v_rcp_f64_e32 v[8:9], v[0:1]
	s_nop 0
	v_fma_f64 v[10:11], -v[0:1], v[8:9], 1.0
	v_fmac_f64_e32 v[8:9], v[8:9], v[10:11]
	v_fma_f64 v[10:11], -v[0:1], v[8:9], 1.0
	v_fmac_f64_e32 v[8:9], v[8:9], v[10:11]
	v_div_scale_f64 v[10:11], vcc, 1.0, v[2:3], 1.0
	v_mul_f64 v[12:13], v[10:11], v[8:9]
	v_fma_f64 v[0:1], -v[0:1], v[12:13], v[10:11]
	s_nop 1
	v_div_fmas_f64 v[0:1], v[0:1], v[8:9], v[12:13]
	v_div_fixup_f64 v[2:3], v[0:1], v[2:3], 1.0
	v_mul_f64 v[0:1], v[6:7], v[2:3]
	v_xor_b32_e32 v3, 0x80000000, v3
.LBB120_1012:
	s_andn2_saveexec_b64 s[12:13], s[12:13]
	s_cbranch_execz .LBB120_1014
; %bb.1013:
	v_div_scale_f64 v[6:7], s[4:5], v[0:1], v[0:1], v[2:3]
	v_rcp_f64_e32 v[8:9], v[6:7]
	v_div_scale_f64 v[10:11], vcc, v[2:3], v[0:1], v[2:3]
	v_fma_f64 v[12:13], -v[6:7], v[8:9], 1.0
	v_fmac_f64_e32 v[8:9], v[8:9], v[12:13]
	v_fma_f64 v[12:13], -v[6:7], v[8:9], 1.0
	v_fmac_f64_e32 v[8:9], v[8:9], v[12:13]
	v_mul_f64 v[12:13], v[10:11], v[8:9]
	v_fma_f64 v[6:7], -v[6:7], v[12:13], v[10:11]
	v_div_fmas_f64 v[6:7], v[6:7], v[8:9], v[12:13]
	v_div_fixup_f64 v[6:7], v[6:7], v[0:1], v[2:3]
	v_fmac_f64_e32 v[0:1], v[2:3], v[6:7]
	v_div_scale_f64 v[2:3], s[4:5], v[0:1], v[0:1], 1.0
	v_rcp_f64_e32 v[8:9], v[2:3]
	s_nop 0
	v_fma_f64 v[10:11], -v[2:3], v[8:9], 1.0
	v_fmac_f64_e32 v[8:9], v[8:9], v[10:11]
	v_fma_f64 v[10:11], -v[2:3], v[8:9], 1.0
	v_fmac_f64_e32 v[8:9], v[8:9], v[10:11]
	v_div_scale_f64 v[10:11], vcc, 1.0, v[0:1], 1.0
	v_mul_f64 v[12:13], v[10:11], v[8:9]
	v_fma_f64 v[2:3], -v[2:3], v[12:13], v[10:11]
	s_nop 1
	v_div_fmas_f64 v[2:3], v[2:3], v[8:9], v[12:13]
	v_div_fixup_f64 v[0:1], v[2:3], v[0:1], 1.0
	v_mul_f64 v[2:3], v[6:7], -v[0:1]
.LBB120_1014:
	s_or_b64 exec, exec, s[12:13]
.LBB120_1015:
	s_or_b64 exec, exec, s[0:1]
	v_cmp_ne_u32_e32 vcc, v81, v4
	s_and_saveexec_b64 s[0:1], vcc
	s_xor_b64 s[0:1], exec, s[0:1]
	s_cbranch_execz .LBB120_1021
; %bb.1016:
	v_cmp_eq_u32_e32 vcc, 43, v81
	s_and_saveexec_b64 s[12:13], vcc
	s_cbranch_execz .LBB120_1020
; %bb.1017:
	v_cmp_ne_u32_e32 vcc, 43, v4
	s_xor_b64 s[4:5], s[18:19], -1
	s_and_b64 s[4:5], s[4:5], vcc
	s_and_saveexec_b64 s[14:15], s[4:5]
	s_cbranch_execz .LBB120_1019
; %bb.1018:
	v_ashrrev_i32_e32 v5, 31, v4
	v_lshl_add_u64 v[6:7], v[4:5], 2, v[46:47]
	global_load_dword v5, v[6:7], off
	global_load_dword v8, v[46:47], off offset:172
	s_waitcnt vmcnt(1)
	global_store_dword v[46:47], v5, off offset:172
	s_waitcnt vmcnt(1)
	global_store_dword v[6:7], v8, off
.LBB120_1019:
	s_or_b64 exec, exec, s[14:15]
	v_mov_b32_e32 v81, v4
	v_mov_b32_e32 v80, v4
.LBB120_1020:
	s_or_b64 exec, exec, s[12:13]
.LBB120_1021:
	s_andn2_saveexec_b64 s[0:1], s[0:1]
	s_cbranch_execz .LBB120_1023
; %bb.1022:
	scratch_load_dwordx4 v[4:7], off, s37
	scratch_load_dwordx4 v[8:11], off, s36
	;; [unrolled: 1-line block ×17, first 2 shown]
	v_mov_b32_e32 v81, 43
	s_waitcnt vmcnt(16)
	ds_write2_b64 v78, v[4:5], v[6:7] offset0:88 offset1:89
	s_waitcnt vmcnt(15)
	ds_write2_b64 v78, v[8:9], v[10:11] offset0:90 offset1:91
	;; [unrolled: 2-line block ×17, first 2 shown]
.LBB120_1023:
	s_or_b64 exec, exec, s[0:1]
	v_cmp_lt_i32_e32 vcc, 43, v81
	s_waitcnt lgkmcnt(0)
	s_barrier
	s_and_saveexec_b64 s[0:1], vcc
	s_cbranch_execz .LBB120_1025
; %bb.1024:
	scratch_load_dwordx4 v[4:7], off, off offset:688
	s_waitcnt vmcnt(0)
	v_mul_f64 v[8:9], v[2:3], v[6:7]
	v_mul_f64 v[10:11], v[0:1], v[6:7]
	v_fma_f64 v[8:9], v[0:1], v[4:5], -v[8:9]
	v_fmac_f64_e32 v[10:11], v[2:3], v[4:5]
	ds_read2_b64 v[0:3], v78 offset0:88 offset1:89
	scratch_store_dwordx4 off, v[8:11], off offset:688
	s_waitcnt lgkmcnt(0)
	v_mul_f64 v[4:5], v[2:3], v[10:11]
	v_mul_f64 v[6:7], v[0:1], v[10:11]
	v_fma_f64 v[4:5], v[0:1], v[8:9], -v[4:5]
	v_fmac_f64_e32 v[6:7], v[2:3], v[8:9]
	scratch_load_dwordx4 v[0:3], off, off offset:704
	s_waitcnt vmcnt(0)
	v_add_f64 v[0:1], v[0:1], -v[4:5]
	v_add_f64 v[2:3], v[2:3], -v[6:7]
	scratch_store_dwordx4 off, v[0:3], off offset:704
	ds_read2_b64 v[0:3], v78 offset0:90 offset1:91
	s_waitcnt lgkmcnt(0)
	v_mul_f64 v[4:5], v[2:3], v[10:11]
	v_mul_f64 v[6:7], v[0:1], v[10:11]
	v_fma_f64 v[4:5], v[0:1], v[8:9], -v[4:5]
	v_fmac_f64_e32 v[6:7], v[2:3], v[8:9]
	scratch_load_dwordx4 v[0:3], off, off offset:720
	s_waitcnt vmcnt(0)
	v_add_f64 v[0:1], v[0:1], -v[4:5]
	v_add_f64 v[2:3], v[2:3], -v[6:7]
	scratch_store_dwordx4 off, v[0:3], off offset:720
	ds_read2_b64 v[0:3], v78 offset0:92 offset1:93
	;; [unrolled: 11-line block ×6, first 2 shown]
	scratch_load_dwordx2 v[8:9], off, off offset:688
	scratch_load_dwordx4 v[0:3], off, off offset:688
	s_waitcnt vmcnt(0) lgkmcnt(0)
	v_mul_f64 v[10:11], v[6:7], v[2:3]
	v_mul_f64 v[12:13], v[4:5], v[2:3]
	v_fma_f64 v[10:11], v[4:5], v[8:9], -v[10:11]
	v_fmac_f64_e32 v[12:13], v[6:7], v[8:9]
	scratch_load_dwordx4 v[4:7], off, off offset:800
	s_waitcnt vmcnt(0)
	v_add_f64 v[4:5], v[4:5], -v[10:11]
	v_add_f64 v[6:7], v[6:7], -v[12:13]
	scratch_store_dwordx4 off, v[4:7], off offset:800
	ds_read2_b64 v[4:7], v78 offset0:102 offset1:103
	s_waitcnt lgkmcnt(0)
	v_mul_f64 v[10:11], v[6:7], v[2:3]
	v_mul_f64 v[12:13], v[4:5], v[2:3]
	v_fma_f64 v[10:11], v[4:5], v[8:9], -v[10:11]
	v_fmac_f64_e32 v[12:13], v[6:7], v[8:9]
	scratch_load_dwordx4 v[4:7], off, off offset:816
	s_waitcnt vmcnt(0)
	v_add_f64 v[4:5], v[4:5], -v[10:11]
	v_add_f64 v[6:7], v[6:7], -v[12:13]
	scratch_store_dwordx4 off, v[4:7], off offset:816
	ds_read2_b64 v[4:7], v78 offset0:104 offset1:105
	s_waitcnt lgkmcnt(0)
	;; [unrolled: 11-line block ×5, first 2 shown]
	v_mul_f64 v[10:11], v[6:7], v[2:3]
	v_fma_f64 v[10:11], v[4:5], v[8:9], -v[10:11]
	v_mul_f64 v[12:13], v[4:5], v[2:3]
	scratch_load_dwordx4 v[2:5], off, off offset:880
	v_fmac_f64_e32 v[12:13], v[6:7], v[8:9]
	scratch_load_dwordx2 v[6:7], off, off offset:696
	s_waitcnt vmcnt(1)
	v_add_f64 v[2:3], v[2:3], -v[10:11]
	v_add_f64 v[4:5], v[4:5], -v[12:13]
	scratch_store_dwordx4 off, v[2:5], off offset:880
	ds_read2_b64 v[2:5], v78 offset0:112 offset1:113
	s_waitcnt vmcnt(1) lgkmcnt(0)
	v_mul_f64 v[8:9], v[4:5], v[6:7]
	v_mul_f64 v[10:11], v[2:3], v[6:7]
	v_fma_f64 v[8:9], v[2:3], v[0:1], -v[8:9]
	v_fmac_f64_e32 v[10:11], v[4:5], v[0:1]
	scratch_load_dwordx4 v[2:5], off, off offset:896
	s_waitcnt vmcnt(0)
	v_add_f64 v[2:3], v[2:3], -v[8:9]
	v_add_f64 v[4:5], v[4:5], -v[10:11]
	scratch_store_dwordx4 off, v[2:5], off offset:896
	ds_read2_b64 v[2:5], v78 offset0:114 offset1:115
	s_waitcnt lgkmcnt(0)
	v_mul_f64 v[8:9], v[4:5], v[6:7]
	v_mul_f64 v[10:11], v[2:3], v[6:7]
	v_fma_f64 v[8:9], v[2:3], v[0:1], -v[8:9]
	v_fmac_f64_e32 v[10:11], v[4:5], v[0:1]
	scratch_load_dwordx4 v[2:5], off, off offset:912
	s_waitcnt vmcnt(0)
	v_add_f64 v[2:3], v[2:3], -v[8:9]
	v_add_f64 v[4:5], v[4:5], -v[10:11]
	scratch_store_dwordx4 off, v[2:5], off offset:912
	ds_read2_b64 v[2:5], v78 offset0:116 offset1:117
	s_waitcnt lgkmcnt(0)
	;; [unrolled: 11-line block ×4, first 2 shown]
	v_mul_f64 v[8:9], v[4:5], v[6:7]
	v_mul_f64 v[6:7], v[2:3], v[6:7]
	v_fma_f64 v[8:9], v[2:3], v[0:1], -v[8:9]
	v_fmac_f64_e32 v[6:7], v[4:5], v[0:1]
	scratch_load_dwordx4 v[0:3], off, off offset:960
	s_waitcnt vmcnt(0)
	v_add_f64 v[0:1], v[0:1], -v[8:9]
	v_add_f64 v[2:3], v[2:3], -v[6:7]
	scratch_store_dwordx4 off, v[0:3], off offset:960
.LBB120_1025:
	s_or_b64 exec, exec, s[0:1]
	s_barrier
	scratch_load_dwordx4 v[0:3], off, s37
	v_lshl_add_u32 v4, v81, 4, v78
	s_cmp_lt_i32 s51, 46
	s_waitcnt vmcnt(0)
	ds_write2_b64 v4, v[0:1], v[2:3] offset1:1
	s_waitcnt lgkmcnt(0)
	s_barrier
	ds_read2_b64 v[0:3], v78 offset0:88 offset1:89
	v_mov_b32_e32 v4, 44
	s_cbranch_scc1 .LBB120_1028
; %bb.1026:
	v_add_u32_e32 v5, 0x2d0, v78
	s_mov_b32 s4, 45
	v_mov_b32_e32 v4, 44
.LBB120_1027:                           ; =>This Inner Loop Header: Depth=1
	ds_read2_b64 v[6:9], v5 offset1:1
	s_waitcnt lgkmcnt(1)
	v_xor_b32_e32 v11, 0x80000000, v1
	v_xor_b32_e32 v13, 0x80000000, v3
	v_cmp_gt_f64_e32 vcc, 0, v[2:3]
	v_cmp_gt_f64_e64 s[0:1], 0, v[0:1]
	v_mov_b32_e32 v10, v0
	v_mov_b32_e32 v12, v2
	v_cndmask_b32_e64 v11, v1, v11, s[0:1]
	v_cndmask_b32_e32 v13, v3, v13, vcc
	v_add_f64 v[10:11], v[10:11], v[12:13]
	s_waitcnt lgkmcnt(0)
	v_xor_b32_e32 v13, 0x80000000, v7
	v_xor_b32_e32 v15, 0x80000000, v9
	v_cmp_gt_f64_e32 vcc, 0, v[8:9]
	v_cmp_gt_f64_e64 s[0:1], 0, v[6:7]
	v_mov_b32_e32 v12, v6
	v_mov_b32_e32 v14, v8
	v_cndmask_b32_e64 v13, v7, v13, s[0:1]
	v_cndmask_b32_e32 v15, v9, v15, vcc
	v_add_f64 v[12:13], v[12:13], v[14:15]
	v_mov_b32_e32 v16, s4
	s_add_i32 s4, s4, 1
	v_cmp_lt_f64_e32 vcc, v[10:11], v[12:13]
	v_add_u32_e32 v5, 16, v5
	s_cmp_lg_u32 s51, s4
	v_cndmask_b32_e32 v1, v1, v7, vcc
	v_cndmask_b32_e32 v0, v0, v6, vcc
	;; [unrolled: 1-line block ×5, first 2 shown]
	s_cbranch_scc1 .LBB120_1027
.LBB120_1028:
	s_waitcnt lgkmcnt(0)
	v_cmp_eq_f64_e32 vcc, 0, v[0:1]
	v_cmp_eq_f64_e64 s[0:1], 0, v[2:3]
	s_and_b64 s[0:1], vcc, s[0:1]
	s_and_saveexec_b64 s[4:5], s[0:1]
	s_xor_b64 s[0:1], exec, s[4:5]
; %bb.1029:
	v_cmp_ne_u32_e32 vcc, 0, v79
	s_nop 1
	v_cndmask_b32_e32 v79, 45, v79, vcc
; %bb.1030:
	s_andn2_saveexec_b64 s[0:1], s[0:1]
	s_cbranch_execz .LBB120_1036
; %bb.1031:
	v_cmp_ngt_f64_e64 s[4:5], |v[0:1]|, |v[2:3]|
	s_and_saveexec_b64 s[12:13], s[4:5]
	s_xor_b64 s[12:13], exec, s[12:13]
	s_cbranch_execz .LBB120_1033
; %bb.1032:
	v_div_scale_f64 v[6:7], s[4:5], v[2:3], v[2:3], v[0:1]
	v_rcp_f64_e32 v[8:9], v[6:7]
	v_div_scale_f64 v[10:11], vcc, v[0:1], v[2:3], v[0:1]
	v_fma_f64 v[12:13], -v[6:7], v[8:9], 1.0
	v_fmac_f64_e32 v[8:9], v[8:9], v[12:13]
	v_fma_f64 v[12:13], -v[6:7], v[8:9], 1.0
	v_fmac_f64_e32 v[8:9], v[8:9], v[12:13]
	v_mul_f64 v[12:13], v[10:11], v[8:9]
	v_fma_f64 v[6:7], -v[6:7], v[12:13], v[10:11]
	v_div_fmas_f64 v[6:7], v[6:7], v[8:9], v[12:13]
	v_div_fixup_f64 v[6:7], v[6:7], v[2:3], v[0:1]
	v_fmac_f64_e32 v[2:3], v[0:1], v[6:7]
	v_div_scale_f64 v[0:1], s[4:5], v[2:3], v[2:3], 1.0
	v_rcp_f64_e32 v[8:9], v[0:1]
	s_nop 0
	v_fma_f64 v[10:11], -v[0:1], v[8:9], 1.0
	v_fmac_f64_e32 v[8:9], v[8:9], v[10:11]
	v_fma_f64 v[10:11], -v[0:1], v[8:9], 1.0
	v_fmac_f64_e32 v[8:9], v[8:9], v[10:11]
	v_div_scale_f64 v[10:11], vcc, 1.0, v[2:3], 1.0
	v_mul_f64 v[12:13], v[10:11], v[8:9]
	v_fma_f64 v[0:1], -v[0:1], v[12:13], v[10:11]
	s_nop 1
	v_div_fmas_f64 v[0:1], v[0:1], v[8:9], v[12:13]
	v_div_fixup_f64 v[2:3], v[0:1], v[2:3], 1.0
	v_mul_f64 v[0:1], v[6:7], v[2:3]
	v_xor_b32_e32 v3, 0x80000000, v3
.LBB120_1033:
	s_andn2_saveexec_b64 s[12:13], s[12:13]
	s_cbranch_execz .LBB120_1035
; %bb.1034:
	v_div_scale_f64 v[6:7], s[4:5], v[0:1], v[0:1], v[2:3]
	v_rcp_f64_e32 v[8:9], v[6:7]
	v_div_scale_f64 v[10:11], vcc, v[2:3], v[0:1], v[2:3]
	v_fma_f64 v[12:13], -v[6:7], v[8:9], 1.0
	v_fmac_f64_e32 v[8:9], v[8:9], v[12:13]
	v_fma_f64 v[12:13], -v[6:7], v[8:9], 1.0
	v_fmac_f64_e32 v[8:9], v[8:9], v[12:13]
	v_mul_f64 v[12:13], v[10:11], v[8:9]
	v_fma_f64 v[6:7], -v[6:7], v[12:13], v[10:11]
	v_div_fmas_f64 v[6:7], v[6:7], v[8:9], v[12:13]
	v_div_fixup_f64 v[6:7], v[6:7], v[0:1], v[2:3]
	v_fmac_f64_e32 v[0:1], v[2:3], v[6:7]
	v_div_scale_f64 v[2:3], s[4:5], v[0:1], v[0:1], 1.0
	v_rcp_f64_e32 v[8:9], v[2:3]
	s_nop 0
	v_fma_f64 v[10:11], -v[2:3], v[8:9], 1.0
	v_fmac_f64_e32 v[8:9], v[8:9], v[10:11]
	v_fma_f64 v[10:11], -v[2:3], v[8:9], 1.0
	v_fmac_f64_e32 v[8:9], v[8:9], v[10:11]
	v_div_scale_f64 v[10:11], vcc, 1.0, v[0:1], 1.0
	v_mul_f64 v[12:13], v[10:11], v[8:9]
	v_fma_f64 v[2:3], -v[2:3], v[12:13], v[10:11]
	s_nop 1
	v_div_fmas_f64 v[2:3], v[2:3], v[8:9], v[12:13]
	v_div_fixup_f64 v[0:1], v[2:3], v[0:1], 1.0
	v_mul_f64 v[2:3], v[6:7], -v[0:1]
.LBB120_1035:
	s_or_b64 exec, exec, s[12:13]
.LBB120_1036:
	s_or_b64 exec, exec, s[0:1]
	v_cmp_ne_u32_e32 vcc, v81, v4
	s_and_saveexec_b64 s[0:1], vcc
	s_xor_b64 s[0:1], exec, s[0:1]
	s_cbranch_execz .LBB120_1042
; %bb.1037:
	v_cmp_eq_u32_e32 vcc, 44, v81
	s_and_saveexec_b64 s[12:13], vcc
	s_cbranch_execz .LBB120_1041
; %bb.1038:
	v_cmp_ne_u32_e32 vcc, 44, v4
	s_xor_b64 s[4:5], s[18:19], -1
	s_and_b64 s[4:5], s[4:5], vcc
	s_and_saveexec_b64 s[14:15], s[4:5]
	s_cbranch_execz .LBB120_1040
; %bb.1039:
	v_ashrrev_i32_e32 v5, 31, v4
	v_lshl_add_u64 v[6:7], v[4:5], 2, v[46:47]
	global_load_dword v5, v[6:7], off
	global_load_dword v8, v[46:47], off offset:176
	s_waitcnt vmcnt(1)
	global_store_dword v[46:47], v5, off offset:176
	s_waitcnt vmcnt(1)
	global_store_dword v[6:7], v8, off
.LBB120_1040:
	s_or_b64 exec, exec, s[14:15]
	v_mov_b32_e32 v81, v4
	v_mov_b32_e32 v80, v4
.LBB120_1041:
	s_or_b64 exec, exec, s[12:13]
.LBB120_1042:
	s_andn2_saveexec_b64 s[0:1], s[0:1]
	s_cbranch_execz .LBB120_1044
; %bb.1043:
	scratch_load_dwordx4 v[4:7], off, s36
	scratch_load_dwordx4 v[8:11], off, s35
	;; [unrolled: 1-line block ×16, first 2 shown]
	v_mov_b32_e32 v81, 44
	s_waitcnt vmcnt(15)
	ds_write2_b64 v78, v[4:5], v[6:7] offset0:90 offset1:91
	s_waitcnt vmcnt(14)
	ds_write2_b64 v78, v[8:9], v[10:11] offset0:92 offset1:93
	;; [unrolled: 2-line block ×16, first 2 shown]
.LBB120_1044:
	s_or_b64 exec, exec, s[0:1]
	v_cmp_lt_i32_e32 vcc, 44, v81
	s_waitcnt lgkmcnt(0)
	s_barrier
	s_and_saveexec_b64 s[0:1], vcc
	s_cbranch_execz .LBB120_1046
; %bb.1045:
	scratch_load_dwordx4 v[4:7], off, off offset:704
	s_waitcnt vmcnt(0)
	v_mul_f64 v[8:9], v[2:3], v[6:7]
	v_mul_f64 v[10:11], v[0:1], v[6:7]
	v_fma_f64 v[8:9], v[0:1], v[4:5], -v[8:9]
	v_fmac_f64_e32 v[10:11], v[2:3], v[4:5]
	ds_read2_b64 v[0:3], v78 offset0:90 offset1:91
	scratch_store_dwordx4 off, v[8:11], off offset:704
	s_waitcnt lgkmcnt(0)
	v_mul_f64 v[4:5], v[2:3], v[10:11]
	v_mul_f64 v[6:7], v[0:1], v[10:11]
	v_fma_f64 v[4:5], v[0:1], v[8:9], -v[4:5]
	v_fmac_f64_e32 v[6:7], v[2:3], v[8:9]
	scratch_load_dwordx4 v[0:3], off, off offset:720
	s_waitcnt vmcnt(0)
	v_add_f64 v[0:1], v[0:1], -v[4:5]
	v_add_f64 v[2:3], v[2:3], -v[6:7]
	scratch_store_dwordx4 off, v[0:3], off offset:720
	ds_read2_b64 v[0:3], v78 offset0:92 offset1:93
	s_waitcnt lgkmcnt(0)
	v_mul_f64 v[4:5], v[2:3], v[10:11]
	v_mul_f64 v[6:7], v[0:1], v[10:11]
	v_fma_f64 v[4:5], v[0:1], v[8:9], -v[4:5]
	v_fmac_f64_e32 v[6:7], v[2:3], v[8:9]
	scratch_load_dwordx4 v[0:3], off, off offset:736
	s_waitcnt vmcnt(0)
	v_add_f64 v[0:1], v[0:1], -v[4:5]
	v_add_f64 v[2:3], v[2:3], -v[6:7]
	scratch_store_dwordx4 off, v[0:3], off offset:736
	ds_read2_b64 v[0:3], v78 offset0:94 offset1:95
	;; [unrolled: 11-line block ×6, first 2 shown]
	scratch_load_dwordx2 v[8:9], off, off offset:704
	scratch_load_dwordx4 v[0:3], off, off offset:704
	s_waitcnt vmcnt(0) lgkmcnt(0)
	v_mul_f64 v[10:11], v[6:7], v[2:3]
	v_mul_f64 v[12:13], v[4:5], v[2:3]
	v_fma_f64 v[10:11], v[4:5], v[8:9], -v[10:11]
	v_fmac_f64_e32 v[12:13], v[6:7], v[8:9]
	scratch_load_dwordx4 v[4:7], off, off offset:816
	s_waitcnt vmcnt(0)
	v_add_f64 v[4:5], v[4:5], -v[10:11]
	v_add_f64 v[6:7], v[6:7], -v[12:13]
	scratch_store_dwordx4 off, v[4:7], off offset:816
	ds_read2_b64 v[4:7], v78 offset0:104 offset1:105
	s_waitcnt lgkmcnt(0)
	v_mul_f64 v[10:11], v[6:7], v[2:3]
	v_mul_f64 v[12:13], v[4:5], v[2:3]
	v_fma_f64 v[10:11], v[4:5], v[8:9], -v[10:11]
	v_fmac_f64_e32 v[12:13], v[6:7], v[8:9]
	scratch_load_dwordx4 v[4:7], off, off offset:832
	s_waitcnt vmcnt(0)
	v_add_f64 v[4:5], v[4:5], -v[10:11]
	v_add_f64 v[6:7], v[6:7], -v[12:13]
	scratch_store_dwordx4 off, v[4:7], off offset:832
	ds_read2_b64 v[4:7], v78 offset0:106 offset1:107
	s_waitcnt lgkmcnt(0)
	;; [unrolled: 11-line block ×5, first 2 shown]
	v_mul_f64 v[10:11], v[6:7], v[2:3]
	v_fma_f64 v[10:11], v[4:5], v[8:9], -v[10:11]
	v_mul_f64 v[12:13], v[4:5], v[2:3]
	scratch_load_dwordx4 v[2:5], off, off offset:896
	v_fmac_f64_e32 v[12:13], v[6:7], v[8:9]
	scratch_load_dwordx2 v[6:7], off, off offset:712
	s_waitcnt vmcnt(1)
	v_add_f64 v[2:3], v[2:3], -v[10:11]
	v_add_f64 v[4:5], v[4:5], -v[12:13]
	scratch_store_dwordx4 off, v[2:5], off offset:896
	ds_read2_b64 v[2:5], v78 offset0:114 offset1:115
	s_waitcnt vmcnt(1) lgkmcnt(0)
	v_mul_f64 v[8:9], v[4:5], v[6:7]
	v_mul_f64 v[10:11], v[2:3], v[6:7]
	v_fma_f64 v[8:9], v[2:3], v[0:1], -v[8:9]
	v_fmac_f64_e32 v[10:11], v[4:5], v[0:1]
	scratch_load_dwordx4 v[2:5], off, off offset:912
	s_waitcnt vmcnt(0)
	v_add_f64 v[2:3], v[2:3], -v[8:9]
	v_add_f64 v[4:5], v[4:5], -v[10:11]
	scratch_store_dwordx4 off, v[2:5], off offset:912
	ds_read2_b64 v[2:5], v78 offset0:116 offset1:117
	s_waitcnt lgkmcnt(0)
	v_mul_f64 v[8:9], v[4:5], v[6:7]
	v_mul_f64 v[10:11], v[2:3], v[6:7]
	v_fma_f64 v[8:9], v[2:3], v[0:1], -v[8:9]
	v_fmac_f64_e32 v[10:11], v[4:5], v[0:1]
	scratch_load_dwordx4 v[2:5], off, off offset:928
	s_waitcnt vmcnt(0)
	v_add_f64 v[2:3], v[2:3], -v[8:9]
	v_add_f64 v[4:5], v[4:5], -v[10:11]
	scratch_store_dwordx4 off, v[2:5], off offset:928
	ds_read2_b64 v[2:5], v78 offset0:118 offset1:119
	s_waitcnt lgkmcnt(0)
	;; [unrolled: 11-line block ×3, first 2 shown]
	v_mul_f64 v[8:9], v[4:5], v[6:7]
	v_mul_f64 v[6:7], v[2:3], v[6:7]
	v_fma_f64 v[8:9], v[2:3], v[0:1], -v[8:9]
	v_fmac_f64_e32 v[6:7], v[4:5], v[0:1]
	scratch_load_dwordx4 v[0:3], off, off offset:960
	s_waitcnt vmcnt(0)
	v_add_f64 v[0:1], v[0:1], -v[8:9]
	v_add_f64 v[2:3], v[2:3], -v[6:7]
	scratch_store_dwordx4 off, v[0:3], off offset:960
.LBB120_1046:
	s_or_b64 exec, exec, s[0:1]
	s_barrier
	scratch_load_dwordx4 v[0:3], off, s36
	v_lshl_add_u32 v4, v81, 4, v78
	s_cmp_lt_i32 s51, 47
	s_waitcnt vmcnt(0)
	ds_write2_b64 v4, v[0:1], v[2:3] offset1:1
	s_waitcnt lgkmcnt(0)
	s_barrier
	ds_read2_b64 v[0:3], v78 offset0:90 offset1:91
	v_mov_b32_e32 v4, 45
	s_cbranch_scc1 .LBB120_1049
; %bb.1047:
	v_add_u32_e32 v5, 0x2e0, v78
	s_mov_b32 s4, 46
	v_mov_b32_e32 v4, 45
.LBB120_1048:                           ; =>This Inner Loop Header: Depth=1
	ds_read2_b64 v[6:9], v5 offset1:1
	s_waitcnt lgkmcnt(1)
	v_xor_b32_e32 v11, 0x80000000, v1
	v_xor_b32_e32 v13, 0x80000000, v3
	v_cmp_gt_f64_e32 vcc, 0, v[2:3]
	v_cmp_gt_f64_e64 s[0:1], 0, v[0:1]
	v_mov_b32_e32 v10, v0
	v_mov_b32_e32 v12, v2
	v_cndmask_b32_e64 v11, v1, v11, s[0:1]
	v_cndmask_b32_e32 v13, v3, v13, vcc
	v_add_f64 v[10:11], v[10:11], v[12:13]
	s_waitcnt lgkmcnt(0)
	v_xor_b32_e32 v13, 0x80000000, v7
	v_xor_b32_e32 v15, 0x80000000, v9
	v_cmp_gt_f64_e32 vcc, 0, v[8:9]
	v_cmp_gt_f64_e64 s[0:1], 0, v[6:7]
	v_mov_b32_e32 v12, v6
	v_mov_b32_e32 v14, v8
	v_cndmask_b32_e64 v13, v7, v13, s[0:1]
	v_cndmask_b32_e32 v15, v9, v15, vcc
	v_add_f64 v[12:13], v[12:13], v[14:15]
	v_mov_b32_e32 v16, s4
	s_add_i32 s4, s4, 1
	v_cmp_lt_f64_e32 vcc, v[10:11], v[12:13]
	v_add_u32_e32 v5, 16, v5
	s_cmp_lg_u32 s51, s4
	v_cndmask_b32_e32 v1, v1, v7, vcc
	v_cndmask_b32_e32 v0, v0, v6, vcc
	;; [unrolled: 1-line block ×5, first 2 shown]
	s_cbranch_scc1 .LBB120_1048
.LBB120_1049:
	s_waitcnt lgkmcnt(0)
	v_cmp_eq_f64_e32 vcc, 0, v[0:1]
	v_cmp_eq_f64_e64 s[0:1], 0, v[2:3]
	s_and_b64 s[0:1], vcc, s[0:1]
	s_and_saveexec_b64 s[4:5], s[0:1]
	s_xor_b64 s[0:1], exec, s[4:5]
; %bb.1050:
	v_cmp_ne_u32_e32 vcc, 0, v79
	s_nop 1
	v_cndmask_b32_e32 v79, 46, v79, vcc
; %bb.1051:
	s_andn2_saveexec_b64 s[0:1], s[0:1]
	s_cbranch_execz .LBB120_1057
; %bb.1052:
	v_cmp_ngt_f64_e64 s[4:5], |v[0:1]|, |v[2:3]|
	s_and_saveexec_b64 s[12:13], s[4:5]
	s_xor_b64 s[12:13], exec, s[12:13]
	s_cbranch_execz .LBB120_1054
; %bb.1053:
	v_div_scale_f64 v[6:7], s[4:5], v[2:3], v[2:3], v[0:1]
	v_rcp_f64_e32 v[8:9], v[6:7]
	v_div_scale_f64 v[10:11], vcc, v[0:1], v[2:3], v[0:1]
	v_fma_f64 v[12:13], -v[6:7], v[8:9], 1.0
	v_fmac_f64_e32 v[8:9], v[8:9], v[12:13]
	v_fma_f64 v[12:13], -v[6:7], v[8:9], 1.0
	v_fmac_f64_e32 v[8:9], v[8:9], v[12:13]
	v_mul_f64 v[12:13], v[10:11], v[8:9]
	v_fma_f64 v[6:7], -v[6:7], v[12:13], v[10:11]
	v_div_fmas_f64 v[6:7], v[6:7], v[8:9], v[12:13]
	v_div_fixup_f64 v[6:7], v[6:7], v[2:3], v[0:1]
	v_fmac_f64_e32 v[2:3], v[0:1], v[6:7]
	v_div_scale_f64 v[0:1], s[4:5], v[2:3], v[2:3], 1.0
	v_rcp_f64_e32 v[8:9], v[0:1]
	s_nop 0
	v_fma_f64 v[10:11], -v[0:1], v[8:9], 1.0
	v_fmac_f64_e32 v[8:9], v[8:9], v[10:11]
	v_fma_f64 v[10:11], -v[0:1], v[8:9], 1.0
	v_fmac_f64_e32 v[8:9], v[8:9], v[10:11]
	v_div_scale_f64 v[10:11], vcc, 1.0, v[2:3], 1.0
	v_mul_f64 v[12:13], v[10:11], v[8:9]
	v_fma_f64 v[0:1], -v[0:1], v[12:13], v[10:11]
	s_nop 1
	v_div_fmas_f64 v[0:1], v[0:1], v[8:9], v[12:13]
	v_div_fixup_f64 v[2:3], v[0:1], v[2:3], 1.0
	v_mul_f64 v[0:1], v[6:7], v[2:3]
	v_xor_b32_e32 v3, 0x80000000, v3
.LBB120_1054:
	s_andn2_saveexec_b64 s[12:13], s[12:13]
	s_cbranch_execz .LBB120_1056
; %bb.1055:
	v_div_scale_f64 v[6:7], s[4:5], v[0:1], v[0:1], v[2:3]
	v_rcp_f64_e32 v[8:9], v[6:7]
	v_div_scale_f64 v[10:11], vcc, v[2:3], v[0:1], v[2:3]
	v_fma_f64 v[12:13], -v[6:7], v[8:9], 1.0
	v_fmac_f64_e32 v[8:9], v[8:9], v[12:13]
	v_fma_f64 v[12:13], -v[6:7], v[8:9], 1.0
	v_fmac_f64_e32 v[8:9], v[8:9], v[12:13]
	v_mul_f64 v[12:13], v[10:11], v[8:9]
	v_fma_f64 v[6:7], -v[6:7], v[12:13], v[10:11]
	v_div_fmas_f64 v[6:7], v[6:7], v[8:9], v[12:13]
	v_div_fixup_f64 v[6:7], v[6:7], v[0:1], v[2:3]
	v_fmac_f64_e32 v[0:1], v[2:3], v[6:7]
	v_div_scale_f64 v[2:3], s[4:5], v[0:1], v[0:1], 1.0
	v_rcp_f64_e32 v[8:9], v[2:3]
	s_nop 0
	v_fma_f64 v[10:11], -v[2:3], v[8:9], 1.0
	v_fmac_f64_e32 v[8:9], v[8:9], v[10:11]
	v_fma_f64 v[10:11], -v[2:3], v[8:9], 1.0
	v_fmac_f64_e32 v[8:9], v[8:9], v[10:11]
	v_div_scale_f64 v[10:11], vcc, 1.0, v[0:1], 1.0
	v_mul_f64 v[12:13], v[10:11], v[8:9]
	v_fma_f64 v[2:3], -v[2:3], v[12:13], v[10:11]
	s_nop 1
	v_div_fmas_f64 v[2:3], v[2:3], v[8:9], v[12:13]
	v_div_fixup_f64 v[0:1], v[2:3], v[0:1], 1.0
	v_mul_f64 v[2:3], v[6:7], -v[0:1]
.LBB120_1056:
	s_or_b64 exec, exec, s[12:13]
.LBB120_1057:
	s_or_b64 exec, exec, s[0:1]
	v_cmp_ne_u32_e32 vcc, v81, v4
	s_and_saveexec_b64 s[0:1], vcc
	s_xor_b64 s[0:1], exec, s[0:1]
	s_cbranch_execz .LBB120_1063
; %bb.1058:
	v_cmp_eq_u32_e32 vcc, 45, v81
	s_and_saveexec_b64 s[12:13], vcc
	s_cbranch_execz .LBB120_1062
; %bb.1059:
	v_cmp_ne_u32_e32 vcc, 45, v4
	s_xor_b64 s[4:5], s[18:19], -1
	s_and_b64 s[4:5], s[4:5], vcc
	s_and_saveexec_b64 s[14:15], s[4:5]
	s_cbranch_execz .LBB120_1061
; %bb.1060:
	v_ashrrev_i32_e32 v5, 31, v4
	v_lshl_add_u64 v[6:7], v[4:5], 2, v[46:47]
	global_load_dword v5, v[6:7], off
	global_load_dword v8, v[46:47], off offset:180
	s_waitcnt vmcnt(1)
	global_store_dword v[46:47], v5, off offset:180
	s_waitcnt vmcnt(1)
	global_store_dword v[6:7], v8, off
.LBB120_1061:
	s_or_b64 exec, exec, s[14:15]
	v_mov_b32_e32 v81, v4
	v_mov_b32_e32 v80, v4
.LBB120_1062:
	s_or_b64 exec, exec, s[12:13]
.LBB120_1063:
	s_andn2_saveexec_b64 s[0:1], s[0:1]
	s_cbranch_execz .LBB120_1065
; %bb.1064:
	scratch_load_dwordx4 v[4:7], off, s35
	scratch_load_dwordx4 v[8:11], off, s34
	;; [unrolled: 1-line block ×15, first 2 shown]
	v_mov_b32_e32 v81, 45
	s_waitcnt vmcnt(14)
	ds_write2_b64 v78, v[4:5], v[6:7] offset0:92 offset1:93
	s_waitcnt vmcnt(13)
	ds_write2_b64 v78, v[8:9], v[10:11] offset0:94 offset1:95
	;; [unrolled: 2-line block ×15, first 2 shown]
.LBB120_1065:
	s_or_b64 exec, exec, s[0:1]
	v_cmp_lt_i32_e32 vcc, 45, v81
	s_waitcnt lgkmcnt(0)
	s_barrier
	s_and_saveexec_b64 s[0:1], vcc
	s_cbranch_execz .LBB120_1067
; %bb.1066:
	scratch_load_dwordx4 v[4:7], off, off offset:720
	s_waitcnt vmcnt(0)
	v_mul_f64 v[8:9], v[2:3], v[6:7]
	v_mul_f64 v[10:11], v[0:1], v[6:7]
	v_fma_f64 v[8:9], v[0:1], v[4:5], -v[8:9]
	v_fmac_f64_e32 v[10:11], v[2:3], v[4:5]
	ds_read2_b64 v[0:3], v78 offset0:92 offset1:93
	scratch_store_dwordx4 off, v[8:11], off offset:720
	s_waitcnt lgkmcnt(0)
	v_mul_f64 v[4:5], v[2:3], v[10:11]
	v_mul_f64 v[6:7], v[0:1], v[10:11]
	v_fma_f64 v[4:5], v[0:1], v[8:9], -v[4:5]
	v_fmac_f64_e32 v[6:7], v[2:3], v[8:9]
	scratch_load_dwordx4 v[0:3], off, off offset:736
	s_waitcnt vmcnt(0)
	v_add_f64 v[0:1], v[0:1], -v[4:5]
	v_add_f64 v[2:3], v[2:3], -v[6:7]
	scratch_store_dwordx4 off, v[0:3], off offset:736
	ds_read2_b64 v[0:3], v78 offset0:94 offset1:95
	s_waitcnt lgkmcnt(0)
	v_mul_f64 v[4:5], v[2:3], v[10:11]
	v_mul_f64 v[6:7], v[0:1], v[10:11]
	v_fma_f64 v[4:5], v[0:1], v[8:9], -v[4:5]
	v_fmac_f64_e32 v[6:7], v[2:3], v[8:9]
	scratch_load_dwordx4 v[0:3], off, off offset:752
	s_waitcnt vmcnt(0)
	v_add_f64 v[0:1], v[0:1], -v[4:5]
	v_add_f64 v[2:3], v[2:3], -v[6:7]
	scratch_store_dwordx4 off, v[0:3], off offset:752
	ds_read2_b64 v[0:3], v78 offset0:96 offset1:97
	s_waitcnt lgkmcnt(0)
	v_mul_f64 v[4:5], v[2:3], v[10:11]
	v_mul_f64 v[6:7], v[0:1], v[10:11]
	v_fma_f64 v[4:5], v[0:1], v[8:9], -v[4:5]
	v_fmac_f64_e32 v[6:7], v[2:3], v[8:9]
	scratch_load_dwordx4 v[0:3], off, off offset:768
	s_waitcnt vmcnt(0)
	v_add_f64 v[0:1], v[0:1], -v[4:5]
	v_add_f64 v[2:3], v[2:3], -v[6:7]
	scratch_store_dwordx4 off, v[0:3], off offset:768
	ds_read2_b64 v[0:3], v78 offset0:98 offset1:99
	s_waitcnt lgkmcnt(0)
	v_mul_f64 v[4:5], v[2:3], v[10:11]
	v_mul_f64 v[6:7], v[0:1], v[10:11]
	v_fma_f64 v[4:5], v[0:1], v[8:9], -v[4:5]
	v_fmac_f64_e32 v[6:7], v[2:3], v[8:9]
	scratch_load_dwordx4 v[0:3], off, off offset:784
	s_waitcnt vmcnt(0)
	v_add_f64 v[0:1], v[0:1], -v[4:5]
	v_add_f64 v[2:3], v[2:3], -v[6:7]
	scratch_store_dwordx4 off, v[0:3], off offset:784
	ds_read2_b64 v[0:3], v78 offset0:100 offset1:101
	s_waitcnt lgkmcnt(0)
	v_mul_f64 v[4:5], v[2:3], v[10:11]
	v_mul_f64 v[6:7], v[0:1], v[10:11]
	v_fma_f64 v[4:5], v[0:1], v[8:9], -v[4:5]
	v_fmac_f64_e32 v[6:7], v[2:3], v[8:9]
	scratch_load_dwordx4 v[0:3], off, off offset:800
	s_waitcnt vmcnt(0)
	v_add_f64 v[0:1], v[0:1], -v[4:5]
	v_add_f64 v[2:3], v[2:3], -v[6:7]
	scratch_store_dwordx4 off, v[0:3], off offset:800
	ds_read2_b64 v[0:3], v78 offset0:102 offset1:103
	s_waitcnt lgkmcnt(0)
	v_mul_f64 v[4:5], v[2:3], v[10:11]
	v_mul_f64 v[6:7], v[0:1], v[10:11]
	v_fma_f64 v[4:5], v[0:1], v[8:9], -v[4:5]
	v_fmac_f64_e32 v[6:7], v[2:3], v[8:9]
	scratch_load_dwordx4 v[0:3], off, off offset:816
	s_waitcnt vmcnt(0)
	v_add_f64 v[0:1], v[0:1], -v[4:5]
	v_add_f64 v[2:3], v[2:3], -v[6:7]
	scratch_store_dwordx4 off, v[0:3], off offset:816
	ds_read2_b64 v[4:7], v78 offset0:104 offset1:105
	scratch_load_dwordx2 v[8:9], off, off offset:720
	scratch_load_dwordx4 v[0:3], off, off offset:720
	s_waitcnt vmcnt(0) lgkmcnt(0)
	v_mul_f64 v[10:11], v[6:7], v[2:3]
	v_mul_f64 v[12:13], v[4:5], v[2:3]
	v_fma_f64 v[10:11], v[4:5], v[8:9], -v[10:11]
	v_fmac_f64_e32 v[12:13], v[6:7], v[8:9]
	scratch_load_dwordx4 v[4:7], off, off offset:832
	s_waitcnt vmcnt(0)
	v_add_f64 v[4:5], v[4:5], -v[10:11]
	v_add_f64 v[6:7], v[6:7], -v[12:13]
	scratch_store_dwordx4 off, v[4:7], off offset:832
	ds_read2_b64 v[4:7], v78 offset0:106 offset1:107
	s_waitcnt lgkmcnt(0)
	v_mul_f64 v[10:11], v[6:7], v[2:3]
	v_mul_f64 v[12:13], v[4:5], v[2:3]
	v_fma_f64 v[10:11], v[4:5], v[8:9], -v[10:11]
	v_fmac_f64_e32 v[12:13], v[6:7], v[8:9]
	scratch_load_dwordx4 v[4:7], off, off offset:848
	s_waitcnt vmcnt(0)
	v_add_f64 v[4:5], v[4:5], -v[10:11]
	v_add_f64 v[6:7], v[6:7], -v[12:13]
	scratch_store_dwordx4 off, v[4:7], off offset:848
	ds_read2_b64 v[4:7], v78 offset0:108 offset1:109
	s_waitcnt lgkmcnt(0)
	;; [unrolled: 11-line block ×5, first 2 shown]
	v_mul_f64 v[10:11], v[6:7], v[2:3]
	v_fma_f64 v[10:11], v[4:5], v[8:9], -v[10:11]
	v_mul_f64 v[12:13], v[4:5], v[2:3]
	scratch_load_dwordx4 v[2:5], off, off offset:912
	v_fmac_f64_e32 v[12:13], v[6:7], v[8:9]
	scratch_load_dwordx2 v[6:7], off, off offset:728
	s_waitcnt vmcnt(1)
	v_add_f64 v[2:3], v[2:3], -v[10:11]
	v_add_f64 v[4:5], v[4:5], -v[12:13]
	scratch_store_dwordx4 off, v[2:5], off offset:912
	ds_read2_b64 v[2:5], v78 offset0:116 offset1:117
	s_waitcnt vmcnt(1) lgkmcnt(0)
	v_mul_f64 v[8:9], v[4:5], v[6:7]
	v_mul_f64 v[10:11], v[2:3], v[6:7]
	v_fma_f64 v[8:9], v[2:3], v[0:1], -v[8:9]
	v_fmac_f64_e32 v[10:11], v[4:5], v[0:1]
	scratch_load_dwordx4 v[2:5], off, off offset:928
	s_waitcnt vmcnt(0)
	v_add_f64 v[2:3], v[2:3], -v[8:9]
	v_add_f64 v[4:5], v[4:5], -v[10:11]
	scratch_store_dwordx4 off, v[2:5], off offset:928
	ds_read2_b64 v[2:5], v78 offset0:118 offset1:119
	s_waitcnt lgkmcnt(0)
	v_mul_f64 v[8:9], v[4:5], v[6:7]
	v_mul_f64 v[10:11], v[2:3], v[6:7]
	v_fma_f64 v[8:9], v[2:3], v[0:1], -v[8:9]
	v_fmac_f64_e32 v[10:11], v[4:5], v[0:1]
	scratch_load_dwordx4 v[2:5], off, off offset:944
	s_waitcnt vmcnt(0)
	v_add_f64 v[2:3], v[2:3], -v[8:9]
	v_add_f64 v[4:5], v[4:5], -v[10:11]
	scratch_store_dwordx4 off, v[2:5], off offset:944
	ds_read2_b64 v[2:5], v78 offset0:120 offset1:121
	s_waitcnt lgkmcnt(0)
	v_mul_f64 v[8:9], v[4:5], v[6:7]
	v_mul_f64 v[6:7], v[2:3], v[6:7]
	v_fma_f64 v[8:9], v[2:3], v[0:1], -v[8:9]
	v_fmac_f64_e32 v[6:7], v[4:5], v[0:1]
	scratch_load_dwordx4 v[0:3], off, off offset:960
	s_waitcnt vmcnt(0)
	v_add_f64 v[0:1], v[0:1], -v[8:9]
	v_add_f64 v[2:3], v[2:3], -v[6:7]
	scratch_store_dwordx4 off, v[0:3], off offset:960
.LBB120_1067:
	s_or_b64 exec, exec, s[0:1]
	s_barrier
	scratch_load_dwordx4 v[0:3], off, s35
	v_lshl_add_u32 v4, v81, 4, v78
	s_cmp_lt_i32 s51, 48
	s_waitcnt vmcnt(0)
	ds_write2_b64 v4, v[0:1], v[2:3] offset1:1
	s_waitcnt lgkmcnt(0)
	s_barrier
	ds_read2_b64 v[0:3], v78 offset0:92 offset1:93
	v_mov_b32_e32 v4, 46
	s_cbranch_scc1 .LBB120_1070
; %bb.1068:
	v_add_u32_e32 v5, 0x2f0, v78
	s_mov_b32 s4, 47
	v_mov_b32_e32 v4, 46
.LBB120_1069:                           ; =>This Inner Loop Header: Depth=1
	ds_read2_b64 v[6:9], v5 offset1:1
	s_waitcnt lgkmcnt(1)
	v_xor_b32_e32 v11, 0x80000000, v1
	v_xor_b32_e32 v13, 0x80000000, v3
	v_cmp_gt_f64_e32 vcc, 0, v[2:3]
	v_cmp_gt_f64_e64 s[0:1], 0, v[0:1]
	v_mov_b32_e32 v10, v0
	v_mov_b32_e32 v12, v2
	v_cndmask_b32_e64 v11, v1, v11, s[0:1]
	v_cndmask_b32_e32 v13, v3, v13, vcc
	v_add_f64 v[10:11], v[10:11], v[12:13]
	s_waitcnt lgkmcnt(0)
	v_xor_b32_e32 v13, 0x80000000, v7
	v_xor_b32_e32 v15, 0x80000000, v9
	v_cmp_gt_f64_e32 vcc, 0, v[8:9]
	v_cmp_gt_f64_e64 s[0:1], 0, v[6:7]
	v_mov_b32_e32 v12, v6
	v_mov_b32_e32 v14, v8
	v_cndmask_b32_e64 v13, v7, v13, s[0:1]
	v_cndmask_b32_e32 v15, v9, v15, vcc
	v_add_f64 v[12:13], v[12:13], v[14:15]
	v_mov_b32_e32 v16, s4
	s_add_i32 s4, s4, 1
	v_cmp_lt_f64_e32 vcc, v[10:11], v[12:13]
	v_add_u32_e32 v5, 16, v5
	s_cmp_lg_u32 s51, s4
	v_cndmask_b32_e32 v1, v1, v7, vcc
	v_cndmask_b32_e32 v0, v0, v6, vcc
	;; [unrolled: 1-line block ×5, first 2 shown]
	s_cbranch_scc1 .LBB120_1069
.LBB120_1070:
	s_waitcnt lgkmcnt(0)
	v_cmp_eq_f64_e32 vcc, 0, v[0:1]
	v_cmp_eq_f64_e64 s[0:1], 0, v[2:3]
	s_and_b64 s[0:1], vcc, s[0:1]
	s_and_saveexec_b64 s[4:5], s[0:1]
	s_xor_b64 s[0:1], exec, s[4:5]
; %bb.1071:
	v_cmp_ne_u32_e32 vcc, 0, v79
	s_nop 1
	v_cndmask_b32_e32 v79, 47, v79, vcc
; %bb.1072:
	s_andn2_saveexec_b64 s[0:1], s[0:1]
	s_cbranch_execz .LBB120_1078
; %bb.1073:
	v_cmp_ngt_f64_e64 s[4:5], |v[0:1]|, |v[2:3]|
	s_and_saveexec_b64 s[12:13], s[4:5]
	s_xor_b64 s[12:13], exec, s[12:13]
	s_cbranch_execz .LBB120_1075
; %bb.1074:
	v_div_scale_f64 v[6:7], s[4:5], v[2:3], v[2:3], v[0:1]
	v_rcp_f64_e32 v[8:9], v[6:7]
	v_div_scale_f64 v[10:11], vcc, v[0:1], v[2:3], v[0:1]
	v_fma_f64 v[12:13], -v[6:7], v[8:9], 1.0
	v_fmac_f64_e32 v[8:9], v[8:9], v[12:13]
	v_fma_f64 v[12:13], -v[6:7], v[8:9], 1.0
	v_fmac_f64_e32 v[8:9], v[8:9], v[12:13]
	v_mul_f64 v[12:13], v[10:11], v[8:9]
	v_fma_f64 v[6:7], -v[6:7], v[12:13], v[10:11]
	v_div_fmas_f64 v[6:7], v[6:7], v[8:9], v[12:13]
	v_div_fixup_f64 v[6:7], v[6:7], v[2:3], v[0:1]
	v_fmac_f64_e32 v[2:3], v[0:1], v[6:7]
	v_div_scale_f64 v[0:1], s[4:5], v[2:3], v[2:3], 1.0
	v_rcp_f64_e32 v[8:9], v[0:1]
	s_nop 0
	v_fma_f64 v[10:11], -v[0:1], v[8:9], 1.0
	v_fmac_f64_e32 v[8:9], v[8:9], v[10:11]
	v_fma_f64 v[10:11], -v[0:1], v[8:9], 1.0
	v_fmac_f64_e32 v[8:9], v[8:9], v[10:11]
	v_div_scale_f64 v[10:11], vcc, 1.0, v[2:3], 1.0
	v_mul_f64 v[12:13], v[10:11], v[8:9]
	v_fma_f64 v[0:1], -v[0:1], v[12:13], v[10:11]
	s_nop 1
	v_div_fmas_f64 v[0:1], v[0:1], v[8:9], v[12:13]
	v_div_fixup_f64 v[2:3], v[0:1], v[2:3], 1.0
	v_mul_f64 v[0:1], v[6:7], v[2:3]
	v_xor_b32_e32 v3, 0x80000000, v3
.LBB120_1075:
	s_andn2_saveexec_b64 s[12:13], s[12:13]
	s_cbranch_execz .LBB120_1077
; %bb.1076:
	v_div_scale_f64 v[6:7], s[4:5], v[0:1], v[0:1], v[2:3]
	v_rcp_f64_e32 v[8:9], v[6:7]
	v_div_scale_f64 v[10:11], vcc, v[2:3], v[0:1], v[2:3]
	v_fma_f64 v[12:13], -v[6:7], v[8:9], 1.0
	v_fmac_f64_e32 v[8:9], v[8:9], v[12:13]
	v_fma_f64 v[12:13], -v[6:7], v[8:9], 1.0
	v_fmac_f64_e32 v[8:9], v[8:9], v[12:13]
	v_mul_f64 v[12:13], v[10:11], v[8:9]
	v_fma_f64 v[6:7], -v[6:7], v[12:13], v[10:11]
	v_div_fmas_f64 v[6:7], v[6:7], v[8:9], v[12:13]
	v_div_fixup_f64 v[6:7], v[6:7], v[0:1], v[2:3]
	v_fmac_f64_e32 v[0:1], v[2:3], v[6:7]
	v_div_scale_f64 v[2:3], s[4:5], v[0:1], v[0:1], 1.0
	v_rcp_f64_e32 v[8:9], v[2:3]
	s_nop 0
	v_fma_f64 v[10:11], -v[2:3], v[8:9], 1.0
	v_fmac_f64_e32 v[8:9], v[8:9], v[10:11]
	v_fma_f64 v[10:11], -v[2:3], v[8:9], 1.0
	v_fmac_f64_e32 v[8:9], v[8:9], v[10:11]
	v_div_scale_f64 v[10:11], vcc, 1.0, v[0:1], 1.0
	v_mul_f64 v[12:13], v[10:11], v[8:9]
	v_fma_f64 v[2:3], -v[2:3], v[12:13], v[10:11]
	s_nop 1
	v_div_fmas_f64 v[2:3], v[2:3], v[8:9], v[12:13]
	v_div_fixup_f64 v[0:1], v[2:3], v[0:1], 1.0
	v_mul_f64 v[2:3], v[6:7], -v[0:1]
.LBB120_1077:
	s_or_b64 exec, exec, s[12:13]
.LBB120_1078:
	s_or_b64 exec, exec, s[0:1]
	v_cmp_ne_u32_e32 vcc, v81, v4
	s_and_saveexec_b64 s[0:1], vcc
	s_xor_b64 s[0:1], exec, s[0:1]
	s_cbranch_execz .LBB120_1084
; %bb.1079:
	v_cmp_eq_u32_e32 vcc, 46, v81
	s_and_saveexec_b64 s[12:13], vcc
	s_cbranch_execz .LBB120_1083
; %bb.1080:
	v_cmp_ne_u32_e32 vcc, 46, v4
	s_xor_b64 s[4:5], s[18:19], -1
	s_and_b64 s[4:5], s[4:5], vcc
	s_and_saveexec_b64 s[14:15], s[4:5]
	s_cbranch_execz .LBB120_1082
; %bb.1081:
	v_ashrrev_i32_e32 v5, 31, v4
	v_lshl_add_u64 v[6:7], v[4:5], 2, v[46:47]
	global_load_dword v5, v[6:7], off
	global_load_dword v8, v[46:47], off offset:184
	s_waitcnt vmcnt(1)
	global_store_dword v[46:47], v5, off offset:184
	s_waitcnt vmcnt(1)
	global_store_dword v[6:7], v8, off
.LBB120_1082:
	s_or_b64 exec, exec, s[14:15]
	v_mov_b32_e32 v81, v4
	v_mov_b32_e32 v80, v4
.LBB120_1083:
	s_or_b64 exec, exec, s[12:13]
.LBB120_1084:
	s_andn2_saveexec_b64 s[0:1], s[0:1]
	s_cbranch_execz .LBB120_1086
; %bb.1085:
	scratch_load_dwordx4 v[4:7], off, s34
	scratch_load_dwordx4 v[8:11], off, s33
	;; [unrolled: 1-line block ×14, first 2 shown]
	v_mov_b32_e32 v81, 46
	s_waitcnt vmcnt(13)
	ds_write2_b64 v78, v[4:5], v[6:7] offset0:94 offset1:95
	s_waitcnt vmcnt(12)
	ds_write2_b64 v78, v[8:9], v[10:11] offset0:96 offset1:97
	;; [unrolled: 2-line block ×14, first 2 shown]
.LBB120_1086:
	s_or_b64 exec, exec, s[0:1]
	v_cmp_lt_i32_e32 vcc, 46, v81
	s_waitcnt lgkmcnt(0)
	s_barrier
	s_and_saveexec_b64 s[0:1], vcc
	s_cbranch_execz .LBB120_1088
; %bb.1087:
	scratch_load_dwordx4 v[4:7], off, off offset:736
	s_waitcnt vmcnt(0)
	v_mul_f64 v[8:9], v[2:3], v[6:7]
	v_mul_f64 v[10:11], v[0:1], v[6:7]
	v_fma_f64 v[8:9], v[0:1], v[4:5], -v[8:9]
	v_fmac_f64_e32 v[10:11], v[2:3], v[4:5]
	ds_read2_b64 v[0:3], v78 offset0:94 offset1:95
	scratch_store_dwordx4 off, v[8:11], off offset:736
	s_waitcnt lgkmcnt(0)
	v_mul_f64 v[4:5], v[2:3], v[10:11]
	v_mul_f64 v[6:7], v[0:1], v[10:11]
	v_fma_f64 v[4:5], v[0:1], v[8:9], -v[4:5]
	v_fmac_f64_e32 v[6:7], v[2:3], v[8:9]
	scratch_load_dwordx4 v[0:3], off, off offset:752
	s_waitcnt vmcnt(0)
	v_add_f64 v[0:1], v[0:1], -v[4:5]
	v_add_f64 v[2:3], v[2:3], -v[6:7]
	scratch_store_dwordx4 off, v[0:3], off offset:752
	ds_read2_b64 v[0:3], v78 offset0:96 offset1:97
	s_waitcnt lgkmcnt(0)
	v_mul_f64 v[4:5], v[2:3], v[10:11]
	v_mul_f64 v[6:7], v[0:1], v[10:11]
	v_fma_f64 v[4:5], v[0:1], v[8:9], -v[4:5]
	v_fmac_f64_e32 v[6:7], v[2:3], v[8:9]
	scratch_load_dwordx4 v[0:3], off, off offset:768
	s_waitcnt vmcnt(0)
	v_add_f64 v[0:1], v[0:1], -v[4:5]
	v_add_f64 v[2:3], v[2:3], -v[6:7]
	scratch_store_dwordx4 off, v[0:3], off offset:768
	ds_read2_b64 v[0:3], v78 offset0:98 offset1:99
	;; [unrolled: 11-line block ×6, first 2 shown]
	scratch_load_dwordx2 v[8:9], off, off offset:736
	scratch_load_dwordx4 v[0:3], off, off offset:736
	s_waitcnt vmcnt(0) lgkmcnt(0)
	v_mul_f64 v[10:11], v[6:7], v[2:3]
	v_mul_f64 v[12:13], v[4:5], v[2:3]
	v_fma_f64 v[10:11], v[4:5], v[8:9], -v[10:11]
	v_fmac_f64_e32 v[12:13], v[6:7], v[8:9]
	scratch_load_dwordx4 v[4:7], off, off offset:848
	s_waitcnt vmcnt(0)
	v_add_f64 v[4:5], v[4:5], -v[10:11]
	v_add_f64 v[6:7], v[6:7], -v[12:13]
	scratch_store_dwordx4 off, v[4:7], off offset:848
	ds_read2_b64 v[4:7], v78 offset0:108 offset1:109
	s_waitcnt lgkmcnt(0)
	v_mul_f64 v[10:11], v[6:7], v[2:3]
	v_mul_f64 v[12:13], v[4:5], v[2:3]
	v_fma_f64 v[10:11], v[4:5], v[8:9], -v[10:11]
	v_fmac_f64_e32 v[12:13], v[6:7], v[8:9]
	scratch_load_dwordx4 v[4:7], off, off offset:864
	s_waitcnt vmcnt(0)
	v_add_f64 v[4:5], v[4:5], -v[10:11]
	v_add_f64 v[6:7], v[6:7], -v[12:13]
	scratch_store_dwordx4 off, v[4:7], off offset:864
	ds_read2_b64 v[4:7], v78 offset0:110 offset1:111
	s_waitcnt lgkmcnt(0)
	;; [unrolled: 11-line block ×5, first 2 shown]
	v_mul_f64 v[10:11], v[6:7], v[2:3]
	v_fma_f64 v[10:11], v[4:5], v[8:9], -v[10:11]
	v_mul_f64 v[12:13], v[4:5], v[2:3]
	scratch_load_dwordx4 v[2:5], off, off offset:928
	v_fmac_f64_e32 v[12:13], v[6:7], v[8:9]
	scratch_load_dwordx2 v[6:7], off, off offset:744
	s_waitcnt vmcnt(1)
	v_add_f64 v[2:3], v[2:3], -v[10:11]
	v_add_f64 v[4:5], v[4:5], -v[12:13]
	scratch_store_dwordx4 off, v[2:5], off offset:928
	ds_read2_b64 v[2:5], v78 offset0:118 offset1:119
	s_waitcnt vmcnt(1) lgkmcnt(0)
	v_mul_f64 v[8:9], v[4:5], v[6:7]
	v_mul_f64 v[10:11], v[2:3], v[6:7]
	v_fma_f64 v[8:9], v[2:3], v[0:1], -v[8:9]
	v_fmac_f64_e32 v[10:11], v[4:5], v[0:1]
	scratch_load_dwordx4 v[2:5], off, off offset:944
	s_waitcnt vmcnt(0)
	v_add_f64 v[2:3], v[2:3], -v[8:9]
	v_add_f64 v[4:5], v[4:5], -v[10:11]
	scratch_store_dwordx4 off, v[2:5], off offset:944
	ds_read2_b64 v[2:5], v78 offset0:120 offset1:121
	s_waitcnt lgkmcnt(0)
	v_mul_f64 v[8:9], v[4:5], v[6:7]
	v_mul_f64 v[6:7], v[2:3], v[6:7]
	v_fma_f64 v[8:9], v[2:3], v[0:1], -v[8:9]
	v_fmac_f64_e32 v[6:7], v[4:5], v[0:1]
	scratch_load_dwordx4 v[0:3], off, off offset:960
	s_waitcnt vmcnt(0)
	v_add_f64 v[0:1], v[0:1], -v[8:9]
	v_add_f64 v[2:3], v[2:3], -v[6:7]
	scratch_store_dwordx4 off, v[0:3], off offset:960
.LBB120_1088:
	s_or_b64 exec, exec, s[0:1]
	s_barrier
	scratch_load_dwordx4 v[0:3], off, s34
	v_lshl_add_u32 v4, v81, 4, v78
	s_cmp_lt_i32 s51, 49
	s_waitcnt vmcnt(0)
	ds_write2_b64 v4, v[0:1], v[2:3] offset1:1
	s_waitcnt lgkmcnt(0)
	s_barrier
	ds_read2_b64 v[0:3], v78 offset0:94 offset1:95
	v_mov_b32_e32 v4, 47
	s_cbranch_scc1 .LBB120_1091
; %bb.1089:
	v_add_u32_e32 v5, 0x300, v78
	s_mov_b32 s4, 48
	v_mov_b32_e32 v4, 47
.LBB120_1090:                           ; =>This Inner Loop Header: Depth=1
	ds_read2_b64 v[6:9], v5 offset1:1
	s_waitcnt lgkmcnt(1)
	v_xor_b32_e32 v11, 0x80000000, v1
	v_xor_b32_e32 v13, 0x80000000, v3
	v_cmp_gt_f64_e32 vcc, 0, v[2:3]
	v_cmp_gt_f64_e64 s[0:1], 0, v[0:1]
	v_mov_b32_e32 v10, v0
	v_mov_b32_e32 v12, v2
	v_cndmask_b32_e64 v11, v1, v11, s[0:1]
	v_cndmask_b32_e32 v13, v3, v13, vcc
	v_add_f64 v[10:11], v[10:11], v[12:13]
	s_waitcnt lgkmcnt(0)
	v_xor_b32_e32 v13, 0x80000000, v7
	v_xor_b32_e32 v15, 0x80000000, v9
	v_cmp_gt_f64_e32 vcc, 0, v[8:9]
	v_cmp_gt_f64_e64 s[0:1], 0, v[6:7]
	v_mov_b32_e32 v12, v6
	v_mov_b32_e32 v14, v8
	v_cndmask_b32_e64 v13, v7, v13, s[0:1]
	v_cndmask_b32_e32 v15, v9, v15, vcc
	v_add_f64 v[12:13], v[12:13], v[14:15]
	v_mov_b32_e32 v16, s4
	s_add_i32 s4, s4, 1
	v_cmp_lt_f64_e32 vcc, v[10:11], v[12:13]
	v_add_u32_e32 v5, 16, v5
	s_cmp_lg_u32 s51, s4
	v_cndmask_b32_e32 v1, v1, v7, vcc
	v_cndmask_b32_e32 v0, v0, v6, vcc
	;; [unrolled: 1-line block ×5, first 2 shown]
	s_cbranch_scc1 .LBB120_1090
.LBB120_1091:
	s_waitcnt lgkmcnt(0)
	v_cmp_eq_f64_e32 vcc, 0, v[0:1]
	v_cmp_eq_f64_e64 s[0:1], 0, v[2:3]
	s_and_b64 s[0:1], vcc, s[0:1]
	s_and_saveexec_b64 s[4:5], s[0:1]
	s_xor_b64 s[0:1], exec, s[4:5]
; %bb.1092:
	v_cmp_ne_u32_e32 vcc, 0, v79
	s_nop 1
	v_cndmask_b32_e32 v79, 48, v79, vcc
; %bb.1093:
	s_andn2_saveexec_b64 s[0:1], s[0:1]
	s_cbranch_execz .LBB120_1099
; %bb.1094:
	v_cmp_ngt_f64_e64 s[4:5], |v[0:1]|, |v[2:3]|
	s_and_saveexec_b64 s[12:13], s[4:5]
	s_xor_b64 s[12:13], exec, s[12:13]
	s_cbranch_execz .LBB120_1096
; %bb.1095:
	v_div_scale_f64 v[6:7], s[4:5], v[2:3], v[2:3], v[0:1]
	v_rcp_f64_e32 v[8:9], v[6:7]
	v_div_scale_f64 v[10:11], vcc, v[0:1], v[2:3], v[0:1]
	v_fma_f64 v[12:13], -v[6:7], v[8:9], 1.0
	v_fmac_f64_e32 v[8:9], v[8:9], v[12:13]
	v_fma_f64 v[12:13], -v[6:7], v[8:9], 1.0
	v_fmac_f64_e32 v[8:9], v[8:9], v[12:13]
	v_mul_f64 v[12:13], v[10:11], v[8:9]
	v_fma_f64 v[6:7], -v[6:7], v[12:13], v[10:11]
	v_div_fmas_f64 v[6:7], v[6:7], v[8:9], v[12:13]
	v_div_fixup_f64 v[6:7], v[6:7], v[2:3], v[0:1]
	v_fmac_f64_e32 v[2:3], v[0:1], v[6:7]
	v_div_scale_f64 v[0:1], s[4:5], v[2:3], v[2:3], 1.0
	v_rcp_f64_e32 v[8:9], v[0:1]
	s_nop 0
	v_fma_f64 v[10:11], -v[0:1], v[8:9], 1.0
	v_fmac_f64_e32 v[8:9], v[8:9], v[10:11]
	v_fma_f64 v[10:11], -v[0:1], v[8:9], 1.0
	v_fmac_f64_e32 v[8:9], v[8:9], v[10:11]
	v_div_scale_f64 v[10:11], vcc, 1.0, v[2:3], 1.0
	v_mul_f64 v[12:13], v[10:11], v[8:9]
	v_fma_f64 v[0:1], -v[0:1], v[12:13], v[10:11]
	s_nop 1
	v_div_fmas_f64 v[0:1], v[0:1], v[8:9], v[12:13]
	v_div_fixup_f64 v[2:3], v[0:1], v[2:3], 1.0
	v_mul_f64 v[0:1], v[6:7], v[2:3]
	v_xor_b32_e32 v3, 0x80000000, v3
.LBB120_1096:
	s_andn2_saveexec_b64 s[12:13], s[12:13]
	s_cbranch_execz .LBB120_1098
; %bb.1097:
	v_div_scale_f64 v[6:7], s[4:5], v[0:1], v[0:1], v[2:3]
	v_rcp_f64_e32 v[8:9], v[6:7]
	v_div_scale_f64 v[10:11], vcc, v[2:3], v[0:1], v[2:3]
	v_fma_f64 v[12:13], -v[6:7], v[8:9], 1.0
	v_fmac_f64_e32 v[8:9], v[8:9], v[12:13]
	v_fma_f64 v[12:13], -v[6:7], v[8:9], 1.0
	v_fmac_f64_e32 v[8:9], v[8:9], v[12:13]
	v_mul_f64 v[12:13], v[10:11], v[8:9]
	v_fma_f64 v[6:7], -v[6:7], v[12:13], v[10:11]
	v_div_fmas_f64 v[6:7], v[6:7], v[8:9], v[12:13]
	v_div_fixup_f64 v[6:7], v[6:7], v[0:1], v[2:3]
	v_fmac_f64_e32 v[0:1], v[2:3], v[6:7]
	v_div_scale_f64 v[2:3], s[4:5], v[0:1], v[0:1], 1.0
	v_rcp_f64_e32 v[8:9], v[2:3]
	s_nop 0
	v_fma_f64 v[10:11], -v[2:3], v[8:9], 1.0
	v_fmac_f64_e32 v[8:9], v[8:9], v[10:11]
	v_fma_f64 v[10:11], -v[2:3], v[8:9], 1.0
	v_fmac_f64_e32 v[8:9], v[8:9], v[10:11]
	v_div_scale_f64 v[10:11], vcc, 1.0, v[0:1], 1.0
	v_mul_f64 v[12:13], v[10:11], v[8:9]
	v_fma_f64 v[2:3], -v[2:3], v[12:13], v[10:11]
	s_nop 1
	v_div_fmas_f64 v[2:3], v[2:3], v[8:9], v[12:13]
	v_div_fixup_f64 v[0:1], v[2:3], v[0:1], 1.0
	v_mul_f64 v[2:3], v[6:7], -v[0:1]
.LBB120_1098:
	s_or_b64 exec, exec, s[12:13]
.LBB120_1099:
	s_or_b64 exec, exec, s[0:1]
	v_cmp_ne_u32_e32 vcc, v81, v4
	s_and_saveexec_b64 s[0:1], vcc
	s_xor_b64 s[0:1], exec, s[0:1]
	s_cbranch_execz .LBB120_1105
; %bb.1100:
	v_cmp_eq_u32_e32 vcc, 47, v81
	s_and_saveexec_b64 s[12:13], vcc
	s_cbranch_execz .LBB120_1104
; %bb.1101:
	v_cmp_ne_u32_e32 vcc, 47, v4
	s_xor_b64 s[4:5], s[18:19], -1
	s_and_b64 s[4:5], s[4:5], vcc
	s_and_saveexec_b64 s[14:15], s[4:5]
	s_cbranch_execz .LBB120_1103
; %bb.1102:
	v_ashrrev_i32_e32 v5, 31, v4
	v_lshl_add_u64 v[6:7], v[4:5], 2, v[46:47]
	global_load_dword v5, v[6:7], off
	global_load_dword v8, v[46:47], off offset:188
	s_waitcnt vmcnt(1)
	global_store_dword v[46:47], v5, off offset:188
	s_waitcnt vmcnt(1)
	global_store_dword v[6:7], v8, off
.LBB120_1103:
	s_or_b64 exec, exec, s[14:15]
	v_mov_b32_e32 v81, v4
	v_mov_b32_e32 v80, v4
.LBB120_1104:
	s_or_b64 exec, exec, s[12:13]
.LBB120_1105:
	s_andn2_saveexec_b64 s[0:1], s[0:1]
	s_cbranch_execz .LBB120_1107
; %bb.1106:
	scratch_load_dwordx4 v[4:7], off, s33
	scratch_load_dwordx4 v[8:11], off, s31
	;; [unrolled: 1-line block ×13, first 2 shown]
	v_mov_b32_e32 v81, 47
	s_waitcnt vmcnt(12)
	ds_write2_b64 v78, v[4:5], v[6:7] offset0:96 offset1:97
	s_waitcnt vmcnt(11)
	ds_write2_b64 v78, v[8:9], v[10:11] offset0:98 offset1:99
	;; [unrolled: 2-line block ×13, first 2 shown]
.LBB120_1107:
	s_or_b64 exec, exec, s[0:1]
	v_cmp_lt_i32_e32 vcc, 47, v81
	s_waitcnt lgkmcnt(0)
	s_barrier
	s_and_saveexec_b64 s[0:1], vcc
	s_cbranch_execz .LBB120_1109
; %bb.1108:
	scratch_load_dwordx4 v[4:7], off, off offset:752
	s_waitcnt vmcnt(0)
	v_mul_f64 v[8:9], v[2:3], v[6:7]
	v_mul_f64 v[10:11], v[0:1], v[6:7]
	v_fma_f64 v[8:9], v[0:1], v[4:5], -v[8:9]
	v_fmac_f64_e32 v[10:11], v[2:3], v[4:5]
	ds_read2_b64 v[0:3], v78 offset0:96 offset1:97
	scratch_store_dwordx4 off, v[8:11], off offset:752
	s_waitcnt lgkmcnt(0)
	v_mul_f64 v[4:5], v[2:3], v[10:11]
	v_mul_f64 v[6:7], v[0:1], v[10:11]
	v_fma_f64 v[4:5], v[0:1], v[8:9], -v[4:5]
	v_fmac_f64_e32 v[6:7], v[2:3], v[8:9]
	scratch_load_dwordx4 v[0:3], off, off offset:768
	s_waitcnt vmcnt(0)
	v_add_f64 v[0:1], v[0:1], -v[4:5]
	v_add_f64 v[2:3], v[2:3], -v[6:7]
	scratch_store_dwordx4 off, v[0:3], off offset:768
	ds_read2_b64 v[0:3], v78 offset0:98 offset1:99
	s_waitcnt lgkmcnt(0)
	v_mul_f64 v[4:5], v[2:3], v[10:11]
	v_mul_f64 v[6:7], v[0:1], v[10:11]
	v_fma_f64 v[4:5], v[0:1], v[8:9], -v[4:5]
	v_fmac_f64_e32 v[6:7], v[2:3], v[8:9]
	scratch_load_dwordx4 v[0:3], off, off offset:784
	s_waitcnt vmcnt(0)
	v_add_f64 v[0:1], v[0:1], -v[4:5]
	v_add_f64 v[2:3], v[2:3], -v[6:7]
	scratch_store_dwordx4 off, v[0:3], off offset:784
	ds_read2_b64 v[0:3], v78 offset0:100 offset1:101
	;; [unrolled: 11-line block ×6, first 2 shown]
	scratch_load_dwordx2 v[8:9], off, off offset:752
	scratch_load_dwordx4 v[4:7], off, off offset:752
	s_waitcnt vmcnt(0) lgkmcnt(0)
	v_mul_f64 v[10:11], v[2:3], v[6:7]
	v_mul_f64 v[12:13], v[0:1], v[6:7]
	v_fma_f64 v[10:11], v[0:1], v[8:9], -v[10:11]
	v_fmac_f64_e32 v[12:13], v[2:3], v[8:9]
	scratch_load_dwordx4 v[0:3], off, off offset:864
	s_waitcnt vmcnt(0)
	v_add_f64 v[0:1], v[0:1], -v[10:11]
	v_add_f64 v[2:3], v[2:3], -v[12:13]
	scratch_store_dwordx4 off, v[0:3], off offset:864
	ds_read2_b64 v[0:3], v78 offset0:110 offset1:111
	s_waitcnt lgkmcnt(0)
	v_mul_f64 v[10:11], v[2:3], v[6:7]
	v_mul_f64 v[12:13], v[0:1], v[6:7]
	v_fma_f64 v[10:11], v[0:1], v[8:9], -v[10:11]
	v_fmac_f64_e32 v[12:13], v[2:3], v[8:9]
	scratch_load_dwordx4 v[0:3], off, off offset:880
	s_waitcnt vmcnt(0)
	v_add_f64 v[0:1], v[0:1], -v[10:11]
	v_add_f64 v[2:3], v[2:3], -v[12:13]
	scratch_store_dwordx4 off, v[0:3], off offset:880
	ds_read2_b64 v[0:3], v78 offset0:112 offset1:113
	s_waitcnt lgkmcnt(0)
	;; [unrolled: 11-line block ×5, first 2 shown]
	v_mul_f64 v[10:11], v[2:3], v[6:7]
	v_mul_f64 v[6:7], v[0:1], v[6:7]
	v_fma_f64 v[10:11], v[0:1], v[8:9], -v[10:11]
	v_fmac_f64_e32 v[6:7], v[2:3], v[8:9]
	scratch_load_dwordx4 v[0:3], off, off offset:944
	s_waitcnt vmcnt(0)
	v_add_f64 v[2:3], v[2:3], -v[6:7]
	scratch_load_dwordx2 v[6:7], off, off offset:760
	v_add_f64 v[0:1], v[0:1], -v[10:11]
	scratch_store_dwordx4 off, v[0:3], off offset:944
	ds_read2_b64 v[0:3], v78 offset0:120 offset1:121
	s_waitcnt vmcnt(1) lgkmcnt(0)
	v_mul_f64 v[8:9], v[2:3], v[6:7]
	v_mul_f64 v[6:7], v[0:1], v[6:7]
	v_fma_f64 v[8:9], v[0:1], v[4:5], -v[8:9]
	v_fmac_f64_e32 v[6:7], v[2:3], v[4:5]
	scratch_load_dwordx4 v[0:3], off, off offset:960
	s_waitcnt vmcnt(0)
	v_add_f64 v[0:1], v[0:1], -v[8:9]
	v_add_f64 v[2:3], v[2:3], -v[6:7]
	scratch_store_dwordx4 off, v[0:3], off offset:960
.LBB120_1109:
	s_or_b64 exec, exec, s[0:1]
	s_barrier
	scratch_load_dwordx4 v[0:3], off, s33
	v_lshl_add_u32 v4, v81, 4, v78
	s_cmp_lt_i32 s51, 50
	s_waitcnt vmcnt(0)
	ds_write2_b64 v4, v[0:1], v[2:3] offset1:1
	s_waitcnt lgkmcnt(0)
	s_barrier
	ds_read2_b64 v[0:3], v78 offset0:96 offset1:97
	v_mov_b32_e32 v4, 48
	s_cbranch_scc1 .LBB120_1112
; %bb.1110:
	v_add_u32_e32 v5, 0x310, v78
	s_mov_b32 s4, 49
	v_mov_b32_e32 v4, 48
.LBB120_1111:                           ; =>This Inner Loop Header: Depth=1
	ds_read2_b64 v[6:9], v5 offset1:1
	s_waitcnt lgkmcnt(1)
	v_xor_b32_e32 v11, 0x80000000, v1
	v_xor_b32_e32 v13, 0x80000000, v3
	v_cmp_gt_f64_e32 vcc, 0, v[2:3]
	v_cmp_gt_f64_e64 s[0:1], 0, v[0:1]
	v_mov_b32_e32 v10, v0
	v_mov_b32_e32 v12, v2
	v_cndmask_b32_e64 v11, v1, v11, s[0:1]
	v_cndmask_b32_e32 v13, v3, v13, vcc
	v_add_f64 v[10:11], v[10:11], v[12:13]
	s_waitcnt lgkmcnt(0)
	v_xor_b32_e32 v13, 0x80000000, v7
	v_xor_b32_e32 v15, 0x80000000, v9
	v_cmp_gt_f64_e32 vcc, 0, v[8:9]
	v_cmp_gt_f64_e64 s[0:1], 0, v[6:7]
	v_mov_b32_e32 v12, v6
	v_mov_b32_e32 v14, v8
	v_cndmask_b32_e64 v13, v7, v13, s[0:1]
	v_cndmask_b32_e32 v15, v9, v15, vcc
	v_add_f64 v[12:13], v[12:13], v[14:15]
	v_mov_b32_e32 v16, s4
	s_add_i32 s4, s4, 1
	v_cmp_lt_f64_e32 vcc, v[10:11], v[12:13]
	v_add_u32_e32 v5, 16, v5
	s_cmp_lg_u32 s51, s4
	v_cndmask_b32_e32 v1, v1, v7, vcc
	v_cndmask_b32_e32 v0, v0, v6, vcc
	;; [unrolled: 1-line block ×5, first 2 shown]
	s_cbranch_scc1 .LBB120_1111
.LBB120_1112:
	s_waitcnt lgkmcnt(0)
	v_cmp_eq_f64_e32 vcc, 0, v[0:1]
	v_cmp_eq_f64_e64 s[0:1], 0, v[2:3]
	s_and_b64 s[0:1], vcc, s[0:1]
	s_and_saveexec_b64 s[4:5], s[0:1]
	s_xor_b64 s[0:1], exec, s[4:5]
; %bb.1113:
	v_cmp_ne_u32_e32 vcc, 0, v79
	s_nop 1
	v_cndmask_b32_e32 v79, 49, v79, vcc
; %bb.1114:
	s_andn2_saveexec_b64 s[0:1], s[0:1]
	s_cbranch_execz .LBB120_1120
; %bb.1115:
	v_cmp_ngt_f64_e64 s[4:5], |v[0:1]|, |v[2:3]|
	s_and_saveexec_b64 s[12:13], s[4:5]
	s_xor_b64 s[12:13], exec, s[12:13]
	s_cbranch_execz .LBB120_1117
; %bb.1116:
	v_div_scale_f64 v[6:7], s[4:5], v[2:3], v[2:3], v[0:1]
	v_rcp_f64_e32 v[8:9], v[6:7]
	v_div_scale_f64 v[10:11], vcc, v[0:1], v[2:3], v[0:1]
	v_fma_f64 v[12:13], -v[6:7], v[8:9], 1.0
	v_fmac_f64_e32 v[8:9], v[8:9], v[12:13]
	v_fma_f64 v[12:13], -v[6:7], v[8:9], 1.0
	v_fmac_f64_e32 v[8:9], v[8:9], v[12:13]
	v_mul_f64 v[12:13], v[10:11], v[8:9]
	v_fma_f64 v[6:7], -v[6:7], v[12:13], v[10:11]
	v_div_fmas_f64 v[6:7], v[6:7], v[8:9], v[12:13]
	v_div_fixup_f64 v[6:7], v[6:7], v[2:3], v[0:1]
	v_fmac_f64_e32 v[2:3], v[0:1], v[6:7]
	v_div_scale_f64 v[0:1], s[4:5], v[2:3], v[2:3], 1.0
	v_rcp_f64_e32 v[8:9], v[0:1]
	s_nop 0
	v_fma_f64 v[10:11], -v[0:1], v[8:9], 1.0
	v_fmac_f64_e32 v[8:9], v[8:9], v[10:11]
	v_fma_f64 v[10:11], -v[0:1], v[8:9], 1.0
	v_fmac_f64_e32 v[8:9], v[8:9], v[10:11]
	v_div_scale_f64 v[10:11], vcc, 1.0, v[2:3], 1.0
	v_mul_f64 v[12:13], v[10:11], v[8:9]
	v_fma_f64 v[0:1], -v[0:1], v[12:13], v[10:11]
	s_nop 1
	v_div_fmas_f64 v[0:1], v[0:1], v[8:9], v[12:13]
	v_div_fixup_f64 v[2:3], v[0:1], v[2:3], 1.0
	v_mul_f64 v[0:1], v[6:7], v[2:3]
	v_xor_b32_e32 v3, 0x80000000, v3
.LBB120_1117:
	s_andn2_saveexec_b64 s[12:13], s[12:13]
	s_cbranch_execz .LBB120_1119
; %bb.1118:
	v_div_scale_f64 v[6:7], s[4:5], v[0:1], v[0:1], v[2:3]
	v_rcp_f64_e32 v[8:9], v[6:7]
	v_div_scale_f64 v[10:11], vcc, v[2:3], v[0:1], v[2:3]
	v_fma_f64 v[12:13], -v[6:7], v[8:9], 1.0
	v_fmac_f64_e32 v[8:9], v[8:9], v[12:13]
	v_fma_f64 v[12:13], -v[6:7], v[8:9], 1.0
	v_fmac_f64_e32 v[8:9], v[8:9], v[12:13]
	v_mul_f64 v[12:13], v[10:11], v[8:9]
	v_fma_f64 v[6:7], -v[6:7], v[12:13], v[10:11]
	v_div_fmas_f64 v[6:7], v[6:7], v[8:9], v[12:13]
	v_div_fixup_f64 v[6:7], v[6:7], v[0:1], v[2:3]
	v_fmac_f64_e32 v[0:1], v[2:3], v[6:7]
	v_div_scale_f64 v[2:3], s[4:5], v[0:1], v[0:1], 1.0
	v_rcp_f64_e32 v[8:9], v[2:3]
	s_nop 0
	v_fma_f64 v[10:11], -v[2:3], v[8:9], 1.0
	v_fmac_f64_e32 v[8:9], v[8:9], v[10:11]
	v_fma_f64 v[10:11], -v[2:3], v[8:9], 1.0
	v_fmac_f64_e32 v[8:9], v[8:9], v[10:11]
	v_div_scale_f64 v[10:11], vcc, 1.0, v[0:1], 1.0
	v_mul_f64 v[12:13], v[10:11], v[8:9]
	v_fma_f64 v[2:3], -v[2:3], v[12:13], v[10:11]
	s_nop 1
	v_div_fmas_f64 v[2:3], v[2:3], v[8:9], v[12:13]
	v_div_fixup_f64 v[0:1], v[2:3], v[0:1], 1.0
	v_mul_f64 v[2:3], v[6:7], -v[0:1]
.LBB120_1119:
	s_or_b64 exec, exec, s[12:13]
.LBB120_1120:
	s_or_b64 exec, exec, s[0:1]
	v_cmp_ne_u32_e32 vcc, v81, v4
	s_and_saveexec_b64 s[0:1], vcc
	s_xor_b64 s[0:1], exec, s[0:1]
	s_cbranch_execz .LBB120_1126
; %bb.1121:
	v_cmp_eq_u32_e32 vcc, 48, v81
	s_and_saveexec_b64 s[12:13], vcc
	s_cbranch_execz .LBB120_1125
; %bb.1122:
	v_cmp_ne_u32_e32 vcc, 48, v4
	s_xor_b64 s[4:5], s[18:19], -1
	s_and_b64 s[4:5], s[4:5], vcc
	s_and_saveexec_b64 s[14:15], s[4:5]
	s_cbranch_execz .LBB120_1124
; %bb.1123:
	v_ashrrev_i32_e32 v5, 31, v4
	v_lshl_add_u64 v[6:7], v[4:5], 2, v[46:47]
	global_load_dword v5, v[6:7], off
	global_load_dword v8, v[46:47], off offset:192
	s_waitcnt vmcnt(1)
	global_store_dword v[46:47], v5, off offset:192
	s_waitcnt vmcnt(1)
	global_store_dword v[6:7], v8, off
.LBB120_1124:
	s_or_b64 exec, exec, s[14:15]
	v_mov_b32_e32 v81, v4
	v_mov_b32_e32 v80, v4
.LBB120_1125:
	s_or_b64 exec, exec, s[12:13]
.LBB120_1126:
	s_andn2_saveexec_b64 s[0:1], s[0:1]
	s_cbranch_execz .LBB120_1128
; %bb.1127:
	scratch_load_dwordx4 v[4:7], off, s31
	scratch_load_dwordx4 v[8:11], off, s30
	;; [unrolled: 1-line block ×12, first 2 shown]
	v_mov_b32_e32 v81, 48
	s_waitcnt vmcnt(11)
	ds_write2_b64 v78, v[4:5], v[6:7] offset0:98 offset1:99
	s_waitcnt vmcnt(10)
	ds_write2_b64 v78, v[8:9], v[10:11] offset0:100 offset1:101
	s_waitcnt vmcnt(9)
	ds_write2_b64 v78, v[12:13], v[14:15] offset0:102 offset1:103
	s_waitcnt vmcnt(8)
	ds_write2_b64 v78, v[16:17], v[18:19] offset0:104 offset1:105
	s_waitcnt vmcnt(7)
	ds_write2_b64 v78, v[20:21], v[22:23] offset0:106 offset1:107
	s_waitcnt vmcnt(6)
	ds_write2_b64 v78, v[24:25], v[26:27] offset0:108 offset1:109
	s_waitcnt vmcnt(5)
	ds_write2_b64 v78, v[28:29], v[30:31] offset0:110 offset1:111
	s_waitcnt vmcnt(4)
	ds_write2_b64 v78, v[32:33], v[34:35] offset0:112 offset1:113
	s_waitcnt vmcnt(3)
	ds_write2_b64 v78, v[36:37], v[38:39] offset0:114 offset1:115
	s_waitcnt vmcnt(2)
	ds_write2_b64 v78, v[40:41], v[42:43] offset0:116 offset1:117
	s_waitcnt vmcnt(1)
	ds_write2_b64 v78, v[50:51], v[52:53] offset0:118 offset1:119
	s_waitcnt vmcnt(0)
	ds_write2_b64 v78, v[54:55], v[56:57] offset0:120 offset1:121
.LBB120_1128:
	s_or_b64 exec, exec, s[0:1]
	v_cmp_lt_i32_e32 vcc, 48, v81
	s_waitcnt lgkmcnt(0)
	s_barrier
	s_and_saveexec_b64 s[0:1], vcc
	s_cbranch_execz .LBB120_1130
; %bb.1129:
	scratch_load_dwordx4 v[4:7], off, off offset:768
	s_waitcnt vmcnt(0)
	v_mul_f64 v[8:9], v[2:3], v[6:7]
	v_mul_f64 v[10:11], v[0:1], v[6:7]
	v_fma_f64 v[8:9], v[0:1], v[4:5], -v[8:9]
	v_fmac_f64_e32 v[10:11], v[2:3], v[4:5]
	ds_read2_b64 v[0:3], v78 offset0:98 offset1:99
	scratch_store_dwordx4 off, v[8:11], off offset:768
	s_waitcnt lgkmcnt(0)
	v_mul_f64 v[4:5], v[2:3], v[10:11]
	v_mul_f64 v[6:7], v[0:1], v[10:11]
	v_fma_f64 v[4:5], v[0:1], v[8:9], -v[4:5]
	v_fmac_f64_e32 v[6:7], v[2:3], v[8:9]
	scratch_load_dwordx4 v[0:3], off, off offset:784
	s_waitcnt vmcnt(0)
	v_add_f64 v[0:1], v[0:1], -v[4:5]
	v_add_f64 v[2:3], v[2:3], -v[6:7]
	scratch_store_dwordx4 off, v[0:3], off offset:784
	ds_read2_b64 v[0:3], v78 offset0:100 offset1:101
	s_waitcnt lgkmcnt(0)
	v_mul_f64 v[4:5], v[2:3], v[10:11]
	v_mul_f64 v[6:7], v[0:1], v[10:11]
	v_fma_f64 v[4:5], v[0:1], v[8:9], -v[4:5]
	v_fmac_f64_e32 v[6:7], v[2:3], v[8:9]
	scratch_load_dwordx4 v[0:3], off, off offset:800
	s_waitcnt vmcnt(0)
	v_add_f64 v[0:1], v[0:1], -v[4:5]
	v_add_f64 v[2:3], v[2:3], -v[6:7]
	scratch_store_dwordx4 off, v[0:3], off offset:800
	ds_read2_b64 v[0:3], v78 offset0:102 offset1:103
	;; [unrolled: 11-line block ×5, first 2 shown]
	s_waitcnt lgkmcnt(0)
	v_mul_f64 v[4:5], v[2:3], v[10:11]
	v_mul_f64 v[6:7], v[0:1], v[10:11]
	v_fma_f64 v[4:5], v[0:1], v[8:9], -v[4:5]
	v_fmac_f64_e32 v[6:7], v[2:3], v[8:9]
	scratch_load_dwordx4 v[0:3], off, off offset:864
	s_waitcnt vmcnt(0)
	v_add_f64 v[0:1], v[0:1], -v[4:5]
	v_add_f64 v[2:3], v[2:3], -v[6:7]
	scratch_load_dwordx4 v[4:7], off, off offset:768
	s_nop 0
	scratch_store_dwordx4 off, v[0:3], off offset:864
	ds_read2_b64 v[0:3], v78 offset0:110 offset1:111
	s_waitcnt vmcnt(1) lgkmcnt(0)
	v_mul_f64 v[8:9], v[2:3], v[6:7]
	v_mul_f64 v[10:11], v[0:1], v[6:7]
	v_fma_f64 v[8:9], v[0:1], v[4:5], -v[8:9]
	v_fmac_f64_e32 v[10:11], v[2:3], v[4:5]
	scratch_load_dwordx4 v[0:3], off, off offset:880
	s_waitcnt vmcnt(0)
	v_add_f64 v[0:1], v[0:1], -v[8:9]
	v_add_f64 v[2:3], v[2:3], -v[10:11]
	scratch_store_dwordx4 off, v[0:3], off offset:880
	ds_read2_b64 v[0:3], v78 offset0:112 offset1:113
	s_waitcnt lgkmcnt(0)
	v_mul_f64 v[8:9], v[2:3], v[6:7]
	v_mul_f64 v[10:11], v[0:1], v[6:7]
	v_fma_f64 v[8:9], v[0:1], v[4:5], -v[8:9]
	v_fmac_f64_e32 v[10:11], v[2:3], v[4:5]
	scratch_load_dwordx4 v[0:3], off, off offset:896
	s_waitcnt vmcnt(0)
	v_add_f64 v[0:1], v[0:1], -v[8:9]
	v_add_f64 v[2:3], v[2:3], -v[10:11]
	scratch_store_dwordx4 off, v[0:3], off offset:896
	ds_read2_b64 v[0:3], v78 offset0:114 offset1:115
	s_waitcnt lgkmcnt(0)
	;; [unrolled: 11-line block ×5, first 2 shown]
	v_mul_f64 v[8:9], v[2:3], v[6:7]
	v_mul_f64 v[6:7], v[0:1], v[6:7]
	v_fma_f64 v[8:9], v[0:1], v[4:5], -v[8:9]
	v_fmac_f64_e32 v[6:7], v[2:3], v[4:5]
	scratch_load_dwordx4 v[0:3], off, off offset:960
	s_waitcnt vmcnt(0)
	v_add_f64 v[0:1], v[0:1], -v[8:9]
	v_add_f64 v[2:3], v[2:3], -v[6:7]
	scratch_store_dwordx4 off, v[0:3], off offset:960
.LBB120_1130:
	s_or_b64 exec, exec, s[0:1]
	s_barrier
	scratch_load_dwordx4 v[0:3], off, s31
	v_lshl_add_u32 v4, v81, 4, v78
	s_cmp_lt_i32 s51, 51
	s_waitcnt vmcnt(0)
	ds_write2_b64 v4, v[0:1], v[2:3] offset1:1
	s_waitcnt lgkmcnt(0)
	s_barrier
	ds_read2_b64 v[0:3], v78 offset0:98 offset1:99
	v_mov_b32_e32 v4, 49
	s_cbranch_scc1 .LBB120_1133
; %bb.1131:
	v_add_u32_e32 v5, 0x320, v78
	s_mov_b32 s4, 50
	v_mov_b32_e32 v4, 49
.LBB120_1132:                           ; =>This Inner Loop Header: Depth=1
	ds_read2_b64 v[6:9], v5 offset1:1
	s_waitcnt lgkmcnt(1)
	v_xor_b32_e32 v11, 0x80000000, v1
	v_xor_b32_e32 v13, 0x80000000, v3
	v_cmp_gt_f64_e32 vcc, 0, v[2:3]
	v_cmp_gt_f64_e64 s[0:1], 0, v[0:1]
	v_mov_b32_e32 v10, v0
	v_mov_b32_e32 v12, v2
	v_cndmask_b32_e64 v11, v1, v11, s[0:1]
	v_cndmask_b32_e32 v13, v3, v13, vcc
	v_add_f64 v[10:11], v[10:11], v[12:13]
	s_waitcnt lgkmcnt(0)
	v_xor_b32_e32 v13, 0x80000000, v7
	v_xor_b32_e32 v15, 0x80000000, v9
	v_cmp_gt_f64_e32 vcc, 0, v[8:9]
	v_cmp_gt_f64_e64 s[0:1], 0, v[6:7]
	v_mov_b32_e32 v12, v6
	v_mov_b32_e32 v14, v8
	v_cndmask_b32_e64 v13, v7, v13, s[0:1]
	v_cndmask_b32_e32 v15, v9, v15, vcc
	v_add_f64 v[12:13], v[12:13], v[14:15]
	v_mov_b32_e32 v16, s4
	s_add_i32 s4, s4, 1
	v_cmp_lt_f64_e32 vcc, v[10:11], v[12:13]
	v_add_u32_e32 v5, 16, v5
	s_cmp_lg_u32 s51, s4
	v_cndmask_b32_e32 v1, v1, v7, vcc
	v_cndmask_b32_e32 v0, v0, v6, vcc
	;; [unrolled: 1-line block ×5, first 2 shown]
	s_cbranch_scc1 .LBB120_1132
.LBB120_1133:
	s_waitcnt lgkmcnt(0)
	v_cmp_eq_f64_e32 vcc, 0, v[0:1]
	v_cmp_eq_f64_e64 s[0:1], 0, v[2:3]
	s_and_b64 s[0:1], vcc, s[0:1]
	s_and_saveexec_b64 s[4:5], s[0:1]
	s_xor_b64 s[0:1], exec, s[4:5]
; %bb.1134:
	v_cmp_ne_u32_e32 vcc, 0, v79
	s_nop 1
	v_cndmask_b32_e32 v79, 50, v79, vcc
; %bb.1135:
	s_andn2_saveexec_b64 s[0:1], s[0:1]
	s_cbranch_execz .LBB120_1141
; %bb.1136:
	v_cmp_ngt_f64_e64 s[4:5], |v[0:1]|, |v[2:3]|
	s_and_saveexec_b64 s[12:13], s[4:5]
	s_xor_b64 s[12:13], exec, s[12:13]
	s_cbranch_execz .LBB120_1138
; %bb.1137:
	v_div_scale_f64 v[6:7], s[4:5], v[2:3], v[2:3], v[0:1]
	v_rcp_f64_e32 v[8:9], v[6:7]
	v_div_scale_f64 v[10:11], vcc, v[0:1], v[2:3], v[0:1]
	v_fma_f64 v[12:13], -v[6:7], v[8:9], 1.0
	v_fmac_f64_e32 v[8:9], v[8:9], v[12:13]
	v_fma_f64 v[12:13], -v[6:7], v[8:9], 1.0
	v_fmac_f64_e32 v[8:9], v[8:9], v[12:13]
	v_mul_f64 v[12:13], v[10:11], v[8:9]
	v_fma_f64 v[6:7], -v[6:7], v[12:13], v[10:11]
	v_div_fmas_f64 v[6:7], v[6:7], v[8:9], v[12:13]
	v_div_fixup_f64 v[6:7], v[6:7], v[2:3], v[0:1]
	v_fmac_f64_e32 v[2:3], v[0:1], v[6:7]
	v_div_scale_f64 v[0:1], s[4:5], v[2:3], v[2:3], 1.0
	v_rcp_f64_e32 v[8:9], v[0:1]
	s_nop 0
	v_fma_f64 v[10:11], -v[0:1], v[8:9], 1.0
	v_fmac_f64_e32 v[8:9], v[8:9], v[10:11]
	v_fma_f64 v[10:11], -v[0:1], v[8:9], 1.0
	v_fmac_f64_e32 v[8:9], v[8:9], v[10:11]
	v_div_scale_f64 v[10:11], vcc, 1.0, v[2:3], 1.0
	v_mul_f64 v[12:13], v[10:11], v[8:9]
	v_fma_f64 v[0:1], -v[0:1], v[12:13], v[10:11]
	s_nop 1
	v_div_fmas_f64 v[0:1], v[0:1], v[8:9], v[12:13]
	v_div_fixup_f64 v[2:3], v[0:1], v[2:3], 1.0
	v_mul_f64 v[0:1], v[6:7], v[2:3]
	v_xor_b32_e32 v3, 0x80000000, v3
.LBB120_1138:
	s_andn2_saveexec_b64 s[12:13], s[12:13]
	s_cbranch_execz .LBB120_1140
; %bb.1139:
	v_div_scale_f64 v[6:7], s[4:5], v[0:1], v[0:1], v[2:3]
	v_rcp_f64_e32 v[8:9], v[6:7]
	v_div_scale_f64 v[10:11], vcc, v[2:3], v[0:1], v[2:3]
	v_fma_f64 v[12:13], -v[6:7], v[8:9], 1.0
	v_fmac_f64_e32 v[8:9], v[8:9], v[12:13]
	v_fma_f64 v[12:13], -v[6:7], v[8:9], 1.0
	v_fmac_f64_e32 v[8:9], v[8:9], v[12:13]
	v_mul_f64 v[12:13], v[10:11], v[8:9]
	v_fma_f64 v[6:7], -v[6:7], v[12:13], v[10:11]
	v_div_fmas_f64 v[6:7], v[6:7], v[8:9], v[12:13]
	v_div_fixup_f64 v[6:7], v[6:7], v[0:1], v[2:3]
	v_fmac_f64_e32 v[0:1], v[2:3], v[6:7]
	v_div_scale_f64 v[2:3], s[4:5], v[0:1], v[0:1], 1.0
	v_rcp_f64_e32 v[8:9], v[2:3]
	s_nop 0
	v_fma_f64 v[10:11], -v[2:3], v[8:9], 1.0
	v_fmac_f64_e32 v[8:9], v[8:9], v[10:11]
	v_fma_f64 v[10:11], -v[2:3], v[8:9], 1.0
	v_fmac_f64_e32 v[8:9], v[8:9], v[10:11]
	v_div_scale_f64 v[10:11], vcc, 1.0, v[0:1], 1.0
	v_mul_f64 v[12:13], v[10:11], v[8:9]
	v_fma_f64 v[2:3], -v[2:3], v[12:13], v[10:11]
	s_nop 1
	v_div_fmas_f64 v[2:3], v[2:3], v[8:9], v[12:13]
	v_div_fixup_f64 v[0:1], v[2:3], v[0:1], 1.0
	v_mul_f64 v[2:3], v[6:7], -v[0:1]
.LBB120_1140:
	s_or_b64 exec, exec, s[12:13]
.LBB120_1141:
	s_or_b64 exec, exec, s[0:1]
	v_cmp_ne_u32_e32 vcc, v81, v4
	s_and_saveexec_b64 s[0:1], vcc
	s_xor_b64 s[0:1], exec, s[0:1]
	s_cbranch_execz .LBB120_1147
; %bb.1142:
	v_cmp_eq_u32_e32 vcc, 49, v81
	s_and_saveexec_b64 s[12:13], vcc
	s_cbranch_execz .LBB120_1146
; %bb.1143:
	v_cmp_ne_u32_e32 vcc, 49, v4
	s_xor_b64 s[4:5], s[18:19], -1
	s_and_b64 s[4:5], s[4:5], vcc
	s_and_saveexec_b64 s[14:15], s[4:5]
	s_cbranch_execz .LBB120_1145
; %bb.1144:
	v_ashrrev_i32_e32 v5, 31, v4
	v_lshl_add_u64 v[6:7], v[4:5], 2, v[46:47]
	global_load_dword v5, v[6:7], off
	global_load_dword v8, v[46:47], off offset:196
	s_waitcnt vmcnt(1)
	global_store_dword v[46:47], v5, off offset:196
	s_waitcnt vmcnt(1)
	global_store_dword v[6:7], v8, off
.LBB120_1145:
	s_or_b64 exec, exec, s[14:15]
	v_mov_b32_e32 v81, v4
	v_mov_b32_e32 v80, v4
.LBB120_1146:
	s_or_b64 exec, exec, s[12:13]
.LBB120_1147:
	s_andn2_saveexec_b64 s[0:1], s[0:1]
	s_cbranch_execz .LBB120_1149
; %bb.1148:
	scratch_load_dwordx4 v[4:7], off, s30
	scratch_load_dwordx4 v[8:11], off, s29
	;; [unrolled: 1-line block ×11, first 2 shown]
	v_mov_b32_e32 v81, 49
	s_waitcnt vmcnt(10)
	ds_write2_b64 v78, v[4:5], v[6:7] offset0:100 offset1:101
	s_waitcnt vmcnt(9)
	ds_write2_b64 v78, v[8:9], v[10:11] offset0:102 offset1:103
	;; [unrolled: 2-line block ×11, first 2 shown]
.LBB120_1149:
	s_or_b64 exec, exec, s[0:1]
	v_cmp_lt_i32_e32 vcc, 49, v81
	s_waitcnt lgkmcnt(0)
	s_barrier
	s_and_saveexec_b64 s[0:1], vcc
	s_cbranch_execz .LBB120_1151
; %bb.1150:
	scratch_load_dwordx4 v[4:7], off, off offset:784
	s_waitcnt vmcnt(0)
	v_mul_f64 v[8:9], v[2:3], v[6:7]
	v_mul_f64 v[10:11], v[0:1], v[6:7]
	v_fma_f64 v[8:9], v[0:1], v[4:5], -v[8:9]
	v_fmac_f64_e32 v[10:11], v[2:3], v[4:5]
	ds_read2_b64 v[0:3], v78 offset0:100 offset1:101
	scratch_store_dwordx4 off, v[8:11], off offset:784
	s_waitcnt lgkmcnt(0)
	v_mul_f64 v[4:5], v[2:3], v[10:11]
	v_mul_f64 v[6:7], v[0:1], v[10:11]
	v_fma_f64 v[4:5], v[0:1], v[8:9], -v[4:5]
	v_fmac_f64_e32 v[6:7], v[2:3], v[8:9]
	scratch_load_dwordx4 v[0:3], off, off offset:800
	s_waitcnt vmcnt(0)
	v_add_f64 v[0:1], v[0:1], -v[4:5]
	v_add_f64 v[2:3], v[2:3], -v[6:7]
	scratch_store_dwordx4 off, v[0:3], off offset:800
	ds_read2_b64 v[0:3], v78 offset0:102 offset1:103
	s_waitcnt lgkmcnt(0)
	v_mul_f64 v[4:5], v[2:3], v[10:11]
	v_mul_f64 v[6:7], v[0:1], v[10:11]
	v_fma_f64 v[4:5], v[0:1], v[8:9], -v[4:5]
	v_fmac_f64_e32 v[6:7], v[2:3], v[8:9]
	scratch_load_dwordx4 v[0:3], off, off offset:816
	s_waitcnt vmcnt(0)
	v_add_f64 v[0:1], v[0:1], -v[4:5]
	v_add_f64 v[2:3], v[2:3], -v[6:7]
	scratch_store_dwordx4 off, v[0:3], off offset:816
	ds_read2_b64 v[0:3], v78 offset0:104 offset1:105
	s_waitcnt lgkmcnt(0)
	v_mul_f64 v[4:5], v[2:3], v[10:11]
	v_mul_f64 v[6:7], v[0:1], v[10:11]
	v_fma_f64 v[4:5], v[0:1], v[8:9], -v[4:5]
	v_fmac_f64_e32 v[6:7], v[2:3], v[8:9]
	scratch_load_dwordx4 v[0:3], off, off offset:832
	s_waitcnt vmcnt(0)
	v_add_f64 v[0:1], v[0:1], -v[4:5]
	v_add_f64 v[2:3], v[2:3], -v[6:7]
	scratch_store_dwordx4 off, v[0:3], off offset:832
	ds_read2_b64 v[0:3], v78 offset0:106 offset1:107
	s_waitcnt lgkmcnt(0)
	v_mul_f64 v[4:5], v[2:3], v[10:11]
	v_mul_f64 v[6:7], v[0:1], v[10:11]
	v_fma_f64 v[4:5], v[0:1], v[8:9], -v[4:5]
	v_fmac_f64_e32 v[6:7], v[2:3], v[8:9]
	scratch_load_dwordx4 v[0:3], off, off offset:848
	s_waitcnt vmcnt(0)
	v_add_f64 v[0:1], v[0:1], -v[4:5]
	v_add_f64 v[2:3], v[2:3], -v[6:7]
	scratch_store_dwordx4 off, v[0:3], off offset:848
	ds_read2_b64 v[0:3], v78 offset0:108 offset1:109
	s_waitcnt lgkmcnt(0)
	v_mul_f64 v[4:5], v[2:3], v[10:11]
	v_mul_f64 v[6:7], v[0:1], v[10:11]
	v_fma_f64 v[4:5], v[0:1], v[8:9], -v[4:5]
	v_fmac_f64_e32 v[6:7], v[2:3], v[8:9]
	scratch_load_dwordx4 v[0:3], off, off offset:864
	s_waitcnt vmcnt(0)
	v_add_f64 v[0:1], v[0:1], -v[4:5]
	v_add_f64 v[2:3], v[2:3], -v[6:7]
	scratch_store_dwordx4 off, v[0:3], off offset:864
	ds_read2_b64 v[0:3], v78 offset0:110 offset1:111
	s_waitcnt lgkmcnt(0)
	v_mul_f64 v[4:5], v[2:3], v[10:11]
	v_mul_f64 v[6:7], v[0:1], v[10:11]
	v_fma_f64 v[4:5], v[0:1], v[8:9], -v[4:5]
	v_fmac_f64_e32 v[6:7], v[2:3], v[8:9]
	scratch_load_dwordx4 v[0:3], off, off offset:880
	s_waitcnt vmcnt(0)
	v_add_f64 v[0:1], v[0:1], -v[4:5]
	v_add_f64 v[2:3], v[2:3], -v[6:7]
	scratch_load_dwordx4 v[4:7], off, off offset:784
	s_nop 0
	scratch_store_dwordx4 off, v[0:3], off offset:880
	ds_read2_b64 v[0:3], v78 offset0:112 offset1:113
	s_waitcnt vmcnt(1) lgkmcnt(0)
	v_mul_f64 v[8:9], v[2:3], v[6:7]
	v_mul_f64 v[10:11], v[0:1], v[6:7]
	v_fma_f64 v[8:9], v[0:1], v[4:5], -v[8:9]
	v_fmac_f64_e32 v[10:11], v[2:3], v[4:5]
	scratch_load_dwordx4 v[0:3], off, off offset:896
	s_waitcnt vmcnt(0)
	v_add_f64 v[0:1], v[0:1], -v[8:9]
	v_add_f64 v[2:3], v[2:3], -v[10:11]
	scratch_store_dwordx4 off, v[0:3], off offset:896
	ds_read2_b64 v[0:3], v78 offset0:114 offset1:115
	s_waitcnt lgkmcnt(0)
	v_mul_f64 v[8:9], v[2:3], v[6:7]
	v_mul_f64 v[10:11], v[0:1], v[6:7]
	v_fma_f64 v[8:9], v[0:1], v[4:5], -v[8:9]
	v_fmac_f64_e32 v[10:11], v[2:3], v[4:5]
	scratch_load_dwordx4 v[0:3], off, off offset:912
	s_waitcnt vmcnt(0)
	v_add_f64 v[0:1], v[0:1], -v[8:9]
	v_add_f64 v[2:3], v[2:3], -v[10:11]
	scratch_store_dwordx4 off, v[0:3], off offset:912
	ds_read2_b64 v[0:3], v78 offset0:116 offset1:117
	s_waitcnt lgkmcnt(0)
	;; [unrolled: 11-line block ×4, first 2 shown]
	v_mul_f64 v[8:9], v[2:3], v[6:7]
	v_mul_f64 v[6:7], v[0:1], v[6:7]
	v_fma_f64 v[8:9], v[0:1], v[4:5], -v[8:9]
	v_fmac_f64_e32 v[6:7], v[2:3], v[4:5]
	scratch_load_dwordx4 v[0:3], off, off offset:960
	s_waitcnt vmcnt(0)
	v_add_f64 v[0:1], v[0:1], -v[8:9]
	v_add_f64 v[2:3], v[2:3], -v[6:7]
	scratch_store_dwordx4 off, v[0:3], off offset:960
.LBB120_1151:
	s_or_b64 exec, exec, s[0:1]
	s_barrier
	scratch_load_dwordx4 v[0:3], off, s30
	v_lshl_add_u32 v4, v81, 4, v78
	s_cmp_lt_i32 s51, 52
	s_waitcnt vmcnt(0)
	ds_write2_b64 v4, v[0:1], v[2:3] offset1:1
	s_waitcnt lgkmcnt(0)
	s_barrier
	ds_read2_b64 v[0:3], v78 offset0:100 offset1:101
	v_mov_b32_e32 v4, 50
	s_cbranch_scc1 .LBB120_1154
; %bb.1152:
	v_add_u32_e32 v5, 0x330, v78
	s_mov_b32 s4, 51
	v_mov_b32_e32 v4, 50
.LBB120_1153:                           ; =>This Inner Loop Header: Depth=1
	ds_read2_b64 v[6:9], v5 offset1:1
	s_waitcnt lgkmcnt(1)
	v_xor_b32_e32 v11, 0x80000000, v1
	v_xor_b32_e32 v13, 0x80000000, v3
	v_cmp_gt_f64_e32 vcc, 0, v[2:3]
	v_cmp_gt_f64_e64 s[0:1], 0, v[0:1]
	v_mov_b32_e32 v10, v0
	v_mov_b32_e32 v12, v2
	v_cndmask_b32_e64 v11, v1, v11, s[0:1]
	v_cndmask_b32_e32 v13, v3, v13, vcc
	v_add_f64 v[10:11], v[10:11], v[12:13]
	s_waitcnt lgkmcnt(0)
	v_xor_b32_e32 v13, 0x80000000, v7
	v_xor_b32_e32 v15, 0x80000000, v9
	v_cmp_gt_f64_e32 vcc, 0, v[8:9]
	v_cmp_gt_f64_e64 s[0:1], 0, v[6:7]
	v_mov_b32_e32 v12, v6
	v_mov_b32_e32 v14, v8
	v_cndmask_b32_e64 v13, v7, v13, s[0:1]
	v_cndmask_b32_e32 v15, v9, v15, vcc
	v_add_f64 v[12:13], v[12:13], v[14:15]
	v_mov_b32_e32 v16, s4
	s_add_i32 s4, s4, 1
	v_cmp_lt_f64_e32 vcc, v[10:11], v[12:13]
	v_add_u32_e32 v5, 16, v5
	s_cmp_lg_u32 s51, s4
	v_cndmask_b32_e32 v1, v1, v7, vcc
	v_cndmask_b32_e32 v0, v0, v6, vcc
	;; [unrolled: 1-line block ×5, first 2 shown]
	s_cbranch_scc1 .LBB120_1153
.LBB120_1154:
	s_waitcnt lgkmcnt(0)
	v_cmp_eq_f64_e32 vcc, 0, v[0:1]
	v_cmp_eq_f64_e64 s[0:1], 0, v[2:3]
	s_and_b64 s[0:1], vcc, s[0:1]
	s_and_saveexec_b64 s[4:5], s[0:1]
	s_xor_b64 s[0:1], exec, s[4:5]
; %bb.1155:
	v_cmp_ne_u32_e32 vcc, 0, v79
	s_nop 1
	v_cndmask_b32_e32 v79, 51, v79, vcc
; %bb.1156:
	s_andn2_saveexec_b64 s[0:1], s[0:1]
	s_cbranch_execz .LBB120_1162
; %bb.1157:
	v_cmp_ngt_f64_e64 s[4:5], |v[0:1]|, |v[2:3]|
	s_and_saveexec_b64 s[12:13], s[4:5]
	s_xor_b64 s[12:13], exec, s[12:13]
	s_cbranch_execz .LBB120_1159
; %bb.1158:
	v_div_scale_f64 v[6:7], s[4:5], v[2:3], v[2:3], v[0:1]
	v_rcp_f64_e32 v[8:9], v[6:7]
	v_div_scale_f64 v[10:11], vcc, v[0:1], v[2:3], v[0:1]
	v_fma_f64 v[12:13], -v[6:7], v[8:9], 1.0
	v_fmac_f64_e32 v[8:9], v[8:9], v[12:13]
	v_fma_f64 v[12:13], -v[6:7], v[8:9], 1.0
	v_fmac_f64_e32 v[8:9], v[8:9], v[12:13]
	v_mul_f64 v[12:13], v[10:11], v[8:9]
	v_fma_f64 v[6:7], -v[6:7], v[12:13], v[10:11]
	v_div_fmas_f64 v[6:7], v[6:7], v[8:9], v[12:13]
	v_div_fixup_f64 v[6:7], v[6:7], v[2:3], v[0:1]
	v_fmac_f64_e32 v[2:3], v[0:1], v[6:7]
	v_div_scale_f64 v[0:1], s[4:5], v[2:3], v[2:3], 1.0
	v_rcp_f64_e32 v[8:9], v[0:1]
	s_nop 0
	v_fma_f64 v[10:11], -v[0:1], v[8:9], 1.0
	v_fmac_f64_e32 v[8:9], v[8:9], v[10:11]
	v_fma_f64 v[10:11], -v[0:1], v[8:9], 1.0
	v_fmac_f64_e32 v[8:9], v[8:9], v[10:11]
	v_div_scale_f64 v[10:11], vcc, 1.0, v[2:3], 1.0
	v_mul_f64 v[12:13], v[10:11], v[8:9]
	v_fma_f64 v[0:1], -v[0:1], v[12:13], v[10:11]
	s_nop 1
	v_div_fmas_f64 v[0:1], v[0:1], v[8:9], v[12:13]
	v_div_fixup_f64 v[2:3], v[0:1], v[2:3], 1.0
	v_mul_f64 v[0:1], v[6:7], v[2:3]
	v_xor_b32_e32 v3, 0x80000000, v3
.LBB120_1159:
	s_andn2_saveexec_b64 s[12:13], s[12:13]
	s_cbranch_execz .LBB120_1161
; %bb.1160:
	v_div_scale_f64 v[6:7], s[4:5], v[0:1], v[0:1], v[2:3]
	v_rcp_f64_e32 v[8:9], v[6:7]
	v_div_scale_f64 v[10:11], vcc, v[2:3], v[0:1], v[2:3]
	v_fma_f64 v[12:13], -v[6:7], v[8:9], 1.0
	v_fmac_f64_e32 v[8:9], v[8:9], v[12:13]
	v_fma_f64 v[12:13], -v[6:7], v[8:9], 1.0
	v_fmac_f64_e32 v[8:9], v[8:9], v[12:13]
	v_mul_f64 v[12:13], v[10:11], v[8:9]
	v_fma_f64 v[6:7], -v[6:7], v[12:13], v[10:11]
	v_div_fmas_f64 v[6:7], v[6:7], v[8:9], v[12:13]
	v_div_fixup_f64 v[6:7], v[6:7], v[0:1], v[2:3]
	v_fmac_f64_e32 v[0:1], v[2:3], v[6:7]
	v_div_scale_f64 v[2:3], s[4:5], v[0:1], v[0:1], 1.0
	v_rcp_f64_e32 v[8:9], v[2:3]
	s_nop 0
	v_fma_f64 v[10:11], -v[2:3], v[8:9], 1.0
	v_fmac_f64_e32 v[8:9], v[8:9], v[10:11]
	v_fma_f64 v[10:11], -v[2:3], v[8:9], 1.0
	v_fmac_f64_e32 v[8:9], v[8:9], v[10:11]
	v_div_scale_f64 v[10:11], vcc, 1.0, v[0:1], 1.0
	v_mul_f64 v[12:13], v[10:11], v[8:9]
	v_fma_f64 v[2:3], -v[2:3], v[12:13], v[10:11]
	s_nop 1
	v_div_fmas_f64 v[2:3], v[2:3], v[8:9], v[12:13]
	v_div_fixup_f64 v[0:1], v[2:3], v[0:1], 1.0
	v_mul_f64 v[2:3], v[6:7], -v[0:1]
.LBB120_1161:
	s_or_b64 exec, exec, s[12:13]
.LBB120_1162:
	s_or_b64 exec, exec, s[0:1]
	v_cmp_ne_u32_e32 vcc, v81, v4
	s_and_saveexec_b64 s[0:1], vcc
	s_xor_b64 s[0:1], exec, s[0:1]
	s_cbranch_execz .LBB120_1168
; %bb.1163:
	v_cmp_eq_u32_e32 vcc, 50, v81
	s_and_saveexec_b64 s[12:13], vcc
	s_cbranch_execz .LBB120_1167
; %bb.1164:
	v_cmp_ne_u32_e32 vcc, 50, v4
	s_xor_b64 s[4:5], s[18:19], -1
	s_and_b64 s[4:5], s[4:5], vcc
	s_and_saveexec_b64 s[14:15], s[4:5]
	s_cbranch_execz .LBB120_1166
; %bb.1165:
	v_ashrrev_i32_e32 v5, 31, v4
	v_lshl_add_u64 v[6:7], v[4:5], 2, v[46:47]
	global_load_dword v5, v[6:7], off
	global_load_dword v8, v[46:47], off offset:200
	s_waitcnt vmcnt(1)
	global_store_dword v[46:47], v5, off offset:200
	s_waitcnt vmcnt(1)
	global_store_dword v[6:7], v8, off
.LBB120_1166:
	s_or_b64 exec, exec, s[14:15]
	v_mov_b32_e32 v81, v4
	v_mov_b32_e32 v80, v4
.LBB120_1167:
	s_or_b64 exec, exec, s[12:13]
.LBB120_1168:
	s_andn2_saveexec_b64 s[0:1], s[0:1]
	s_cbranch_execz .LBB120_1170
; %bb.1169:
	scratch_load_dwordx4 v[4:7], off, s29
	scratch_load_dwordx4 v[8:11], off, s28
	;; [unrolled: 1-line block ×10, first 2 shown]
	v_mov_b32_e32 v81, 50
	s_waitcnt vmcnt(9)
	ds_write2_b64 v78, v[4:5], v[6:7] offset0:102 offset1:103
	s_waitcnt vmcnt(8)
	ds_write2_b64 v78, v[8:9], v[10:11] offset0:104 offset1:105
	;; [unrolled: 2-line block ×10, first 2 shown]
.LBB120_1170:
	s_or_b64 exec, exec, s[0:1]
	v_cmp_lt_i32_e32 vcc, 50, v81
	s_waitcnt lgkmcnt(0)
	s_barrier
	s_and_saveexec_b64 s[0:1], vcc
	s_cbranch_execz .LBB120_1172
; %bb.1171:
	scratch_load_dwordx4 v[4:7], off, off offset:800
	scratch_load_dwordx4 v[8:11], off, off offset:816
	;; [unrolled: 1-line block ×7, first 2 shown]
	s_waitcnt vmcnt(6)
	v_mul_f64 v[32:33], v[2:3], v[6:7]
	v_mul_f64 v[34:35], v[0:1], v[6:7]
	v_fma_f64 v[32:33], v[0:1], v[4:5], -v[32:33]
	v_fmac_f64_e32 v[34:35], v[2:3], v[4:5]
	scratch_store_dwordx4 off, v[32:35], off offset:800
	scratch_load_dwordx4 v[0:3], off, off offset:800
	scratch_load_dwordx4 v[4:7], off, off offset:912
	;; [unrolled: 1-line block ×5, first 2 shown]
	ds_read2_b64 v[54:57], v78 offset0:102 offset1:103
	ds_read2_b64 v[58:61], v78 offset0:104 offset1:105
	;; [unrolled: 1-line block ×10, first 2 shown]
	s_waitcnt lgkmcnt(9)
	v_mul_f64 v[98:99], v[56:57], v[34:35]
	v_mul_f64 v[100:101], v[54:55], v[34:35]
	s_waitcnt lgkmcnt(8)
	v_mul_f64 v[102:103], v[60:61], v[34:35]
	v_mul_f64 v[104:105], v[58:59], v[34:35]
	;; [unrolled: 3-line block ×6, first 2 shown]
	v_fma_f64 v[54:55], v[54:55], v[32:33], -v[98:99]
	v_fmac_f64_e32 v[100:101], v[56:57], v[32:33]
	v_fma_f64 v[56:57], v[58:59], v[32:33], -v[102:103]
	v_fmac_f64_e32 v[104:105], v[60:61], v[32:33]
	;; [unrolled: 2-line block ×6, first 2 shown]
	s_waitcnt vmcnt(11)
	v_add_f64 v[8:9], v[8:9], -v[54:55]
	v_add_f64 v[10:11], v[10:11], -v[100:101]
	s_waitcnt vmcnt(10)
	v_add_f64 v[12:13], v[12:13], -v[56:57]
	v_add_f64 v[14:15], v[14:15], -v[104:105]
	;; [unrolled: 3-line block ×6, first 2 shown]
	scratch_store_dwordx4 off, v[8:11], off offset:816
	scratch_store_dwordx4 off, v[12:15], off offset:832
	;; [unrolled: 1-line block ×6, first 2 shown]
	s_waitcnt vmcnt(10) lgkmcnt(3)
	v_mul_f64 v[8:9], v[84:85], v[2:3]
	v_mul_f64 v[10:11], v[82:83], v[2:3]
	s_waitcnt lgkmcnt(2)
	v_mul_f64 v[12:13], v[88:89], v[2:3]
	v_mul_f64 v[14:15], v[86:87], v[2:3]
	s_waitcnt lgkmcnt(1)
	;; [unrolled: 3-line block ×3, first 2 shown]
	v_mul_f64 v[20:21], v[96:97], v[2:3]
	v_mul_f64 v[22:23], v[94:95], v[2:3]
	v_fma_f64 v[2:3], v[82:83], v[0:1], -v[8:9]
	v_fmac_f64_e32 v[10:11], v[84:85], v[0:1]
	v_fma_f64 v[8:9], v[86:87], v[0:1], -v[12:13]
	v_fmac_f64_e32 v[14:15], v[88:89], v[0:1]
	;; [unrolled: 2-line block ×4, first 2 shown]
	s_waitcnt vmcnt(9)
	v_add_f64 v[0:1], v[4:5], -v[2:3]
	v_add_f64 v[2:3], v[6:7], -v[10:11]
	s_waitcnt vmcnt(8)
	v_add_f64 v[4:5], v[36:37], -v[8:9]
	v_add_f64 v[6:7], v[38:39], -v[14:15]
	s_waitcnt vmcnt(7)
	v_add_f64 v[8:9], v[40:41], -v[12:13]
	v_add_f64 v[10:11], v[42:43], -v[18:19]
	s_waitcnt vmcnt(6)
	v_add_f64 v[12:13], v[50:51], -v[16:17]
	v_add_f64 v[14:15], v[52:53], -v[22:23]
	scratch_store_dwordx4 off, v[0:3], off offset:912
	scratch_store_dwordx4 off, v[4:7], off offset:928
	scratch_store_dwordx4 off, v[8:11], off offset:944
	scratch_store_dwordx4 off, v[12:15], off offset:960
.LBB120_1172:
	s_or_b64 exec, exec, s[0:1]
	s_barrier
	scratch_load_dwordx4 v[0:3], off, s29
	v_lshl_add_u32 v4, v81, 4, v78
	s_cmp_lt_i32 s51, 53
	s_waitcnt vmcnt(0)
	ds_write2_b64 v4, v[0:1], v[2:3] offset1:1
	s_waitcnt lgkmcnt(0)
	s_barrier
	ds_read2_b64 v[0:3], v78 offset0:102 offset1:103
	v_mov_b32_e32 v4, 51
	s_cbranch_scc1 .LBB120_1175
; %bb.1173:
	v_add_u32_e32 v5, 0x340, v78
	s_mov_b32 s4, 52
	v_mov_b32_e32 v4, 51
.LBB120_1174:                           ; =>This Inner Loop Header: Depth=1
	ds_read2_b64 v[6:9], v5 offset1:1
	s_waitcnt lgkmcnt(1)
	v_xor_b32_e32 v11, 0x80000000, v1
	v_xor_b32_e32 v13, 0x80000000, v3
	v_cmp_gt_f64_e32 vcc, 0, v[2:3]
	v_cmp_gt_f64_e64 s[0:1], 0, v[0:1]
	v_mov_b32_e32 v10, v0
	v_mov_b32_e32 v12, v2
	v_cndmask_b32_e64 v11, v1, v11, s[0:1]
	v_cndmask_b32_e32 v13, v3, v13, vcc
	v_add_f64 v[10:11], v[10:11], v[12:13]
	s_waitcnt lgkmcnt(0)
	v_xor_b32_e32 v13, 0x80000000, v7
	v_xor_b32_e32 v15, 0x80000000, v9
	v_cmp_gt_f64_e32 vcc, 0, v[8:9]
	v_cmp_gt_f64_e64 s[0:1], 0, v[6:7]
	v_mov_b32_e32 v12, v6
	v_mov_b32_e32 v14, v8
	v_cndmask_b32_e64 v13, v7, v13, s[0:1]
	v_cndmask_b32_e32 v15, v9, v15, vcc
	v_add_f64 v[12:13], v[12:13], v[14:15]
	v_mov_b32_e32 v16, s4
	s_add_i32 s4, s4, 1
	v_cmp_lt_f64_e32 vcc, v[10:11], v[12:13]
	v_add_u32_e32 v5, 16, v5
	s_cmp_lg_u32 s51, s4
	v_cndmask_b32_e32 v1, v1, v7, vcc
	v_cndmask_b32_e32 v0, v0, v6, vcc
	;; [unrolled: 1-line block ×5, first 2 shown]
	s_cbranch_scc1 .LBB120_1174
.LBB120_1175:
	s_waitcnt lgkmcnt(0)
	v_cmp_eq_f64_e32 vcc, 0, v[0:1]
	v_cmp_eq_f64_e64 s[0:1], 0, v[2:3]
	s_and_b64 s[0:1], vcc, s[0:1]
	s_and_saveexec_b64 s[4:5], s[0:1]
	s_xor_b64 s[0:1], exec, s[4:5]
; %bb.1176:
	v_cmp_ne_u32_e32 vcc, 0, v79
	s_nop 1
	v_cndmask_b32_e32 v79, 52, v79, vcc
; %bb.1177:
	s_andn2_saveexec_b64 s[0:1], s[0:1]
	s_cbranch_execz .LBB120_1183
; %bb.1178:
	v_cmp_ngt_f64_e64 s[4:5], |v[0:1]|, |v[2:3]|
	s_and_saveexec_b64 s[12:13], s[4:5]
	s_xor_b64 s[12:13], exec, s[12:13]
	s_cbranch_execz .LBB120_1180
; %bb.1179:
	v_div_scale_f64 v[6:7], s[4:5], v[2:3], v[2:3], v[0:1]
	v_rcp_f64_e32 v[8:9], v[6:7]
	v_div_scale_f64 v[10:11], vcc, v[0:1], v[2:3], v[0:1]
	v_fma_f64 v[12:13], -v[6:7], v[8:9], 1.0
	v_fmac_f64_e32 v[8:9], v[8:9], v[12:13]
	v_fma_f64 v[12:13], -v[6:7], v[8:9], 1.0
	v_fmac_f64_e32 v[8:9], v[8:9], v[12:13]
	v_mul_f64 v[12:13], v[10:11], v[8:9]
	v_fma_f64 v[6:7], -v[6:7], v[12:13], v[10:11]
	v_div_fmas_f64 v[6:7], v[6:7], v[8:9], v[12:13]
	v_div_fixup_f64 v[6:7], v[6:7], v[2:3], v[0:1]
	v_fmac_f64_e32 v[2:3], v[0:1], v[6:7]
	v_div_scale_f64 v[0:1], s[4:5], v[2:3], v[2:3], 1.0
	v_rcp_f64_e32 v[8:9], v[0:1]
	s_nop 0
	v_fma_f64 v[10:11], -v[0:1], v[8:9], 1.0
	v_fmac_f64_e32 v[8:9], v[8:9], v[10:11]
	v_fma_f64 v[10:11], -v[0:1], v[8:9], 1.0
	v_fmac_f64_e32 v[8:9], v[8:9], v[10:11]
	v_div_scale_f64 v[10:11], vcc, 1.0, v[2:3], 1.0
	v_mul_f64 v[12:13], v[10:11], v[8:9]
	v_fma_f64 v[0:1], -v[0:1], v[12:13], v[10:11]
	s_nop 1
	v_div_fmas_f64 v[0:1], v[0:1], v[8:9], v[12:13]
	v_div_fixup_f64 v[2:3], v[0:1], v[2:3], 1.0
	v_mul_f64 v[0:1], v[6:7], v[2:3]
	v_xor_b32_e32 v3, 0x80000000, v3
.LBB120_1180:
	s_andn2_saveexec_b64 s[12:13], s[12:13]
	s_cbranch_execz .LBB120_1182
; %bb.1181:
	v_div_scale_f64 v[6:7], s[4:5], v[0:1], v[0:1], v[2:3]
	v_rcp_f64_e32 v[8:9], v[6:7]
	v_div_scale_f64 v[10:11], vcc, v[2:3], v[0:1], v[2:3]
	v_fma_f64 v[12:13], -v[6:7], v[8:9], 1.0
	v_fmac_f64_e32 v[8:9], v[8:9], v[12:13]
	v_fma_f64 v[12:13], -v[6:7], v[8:9], 1.0
	v_fmac_f64_e32 v[8:9], v[8:9], v[12:13]
	v_mul_f64 v[12:13], v[10:11], v[8:9]
	v_fma_f64 v[6:7], -v[6:7], v[12:13], v[10:11]
	v_div_fmas_f64 v[6:7], v[6:7], v[8:9], v[12:13]
	v_div_fixup_f64 v[6:7], v[6:7], v[0:1], v[2:3]
	v_fmac_f64_e32 v[0:1], v[2:3], v[6:7]
	v_div_scale_f64 v[2:3], s[4:5], v[0:1], v[0:1], 1.0
	v_rcp_f64_e32 v[8:9], v[2:3]
	s_nop 0
	v_fma_f64 v[10:11], -v[2:3], v[8:9], 1.0
	v_fmac_f64_e32 v[8:9], v[8:9], v[10:11]
	v_fma_f64 v[10:11], -v[2:3], v[8:9], 1.0
	v_fmac_f64_e32 v[8:9], v[8:9], v[10:11]
	v_div_scale_f64 v[10:11], vcc, 1.0, v[0:1], 1.0
	v_mul_f64 v[12:13], v[10:11], v[8:9]
	v_fma_f64 v[2:3], -v[2:3], v[12:13], v[10:11]
	s_nop 1
	v_div_fmas_f64 v[2:3], v[2:3], v[8:9], v[12:13]
	v_div_fixup_f64 v[0:1], v[2:3], v[0:1], 1.0
	v_mul_f64 v[2:3], v[6:7], -v[0:1]
.LBB120_1182:
	s_or_b64 exec, exec, s[12:13]
.LBB120_1183:
	s_or_b64 exec, exec, s[0:1]
	v_cmp_ne_u32_e32 vcc, v81, v4
	s_and_saveexec_b64 s[0:1], vcc
	s_xor_b64 s[0:1], exec, s[0:1]
	s_cbranch_execz .LBB120_1189
; %bb.1184:
	v_cmp_eq_u32_e32 vcc, 51, v81
	s_and_saveexec_b64 s[12:13], vcc
	s_cbranch_execz .LBB120_1188
; %bb.1185:
	v_cmp_ne_u32_e32 vcc, 51, v4
	s_xor_b64 s[4:5], s[18:19], -1
	s_and_b64 s[4:5], s[4:5], vcc
	s_and_saveexec_b64 s[14:15], s[4:5]
	s_cbranch_execz .LBB120_1187
; %bb.1186:
	v_ashrrev_i32_e32 v5, 31, v4
	v_lshl_add_u64 v[6:7], v[4:5], 2, v[46:47]
	global_load_dword v5, v[6:7], off
	global_load_dword v8, v[46:47], off offset:204
	s_waitcnt vmcnt(1)
	global_store_dword v[46:47], v5, off offset:204
	s_waitcnt vmcnt(1)
	global_store_dword v[6:7], v8, off
.LBB120_1187:
	s_or_b64 exec, exec, s[14:15]
	v_mov_b32_e32 v81, v4
	v_mov_b32_e32 v80, v4
.LBB120_1188:
	s_or_b64 exec, exec, s[12:13]
.LBB120_1189:
	s_andn2_saveexec_b64 s[0:1], s[0:1]
	s_cbranch_execz .LBB120_1191
; %bb.1190:
	scratch_load_dwordx4 v[4:7], off, s28
	scratch_load_dwordx4 v[8:11], off, s27
	scratch_load_dwordx4 v[12:15], off, s26
	scratch_load_dwordx4 v[16:19], off, s25
	scratch_load_dwordx4 v[20:23], off, s24
	scratch_load_dwordx4 v[24:27], off, s23
	scratch_load_dwordx4 v[28:31], off, s22
	scratch_load_dwordx4 v[32:35], off, s21
	scratch_load_dwordx4 v[36:39], off, s20
	v_mov_b32_e32 v81, 51
	s_waitcnt vmcnt(8)
	ds_write2_b64 v78, v[4:5], v[6:7] offset0:104 offset1:105
	s_waitcnt vmcnt(7)
	ds_write2_b64 v78, v[8:9], v[10:11] offset0:106 offset1:107
	;; [unrolled: 2-line block ×9, first 2 shown]
.LBB120_1191:
	s_or_b64 exec, exec, s[0:1]
	v_cmp_lt_i32_e32 vcc, 51, v81
	s_waitcnt lgkmcnt(0)
	s_barrier
	s_and_saveexec_b64 s[0:1], vcc
	s_cbranch_execz .LBB120_1193
; %bb.1192:
	scratch_load_dwordx4 v[4:7], off, off offset:816
	scratch_load_dwordx4 v[8:11], off, off offset:832
	;; [unrolled: 1-line block ×7, first 2 shown]
	s_waitcnt vmcnt(6)
	v_mul_f64 v[32:33], v[2:3], v[6:7]
	v_mul_f64 v[34:35], v[0:1], v[6:7]
	v_fma_f64 v[32:33], v[0:1], v[4:5], -v[32:33]
	v_fmac_f64_e32 v[34:35], v[2:3], v[4:5]
	scratch_store_dwordx4 off, v[32:35], off offset:816
	scratch_load_dwordx4 v[0:3], off, off offset:816
	scratch_load_dwordx4 v[4:7], off, off offset:928
	;; [unrolled: 1-line block ×4, first 2 shown]
	ds_read2_b64 v[50:53], v78 offset0:104 offset1:105
	ds_read2_b64 v[54:57], v78 offset0:106 offset1:107
	;; [unrolled: 1-line block ×9, first 2 shown]
	s_waitcnt lgkmcnt(8)
	v_mul_f64 v[90:91], v[52:53], v[34:35]
	v_mul_f64 v[92:93], v[50:51], v[34:35]
	s_waitcnt lgkmcnt(7)
	v_mul_f64 v[94:95], v[56:57], v[34:35]
	v_mul_f64 v[96:97], v[54:55], v[34:35]
	;; [unrolled: 3-line block ×6, first 2 shown]
	v_fma_f64 v[50:51], v[50:51], v[32:33], -v[90:91]
	v_fmac_f64_e32 v[92:93], v[52:53], v[32:33]
	v_fma_f64 v[52:53], v[54:55], v[32:33], -v[94:95]
	v_fmac_f64_e32 v[96:97], v[56:57], v[32:33]
	;; [unrolled: 2-line block ×6, first 2 shown]
	s_waitcnt vmcnt(10)
	v_add_f64 v[8:9], v[8:9], -v[50:51]
	v_add_f64 v[10:11], v[10:11], -v[92:93]
	s_waitcnt vmcnt(9)
	v_add_f64 v[12:13], v[12:13], -v[52:53]
	v_add_f64 v[14:15], v[14:15], -v[96:97]
	;; [unrolled: 3-line block ×6, first 2 shown]
	scratch_store_dwordx4 off, v[8:11], off offset:832
	scratch_store_dwordx4 off, v[12:15], off offset:848
	;; [unrolled: 1-line block ×6, first 2 shown]
	s_waitcnt vmcnt(9) lgkmcnt(2)
	v_mul_f64 v[8:9], v[76:77], v[2:3]
	v_mul_f64 v[10:11], v[74:75], v[2:3]
	s_waitcnt lgkmcnt(1)
	v_mul_f64 v[12:13], v[84:85], v[2:3]
	v_mul_f64 v[14:15], v[82:83], v[2:3]
	s_waitcnt lgkmcnt(0)
	v_mul_f64 v[16:17], v[88:89], v[2:3]
	v_mul_f64 v[18:19], v[86:87], v[2:3]
	v_fma_f64 v[2:3], v[74:75], v[0:1], -v[8:9]
	v_fmac_f64_e32 v[10:11], v[76:77], v[0:1]
	v_fma_f64 v[8:9], v[82:83], v[0:1], -v[12:13]
	v_fmac_f64_e32 v[14:15], v[84:85], v[0:1]
	;; [unrolled: 2-line block ×3, first 2 shown]
	s_waitcnt vmcnt(8)
	v_add_f64 v[0:1], v[4:5], -v[2:3]
	v_add_f64 v[2:3], v[6:7], -v[10:11]
	s_waitcnt vmcnt(7)
	v_add_f64 v[4:5], v[36:37], -v[8:9]
	v_add_f64 v[6:7], v[38:39], -v[14:15]
	;; [unrolled: 3-line block ×3, first 2 shown]
	scratch_store_dwordx4 off, v[0:3], off offset:928
	scratch_store_dwordx4 off, v[4:7], off offset:944
	scratch_store_dwordx4 off, v[8:11], off offset:960
.LBB120_1193:
	s_or_b64 exec, exec, s[0:1]
	s_barrier
	scratch_load_dwordx4 v[0:3], off, s28
	v_lshl_add_u32 v4, v81, 4, v78
	s_cmp_lt_i32 s51, 54
	s_waitcnt vmcnt(0)
	ds_write2_b64 v4, v[0:1], v[2:3] offset1:1
	s_waitcnt lgkmcnt(0)
	s_barrier
	ds_read2_b64 v[0:3], v78 offset0:104 offset1:105
	v_mov_b32_e32 v4, 52
	s_cbranch_scc1 .LBB120_1196
; %bb.1194:
	v_add_u32_e32 v5, 0x350, v78
	s_mov_b32 s4, 53
	v_mov_b32_e32 v4, 52
.LBB120_1195:                           ; =>This Inner Loop Header: Depth=1
	ds_read2_b64 v[6:9], v5 offset1:1
	s_waitcnt lgkmcnt(1)
	v_xor_b32_e32 v11, 0x80000000, v1
	v_xor_b32_e32 v13, 0x80000000, v3
	v_cmp_gt_f64_e32 vcc, 0, v[2:3]
	v_cmp_gt_f64_e64 s[0:1], 0, v[0:1]
	v_mov_b32_e32 v10, v0
	v_mov_b32_e32 v12, v2
	v_cndmask_b32_e64 v11, v1, v11, s[0:1]
	v_cndmask_b32_e32 v13, v3, v13, vcc
	v_add_f64 v[10:11], v[10:11], v[12:13]
	s_waitcnt lgkmcnt(0)
	v_xor_b32_e32 v13, 0x80000000, v7
	v_xor_b32_e32 v15, 0x80000000, v9
	v_cmp_gt_f64_e32 vcc, 0, v[8:9]
	v_cmp_gt_f64_e64 s[0:1], 0, v[6:7]
	v_mov_b32_e32 v12, v6
	v_mov_b32_e32 v14, v8
	v_cndmask_b32_e64 v13, v7, v13, s[0:1]
	v_cndmask_b32_e32 v15, v9, v15, vcc
	v_add_f64 v[12:13], v[12:13], v[14:15]
	v_mov_b32_e32 v16, s4
	s_add_i32 s4, s4, 1
	v_cmp_lt_f64_e32 vcc, v[10:11], v[12:13]
	v_add_u32_e32 v5, 16, v5
	s_cmp_lg_u32 s51, s4
	v_cndmask_b32_e32 v1, v1, v7, vcc
	v_cndmask_b32_e32 v0, v0, v6, vcc
	;; [unrolled: 1-line block ×5, first 2 shown]
	s_cbranch_scc1 .LBB120_1195
.LBB120_1196:
	s_waitcnt lgkmcnt(0)
	v_cmp_eq_f64_e32 vcc, 0, v[0:1]
	v_cmp_eq_f64_e64 s[0:1], 0, v[2:3]
	s_and_b64 s[0:1], vcc, s[0:1]
	s_and_saveexec_b64 s[4:5], s[0:1]
	s_xor_b64 s[0:1], exec, s[4:5]
; %bb.1197:
	v_cmp_ne_u32_e32 vcc, 0, v79
	s_nop 1
	v_cndmask_b32_e32 v79, 53, v79, vcc
; %bb.1198:
	s_andn2_saveexec_b64 s[0:1], s[0:1]
	s_cbranch_execz .LBB120_1204
; %bb.1199:
	v_cmp_ngt_f64_e64 s[4:5], |v[0:1]|, |v[2:3]|
	s_and_saveexec_b64 s[12:13], s[4:5]
	s_xor_b64 s[12:13], exec, s[12:13]
	s_cbranch_execz .LBB120_1201
; %bb.1200:
	v_div_scale_f64 v[6:7], s[4:5], v[2:3], v[2:3], v[0:1]
	v_rcp_f64_e32 v[8:9], v[6:7]
	v_div_scale_f64 v[10:11], vcc, v[0:1], v[2:3], v[0:1]
	v_fma_f64 v[12:13], -v[6:7], v[8:9], 1.0
	v_fmac_f64_e32 v[8:9], v[8:9], v[12:13]
	v_fma_f64 v[12:13], -v[6:7], v[8:9], 1.0
	v_fmac_f64_e32 v[8:9], v[8:9], v[12:13]
	v_mul_f64 v[12:13], v[10:11], v[8:9]
	v_fma_f64 v[6:7], -v[6:7], v[12:13], v[10:11]
	v_div_fmas_f64 v[6:7], v[6:7], v[8:9], v[12:13]
	v_div_fixup_f64 v[6:7], v[6:7], v[2:3], v[0:1]
	v_fmac_f64_e32 v[2:3], v[0:1], v[6:7]
	v_div_scale_f64 v[0:1], s[4:5], v[2:3], v[2:3], 1.0
	v_rcp_f64_e32 v[8:9], v[0:1]
	s_nop 0
	v_fma_f64 v[10:11], -v[0:1], v[8:9], 1.0
	v_fmac_f64_e32 v[8:9], v[8:9], v[10:11]
	v_fma_f64 v[10:11], -v[0:1], v[8:9], 1.0
	v_fmac_f64_e32 v[8:9], v[8:9], v[10:11]
	v_div_scale_f64 v[10:11], vcc, 1.0, v[2:3], 1.0
	v_mul_f64 v[12:13], v[10:11], v[8:9]
	v_fma_f64 v[0:1], -v[0:1], v[12:13], v[10:11]
	s_nop 1
	v_div_fmas_f64 v[0:1], v[0:1], v[8:9], v[12:13]
	v_div_fixup_f64 v[2:3], v[0:1], v[2:3], 1.0
	v_mul_f64 v[0:1], v[6:7], v[2:3]
	v_xor_b32_e32 v3, 0x80000000, v3
.LBB120_1201:
	s_andn2_saveexec_b64 s[12:13], s[12:13]
	s_cbranch_execz .LBB120_1203
; %bb.1202:
	v_div_scale_f64 v[6:7], s[4:5], v[0:1], v[0:1], v[2:3]
	v_rcp_f64_e32 v[8:9], v[6:7]
	v_div_scale_f64 v[10:11], vcc, v[2:3], v[0:1], v[2:3]
	v_fma_f64 v[12:13], -v[6:7], v[8:9], 1.0
	v_fmac_f64_e32 v[8:9], v[8:9], v[12:13]
	v_fma_f64 v[12:13], -v[6:7], v[8:9], 1.0
	v_fmac_f64_e32 v[8:9], v[8:9], v[12:13]
	v_mul_f64 v[12:13], v[10:11], v[8:9]
	v_fma_f64 v[6:7], -v[6:7], v[12:13], v[10:11]
	v_div_fmas_f64 v[6:7], v[6:7], v[8:9], v[12:13]
	v_div_fixup_f64 v[6:7], v[6:7], v[0:1], v[2:3]
	v_fmac_f64_e32 v[0:1], v[2:3], v[6:7]
	v_div_scale_f64 v[2:3], s[4:5], v[0:1], v[0:1], 1.0
	v_rcp_f64_e32 v[8:9], v[2:3]
	s_nop 0
	v_fma_f64 v[10:11], -v[2:3], v[8:9], 1.0
	v_fmac_f64_e32 v[8:9], v[8:9], v[10:11]
	v_fma_f64 v[10:11], -v[2:3], v[8:9], 1.0
	v_fmac_f64_e32 v[8:9], v[8:9], v[10:11]
	v_div_scale_f64 v[10:11], vcc, 1.0, v[0:1], 1.0
	v_mul_f64 v[12:13], v[10:11], v[8:9]
	v_fma_f64 v[2:3], -v[2:3], v[12:13], v[10:11]
	s_nop 1
	v_div_fmas_f64 v[2:3], v[2:3], v[8:9], v[12:13]
	v_div_fixup_f64 v[0:1], v[2:3], v[0:1], 1.0
	v_mul_f64 v[2:3], v[6:7], -v[0:1]
.LBB120_1203:
	s_or_b64 exec, exec, s[12:13]
.LBB120_1204:
	s_or_b64 exec, exec, s[0:1]
	v_cmp_ne_u32_e32 vcc, v81, v4
	s_and_saveexec_b64 s[0:1], vcc
	s_xor_b64 s[0:1], exec, s[0:1]
	s_cbranch_execz .LBB120_1210
; %bb.1205:
	v_cmp_eq_u32_e32 vcc, 52, v81
	s_and_saveexec_b64 s[12:13], vcc
	s_cbranch_execz .LBB120_1209
; %bb.1206:
	v_cmp_ne_u32_e32 vcc, 52, v4
	s_xor_b64 s[4:5], s[18:19], -1
	s_and_b64 s[4:5], s[4:5], vcc
	s_and_saveexec_b64 s[14:15], s[4:5]
	s_cbranch_execz .LBB120_1208
; %bb.1207:
	v_ashrrev_i32_e32 v5, 31, v4
	v_lshl_add_u64 v[6:7], v[4:5], 2, v[46:47]
	global_load_dword v5, v[6:7], off
	global_load_dword v8, v[46:47], off offset:208
	s_waitcnt vmcnt(1)
	global_store_dword v[46:47], v5, off offset:208
	s_waitcnt vmcnt(1)
	global_store_dword v[6:7], v8, off
.LBB120_1208:
	s_or_b64 exec, exec, s[14:15]
	v_mov_b32_e32 v81, v4
	v_mov_b32_e32 v80, v4
.LBB120_1209:
	s_or_b64 exec, exec, s[12:13]
.LBB120_1210:
	s_andn2_saveexec_b64 s[0:1], s[0:1]
	s_cbranch_execz .LBB120_1212
; %bb.1211:
	scratch_load_dwordx4 v[4:7], off, s27
	scratch_load_dwordx4 v[8:11], off, s26
	;; [unrolled: 1-line block ×8, first 2 shown]
	v_mov_b32_e32 v81, 52
	s_waitcnt vmcnt(7)
	ds_write2_b64 v78, v[4:5], v[6:7] offset0:106 offset1:107
	s_waitcnt vmcnt(6)
	ds_write2_b64 v78, v[8:9], v[10:11] offset0:108 offset1:109
	;; [unrolled: 2-line block ×8, first 2 shown]
.LBB120_1212:
	s_or_b64 exec, exec, s[0:1]
	v_cmp_lt_i32_e32 vcc, 52, v81
	s_waitcnt lgkmcnt(0)
	s_barrier
	s_and_saveexec_b64 s[0:1], vcc
	s_cbranch_execz .LBB120_1214
; %bb.1213:
	scratch_load_dwordx4 v[4:7], off, off offset:832
	scratch_load_dwordx4 v[8:11], off, off offset:848
	;; [unrolled: 1-line block ×7, first 2 shown]
	s_waitcnt vmcnt(6)
	v_mul_f64 v[32:33], v[2:3], v[6:7]
	v_mul_f64 v[34:35], v[0:1], v[6:7]
	v_fma_f64 v[32:33], v[0:1], v[4:5], -v[32:33]
	v_fmac_f64_e32 v[34:35], v[2:3], v[4:5]
	scratch_store_dwordx4 off, v[32:35], off offset:832
	scratch_load_dwordx4 v[0:3], off, off offset:832
	scratch_load_dwordx4 v[4:7], off, off offset:944
	;; [unrolled: 1-line block ×3, first 2 shown]
	ds_read2_b64 v[40:43], v78 offset0:106 offset1:107
	ds_read2_b64 v[50:53], v78 offset0:108 offset1:109
	ds_read2_b64 v[54:57], v78 offset0:110 offset1:111
	ds_read2_b64 v[58:61], v78 offset0:112 offset1:113
	ds_read2_b64 v[62:65], v78 offset0:114 offset1:115
	ds_read2_b64 v[66:69], v78 offset0:116 offset1:117
	ds_read2_b64 v[70:73], v78 offset0:118 offset1:119
	ds_read2_b64 v[74:77], v78 offset0:120 offset1:121
	s_waitcnt lgkmcnt(7)
	v_mul_f64 v[82:83], v[42:43], v[34:35]
	v_mul_f64 v[84:85], v[40:41], v[34:35]
	s_waitcnt lgkmcnt(6)
	v_mul_f64 v[86:87], v[52:53], v[34:35]
	v_mul_f64 v[88:89], v[50:51], v[34:35]
	;; [unrolled: 3-line block ×6, first 2 shown]
	v_fma_f64 v[40:41], v[40:41], v[32:33], -v[82:83]
	v_fmac_f64_e32 v[84:85], v[42:43], v[32:33]
	v_fma_f64 v[42:43], v[50:51], v[32:33], -v[86:87]
	v_fmac_f64_e32 v[88:89], v[52:53], v[32:33]
	;; [unrolled: 2-line block ×6, first 2 shown]
	s_waitcnt vmcnt(9)
	v_add_f64 v[8:9], v[8:9], -v[40:41]
	v_add_f64 v[10:11], v[10:11], -v[84:85]
	s_waitcnt vmcnt(8)
	v_add_f64 v[12:13], v[12:13], -v[42:43]
	v_add_f64 v[14:15], v[14:15], -v[88:89]
	;; [unrolled: 3-line block ×6, first 2 shown]
	scratch_store_dwordx4 off, v[8:11], off offset:848
	scratch_store_dwordx4 off, v[12:15], off offset:864
	;; [unrolled: 1-line block ×6, first 2 shown]
	s_waitcnt vmcnt(8) lgkmcnt(1)
	v_mul_f64 v[8:9], v[72:73], v[2:3]
	v_mul_f64 v[10:11], v[70:71], v[2:3]
	s_waitcnt lgkmcnt(0)
	v_mul_f64 v[12:13], v[76:77], v[2:3]
	v_mul_f64 v[14:15], v[74:75], v[2:3]
	v_fma_f64 v[2:3], v[70:71], v[0:1], -v[8:9]
	v_fmac_f64_e32 v[10:11], v[72:73], v[0:1]
	v_fma_f64 v[8:9], v[74:75], v[0:1], -v[12:13]
	v_fmac_f64_e32 v[14:15], v[76:77], v[0:1]
	s_waitcnt vmcnt(7)
	v_add_f64 v[0:1], v[4:5], -v[2:3]
	v_add_f64 v[2:3], v[6:7], -v[10:11]
	s_waitcnt vmcnt(6)
	v_add_f64 v[4:5], v[36:37], -v[8:9]
	v_add_f64 v[6:7], v[38:39], -v[14:15]
	scratch_store_dwordx4 off, v[0:3], off offset:944
	scratch_store_dwordx4 off, v[4:7], off offset:960
.LBB120_1214:
	s_or_b64 exec, exec, s[0:1]
	s_barrier
	scratch_load_dwordx4 v[0:3], off, s27
	v_lshl_add_u32 v4, v81, 4, v78
	s_cmp_lt_i32 s51, 55
	s_waitcnt vmcnt(0)
	ds_write2_b64 v4, v[0:1], v[2:3] offset1:1
	s_waitcnt lgkmcnt(0)
	s_barrier
	ds_read2_b64 v[0:3], v78 offset0:106 offset1:107
	v_mov_b32_e32 v4, 53
	s_cbranch_scc1 .LBB120_1217
; %bb.1215:
	v_add_u32_e32 v5, 0x360, v78
	s_mov_b32 s4, 54
	v_mov_b32_e32 v4, 53
.LBB120_1216:                           ; =>This Inner Loop Header: Depth=1
	ds_read2_b64 v[6:9], v5 offset1:1
	s_waitcnt lgkmcnt(1)
	v_xor_b32_e32 v11, 0x80000000, v1
	v_xor_b32_e32 v13, 0x80000000, v3
	v_cmp_gt_f64_e32 vcc, 0, v[2:3]
	v_cmp_gt_f64_e64 s[0:1], 0, v[0:1]
	v_mov_b32_e32 v10, v0
	v_mov_b32_e32 v12, v2
	v_cndmask_b32_e64 v11, v1, v11, s[0:1]
	v_cndmask_b32_e32 v13, v3, v13, vcc
	v_add_f64 v[10:11], v[10:11], v[12:13]
	s_waitcnt lgkmcnt(0)
	v_xor_b32_e32 v13, 0x80000000, v7
	v_xor_b32_e32 v15, 0x80000000, v9
	v_cmp_gt_f64_e32 vcc, 0, v[8:9]
	v_cmp_gt_f64_e64 s[0:1], 0, v[6:7]
	v_mov_b32_e32 v12, v6
	v_mov_b32_e32 v14, v8
	v_cndmask_b32_e64 v13, v7, v13, s[0:1]
	v_cndmask_b32_e32 v15, v9, v15, vcc
	v_add_f64 v[12:13], v[12:13], v[14:15]
	v_mov_b32_e32 v16, s4
	s_add_i32 s4, s4, 1
	v_cmp_lt_f64_e32 vcc, v[10:11], v[12:13]
	v_add_u32_e32 v5, 16, v5
	s_cmp_lg_u32 s51, s4
	v_cndmask_b32_e32 v1, v1, v7, vcc
	v_cndmask_b32_e32 v0, v0, v6, vcc
	;; [unrolled: 1-line block ×5, first 2 shown]
	s_cbranch_scc1 .LBB120_1216
.LBB120_1217:
	s_waitcnt lgkmcnt(0)
	v_cmp_eq_f64_e32 vcc, 0, v[0:1]
	v_cmp_eq_f64_e64 s[0:1], 0, v[2:3]
	s_and_b64 s[0:1], vcc, s[0:1]
	s_and_saveexec_b64 s[4:5], s[0:1]
	s_xor_b64 s[0:1], exec, s[4:5]
; %bb.1218:
	v_cmp_ne_u32_e32 vcc, 0, v79
	s_nop 1
	v_cndmask_b32_e32 v79, 54, v79, vcc
; %bb.1219:
	s_andn2_saveexec_b64 s[0:1], s[0:1]
	s_cbranch_execz .LBB120_1225
; %bb.1220:
	v_cmp_ngt_f64_e64 s[4:5], |v[0:1]|, |v[2:3]|
	s_and_saveexec_b64 s[12:13], s[4:5]
	s_xor_b64 s[12:13], exec, s[12:13]
	s_cbranch_execz .LBB120_1222
; %bb.1221:
	v_div_scale_f64 v[6:7], s[4:5], v[2:3], v[2:3], v[0:1]
	v_rcp_f64_e32 v[8:9], v[6:7]
	v_div_scale_f64 v[10:11], vcc, v[0:1], v[2:3], v[0:1]
	v_fma_f64 v[12:13], -v[6:7], v[8:9], 1.0
	v_fmac_f64_e32 v[8:9], v[8:9], v[12:13]
	v_fma_f64 v[12:13], -v[6:7], v[8:9], 1.0
	v_fmac_f64_e32 v[8:9], v[8:9], v[12:13]
	v_mul_f64 v[12:13], v[10:11], v[8:9]
	v_fma_f64 v[6:7], -v[6:7], v[12:13], v[10:11]
	v_div_fmas_f64 v[6:7], v[6:7], v[8:9], v[12:13]
	v_div_fixup_f64 v[6:7], v[6:7], v[2:3], v[0:1]
	v_fmac_f64_e32 v[2:3], v[0:1], v[6:7]
	v_div_scale_f64 v[0:1], s[4:5], v[2:3], v[2:3], 1.0
	v_rcp_f64_e32 v[8:9], v[0:1]
	s_nop 0
	v_fma_f64 v[10:11], -v[0:1], v[8:9], 1.0
	v_fmac_f64_e32 v[8:9], v[8:9], v[10:11]
	v_fma_f64 v[10:11], -v[0:1], v[8:9], 1.0
	v_fmac_f64_e32 v[8:9], v[8:9], v[10:11]
	v_div_scale_f64 v[10:11], vcc, 1.0, v[2:3], 1.0
	v_mul_f64 v[12:13], v[10:11], v[8:9]
	v_fma_f64 v[0:1], -v[0:1], v[12:13], v[10:11]
	s_nop 1
	v_div_fmas_f64 v[0:1], v[0:1], v[8:9], v[12:13]
	v_div_fixup_f64 v[2:3], v[0:1], v[2:3], 1.0
	v_mul_f64 v[0:1], v[6:7], v[2:3]
	v_xor_b32_e32 v3, 0x80000000, v3
.LBB120_1222:
	s_andn2_saveexec_b64 s[12:13], s[12:13]
	s_cbranch_execz .LBB120_1224
; %bb.1223:
	v_div_scale_f64 v[6:7], s[4:5], v[0:1], v[0:1], v[2:3]
	v_rcp_f64_e32 v[8:9], v[6:7]
	v_div_scale_f64 v[10:11], vcc, v[2:3], v[0:1], v[2:3]
	v_fma_f64 v[12:13], -v[6:7], v[8:9], 1.0
	v_fmac_f64_e32 v[8:9], v[8:9], v[12:13]
	v_fma_f64 v[12:13], -v[6:7], v[8:9], 1.0
	v_fmac_f64_e32 v[8:9], v[8:9], v[12:13]
	v_mul_f64 v[12:13], v[10:11], v[8:9]
	v_fma_f64 v[6:7], -v[6:7], v[12:13], v[10:11]
	v_div_fmas_f64 v[6:7], v[6:7], v[8:9], v[12:13]
	v_div_fixup_f64 v[6:7], v[6:7], v[0:1], v[2:3]
	v_fmac_f64_e32 v[0:1], v[2:3], v[6:7]
	v_div_scale_f64 v[2:3], s[4:5], v[0:1], v[0:1], 1.0
	v_rcp_f64_e32 v[8:9], v[2:3]
	s_nop 0
	v_fma_f64 v[10:11], -v[2:3], v[8:9], 1.0
	v_fmac_f64_e32 v[8:9], v[8:9], v[10:11]
	v_fma_f64 v[10:11], -v[2:3], v[8:9], 1.0
	v_fmac_f64_e32 v[8:9], v[8:9], v[10:11]
	v_div_scale_f64 v[10:11], vcc, 1.0, v[0:1], 1.0
	v_mul_f64 v[12:13], v[10:11], v[8:9]
	v_fma_f64 v[2:3], -v[2:3], v[12:13], v[10:11]
	s_nop 1
	v_div_fmas_f64 v[2:3], v[2:3], v[8:9], v[12:13]
	v_div_fixup_f64 v[0:1], v[2:3], v[0:1], 1.0
	v_mul_f64 v[2:3], v[6:7], -v[0:1]
.LBB120_1224:
	s_or_b64 exec, exec, s[12:13]
.LBB120_1225:
	s_or_b64 exec, exec, s[0:1]
	v_cmp_ne_u32_e32 vcc, v81, v4
	s_and_saveexec_b64 s[0:1], vcc
	s_xor_b64 s[0:1], exec, s[0:1]
	s_cbranch_execz .LBB120_1231
; %bb.1226:
	v_cmp_eq_u32_e32 vcc, 53, v81
	s_and_saveexec_b64 s[12:13], vcc
	s_cbranch_execz .LBB120_1230
; %bb.1227:
	v_cmp_ne_u32_e32 vcc, 53, v4
	s_xor_b64 s[4:5], s[18:19], -1
	s_and_b64 s[4:5], s[4:5], vcc
	s_and_saveexec_b64 s[14:15], s[4:5]
	s_cbranch_execz .LBB120_1229
; %bb.1228:
	v_ashrrev_i32_e32 v5, 31, v4
	v_lshl_add_u64 v[6:7], v[4:5], 2, v[46:47]
	global_load_dword v5, v[6:7], off
	global_load_dword v8, v[46:47], off offset:212
	s_waitcnt vmcnt(1)
	global_store_dword v[46:47], v5, off offset:212
	s_waitcnt vmcnt(1)
	global_store_dword v[6:7], v8, off
.LBB120_1229:
	s_or_b64 exec, exec, s[14:15]
	v_mov_b32_e32 v81, v4
	v_mov_b32_e32 v80, v4
.LBB120_1230:
	s_or_b64 exec, exec, s[12:13]
.LBB120_1231:
	s_andn2_saveexec_b64 s[0:1], s[0:1]
	s_cbranch_execz .LBB120_1233
; %bb.1232:
	scratch_load_dwordx4 v[4:7], off, s26
	scratch_load_dwordx4 v[8:11], off, s25
	;; [unrolled: 1-line block ×7, first 2 shown]
	v_mov_b32_e32 v81, 53
	s_waitcnt vmcnt(6)
	ds_write2_b64 v78, v[4:5], v[6:7] offset0:108 offset1:109
	s_waitcnt vmcnt(5)
	ds_write2_b64 v78, v[8:9], v[10:11] offset0:110 offset1:111
	;; [unrolled: 2-line block ×7, first 2 shown]
.LBB120_1233:
	s_or_b64 exec, exec, s[0:1]
	v_cmp_lt_i32_e32 vcc, 53, v81
	s_waitcnt lgkmcnt(0)
	s_barrier
	s_and_saveexec_b64 s[0:1], vcc
	s_cbranch_execz .LBB120_1235
; %bb.1234:
	scratch_load_dwordx4 v[4:7], off, off offset:848
	scratch_load_dwordx4 v[8:11], off, off offset:864
	;; [unrolled: 1-line block ×7, first 2 shown]
	s_waitcnt vmcnt(6)
	v_mul_f64 v[32:33], v[2:3], v[6:7]
	v_mul_f64 v[34:35], v[0:1], v[6:7]
	v_fma_f64 v[32:33], v[0:1], v[4:5], -v[32:33]
	v_fmac_f64_e32 v[34:35], v[2:3], v[4:5]
	scratch_store_dwordx4 off, v[32:35], off offset:848
	scratch_load_dwordx4 v[0:3], off, off offset:848
	scratch_load_dwordx4 v[4:7], off, off offset:960
	ds_read2_b64 v[36:39], v78 offset0:108 offset1:109
	ds_read2_b64 v[40:43], v78 offset0:110 offset1:111
	;; [unrolled: 1-line block ×7, first 2 shown]
	s_waitcnt lgkmcnt(6)
	v_mul_f64 v[70:71], v[38:39], v[34:35]
	v_mul_f64 v[72:73], v[36:37], v[34:35]
	s_waitcnt lgkmcnt(5)
	v_mul_f64 v[74:75], v[42:43], v[34:35]
	v_mul_f64 v[76:77], v[40:41], v[34:35]
	;; [unrolled: 3-line block ×6, first 2 shown]
	v_fma_f64 v[36:37], v[36:37], v[32:33], -v[70:71]
	v_fmac_f64_e32 v[72:73], v[38:39], v[32:33]
	v_fma_f64 v[38:39], v[40:41], v[32:33], -v[74:75]
	v_fmac_f64_e32 v[76:77], v[42:43], v[32:33]
	;; [unrolled: 2-line block ×6, first 2 shown]
	s_waitcnt vmcnt(8)
	v_add_f64 v[8:9], v[8:9], -v[36:37]
	v_add_f64 v[10:11], v[10:11], -v[72:73]
	s_waitcnt vmcnt(7)
	v_add_f64 v[12:13], v[12:13], -v[38:39]
	v_add_f64 v[14:15], v[14:15], -v[76:77]
	;; [unrolled: 3-line block ×6, first 2 shown]
	scratch_store_dwordx4 off, v[8:11], off offset:864
	scratch_store_dwordx4 off, v[12:15], off offset:880
	;; [unrolled: 1-line block ×6, first 2 shown]
	s_waitcnt vmcnt(7) lgkmcnt(0)
	v_mul_f64 v[8:9], v[68:69], v[2:3]
	v_mul_f64 v[2:3], v[66:67], v[2:3]
	v_fma_f64 v[8:9], v[66:67], v[0:1], -v[8:9]
	v_fmac_f64_e32 v[2:3], v[68:69], v[0:1]
	s_waitcnt vmcnt(6)
	v_add_f64 v[0:1], v[4:5], -v[8:9]
	v_add_f64 v[2:3], v[6:7], -v[2:3]
	scratch_store_dwordx4 off, v[0:3], off offset:960
.LBB120_1235:
	s_or_b64 exec, exec, s[0:1]
	s_barrier
	scratch_load_dwordx4 v[0:3], off, s26
	v_lshl_add_u32 v4, v81, 4, v78
	s_cmp_lt_i32 s51, 56
	s_waitcnt vmcnt(0)
	ds_write2_b64 v4, v[0:1], v[2:3] offset1:1
	s_waitcnt lgkmcnt(0)
	s_barrier
	ds_read2_b64 v[0:3], v78 offset0:108 offset1:109
	v_mov_b32_e32 v4, 54
	s_cbranch_scc1 .LBB120_1238
; %bb.1236:
	v_add_u32_e32 v5, 0x370, v78
	s_mov_b32 s4, 55
	v_mov_b32_e32 v4, 54
.LBB120_1237:                           ; =>This Inner Loop Header: Depth=1
	ds_read2_b64 v[6:9], v5 offset1:1
	s_waitcnt lgkmcnt(1)
	v_xor_b32_e32 v11, 0x80000000, v1
	v_xor_b32_e32 v13, 0x80000000, v3
	v_cmp_gt_f64_e32 vcc, 0, v[2:3]
	v_cmp_gt_f64_e64 s[0:1], 0, v[0:1]
	v_mov_b32_e32 v10, v0
	v_mov_b32_e32 v12, v2
	v_cndmask_b32_e64 v11, v1, v11, s[0:1]
	v_cndmask_b32_e32 v13, v3, v13, vcc
	v_add_f64 v[10:11], v[10:11], v[12:13]
	s_waitcnt lgkmcnt(0)
	v_xor_b32_e32 v13, 0x80000000, v7
	v_xor_b32_e32 v15, 0x80000000, v9
	v_cmp_gt_f64_e32 vcc, 0, v[8:9]
	v_cmp_gt_f64_e64 s[0:1], 0, v[6:7]
	v_mov_b32_e32 v12, v6
	v_mov_b32_e32 v14, v8
	v_cndmask_b32_e64 v13, v7, v13, s[0:1]
	v_cndmask_b32_e32 v15, v9, v15, vcc
	v_add_f64 v[12:13], v[12:13], v[14:15]
	v_mov_b32_e32 v16, s4
	s_add_i32 s4, s4, 1
	v_cmp_lt_f64_e32 vcc, v[10:11], v[12:13]
	v_add_u32_e32 v5, 16, v5
	s_cmp_lg_u32 s51, s4
	v_cndmask_b32_e32 v1, v1, v7, vcc
	v_cndmask_b32_e32 v0, v0, v6, vcc
	;; [unrolled: 1-line block ×5, first 2 shown]
	s_cbranch_scc1 .LBB120_1237
.LBB120_1238:
	s_waitcnt lgkmcnt(0)
	v_cmp_eq_f64_e32 vcc, 0, v[0:1]
	v_cmp_eq_f64_e64 s[0:1], 0, v[2:3]
	s_and_b64 s[0:1], vcc, s[0:1]
	s_and_saveexec_b64 s[4:5], s[0:1]
	s_xor_b64 s[0:1], exec, s[4:5]
; %bb.1239:
	v_cmp_ne_u32_e32 vcc, 0, v79
	s_nop 1
	v_cndmask_b32_e32 v79, 55, v79, vcc
; %bb.1240:
	s_andn2_saveexec_b64 s[0:1], s[0:1]
	s_cbranch_execz .LBB120_1246
; %bb.1241:
	v_cmp_ngt_f64_e64 s[4:5], |v[0:1]|, |v[2:3]|
	s_and_saveexec_b64 s[12:13], s[4:5]
	s_xor_b64 s[12:13], exec, s[12:13]
	s_cbranch_execz .LBB120_1243
; %bb.1242:
	v_div_scale_f64 v[6:7], s[4:5], v[2:3], v[2:3], v[0:1]
	v_rcp_f64_e32 v[8:9], v[6:7]
	v_div_scale_f64 v[10:11], vcc, v[0:1], v[2:3], v[0:1]
	v_fma_f64 v[12:13], -v[6:7], v[8:9], 1.0
	v_fmac_f64_e32 v[8:9], v[8:9], v[12:13]
	v_fma_f64 v[12:13], -v[6:7], v[8:9], 1.0
	v_fmac_f64_e32 v[8:9], v[8:9], v[12:13]
	v_mul_f64 v[12:13], v[10:11], v[8:9]
	v_fma_f64 v[6:7], -v[6:7], v[12:13], v[10:11]
	v_div_fmas_f64 v[6:7], v[6:7], v[8:9], v[12:13]
	v_div_fixup_f64 v[6:7], v[6:7], v[2:3], v[0:1]
	v_fmac_f64_e32 v[2:3], v[0:1], v[6:7]
	v_div_scale_f64 v[0:1], s[4:5], v[2:3], v[2:3], 1.0
	v_rcp_f64_e32 v[8:9], v[0:1]
	s_nop 0
	v_fma_f64 v[10:11], -v[0:1], v[8:9], 1.0
	v_fmac_f64_e32 v[8:9], v[8:9], v[10:11]
	v_fma_f64 v[10:11], -v[0:1], v[8:9], 1.0
	v_fmac_f64_e32 v[8:9], v[8:9], v[10:11]
	v_div_scale_f64 v[10:11], vcc, 1.0, v[2:3], 1.0
	v_mul_f64 v[12:13], v[10:11], v[8:9]
	v_fma_f64 v[0:1], -v[0:1], v[12:13], v[10:11]
	s_nop 1
	v_div_fmas_f64 v[0:1], v[0:1], v[8:9], v[12:13]
	v_div_fixup_f64 v[2:3], v[0:1], v[2:3], 1.0
	v_mul_f64 v[0:1], v[6:7], v[2:3]
	v_xor_b32_e32 v3, 0x80000000, v3
.LBB120_1243:
	s_andn2_saveexec_b64 s[12:13], s[12:13]
	s_cbranch_execz .LBB120_1245
; %bb.1244:
	v_div_scale_f64 v[6:7], s[4:5], v[0:1], v[0:1], v[2:3]
	v_rcp_f64_e32 v[8:9], v[6:7]
	v_div_scale_f64 v[10:11], vcc, v[2:3], v[0:1], v[2:3]
	v_fma_f64 v[12:13], -v[6:7], v[8:9], 1.0
	v_fmac_f64_e32 v[8:9], v[8:9], v[12:13]
	v_fma_f64 v[12:13], -v[6:7], v[8:9], 1.0
	v_fmac_f64_e32 v[8:9], v[8:9], v[12:13]
	v_mul_f64 v[12:13], v[10:11], v[8:9]
	v_fma_f64 v[6:7], -v[6:7], v[12:13], v[10:11]
	v_div_fmas_f64 v[6:7], v[6:7], v[8:9], v[12:13]
	v_div_fixup_f64 v[6:7], v[6:7], v[0:1], v[2:3]
	v_fmac_f64_e32 v[0:1], v[2:3], v[6:7]
	v_div_scale_f64 v[2:3], s[4:5], v[0:1], v[0:1], 1.0
	v_rcp_f64_e32 v[8:9], v[2:3]
	s_nop 0
	v_fma_f64 v[10:11], -v[2:3], v[8:9], 1.0
	v_fmac_f64_e32 v[8:9], v[8:9], v[10:11]
	v_fma_f64 v[10:11], -v[2:3], v[8:9], 1.0
	v_fmac_f64_e32 v[8:9], v[8:9], v[10:11]
	v_div_scale_f64 v[10:11], vcc, 1.0, v[0:1], 1.0
	v_mul_f64 v[12:13], v[10:11], v[8:9]
	v_fma_f64 v[2:3], -v[2:3], v[12:13], v[10:11]
	s_nop 1
	v_div_fmas_f64 v[2:3], v[2:3], v[8:9], v[12:13]
	v_div_fixup_f64 v[0:1], v[2:3], v[0:1], 1.0
	v_mul_f64 v[2:3], v[6:7], -v[0:1]
.LBB120_1245:
	s_or_b64 exec, exec, s[12:13]
.LBB120_1246:
	s_or_b64 exec, exec, s[0:1]
	v_cmp_ne_u32_e32 vcc, v81, v4
	s_and_saveexec_b64 s[0:1], vcc
	s_xor_b64 s[0:1], exec, s[0:1]
	s_cbranch_execz .LBB120_1252
; %bb.1247:
	v_cmp_eq_u32_e32 vcc, 54, v81
	s_and_saveexec_b64 s[12:13], vcc
	s_cbranch_execz .LBB120_1251
; %bb.1248:
	v_cmp_ne_u32_e32 vcc, 54, v4
	s_xor_b64 s[4:5], s[18:19], -1
	s_and_b64 s[4:5], s[4:5], vcc
	s_and_saveexec_b64 s[14:15], s[4:5]
	s_cbranch_execz .LBB120_1250
; %bb.1249:
	v_ashrrev_i32_e32 v5, 31, v4
	v_lshl_add_u64 v[6:7], v[4:5], 2, v[46:47]
	global_load_dword v5, v[6:7], off
	global_load_dword v8, v[46:47], off offset:216
	s_waitcnt vmcnt(1)
	global_store_dword v[46:47], v5, off offset:216
	s_waitcnt vmcnt(1)
	global_store_dword v[6:7], v8, off
.LBB120_1250:
	s_or_b64 exec, exec, s[14:15]
	v_mov_b32_e32 v81, v4
	v_mov_b32_e32 v80, v4
.LBB120_1251:
	s_or_b64 exec, exec, s[12:13]
.LBB120_1252:
	s_andn2_saveexec_b64 s[0:1], s[0:1]
	s_cbranch_execz .LBB120_1254
; %bb.1253:
	scratch_load_dwordx4 v[4:7], off, s25
	scratch_load_dwordx4 v[8:11], off, s24
	;; [unrolled: 1-line block ×6, first 2 shown]
	v_mov_b32_e32 v81, 54
	s_waitcnt vmcnt(5)
	ds_write2_b64 v78, v[4:5], v[6:7] offset0:110 offset1:111
	s_waitcnt vmcnt(4)
	ds_write2_b64 v78, v[8:9], v[10:11] offset0:112 offset1:113
	;; [unrolled: 2-line block ×6, first 2 shown]
.LBB120_1254:
	s_or_b64 exec, exec, s[0:1]
	v_cmp_lt_i32_e32 vcc, 54, v81
	s_waitcnt lgkmcnt(0)
	s_barrier
	s_and_saveexec_b64 s[0:1], vcc
	s_cbranch_execz .LBB120_1256
; %bb.1255:
	scratch_load_dwordx4 v[4:7], off, off offset:864
	scratch_load_dwordx4 v[8:11], off, off offset:880
	;; [unrolled: 1-line block ×7, first 2 shown]
	ds_read2_b64 v[32:35], v78 offset0:110 offset1:111
	ds_read2_b64 v[36:39], v78 offset0:112 offset1:113
	;; [unrolled: 1-line block ×6, first 2 shown]
	s_waitcnt vmcnt(6)
	v_mul_f64 v[64:65], v[0:1], v[6:7]
	v_mul_f64 v[62:63], v[2:3], v[6:7]
	v_fmac_f64_e32 v[64:65], v[2:3], v[4:5]
	v_fma_f64 v[62:63], v[0:1], v[4:5], -v[62:63]
	s_waitcnt lgkmcnt(5)
	v_mul_f64 v[0:1], v[34:35], v[64:65]
	v_mul_f64 v[2:3], v[32:33], v[64:65]
	scratch_store_dwordx4 off, v[62:65], off offset:864
	s_waitcnt lgkmcnt(4)
	v_mul_f64 v[4:5], v[38:39], v[64:65]
	v_mul_f64 v[6:7], v[36:37], v[64:65]
	s_waitcnt lgkmcnt(3)
	v_mul_f64 v[66:67], v[42:43], v[64:65]
	v_mul_f64 v[68:69], v[40:41], v[64:65]
	s_waitcnt lgkmcnt(2)
	v_mul_f64 v[70:71], v[52:53], v[64:65]
	v_mul_f64 v[72:73], v[50:51], v[64:65]
	s_waitcnt lgkmcnt(1)
	v_mul_f64 v[74:75], v[56:57], v[64:65]
	v_mul_f64 v[76:77], v[54:55], v[64:65]
	s_waitcnt lgkmcnt(0)
	v_mul_f64 v[82:83], v[60:61], v[64:65]
	v_mul_f64 v[64:65], v[58:59], v[64:65]
	v_fma_f64 v[0:1], v[32:33], v[62:63], -v[0:1]
	v_fmac_f64_e32 v[2:3], v[34:35], v[62:63]
	v_fma_f64 v[4:5], v[36:37], v[62:63], -v[4:5]
	v_fmac_f64_e32 v[6:7], v[38:39], v[62:63]
	;; [unrolled: 2-line block ×6, first 2 shown]
	s_waitcnt vmcnt(6)
	v_add_f64 v[0:1], v[8:9], -v[0:1]
	v_add_f64 v[2:3], v[10:11], -v[2:3]
	s_waitcnt vmcnt(5)
	v_add_f64 v[4:5], v[12:13], -v[4:5]
	v_add_f64 v[6:7], v[14:15], -v[6:7]
	s_waitcnt vmcnt(4)
	v_add_f64 v[8:9], v[16:17], -v[32:33]
	v_add_f64 v[10:11], v[18:19], -v[68:69]
	s_waitcnt vmcnt(3)
	v_add_f64 v[12:13], v[20:21], -v[34:35]
	v_add_f64 v[14:15], v[22:23], -v[72:73]
	s_waitcnt vmcnt(2)
	v_add_f64 v[16:17], v[24:25], -v[36:37]
	v_add_f64 v[18:19], v[26:27], -v[76:77]
	s_waitcnt vmcnt(1)
	v_add_f64 v[20:21], v[28:29], -v[38:39]
	v_add_f64 v[22:23], v[30:31], -v[64:65]
	scratch_store_dwordx4 off, v[0:3], off offset:880
	scratch_store_dwordx4 off, v[4:7], off offset:896
	;; [unrolled: 1-line block ×6, first 2 shown]
.LBB120_1256:
	s_or_b64 exec, exec, s[0:1]
	s_barrier
	scratch_load_dwordx4 v[0:3], off, s25
	v_lshl_add_u32 v4, v81, 4, v78
	s_cmp_lt_i32 s51, 57
	s_waitcnt vmcnt(0)
	ds_write2_b64 v4, v[0:1], v[2:3] offset1:1
	s_waitcnt lgkmcnt(0)
	s_barrier
	ds_read2_b64 v[0:3], v78 offset0:110 offset1:111
	v_mov_b32_e32 v4, 55
	s_cbranch_scc1 .LBB120_1259
; %bb.1257:
	v_add_u32_e32 v5, 0x380, v78
	s_mov_b32 s4, 56
	v_mov_b32_e32 v4, 55
.LBB120_1258:                           ; =>This Inner Loop Header: Depth=1
	ds_read2_b64 v[6:9], v5 offset1:1
	s_waitcnt lgkmcnt(1)
	v_xor_b32_e32 v11, 0x80000000, v1
	v_xor_b32_e32 v13, 0x80000000, v3
	v_cmp_gt_f64_e32 vcc, 0, v[2:3]
	v_cmp_gt_f64_e64 s[0:1], 0, v[0:1]
	v_mov_b32_e32 v10, v0
	v_mov_b32_e32 v12, v2
	v_cndmask_b32_e64 v11, v1, v11, s[0:1]
	v_cndmask_b32_e32 v13, v3, v13, vcc
	v_add_f64 v[10:11], v[10:11], v[12:13]
	s_waitcnt lgkmcnt(0)
	v_xor_b32_e32 v13, 0x80000000, v7
	v_xor_b32_e32 v15, 0x80000000, v9
	v_cmp_gt_f64_e32 vcc, 0, v[8:9]
	v_cmp_gt_f64_e64 s[0:1], 0, v[6:7]
	v_mov_b32_e32 v12, v6
	v_mov_b32_e32 v14, v8
	v_cndmask_b32_e64 v13, v7, v13, s[0:1]
	v_cndmask_b32_e32 v15, v9, v15, vcc
	v_add_f64 v[12:13], v[12:13], v[14:15]
	v_mov_b32_e32 v16, s4
	s_add_i32 s4, s4, 1
	v_cmp_lt_f64_e32 vcc, v[10:11], v[12:13]
	v_add_u32_e32 v5, 16, v5
	s_cmp_lg_u32 s51, s4
	v_cndmask_b32_e32 v1, v1, v7, vcc
	v_cndmask_b32_e32 v0, v0, v6, vcc
	v_cndmask_b32_e32 v3, v3, v9, vcc
	v_cndmask_b32_e32 v2, v2, v8, vcc
	v_cndmask_b32_e32 v4, v4, v16, vcc
	s_cbranch_scc1 .LBB120_1258
.LBB120_1259:
	s_waitcnt lgkmcnt(0)
	v_cmp_eq_f64_e32 vcc, 0, v[0:1]
	v_cmp_eq_f64_e64 s[0:1], 0, v[2:3]
	s_and_b64 s[0:1], vcc, s[0:1]
	s_and_saveexec_b64 s[4:5], s[0:1]
	s_xor_b64 s[0:1], exec, s[4:5]
; %bb.1260:
	v_cmp_ne_u32_e32 vcc, 0, v79
	s_nop 1
	v_cndmask_b32_e32 v79, 56, v79, vcc
; %bb.1261:
	s_andn2_saveexec_b64 s[0:1], s[0:1]
	s_cbranch_execz .LBB120_1267
; %bb.1262:
	v_cmp_ngt_f64_e64 s[4:5], |v[0:1]|, |v[2:3]|
	s_and_saveexec_b64 s[12:13], s[4:5]
	s_xor_b64 s[12:13], exec, s[12:13]
	s_cbranch_execz .LBB120_1264
; %bb.1263:
	v_div_scale_f64 v[6:7], s[4:5], v[2:3], v[2:3], v[0:1]
	v_rcp_f64_e32 v[8:9], v[6:7]
	v_div_scale_f64 v[10:11], vcc, v[0:1], v[2:3], v[0:1]
	v_fma_f64 v[12:13], -v[6:7], v[8:9], 1.0
	v_fmac_f64_e32 v[8:9], v[8:9], v[12:13]
	v_fma_f64 v[12:13], -v[6:7], v[8:9], 1.0
	v_fmac_f64_e32 v[8:9], v[8:9], v[12:13]
	v_mul_f64 v[12:13], v[10:11], v[8:9]
	v_fma_f64 v[6:7], -v[6:7], v[12:13], v[10:11]
	v_div_fmas_f64 v[6:7], v[6:7], v[8:9], v[12:13]
	v_div_fixup_f64 v[6:7], v[6:7], v[2:3], v[0:1]
	v_fmac_f64_e32 v[2:3], v[0:1], v[6:7]
	v_div_scale_f64 v[0:1], s[4:5], v[2:3], v[2:3], 1.0
	v_rcp_f64_e32 v[8:9], v[0:1]
	s_nop 0
	v_fma_f64 v[10:11], -v[0:1], v[8:9], 1.0
	v_fmac_f64_e32 v[8:9], v[8:9], v[10:11]
	v_fma_f64 v[10:11], -v[0:1], v[8:9], 1.0
	v_fmac_f64_e32 v[8:9], v[8:9], v[10:11]
	v_div_scale_f64 v[10:11], vcc, 1.0, v[2:3], 1.0
	v_mul_f64 v[12:13], v[10:11], v[8:9]
	v_fma_f64 v[0:1], -v[0:1], v[12:13], v[10:11]
	s_nop 1
	v_div_fmas_f64 v[0:1], v[0:1], v[8:9], v[12:13]
	v_div_fixup_f64 v[2:3], v[0:1], v[2:3], 1.0
	v_mul_f64 v[0:1], v[6:7], v[2:3]
	v_xor_b32_e32 v3, 0x80000000, v3
.LBB120_1264:
	s_andn2_saveexec_b64 s[12:13], s[12:13]
	s_cbranch_execz .LBB120_1266
; %bb.1265:
	v_div_scale_f64 v[6:7], s[4:5], v[0:1], v[0:1], v[2:3]
	v_rcp_f64_e32 v[8:9], v[6:7]
	v_div_scale_f64 v[10:11], vcc, v[2:3], v[0:1], v[2:3]
	v_fma_f64 v[12:13], -v[6:7], v[8:9], 1.0
	v_fmac_f64_e32 v[8:9], v[8:9], v[12:13]
	v_fma_f64 v[12:13], -v[6:7], v[8:9], 1.0
	v_fmac_f64_e32 v[8:9], v[8:9], v[12:13]
	v_mul_f64 v[12:13], v[10:11], v[8:9]
	v_fma_f64 v[6:7], -v[6:7], v[12:13], v[10:11]
	v_div_fmas_f64 v[6:7], v[6:7], v[8:9], v[12:13]
	v_div_fixup_f64 v[6:7], v[6:7], v[0:1], v[2:3]
	v_fmac_f64_e32 v[0:1], v[2:3], v[6:7]
	v_div_scale_f64 v[2:3], s[4:5], v[0:1], v[0:1], 1.0
	v_rcp_f64_e32 v[8:9], v[2:3]
	s_nop 0
	v_fma_f64 v[10:11], -v[2:3], v[8:9], 1.0
	v_fmac_f64_e32 v[8:9], v[8:9], v[10:11]
	v_fma_f64 v[10:11], -v[2:3], v[8:9], 1.0
	v_fmac_f64_e32 v[8:9], v[8:9], v[10:11]
	v_div_scale_f64 v[10:11], vcc, 1.0, v[0:1], 1.0
	v_mul_f64 v[12:13], v[10:11], v[8:9]
	v_fma_f64 v[2:3], -v[2:3], v[12:13], v[10:11]
	s_nop 1
	v_div_fmas_f64 v[2:3], v[2:3], v[8:9], v[12:13]
	v_div_fixup_f64 v[0:1], v[2:3], v[0:1], 1.0
	v_mul_f64 v[2:3], v[6:7], -v[0:1]
.LBB120_1266:
	s_or_b64 exec, exec, s[12:13]
.LBB120_1267:
	s_or_b64 exec, exec, s[0:1]
	v_cmp_ne_u32_e32 vcc, v81, v4
	s_and_saveexec_b64 s[0:1], vcc
	s_xor_b64 s[0:1], exec, s[0:1]
	s_cbranch_execz .LBB120_1273
; %bb.1268:
	v_cmp_eq_u32_e32 vcc, 55, v81
	s_and_saveexec_b64 s[12:13], vcc
	s_cbranch_execz .LBB120_1272
; %bb.1269:
	v_cmp_ne_u32_e32 vcc, 55, v4
	s_xor_b64 s[4:5], s[18:19], -1
	s_and_b64 s[4:5], s[4:5], vcc
	s_and_saveexec_b64 s[14:15], s[4:5]
	s_cbranch_execz .LBB120_1271
; %bb.1270:
	v_ashrrev_i32_e32 v5, 31, v4
	v_lshl_add_u64 v[6:7], v[4:5], 2, v[46:47]
	global_load_dword v5, v[6:7], off
	global_load_dword v8, v[46:47], off offset:220
	s_waitcnt vmcnt(1)
	global_store_dword v[46:47], v5, off offset:220
	s_waitcnt vmcnt(1)
	global_store_dword v[6:7], v8, off
.LBB120_1271:
	s_or_b64 exec, exec, s[14:15]
	v_mov_b32_e32 v81, v4
	v_mov_b32_e32 v80, v4
.LBB120_1272:
	s_or_b64 exec, exec, s[12:13]
.LBB120_1273:
	s_andn2_saveexec_b64 s[0:1], s[0:1]
	s_cbranch_execz .LBB120_1275
; %bb.1274:
	scratch_load_dwordx4 v[4:7], off, s24
	scratch_load_dwordx4 v[8:11], off, s23
	;; [unrolled: 1-line block ×5, first 2 shown]
	v_mov_b32_e32 v81, 55
	s_waitcnt vmcnt(4)
	ds_write2_b64 v78, v[4:5], v[6:7] offset0:112 offset1:113
	s_waitcnt vmcnt(3)
	ds_write2_b64 v78, v[8:9], v[10:11] offset0:114 offset1:115
	;; [unrolled: 2-line block ×5, first 2 shown]
.LBB120_1275:
	s_or_b64 exec, exec, s[0:1]
	v_cmp_lt_i32_e32 vcc, 55, v81
	s_waitcnt lgkmcnt(0)
	s_barrier
	s_and_saveexec_b64 s[0:1], vcc
	s_cbranch_execz .LBB120_1277
; %bb.1276:
	scratch_load_dwordx4 v[4:7], off, off offset:880
	scratch_load_dwordx4 v[8:11], off, off offset:896
	;; [unrolled: 1-line block ×6, first 2 shown]
	ds_read2_b64 v[28:31], v78 offset0:112 offset1:113
	ds_read2_b64 v[32:35], v78 offset0:114 offset1:115
	;; [unrolled: 1-line block ×5, first 2 shown]
	s_waitcnt vmcnt(5)
	v_mul_f64 v[56:57], v[0:1], v[6:7]
	v_mul_f64 v[54:55], v[2:3], v[6:7]
	v_fmac_f64_e32 v[56:57], v[2:3], v[4:5]
	v_fma_f64 v[54:55], v[0:1], v[4:5], -v[54:55]
	s_waitcnt lgkmcnt(4)
	v_mul_f64 v[0:1], v[30:31], v[56:57]
	v_mul_f64 v[2:3], v[28:29], v[56:57]
	scratch_store_dwordx4 off, v[54:57], off offset:880
	s_waitcnt lgkmcnt(3)
	v_mul_f64 v[4:5], v[34:35], v[56:57]
	v_mul_f64 v[6:7], v[32:33], v[56:57]
	s_waitcnt lgkmcnt(2)
	v_mul_f64 v[58:59], v[38:39], v[56:57]
	v_mul_f64 v[60:61], v[36:37], v[56:57]
	;; [unrolled: 3-line block ×4, first 2 shown]
	v_fma_f64 v[0:1], v[28:29], v[54:55], -v[0:1]
	v_fmac_f64_e32 v[2:3], v[30:31], v[54:55]
	v_fma_f64 v[4:5], v[32:33], v[54:55], -v[4:5]
	v_fmac_f64_e32 v[6:7], v[34:35], v[54:55]
	;; [unrolled: 2-line block ×5, first 2 shown]
	s_waitcnt vmcnt(5)
	v_add_f64 v[0:1], v[8:9], -v[0:1]
	v_add_f64 v[2:3], v[10:11], -v[2:3]
	s_waitcnt vmcnt(4)
	v_add_f64 v[4:5], v[12:13], -v[4:5]
	v_add_f64 v[6:7], v[14:15], -v[6:7]
	;; [unrolled: 3-line block ×5, first 2 shown]
	scratch_store_dwordx4 off, v[0:3], off offset:896
	scratch_store_dwordx4 off, v[4:7], off offset:912
	;; [unrolled: 1-line block ×5, first 2 shown]
.LBB120_1277:
	s_or_b64 exec, exec, s[0:1]
	s_barrier
	scratch_load_dwordx4 v[0:3], off, s24
	v_lshl_add_u32 v4, v81, 4, v78
	s_cmp_lt_i32 s51, 58
	s_waitcnt vmcnt(0)
	ds_write2_b64 v4, v[0:1], v[2:3] offset1:1
	s_waitcnt lgkmcnt(0)
	s_barrier
	ds_read2_b64 v[0:3], v78 offset0:112 offset1:113
	v_mov_b32_e32 v4, 56
	s_cbranch_scc1 .LBB120_1280
; %bb.1278:
	v_add_u32_e32 v5, 0x390, v78
	s_mov_b32 s4, 57
	v_mov_b32_e32 v4, 56
.LBB120_1279:                           ; =>This Inner Loop Header: Depth=1
	ds_read2_b64 v[6:9], v5 offset1:1
	s_waitcnt lgkmcnt(1)
	v_xor_b32_e32 v11, 0x80000000, v1
	v_xor_b32_e32 v13, 0x80000000, v3
	v_cmp_gt_f64_e32 vcc, 0, v[2:3]
	v_cmp_gt_f64_e64 s[0:1], 0, v[0:1]
	v_mov_b32_e32 v10, v0
	v_mov_b32_e32 v12, v2
	v_cndmask_b32_e64 v11, v1, v11, s[0:1]
	v_cndmask_b32_e32 v13, v3, v13, vcc
	v_add_f64 v[10:11], v[10:11], v[12:13]
	s_waitcnt lgkmcnt(0)
	v_xor_b32_e32 v13, 0x80000000, v7
	v_xor_b32_e32 v15, 0x80000000, v9
	v_cmp_gt_f64_e32 vcc, 0, v[8:9]
	v_cmp_gt_f64_e64 s[0:1], 0, v[6:7]
	v_mov_b32_e32 v12, v6
	v_mov_b32_e32 v14, v8
	v_cndmask_b32_e64 v13, v7, v13, s[0:1]
	v_cndmask_b32_e32 v15, v9, v15, vcc
	v_add_f64 v[12:13], v[12:13], v[14:15]
	v_mov_b32_e32 v16, s4
	s_add_i32 s4, s4, 1
	v_cmp_lt_f64_e32 vcc, v[10:11], v[12:13]
	v_add_u32_e32 v5, 16, v5
	s_cmp_lg_u32 s51, s4
	v_cndmask_b32_e32 v1, v1, v7, vcc
	v_cndmask_b32_e32 v0, v0, v6, vcc
	;; [unrolled: 1-line block ×5, first 2 shown]
	s_cbranch_scc1 .LBB120_1279
.LBB120_1280:
	s_waitcnt lgkmcnt(0)
	v_cmp_eq_f64_e32 vcc, 0, v[0:1]
	v_cmp_eq_f64_e64 s[0:1], 0, v[2:3]
	s_and_b64 s[0:1], vcc, s[0:1]
	s_and_saveexec_b64 s[4:5], s[0:1]
	s_xor_b64 s[0:1], exec, s[4:5]
; %bb.1281:
	v_cmp_ne_u32_e32 vcc, 0, v79
	s_nop 1
	v_cndmask_b32_e32 v79, 57, v79, vcc
; %bb.1282:
	s_andn2_saveexec_b64 s[0:1], s[0:1]
	s_cbranch_execz .LBB120_1288
; %bb.1283:
	v_cmp_ngt_f64_e64 s[4:5], |v[0:1]|, |v[2:3]|
	s_and_saveexec_b64 s[12:13], s[4:5]
	s_xor_b64 s[12:13], exec, s[12:13]
	s_cbranch_execz .LBB120_1285
; %bb.1284:
	v_div_scale_f64 v[6:7], s[4:5], v[2:3], v[2:3], v[0:1]
	v_rcp_f64_e32 v[8:9], v[6:7]
	v_div_scale_f64 v[10:11], vcc, v[0:1], v[2:3], v[0:1]
	v_fma_f64 v[12:13], -v[6:7], v[8:9], 1.0
	v_fmac_f64_e32 v[8:9], v[8:9], v[12:13]
	v_fma_f64 v[12:13], -v[6:7], v[8:9], 1.0
	v_fmac_f64_e32 v[8:9], v[8:9], v[12:13]
	v_mul_f64 v[12:13], v[10:11], v[8:9]
	v_fma_f64 v[6:7], -v[6:7], v[12:13], v[10:11]
	v_div_fmas_f64 v[6:7], v[6:7], v[8:9], v[12:13]
	v_div_fixup_f64 v[6:7], v[6:7], v[2:3], v[0:1]
	v_fmac_f64_e32 v[2:3], v[0:1], v[6:7]
	v_div_scale_f64 v[0:1], s[4:5], v[2:3], v[2:3], 1.0
	v_rcp_f64_e32 v[8:9], v[0:1]
	s_nop 0
	v_fma_f64 v[10:11], -v[0:1], v[8:9], 1.0
	v_fmac_f64_e32 v[8:9], v[8:9], v[10:11]
	v_fma_f64 v[10:11], -v[0:1], v[8:9], 1.0
	v_fmac_f64_e32 v[8:9], v[8:9], v[10:11]
	v_div_scale_f64 v[10:11], vcc, 1.0, v[2:3], 1.0
	v_mul_f64 v[12:13], v[10:11], v[8:9]
	v_fma_f64 v[0:1], -v[0:1], v[12:13], v[10:11]
	s_nop 1
	v_div_fmas_f64 v[0:1], v[0:1], v[8:9], v[12:13]
	v_div_fixup_f64 v[2:3], v[0:1], v[2:3], 1.0
	v_mul_f64 v[0:1], v[6:7], v[2:3]
	v_xor_b32_e32 v3, 0x80000000, v3
.LBB120_1285:
	s_andn2_saveexec_b64 s[12:13], s[12:13]
	s_cbranch_execz .LBB120_1287
; %bb.1286:
	v_div_scale_f64 v[6:7], s[4:5], v[0:1], v[0:1], v[2:3]
	v_rcp_f64_e32 v[8:9], v[6:7]
	v_div_scale_f64 v[10:11], vcc, v[2:3], v[0:1], v[2:3]
	v_fma_f64 v[12:13], -v[6:7], v[8:9], 1.0
	v_fmac_f64_e32 v[8:9], v[8:9], v[12:13]
	v_fma_f64 v[12:13], -v[6:7], v[8:9], 1.0
	v_fmac_f64_e32 v[8:9], v[8:9], v[12:13]
	v_mul_f64 v[12:13], v[10:11], v[8:9]
	v_fma_f64 v[6:7], -v[6:7], v[12:13], v[10:11]
	v_div_fmas_f64 v[6:7], v[6:7], v[8:9], v[12:13]
	v_div_fixup_f64 v[6:7], v[6:7], v[0:1], v[2:3]
	v_fmac_f64_e32 v[0:1], v[2:3], v[6:7]
	v_div_scale_f64 v[2:3], s[4:5], v[0:1], v[0:1], 1.0
	v_rcp_f64_e32 v[8:9], v[2:3]
	s_nop 0
	v_fma_f64 v[10:11], -v[2:3], v[8:9], 1.0
	v_fmac_f64_e32 v[8:9], v[8:9], v[10:11]
	v_fma_f64 v[10:11], -v[2:3], v[8:9], 1.0
	v_fmac_f64_e32 v[8:9], v[8:9], v[10:11]
	v_div_scale_f64 v[10:11], vcc, 1.0, v[0:1], 1.0
	v_mul_f64 v[12:13], v[10:11], v[8:9]
	v_fma_f64 v[2:3], -v[2:3], v[12:13], v[10:11]
	s_nop 1
	v_div_fmas_f64 v[2:3], v[2:3], v[8:9], v[12:13]
	v_div_fixup_f64 v[0:1], v[2:3], v[0:1], 1.0
	v_mul_f64 v[2:3], v[6:7], -v[0:1]
.LBB120_1287:
	s_or_b64 exec, exec, s[12:13]
.LBB120_1288:
	s_or_b64 exec, exec, s[0:1]
	v_cmp_ne_u32_e32 vcc, v81, v4
	s_and_saveexec_b64 s[0:1], vcc
	s_xor_b64 s[0:1], exec, s[0:1]
	s_cbranch_execz .LBB120_1294
; %bb.1289:
	v_cmp_eq_u32_e32 vcc, 56, v81
	s_and_saveexec_b64 s[12:13], vcc
	s_cbranch_execz .LBB120_1293
; %bb.1290:
	v_cmp_ne_u32_e32 vcc, 56, v4
	s_xor_b64 s[4:5], s[18:19], -1
	s_and_b64 s[4:5], s[4:5], vcc
	s_and_saveexec_b64 s[14:15], s[4:5]
	s_cbranch_execz .LBB120_1292
; %bb.1291:
	v_ashrrev_i32_e32 v5, 31, v4
	v_lshl_add_u64 v[6:7], v[4:5], 2, v[46:47]
	global_load_dword v5, v[6:7], off
	global_load_dword v8, v[46:47], off offset:224
	s_waitcnt vmcnt(1)
	global_store_dword v[46:47], v5, off offset:224
	s_waitcnt vmcnt(1)
	global_store_dword v[6:7], v8, off
.LBB120_1292:
	s_or_b64 exec, exec, s[14:15]
	v_mov_b32_e32 v81, v4
	v_mov_b32_e32 v80, v4
.LBB120_1293:
	s_or_b64 exec, exec, s[12:13]
.LBB120_1294:
	s_andn2_saveexec_b64 s[0:1], s[0:1]
	s_cbranch_execz .LBB120_1296
; %bb.1295:
	scratch_load_dwordx4 v[4:7], off, s23
	scratch_load_dwordx4 v[8:11], off, s22
	;; [unrolled: 1-line block ×4, first 2 shown]
	v_mov_b32_e32 v81, 56
	s_waitcnt vmcnt(3)
	ds_write2_b64 v78, v[4:5], v[6:7] offset0:114 offset1:115
	s_waitcnt vmcnt(2)
	ds_write2_b64 v78, v[8:9], v[10:11] offset0:116 offset1:117
	;; [unrolled: 2-line block ×4, first 2 shown]
.LBB120_1296:
	s_or_b64 exec, exec, s[0:1]
	v_cmp_lt_i32_e32 vcc, 56, v81
	s_waitcnt lgkmcnt(0)
	s_barrier
	s_and_saveexec_b64 s[0:1], vcc
	s_cbranch_execz .LBB120_1298
; %bb.1297:
	scratch_load_dwordx4 v[4:7], off, off offset:896
	scratch_load_dwordx4 v[8:11], off, off offset:912
	;; [unrolled: 1-line block ×5, first 2 shown]
	ds_read2_b64 v[24:27], v78 offset0:114 offset1:115
	ds_read2_b64 v[28:31], v78 offset0:116 offset1:117
	;; [unrolled: 1-line block ×4, first 2 shown]
	s_waitcnt vmcnt(4)
	v_mul_f64 v[42:43], v[0:1], v[6:7]
	v_mul_f64 v[40:41], v[2:3], v[6:7]
	v_fmac_f64_e32 v[42:43], v[2:3], v[4:5]
	v_fma_f64 v[40:41], v[0:1], v[4:5], -v[40:41]
	s_waitcnt lgkmcnt(3)
	v_mul_f64 v[0:1], v[26:27], v[42:43]
	v_mul_f64 v[2:3], v[24:25], v[42:43]
	scratch_store_dwordx4 off, v[40:43], off offset:896
	s_waitcnt lgkmcnt(2)
	v_mul_f64 v[4:5], v[30:31], v[42:43]
	v_mul_f64 v[6:7], v[28:29], v[42:43]
	s_waitcnt lgkmcnt(1)
	v_mul_f64 v[50:51], v[34:35], v[42:43]
	v_mul_f64 v[52:53], v[32:33], v[42:43]
	;; [unrolled: 3-line block ×3, first 2 shown]
	v_fma_f64 v[0:1], v[24:25], v[40:41], -v[0:1]
	v_fmac_f64_e32 v[2:3], v[26:27], v[40:41]
	v_fma_f64 v[4:5], v[28:29], v[40:41], -v[4:5]
	v_fmac_f64_e32 v[6:7], v[30:31], v[40:41]
	;; [unrolled: 2-line block ×4, first 2 shown]
	s_waitcnt vmcnt(4)
	v_add_f64 v[0:1], v[8:9], -v[0:1]
	v_add_f64 v[2:3], v[10:11], -v[2:3]
	s_waitcnt vmcnt(3)
	v_add_f64 v[4:5], v[12:13], -v[4:5]
	v_add_f64 v[6:7], v[14:15], -v[6:7]
	;; [unrolled: 3-line block ×4, first 2 shown]
	scratch_store_dwordx4 off, v[0:3], off offset:912
	scratch_store_dwordx4 off, v[4:7], off offset:928
	;; [unrolled: 1-line block ×4, first 2 shown]
.LBB120_1298:
	s_or_b64 exec, exec, s[0:1]
	s_barrier
	scratch_load_dwordx4 v[0:3], off, s23
	v_lshl_add_u32 v4, v81, 4, v78
	s_cmp_lt_i32 s51, 59
	s_waitcnt vmcnt(0)
	ds_write2_b64 v4, v[0:1], v[2:3] offset1:1
	s_waitcnt lgkmcnt(0)
	s_barrier
	ds_read2_b64 v[0:3], v78 offset0:114 offset1:115
	v_mov_b32_e32 v4, 57
	s_cbranch_scc1 .LBB120_1301
; %bb.1299:
	v_add_u32_e32 v5, 0x3a0, v78
	s_mov_b32 s4, 58
	v_mov_b32_e32 v4, 57
.LBB120_1300:                           ; =>This Inner Loop Header: Depth=1
	ds_read2_b64 v[6:9], v5 offset1:1
	s_waitcnt lgkmcnt(1)
	v_xor_b32_e32 v11, 0x80000000, v1
	v_xor_b32_e32 v13, 0x80000000, v3
	v_cmp_gt_f64_e32 vcc, 0, v[2:3]
	v_cmp_gt_f64_e64 s[0:1], 0, v[0:1]
	v_mov_b32_e32 v10, v0
	v_mov_b32_e32 v12, v2
	v_cndmask_b32_e64 v11, v1, v11, s[0:1]
	v_cndmask_b32_e32 v13, v3, v13, vcc
	v_add_f64 v[10:11], v[10:11], v[12:13]
	s_waitcnt lgkmcnt(0)
	v_xor_b32_e32 v13, 0x80000000, v7
	v_xor_b32_e32 v15, 0x80000000, v9
	v_cmp_gt_f64_e32 vcc, 0, v[8:9]
	v_cmp_gt_f64_e64 s[0:1], 0, v[6:7]
	v_mov_b32_e32 v12, v6
	v_mov_b32_e32 v14, v8
	v_cndmask_b32_e64 v13, v7, v13, s[0:1]
	v_cndmask_b32_e32 v15, v9, v15, vcc
	v_add_f64 v[12:13], v[12:13], v[14:15]
	v_mov_b32_e32 v16, s4
	s_add_i32 s4, s4, 1
	v_cmp_lt_f64_e32 vcc, v[10:11], v[12:13]
	v_add_u32_e32 v5, 16, v5
	s_cmp_lg_u32 s51, s4
	v_cndmask_b32_e32 v1, v1, v7, vcc
	v_cndmask_b32_e32 v0, v0, v6, vcc
	;; [unrolled: 1-line block ×5, first 2 shown]
	s_cbranch_scc1 .LBB120_1300
.LBB120_1301:
	s_waitcnt lgkmcnt(0)
	v_cmp_eq_f64_e32 vcc, 0, v[0:1]
	v_cmp_eq_f64_e64 s[0:1], 0, v[2:3]
	s_and_b64 s[0:1], vcc, s[0:1]
	s_and_saveexec_b64 s[4:5], s[0:1]
	s_xor_b64 s[0:1], exec, s[4:5]
; %bb.1302:
	v_cmp_ne_u32_e32 vcc, 0, v79
	s_nop 1
	v_cndmask_b32_e32 v79, 58, v79, vcc
; %bb.1303:
	s_andn2_saveexec_b64 s[0:1], s[0:1]
	s_cbranch_execz .LBB120_1309
; %bb.1304:
	v_cmp_ngt_f64_e64 s[4:5], |v[0:1]|, |v[2:3]|
	s_and_saveexec_b64 s[12:13], s[4:5]
	s_xor_b64 s[12:13], exec, s[12:13]
	s_cbranch_execz .LBB120_1306
; %bb.1305:
	v_div_scale_f64 v[6:7], s[4:5], v[2:3], v[2:3], v[0:1]
	v_rcp_f64_e32 v[8:9], v[6:7]
	v_div_scale_f64 v[10:11], vcc, v[0:1], v[2:3], v[0:1]
	v_fma_f64 v[12:13], -v[6:7], v[8:9], 1.0
	v_fmac_f64_e32 v[8:9], v[8:9], v[12:13]
	v_fma_f64 v[12:13], -v[6:7], v[8:9], 1.0
	v_fmac_f64_e32 v[8:9], v[8:9], v[12:13]
	v_mul_f64 v[12:13], v[10:11], v[8:9]
	v_fma_f64 v[6:7], -v[6:7], v[12:13], v[10:11]
	v_div_fmas_f64 v[6:7], v[6:7], v[8:9], v[12:13]
	v_div_fixup_f64 v[6:7], v[6:7], v[2:3], v[0:1]
	v_fmac_f64_e32 v[2:3], v[0:1], v[6:7]
	v_div_scale_f64 v[0:1], s[4:5], v[2:3], v[2:3], 1.0
	v_rcp_f64_e32 v[8:9], v[0:1]
	s_nop 0
	v_fma_f64 v[10:11], -v[0:1], v[8:9], 1.0
	v_fmac_f64_e32 v[8:9], v[8:9], v[10:11]
	v_fma_f64 v[10:11], -v[0:1], v[8:9], 1.0
	v_fmac_f64_e32 v[8:9], v[8:9], v[10:11]
	v_div_scale_f64 v[10:11], vcc, 1.0, v[2:3], 1.0
	v_mul_f64 v[12:13], v[10:11], v[8:9]
	v_fma_f64 v[0:1], -v[0:1], v[12:13], v[10:11]
	s_nop 1
	v_div_fmas_f64 v[0:1], v[0:1], v[8:9], v[12:13]
	v_div_fixup_f64 v[2:3], v[0:1], v[2:3], 1.0
	v_mul_f64 v[0:1], v[6:7], v[2:3]
	v_xor_b32_e32 v3, 0x80000000, v3
.LBB120_1306:
	s_andn2_saveexec_b64 s[12:13], s[12:13]
	s_cbranch_execz .LBB120_1308
; %bb.1307:
	v_div_scale_f64 v[6:7], s[4:5], v[0:1], v[0:1], v[2:3]
	v_rcp_f64_e32 v[8:9], v[6:7]
	v_div_scale_f64 v[10:11], vcc, v[2:3], v[0:1], v[2:3]
	v_fma_f64 v[12:13], -v[6:7], v[8:9], 1.0
	v_fmac_f64_e32 v[8:9], v[8:9], v[12:13]
	v_fma_f64 v[12:13], -v[6:7], v[8:9], 1.0
	v_fmac_f64_e32 v[8:9], v[8:9], v[12:13]
	v_mul_f64 v[12:13], v[10:11], v[8:9]
	v_fma_f64 v[6:7], -v[6:7], v[12:13], v[10:11]
	v_div_fmas_f64 v[6:7], v[6:7], v[8:9], v[12:13]
	v_div_fixup_f64 v[6:7], v[6:7], v[0:1], v[2:3]
	v_fmac_f64_e32 v[0:1], v[2:3], v[6:7]
	v_div_scale_f64 v[2:3], s[4:5], v[0:1], v[0:1], 1.0
	v_rcp_f64_e32 v[8:9], v[2:3]
	s_nop 0
	v_fma_f64 v[10:11], -v[2:3], v[8:9], 1.0
	v_fmac_f64_e32 v[8:9], v[8:9], v[10:11]
	v_fma_f64 v[10:11], -v[2:3], v[8:9], 1.0
	v_fmac_f64_e32 v[8:9], v[8:9], v[10:11]
	v_div_scale_f64 v[10:11], vcc, 1.0, v[0:1], 1.0
	v_mul_f64 v[12:13], v[10:11], v[8:9]
	v_fma_f64 v[2:3], -v[2:3], v[12:13], v[10:11]
	s_nop 1
	v_div_fmas_f64 v[2:3], v[2:3], v[8:9], v[12:13]
	v_div_fixup_f64 v[0:1], v[2:3], v[0:1], 1.0
	v_mul_f64 v[2:3], v[6:7], -v[0:1]
.LBB120_1308:
	s_or_b64 exec, exec, s[12:13]
.LBB120_1309:
	s_or_b64 exec, exec, s[0:1]
	v_cmp_ne_u32_e32 vcc, v81, v4
	s_and_saveexec_b64 s[0:1], vcc
	s_xor_b64 s[0:1], exec, s[0:1]
	s_cbranch_execz .LBB120_1315
; %bb.1310:
	v_cmp_eq_u32_e32 vcc, 57, v81
	s_and_saveexec_b64 s[12:13], vcc
	s_cbranch_execz .LBB120_1314
; %bb.1311:
	v_cmp_ne_u32_e32 vcc, 57, v4
	s_xor_b64 s[4:5], s[18:19], -1
	s_and_b64 s[4:5], s[4:5], vcc
	s_and_saveexec_b64 s[14:15], s[4:5]
	s_cbranch_execz .LBB120_1313
; %bb.1312:
	v_ashrrev_i32_e32 v5, 31, v4
	v_lshl_add_u64 v[6:7], v[4:5], 2, v[46:47]
	global_load_dword v5, v[6:7], off
	global_load_dword v8, v[46:47], off offset:228
	s_waitcnt vmcnt(1)
	global_store_dword v[46:47], v5, off offset:228
	s_waitcnt vmcnt(1)
	global_store_dword v[6:7], v8, off
.LBB120_1313:
	s_or_b64 exec, exec, s[14:15]
	v_mov_b32_e32 v81, v4
	v_mov_b32_e32 v80, v4
.LBB120_1314:
	s_or_b64 exec, exec, s[12:13]
.LBB120_1315:
	s_andn2_saveexec_b64 s[0:1], s[0:1]
	s_cbranch_execz .LBB120_1317
; %bb.1316:
	scratch_load_dwordx4 v[4:7], off, s22
	scratch_load_dwordx4 v[8:11], off, s21
	;; [unrolled: 1-line block ×3, first 2 shown]
	v_mov_b32_e32 v81, 57
	s_waitcnt vmcnt(2)
	ds_write2_b64 v78, v[4:5], v[6:7] offset0:116 offset1:117
	s_waitcnt vmcnt(1)
	ds_write2_b64 v78, v[8:9], v[10:11] offset0:118 offset1:119
	;; [unrolled: 2-line block ×3, first 2 shown]
.LBB120_1317:
	s_or_b64 exec, exec, s[0:1]
	v_cmp_lt_i32_e32 vcc, 57, v81
	s_waitcnt lgkmcnt(0)
	s_barrier
	s_and_saveexec_b64 s[0:1], vcc
	s_cbranch_execz .LBB120_1319
; %bb.1318:
	scratch_load_dwordx4 v[4:7], off, off offset:912
	scratch_load_dwordx4 v[8:11], off, off offset:928
	;; [unrolled: 1-line block ×4, first 2 shown]
	ds_read2_b64 v[20:23], v78 offset0:116 offset1:117
	ds_read2_b64 v[24:27], v78 offset0:118 offset1:119
	;; [unrolled: 1-line block ×3, first 2 shown]
	s_waitcnt vmcnt(3)
	v_mul_f64 v[34:35], v[0:1], v[6:7]
	v_mul_f64 v[32:33], v[2:3], v[6:7]
	v_fmac_f64_e32 v[34:35], v[2:3], v[4:5]
	v_fma_f64 v[32:33], v[0:1], v[4:5], -v[32:33]
	s_waitcnt lgkmcnt(2)
	v_mul_f64 v[0:1], v[22:23], v[34:35]
	v_mul_f64 v[2:3], v[20:21], v[34:35]
	scratch_store_dwordx4 off, v[32:35], off offset:912
	s_waitcnt lgkmcnt(1)
	v_mul_f64 v[4:5], v[26:27], v[34:35]
	v_mul_f64 v[6:7], v[24:25], v[34:35]
	s_waitcnt lgkmcnt(0)
	v_mul_f64 v[36:37], v[30:31], v[34:35]
	v_mul_f64 v[34:35], v[28:29], v[34:35]
	v_fma_f64 v[0:1], v[20:21], v[32:33], -v[0:1]
	v_fmac_f64_e32 v[2:3], v[22:23], v[32:33]
	v_fma_f64 v[4:5], v[24:25], v[32:33], -v[4:5]
	v_fmac_f64_e32 v[6:7], v[26:27], v[32:33]
	;; [unrolled: 2-line block ×3, first 2 shown]
	s_waitcnt vmcnt(3)
	v_add_f64 v[0:1], v[8:9], -v[0:1]
	v_add_f64 v[2:3], v[10:11], -v[2:3]
	s_waitcnt vmcnt(2)
	v_add_f64 v[4:5], v[12:13], -v[4:5]
	v_add_f64 v[6:7], v[14:15], -v[6:7]
	;; [unrolled: 3-line block ×3, first 2 shown]
	scratch_store_dwordx4 off, v[0:3], off offset:928
	scratch_store_dwordx4 off, v[4:7], off offset:944
	;; [unrolled: 1-line block ×3, first 2 shown]
.LBB120_1319:
	s_or_b64 exec, exec, s[0:1]
	s_barrier
	scratch_load_dwordx4 v[0:3], off, s22
	v_lshl_add_u32 v4, v81, 4, v78
	s_cmp_lt_i32 s51, 60
	s_waitcnt vmcnt(0)
	ds_write2_b64 v4, v[0:1], v[2:3] offset1:1
	s_waitcnt lgkmcnt(0)
	s_barrier
	ds_read2_b64 v[0:3], v78 offset0:116 offset1:117
	v_mov_b32_e32 v4, 58
	s_cbranch_scc1 .LBB120_1322
; %bb.1320:
	v_add_u32_e32 v5, 0x3b0, v78
	s_mov_b32 s4, 59
	v_mov_b32_e32 v4, 58
.LBB120_1321:                           ; =>This Inner Loop Header: Depth=1
	ds_read2_b64 v[6:9], v5 offset1:1
	s_waitcnt lgkmcnt(1)
	v_xor_b32_e32 v11, 0x80000000, v1
	v_xor_b32_e32 v13, 0x80000000, v3
	v_cmp_gt_f64_e32 vcc, 0, v[2:3]
	v_cmp_gt_f64_e64 s[0:1], 0, v[0:1]
	v_mov_b32_e32 v10, v0
	v_mov_b32_e32 v12, v2
	v_cndmask_b32_e64 v11, v1, v11, s[0:1]
	v_cndmask_b32_e32 v13, v3, v13, vcc
	v_add_f64 v[10:11], v[10:11], v[12:13]
	s_waitcnt lgkmcnt(0)
	v_xor_b32_e32 v13, 0x80000000, v7
	v_xor_b32_e32 v15, 0x80000000, v9
	v_cmp_gt_f64_e32 vcc, 0, v[8:9]
	v_cmp_gt_f64_e64 s[0:1], 0, v[6:7]
	v_mov_b32_e32 v12, v6
	v_mov_b32_e32 v14, v8
	v_cndmask_b32_e64 v13, v7, v13, s[0:1]
	v_cndmask_b32_e32 v15, v9, v15, vcc
	v_add_f64 v[12:13], v[12:13], v[14:15]
	v_mov_b32_e32 v16, s4
	s_add_i32 s4, s4, 1
	v_cmp_lt_f64_e32 vcc, v[10:11], v[12:13]
	v_add_u32_e32 v5, 16, v5
	s_cmp_lg_u32 s51, s4
	v_cndmask_b32_e32 v1, v1, v7, vcc
	v_cndmask_b32_e32 v0, v0, v6, vcc
	;; [unrolled: 1-line block ×5, first 2 shown]
	s_cbranch_scc1 .LBB120_1321
.LBB120_1322:
	s_waitcnt lgkmcnt(0)
	v_cmp_eq_f64_e32 vcc, 0, v[0:1]
	v_cmp_eq_f64_e64 s[0:1], 0, v[2:3]
	s_and_b64 s[0:1], vcc, s[0:1]
	s_and_saveexec_b64 s[4:5], s[0:1]
	s_xor_b64 s[0:1], exec, s[4:5]
; %bb.1323:
	v_cmp_ne_u32_e32 vcc, 0, v79
	s_nop 1
	v_cndmask_b32_e32 v79, 59, v79, vcc
; %bb.1324:
	s_andn2_saveexec_b64 s[0:1], s[0:1]
	s_cbranch_execz .LBB120_1330
; %bb.1325:
	v_cmp_ngt_f64_e64 s[4:5], |v[0:1]|, |v[2:3]|
	s_and_saveexec_b64 s[12:13], s[4:5]
	s_xor_b64 s[12:13], exec, s[12:13]
	s_cbranch_execz .LBB120_1327
; %bb.1326:
	v_div_scale_f64 v[6:7], s[4:5], v[2:3], v[2:3], v[0:1]
	v_rcp_f64_e32 v[8:9], v[6:7]
	v_div_scale_f64 v[10:11], vcc, v[0:1], v[2:3], v[0:1]
	v_fma_f64 v[12:13], -v[6:7], v[8:9], 1.0
	v_fmac_f64_e32 v[8:9], v[8:9], v[12:13]
	v_fma_f64 v[12:13], -v[6:7], v[8:9], 1.0
	v_fmac_f64_e32 v[8:9], v[8:9], v[12:13]
	v_mul_f64 v[12:13], v[10:11], v[8:9]
	v_fma_f64 v[6:7], -v[6:7], v[12:13], v[10:11]
	v_div_fmas_f64 v[6:7], v[6:7], v[8:9], v[12:13]
	v_div_fixup_f64 v[6:7], v[6:7], v[2:3], v[0:1]
	v_fmac_f64_e32 v[2:3], v[0:1], v[6:7]
	v_div_scale_f64 v[0:1], s[4:5], v[2:3], v[2:3], 1.0
	v_rcp_f64_e32 v[8:9], v[0:1]
	s_nop 0
	v_fma_f64 v[10:11], -v[0:1], v[8:9], 1.0
	v_fmac_f64_e32 v[8:9], v[8:9], v[10:11]
	v_fma_f64 v[10:11], -v[0:1], v[8:9], 1.0
	v_fmac_f64_e32 v[8:9], v[8:9], v[10:11]
	v_div_scale_f64 v[10:11], vcc, 1.0, v[2:3], 1.0
	v_mul_f64 v[12:13], v[10:11], v[8:9]
	v_fma_f64 v[0:1], -v[0:1], v[12:13], v[10:11]
	s_nop 1
	v_div_fmas_f64 v[0:1], v[0:1], v[8:9], v[12:13]
	v_div_fixup_f64 v[2:3], v[0:1], v[2:3], 1.0
	v_mul_f64 v[0:1], v[6:7], v[2:3]
	v_xor_b32_e32 v3, 0x80000000, v3
.LBB120_1327:
	s_andn2_saveexec_b64 s[12:13], s[12:13]
	s_cbranch_execz .LBB120_1329
; %bb.1328:
	v_div_scale_f64 v[6:7], s[4:5], v[0:1], v[0:1], v[2:3]
	v_rcp_f64_e32 v[8:9], v[6:7]
	v_div_scale_f64 v[10:11], vcc, v[2:3], v[0:1], v[2:3]
	v_fma_f64 v[12:13], -v[6:7], v[8:9], 1.0
	v_fmac_f64_e32 v[8:9], v[8:9], v[12:13]
	v_fma_f64 v[12:13], -v[6:7], v[8:9], 1.0
	v_fmac_f64_e32 v[8:9], v[8:9], v[12:13]
	v_mul_f64 v[12:13], v[10:11], v[8:9]
	v_fma_f64 v[6:7], -v[6:7], v[12:13], v[10:11]
	v_div_fmas_f64 v[6:7], v[6:7], v[8:9], v[12:13]
	v_div_fixup_f64 v[6:7], v[6:7], v[0:1], v[2:3]
	v_fmac_f64_e32 v[0:1], v[2:3], v[6:7]
	v_div_scale_f64 v[2:3], s[4:5], v[0:1], v[0:1], 1.0
	v_rcp_f64_e32 v[8:9], v[2:3]
	s_nop 0
	v_fma_f64 v[10:11], -v[2:3], v[8:9], 1.0
	v_fmac_f64_e32 v[8:9], v[8:9], v[10:11]
	v_fma_f64 v[10:11], -v[2:3], v[8:9], 1.0
	v_fmac_f64_e32 v[8:9], v[8:9], v[10:11]
	v_div_scale_f64 v[10:11], vcc, 1.0, v[0:1], 1.0
	v_mul_f64 v[12:13], v[10:11], v[8:9]
	v_fma_f64 v[2:3], -v[2:3], v[12:13], v[10:11]
	s_nop 1
	v_div_fmas_f64 v[2:3], v[2:3], v[8:9], v[12:13]
	v_div_fixup_f64 v[0:1], v[2:3], v[0:1], 1.0
	v_mul_f64 v[2:3], v[6:7], -v[0:1]
.LBB120_1329:
	s_or_b64 exec, exec, s[12:13]
.LBB120_1330:
	s_or_b64 exec, exec, s[0:1]
	v_cmp_ne_u32_e32 vcc, v81, v4
	s_and_saveexec_b64 s[0:1], vcc
	s_xor_b64 s[0:1], exec, s[0:1]
	s_cbranch_execz .LBB120_1336
; %bb.1331:
	v_cmp_eq_u32_e32 vcc, 58, v81
	s_and_saveexec_b64 s[12:13], vcc
	s_cbranch_execz .LBB120_1335
; %bb.1332:
	v_cmp_ne_u32_e32 vcc, 58, v4
	s_xor_b64 s[4:5], s[18:19], -1
	s_and_b64 s[4:5], s[4:5], vcc
	s_and_saveexec_b64 s[14:15], s[4:5]
	s_cbranch_execz .LBB120_1334
; %bb.1333:
	v_ashrrev_i32_e32 v5, 31, v4
	v_lshl_add_u64 v[6:7], v[4:5], 2, v[46:47]
	global_load_dword v5, v[6:7], off
	global_load_dword v8, v[46:47], off offset:232
	s_waitcnt vmcnt(1)
	global_store_dword v[46:47], v5, off offset:232
	s_waitcnt vmcnt(1)
	global_store_dword v[6:7], v8, off
.LBB120_1334:
	s_or_b64 exec, exec, s[14:15]
	v_mov_b32_e32 v81, v4
	v_mov_b32_e32 v80, v4
.LBB120_1335:
	s_or_b64 exec, exec, s[12:13]
.LBB120_1336:
	s_andn2_saveexec_b64 s[0:1], s[0:1]
	s_cbranch_execz .LBB120_1338
; %bb.1337:
	scratch_load_dwordx4 v[4:7], off, s21
	scratch_load_dwordx4 v[8:11], off, s20
	v_mov_b32_e32 v81, 58
	s_waitcnt vmcnt(1)
	ds_write2_b64 v78, v[4:5], v[6:7] offset0:118 offset1:119
	s_waitcnt vmcnt(0)
	ds_write2_b64 v78, v[8:9], v[10:11] offset0:120 offset1:121
.LBB120_1338:
	s_or_b64 exec, exec, s[0:1]
	v_cmp_lt_i32_e32 vcc, 58, v81
	s_waitcnt lgkmcnt(0)
	s_barrier
	s_and_saveexec_b64 s[0:1], vcc
	s_cbranch_execz .LBB120_1340
; %bb.1339:
	scratch_load_dwordx4 v[4:7], off, off offset:928
	scratch_load_dwordx4 v[8:11], off, off offset:944
	;; [unrolled: 1-line block ×3, first 2 shown]
	ds_read2_b64 v[16:19], v78 offset0:118 offset1:119
	ds_read2_b64 v[20:23], v78 offset0:120 offset1:121
	s_waitcnt vmcnt(2)
	v_mul_f64 v[26:27], v[0:1], v[6:7]
	v_mul_f64 v[24:25], v[2:3], v[6:7]
	v_fmac_f64_e32 v[26:27], v[2:3], v[4:5]
	v_fma_f64 v[24:25], v[0:1], v[4:5], -v[24:25]
	s_waitcnt lgkmcnt(1)
	v_mul_f64 v[0:1], v[18:19], v[26:27]
	v_mul_f64 v[2:3], v[16:17], v[26:27]
	s_waitcnt lgkmcnt(0)
	v_mul_f64 v[4:5], v[22:23], v[26:27]
	v_mul_f64 v[6:7], v[20:21], v[26:27]
	v_fma_f64 v[0:1], v[16:17], v[24:25], -v[0:1]
	v_fmac_f64_e32 v[2:3], v[18:19], v[24:25]
	v_fma_f64 v[4:5], v[20:21], v[24:25], -v[4:5]
	v_fmac_f64_e32 v[6:7], v[22:23], v[24:25]
	s_waitcnt vmcnt(1)
	v_add_f64 v[0:1], v[8:9], -v[0:1]
	v_add_f64 v[2:3], v[10:11], -v[2:3]
	scratch_store_dwordx4 off, v[24:27], off offset:928
	s_waitcnt vmcnt(1)
	v_add_f64 v[4:5], v[12:13], -v[4:5]
	v_add_f64 v[6:7], v[14:15], -v[6:7]
	scratch_store_dwordx4 off, v[0:3], off offset:944
	scratch_store_dwordx4 off, v[4:7], off offset:960
.LBB120_1340:
	s_or_b64 exec, exec, s[0:1]
	s_barrier
	scratch_load_dwordx4 v[0:3], off, s21
	v_lshl_add_u32 v4, v81, 4, v78
	s_cmp_lt_i32 s51, 61
	s_waitcnt vmcnt(0)
	ds_write2_b64 v4, v[0:1], v[2:3] offset1:1
	s_waitcnt lgkmcnt(0)
	s_barrier
	ds_read2_b64 v[0:3], v78 offset0:118 offset1:119
	v_mov_b32_e32 v4, 59
	s_cbranch_scc1 .LBB120_1343
; %bb.1341:
	v_add_u32_e32 v5, 0x3c0, v78
	s_mov_b32 s4, 60
	v_mov_b32_e32 v4, 59
.LBB120_1342:                           ; =>This Inner Loop Header: Depth=1
	ds_read2_b64 v[6:9], v5 offset1:1
	s_waitcnt lgkmcnt(1)
	v_xor_b32_e32 v11, 0x80000000, v1
	v_xor_b32_e32 v13, 0x80000000, v3
	v_cmp_gt_f64_e32 vcc, 0, v[2:3]
	v_cmp_gt_f64_e64 s[0:1], 0, v[0:1]
	v_mov_b32_e32 v10, v0
	v_mov_b32_e32 v12, v2
	v_cndmask_b32_e64 v11, v1, v11, s[0:1]
	v_cndmask_b32_e32 v13, v3, v13, vcc
	v_add_f64 v[10:11], v[10:11], v[12:13]
	s_waitcnt lgkmcnt(0)
	v_xor_b32_e32 v13, 0x80000000, v7
	v_xor_b32_e32 v15, 0x80000000, v9
	v_cmp_gt_f64_e32 vcc, 0, v[8:9]
	v_cmp_gt_f64_e64 s[0:1], 0, v[6:7]
	v_mov_b32_e32 v12, v6
	v_mov_b32_e32 v14, v8
	v_cndmask_b32_e64 v13, v7, v13, s[0:1]
	v_cndmask_b32_e32 v15, v9, v15, vcc
	v_add_f64 v[12:13], v[12:13], v[14:15]
	v_mov_b32_e32 v16, s4
	s_add_i32 s4, s4, 1
	v_cmp_lt_f64_e32 vcc, v[10:11], v[12:13]
	v_add_u32_e32 v5, 16, v5
	s_cmp_lg_u32 s51, s4
	v_cndmask_b32_e32 v1, v1, v7, vcc
	v_cndmask_b32_e32 v0, v0, v6, vcc
	;; [unrolled: 1-line block ×5, first 2 shown]
	s_cbranch_scc1 .LBB120_1342
.LBB120_1343:
	s_waitcnt lgkmcnt(0)
	v_cmp_eq_f64_e32 vcc, 0, v[0:1]
	v_cmp_eq_f64_e64 s[0:1], 0, v[2:3]
	s_and_b64 s[0:1], vcc, s[0:1]
	s_and_saveexec_b64 s[4:5], s[0:1]
	s_xor_b64 s[0:1], exec, s[4:5]
; %bb.1344:
	v_cmp_ne_u32_e32 vcc, 0, v79
	s_nop 1
	v_cndmask_b32_e32 v79, 60, v79, vcc
; %bb.1345:
	s_andn2_saveexec_b64 s[0:1], s[0:1]
	s_cbranch_execz .LBB120_1351
; %bb.1346:
	v_cmp_ngt_f64_e64 s[4:5], |v[0:1]|, |v[2:3]|
	s_and_saveexec_b64 s[12:13], s[4:5]
	s_xor_b64 s[12:13], exec, s[12:13]
	s_cbranch_execz .LBB120_1348
; %bb.1347:
	v_div_scale_f64 v[6:7], s[4:5], v[2:3], v[2:3], v[0:1]
	v_rcp_f64_e32 v[8:9], v[6:7]
	v_div_scale_f64 v[10:11], vcc, v[0:1], v[2:3], v[0:1]
	v_fma_f64 v[12:13], -v[6:7], v[8:9], 1.0
	v_fmac_f64_e32 v[8:9], v[8:9], v[12:13]
	v_fma_f64 v[12:13], -v[6:7], v[8:9], 1.0
	v_fmac_f64_e32 v[8:9], v[8:9], v[12:13]
	v_mul_f64 v[12:13], v[10:11], v[8:9]
	v_fma_f64 v[6:7], -v[6:7], v[12:13], v[10:11]
	v_div_fmas_f64 v[6:7], v[6:7], v[8:9], v[12:13]
	v_div_fixup_f64 v[6:7], v[6:7], v[2:3], v[0:1]
	v_fmac_f64_e32 v[2:3], v[0:1], v[6:7]
	v_div_scale_f64 v[0:1], s[4:5], v[2:3], v[2:3], 1.0
	v_rcp_f64_e32 v[8:9], v[0:1]
	s_nop 0
	v_fma_f64 v[10:11], -v[0:1], v[8:9], 1.0
	v_fmac_f64_e32 v[8:9], v[8:9], v[10:11]
	v_fma_f64 v[10:11], -v[0:1], v[8:9], 1.0
	v_fmac_f64_e32 v[8:9], v[8:9], v[10:11]
	v_div_scale_f64 v[10:11], vcc, 1.0, v[2:3], 1.0
	v_mul_f64 v[12:13], v[10:11], v[8:9]
	v_fma_f64 v[0:1], -v[0:1], v[12:13], v[10:11]
	s_nop 1
	v_div_fmas_f64 v[0:1], v[0:1], v[8:9], v[12:13]
	v_div_fixup_f64 v[2:3], v[0:1], v[2:3], 1.0
	v_mul_f64 v[0:1], v[6:7], v[2:3]
	v_xor_b32_e32 v3, 0x80000000, v3
.LBB120_1348:
	s_andn2_saveexec_b64 s[12:13], s[12:13]
	s_cbranch_execz .LBB120_1350
; %bb.1349:
	v_div_scale_f64 v[6:7], s[4:5], v[0:1], v[0:1], v[2:3]
	v_rcp_f64_e32 v[8:9], v[6:7]
	v_div_scale_f64 v[10:11], vcc, v[2:3], v[0:1], v[2:3]
	v_fma_f64 v[12:13], -v[6:7], v[8:9], 1.0
	v_fmac_f64_e32 v[8:9], v[8:9], v[12:13]
	v_fma_f64 v[12:13], -v[6:7], v[8:9], 1.0
	v_fmac_f64_e32 v[8:9], v[8:9], v[12:13]
	v_mul_f64 v[12:13], v[10:11], v[8:9]
	v_fma_f64 v[6:7], -v[6:7], v[12:13], v[10:11]
	v_div_fmas_f64 v[6:7], v[6:7], v[8:9], v[12:13]
	v_div_fixup_f64 v[6:7], v[6:7], v[0:1], v[2:3]
	v_fmac_f64_e32 v[0:1], v[2:3], v[6:7]
	v_div_scale_f64 v[2:3], s[4:5], v[0:1], v[0:1], 1.0
	v_rcp_f64_e32 v[8:9], v[2:3]
	s_nop 0
	v_fma_f64 v[10:11], -v[2:3], v[8:9], 1.0
	v_fmac_f64_e32 v[8:9], v[8:9], v[10:11]
	v_fma_f64 v[10:11], -v[2:3], v[8:9], 1.0
	v_fmac_f64_e32 v[8:9], v[8:9], v[10:11]
	v_div_scale_f64 v[10:11], vcc, 1.0, v[0:1], 1.0
	v_mul_f64 v[12:13], v[10:11], v[8:9]
	v_fma_f64 v[2:3], -v[2:3], v[12:13], v[10:11]
	s_nop 1
	v_div_fmas_f64 v[2:3], v[2:3], v[8:9], v[12:13]
	v_div_fixup_f64 v[0:1], v[2:3], v[0:1], 1.0
	v_mul_f64 v[2:3], v[6:7], -v[0:1]
.LBB120_1350:
	s_or_b64 exec, exec, s[12:13]
.LBB120_1351:
	s_or_b64 exec, exec, s[0:1]
	v_cmp_ne_u32_e32 vcc, v81, v4
	s_and_saveexec_b64 s[0:1], vcc
	s_xor_b64 s[0:1], exec, s[0:1]
	s_cbranch_execz .LBB120_1357
; %bb.1352:
	v_cmp_eq_u32_e32 vcc, 59, v81
	s_and_saveexec_b64 s[12:13], vcc
	s_cbranch_execz .LBB120_1356
; %bb.1353:
	v_cmp_ne_u32_e32 vcc, 59, v4
	s_xor_b64 s[4:5], s[18:19], -1
	s_and_b64 s[4:5], s[4:5], vcc
	s_and_saveexec_b64 s[14:15], s[4:5]
	s_cbranch_execz .LBB120_1355
; %bb.1354:
	v_ashrrev_i32_e32 v5, 31, v4
	v_lshl_add_u64 v[6:7], v[4:5], 2, v[46:47]
	global_load_dword v5, v[6:7], off
	global_load_dword v8, v[46:47], off offset:236
	s_waitcnt vmcnt(1)
	global_store_dword v[46:47], v5, off offset:236
	s_waitcnt vmcnt(1)
	global_store_dword v[6:7], v8, off
.LBB120_1355:
	s_or_b64 exec, exec, s[14:15]
	v_mov_b32_e32 v81, v4
	v_mov_b32_e32 v80, v4
.LBB120_1356:
	s_or_b64 exec, exec, s[12:13]
.LBB120_1357:
	s_andn2_saveexec_b64 s[0:1], s[0:1]
	s_cbranch_execz .LBB120_1359
; %bb.1358:
	scratch_load_dwordx4 v[4:7], off, s20
	v_mov_b32_e32 v81, 59
	s_waitcnt vmcnt(0)
	ds_write2_b64 v78, v[4:5], v[6:7] offset0:120 offset1:121
.LBB120_1359:
	s_or_b64 exec, exec, s[0:1]
	v_cmp_lt_i32_e32 vcc, 59, v81
	s_waitcnt lgkmcnt(0)
	s_barrier
	s_and_saveexec_b64 s[0:1], vcc
	s_cbranch_execz .LBB120_1361
; %bb.1360:
	scratch_load_dwordx4 v[4:7], off, off offset:944
	scratch_load_dwordx4 v[8:11], off, off offset:960
	ds_read2_b64 v[12:15], v78 offset0:120 offset1:121
	s_waitcnt vmcnt(1)
	v_mul_f64 v[18:19], v[0:1], v[6:7]
	v_mul_f64 v[16:17], v[2:3], v[6:7]
	v_fmac_f64_e32 v[18:19], v[2:3], v[4:5]
	v_fma_f64 v[16:17], v[0:1], v[4:5], -v[16:17]
	s_waitcnt lgkmcnt(0)
	v_mul_f64 v[0:1], v[14:15], v[18:19]
	v_mul_f64 v[2:3], v[12:13], v[18:19]
	v_fma_f64 v[0:1], v[12:13], v[16:17], -v[0:1]
	v_fmac_f64_e32 v[2:3], v[14:15], v[16:17]
	s_waitcnt vmcnt(0)
	v_add_f64 v[0:1], v[8:9], -v[0:1]
	v_add_f64 v[2:3], v[10:11], -v[2:3]
	scratch_store_dwordx4 off, v[16:19], off offset:944
	scratch_store_dwordx4 off, v[0:3], off offset:960
.LBB120_1361:
	s_or_b64 exec, exec, s[0:1]
	s_barrier
	scratch_load_dwordx4 v[0:3], off, s20
	v_lshl_add_u32 v4, v81, 4, v78
	s_cmp_lt_i32 s51, 62
	s_waitcnt vmcnt(0)
	ds_write2_b64 v4, v[0:1], v[2:3] offset1:1
	s_waitcnt lgkmcnt(0)
	s_barrier
	ds_read2_b64 v[0:3], v78 offset0:120 offset1:121
	v_mov_b32_e32 v4, 60
	s_cbranch_scc1 .LBB120_1364
; %bb.1362:
	v_add_u32_e32 v5, 0x3d0, v78
	s_mov_b32 s4, 61
	v_mov_b32_e32 v4, 60
.LBB120_1363:                           ; =>This Inner Loop Header: Depth=1
	ds_read2_b64 v[6:9], v5 offset1:1
	s_waitcnt lgkmcnt(1)
	v_xor_b32_e32 v11, 0x80000000, v1
	v_xor_b32_e32 v13, 0x80000000, v3
	v_cmp_gt_f64_e32 vcc, 0, v[2:3]
	v_cmp_gt_f64_e64 s[0:1], 0, v[0:1]
	v_mov_b32_e32 v10, v0
	v_mov_b32_e32 v12, v2
	v_cndmask_b32_e64 v11, v1, v11, s[0:1]
	v_cndmask_b32_e32 v13, v3, v13, vcc
	v_add_f64 v[10:11], v[10:11], v[12:13]
	s_waitcnt lgkmcnt(0)
	v_xor_b32_e32 v13, 0x80000000, v7
	v_xor_b32_e32 v15, 0x80000000, v9
	v_cmp_gt_f64_e32 vcc, 0, v[8:9]
	v_cmp_gt_f64_e64 s[0:1], 0, v[6:7]
	v_mov_b32_e32 v12, v6
	v_mov_b32_e32 v14, v8
	v_cndmask_b32_e64 v13, v7, v13, s[0:1]
	v_cndmask_b32_e32 v15, v9, v15, vcc
	v_add_f64 v[12:13], v[12:13], v[14:15]
	v_mov_b32_e32 v16, s4
	s_add_i32 s4, s4, 1
	v_cmp_lt_f64_e32 vcc, v[10:11], v[12:13]
	v_add_u32_e32 v5, 16, v5
	s_cmp_lg_u32 s51, s4
	v_cndmask_b32_e32 v1, v1, v7, vcc
	v_cndmask_b32_e32 v0, v0, v6, vcc
	;; [unrolled: 1-line block ×5, first 2 shown]
	s_cbranch_scc1 .LBB120_1363
.LBB120_1364:
	s_waitcnt lgkmcnt(0)
	v_cmp_eq_f64_e32 vcc, 0, v[0:1]
	v_cmp_eq_f64_e64 s[0:1], 0, v[2:3]
	s_and_b64 s[0:1], vcc, s[0:1]
	s_and_saveexec_b64 s[4:5], s[0:1]
	s_xor_b64 s[0:1], exec, s[4:5]
; %bb.1365:
	v_cmp_ne_u32_e32 vcc, 0, v79
	s_nop 1
	v_cndmask_b32_e32 v79, 61, v79, vcc
; %bb.1366:
	s_andn2_saveexec_b64 s[0:1], s[0:1]
	s_cbranch_execz .LBB120_1372
; %bb.1367:
	v_cmp_ngt_f64_e64 s[4:5], |v[0:1]|, |v[2:3]|
	s_and_saveexec_b64 s[12:13], s[4:5]
	s_xor_b64 s[12:13], exec, s[12:13]
	s_cbranch_execz .LBB120_1369
; %bb.1368:
	v_div_scale_f64 v[6:7], s[4:5], v[2:3], v[2:3], v[0:1]
	v_rcp_f64_e32 v[8:9], v[6:7]
	v_div_scale_f64 v[10:11], vcc, v[0:1], v[2:3], v[0:1]
	v_fma_f64 v[12:13], -v[6:7], v[8:9], 1.0
	v_fmac_f64_e32 v[8:9], v[8:9], v[12:13]
	v_fma_f64 v[12:13], -v[6:7], v[8:9], 1.0
	v_fmac_f64_e32 v[8:9], v[8:9], v[12:13]
	v_mul_f64 v[12:13], v[10:11], v[8:9]
	v_fma_f64 v[6:7], -v[6:7], v[12:13], v[10:11]
	v_div_fmas_f64 v[6:7], v[6:7], v[8:9], v[12:13]
	v_div_fixup_f64 v[6:7], v[6:7], v[2:3], v[0:1]
	v_fmac_f64_e32 v[2:3], v[0:1], v[6:7]
	v_div_scale_f64 v[0:1], s[4:5], v[2:3], v[2:3], 1.0
	v_rcp_f64_e32 v[8:9], v[0:1]
	s_nop 0
	v_fma_f64 v[10:11], -v[0:1], v[8:9], 1.0
	v_fmac_f64_e32 v[8:9], v[8:9], v[10:11]
	v_fma_f64 v[10:11], -v[0:1], v[8:9], 1.0
	v_fmac_f64_e32 v[8:9], v[8:9], v[10:11]
	v_div_scale_f64 v[10:11], vcc, 1.0, v[2:3], 1.0
	v_mul_f64 v[12:13], v[10:11], v[8:9]
	v_fma_f64 v[0:1], -v[0:1], v[12:13], v[10:11]
	s_nop 1
	v_div_fmas_f64 v[0:1], v[0:1], v[8:9], v[12:13]
	v_div_fixup_f64 v[2:3], v[0:1], v[2:3], 1.0
	v_mul_f64 v[0:1], v[6:7], v[2:3]
	v_xor_b32_e32 v3, 0x80000000, v3
.LBB120_1369:
	s_andn2_saveexec_b64 s[12:13], s[12:13]
	s_cbranch_execz .LBB120_1371
; %bb.1370:
	v_div_scale_f64 v[6:7], s[4:5], v[0:1], v[0:1], v[2:3]
	v_rcp_f64_e32 v[8:9], v[6:7]
	v_div_scale_f64 v[10:11], vcc, v[2:3], v[0:1], v[2:3]
	v_fma_f64 v[12:13], -v[6:7], v[8:9], 1.0
	v_fmac_f64_e32 v[8:9], v[8:9], v[12:13]
	v_fma_f64 v[12:13], -v[6:7], v[8:9], 1.0
	v_fmac_f64_e32 v[8:9], v[8:9], v[12:13]
	v_mul_f64 v[12:13], v[10:11], v[8:9]
	v_fma_f64 v[6:7], -v[6:7], v[12:13], v[10:11]
	v_div_fmas_f64 v[6:7], v[6:7], v[8:9], v[12:13]
	v_div_fixup_f64 v[6:7], v[6:7], v[0:1], v[2:3]
	v_fmac_f64_e32 v[0:1], v[2:3], v[6:7]
	v_div_scale_f64 v[2:3], s[4:5], v[0:1], v[0:1], 1.0
	v_rcp_f64_e32 v[8:9], v[2:3]
	s_nop 0
	v_fma_f64 v[10:11], -v[2:3], v[8:9], 1.0
	v_fmac_f64_e32 v[8:9], v[8:9], v[10:11]
	v_fma_f64 v[10:11], -v[2:3], v[8:9], 1.0
	v_fmac_f64_e32 v[8:9], v[8:9], v[10:11]
	v_div_scale_f64 v[10:11], vcc, 1.0, v[0:1], 1.0
	v_mul_f64 v[12:13], v[10:11], v[8:9]
	v_fma_f64 v[2:3], -v[2:3], v[12:13], v[10:11]
	s_nop 1
	v_div_fmas_f64 v[2:3], v[2:3], v[8:9], v[12:13]
	v_div_fixup_f64 v[0:1], v[2:3], v[0:1], 1.0
	v_mul_f64 v[2:3], v[6:7], -v[0:1]
.LBB120_1371:
	s_or_b64 exec, exec, s[12:13]
.LBB120_1372:
	s_or_b64 exec, exec, s[0:1]
	v_cmp_ne_u32_e32 vcc, v81, v4
	v_mov_b32_e32 v6, 60
	s_and_saveexec_b64 s[0:1], vcc
	s_cbranch_execz .LBB120_1378
; %bb.1373:
	v_cmp_eq_u32_e32 vcc, 60, v81
	s_and_saveexec_b64 s[12:13], vcc
	s_cbranch_execz .LBB120_1377
; %bb.1374:
	v_cmp_ne_u32_e32 vcc, 60, v4
	s_xor_b64 s[4:5], s[18:19], -1
	s_and_b64 s[4:5], s[4:5], vcc
	s_and_saveexec_b64 s[14:15], s[4:5]
	s_cbranch_execz .LBB120_1376
; %bb.1375:
	v_ashrrev_i32_e32 v5, 31, v4
	v_lshl_add_u64 v[6:7], v[4:5], 2, v[46:47]
	global_load_dword v5, v[6:7], off
	global_load_dword v8, v[46:47], off offset:240
	s_waitcnt vmcnt(1)
	global_store_dword v[46:47], v5, off offset:240
	s_waitcnt vmcnt(1)
	global_store_dword v[6:7], v8, off
.LBB120_1376:
	s_or_b64 exec, exec, s[14:15]
	v_mov_b32_e32 v81, v4
	v_mov_b32_e32 v80, v4
.LBB120_1377:
	s_or_b64 exec, exec, s[12:13]
	v_mov_b32_e32 v6, v81
.LBB120_1378:
	s_or_b64 exec, exec, s[0:1]
	v_cmp_lt_i32_e32 vcc, 60, v6
	s_barrier
	s_and_saveexec_b64 s[0:1], vcc
	s_cbranch_execz .LBB120_1380
; %bb.1379:
	scratch_load_dwordx4 v[8:11], off, off offset:960
	s_waitcnt vmcnt(0)
	v_mul_f64 v[4:5], v[2:3], v[10:11]
	v_mul_f64 v[12:13], v[0:1], v[10:11]
	v_fma_f64 v[10:11], v[0:1], v[8:9], -v[4:5]
	v_fmac_f64_e32 v[12:13], v[2:3], v[8:9]
	scratch_store_dwordx4 off, v[10:13], off offset:960
.LBB120_1380:
	s_or_b64 exec, exec, s[0:1]
	v_cmp_gt_i32_e32 vcc, 61, v6
	v_ashrrev_i32_e32 v7, 31, v6
	s_barrier
	s_and_saveexec_b64 s[0:1], vcc
	s_cbranch_execz .LBB120_1382
; %bb.1381:
	v_readlane_b32 s4, v128, 2
	v_readlane_b32 s5, v128, 3
	v_readlane_b32 s10, v128, 8
	v_readlane_b32 s11, v128, 9
	v_readlane_b32 s6, v128, 4
	v_readlane_b32 s7, v128, 5
	v_mul_lo_u32 v4, s11, v44
	v_mul_lo_u32 v5, s10, v45
	v_mad_u64_u32 v[2:3], s[4:5], s10, v44, 0
	v_mov_b32_e32 v0, s6
	v_mov_b32_e32 v1, s7
	v_add3_u32 v3, v3, v5, v4
	v_readlane_b32 s8, v128, 6
	v_readlane_b32 s9, v128, 7
	v_lshl_add_u64 v[0:1], v[2:3], 2, v[0:1]
	v_add3_u32 v2, v80, s17, 1
	v_lshl_add_u64 v[0:1], s[8:9], 2, v[0:1]
	v_lshl_add_u64 v[0:1], v[6:7], 2, v[0:1]
	global_store_dword v[0:1], v2, off
.LBB120_1382:
	s_or_b64 exec, exec, s[0:1]
	v_cmp_eq_u32_e32 vcc, 0, v6
	s_and_saveexec_b64 s[6:7], vcc
	s_cbranch_execz .LBB120_1385
; %bb.1383:
	v_readlane_b32 s0, v128, 11
	v_readlane_b32 s1, v128, 12
	s_nop 0
	v_mov_b32_e32 v0, s0
	v_mov_b32_e32 v1, s1
	v_lshl_add_u64 v[0:1], v[44:45], 2, v[0:1]
	global_load_dword v2, v[0:1], off
	v_cmp_ne_u32_e64 s[0:1], 0, v79
	s_waitcnt vmcnt(0)
	v_cmp_eq_u32_e32 vcc, 0, v2
	s_and_b64 s[0:1], vcc, s[0:1]
	s_and_b64 exec, exec, s[0:1]
	s_cbranch_execz .LBB120_1385
; %bb.1384:
	v_add_u32_e32 v2, s17, v79
	global_store_dword v[0:1], v2, off
.LBB120_1385:
	s_or_b64 exec, exec, s[6:7]
	scratch_load_dwordx4 v[0:3], off, off
	scratch_load_dwordx4 v[8:11], off, s93
	scratch_load_dwordx4 v[12:15], off, s92
	;; [unrolled: 1-line block ×16, first 2 shown]
	v_readlane_b32 s0, v128, 10
	v_lshl_add_u64 v[118:119], v[6:7], 4, v[48:49]
	v_lshl_add_u64 v[122:123], s[2:3], 4, v[118:119]
	v_add_u32_e32 v120, s0, v6
	scratch_load_dwordx4 v[4:7], off, s54
	scratch_load_dwordx4 v[74:77], off, s57
	;; [unrolled: 1-line block ×12, first 2 shown]
	v_ashrrev_i32_e32 v121, 31, v120
	s_waitcnt vmcnt(28)
	global_store_dwordx4 v[118:119], v[0:3], off
	s_nop 1
	v_add_u32_e32 v0, s2, v120
	v_add_u32_e32 v118, s2, v0
	v_lshl_add_u64 v[2:3], v[120:121], 4, v[48:49]
	v_add_u32_e32 v120, s2, v118
	v_ashrrev_i32_e32 v121, 31, v120
	s_waitcnt vmcnt(28)
	global_store_dwordx4 v[122:123], v[8:11], off
	s_waitcnt vmcnt(28)
	global_store_dwordx4 v[2:3], v[12:15], off
	v_ashrrev_i32_e32 v1, 31, v0
	v_add_u32_e32 v8, s2, v120
	v_lshl_add_u64 v[10:11], v[120:121], 4, v[48:49]
	v_add_u32_e32 v120, s2, v8
	v_add_u32_e32 v122, s2, v120
	;; [unrolled: 1-line block ×3, first 2 shown]
	v_ashrrev_i32_e32 v123, 31, v122
	v_add_u32_e32 v14, s2, v2
	v_lshl_add_u64 v[0:1], v[0:1], 4, v[48:49]
	v_lshl_add_u64 v[12:13], v[122:123], 4, v[48:49]
	v_add_u32_e32 v122, s2, v14
	s_waitcnt vmcnt(28)
	global_store_dwordx4 v[0:1], v[16:19], off
	v_add_u32_e32 v0, s2, v122
	v_ashrrev_i32_e32 v119, 31, v118
	v_add_u32_e32 v18, s2, v0
	v_lshl_add_u64 v[118:119], v[118:119], 4, v[48:49]
	v_ashrrev_i32_e32 v9, 31, v8
	v_ashrrev_i32_e32 v121, 31, v120
	;; [unrolled: 1-line block ×7, first 2 shown]
	v_lshl_add_u64 v[8:9], v[8:9], 4, v[48:49]
	v_lshl_add_u64 v[120:121], v[120:121], 4, v[48:49]
	;; [unrolled: 1-line block ×7, first 2 shown]
	s_waitcnt vmcnt(28)
	global_store_dwordx4 v[118:119], v[20:23], off
	s_waitcnt vmcnt(28)
	global_store_dwordx4 v[10:11], v[24:27], off
	;; [unrolled: 2-line block ×10, first 2 shown]
	scratch_load_dwordx4 v[0:3], off, s63
	v_add_u32_e32 v12, s2, v18
	v_ashrrev_i32_e32 v13, 31, v12
	v_lshl_add_u64 v[8:9], v[12:13], 4, v[48:49]
	v_add_u32_e32 v16, s2, v12
	s_waitcnt vmcnt(29)
	global_store_dwordx4 v[8:9], v[62:65], off
	scratch_load_dwordx4 v[8:11], off, s52
	v_ashrrev_i32_e32 v17, 31, v16
	v_lshl_add_u64 v[12:13], v[16:17], 4, v[48:49]
	s_waitcnt vmcnt(30)
	global_store_dwordx4 v[12:13], v[66:69], off
	scratch_load_dwordx4 v[12:15], off, s53
	v_add_u32_e32 v16, s2, v16
	v_ashrrev_i32_e32 v17, 31, v16
	v_lshl_add_u64 v[18:19], v[16:17], 4, v[48:49]
	v_add_u32_e32 v20, s2, v16
	s_waitcnt vmcnt(31)
	global_store_dwordx4 v[18:19], v[70:73], off
	scratch_load_dwordx4 v[16:19], off, s49
	v_ashrrev_i32_e32 v21, 31, v20
	v_lshl_add_u64 v[22:23], v[20:21], 4, v[48:49]
	v_add_u32_e32 v20, s2, v20
	s_waitcnt vmcnt(32)
	global_store_dwordx4 v[22:23], v[4:7], off
	scratch_load_dwordx4 v[4:7], off, s48
	v_ashrrev_i32_e32 v21, 31, v20
	v_lshl_add_u64 v[22:23], v[20:21], 4, v[48:49]
	s_waitcnt vmcnt(33)
	global_store_dwordx4 v[22:23], v[74:77], off
	v_add_u32_e32 v24, s2, v20
	scratch_load_dwordx4 v[20:23], off, s47
	v_ashrrev_i32_e32 v25, 31, v24
	v_lshl_add_u64 v[26:27], v[24:25], 4, v[48:49]
	v_add_u32_e32 v28, s2, v24
	s_waitcnt vmcnt(34)
	global_store_dwordx4 v[26:27], v[78:81], off
	v_ashrrev_i32_e32 v29, 31, v28
	scratch_load_dwordx4 v[24:27], off, s46
	v_lshl_add_u64 v[30:31], v[28:29], 4, v[48:49]
	v_add_u32_e32 v32, s2, v28
	s_waitcnt vmcnt(35)
	global_store_dwordx4 v[30:31], v[82:85], off
	v_ashrrev_i32_e32 v33, 31, v32
	scratch_load_dwordx4 v[28:31], off, s45
	v_lshl_add_u64 v[34:35], v[32:33], 4, v[48:49]
	s_waitcnt vmcnt(36)
	global_store_dwordx4 v[34:35], v[86:89], off
	v_add_u32_e32 v36, s2, v32
	scratch_load_dwordx4 v[32:35], off, s44
	v_ashrrev_i32_e32 v37, 31, v36
	v_lshl_add_u64 v[38:39], v[36:37], 4, v[48:49]
	v_add_u32_e32 v40, s2, v36
	s_waitcnt vmcnt(37)
	global_store_dwordx4 v[38:39], v[90:93], off
	v_ashrrev_i32_e32 v41, 31, v40
	scratch_load_dwordx4 v[36:39], off, s43
	v_add_u32_e32 v44, s2, v40
	v_lshl_add_u64 v[42:43], v[40:41], 4, v[48:49]
	v_ashrrev_i32_e32 v45, 31, v44
	s_waitcnt vmcnt(38)
	global_store_dwordx4 v[42:43], v[94:97], off
	v_lshl_add_u64 v[46:47], v[44:45], 4, v[48:49]
	scratch_load_dwordx4 v[40:43], off, s42
	v_add_u32_e32 v50, s2, v44
	s_waitcnt vmcnt(39)
	global_store_dwordx4 v[46:47], v[98:101], off
	scratch_load_dwordx4 v[44:47], off, s41
	v_ashrrev_i32_e32 v51, 31, v50
	v_lshl_add_u64 v[52:53], v[50:51], 4, v[48:49]
	s_waitcnt vmcnt(40)
	global_store_dwordx4 v[52:53], v[102:105], off
	v_add_u32_e32 v54, s2, v50
	scratch_load_dwordx4 v[50:53], off, s40
	v_ashrrev_i32_e32 v55, 31, v54
	v_lshl_add_u64 v[56:57], v[54:55], 4, v[48:49]
	v_add_u32_e32 v58, s2, v54
	s_waitcnt vmcnt(41)
	global_store_dwordx4 v[56:57], v[106:109], off
	v_ashrrev_i32_e32 v59, 31, v58
	scratch_load_dwordx4 v[54:57], off, s39
	v_lshl_add_u64 v[60:61], v[58:59], 4, v[48:49]
	v_add_u32_e32 v66, s2, v58
	s_waitcnt vmcnt(42)
	global_store_dwordx4 v[60:61], v[110:113], off
	scratch_load_dwordx4 v[58:61], off, s38
	v_ashrrev_i32_e32 v67, 31, v66
	v_lshl_add_u64 v[62:63], v[66:67], 4, v[48:49]
	s_waitcnt vmcnt(43)
	global_store_dwordx4 v[62:63], v[114:117], off
	scratch_load_dwordx4 v[62:65], off, s37
	v_add_u32_e32 v70, s2, v66
	v_ashrrev_i32_e32 v71, 31, v70
	v_lshl_add_u64 v[72:73], v[70:71], 4, v[48:49]
	scratch_load_dwordx4 v[66:69], off, s36
	v_add_u32_e32 v70, s2, v70
	s_waitcnt vmcnt(31)
	global_store_dwordx4 v[72:73], v[0:3], off
	scratch_load_dwordx4 v[0:3], off, s35
	v_ashrrev_i32_e32 v71, 31, v70
	v_lshl_add_u64 v[72:73], v[70:71], 4, v[48:49]
	v_add_u32_e32 v70, s2, v70
	s_waitcnt vmcnt(31)
	global_store_dwordx4 v[72:73], v[8:11], off
	scratch_load_dwordx4 v[8:11], off, s34
	v_ashrrev_i32_e32 v71, 31, v70
	v_lshl_add_u64 v[72:73], v[70:71], 4, v[48:49]
	s_waitcnt vmcnt(31)
	global_store_dwordx4 v[72:73], v[12:15], off
	scratch_load_dwordx4 v[12:15], off, s33
	v_add_u32_e32 v74, s2, v70
	v_ashrrev_i32_e32 v75, 31, v74
	scratch_load_dwordx4 v[70:73], off, s31
	v_lshl_add_u64 v[76:77], v[74:75], 4, v[48:49]
	v_add_u32_e32 v74, s2, v74
	s_waitcnt vmcnt(32)
	global_store_dwordx4 v[76:77], v[16:19], off
	v_ashrrev_i32_e32 v75, 31, v74
	scratch_load_dwordx4 v[16:19], off, s30
	v_lshl_add_u64 v[76:77], v[74:75], 4, v[48:49]
	v_add_u32_e32 v74, s2, v74
	s_waitcnt vmcnt(32)
	global_store_dwordx4 v[76:77], v[4:7], off
	scratch_load_dwordx4 v[4:7], off, s29
	v_ashrrev_i32_e32 v75, 31, v74
	v_lshl_add_u64 v[76:77], v[74:75], 4, v[48:49]
	s_waitcnt vmcnt(32)
	global_store_dwordx4 v[76:77], v[20:23], off
	scratch_load_dwordx4 v[20:23], off, s28
	v_add_u32_e32 v78, s2, v74
	v_ashrrev_i32_e32 v79, 31, v78
	scratch_load_dwordx4 v[74:77], off, s27
	v_lshl_add_u64 v[80:81], v[78:79], 4, v[48:49]
	v_add_u32_e32 v78, s2, v78
	s_waitcnt vmcnt(33)
	global_store_dwordx4 v[80:81], v[24:27], off
	v_ashrrev_i32_e32 v79, 31, v78
	scratch_load_dwordx4 v[24:27], off, s26
	v_lshl_add_u64 v[80:81], v[78:79], 4, v[48:49]
	v_add_u32_e32 v78, s2, v78
	s_waitcnt vmcnt(33)
	global_store_dwordx4 v[80:81], v[28:31], off
	scratch_load_dwordx4 v[28:31], off, s25
	v_ashrrev_i32_e32 v79, 31, v78
	v_lshl_add_u64 v[80:81], v[78:79], 4, v[48:49]
	s_waitcnt vmcnt(33)
	global_store_dwordx4 v[80:81], v[32:35], off
	scratch_load_dwordx4 v[32:35], off, s24
	v_add_u32_e32 v82, s2, v78
	v_ashrrev_i32_e32 v83, 31, v82
	v_lshl_add_u64 v[84:85], v[82:83], 4, v[48:49]
	scratch_load_dwordx4 v[78:81], off, s23
	v_add_u32_e32 v82, s2, v82
	v_ashrrev_i32_e32 v83, 31, v82
	s_waitcnt vmcnt(34)
	global_store_dwordx4 v[84:85], v[36:39], off
	scratch_load_dwordx4 v[36:39], off, s22
	v_lshl_add_u64 v[84:85], v[82:83], 4, v[48:49]
	v_add_u32_e32 v82, s2, v82
	v_ashrrev_i32_e32 v83, 31, v82
	s_waitcnt vmcnt(34)
	global_store_dwordx4 v[84:85], v[40:43], off
	v_lshl_add_u64 v[84:85], v[82:83], 4, v[48:49]
	scratch_load_dwordx4 v[40:43], off, s21
	v_add_u32_e32 v82, s2, v82
	s_waitcnt vmcnt(34)
	global_store_dwordx4 v[84:85], v[44:47], off
	scratch_load_dwordx4 v[44:47], off, s20
	v_ashrrev_i32_e32 v83, 31, v82
	v_lshl_add_u64 v[84:85], v[82:83], 4, v[48:49]
	s_waitcnt vmcnt(34)
	global_store_dwordx4 v[84:85], v[50:53], off
	s_nop 1
	v_add_u32_e32 v50, s2, v82
	v_ashrrev_i32_e32 v51, 31, v50
	v_lshl_add_u64 v[52:53], v[50:51], 4, v[48:49]
	v_add_u32_e32 v50, s2, v50
	v_ashrrev_i32_e32 v51, 31, v50
	s_waitcnt vmcnt(33)
	global_store_dwordx4 v[52:53], v[54:57], off
	v_lshl_add_u64 v[52:53], v[50:51], 4, v[48:49]
	v_add_u32_e32 v50, s2, v50
	v_ashrrev_i32_e32 v51, 31, v50
	s_waitcnt vmcnt(32)
	global_store_dwordx4 v[52:53], v[58:61], off
	;; [unrolled: 5-line block ×4, first 2 shown]
	v_lshl_add_u64 v[52:53], v[50:51], 4, v[48:49]
	s_waitcnt vmcnt(30)
	global_store_dwordx4 v[52:53], v[0:3], off
	s_nop 1
	v_add_u32_e32 v0, s2, v50
	v_ashrrev_i32_e32 v1, 31, v0
	v_lshl_add_u64 v[2:3], v[0:1], 4, v[48:49]
	v_add_u32_e32 v0, s2, v0
	v_ashrrev_i32_e32 v1, 31, v0
	s_waitcnt vmcnt(29)
	global_store_dwordx4 v[2:3], v[8:11], off
	v_lshl_add_u64 v[2:3], v[0:1], 4, v[48:49]
	v_add_u32_e32 v0, s2, v0
	v_ashrrev_i32_e32 v1, 31, v0
	s_waitcnt vmcnt(28)
	global_store_dwordx4 v[2:3], v[12:15], off
	;; [unrolled: 5-line block ×12, first 2 shown]
	v_lshl_add_u64 v[2:3], v[0:1], 4, v[48:49]
	v_add_u32_e32 v0, s2, v0
	v_ashrrev_i32_e32 v1, 31, v0
	v_lshl_add_u64 v[0:1], v[0:1], 4, v[48:49]
	s_waitcnt vmcnt(20)
	global_store_dwordx4 v[2:3], v[40:43], off
	s_waitcnt vmcnt(19)
	global_store_dwordx4 v[0:1], v[44:47], off
.LBB120_1386:
	s_endpgm
	.section	.rodata,"a",@progbits
	.p2align	6, 0x0
	.amdhsa_kernel _ZN9rocsolver6v33100L18getf2_small_kernelILi61E19rocblas_complex_numIdEiiPS3_EEvT1_T3_lS5_lPS5_llPT2_S5_S5_S7_l
		.amdhsa_group_segment_fixed_size 0
		.amdhsa_private_segment_fixed_size 992
		.amdhsa_kernarg_size 352
		.amdhsa_user_sgpr_count 2
		.amdhsa_user_sgpr_dispatch_ptr 0
		.amdhsa_user_sgpr_queue_ptr 0
		.amdhsa_user_sgpr_kernarg_segment_ptr 1
		.amdhsa_user_sgpr_dispatch_id 0
		.amdhsa_user_sgpr_kernarg_preload_length 0
		.amdhsa_user_sgpr_kernarg_preload_offset 0
		.amdhsa_user_sgpr_private_segment_size 0
		.amdhsa_uses_dynamic_stack 0
		.amdhsa_enable_private_segment 1
		.amdhsa_system_sgpr_workgroup_id_x 1
		.amdhsa_system_sgpr_workgroup_id_y 1
		.amdhsa_system_sgpr_workgroup_id_z 0
		.amdhsa_system_sgpr_workgroup_info 0
		.amdhsa_system_vgpr_workitem_id 1
		.amdhsa_next_free_vgpr 129
		.amdhsa_next_free_sgpr 100
		.amdhsa_accum_offset 132
		.amdhsa_reserve_vcc 1
		.amdhsa_float_round_mode_32 0
		.amdhsa_float_round_mode_16_64 0
		.amdhsa_float_denorm_mode_32 3
		.amdhsa_float_denorm_mode_16_64 3
		.amdhsa_dx10_clamp 1
		.amdhsa_ieee_mode 1
		.amdhsa_fp16_overflow 0
		.amdhsa_tg_split 0
		.amdhsa_exception_fp_ieee_invalid_op 0
		.amdhsa_exception_fp_denorm_src 0
		.amdhsa_exception_fp_ieee_div_zero 0
		.amdhsa_exception_fp_ieee_overflow 0
		.amdhsa_exception_fp_ieee_underflow 0
		.amdhsa_exception_fp_ieee_inexact 0
		.amdhsa_exception_int_div_zero 0
	.end_amdhsa_kernel
	.section	.text._ZN9rocsolver6v33100L18getf2_small_kernelILi61E19rocblas_complex_numIdEiiPS3_EEvT1_T3_lS5_lPS5_llPT2_S5_S5_S7_l,"axG",@progbits,_ZN9rocsolver6v33100L18getf2_small_kernelILi61E19rocblas_complex_numIdEiiPS3_EEvT1_T3_lS5_lPS5_llPT2_S5_S5_S7_l,comdat
.Lfunc_end120:
	.size	_ZN9rocsolver6v33100L18getf2_small_kernelILi61E19rocblas_complex_numIdEiiPS3_EEvT1_T3_lS5_lPS5_llPT2_S5_S5_S7_l, .Lfunc_end120-_ZN9rocsolver6v33100L18getf2_small_kernelILi61E19rocblas_complex_numIdEiiPS3_EEvT1_T3_lS5_lPS5_llPT2_S5_S5_S7_l
                                        ; -- End function
	.set _ZN9rocsolver6v33100L18getf2_small_kernelILi61E19rocblas_complex_numIdEiiPS3_EEvT1_T3_lS5_lPS5_llPT2_S5_S5_S7_l.num_vgpr, 129
	.set _ZN9rocsolver6v33100L18getf2_small_kernelILi61E19rocblas_complex_numIdEiiPS3_EEvT1_T3_lS5_lPS5_llPT2_S5_S5_S7_l.num_agpr, 0
	.set _ZN9rocsolver6v33100L18getf2_small_kernelILi61E19rocblas_complex_numIdEiiPS3_EEvT1_T3_lS5_lPS5_llPT2_S5_S5_S7_l.numbered_sgpr, 100
	.set _ZN9rocsolver6v33100L18getf2_small_kernelILi61E19rocblas_complex_numIdEiiPS3_EEvT1_T3_lS5_lPS5_llPT2_S5_S5_S7_l.num_named_barrier, 0
	.set _ZN9rocsolver6v33100L18getf2_small_kernelILi61E19rocblas_complex_numIdEiiPS3_EEvT1_T3_lS5_lPS5_llPT2_S5_S5_S7_l.private_seg_size, 992
	.set _ZN9rocsolver6v33100L18getf2_small_kernelILi61E19rocblas_complex_numIdEiiPS3_EEvT1_T3_lS5_lPS5_llPT2_S5_S5_S7_l.uses_vcc, 1
	.set _ZN9rocsolver6v33100L18getf2_small_kernelILi61E19rocblas_complex_numIdEiiPS3_EEvT1_T3_lS5_lPS5_llPT2_S5_S5_S7_l.uses_flat_scratch, 0
	.set _ZN9rocsolver6v33100L18getf2_small_kernelILi61E19rocblas_complex_numIdEiiPS3_EEvT1_T3_lS5_lPS5_llPT2_S5_S5_S7_l.has_dyn_sized_stack, 0
	.set _ZN9rocsolver6v33100L18getf2_small_kernelILi61E19rocblas_complex_numIdEiiPS3_EEvT1_T3_lS5_lPS5_llPT2_S5_S5_S7_l.has_recursion, 0
	.set _ZN9rocsolver6v33100L18getf2_small_kernelILi61E19rocblas_complex_numIdEiiPS3_EEvT1_T3_lS5_lPS5_llPT2_S5_S5_S7_l.has_indirect_call, 0
	.section	.AMDGPU.csdata,"",@progbits
; Kernel info:
; codeLenInByte = 136740
; TotalNumSgprs: 106
; NumVgprs: 129
; NumAgprs: 0
; TotalNumVgprs: 129
; ScratchSize: 992
; MemoryBound: 0
; FloatMode: 240
; IeeeMode: 1
; LDSByteSize: 0 bytes/workgroup (compile time only)
; SGPRBlocks: 13
; VGPRBlocks: 16
; NumSGPRsForWavesPerEU: 106
; NumVGPRsForWavesPerEU: 129
; AccumOffset: 132
; Occupancy: 3
; WaveLimiterHint : 1
; COMPUTE_PGM_RSRC2:SCRATCH_EN: 1
; COMPUTE_PGM_RSRC2:USER_SGPR: 2
; COMPUTE_PGM_RSRC2:TRAP_HANDLER: 0
; COMPUTE_PGM_RSRC2:TGID_X_EN: 1
; COMPUTE_PGM_RSRC2:TGID_Y_EN: 1
; COMPUTE_PGM_RSRC2:TGID_Z_EN: 0
; COMPUTE_PGM_RSRC2:TIDIG_COMP_CNT: 1
; COMPUTE_PGM_RSRC3_GFX90A:ACCUM_OFFSET: 32
; COMPUTE_PGM_RSRC3_GFX90A:TG_SPLIT: 0
	.section	.text._ZN9rocsolver6v33100L23getf2_npvt_small_kernelILi61E19rocblas_complex_numIdEiiPS3_EEvT1_T3_lS5_lPT2_S5_S5_,"axG",@progbits,_ZN9rocsolver6v33100L23getf2_npvt_small_kernelILi61E19rocblas_complex_numIdEiiPS3_EEvT1_T3_lS5_lPT2_S5_S5_,comdat
	.globl	_ZN9rocsolver6v33100L23getf2_npvt_small_kernelILi61E19rocblas_complex_numIdEiiPS3_EEvT1_T3_lS5_lPT2_S5_S5_ ; -- Begin function _ZN9rocsolver6v33100L23getf2_npvt_small_kernelILi61E19rocblas_complex_numIdEiiPS3_EEvT1_T3_lS5_lPT2_S5_S5_
	.p2align	8
	.type	_ZN9rocsolver6v33100L23getf2_npvt_small_kernelILi61E19rocblas_complex_numIdEiiPS3_EEvT1_T3_lS5_lPT2_S5_S5_,@function
_ZN9rocsolver6v33100L23getf2_npvt_small_kernelILi61E19rocblas_complex_numIdEiiPS3_EEvT1_T3_lS5_lPT2_S5_S5_: ; @_ZN9rocsolver6v33100L23getf2_npvt_small_kernelILi61E19rocblas_complex_numIdEiiPS3_EEvT1_T3_lS5_lPT2_S5_S5_
; %bb.0:
	s_load_dword s2, s[0:1], 0x44
	s_load_dwordx2 s[8:9], s[0:1], 0x30
	v_bfe_u32 v18, v0, 10, 10
	s_waitcnt lgkmcnt(0)
	s_lshr_b32 s10, s2, 16
	s_mul_i32 s3, s3, s10
	v_add_u32_e32 v246, s3, v18
	v_cmp_gt_i32_e32 vcc, s8, v246
	s_and_saveexec_b64 s[2:3], vcc
	s_cbranch_execz .LBB121_654
; %bb.1:
	s_load_dwordx4 s[12:15], s[0:1], 0x8
	s_load_dword s2, s[0:1], 0x18
	s_load_dwordx4 s[4:7], s[0:1], 0x20
	v_ashrrev_i32_e32 v247, 31, v246
	v_and_b32_e32 v252, 0x3ff, v0
	s_waitcnt lgkmcnt(0)
	v_mov_b32_e32 v2, s12
	v_mov_b32_e32 v3, s13
	v_mul_lo_u32 v4, s5, v246
	v_mul_lo_u32 v5, s4, v247
	v_mad_u64_u32 v[0:1], s[0:1], s4, v246, 0
	v_add3_u32 v1, v1, v5, v4
	v_lshl_add_u64 v[0:1], v[0:1], 4, v[2:3]
	v_lshl_add_u64 v[16:17], s[14:15], 4, v[0:1]
	v_lshlrev_b32_e32 v0, 4, v252
	v_mov_b32_e32 v1, 0
	s_add_i32 s0, s2, s2
	v_lshl_add_u64 v[244:245], v[16:17], 0, v[0:1]
	v_add_u32_e32 v0, s0, v252
	v_add_u32_e32 v20, s2, v0
	v_ashrrev_i32_e32 v21, 31, v20
	v_lshl_add_u64 v[4:5], v[20:21], 4, v[16:17]
	v_add_u32_e32 v20, s2, v20
	v_add_u32_e32 v28, s2, v20
	v_ashrrev_i32_e32 v29, 31, v28
	v_lshl_add_u64 v[24:25], v[28:29], 4, v[16:17]
	v_add_u32_e32 v28, s2, v28
	v_ashrrev_i32_e32 v29, 31, v28
	v_lshl_add_u64 v[30:31], v[28:29], 4, v[16:17]
	v_add_u32_e32 v28, s2, v28
	v_add_u32_e32 v36, s2, v28
	v_ashrrev_i32_e32 v1, 31, v0
	v_add_u32_e32 v38, s2, v36
	v_lshl_add_u64 v[2:3], v[0:1], 4, v[16:17]
	global_load_dwordx4 v[12:15], v[244:245], off
	v_add_u32_e32 v44, s2, v38
	s_ashr_i32 s3, s2, 31
	scratch_store_dwordx2 off, v[2:3], off offset:976 ; 8-byte Folded Spill
	global_load_dwordx4 v[0:3], v[2:3], off
	v_add_u32_e32 v46, s2, v44
	scratch_store_dwordx2 off, v[4:5], off offset:984 ; 8-byte Folded Spill
	global_load_dwordx4 v[4:7], v[4:5], off
	v_lshl_add_u64 v[8:9], s[2:3], 4, v[244:245]
	v_ashrrev_i32_e32 v21, 31, v20
	v_add_u32_e32 v52, s2, v46
	scratch_store_dwordx2 off, v[8:9], off offset:1008 ; 8-byte Folded Spill
	global_load_dwordx4 v[8:11], v[8:9], off
	v_lshl_add_u64 v[22:23], v[20:21], 4, v[16:17]
	v_ashrrev_i32_e32 v53, 31, v52
	scratch_store_dwordx2 off, v[22:23], off offset:992 ; 8-byte Folded Spill
	global_load_dwordx4 v[20:23], v[22:23], off
	v_lshl_add_u64 v[54:55], v[52:53], 4, v[16:17]
	v_add_u32_e32 v52, s2, v52
	scratch_store_dwordx2 off, v[24:25], off offset:1000 ; 8-byte Folded Spill
	global_load_dwordx4 v[24:27], v[24:25], off
	v_ashrrev_i32_e32 v29, 31, v28
	v_add_u32_e32 v60, s2, v52
	v_lshl_add_u64 v[32:33], v[28:29], 4, v[16:17]
	v_ashrrev_i32_e32 v37, 31, v36
	scratch_store_dwordx2 off, v[30:31], off offset:1016 ; 8-byte Folded Spill
	global_load_dwordx4 v[28:31], v[30:31], off
	v_add_u32_e32 v62, s2, v60
	scratch_store_dwordx2 off, v[32:33], off offset:1024 ; 8-byte Folded Spill
	global_load_dwordx4 v[32:35], v[32:33], off
	v_lshl_add_u64 v[36:37], v[36:37], 4, v[16:17]
	v_ashrrev_i32_e32 v39, 31, v38
	v_add_u32_e32 v68, s2, v62
	v_lshl_add_u64 v[40:41], v[38:39], 4, v[16:17]
	v_ashrrev_i32_e32 v45, 31, v44
	scratch_store_dwordx2 off, v[36:37], off offset:1032 ; 8-byte Folded Spill
	global_load_dwordx4 v[36:39], v[36:37], off
	v_ashrrev_i32_e32 v69, 31, v68
	scratch_store_dwordx2 off, v[40:41], off offset:1040 ; 8-byte Folded Spill
	global_load_dwordx4 v[40:43], v[40:41], off
	v_lshl_add_u64 v[44:45], v[44:45], 4, v[16:17]
	v_ashrrev_i32_e32 v47, 31, v46
	v_lshl_add_u64 v[70:71], v[68:69], 4, v[16:17]
	v_add_u32_e32 v68, s2, v68
	v_lshl_add_u64 v[48:49], v[46:47], 4, v[16:17]
	scratch_store_dwordx2 off, v[44:45], off offset:1048 ; 8-byte Folded Spill
	global_load_dwordx4 v[44:47], v[44:45], off
	v_add_u32_e32 v76, s2, v68
	scratch_store_dwordx2 off, v[48:49], off offset:1056 ; 8-byte Folded Spill
	global_load_dwordx4 v[48:51], v[48:49], off
	v_ashrrev_i32_e32 v53, 31, v52
	v_add_u32_e32 v84, s2, v76
	v_lshl_add_u64 v[56:57], v[52:53], 4, v[16:17]
	v_ashrrev_i32_e32 v61, 31, v60
	scratch_store_dwordx2 off, v[54:55], off offset:1064 ; 8-byte Folded Spill
	global_load_dwordx4 v[52:55], v[54:55], off
	v_ashrrev_i32_e32 v85, 31, v84
	scratch_store_dwordx2 off, v[56:57], off offset:1072 ; 8-byte Folded Spill
	global_load_dwordx4 v[56:59], v[56:57], off
	v_lshl_add_u64 v[60:61], v[60:61], 4, v[16:17]
	v_ashrrev_i32_e32 v63, 31, v62
	v_lshl_add_u64 v[80:81], v[84:85], 4, v[16:17]
	v_add_u32_e32 v84, s2, v84
	v_lshl_add_u64 v[64:65], v[62:63], 4, v[16:17]
	scratch_store_dwordx2 off, v[60:61], off offset:1080 ; 8-byte Folded Spill
	global_load_dwordx4 v[60:63], v[60:61], off
	v_add_u32_e32 v92, s2, v84
	scratch_store_dwordx2 off, v[64:65], off offset:1088 ; 8-byte Folded Spill
	global_load_dwordx4 v[64:67], v[64:65], off
	v_ashrrev_i32_e32 v69, 31, v68
	v_ashrrev_i32_e32 v93, 31, v92
	v_lshl_add_u64 v[72:73], v[68:69], 4, v[16:17]
	scratch_store_dwordx2 off, v[70:71], off offset:1096 ; 8-byte Folded Spill
	global_load_dwordx4 v[68:71], v[70:71], off
	v_ashrrev_i32_e32 v77, 31, v76
	v_lshl_add_u64 v[88:89], v[92:93], 4, v[16:17]
	v_add_u32_e32 v92, s2, v92
	scratch_store_dwordx2 off, v[72:73], off offset:1104 ; 8-byte Folded Spill
	global_load_dwordx4 v[72:75], v[72:73], off
	v_lshl_add_u64 v[78:79], v[76:77], 4, v[16:17]
	v_add_u32_e32 v100, s2, v92
	scratch_store_dwordx2 off, v[78:79], off offset:1112 ; 8-byte Folded Spill
	global_load_dwordx4 v[76:79], v[78:79], off
	v_ashrrev_i32_e32 v85, 31, v84
	v_ashrrev_i32_e32 v101, 31, v100
	scratch_store_dwordx2 off, v[80:81], off offset:1120 ; 8-byte Folded Spill
	global_load_dwordx4 v[80:83], v[80:81], off
	v_lshl_add_u64 v[86:87], v[84:85], 4, v[16:17]
	v_lshl_add_u64 v[96:97], v[100:101], 4, v[16:17]
	v_add_u32_e32 v100, s2, v100
	scratch_store_dwordx2 off, v[86:87], off offset:1128 ; 8-byte Folded Spill
	global_load_dwordx4 v[84:87], v[86:87], off
	v_ashrrev_i32_e32 v93, 31, v92
	v_add_u32_e32 v108, s2, v100
	scratch_store_dwordx2 off, v[88:89], off offset:1136 ; 8-byte Folded Spill
	global_load_dwordx4 v[88:91], v[88:89], off
	v_lshl_add_u64 v[94:95], v[92:93], 4, v[16:17]
	v_ashrrev_i32_e32 v109, 31, v108
	scratch_store_dwordx2 off, v[94:95], off offset:1144 ; 8-byte Folded Spill
	global_load_dwordx4 v[92:95], v[94:95], off
	v_ashrrev_i32_e32 v101, 31, v100
	v_lshl_add_u64 v[104:105], v[108:109], 4, v[16:17]
	v_add_u32_e32 v108, s2, v108
	scratch_store_dwordx2 off, v[96:97], off offset:1152 ; 8-byte Folded Spill
	global_load_dwordx4 v[96:99], v[96:97], off
	v_lshl_add_u64 v[102:103], v[100:101], 4, v[16:17]
	v_add_u32_e32 v116, s2, v108
	scratch_store_dwordx2 off, v[102:103], off offset:1160 ; 8-byte Folded Spill
	global_load_dwordx4 v[100:103], v[102:103], off
	v_ashrrev_i32_e32 v109, 31, v108
	v_ashrrev_i32_e32 v117, 31, v116
	scratch_store_dwordx2 off, v[104:105], off offset:1168 ; 8-byte Folded Spill
	global_load_dwordx4 v[104:107], v[104:105], off
	v_lshl_add_u64 v[110:111], v[108:109], 4, v[16:17]
	v_lshl_add_u64 v[112:113], v[116:117], 4, v[16:17]
	v_add_u32_e32 v116, s2, v116
	scratch_store_dwordx2 off, v[110:111], off offset:1176 ; 8-byte Folded Spill
	global_load_dwordx4 v[108:111], v[110:111], off
	v_ashrrev_i32_e32 v117, 31, v116
	v_add_u32_e32 v124, s2, v116
	scratch_store_dwordx2 off, v[112:113], off offset:1184 ; 8-byte Folded Spill
	global_load_dwordx4 v[112:115], v[112:113], off
	v_lshl_add_u64 v[118:119], v[116:117], 4, v[16:17]
	v_ashrrev_i32_e32 v125, 31, v124
	v_lshl_add_u64 v[120:121], v[124:125], 4, v[16:17]
	scratch_store_dwordx2 off, v[118:119], off offset:1192 ; 8-byte Folded Spill
	global_load_dwordx4 v[116:119], v[118:119], off
	s_mulk_i32 s10, 0x3d0
	scratch_store_dwordx2 off, v[120:121], off offset:1200 ; 8-byte Folded Spill
	global_load_dwordx4 v[120:123], v[120:121], off
	s_waitcnt vmcnt(58)
	scratch_store_dwordx4 off, v[12:15], off
	s_waitcnt vmcnt(57)
	scratch_store_dwordx4 off, v[0:3], off offset:32
	s_waitcnt vmcnt(56)
	scratch_store_dwordx4 off, v[4:7], off offset:48
	;; [unrolled: 2-line block ×29, first 2 shown]
	v_add_u32_e32 v0, s2, v124
	v_add_u32_e32 v8, s2, v0
	v_ashrrev_i32_e32 v9, 31, v8
	v_lshl_add_u64 v[4:5], v[8:9], 4, v[16:17]
	v_add_u32_e32 v8, s2, v8
	v_add_u32_e32 v20, s2, v8
	v_ashrrev_i32_e32 v21, 31, v20
	v_lshl_add_u64 v[12:13], v[20:21], 4, v[16:17]
	;; [unrolled: 4-line block ×5, first 2 shown]
	v_add_u32_e32 v44, s2, v44
	v_ashrrev_i32_e32 v1, 31, v0
	v_add_u32_e32 v52, s2, v44
	v_lshl_add_u64 v[2:3], v[0:1], 4, v[16:17]
	v_ashrrev_i32_e32 v53, 31, v52
	scratch_store_dwordx2 off, v[2:3], off offset:1208 ; 8-byte Folded Spill
	global_load_dwordx4 v[0:3], v[2:3], off
	v_ashrrev_i32_e32 v9, 31, v8
	v_lshl_add_u64 v[48:49], v[52:53], 4, v[16:17]
	v_add_u32_e32 v52, s2, v52
	scratch_store_dwordx2 off, v[4:5], off offset:1216 ; 8-byte Folded Spill
	global_load_dwordx4 v[4:7], v[4:5], off
	v_lshl_add_u64 v[10:11], v[8:9], 4, v[16:17]
	v_add_u32_e32 v60, s2, v52
	scratch_store_dwordx2 off, v[10:11], off offset:1224 ; 8-byte Folded Spill
	global_load_dwordx4 v[8:11], v[10:11], off
	v_ashrrev_i32_e32 v21, 31, v20
	v_ashrrev_i32_e32 v61, 31, v60
	scratch_store_dwordx2 off, v[12:13], off offset:1232 ; 8-byte Folded Spill
	global_load_dwordx4 v[12:15], v[12:13], off
	v_lshl_add_u64 v[22:23], v[20:21], 4, v[16:17]
	v_lshl_add_u64 v[56:57], v[60:61], 4, v[16:17]
	v_add_u32_e32 v60, s2, v60
	scratch_store_dwordx2 off, v[22:23], off offset:1240 ; 8-byte Folded Spill
	global_load_dwordx4 v[20:23], v[22:23], off
	v_ashrrev_i32_e32 v29, 31, v28
	v_add_u32_e32 v68, s2, v60
	scratch_store_dwordx2 off, v[24:25], off offset:1248 ; 8-byte Folded Spill
	global_load_dwordx4 v[24:27], v[24:25], off
	v_lshl_add_u64 v[30:31], v[28:29], 4, v[16:17]
	v_ashrrev_i32_e32 v69, 31, v68
	scratch_store_dwordx2 off, v[30:31], off offset:1256 ; 8-byte Folded Spill
	global_load_dwordx4 v[28:31], v[30:31], off
	v_ashrrev_i32_e32 v37, 31, v36
	v_lshl_add_u64 v[64:65], v[68:69], 4, v[16:17]
	v_add_u32_e32 v68, s2, v68
	scratch_store_dwordx2 off, v[32:33], off offset:1264 ; 8-byte Folded Spill
	global_load_dwordx4 v[32:35], v[32:33], off
	v_lshl_add_u64 v[38:39], v[36:37], 4, v[16:17]
	v_add_u32_e32 v76, s2, v68
	scratch_store_dwordx2 off, v[38:39], off offset:1272 ; 8-byte Folded Spill
	global_load_dwordx4 v[36:39], v[38:39], off
	v_ashrrev_i32_e32 v45, 31, v44
	v_ashrrev_i32_e32 v77, 31, v76
	scratch_store_dwordx2 off, v[40:41], off offset:1280 ; 8-byte Folded Spill
	global_load_dwordx4 v[40:43], v[40:41], off
	v_lshl_add_u64 v[46:47], v[44:45], 4, v[16:17]
	v_lshl_add_u64 v[72:73], v[76:77], 4, v[16:17]
	v_add_u32_e32 v76, s2, v76
	scratch_store_dwordx2 off, v[46:47], off offset:1288 ; 8-byte Folded Spill
	global_load_dwordx4 v[44:47], v[46:47], off
	v_ashrrev_i32_e32 v53, 31, v52
	v_add_u32_e32 v84, s2, v76
	scratch_store_dwordx2 off, v[48:49], off offset:1296 ; 8-byte Folded Spill
	global_load_dwordx4 v[48:51], v[48:49], off
	;; [unrolled: 26-line block ×4, first 2 shown]
	v_lshl_add_u64 v[102:103], v[100:101], 4, v[16:17]
	v_ashrrev_i32_e32 v117, 31, v116
	scratch_store_dwordx2 off, v[102:103], off offset:1400 ; 8-byte Folded Spill
	global_load_dwordx4 v[100:103], v[102:103], off
	v_ashrrev_i32_e32 v109, 31, v108
	v_lshl_add_u64 v[112:113], v[116:117], 4, v[16:17]
	v_add_u32_e32 v116, s2, v116
	scratch_store_dwordx2 off, v[104:105], off offset:1408 ; 8-byte Folded Spill
	global_load_dwordx4 v[104:107], v[104:105], off
	v_lshl_add_u64 v[110:111], v[108:109], 4, v[16:17]
	v_add_u32_e32 v124, s2, v116
	scratch_store_dwordx2 off, v[110:111], off offset:1416 ; 8-byte Folded Spill
	global_load_dwordx4 v[108:111], v[110:111], off
	v_ashrrev_i32_e32 v117, 31, v116
	v_ashrrev_i32_e32 v125, 31, v124
	scratch_store_dwordx2 off, v[112:113], off offset:1424 ; 8-byte Folded Spill
	global_load_dwordx4 v[112:115], v[112:113], off
	v_lshl_add_u64 v[118:119], v[116:117], 4, v[16:17]
	v_lshl_add_u64 v[120:121], v[124:125], 4, v[16:17]
	v_add_u32_e32 v124, s2, v124
	scratch_store_dwordx2 off, v[118:119], off offset:1432 ; 8-byte Folded Spill
	global_load_dwordx4 v[116:119], v[118:119], off
	v_ashrrev_i32_e32 v125, 31, v124
	scratch_store_dwordx2 off, v[120:121], off offset:1440 ; 8-byte Folded Spill
	global_load_dwordx4 v[120:123], v[120:121], off
	v_lshl_add_u64 v[254:255], v[124:125], 4, v[16:17]
	global_load_dwordx4 v[124:127], v[254:255], off
	s_waitcnt vmcnt(59)
	scratch_store_dwordx4 off, v[0:3], off offset:480
	s_waitcnt vmcnt(58)
	scratch_store_dwordx4 off, v[4:7], off offset:496
	;; [unrolled: 2-line block ×31, first 2 shown]
	s_add_i32 s0, s10, 0
	v_mul_u32_u24_e32 v20, 0x3d0, v18
	s_movk_i32 s8, 0x50
	s_movk_i32 s12, 0x60
	;; [unrolled: 1-line block ×56, first 2 shown]
	v_lshl_add_u32 v253, v18, 4, s0
	v_cmp_ne_u32_e64 s[2:3], 0, v252
	v_cmp_eq_u32_e64 s[0:1], 0, v252
	v_add3_u32 v8, v20, 0, 16
	s_and_saveexec_b64 s[10:11], s[0:1]
	s_cbranch_execz .LBB121_10
; %bb.2:
	global_load_dwordx4 v[0:3], v[244:245], off
	s_movk_i32 s4, 0xfc40
	s_waitcnt vmcnt(0)
	ds_write2_b64 v253, v[0:1], v[2:3] offset1:1
.LBB121_3:                              ; =>This Inner Loop Header: Depth=1
	s_add_i32 s39, s4, 0x3d0
	scratch_load_dwordx4 v[0:3], off, s39
	v_add_u32_e32 v4, s4, v8
	s_add_i32 s39, s4, 0x3e0
	s_add_i32 s5, s4, 0x4b0
	s_waitcnt vmcnt(0)
	ds_write2_b64 v4, v[0:1], v[2:3] offset0:120 offset1:121
	scratch_load_dwordx4 v[0:3], off, s39
	s_add_i32 s39, s4, 0x3f0
	s_waitcnt vmcnt(0)
	ds_write2_b64 v4, v[0:1], v[2:3] offset0:122 offset1:123
	scratch_load_dwordx4 v[0:3], off, s39
	;; [unrolled: 4-line block ×12, first 2 shown]
	s_add_i32 s39, s4, 0x4a0
	s_addk_i32 s4, 0xf0
	s_cmp_eq_u32 s4, 0
	s_waitcnt vmcnt(0)
	ds_write2_b64 v4, v[0:1], v[2:3] offset0:144 offset1:145
	scratch_load_dwordx4 v[0:3], off, s39
	s_waitcnt vmcnt(0)
	ds_write2_b64 v4, v[0:1], v[2:3] offset0:146 offset1:147
	scratch_load_dwordx4 v[0:3], off, s5
	s_waitcnt vmcnt(0)
	ds_write2_b64 v4, v[0:1], v[2:3] offset0:148 offset1:149
	s_cbranch_scc0 .LBB121_3
; %bb.4:
	ds_read2_b64 v[0:3], v253 offset1:1
	s_waitcnt lgkmcnt(0)
	v_cmp_neq_f64_e32 vcc, 0, v[0:1]
	v_cmp_neq_f64_e64 s[4:5], 0, v[2:3]
	s_or_b64 s[4:5], vcc, s[4:5]
	s_and_b64 exec, exec, s[4:5]
	s_cbranch_execz .LBB121_10
; %bb.5:
	v_cmp_ngt_f64_e64 s[4:5], |v[0:1]|, |v[2:3]|
                                        ; implicit-def: $vgpr4_vgpr5
	s_and_saveexec_b64 s[40:41], s[4:5]
	s_xor_b64 s[4:5], exec, s[40:41]
                                        ; implicit-def: $vgpr6_vgpr7
	s_cbranch_execz .LBB121_7
; %bb.6:
	v_div_scale_f64 v[4:5], s[40:41], v[2:3], v[2:3], v[0:1]
	v_rcp_f64_e32 v[6:7], v[4:5]
	v_div_scale_f64 v[10:11], vcc, v[0:1], v[2:3], v[0:1]
	v_fma_f64 v[12:13], -v[4:5], v[6:7], 1.0
	v_fmac_f64_e32 v[6:7], v[6:7], v[12:13]
	v_fma_f64 v[12:13], -v[4:5], v[6:7], 1.0
	v_fmac_f64_e32 v[6:7], v[6:7], v[12:13]
	v_mul_f64 v[12:13], v[10:11], v[6:7]
	v_fma_f64 v[4:5], -v[4:5], v[12:13], v[10:11]
	v_div_fmas_f64 v[4:5], v[4:5], v[6:7], v[12:13]
	v_div_fixup_f64 v[4:5], v[4:5], v[2:3], v[0:1]
	v_fmac_f64_e32 v[2:3], v[0:1], v[4:5]
	v_div_scale_f64 v[0:1], s[40:41], v[2:3], v[2:3], 1.0
	v_rcp_f64_e32 v[6:7], v[0:1]
	s_nop 0
	v_fma_f64 v[10:11], -v[0:1], v[6:7], 1.0
	v_fmac_f64_e32 v[6:7], v[6:7], v[10:11]
	v_fma_f64 v[10:11], -v[0:1], v[6:7], 1.0
	v_fmac_f64_e32 v[6:7], v[6:7], v[10:11]
	v_div_scale_f64 v[10:11], vcc, 1.0, v[2:3], 1.0
	v_mul_f64 v[12:13], v[10:11], v[6:7]
	v_fma_f64 v[0:1], -v[0:1], v[12:13], v[10:11]
	s_nop 1
	v_div_fmas_f64 v[0:1], v[0:1], v[6:7], v[12:13]
	v_div_fixup_f64 v[6:7], v[0:1], v[2:3], 1.0
	v_mul_f64 v[4:5], v[4:5], v[6:7]
	v_xor_b32_e32 v7, 0x80000000, v7
                                        ; implicit-def: $vgpr0_vgpr1
.LBB121_7:
	s_andn2_saveexec_b64 s[4:5], s[4:5]
	s_cbranch_execz .LBB121_9
; %bb.8:
	v_div_scale_f64 v[4:5], s[40:41], v[0:1], v[0:1], v[2:3]
	v_rcp_f64_e32 v[6:7], v[4:5]
	v_div_scale_f64 v[10:11], vcc, v[2:3], v[0:1], v[2:3]
	v_fma_f64 v[12:13], -v[4:5], v[6:7], 1.0
	v_fmac_f64_e32 v[6:7], v[6:7], v[12:13]
	v_fma_f64 v[12:13], -v[4:5], v[6:7], 1.0
	v_fmac_f64_e32 v[6:7], v[6:7], v[12:13]
	v_mul_f64 v[12:13], v[10:11], v[6:7]
	v_fma_f64 v[4:5], -v[4:5], v[12:13], v[10:11]
	v_div_fmas_f64 v[4:5], v[4:5], v[6:7], v[12:13]
	v_div_fixup_f64 v[6:7], v[4:5], v[0:1], v[2:3]
	v_fmac_f64_e32 v[0:1], v[2:3], v[6:7]
	v_div_scale_f64 v[2:3], s[40:41], v[0:1], v[0:1], 1.0
	v_rcp_f64_e32 v[4:5], v[2:3]
	s_nop 0
	v_fma_f64 v[10:11], -v[2:3], v[4:5], 1.0
	v_fmac_f64_e32 v[4:5], v[4:5], v[10:11]
	v_fma_f64 v[10:11], -v[2:3], v[4:5], 1.0
	v_fmac_f64_e32 v[4:5], v[4:5], v[10:11]
	v_div_scale_f64 v[10:11], vcc, 1.0, v[0:1], 1.0
	v_mul_f64 v[12:13], v[10:11], v[4:5]
	v_fma_f64 v[2:3], -v[2:3], v[12:13], v[10:11]
	s_nop 1
	v_div_fmas_f64 v[2:3], v[2:3], v[4:5], v[12:13]
	v_div_fixup_f64 v[4:5], v[2:3], v[0:1], 1.0
	v_mul_f64 v[6:7], v[6:7], -v[4:5]
.LBB121_9:
	s_or_b64 exec, exec, s[4:5]
	ds_write2_b64 v253, v[4:5], v[6:7] offset1:1
.LBB121_10:
	s_or_b64 exec, exec, s[10:11]
	s_waitcnt lgkmcnt(0)
	s_barrier
	ds_read2_b64 v[34:37], v253 offset1:1
	s_mov_b32 s69, 16
	s_mov_b32 s68, 32
	;; [unrolled: 1-line block ×23, first 2 shown]
	s_mov_b32 vcc_lo, s30
	s_mov_b32 s45, s31
	s_mov_b32 s44, s33
	;; [unrolled: 1-line block ×36, first 2 shown]
	s_and_saveexec_b64 s[4:5], s[2:3]
	s_cbranch_execz .LBB121_13
; %bb.11:
	scratch_load_dwordx4 v[10:13], off, off
	s_movk_i32 s2, 0xfc40
	s_waitcnt vmcnt(0) lgkmcnt(0)
	v_mul_f64 v[0:1], v[36:37], v[12:13]
	v_mul_f64 v[6:7], v[34:35], v[12:13]
	v_fma_f64 v[4:5], v[34:35], v[10:11], -v[0:1]
	v_fmac_f64_e32 v[6:7], v[36:37], v[10:11]
	scratch_store_dwordx4 off, v[4:7], off
.LBB121_12:                             ; =>This Inner Loop Header: Depth=1
	v_add_u32_e32 v9, s2, v8
	ds_read2_b64 v[10:13], v9 offset0:120 offset1:121
	s_add_i32 s46, s2, 0x3d0
	s_add_i32 s3, s2, 0x460
	s_waitcnt lgkmcnt(0)
	v_mul_f64 v[0:1], v[12:13], v[6:7]
	v_mul_f64 v[2:3], v[10:11], v[6:7]
	v_fma_f64 v[0:1], v[10:11], v[4:5], -v[0:1]
	v_fmac_f64_e32 v[2:3], v[12:13], v[4:5]
	scratch_load_dwordx4 v[10:13], off, s46
	s_waitcnt vmcnt(0)
	v_add_f64 v[10:11], v[10:11], -v[0:1]
	v_add_f64 v[12:13], v[12:13], -v[2:3]
	scratch_store_dwordx4 off, v[10:13], s46
	ds_read2_b64 v[10:13], v9 offset0:122 offset1:123
	s_add_i32 s46, s2, 0x3e0
	s_waitcnt lgkmcnt(0)
	v_mul_f64 v[0:1], v[12:13], v[6:7]
	v_mul_f64 v[2:3], v[10:11], v[6:7]
	v_fma_f64 v[0:1], v[10:11], v[4:5], -v[0:1]
	v_fmac_f64_e32 v[2:3], v[12:13], v[4:5]
	scratch_load_dwordx4 v[10:13], off, s46
	s_waitcnt vmcnt(0)
	v_add_f64 v[10:11], v[10:11], -v[0:1]
	v_add_f64 v[12:13], v[12:13], -v[2:3]
	scratch_store_dwordx4 off, v[10:13], s46
	ds_read2_b64 v[10:13], v9 offset0:124 offset1:125
	;; [unrolled: 12-line block ×8, first 2 shown]
	s_add_i32 s46, s2, 0x450
	s_addk_i32 s2, 0xa0
	s_cmp_lg_u32 s2, 0
	s_waitcnt lgkmcnt(0)
	v_mul_f64 v[0:1], v[12:13], v[6:7]
	v_mul_f64 v[2:3], v[10:11], v[6:7]
	v_fma_f64 v[0:1], v[10:11], v[4:5], -v[0:1]
	v_fmac_f64_e32 v[2:3], v[12:13], v[4:5]
	scratch_load_dwordx4 v[10:13], off, s46
	s_waitcnt vmcnt(0)
	v_add_f64 v[10:11], v[10:11], -v[0:1]
	v_add_f64 v[12:13], v[12:13], -v[2:3]
	scratch_store_dwordx4 off, v[10:13], s46
	ds_read2_b64 v[10:13], v9 offset0:138 offset1:139
	s_waitcnt lgkmcnt(0)
	v_mul_f64 v[0:1], v[12:13], v[6:7]
	v_mul_f64 v[2:3], v[10:11], v[6:7]
	v_fma_f64 v[0:1], v[10:11], v[4:5], -v[0:1]
	v_fmac_f64_e32 v[2:3], v[12:13], v[4:5]
	scratch_load_dwordx4 v[10:13], off, s3
	s_waitcnt vmcnt(0)
	v_add_f64 v[10:11], v[10:11], -v[0:1]
	v_add_f64 v[12:13], v[12:13], -v[2:3]
	scratch_store_dwordx4 off, v[10:13], s3
	s_cbranch_scc1 .LBB121_12
.LBB121_13:
	s_or_b64 exec, exec, s[4:5]
	s_mov_b32 s85, vcc_lo
	v_cmp_eq_u32_e32 vcc, 1, v252
	v_add3_u32 v12, v20, 0, 32
	s_waitcnt lgkmcnt(0)
	s_barrier
	s_and_saveexec_b64 s[4:5], vcc
	s_cbranch_execz .LBB121_24
; %bb.14:
	scratch_load_dwordx4 v[4:7], off, s69
	s_mov_b32 s46, 0
	s_waitcnt vmcnt(0)
	ds_write2_b64 v253, v[4:5], v[6:7] offset1:1
	s_branch .LBB121_16
.LBB121_15:                             ;   in Loop: Header=BB121_16 Depth=1
	s_andn2_b64 vcc, exec, s[2:3]
	s_cbranch_vccz .LBB121_18
.LBB121_16:                             ; =>This Inner Loop Header: Depth=1
	s_add_i32 s2, s46, 32
	s_add_i32 s3, s46, 48
	scratch_load_dwordx4 v[6:9], off, s2
	scratch_load_dwordx4 v[14:17], off, s3
	s_add_i32 s2, s46, 64
	scratch_load_dwordx4 v[22:25], off, s2
	s_mov_b32 s70, s46
	v_add_u32_e32 v4, s46, v12
	s_cmpk_eq_i32 s46, 0x380
	s_mov_b64 s[2:3], -1
	s_waitcnt vmcnt(2)
	ds_write2_b64 v4, v[6:7], v[8:9] offset1:1
	s_waitcnt vmcnt(1)
	ds_write2_b64 v4, v[14:15], v[16:17] offset0:2 offset1:3
	s_waitcnt vmcnt(0)
	ds_write2_b64 v4, v[22:23], v[24:25] offset0:4 offset1:5
	s_cbranch_scc1 .LBB121_15
; %bb.17:                               ;   in Loop: Header=BB121_16 Depth=1
	s_add_i32 s2, s70, 0x50
	s_add_i32 s3, s70, 0x60
	scratch_load_dwordx4 v[6:9], off, s2
	scratch_load_dwordx4 v[14:17], off, s3
	s_add_i32 s2, s70, 0x70
	s_add_i32 s3, s70, 0x80
	scratch_load_dwordx4 v[22:25], off, s2
	scratch_load_dwordx4 v[26:29], off, s3
	s_addk_i32 s70, 0x90
	scratch_load_dwordx4 v[30:33], off, s70
	s_addk_i32 s46, 0x80
	s_mov_b64 s[2:3], 0
	s_waitcnt vmcnt(4)
	ds_write2_b64 v4, v[6:7], v[8:9] offset0:6 offset1:7
	s_waitcnt vmcnt(3)
	ds_write2_b64 v4, v[14:15], v[16:17] offset0:8 offset1:9
	;; [unrolled: 2-line block ×5, first 2 shown]
	s_branch .LBB121_15
.LBB121_18:
	ds_read2_b64 v[4:7], v253 offset1:1
	s_waitcnt lgkmcnt(0)
	v_cmp_neq_f64_e32 vcc, 0, v[4:5]
	v_cmp_neq_f64_e64 s[2:3], 0, v[6:7]
	s_or_b64 s[2:3], vcc, s[2:3]
	s_and_b64 exec, exec, s[2:3]
	s_cbranch_execz .LBB121_24
; %bb.19:
	v_cmp_ngt_f64_e64 s[2:3], |v[4:5]|, |v[6:7]|
                                        ; implicit-def: $vgpr8_vgpr9
	s_and_saveexec_b64 s[70:71], s[2:3]
	s_xor_b64 s[2:3], exec, s[70:71]
                                        ; implicit-def: $vgpr10_vgpr11
	s_cbranch_execz .LBB121_21
; %bb.20:
	v_div_scale_f64 v[0:1], s[70:71], v[6:7], v[6:7], v[4:5]
	v_rcp_f64_e32 v[2:3], v[0:1]
	v_div_scale_f64 v[8:9], vcc, v[4:5], v[6:7], v[4:5]
	v_fma_f64 v[10:11], -v[0:1], v[2:3], 1.0
	v_fmac_f64_e32 v[2:3], v[2:3], v[10:11]
	v_fma_f64 v[10:11], -v[0:1], v[2:3], 1.0
	v_fmac_f64_e32 v[2:3], v[2:3], v[10:11]
	v_mul_f64 v[10:11], v[8:9], v[2:3]
	v_fma_f64 v[0:1], -v[0:1], v[10:11], v[8:9]
	v_div_fmas_f64 v[0:1], v[0:1], v[2:3], v[10:11]
	v_div_fixup_f64 v[0:1], v[0:1], v[6:7], v[4:5]
	v_fmac_f64_e32 v[6:7], v[4:5], v[0:1]
	v_div_scale_f64 v[2:3], s[70:71], v[6:7], v[6:7], 1.0
	v_rcp_f64_e32 v[4:5], v[2:3]
	s_nop 0
	v_fma_f64 v[8:9], -v[2:3], v[4:5], 1.0
	v_fmac_f64_e32 v[4:5], v[4:5], v[8:9]
	v_fma_f64 v[8:9], -v[2:3], v[4:5], 1.0
	v_fmac_f64_e32 v[4:5], v[4:5], v[8:9]
	v_div_scale_f64 v[8:9], vcc, 1.0, v[6:7], 1.0
	v_mul_f64 v[10:11], v[8:9], v[4:5]
	v_fma_f64 v[2:3], -v[2:3], v[10:11], v[8:9]
	s_nop 1
	v_div_fmas_f64 v[2:3], v[2:3], v[4:5], v[10:11]
	v_div_fixup_f64 v[10:11], v[2:3], v[6:7], 1.0
	v_mul_f64 v[8:9], v[0:1], v[10:11]
	v_xor_b32_e32 v11, 0x80000000, v11
                                        ; implicit-def: $vgpr4_vgpr5
.LBB121_21:
	s_andn2_saveexec_b64 s[2:3], s[2:3]
	s_cbranch_execz .LBB121_23
; %bb.22:
	v_div_scale_f64 v[0:1], s[70:71], v[4:5], v[4:5], v[6:7]
	v_rcp_f64_e32 v[2:3], v[0:1]
	v_div_scale_f64 v[8:9], vcc, v[6:7], v[4:5], v[6:7]
	v_fma_f64 v[10:11], -v[0:1], v[2:3], 1.0
	v_fmac_f64_e32 v[2:3], v[2:3], v[10:11]
	v_fma_f64 v[10:11], -v[0:1], v[2:3], 1.0
	v_fmac_f64_e32 v[2:3], v[2:3], v[10:11]
	v_mul_f64 v[10:11], v[8:9], v[2:3]
	v_fma_f64 v[0:1], -v[0:1], v[10:11], v[8:9]
	v_div_fmas_f64 v[0:1], v[0:1], v[2:3], v[10:11]
	v_div_fixup_f64 v[0:1], v[0:1], v[4:5], v[6:7]
	v_fmac_f64_e32 v[4:5], v[6:7], v[0:1]
	v_div_scale_f64 v[2:3], s[70:71], v[4:5], v[4:5], 1.0
	v_rcp_f64_e32 v[6:7], v[2:3]
	s_nop 0
	v_fma_f64 v[8:9], -v[2:3], v[6:7], 1.0
	v_fmac_f64_e32 v[6:7], v[6:7], v[8:9]
	v_fma_f64 v[8:9], -v[2:3], v[6:7], 1.0
	v_fmac_f64_e32 v[6:7], v[6:7], v[8:9]
	v_div_scale_f64 v[8:9], vcc, 1.0, v[4:5], 1.0
	v_mul_f64 v[10:11], v[8:9], v[6:7]
	v_fma_f64 v[2:3], -v[2:3], v[10:11], v[8:9]
	s_nop 1
	v_div_fmas_f64 v[2:3], v[2:3], v[6:7], v[10:11]
	v_div_fixup_f64 v[8:9], v[2:3], v[4:5], 1.0
	v_mul_f64 v[10:11], v[0:1], -v[8:9]
.LBB121_23:
	s_or_b64 exec, exec, s[2:3]
	ds_write2_b64 v253, v[8:9], v[10:11] offset1:1
.LBB121_24:
	s_or_b64 exec, exec, s[4:5]
	s_waitcnt lgkmcnt(0)
	s_barrier
	ds_read2_b64 v[4:7], v253 offset1:1
	v_cmp_lt_u32_e32 vcc, 1, v252
	s_and_saveexec_b64 s[2:3], vcc
	s_cbranch_execz .LBB121_29
; %bb.25:
	scratch_load_dwordx4 v[14:17], off, off offset:16
	s_mov_b32 s70, 0
	s_waitcnt vmcnt(0) lgkmcnt(0)
	v_mul_f64 v[0:1], v[6:7], v[16:17]
	v_mul_f64 v[10:11], v[4:5], v[16:17]
	v_fma_f64 v[8:9], v[4:5], v[14:15], -v[0:1]
	v_fmac_f64_e32 v[10:11], v[6:7], v[14:15]
	scratch_store_dwordx4 off, v[8:11], off offset:16
	s_branch .LBB121_27
.LBB121_26:                             ;   in Loop: Header=BB121_27 Depth=1
	s_andn2_b64 vcc, exec, s[4:5]
	s_cbranch_vccz .LBB121_29
.LBB121_27:                             ; =>This Inner Loop Header: Depth=1
	v_add_u32_e32 v13, s70, v12
	ds_read2_b64 v[14:17], v13 offset1:1
	s_add_i32 s4, s70, 32
	s_mov_b32 s46, s70
	s_waitcnt lgkmcnt(0)
	v_mul_f64 v[0:1], v[16:17], v[10:11]
	v_mul_f64 v[2:3], v[14:15], v[10:11]
	v_fma_f64 v[0:1], v[14:15], v[8:9], -v[0:1]
	v_fmac_f64_e32 v[2:3], v[16:17], v[8:9]
	scratch_load_dwordx4 v[14:17], off, s4
	s_waitcnt vmcnt(0)
	v_add_f64 v[14:15], v[14:15], -v[0:1]
	v_add_f64 v[16:17], v[16:17], -v[2:3]
	scratch_store_dwordx4 off, v[14:17], s4
	ds_read2_b64 v[14:17], v13 offset0:2 offset1:3
	s_add_i32 s4, s70, 48
	s_waitcnt lgkmcnt(0)
	v_mul_f64 v[0:1], v[16:17], v[10:11]
	v_mul_f64 v[2:3], v[14:15], v[10:11]
	v_fma_f64 v[0:1], v[14:15], v[8:9], -v[0:1]
	v_fmac_f64_e32 v[2:3], v[16:17], v[8:9]
	scratch_load_dwordx4 v[14:17], off, s4
	s_waitcnt vmcnt(0)
	v_add_f64 v[14:15], v[14:15], -v[0:1]
	v_add_f64 v[16:17], v[16:17], -v[2:3]
	scratch_store_dwordx4 off, v[14:17], s4
	ds_read2_b64 v[14:17], v13 offset0:4 offset1:5
	s_add_i32 s4, s70, 64
	s_cmpk_eq_i32 s70, 0x380
	s_waitcnt lgkmcnt(0)
	v_mul_f64 v[0:1], v[16:17], v[10:11]
	v_mul_f64 v[2:3], v[14:15], v[10:11]
	v_fma_f64 v[0:1], v[14:15], v[8:9], -v[0:1]
	v_fmac_f64_e32 v[2:3], v[16:17], v[8:9]
	scratch_load_dwordx4 v[14:17], off, s4
	s_waitcnt vmcnt(0)
	v_add_f64 v[14:15], v[14:15], -v[0:1]
	v_add_f64 v[16:17], v[16:17], -v[2:3]
	scratch_store_dwordx4 off, v[14:17], s4
	s_mov_b64 s[4:5], -1
	s_cbranch_scc1 .LBB121_26
; %bb.28:                               ;   in Loop: Header=BB121_27 Depth=1
	ds_read2_b64 v[14:17], v13 offset0:6 offset1:7
	s_add_i32 s4, s46, 0x50
	s_addk_i32 s70, 0x80
	s_waitcnt lgkmcnt(0)
	v_mul_f64 v[0:1], v[16:17], v[10:11]
	v_mul_f64 v[2:3], v[14:15], v[10:11]
	v_fma_f64 v[0:1], v[14:15], v[8:9], -v[0:1]
	v_fmac_f64_e32 v[2:3], v[16:17], v[8:9]
	scratch_load_dwordx4 v[14:17], off, s4
	s_waitcnt vmcnt(0)
	v_add_f64 v[14:15], v[14:15], -v[0:1]
	v_add_f64 v[16:17], v[16:17], -v[2:3]
	scratch_store_dwordx4 off, v[14:17], s4
	ds_read2_b64 v[14:17], v13 offset0:8 offset1:9
	s_add_i32 s4, s46, 0x60
	s_waitcnt lgkmcnt(0)
	v_mul_f64 v[0:1], v[16:17], v[10:11]
	v_mul_f64 v[2:3], v[14:15], v[10:11]
	v_fma_f64 v[0:1], v[14:15], v[8:9], -v[0:1]
	v_fmac_f64_e32 v[2:3], v[16:17], v[8:9]
	scratch_load_dwordx4 v[14:17], off, s4
	s_waitcnt vmcnt(0)
	v_add_f64 v[14:15], v[14:15], -v[0:1]
	v_add_f64 v[16:17], v[16:17], -v[2:3]
	scratch_store_dwordx4 off, v[14:17], s4
	ds_read2_b64 v[14:17], v13 offset0:10 offset1:11
	s_add_i32 s4, s46, 0x70
	s_waitcnt lgkmcnt(0)
	v_mul_f64 v[0:1], v[16:17], v[10:11]
	v_mul_f64 v[2:3], v[14:15], v[10:11]
	v_fma_f64 v[0:1], v[14:15], v[8:9], -v[0:1]
	v_fmac_f64_e32 v[2:3], v[16:17], v[8:9]
	scratch_load_dwordx4 v[14:17], off, s4
	s_waitcnt vmcnt(0)
	v_add_f64 v[14:15], v[14:15], -v[0:1]
	v_add_f64 v[16:17], v[16:17], -v[2:3]
	scratch_store_dwordx4 off, v[14:17], s4
	ds_read2_b64 v[14:17], v13 offset0:12 offset1:13
	s_add_i32 s4, s46, 0x80
	s_addk_i32 s46, 0x90
	s_waitcnt lgkmcnt(0)
	v_mul_f64 v[0:1], v[16:17], v[10:11]
	v_mul_f64 v[2:3], v[14:15], v[10:11]
	v_fma_f64 v[0:1], v[14:15], v[8:9], -v[0:1]
	v_fmac_f64_e32 v[2:3], v[16:17], v[8:9]
	scratch_load_dwordx4 v[14:17], off, s4
	s_waitcnt vmcnt(0)
	v_add_f64 v[14:15], v[14:15], -v[0:1]
	v_add_f64 v[16:17], v[16:17], -v[2:3]
	scratch_store_dwordx4 off, v[14:17], s4
	ds_read2_b64 v[14:17], v13 offset0:14 offset1:15
	s_mov_b64 s[4:5], 0
	s_waitcnt lgkmcnt(0)
	v_mul_f64 v[0:1], v[16:17], v[10:11]
	v_mul_f64 v[2:3], v[14:15], v[10:11]
	v_fma_f64 v[0:1], v[14:15], v[8:9], -v[0:1]
	v_fmac_f64_e32 v[2:3], v[16:17], v[8:9]
	scratch_load_dwordx4 v[14:17], off, s46
	s_waitcnt vmcnt(0)
	v_add_f64 v[14:15], v[14:15], -v[0:1]
	v_add_f64 v[16:17], v[16:17], -v[2:3]
	scratch_store_dwordx4 off, v[14:17], s46
	s_branch .LBB121_26
.LBB121_29:
	s_or_b64 exec, exec, s[2:3]
	v_cmp_eq_u32_e32 vcc, 2, v252
	v_add3_u32 v16, v20, 0, 48
	s_waitcnt lgkmcnt(0)
	s_barrier
	s_and_saveexec_b64 s[4:5], vcc
	s_cbranch_execz .LBB121_38
; %bb.30:
	scratch_load_dwordx4 v[8:11], off, s68
	s_mov_b32 s2, 0
	s_waitcnt vmcnt(0)
	ds_write2_b64 v253, v[8:9], v[10:11] offset1:1
.LBB121_31:                             ; =>This Inner Loop Header: Depth=1
	s_add_i32 s46, s2, 48
	s_add_i32 s3, s2, 64
	scratch_load_dwordx4 v[8:11], off, s46
	scratch_load_dwordx4 v[12:15], off, s3
	v_add_u32_e32 v0, s2, v16
	s_add_i32 s2, s2, 32
	s_cmpk_lg_i32 s2, 0x3a0
	s_waitcnt vmcnt(1)
	ds_write2_b64 v0, v[8:9], v[10:11] offset1:1
	s_waitcnt vmcnt(0)
	ds_write2_b64 v0, v[12:13], v[14:15] offset0:2 offset1:3
	s_cbranch_scc1 .LBB121_31
; %bb.32:
	ds_read2_b64 v[8:11], v253 offset1:1
	s_waitcnt lgkmcnt(0)
	v_cmp_neq_f64_e32 vcc, 0, v[8:9]
	v_cmp_neq_f64_e64 s[2:3], 0, v[10:11]
	s_or_b64 s[2:3], vcc, s[2:3]
	s_and_b64 exec, exec, s[2:3]
	s_cbranch_execz .LBB121_38
; %bb.33:
	v_cmp_ngt_f64_e64 s[2:3], |v[8:9]|, |v[10:11]|
                                        ; implicit-def: $vgpr12_vgpr13
	s_and_saveexec_b64 s[70:71], s[2:3]
	s_xor_b64 s[2:3], exec, s[70:71]
                                        ; implicit-def: $vgpr14_vgpr15
	s_cbranch_execz .LBB121_35
; %bb.34:
	v_div_scale_f64 v[0:1], s[70:71], v[10:11], v[10:11], v[8:9]
	v_rcp_f64_e32 v[2:3], v[0:1]
	v_div_scale_f64 v[12:13], vcc, v[8:9], v[10:11], v[8:9]
	v_fma_f64 v[14:15], -v[0:1], v[2:3], 1.0
	v_fmac_f64_e32 v[2:3], v[2:3], v[14:15]
	v_fma_f64 v[14:15], -v[0:1], v[2:3], 1.0
	v_fmac_f64_e32 v[2:3], v[2:3], v[14:15]
	v_mul_f64 v[14:15], v[12:13], v[2:3]
	v_fma_f64 v[0:1], -v[0:1], v[14:15], v[12:13]
	v_div_fmas_f64 v[0:1], v[0:1], v[2:3], v[14:15]
	v_div_fixup_f64 v[0:1], v[0:1], v[10:11], v[8:9]
	v_fmac_f64_e32 v[10:11], v[8:9], v[0:1]
	v_div_scale_f64 v[2:3], s[70:71], v[10:11], v[10:11], 1.0
	v_rcp_f64_e32 v[8:9], v[2:3]
	s_nop 0
	v_fma_f64 v[12:13], -v[2:3], v[8:9], 1.0
	v_fmac_f64_e32 v[8:9], v[8:9], v[12:13]
	v_fma_f64 v[12:13], -v[2:3], v[8:9], 1.0
	v_fmac_f64_e32 v[8:9], v[8:9], v[12:13]
	v_div_scale_f64 v[12:13], vcc, 1.0, v[10:11], 1.0
	v_mul_f64 v[14:15], v[12:13], v[8:9]
	v_fma_f64 v[2:3], -v[2:3], v[14:15], v[12:13]
	s_nop 1
	v_div_fmas_f64 v[2:3], v[2:3], v[8:9], v[14:15]
	v_div_fixup_f64 v[14:15], v[2:3], v[10:11], 1.0
	v_mul_f64 v[12:13], v[0:1], v[14:15]
	v_xor_b32_e32 v15, 0x80000000, v15
                                        ; implicit-def: $vgpr8_vgpr9
.LBB121_35:
	s_andn2_saveexec_b64 s[2:3], s[2:3]
	s_cbranch_execz .LBB121_37
; %bb.36:
	v_div_scale_f64 v[0:1], s[70:71], v[8:9], v[8:9], v[10:11]
	v_rcp_f64_e32 v[2:3], v[0:1]
	v_div_scale_f64 v[12:13], vcc, v[10:11], v[8:9], v[10:11]
	v_fma_f64 v[14:15], -v[0:1], v[2:3], 1.0
	v_fmac_f64_e32 v[2:3], v[2:3], v[14:15]
	v_fma_f64 v[14:15], -v[0:1], v[2:3], 1.0
	v_fmac_f64_e32 v[2:3], v[2:3], v[14:15]
	v_mul_f64 v[14:15], v[12:13], v[2:3]
	v_fma_f64 v[0:1], -v[0:1], v[14:15], v[12:13]
	v_div_fmas_f64 v[0:1], v[0:1], v[2:3], v[14:15]
	v_div_fixup_f64 v[0:1], v[0:1], v[8:9], v[10:11]
	v_fmac_f64_e32 v[8:9], v[10:11], v[0:1]
	v_div_scale_f64 v[2:3], s[70:71], v[8:9], v[8:9], 1.0
	v_rcp_f64_e32 v[10:11], v[2:3]
	s_nop 0
	v_fma_f64 v[12:13], -v[2:3], v[10:11], 1.0
	v_fmac_f64_e32 v[10:11], v[10:11], v[12:13]
	v_fma_f64 v[12:13], -v[2:3], v[10:11], 1.0
	v_fmac_f64_e32 v[10:11], v[10:11], v[12:13]
	v_div_scale_f64 v[12:13], vcc, 1.0, v[8:9], 1.0
	v_mul_f64 v[14:15], v[12:13], v[10:11]
	v_fma_f64 v[2:3], -v[2:3], v[14:15], v[12:13]
	s_nop 1
	v_div_fmas_f64 v[2:3], v[2:3], v[10:11], v[14:15]
	v_div_fixup_f64 v[12:13], v[2:3], v[8:9], 1.0
	v_mul_f64 v[14:15], v[0:1], -v[12:13]
.LBB121_37:
	s_or_b64 exec, exec, s[2:3]
	ds_write2_b64 v253, v[12:13], v[14:15] offset1:1
.LBB121_38:
	s_or_b64 exec, exec, s[4:5]
	s_waitcnt lgkmcnt(0)
	s_barrier
	ds_read2_b64 v[8:11], v253 offset1:1
	v_cmp_lt_u32_e32 vcc, 2, v252
	s_and_saveexec_b64 s[2:3], vcc
	s_cbranch_execz .LBB121_41
; %bb.39:
	scratch_load_dwordx4 v[22:25], off, off offset:32
	s_mov_b32 s4, 0
	s_waitcnt vmcnt(0) lgkmcnt(0)
	v_mul_f64 v[0:1], v[10:11], v[24:25]
	v_mul_f64 v[14:15], v[8:9], v[24:25]
	v_fma_f64 v[12:13], v[8:9], v[22:23], -v[0:1]
	v_fmac_f64_e32 v[14:15], v[10:11], v[22:23]
	scratch_store_dwordx4 off, v[12:15], off offset:32
.LBB121_40:                             ; =>This Inner Loop Header: Depth=1
	v_add_u32_e32 v17, s4, v16
	ds_read2_b64 v[22:25], v17 offset1:1
	s_add_i32 s46, s4, 48
	s_add_i32 s5, s4, 64
	;; [unrolled: 1-line block ×3, first 2 shown]
	s_cmpk_lg_i32 s4, 0x3a0
	s_waitcnt lgkmcnt(0)
	v_mul_f64 v[0:1], v[24:25], v[14:15]
	v_mul_f64 v[2:3], v[22:23], v[14:15]
	v_fma_f64 v[0:1], v[22:23], v[12:13], -v[0:1]
	v_fmac_f64_e32 v[2:3], v[24:25], v[12:13]
	scratch_load_dwordx4 v[22:25], off, s46
	s_waitcnt vmcnt(0)
	v_add_f64 v[22:23], v[22:23], -v[0:1]
	v_add_f64 v[24:25], v[24:25], -v[2:3]
	scratch_store_dwordx4 off, v[22:25], s46
	ds_read2_b64 v[22:25], v17 offset0:2 offset1:3
	s_waitcnt lgkmcnt(0)
	v_mul_f64 v[0:1], v[24:25], v[14:15]
	v_mul_f64 v[2:3], v[22:23], v[14:15]
	v_fma_f64 v[0:1], v[22:23], v[12:13], -v[0:1]
	v_fmac_f64_e32 v[2:3], v[24:25], v[12:13]
	scratch_load_dwordx4 v[22:25], off, s5
	s_waitcnt vmcnt(0)
	v_add_f64 v[22:23], v[22:23], -v[0:1]
	v_add_f64 v[24:25], v[24:25], -v[2:3]
	scratch_store_dwordx4 off, v[22:25], s5
	s_cbranch_scc1 .LBB121_40
.LBB121_41:
	s_or_b64 exec, exec, s[2:3]
	v_cmp_eq_u32_e32 vcc, 3, v252
	s_waitcnt lgkmcnt(0)
	s_barrier
	s_and_saveexec_b64 s[4:5], vcc
	s_cbranch_execz .LBB121_50
; %bb.42:
	scratch_load_dwordx4 v[12:15], off, s67
	s_mov_b32 s2, 0
	s_waitcnt vmcnt(0)
	ds_write2_b64 v253, v[12:13], v[14:15] offset1:1
	v_add3_u32 v12, v20, 0, 64
.LBB121_43:                             ; =>This Inner Loop Header: Depth=1
	s_add_i32 s46, s2, 64
	s_add_i32 s70, s2, 0x50
	;; [unrolled: 1-line block ×3, first 2 shown]
	scratch_load_dwordx4 v[14:17], off, s46
	scratch_load_dwordx4 v[22:25], off, s70
	;; [unrolled: 1-line block ×3, first 2 shown]
	v_add_u32_e32 v0, s2, v12
	s_add_i32 s2, s2, 48
	s_cmpk_lg_i32 s2, 0x390
	s_waitcnt vmcnt(2)
	ds_write2_b64 v0, v[14:15], v[16:17] offset1:1
	s_waitcnt vmcnt(1)
	ds_write2_b64 v0, v[22:23], v[24:25] offset0:2 offset1:3
	s_waitcnt vmcnt(0)
	ds_write2_b64 v0, v[26:27], v[28:29] offset0:4 offset1:5
	s_cbranch_scc1 .LBB121_43
; %bb.44:
	ds_read2_b64 v[12:15], v253 offset1:1
	s_waitcnt lgkmcnt(0)
	v_cmp_neq_f64_e32 vcc, 0, v[12:13]
	v_cmp_neq_f64_e64 s[2:3], 0, v[14:15]
	s_or_b64 s[2:3], vcc, s[2:3]
	s_and_b64 exec, exec, s[2:3]
	s_cbranch_execz .LBB121_50
; %bb.45:
	v_cmp_ngt_f64_e64 s[2:3], |v[12:13]|, |v[14:15]|
                                        ; implicit-def: $vgpr16_vgpr17
	s_and_saveexec_b64 s[70:71], s[2:3]
	s_xor_b64 s[2:3], exec, s[70:71]
                                        ; implicit-def: $vgpr18_vgpr19
	s_cbranch_execz .LBB121_47
; %bb.46:
	v_div_scale_f64 v[0:1], s[70:71], v[14:15], v[14:15], v[12:13]
	v_rcp_f64_e32 v[2:3], v[0:1]
	v_div_scale_f64 v[16:17], vcc, v[12:13], v[14:15], v[12:13]
	v_fma_f64 v[18:19], -v[0:1], v[2:3], 1.0
	v_fmac_f64_e32 v[2:3], v[2:3], v[18:19]
	v_fma_f64 v[18:19], -v[0:1], v[2:3], 1.0
	v_fmac_f64_e32 v[2:3], v[2:3], v[18:19]
	v_mul_f64 v[18:19], v[16:17], v[2:3]
	v_fma_f64 v[0:1], -v[0:1], v[18:19], v[16:17]
	v_div_fmas_f64 v[0:1], v[0:1], v[2:3], v[18:19]
	v_div_fixup_f64 v[0:1], v[0:1], v[14:15], v[12:13]
	v_fmac_f64_e32 v[14:15], v[12:13], v[0:1]
	v_div_scale_f64 v[2:3], s[70:71], v[14:15], v[14:15], 1.0
	v_rcp_f64_e32 v[12:13], v[2:3]
	s_nop 0
	v_fma_f64 v[16:17], -v[2:3], v[12:13], 1.0
	v_fmac_f64_e32 v[12:13], v[12:13], v[16:17]
	v_fma_f64 v[16:17], -v[2:3], v[12:13], 1.0
	v_fmac_f64_e32 v[12:13], v[12:13], v[16:17]
	v_div_scale_f64 v[16:17], vcc, 1.0, v[14:15], 1.0
	v_mul_f64 v[18:19], v[16:17], v[12:13]
	v_fma_f64 v[2:3], -v[2:3], v[18:19], v[16:17]
	s_nop 1
	v_div_fmas_f64 v[2:3], v[2:3], v[12:13], v[18:19]
	v_div_fixup_f64 v[18:19], v[2:3], v[14:15], 1.0
	v_mul_f64 v[16:17], v[0:1], v[18:19]
	v_xor_b32_e32 v19, 0x80000000, v19
                                        ; implicit-def: $vgpr12_vgpr13
.LBB121_47:
	s_andn2_saveexec_b64 s[2:3], s[2:3]
	s_cbranch_execz .LBB121_49
; %bb.48:
	v_div_scale_f64 v[0:1], s[70:71], v[12:13], v[12:13], v[14:15]
	v_rcp_f64_e32 v[2:3], v[0:1]
	v_div_scale_f64 v[16:17], vcc, v[14:15], v[12:13], v[14:15]
	v_fma_f64 v[18:19], -v[0:1], v[2:3], 1.0
	v_fmac_f64_e32 v[2:3], v[2:3], v[18:19]
	v_fma_f64 v[18:19], -v[0:1], v[2:3], 1.0
	v_fmac_f64_e32 v[2:3], v[2:3], v[18:19]
	v_mul_f64 v[18:19], v[16:17], v[2:3]
	v_fma_f64 v[0:1], -v[0:1], v[18:19], v[16:17]
	v_div_fmas_f64 v[0:1], v[0:1], v[2:3], v[18:19]
	v_div_fixup_f64 v[0:1], v[0:1], v[12:13], v[14:15]
	v_fmac_f64_e32 v[12:13], v[14:15], v[0:1]
	v_div_scale_f64 v[2:3], s[70:71], v[12:13], v[12:13], 1.0
	v_rcp_f64_e32 v[14:15], v[2:3]
	s_nop 0
	v_fma_f64 v[16:17], -v[2:3], v[14:15], 1.0
	v_fmac_f64_e32 v[14:15], v[14:15], v[16:17]
	v_fma_f64 v[16:17], -v[2:3], v[14:15], 1.0
	v_fmac_f64_e32 v[14:15], v[14:15], v[16:17]
	v_div_scale_f64 v[16:17], vcc, 1.0, v[12:13], 1.0
	v_mul_f64 v[18:19], v[16:17], v[14:15]
	v_fma_f64 v[2:3], -v[2:3], v[18:19], v[16:17]
	s_nop 1
	v_div_fmas_f64 v[2:3], v[2:3], v[14:15], v[18:19]
	v_div_fixup_f64 v[16:17], v[2:3], v[12:13], 1.0
	v_mul_f64 v[18:19], v[0:1], -v[16:17]
.LBB121_49:
	s_or_b64 exec, exec, s[2:3]
	ds_write2_b64 v253, v[16:17], v[18:19] offset1:1
.LBB121_50:
	s_or_b64 exec, exec, s[4:5]
	scratch_store_dwordx4 off, v[34:37], off offset:1448 ; 16-byte Folded Spill
	s_waitcnt lgkmcnt(0)
	s_barrier
	ds_read2_b64 v[12:15], v253 offset1:1
	v_add_u32_e32 v248, 0, v20
	v_cmp_lt_u32_e32 vcc, 3, v252
	s_and_saveexec_b64 s[2:3], vcc
	s_cbranch_execz .LBB121_53
; %bb.51:
	scratch_load_dwordx4 v[20:23], off, off offset:48
	s_movk_i32 s4, 0xfc70
	s_waitcnt vmcnt(0) lgkmcnt(0)
	v_mul_f64 v[0:1], v[14:15], v[22:23]
	v_mul_f64 v[18:19], v[12:13], v[22:23]
	v_fma_f64 v[16:17], v[12:13], v[20:21], -v[0:1]
	v_fmac_f64_e32 v[18:19], v[14:15], v[20:21]
	scratch_store_dwordx4 off, v[16:19], off offset:48
.LBB121_52:                             ; =>This Inner Loop Header: Depth=1
	s_add_i32 s46, s4, 0x3d0
	scratch_load_dwordx4 v[20:23], off, s46
	v_add_u32_e32 v36, s4, v248
	ds_read2_b64 v[24:27], v36 offset0:122 offset1:123
	ds_read2_b64 v[28:31], v36 offset0:124 offset1:125
	s_add_i32 s70, s4, 0x3e0
	scratch_load_dwordx4 v[32:35], off, s70
	s_add_i32 s5, s4, 0x3f0
	s_waitcnt lgkmcnt(1)
	v_mul_f64 v[0:1], v[26:27], v[18:19]
	v_mul_f64 v[2:3], v[24:25], v[18:19]
	v_fma_f64 v[0:1], v[24:25], v[16:17], -v[0:1]
	v_fmac_f64_e32 v[2:3], v[26:27], v[16:17]
	ds_read2_b64 v[24:27], v36 offset0:126 offset1:127
	s_add_i32 s4, s4, 48
	s_cmp_lg_u32 s4, 0
	s_waitcnt vmcnt(1)
	v_add_f64 v[16:17], v[20:21], -v[0:1]
	v_add_f64 v[18:19], v[22:23], -v[2:3]
	scratch_store_dwordx4 off, v[16:19], s46
	scratch_load_dwordx4 v[16:19], off, off offset:48
	s_waitcnt vmcnt(0) lgkmcnt(1)
	v_mul_f64 v[0:1], v[30:31], v[18:19]
	v_mul_f64 v[2:3], v[28:29], v[18:19]
	v_fma_f64 v[0:1], v[28:29], v[16:17], -v[0:1]
	v_fmac_f64_e32 v[2:3], v[30:31], v[16:17]
	scratch_load_dwordx4 v[20:23], off, s5
	v_add_f64 v[16:17], v[32:33], -v[0:1]
	v_add_f64 v[18:19], v[34:35], -v[2:3]
	scratch_store_dwordx4 off, v[16:19], s70
	scratch_load_dwordx4 v[16:19], off, off offset:48
	s_waitcnt vmcnt(0) lgkmcnt(0)
	v_mul_f64 v[0:1], v[26:27], v[18:19]
	v_mul_f64 v[2:3], v[24:25], v[18:19]
	v_fma_f64 v[0:1], v[24:25], v[16:17], -v[0:1]
	v_fmac_f64_e32 v[2:3], v[26:27], v[16:17]
	v_add_f64 v[20:21], v[20:21], -v[0:1]
	v_add_f64 v[22:23], v[22:23], -v[2:3]
	scratch_store_dwordx4 off, v[20:23], s5
	s_cbranch_scc1 .LBB121_52
.LBB121_53:
	s_or_b64 exec, exec, s[2:3]
	v_cmp_eq_u32_e32 vcc, 4, v252
	s_waitcnt lgkmcnt(0)
	s_barrier
	s_and_saveexec_b64 s[4:5], vcc
	s_cbranch_execz .LBB121_62
; %bb.54:
	scratch_load_dwordx4 v[18:21], off, s66
	v_add_u32_e32 v16, 0x50, v248
	s_movk_i32 s2, 0xfc80
	s_waitcnt vmcnt(0)
	ds_write2_b64 v253, v[18:19], v[20:21] offset1:1
.LBB121_55:                             ; =>This Inner Loop Header: Depth=1
	s_add_i32 s46, s2, 0x3d0
	scratch_load_dwordx4 v[18:21], off, s46
	v_add_u32_e32 v0, s2, v16
	s_add_i32 s46, s2, 0x3e0
	s_add_i32 s3, s2, 0x4a0
	s_waitcnt vmcnt(0)
	ds_write2_b64 v0, v[18:19], v[20:21] offset0:112 offset1:113
	scratch_load_dwordx4 v[18:21], off, s46
	s_add_i32 s46, s2, 0x3f0
	s_waitcnt vmcnt(0)
	ds_write2_b64 v0, v[18:19], v[20:21] offset0:114 offset1:115
	scratch_load_dwordx4 v[18:21], off, s46
	;; [unrolled: 4-line block ×11, first 2 shown]
	s_add_i32 s46, s2, 0x490
	s_addk_i32 s2, 0xe0
	s_cmp_lg_u32 s2, 0
	s_waitcnt vmcnt(0)
	ds_write2_b64 v0, v[18:19], v[20:21] offset0:134 offset1:135
	scratch_load_dwordx4 v[18:21], off, s46
	s_waitcnt vmcnt(0)
	ds_write2_b64 v0, v[18:19], v[20:21] offset0:136 offset1:137
	scratch_load_dwordx4 v[18:21], off, s3
	s_waitcnt vmcnt(0)
	ds_write2_b64 v0, v[18:19], v[20:21] offset0:138 offset1:139
	s_cbranch_scc1 .LBB121_55
; %bb.56:
	ds_read2_b64 v[16:19], v253 offset1:1
	s_waitcnt lgkmcnt(0)
	v_cmp_neq_f64_e32 vcc, 0, v[16:17]
	v_cmp_neq_f64_e64 s[2:3], 0, v[18:19]
	s_or_b64 s[2:3], vcc, s[2:3]
	s_and_b64 exec, exec, s[2:3]
	s_cbranch_execz .LBB121_62
; %bb.57:
	v_cmp_ngt_f64_e64 s[2:3], |v[16:17]|, |v[18:19]|
                                        ; implicit-def: $vgpr20_vgpr21
	s_and_saveexec_b64 s[70:71], s[2:3]
	s_xor_b64 s[2:3], exec, s[70:71]
                                        ; implicit-def: $vgpr22_vgpr23
	s_cbranch_execz .LBB121_59
; %bb.58:
	v_div_scale_f64 v[0:1], s[70:71], v[18:19], v[18:19], v[16:17]
	v_rcp_f64_e32 v[2:3], v[0:1]
	v_div_scale_f64 v[20:21], vcc, v[16:17], v[18:19], v[16:17]
	v_fma_f64 v[22:23], -v[0:1], v[2:3], 1.0
	v_fmac_f64_e32 v[2:3], v[2:3], v[22:23]
	v_fma_f64 v[22:23], -v[0:1], v[2:3], 1.0
	v_fmac_f64_e32 v[2:3], v[2:3], v[22:23]
	v_mul_f64 v[22:23], v[20:21], v[2:3]
	v_fma_f64 v[0:1], -v[0:1], v[22:23], v[20:21]
	v_div_fmas_f64 v[0:1], v[0:1], v[2:3], v[22:23]
	v_div_fixup_f64 v[0:1], v[0:1], v[18:19], v[16:17]
	v_fmac_f64_e32 v[18:19], v[16:17], v[0:1]
	v_div_scale_f64 v[2:3], s[70:71], v[18:19], v[18:19], 1.0
	v_rcp_f64_e32 v[16:17], v[2:3]
	s_nop 0
	v_fma_f64 v[20:21], -v[2:3], v[16:17], 1.0
	v_fmac_f64_e32 v[16:17], v[16:17], v[20:21]
	v_fma_f64 v[20:21], -v[2:3], v[16:17], 1.0
	v_fmac_f64_e32 v[16:17], v[16:17], v[20:21]
	v_div_scale_f64 v[20:21], vcc, 1.0, v[18:19], 1.0
	v_mul_f64 v[22:23], v[20:21], v[16:17]
	v_fma_f64 v[2:3], -v[2:3], v[22:23], v[20:21]
	s_nop 1
	v_div_fmas_f64 v[2:3], v[2:3], v[16:17], v[22:23]
	v_div_fixup_f64 v[22:23], v[2:3], v[18:19], 1.0
	v_mul_f64 v[20:21], v[0:1], v[22:23]
	v_xor_b32_e32 v23, 0x80000000, v23
                                        ; implicit-def: $vgpr16_vgpr17
.LBB121_59:
	s_andn2_saveexec_b64 s[2:3], s[2:3]
	s_cbranch_execz .LBB121_61
; %bb.60:
	v_div_scale_f64 v[0:1], s[70:71], v[16:17], v[16:17], v[18:19]
	v_rcp_f64_e32 v[2:3], v[0:1]
	v_div_scale_f64 v[20:21], vcc, v[18:19], v[16:17], v[18:19]
	v_fma_f64 v[22:23], -v[0:1], v[2:3], 1.0
	v_fmac_f64_e32 v[2:3], v[2:3], v[22:23]
	v_fma_f64 v[22:23], -v[0:1], v[2:3], 1.0
	v_fmac_f64_e32 v[2:3], v[2:3], v[22:23]
	v_mul_f64 v[22:23], v[20:21], v[2:3]
	v_fma_f64 v[0:1], -v[0:1], v[22:23], v[20:21]
	v_div_fmas_f64 v[0:1], v[0:1], v[2:3], v[22:23]
	v_div_fixup_f64 v[0:1], v[0:1], v[16:17], v[18:19]
	v_fmac_f64_e32 v[16:17], v[18:19], v[0:1]
	v_div_scale_f64 v[2:3], s[70:71], v[16:17], v[16:17], 1.0
	v_rcp_f64_e32 v[18:19], v[2:3]
	s_nop 0
	v_fma_f64 v[20:21], -v[2:3], v[18:19], 1.0
	v_fmac_f64_e32 v[18:19], v[18:19], v[20:21]
	v_fma_f64 v[20:21], -v[2:3], v[18:19], 1.0
	v_fmac_f64_e32 v[18:19], v[18:19], v[20:21]
	v_div_scale_f64 v[20:21], vcc, 1.0, v[16:17], 1.0
	v_mul_f64 v[22:23], v[20:21], v[18:19]
	v_fma_f64 v[2:3], -v[2:3], v[22:23], v[20:21]
	s_nop 1
	v_div_fmas_f64 v[2:3], v[2:3], v[18:19], v[22:23]
	v_div_fixup_f64 v[20:21], v[2:3], v[16:17], 1.0
	v_mul_f64 v[22:23], v[0:1], -v[20:21]
.LBB121_61:
	s_or_b64 exec, exec, s[2:3]
	ds_write2_b64 v253, v[20:21], v[22:23] offset1:1
.LBB121_62:
	s_or_b64 exec, exec, s[4:5]
	s_waitcnt lgkmcnt(0)
	s_barrier
	ds_read2_b64 v[16:19], v253 offset1:1
	v_cmp_lt_u32_e32 vcc, 4, v252
	s_and_saveexec_b64 s[2:3], vcc
	s_cbranch_execz .LBB121_65
; %bb.63:
	scratch_load_dwordx4 v[26:29], off, off offset:64
	v_add_u32_e32 v24, 0x50, v248
	s_movk_i32 s4, 0xfc80
	s_waitcnt vmcnt(0) lgkmcnt(0)
	v_mul_f64 v[0:1], v[18:19], v[28:29]
	v_mul_f64 v[22:23], v[16:17], v[28:29]
	v_fma_f64 v[20:21], v[16:17], v[26:27], -v[0:1]
	v_fmac_f64_e32 v[22:23], v[18:19], v[26:27]
	scratch_store_dwordx4 off, v[20:23], off offset:64
.LBB121_64:                             ; =>This Inner Loop Header: Depth=1
	v_add_u32_e32 v25, s4, v24
	ds_read2_b64 v[26:29], v25 offset0:112 offset1:113
	s_add_i32 s46, s4, 0x3d0
	s_add_i32 s5, s4, 0x440
	s_waitcnt lgkmcnt(0)
	v_mul_f64 v[0:1], v[28:29], v[22:23]
	v_mul_f64 v[2:3], v[26:27], v[22:23]
	v_fma_f64 v[0:1], v[26:27], v[20:21], -v[0:1]
	v_fmac_f64_e32 v[2:3], v[28:29], v[20:21]
	scratch_load_dwordx4 v[20:23], off, s46
	s_waitcnt vmcnt(0)
	v_add_f64 v[20:21], v[20:21], -v[0:1]
	v_add_f64 v[22:23], v[22:23], -v[2:3]
	scratch_store_dwordx4 off, v[20:23], s46
	scratch_load_dwordx4 v[26:29], off, off offset:64
	ds_read2_b64 v[20:23], v25 offset0:114 offset1:115
	s_add_i32 s46, s4, 0x3e0
	s_waitcnt vmcnt(0) lgkmcnt(0)
	v_mul_f64 v[0:1], v[22:23], v[28:29]
	v_mul_f64 v[2:3], v[20:21], v[28:29]
	v_fma_f64 v[0:1], v[20:21], v[26:27], -v[0:1]
	v_fmac_f64_e32 v[2:3], v[22:23], v[26:27]
	scratch_load_dwordx4 v[20:23], off, s46
	s_waitcnt vmcnt(0)
	v_add_f64 v[20:21], v[20:21], -v[0:1]
	v_add_f64 v[22:23], v[22:23], -v[2:3]
	scratch_store_dwordx4 off, v[20:23], s46
	scratch_load_dwordx4 v[26:29], off, off offset:64
	ds_read2_b64 v[20:23], v25 offset0:116 offset1:117
	s_add_i32 s46, s4, 0x3f0
	s_waitcnt vmcnt(0) lgkmcnt(0)
	v_mul_f64 v[0:1], v[22:23], v[28:29]
	v_mul_f64 v[2:3], v[20:21], v[28:29]
	v_fma_f64 v[0:1], v[20:21], v[26:27], -v[0:1]
	v_fmac_f64_e32 v[2:3], v[22:23], v[26:27]
	scratch_load_dwordx4 v[20:23], off, s46
	ds_read2_b64 v[26:29], v25 offset0:118 offset1:119
	s_waitcnt vmcnt(0)
	v_add_f64 v[20:21], v[20:21], -v[0:1]
	v_add_f64 v[22:23], v[22:23], -v[2:3]
	scratch_store_dwordx4 off, v[20:23], s46
	scratch_load_dwordx4 v[20:23], off, off offset:64
	s_add_i32 s46, s4, 0x400
	s_waitcnt vmcnt(0) lgkmcnt(0)
	v_mul_f64 v[0:1], v[28:29], v[22:23]
	v_mul_f64 v[2:3], v[26:27], v[22:23]
	v_fma_f64 v[0:1], v[26:27], v[20:21], -v[0:1]
	v_fmac_f64_e32 v[2:3], v[28:29], v[20:21]
	scratch_load_dwordx4 v[26:29], off, s46
	s_waitcnt vmcnt(0)
	v_add_f64 v[26:27], v[26:27], -v[0:1]
	v_add_f64 v[28:29], v[28:29], -v[2:3]
	scratch_store_dwordx4 off, v[26:29], s46
	ds_read2_b64 v[26:29], v25 offset0:120 offset1:121
	s_add_i32 s46, s4, 0x410
	s_waitcnt lgkmcnt(0)
	v_mul_f64 v[0:1], v[28:29], v[22:23]
	v_mul_f64 v[2:3], v[26:27], v[22:23]
	v_fma_f64 v[0:1], v[26:27], v[20:21], -v[0:1]
	v_fmac_f64_e32 v[2:3], v[28:29], v[20:21]
	scratch_load_dwordx4 v[26:29], off, s46
	s_waitcnt vmcnt(0)
	v_add_f64 v[26:27], v[26:27], -v[0:1]
	v_add_f64 v[28:29], v[28:29], -v[2:3]
	scratch_store_dwordx4 off, v[26:29], s46
	ds_read2_b64 v[26:29], v25 offset0:122 offset1:123
	s_add_i32 s46, s4, 0x420
	s_waitcnt lgkmcnt(0)
	v_mul_f64 v[0:1], v[28:29], v[22:23]
	v_mul_f64 v[2:3], v[26:27], v[22:23]
	v_fma_f64 v[0:1], v[26:27], v[20:21], -v[0:1]
	v_fmac_f64_e32 v[2:3], v[28:29], v[20:21]
	scratch_load_dwordx4 v[26:29], off, s46
	s_waitcnt vmcnt(0)
	v_add_f64 v[26:27], v[26:27], -v[0:1]
	v_add_f64 v[28:29], v[28:29], -v[2:3]
	scratch_store_dwordx4 off, v[26:29], s46
	ds_read2_b64 v[26:29], v25 offset0:124 offset1:125
	s_add_i32 s46, s4, 0x430
	s_addk_i32 s4, 0x80
	s_cmp_lg_u32 s4, 0
	s_waitcnt lgkmcnt(0)
	v_mul_f64 v[0:1], v[28:29], v[22:23]
	v_mul_f64 v[2:3], v[26:27], v[22:23]
	v_fma_f64 v[0:1], v[26:27], v[20:21], -v[0:1]
	v_fmac_f64_e32 v[2:3], v[28:29], v[20:21]
	scratch_load_dwordx4 v[26:29], off, s46
	s_waitcnt vmcnt(0)
	v_add_f64 v[26:27], v[26:27], -v[0:1]
	v_add_f64 v[28:29], v[28:29], -v[2:3]
	scratch_store_dwordx4 off, v[26:29], s46
	ds_read2_b64 v[26:29], v25 offset0:126 offset1:127
	s_waitcnt lgkmcnt(0)
	v_mul_f64 v[0:1], v[28:29], v[22:23]
	v_mul_f64 v[2:3], v[26:27], v[22:23]
	v_fma_f64 v[0:1], v[26:27], v[20:21], -v[0:1]
	v_fmac_f64_e32 v[2:3], v[28:29], v[20:21]
	scratch_load_dwordx4 v[26:29], off, s5
	s_waitcnt vmcnt(0)
	v_add_f64 v[26:27], v[26:27], -v[0:1]
	v_add_f64 v[28:29], v[28:29], -v[2:3]
	scratch_store_dwordx4 off, v[26:29], s5
	s_cbranch_scc1 .LBB121_64
.LBB121_65:
	s_or_b64 exec, exec, s[2:3]
	v_cmp_eq_u32_e32 vcc, 5, v252
	s_waitcnt lgkmcnt(0)
	s_barrier
	s_and_saveexec_b64 s[4:5], vcc
	s_cbranch_execz .LBB121_74
; %bb.66:
	scratch_load_dwordx4 v[22:25], off, s65
	v_add_u32_e32 v20, 0x60, v248
	s_movk_i32 s2, 0xfc90
	s_waitcnt vmcnt(0)
	ds_write2_b64 v253, v[22:23], v[24:25] offset1:1
.LBB121_67:                             ; =>This Inner Loop Header: Depth=1
	s_add_i32 s46, s2, 0x3d0
	scratch_load_dwordx4 v[22:25], off, s46
	v_add_u32_e32 v0, s2, v20
	s_add_i32 s46, s2, 0x3e0
	s_add_i32 s3, s2, 0x470
	s_waitcnt vmcnt(0)
	ds_write2_b64 v0, v[22:23], v[24:25] offset0:110 offset1:111
	scratch_load_dwordx4 v[22:25], off, s46
	s_add_i32 s46, s2, 0x3f0
	s_waitcnt vmcnt(0)
	ds_write2_b64 v0, v[22:23], v[24:25] offset0:112 offset1:113
	scratch_load_dwordx4 v[22:25], off, s46
	;; [unrolled: 4-line block ×8, first 2 shown]
	s_add_i32 s46, s2, 0x460
	s_addk_i32 s2, 0xb0
	s_cmp_lg_u32 s2, 0
	s_waitcnt vmcnt(0)
	ds_write2_b64 v0, v[22:23], v[24:25] offset0:126 offset1:127
	scratch_load_dwordx4 v[22:25], off, s46
	s_waitcnt vmcnt(0)
	ds_write2_b64 v0, v[22:23], v[24:25] offset0:128 offset1:129
	scratch_load_dwordx4 v[22:25], off, s3
	s_waitcnt vmcnt(0)
	ds_write2_b64 v0, v[22:23], v[24:25] offset0:130 offset1:131
	s_cbranch_scc1 .LBB121_67
; %bb.68:
	ds_read2_b64 v[20:23], v253 offset1:1
	s_waitcnt lgkmcnt(0)
	v_cmp_neq_f64_e32 vcc, 0, v[20:21]
	v_cmp_neq_f64_e64 s[2:3], 0, v[22:23]
	s_or_b64 s[2:3], vcc, s[2:3]
	s_and_b64 exec, exec, s[2:3]
	s_cbranch_execz .LBB121_74
; %bb.69:
	v_cmp_ngt_f64_e64 s[2:3], |v[20:21]|, |v[22:23]|
                                        ; implicit-def: $vgpr24_vgpr25
	s_and_saveexec_b64 s[70:71], s[2:3]
	s_xor_b64 s[2:3], exec, s[70:71]
                                        ; implicit-def: $vgpr26_vgpr27
	s_cbranch_execz .LBB121_71
; %bb.70:
	v_div_scale_f64 v[0:1], s[70:71], v[22:23], v[22:23], v[20:21]
	v_rcp_f64_e32 v[2:3], v[0:1]
	v_div_scale_f64 v[24:25], vcc, v[20:21], v[22:23], v[20:21]
	v_fma_f64 v[26:27], -v[0:1], v[2:3], 1.0
	v_fmac_f64_e32 v[2:3], v[2:3], v[26:27]
	v_fma_f64 v[26:27], -v[0:1], v[2:3], 1.0
	v_fmac_f64_e32 v[2:3], v[2:3], v[26:27]
	v_mul_f64 v[26:27], v[24:25], v[2:3]
	v_fma_f64 v[0:1], -v[0:1], v[26:27], v[24:25]
	v_div_fmas_f64 v[0:1], v[0:1], v[2:3], v[26:27]
	v_div_fixup_f64 v[0:1], v[0:1], v[22:23], v[20:21]
	v_fmac_f64_e32 v[22:23], v[20:21], v[0:1]
	v_div_scale_f64 v[2:3], s[70:71], v[22:23], v[22:23], 1.0
	v_rcp_f64_e32 v[20:21], v[2:3]
	s_nop 0
	v_fma_f64 v[24:25], -v[2:3], v[20:21], 1.0
	v_fmac_f64_e32 v[20:21], v[20:21], v[24:25]
	v_fma_f64 v[24:25], -v[2:3], v[20:21], 1.0
	v_fmac_f64_e32 v[20:21], v[20:21], v[24:25]
	v_div_scale_f64 v[24:25], vcc, 1.0, v[22:23], 1.0
	v_mul_f64 v[26:27], v[24:25], v[20:21]
	v_fma_f64 v[2:3], -v[2:3], v[26:27], v[24:25]
	s_nop 1
	v_div_fmas_f64 v[2:3], v[2:3], v[20:21], v[26:27]
	v_div_fixup_f64 v[26:27], v[2:3], v[22:23], 1.0
	v_mul_f64 v[24:25], v[0:1], v[26:27]
	v_xor_b32_e32 v27, 0x80000000, v27
                                        ; implicit-def: $vgpr20_vgpr21
.LBB121_71:
	s_andn2_saveexec_b64 s[2:3], s[2:3]
	s_cbranch_execz .LBB121_73
; %bb.72:
	v_div_scale_f64 v[0:1], s[70:71], v[20:21], v[20:21], v[22:23]
	v_rcp_f64_e32 v[2:3], v[0:1]
	v_div_scale_f64 v[24:25], vcc, v[22:23], v[20:21], v[22:23]
	v_fma_f64 v[26:27], -v[0:1], v[2:3], 1.0
	v_fmac_f64_e32 v[2:3], v[2:3], v[26:27]
	v_fma_f64 v[26:27], -v[0:1], v[2:3], 1.0
	v_fmac_f64_e32 v[2:3], v[2:3], v[26:27]
	v_mul_f64 v[26:27], v[24:25], v[2:3]
	v_fma_f64 v[0:1], -v[0:1], v[26:27], v[24:25]
	v_div_fmas_f64 v[0:1], v[0:1], v[2:3], v[26:27]
	v_div_fixup_f64 v[0:1], v[0:1], v[20:21], v[22:23]
	v_fmac_f64_e32 v[20:21], v[22:23], v[0:1]
	v_div_scale_f64 v[2:3], s[70:71], v[20:21], v[20:21], 1.0
	v_rcp_f64_e32 v[22:23], v[2:3]
	s_nop 0
	v_fma_f64 v[24:25], -v[2:3], v[22:23], 1.0
	v_fmac_f64_e32 v[22:23], v[22:23], v[24:25]
	v_fma_f64 v[24:25], -v[2:3], v[22:23], 1.0
	v_fmac_f64_e32 v[22:23], v[22:23], v[24:25]
	v_div_scale_f64 v[24:25], vcc, 1.0, v[20:21], 1.0
	v_mul_f64 v[26:27], v[24:25], v[22:23]
	v_fma_f64 v[2:3], -v[2:3], v[26:27], v[24:25]
	s_nop 1
	v_div_fmas_f64 v[2:3], v[2:3], v[22:23], v[26:27]
	v_div_fixup_f64 v[24:25], v[2:3], v[20:21], 1.0
	v_mul_f64 v[26:27], v[0:1], -v[24:25]
.LBB121_73:
	s_or_b64 exec, exec, s[2:3]
	ds_write2_b64 v253, v[24:25], v[26:27] offset1:1
.LBB121_74:
	s_or_b64 exec, exec, s[4:5]
	s_waitcnt lgkmcnt(0)
	s_barrier
	ds_read2_b64 v[20:23], v253 offset1:1
	v_cmp_lt_u32_e32 vcc, 5, v252
	s_and_saveexec_b64 s[2:3], vcc
	s_cbranch_execz .LBB121_77
; %bb.75:
	scratch_load_dwordx4 v[30:33], off, off offset:80
	v_add_u32_e32 v28, 0x60, v248
	s_movk_i32 s4, 0xfc90
	s_waitcnt vmcnt(0) lgkmcnt(0)
	v_mul_f64 v[0:1], v[22:23], v[32:33]
	v_mul_f64 v[26:27], v[20:21], v[32:33]
	v_fma_f64 v[24:25], v[20:21], v[30:31], -v[0:1]
	v_fmac_f64_e32 v[26:27], v[22:23], v[30:31]
	scratch_store_dwordx4 off, v[24:27], off offset:80
.LBB121_76:                             ; =>This Inner Loop Header: Depth=1
	v_add_u32_e32 v29, s4, v28
	ds_read2_b64 v[30:33], v29 offset0:110 offset1:111
	s_add_i32 s46, s4, 0x3d0
	s_add_i32 s5, s4, 0x410
	s_waitcnt lgkmcnt(0)
	v_mul_f64 v[0:1], v[32:33], v[26:27]
	v_mul_f64 v[2:3], v[30:31], v[26:27]
	v_fma_f64 v[0:1], v[30:31], v[24:25], -v[0:1]
	v_fmac_f64_e32 v[2:3], v[32:33], v[24:25]
	scratch_load_dwordx4 v[24:27], off, s46
	s_waitcnt vmcnt(0)
	v_add_f64 v[24:25], v[24:25], -v[0:1]
	v_add_f64 v[26:27], v[26:27], -v[2:3]
	scratch_store_dwordx4 off, v[24:27], s46
	scratch_load_dwordx4 v[30:33], off, off offset:80
	ds_read2_b64 v[24:27], v29 offset0:112 offset1:113
	s_add_i32 s46, s4, 0x3e0
	s_waitcnt vmcnt(0) lgkmcnt(0)
	v_mul_f64 v[0:1], v[26:27], v[32:33]
	v_mul_f64 v[2:3], v[24:25], v[32:33]
	v_fma_f64 v[0:1], v[24:25], v[30:31], -v[0:1]
	v_fmac_f64_e32 v[2:3], v[26:27], v[30:31]
	scratch_load_dwordx4 v[24:27], off, s46
	s_waitcnt vmcnt(0)
	v_add_f64 v[24:25], v[24:25], -v[0:1]
	v_add_f64 v[26:27], v[26:27], -v[2:3]
	scratch_store_dwordx4 off, v[24:27], s46
	scratch_load_dwordx4 v[30:33], off, off offset:80
	ds_read2_b64 v[24:27], v29 offset0:114 offset1:115
	s_add_i32 s46, s4, 0x3f0
	s_waitcnt vmcnt(0) lgkmcnt(0)
	v_mul_f64 v[0:1], v[26:27], v[32:33]
	v_mul_f64 v[2:3], v[24:25], v[32:33]
	v_fma_f64 v[0:1], v[24:25], v[30:31], -v[0:1]
	v_fmac_f64_e32 v[2:3], v[26:27], v[30:31]
	scratch_load_dwordx4 v[24:27], off, s46
	s_waitcnt vmcnt(0)
	v_add_f64 v[24:25], v[24:25], -v[0:1]
	v_add_f64 v[26:27], v[26:27], -v[2:3]
	scratch_store_dwordx4 off, v[24:27], s46
	scratch_load_dwordx4 v[30:33], off, off offset:80
	ds_read2_b64 v[24:27], v29 offset0:116 offset1:117
	s_add_i32 s46, s4, 0x400
	s_addk_i32 s4, 0x50
	s_cmp_lg_u32 s4, 0
	s_waitcnt vmcnt(0) lgkmcnt(0)
	v_mul_f64 v[0:1], v[26:27], v[32:33]
	v_mul_f64 v[2:3], v[24:25], v[32:33]
	v_fma_f64 v[0:1], v[24:25], v[30:31], -v[0:1]
	v_fmac_f64_e32 v[2:3], v[26:27], v[30:31]
	scratch_load_dwordx4 v[24:27], off, s46
	ds_read2_b64 v[30:33], v29 offset0:118 offset1:119
	s_waitcnt vmcnt(0)
	v_add_f64 v[24:25], v[24:25], -v[0:1]
	v_add_f64 v[26:27], v[26:27], -v[2:3]
	scratch_store_dwordx4 off, v[24:27], s46
	scratch_load_dwordx4 v[24:27], off, off offset:80
	s_waitcnt vmcnt(0) lgkmcnt(0)
	v_mul_f64 v[0:1], v[32:33], v[26:27]
	v_mul_f64 v[2:3], v[30:31], v[26:27]
	v_fma_f64 v[0:1], v[30:31], v[24:25], -v[0:1]
	v_fmac_f64_e32 v[2:3], v[32:33], v[24:25]
	scratch_load_dwordx4 v[30:33], off, s5
	s_waitcnt vmcnt(0)
	v_add_f64 v[30:31], v[30:31], -v[0:1]
	v_add_f64 v[32:33], v[32:33], -v[2:3]
	scratch_store_dwordx4 off, v[30:33], s5
	s_cbranch_scc1 .LBB121_76
.LBB121_77:
	s_or_b64 exec, exec, s[2:3]
	v_cmp_eq_u32_e32 vcc, 6, v252
	s_waitcnt lgkmcnt(0)
	s_barrier
	s_and_saveexec_b64 s[4:5], vcc
	s_cbranch_execz .LBB121_86
; %bb.78:
	scratch_load_dwordx4 v[26:29], off, s64
	v_add_u32_e32 v24, 0x70, v248
	s_movk_i32 s2, 0xfca0
	s_waitcnt vmcnt(0)
	ds_write2_b64 v253, v[26:27], v[28:29] offset1:1
.LBB121_79:                             ; =>This Inner Loop Header: Depth=1
	s_add_i32 s46, s2, 0x3d0
	scratch_load_dwordx4 v[26:29], off, s46
	v_add_u32_e32 v0, s2, v24
	s_add_i32 s46, s2, 0x3e0
	s_add_i32 s3, s2, 0x4e0
	s_waitcnt vmcnt(0)
	ds_write2_b64 v0, v[26:27], v[28:29] offset0:108 offset1:109
	scratch_load_dwordx4 v[26:29], off, s46
	s_add_i32 s46, s2, 0x3f0
	s_waitcnt vmcnt(0)
	ds_write2_b64 v0, v[26:27], v[28:29] offset0:110 offset1:111
	scratch_load_dwordx4 v[26:29], off, s46
	;; [unrolled: 4-line block ×15, first 2 shown]
	s_add_i32 s46, s2, 0x4d0
	s_addk_i32 s2, 0x120
	s_cmp_lg_u32 s2, 0
	s_waitcnt vmcnt(0)
	ds_write2_b64 v0, v[26:27], v[28:29] offset0:138 offset1:139
	scratch_load_dwordx4 v[26:29], off, s46
	s_waitcnt vmcnt(0)
	ds_write2_b64 v0, v[26:27], v[28:29] offset0:140 offset1:141
	scratch_load_dwordx4 v[26:29], off, s3
	s_waitcnt vmcnt(0)
	ds_write2_b64 v0, v[26:27], v[28:29] offset0:142 offset1:143
	s_cbranch_scc1 .LBB121_79
; %bb.80:
	ds_read2_b64 v[24:27], v253 offset1:1
	s_waitcnt lgkmcnt(0)
	v_cmp_neq_f64_e32 vcc, 0, v[24:25]
	v_cmp_neq_f64_e64 s[2:3], 0, v[26:27]
	s_or_b64 s[2:3], vcc, s[2:3]
	s_and_b64 exec, exec, s[2:3]
	s_cbranch_execz .LBB121_86
; %bb.81:
	v_cmp_ngt_f64_e64 s[2:3], |v[24:25]|, |v[26:27]|
                                        ; implicit-def: $vgpr28_vgpr29
	s_and_saveexec_b64 s[70:71], s[2:3]
	s_xor_b64 s[2:3], exec, s[70:71]
                                        ; implicit-def: $vgpr30_vgpr31
	s_cbranch_execz .LBB121_83
; %bb.82:
	v_div_scale_f64 v[0:1], s[70:71], v[26:27], v[26:27], v[24:25]
	v_rcp_f64_e32 v[2:3], v[0:1]
	v_div_scale_f64 v[28:29], vcc, v[24:25], v[26:27], v[24:25]
	v_fma_f64 v[30:31], -v[0:1], v[2:3], 1.0
	v_fmac_f64_e32 v[2:3], v[2:3], v[30:31]
	v_fma_f64 v[30:31], -v[0:1], v[2:3], 1.0
	v_fmac_f64_e32 v[2:3], v[2:3], v[30:31]
	v_mul_f64 v[30:31], v[28:29], v[2:3]
	v_fma_f64 v[0:1], -v[0:1], v[30:31], v[28:29]
	v_div_fmas_f64 v[0:1], v[0:1], v[2:3], v[30:31]
	v_div_fixup_f64 v[0:1], v[0:1], v[26:27], v[24:25]
	v_fmac_f64_e32 v[26:27], v[24:25], v[0:1]
	v_div_scale_f64 v[2:3], s[70:71], v[26:27], v[26:27], 1.0
	v_rcp_f64_e32 v[24:25], v[2:3]
	s_nop 0
	v_fma_f64 v[28:29], -v[2:3], v[24:25], 1.0
	v_fmac_f64_e32 v[24:25], v[24:25], v[28:29]
	v_fma_f64 v[28:29], -v[2:3], v[24:25], 1.0
	v_fmac_f64_e32 v[24:25], v[24:25], v[28:29]
	v_div_scale_f64 v[28:29], vcc, 1.0, v[26:27], 1.0
	v_mul_f64 v[30:31], v[28:29], v[24:25]
	v_fma_f64 v[2:3], -v[2:3], v[30:31], v[28:29]
	s_nop 1
	v_div_fmas_f64 v[2:3], v[2:3], v[24:25], v[30:31]
	v_div_fixup_f64 v[30:31], v[2:3], v[26:27], 1.0
	v_mul_f64 v[28:29], v[0:1], v[30:31]
	v_xor_b32_e32 v31, 0x80000000, v31
                                        ; implicit-def: $vgpr24_vgpr25
.LBB121_83:
	s_andn2_saveexec_b64 s[2:3], s[2:3]
	s_cbranch_execz .LBB121_85
; %bb.84:
	v_div_scale_f64 v[0:1], s[70:71], v[24:25], v[24:25], v[26:27]
	v_rcp_f64_e32 v[2:3], v[0:1]
	v_div_scale_f64 v[28:29], vcc, v[26:27], v[24:25], v[26:27]
	v_fma_f64 v[30:31], -v[0:1], v[2:3], 1.0
	v_fmac_f64_e32 v[2:3], v[2:3], v[30:31]
	v_fma_f64 v[30:31], -v[0:1], v[2:3], 1.0
	v_fmac_f64_e32 v[2:3], v[2:3], v[30:31]
	v_mul_f64 v[30:31], v[28:29], v[2:3]
	v_fma_f64 v[0:1], -v[0:1], v[30:31], v[28:29]
	v_div_fmas_f64 v[0:1], v[0:1], v[2:3], v[30:31]
	v_div_fixup_f64 v[0:1], v[0:1], v[24:25], v[26:27]
	v_fmac_f64_e32 v[24:25], v[26:27], v[0:1]
	v_div_scale_f64 v[2:3], s[70:71], v[24:25], v[24:25], 1.0
	v_rcp_f64_e32 v[26:27], v[2:3]
	s_nop 0
	v_fma_f64 v[28:29], -v[2:3], v[26:27], 1.0
	v_fmac_f64_e32 v[26:27], v[26:27], v[28:29]
	v_fma_f64 v[28:29], -v[2:3], v[26:27], 1.0
	v_fmac_f64_e32 v[26:27], v[26:27], v[28:29]
	v_div_scale_f64 v[28:29], vcc, 1.0, v[24:25], 1.0
	v_mul_f64 v[30:31], v[28:29], v[26:27]
	v_fma_f64 v[2:3], -v[2:3], v[30:31], v[28:29]
	s_nop 1
	v_div_fmas_f64 v[2:3], v[2:3], v[26:27], v[30:31]
	v_div_fixup_f64 v[28:29], v[2:3], v[24:25], 1.0
	v_mul_f64 v[30:31], v[0:1], -v[28:29]
.LBB121_85:
	s_or_b64 exec, exec, s[2:3]
	ds_write2_b64 v253, v[28:29], v[30:31] offset1:1
.LBB121_86:
	s_or_b64 exec, exec, s[4:5]
	s_waitcnt lgkmcnt(0)
	s_barrier
	ds_read2_b64 v[24:27], v253 offset1:1
	v_cmp_lt_u32_e32 vcc, 6, v252
	s_and_saveexec_b64 s[2:3], vcc
	s_cbranch_execz .LBB121_89
; %bb.87:
	scratch_load_dwordx4 v[34:37], off, off offset:96
	v_add_u32_e32 v32, 0x70, v248
	s_movk_i32 s4, 0xfca0
	s_waitcnt vmcnt(0) lgkmcnt(0)
	v_mul_f64 v[0:1], v[26:27], v[36:37]
	v_mul_f64 v[30:31], v[24:25], v[36:37]
	v_fma_f64 v[28:29], v[24:25], v[34:35], -v[0:1]
	v_fmac_f64_e32 v[30:31], v[26:27], v[34:35]
	scratch_store_dwordx4 off, v[28:31], off offset:96
.LBB121_88:                             ; =>This Inner Loop Header: Depth=1
	s_add_i32 s70, s4, 0x3d0
	scratch_load_dwordx4 v[34:37], off, s70
	v_add_u32_e32 v33, s4, v32
	ds_read2_b64 v[38:41], v33 offset0:108 offset1:109
	ds_read2_b64 v[42:45], v33 offset0:110 offset1:111
	s_add_i32 s46, s4, 0x3e0
	scratch_load_dwordx4 v[46:49], off, s46
	s_add_i32 s71, s4, 0x450
	s_waitcnt lgkmcnt(1)
	v_mul_f64 v[0:1], v[40:41], v[30:31]
	v_mul_f64 v[2:3], v[38:39], v[30:31]
	v_fma_f64 v[0:1], v[38:39], v[28:29], -v[0:1]
	v_fmac_f64_e32 v[2:3], v[40:41], v[28:29]
	s_add_i32 s72, s4, 0x430
	s_add_i32 s5, s4, 0x440
	s_waitcnt vmcnt(1)
	v_add_f64 v[28:29], v[34:35], -v[0:1]
	v_add_f64 v[30:31], v[36:37], -v[2:3]
	scratch_store_dwordx4 off, v[28:31], s70
	scratch_load_dwordx4 v[28:31], off, off offset:96
	s_add_i32 s70, s4, 0x3f0
	scratch_load_dwordx4 v[34:37], off, s71
	s_waitcnt vmcnt(1) lgkmcnt(0)
	v_mul_f64 v[0:1], v[44:45], v[30:31]
	v_mul_f64 v[2:3], v[42:43], v[30:31]
	v_fma_f64 v[0:1], v[42:43], v[28:29], -v[0:1]
	v_fmac_f64_e32 v[2:3], v[44:45], v[28:29]
	v_add_f64 v[28:29], v[46:47], -v[0:1]
	v_add_f64 v[30:31], v[48:49], -v[2:3]
	scratch_store_dwordx4 off, v[28:31], s46
	scratch_load_dwordx4 v[28:31], off, off offset:96
	s_nop 0
	scratch_load_dwordx4 v[38:41], off, s70
	ds_read2_b64 v[42:45], v33 offset0:112 offset1:113
	ds_read2_b64 v[46:49], v33 offset0:114 offset1:115
	s_add_i32 s46, s4, 0x400
	scratch_load_dwordx4 v[50:53], off, s46
	s_waitcnt vmcnt(2) lgkmcnt(1)
	v_mul_f64 v[0:1], v[44:45], v[30:31]
	v_mul_f64 v[2:3], v[42:43], v[30:31]
	v_fma_f64 v[0:1], v[42:43], v[28:29], -v[0:1]
	v_fmac_f64_e32 v[2:3], v[44:45], v[28:29]
	s_waitcnt vmcnt(1)
	v_add_f64 v[28:29], v[38:39], -v[0:1]
	v_add_f64 v[30:31], v[40:41], -v[2:3]
	scratch_store_dwordx4 off, v[28:31], s70
	scratch_load_dwordx4 v[28:31], off, off offset:96
	s_add_i32 s70, s4, 0x410
	s_waitcnt vmcnt(0) lgkmcnt(0)
	v_mul_f64 v[0:1], v[48:49], v[30:31]
	v_mul_f64 v[2:3], v[46:47], v[30:31]
	v_fma_f64 v[0:1], v[46:47], v[28:29], -v[0:1]
	v_fmac_f64_e32 v[2:3], v[48:49], v[28:29]
	v_add_f64 v[28:29], v[50:51], -v[0:1]
	v_add_f64 v[30:31], v[52:53], -v[2:3]
	scratch_store_dwordx4 off, v[28:31], s46
	scratch_load_dwordx4 v[28:31], off, off offset:96
	s_nop 0
	scratch_load_dwordx4 v[38:41], off, s70
	ds_read2_b64 v[42:45], v33 offset0:116 offset1:117
	ds_read2_b64 v[46:49], v33 offset0:118 offset1:119
	s_add_i32 s46, s4, 0x420
	scratch_load_dwordx4 v[50:53], off, s46
	scratch_load_dwordx4 v[54:57], off, s72
	s_addk_i32 s4, 0x90
	s_cmp_lg_u32 s4, 0
	s_waitcnt vmcnt(3) lgkmcnt(1)
	v_mul_f64 v[0:1], v[44:45], v[30:31]
	v_mul_f64 v[2:3], v[42:43], v[30:31]
	v_fma_f64 v[0:1], v[42:43], v[28:29], -v[0:1]
	v_fmac_f64_e32 v[2:3], v[44:45], v[28:29]
	s_waitcnt vmcnt(2)
	v_add_f64 v[28:29], v[38:39], -v[0:1]
	v_add_f64 v[30:31], v[40:41], -v[2:3]
	scratch_store_dwordx4 off, v[28:31], s70
	scratch_load_dwordx4 v[28:31], off, off offset:96
	s_nop 0
	scratch_load_dwordx4 v[38:41], off, s5
	ds_read2_b64 v[42:45], v33 offset0:120 offset1:121
	ds_read2_b64 v[58:61], v33 offset0:122 offset1:123
	;; [unrolled: 1-line block ×3, first 2 shown]
	s_waitcnt vmcnt(1) lgkmcnt(3)
	v_mul_f64 v[0:1], v[48:49], v[30:31]
	v_mul_f64 v[2:3], v[46:47], v[30:31]
	s_waitcnt lgkmcnt(2)
	v_mul_f64 v[66:67], v[44:45], v[30:31]
	v_mul_f64 v[68:69], v[42:43], v[30:31]
	s_waitcnt lgkmcnt(1)
	;; [unrolled: 3-line block ×3, first 2 shown]
	v_mul_f64 v[74:75], v[64:65], v[30:31]
	v_mul_f64 v[76:77], v[62:63], v[30:31]
	v_fma_f64 v[0:1], v[46:47], v[28:29], -v[0:1]
	v_fmac_f64_e32 v[2:3], v[48:49], v[28:29]
	v_fma_f64 v[46:47], v[42:43], v[28:29], -v[66:67]
	v_fmac_f64_e32 v[68:69], v[44:45], v[28:29]
	;; [unrolled: 2-line block ×4, first 2 shown]
	v_add_f64 v[42:43], v[50:51], -v[0:1]
	v_add_f64 v[44:45], v[52:53], -v[2:3]
	;; [unrolled: 1-line block ×4, first 2 shown]
	s_waitcnt vmcnt(0)
	v_add_f64 v[38:39], v[38:39], -v[58:59]
	v_add_f64 v[40:41], v[40:41], -v[72:73]
	;; [unrolled: 1-line block ×4, first 2 shown]
	scratch_store_dwordx4 off, v[42:45], s46
	scratch_store_dwordx4 off, v[46:49], s72
	;; [unrolled: 1-line block ×4, first 2 shown]
	s_cbranch_scc1 .LBB121_88
.LBB121_89:
	s_or_b64 exec, exec, s[2:3]
	v_cmp_eq_u32_e32 vcc, 7, v252
	s_waitcnt lgkmcnt(0)
	s_barrier
	s_and_saveexec_b64 s[4:5], vcc
	s_cbranch_execz .LBB121_100
; %bb.90:
	scratch_load_dwordx4 v[28:31], off, s63
	s_mov_b32 s46, 0
	s_waitcnt vmcnt(0)
	ds_write2_b64 v253, v[28:29], v[30:31] offset1:1
	v_add_u32_e32 v28, 0x80, v248
	s_branch .LBB121_92
.LBB121_91:                             ;   in Loop: Header=BB121_92 Depth=1
	s_andn2_b64 vcc, exec, s[2:3]
	s_cbranch_vccz .LBB121_94
.LBB121_92:                             ; =>This Inner Loop Header: Depth=1
	s_add_i32 s2, s46, 0x80
	s_add_i32 s3, s46, 0x90
	scratch_load_dwordx4 v[30:33], off, s2
	scratch_load_dwordx4 v[34:37], off, s3
	s_add_i32 s2, s46, 0xa0
	s_add_i32 s3, s46, 0xb0
	scratch_load_dwordx4 v[38:41], off, s2
	scratch_load_dwordx4 v[42:45], off, s3
	s_add_i32 s2, s46, 0xc0
	scratch_load_dwordx4 v[46:49], off, s2
	s_mov_b32 s70, s46
	v_add_u32_e32 v29, s46, v28
	s_cmpk_eq_i32 s46, 0x300
	s_mov_b64 s[2:3], -1
	s_waitcnt vmcnt(4)
	ds_write2_b64 v29, v[30:31], v[32:33] offset1:1
	s_waitcnt vmcnt(3)
	ds_write2_b64 v29, v[34:35], v[36:37] offset0:2 offset1:3
	s_waitcnt vmcnt(2)
	ds_write2_b64 v29, v[38:39], v[40:41] offset0:4 offset1:5
	;; [unrolled: 2-line block ×4, first 2 shown]
	s_cbranch_scc1 .LBB121_91
; %bb.93:                               ;   in Loop: Header=BB121_92 Depth=1
	s_add_i32 s2, s70, 0xd0
	s_add_i32 s3, s70, 0xe0
	scratch_load_dwordx4 v[30:33], off, s2
	scratch_load_dwordx4 v[34:37], off, s3
	s_addk_i32 s70, 0xf0
	scratch_load_dwordx4 v[38:41], off, s70
	s_addk_i32 s46, 0x80
	s_mov_b64 s[2:3], 0
	s_waitcnt vmcnt(2)
	ds_write2_b64 v29, v[30:31], v[32:33] offset0:10 offset1:11
	s_waitcnt vmcnt(1)
	ds_write2_b64 v29, v[34:35], v[36:37] offset0:12 offset1:13
	;; [unrolled: 2-line block ×3, first 2 shown]
	s_branch .LBB121_91
.LBB121_94:
	ds_read2_b64 v[28:31], v253 offset1:1
	s_waitcnt lgkmcnt(0)
	v_cmp_neq_f64_e32 vcc, 0, v[28:29]
	v_cmp_neq_f64_e64 s[2:3], 0, v[30:31]
	s_or_b64 s[2:3], vcc, s[2:3]
	s_and_b64 exec, exec, s[2:3]
	s_cbranch_execz .LBB121_100
; %bb.95:
	v_cmp_ngt_f64_e64 s[2:3], |v[28:29]|, |v[30:31]|
                                        ; implicit-def: $vgpr32_vgpr33
	s_and_saveexec_b64 s[70:71], s[2:3]
	s_xor_b64 s[2:3], exec, s[70:71]
                                        ; implicit-def: $vgpr34_vgpr35
	s_cbranch_execz .LBB121_97
; %bb.96:
	v_div_scale_f64 v[0:1], s[70:71], v[30:31], v[30:31], v[28:29]
	v_rcp_f64_e32 v[2:3], v[0:1]
	v_div_scale_f64 v[32:33], vcc, v[28:29], v[30:31], v[28:29]
	v_fma_f64 v[34:35], -v[0:1], v[2:3], 1.0
	v_fmac_f64_e32 v[2:3], v[2:3], v[34:35]
	v_fma_f64 v[34:35], -v[0:1], v[2:3], 1.0
	v_fmac_f64_e32 v[2:3], v[2:3], v[34:35]
	v_mul_f64 v[34:35], v[32:33], v[2:3]
	v_fma_f64 v[0:1], -v[0:1], v[34:35], v[32:33]
	v_div_fmas_f64 v[0:1], v[0:1], v[2:3], v[34:35]
	v_div_fixup_f64 v[0:1], v[0:1], v[30:31], v[28:29]
	v_fmac_f64_e32 v[30:31], v[28:29], v[0:1]
	v_div_scale_f64 v[2:3], s[70:71], v[30:31], v[30:31], 1.0
	v_rcp_f64_e32 v[28:29], v[2:3]
	s_nop 0
	v_fma_f64 v[32:33], -v[2:3], v[28:29], 1.0
	v_fmac_f64_e32 v[28:29], v[28:29], v[32:33]
	v_fma_f64 v[32:33], -v[2:3], v[28:29], 1.0
	v_fmac_f64_e32 v[28:29], v[28:29], v[32:33]
	v_div_scale_f64 v[32:33], vcc, 1.0, v[30:31], 1.0
	v_mul_f64 v[34:35], v[32:33], v[28:29]
	v_fma_f64 v[2:3], -v[2:3], v[34:35], v[32:33]
	s_nop 1
	v_div_fmas_f64 v[2:3], v[2:3], v[28:29], v[34:35]
	v_div_fixup_f64 v[34:35], v[2:3], v[30:31], 1.0
	v_mul_f64 v[32:33], v[0:1], v[34:35]
	v_xor_b32_e32 v35, 0x80000000, v35
                                        ; implicit-def: $vgpr28_vgpr29
.LBB121_97:
	s_andn2_saveexec_b64 s[2:3], s[2:3]
	s_cbranch_execz .LBB121_99
; %bb.98:
	v_div_scale_f64 v[0:1], s[70:71], v[28:29], v[28:29], v[30:31]
	v_rcp_f64_e32 v[2:3], v[0:1]
	v_div_scale_f64 v[32:33], vcc, v[30:31], v[28:29], v[30:31]
	v_fma_f64 v[34:35], -v[0:1], v[2:3], 1.0
	v_fmac_f64_e32 v[2:3], v[2:3], v[34:35]
	v_fma_f64 v[34:35], -v[0:1], v[2:3], 1.0
	v_fmac_f64_e32 v[2:3], v[2:3], v[34:35]
	v_mul_f64 v[34:35], v[32:33], v[2:3]
	v_fma_f64 v[0:1], -v[0:1], v[34:35], v[32:33]
	v_div_fmas_f64 v[0:1], v[0:1], v[2:3], v[34:35]
	v_div_fixup_f64 v[0:1], v[0:1], v[28:29], v[30:31]
	v_fmac_f64_e32 v[28:29], v[30:31], v[0:1]
	v_div_scale_f64 v[2:3], s[70:71], v[28:29], v[28:29], 1.0
	v_rcp_f64_e32 v[30:31], v[2:3]
	s_nop 0
	v_fma_f64 v[32:33], -v[2:3], v[30:31], 1.0
	v_fmac_f64_e32 v[30:31], v[30:31], v[32:33]
	v_fma_f64 v[32:33], -v[2:3], v[30:31], 1.0
	v_fmac_f64_e32 v[30:31], v[30:31], v[32:33]
	v_div_scale_f64 v[32:33], vcc, 1.0, v[28:29], 1.0
	v_mul_f64 v[34:35], v[32:33], v[30:31]
	v_fma_f64 v[2:3], -v[2:3], v[34:35], v[32:33]
	s_nop 1
	v_div_fmas_f64 v[2:3], v[2:3], v[30:31], v[34:35]
	v_div_fixup_f64 v[32:33], v[2:3], v[28:29], 1.0
	v_mul_f64 v[34:35], v[0:1], -v[32:33]
.LBB121_99:
	s_or_b64 exec, exec, s[2:3]
	ds_write2_b64 v253, v[32:33], v[34:35] offset1:1
.LBB121_100:
	s_or_b64 exec, exec, s[4:5]
	s_waitcnt lgkmcnt(0)
	s_barrier
	ds_read2_b64 v[28:31], v253 offset1:1
	v_cmp_lt_u32_e32 vcc, 7, v252
	s_and_saveexec_b64 s[2:3], vcc
	s_cbranch_execz .LBB121_105
; %bb.101:
	scratch_load_dwordx4 v[36:39], off, off offset:112
	s_mov_b32 s46, 0
	s_waitcnt vmcnt(0) lgkmcnt(0)
	v_mul_f64 v[0:1], v[30:31], v[38:39]
	v_mul_f64 v[34:35], v[28:29], v[38:39]
	v_fma_f64 v[32:33], v[28:29], v[36:37], -v[0:1]
	v_fmac_f64_e32 v[34:35], v[30:31], v[36:37]
	v_add_u32_e32 v36, 0x80, v248
	scratch_store_dwordx4 off, v[32:35], off offset:112
	s_branch .LBB121_103
.LBB121_102:                            ;   in Loop: Header=BB121_103 Depth=1
	s_andn2_b64 vcc, exec, s[4:5]
	s_cbranch_vccz .LBB121_105
.LBB121_103:                            ; =>This Inner Loop Header: Depth=1
	s_add_i32 s4, s46, 0x80
	scratch_load_dwordx4 v[38:41], off, s4
	s_add_i32 s5, s46, 0x90
	s_add_i32 s71, s46, 0xa0
	;; [unrolled: 1-line block ×4, first 2 shown]
	scratch_load_dwordx4 v[42:45], off, s5
	scratch_load_dwordx4 v[46:49], off, s71
	;; [unrolled: 1-line block ×4, first 2 shown]
	v_add_u32_e32 v37, s46, v36
	ds_read2_b64 v[58:61], v37 offset1:1
	ds_read2_b64 v[62:65], v37 offset0:2 offset1:3
	ds_read2_b64 v[66:69], v37 offset0:4 offset1:5
	;; [unrolled: 1-line block ×4, first 2 shown]
	s_waitcnt lgkmcnt(4)
	v_mul_f64 v[0:1], v[60:61], v[34:35]
	v_mul_f64 v[2:3], v[58:59], v[34:35]
	s_waitcnt lgkmcnt(3)
	v_mul_f64 v[78:79], v[64:65], v[34:35]
	v_mul_f64 v[80:81], v[62:63], v[34:35]
	;; [unrolled: 3-line block ×5, first 2 shown]
	v_fma_f64 v[0:1], v[58:59], v[32:33], -v[0:1]
	v_fmac_f64_e32 v[2:3], v[60:61], v[32:33]
	v_fma_f64 v[58:59], v[62:63], v[32:33], -v[78:79]
	v_fmac_f64_e32 v[80:81], v[64:65], v[32:33]
	;; [unrolled: 2-line block ×5, first 2 shown]
	s_mov_b32 s70, s46
	s_cmpk_eq_i32 s46, 0x300
	s_waitcnt vmcnt(4)
	v_add_f64 v[38:39], v[38:39], -v[0:1]
	v_add_f64 v[40:41], v[40:41], -v[2:3]
	s_waitcnt vmcnt(3)
	v_add_f64 v[42:43], v[42:43], -v[58:59]
	v_add_f64 v[44:45], v[44:45], -v[80:81]
	;; [unrolled: 3-line block ×5, first 2 shown]
	scratch_store_dwordx4 off, v[38:41], s4
	scratch_store_dwordx4 off, v[42:45], s5
	;; [unrolled: 1-line block ×5, first 2 shown]
	s_mov_b64 s[4:5], -1
	s_cbranch_scc1 .LBB121_102
; %bb.104:                              ;   in Loop: Header=BB121_103 Depth=1
	s_add_i32 s4, s70, 0xd0
	scratch_load_dwordx4 v[38:41], off, s4
	s_add_i32 s5, s70, 0xe0
	s_addk_i32 s70, 0xf0
	scratch_load_dwordx4 v[42:45], off, s5
	scratch_load_dwordx4 v[46:49], off, s70
	ds_read2_b64 v[50:53], v37 offset0:10 offset1:11
	ds_read2_b64 v[54:57], v37 offset0:12 offset1:13
	;; [unrolled: 1-line block ×3, first 2 shown]
	s_addk_i32 s46, 0x80
	s_waitcnt lgkmcnt(2)
	v_mul_f64 v[0:1], v[52:53], v[34:35]
	v_mul_f64 v[2:3], v[50:51], v[34:35]
	s_waitcnt lgkmcnt(1)
	v_mul_f64 v[62:63], v[56:57], v[34:35]
	v_mul_f64 v[64:65], v[54:55], v[34:35]
	;; [unrolled: 3-line block ×3, first 2 shown]
	v_fma_f64 v[0:1], v[50:51], v[32:33], -v[0:1]
	v_fmac_f64_e32 v[2:3], v[52:53], v[32:33]
	v_fma_f64 v[50:51], v[54:55], v[32:33], -v[62:63]
	v_fmac_f64_e32 v[64:65], v[56:57], v[32:33]
	;; [unrolled: 2-line block ×3, first 2 shown]
	s_waitcnt vmcnt(2)
	v_add_f64 v[38:39], v[38:39], -v[0:1]
	v_add_f64 v[40:41], v[40:41], -v[2:3]
	s_waitcnt vmcnt(1)
	v_add_f64 v[42:43], v[42:43], -v[50:51]
	v_add_f64 v[44:45], v[44:45], -v[64:65]
	;; [unrolled: 3-line block ×3, first 2 shown]
	scratch_store_dwordx4 off, v[38:41], s4
	scratch_store_dwordx4 off, v[42:45], s5
	;; [unrolled: 1-line block ×3, first 2 shown]
	s_mov_b64 s[4:5], 0
	s_branch .LBB121_102
.LBB121_105:
	s_or_b64 exec, exec, s[2:3]
	v_cmp_eq_u32_e32 vcc, 8, v252
	s_waitcnt lgkmcnt(0)
	s_barrier
	s_and_saveexec_b64 s[4:5], vcc
	s_cbranch_execz .LBB121_114
; %bb.106:
	scratch_load_dwordx4 v[34:37], off, s62
	v_add_u32_e32 v32, 0x90, v248
	s_movk_i32 s2, 0xfcc0
	s_waitcnt vmcnt(0)
	ds_write2_b64 v253, v[34:35], v[36:37] offset1:1
.LBB121_107:                            ; =>This Inner Loop Header: Depth=1
	s_add_i32 s46, s2, 0x3d0
	s_add_i32 s70, s2, 0x3e0
	;; [unrolled: 1-line block ×13, first 2 shown]
	scratch_load_dwordx4 v[34:37], off, s46
	scratch_load_dwordx4 v[38:41], off, s70
	;; [unrolled: 1-line block ×13, first 2 shown]
	v_add_u32_e32 v0, s2, v32
	s_addk_i32 s2, 0xd0
	s_cmp_lg_u32 s2, 0
	s_waitcnt vmcnt(12)
	ds_write2_b64 v0, v[34:35], v[36:37] offset0:104 offset1:105
	s_waitcnt vmcnt(11)
	ds_write2_b64 v0, v[38:39], v[40:41] offset0:106 offset1:107
	s_waitcnt vmcnt(10)
	ds_write2_b64 v0, v[42:43], v[44:45] offset0:108 offset1:109
	s_waitcnt vmcnt(9)
	ds_write2_b64 v0, v[46:47], v[48:49] offset0:110 offset1:111
	s_waitcnt vmcnt(8)
	ds_write2_b64 v0, v[50:51], v[52:53] offset0:112 offset1:113
	s_waitcnt vmcnt(7)
	ds_write2_b64 v0, v[54:55], v[56:57] offset0:114 offset1:115
	s_waitcnt vmcnt(6)
	ds_write2_b64 v0, v[58:59], v[60:61] offset0:116 offset1:117
	s_waitcnt vmcnt(5)
	ds_write2_b64 v0, v[62:63], v[64:65] offset0:118 offset1:119
	s_waitcnt vmcnt(4)
	ds_write2_b64 v0, v[66:67], v[68:69] offset0:120 offset1:121
	s_waitcnt vmcnt(3)
	ds_write2_b64 v0, v[70:71], v[72:73] offset0:122 offset1:123
	s_waitcnt vmcnt(2)
	ds_write2_b64 v0, v[74:75], v[76:77] offset0:124 offset1:125
	s_waitcnt vmcnt(1)
	ds_write2_b64 v0, v[78:79], v[80:81] offset0:126 offset1:127
	s_waitcnt vmcnt(0)
	ds_write2_b64 v0, v[82:83], v[84:85] offset0:128 offset1:129
	s_cbranch_scc1 .LBB121_107
; %bb.108:
	ds_read2_b64 v[32:35], v253 offset1:1
	s_waitcnt lgkmcnt(0)
	v_cmp_neq_f64_e32 vcc, 0, v[32:33]
	v_cmp_neq_f64_e64 s[2:3], 0, v[34:35]
	s_or_b64 s[2:3], vcc, s[2:3]
	s_and_b64 exec, exec, s[2:3]
	s_cbranch_execz .LBB121_114
; %bb.109:
	v_cmp_ngt_f64_e64 s[2:3], |v[32:33]|, |v[34:35]|
                                        ; implicit-def: $vgpr36_vgpr37
	s_and_saveexec_b64 s[70:71], s[2:3]
	s_xor_b64 s[2:3], exec, s[70:71]
                                        ; implicit-def: $vgpr38_vgpr39
	s_cbranch_execz .LBB121_111
; %bb.110:
	v_div_scale_f64 v[0:1], s[70:71], v[34:35], v[34:35], v[32:33]
	v_rcp_f64_e32 v[2:3], v[0:1]
	v_div_scale_f64 v[36:37], vcc, v[32:33], v[34:35], v[32:33]
	v_fma_f64 v[38:39], -v[0:1], v[2:3], 1.0
	v_fmac_f64_e32 v[2:3], v[2:3], v[38:39]
	v_fma_f64 v[38:39], -v[0:1], v[2:3], 1.0
	v_fmac_f64_e32 v[2:3], v[2:3], v[38:39]
	v_mul_f64 v[38:39], v[36:37], v[2:3]
	v_fma_f64 v[0:1], -v[0:1], v[38:39], v[36:37]
	v_div_fmas_f64 v[0:1], v[0:1], v[2:3], v[38:39]
	v_div_fixup_f64 v[0:1], v[0:1], v[34:35], v[32:33]
	v_fmac_f64_e32 v[34:35], v[32:33], v[0:1]
	v_div_scale_f64 v[2:3], s[70:71], v[34:35], v[34:35], 1.0
	v_rcp_f64_e32 v[32:33], v[2:3]
	s_nop 0
	v_fma_f64 v[36:37], -v[2:3], v[32:33], 1.0
	v_fmac_f64_e32 v[32:33], v[32:33], v[36:37]
	v_fma_f64 v[36:37], -v[2:3], v[32:33], 1.0
	v_fmac_f64_e32 v[32:33], v[32:33], v[36:37]
	v_div_scale_f64 v[36:37], vcc, 1.0, v[34:35], 1.0
	v_mul_f64 v[38:39], v[36:37], v[32:33]
	v_fma_f64 v[2:3], -v[2:3], v[38:39], v[36:37]
	s_nop 1
	v_div_fmas_f64 v[2:3], v[2:3], v[32:33], v[38:39]
	v_div_fixup_f64 v[38:39], v[2:3], v[34:35], 1.0
	v_mul_f64 v[36:37], v[0:1], v[38:39]
	v_xor_b32_e32 v39, 0x80000000, v39
                                        ; implicit-def: $vgpr32_vgpr33
.LBB121_111:
	s_andn2_saveexec_b64 s[2:3], s[2:3]
	s_cbranch_execz .LBB121_113
; %bb.112:
	v_div_scale_f64 v[0:1], s[70:71], v[32:33], v[32:33], v[34:35]
	v_rcp_f64_e32 v[2:3], v[0:1]
	v_div_scale_f64 v[36:37], vcc, v[34:35], v[32:33], v[34:35]
	v_fma_f64 v[38:39], -v[0:1], v[2:3], 1.0
	v_fmac_f64_e32 v[2:3], v[2:3], v[38:39]
	v_fma_f64 v[38:39], -v[0:1], v[2:3], 1.0
	v_fmac_f64_e32 v[2:3], v[2:3], v[38:39]
	v_mul_f64 v[38:39], v[36:37], v[2:3]
	v_fma_f64 v[0:1], -v[0:1], v[38:39], v[36:37]
	v_div_fmas_f64 v[0:1], v[0:1], v[2:3], v[38:39]
	v_div_fixup_f64 v[0:1], v[0:1], v[32:33], v[34:35]
	v_fmac_f64_e32 v[32:33], v[34:35], v[0:1]
	v_div_scale_f64 v[2:3], s[70:71], v[32:33], v[32:33], 1.0
	v_rcp_f64_e32 v[34:35], v[2:3]
	s_nop 0
	v_fma_f64 v[36:37], -v[2:3], v[34:35], 1.0
	v_fmac_f64_e32 v[34:35], v[34:35], v[36:37]
	v_fma_f64 v[36:37], -v[2:3], v[34:35], 1.0
	v_fmac_f64_e32 v[34:35], v[34:35], v[36:37]
	v_div_scale_f64 v[36:37], vcc, 1.0, v[32:33], 1.0
	v_mul_f64 v[38:39], v[36:37], v[34:35]
	v_fma_f64 v[2:3], -v[2:3], v[38:39], v[36:37]
	s_nop 1
	v_div_fmas_f64 v[2:3], v[2:3], v[34:35], v[38:39]
	v_div_fixup_f64 v[36:37], v[2:3], v[32:33], 1.0
	v_mul_f64 v[38:39], v[0:1], -v[36:37]
.LBB121_113:
	s_or_b64 exec, exec, s[2:3]
	ds_write2_b64 v253, v[36:37], v[38:39] offset1:1
.LBB121_114:
	s_or_b64 exec, exec, s[4:5]
	s_waitcnt lgkmcnt(0)
	s_barrier
	ds_read2_b64 v[32:35], v253 offset1:1
	v_cmp_lt_u32_e32 vcc, 8, v252
	s_and_saveexec_b64 s[2:3], vcc
	s_cbranch_execz .LBB121_117
; %bb.115:
	scratch_load_dwordx4 v[38:41], off, off offset:128
	v_add_u32_e32 v36, 0x90, v248
	s_movk_i32 s4, 0xfcc0
	s_waitcnt vmcnt(0) lgkmcnt(0)
	v_mul_f64 v[0:1], v[34:35], v[40:41]
	v_mul_f64 v[42:43], v[32:33], v[40:41]
	v_fma_f64 v[40:41], v[32:33], v[38:39], -v[0:1]
	v_fmac_f64_e32 v[42:43], v[34:35], v[38:39]
	scratch_store_dwordx4 off, v[40:43], off offset:128
.LBB121_116:                            ; =>This Inner Loop Header: Depth=1
	scratch_load_dwordx4 v[38:41], off, off offset:128
	s_add_i32 s46, s4, 0x3d0
	scratch_load_dwordx4 v[42:45], off, s46
	v_add_u32_e32 v37, s4, v36
	ds_read2_b64 v[46:49], v37 offset0:104 offset1:105
	ds_read2_b64 v[50:53], v37 offset0:106 offset1:107
	s_add_i32 s70, s4, 0x3e0
	scratch_load_dwordx4 v[54:57], off, s70
	s_add_i32 s5, s4, 0x400
	s_waitcnt vmcnt(2) lgkmcnt(1)
	v_mul_f64 v[0:1], v[48:49], v[40:41]
	v_mul_f64 v[2:3], v[46:47], v[40:41]
	v_fma_f64 v[0:1], v[46:47], v[38:39], -v[0:1]
	v_fmac_f64_e32 v[2:3], v[48:49], v[38:39]
	s_waitcnt vmcnt(1)
	v_add_f64 v[38:39], v[42:43], -v[0:1]
	v_add_f64 v[40:41], v[44:45], -v[2:3]
	scratch_store_dwordx4 off, v[38:41], s46
	scratch_load_dwordx4 v[38:41], off, off offset:128
	s_add_i32 s46, s4, 0x3f0
	s_add_i32 s4, s4, 64
	s_cmp_lg_u32 s4, 0
	s_waitcnt vmcnt(0) lgkmcnt(0)
	v_mul_f64 v[0:1], v[52:53], v[40:41]
	v_mul_f64 v[2:3], v[50:51], v[40:41]
	v_fma_f64 v[0:1], v[50:51], v[38:39], -v[0:1]
	v_fmac_f64_e32 v[2:3], v[52:53], v[38:39]
	v_add_f64 v[38:39], v[54:55], -v[0:1]
	v_add_f64 v[40:41], v[56:57], -v[2:3]
	scratch_store_dwordx4 off, v[38:41], s70
	scratch_load_dwordx4 v[38:41], off, off offset:128
	s_nop 0
	scratch_load_dwordx4 v[42:45], off, s46
	ds_read2_b64 v[46:49], v37 offset0:108 offset1:109
	ds_read2_b64 v[50:53], v37 offset0:110 offset1:111
	scratch_load_dwordx4 v[54:57], off, s5
	s_waitcnt vmcnt(2) lgkmcnt(1)
	v_mul_f64 v[0:1], v[48:49], v[40:41]
	v_mul_f64 v[2:3], v[46:47], v[40:41]
	v_fma_f64 v[0:1], v[46:47], v[38:39], -v[0:1]
	v_fmac_f64_e32 v[2:3], v[48:49], v[38:39]
	s_waitcnt vmcnt(1)
	v_add_f64 v[38:39], v[42:43], -v[0:1]
	v_add_f64 v[40:41], v[44:45], -v[2:3]
	scratch_store_dwordx4 off, v[38:41], s46
	scratch_load_dwordx4 v[38:41], off, off offset:128
	s_waitcnt vmcnt(0) lgkmcnt(0)
	v_mul_f64 v[0:1], v[52:53], v[40:41]
	v_mul_f64 v[2:3], v[50:51], v[40:41]
	v_fma_f64 v[0:1], v[50:51], v[38:39], -v[0:1]
	v_fmac_f64_e32 v[2:3], v[52:53], v[38:39]
	v_add_f64 v[38:39], v[54:55], -v[0:1]
	v_add_f64 v[40:41], v[56:57], -v[2:3]
	scratch_store_dwordx4 off, v[38:41], s5
	s_cbranch_scc1 .LBB121_116
.LBB121_117:
	s_or_b64 exec, exec, s[2:3]
	v_cmp_eq_u32_e32 vcc, 9, v252
	s_waitcnt lgkmcnt(0)
	s_barrier
	s_and_saveexec_b64 s[4:5], vcc
	s_cbranch_execz .LBB121_126
; %bb.118:
	scratch_load_dwordx4 v[38:41], off, s61
	v_add_u32_e32 v36, 0xa0, v248
	s_movk_i32 s2, 0xfcd0
	s_waitcnt vmcnt(0)
	ds_write2_b64 v253, v[38:39], v[40:41] offset1:1
.LBB121_119:                            ; =>This Inner Loop Header: Depth=1
	s_add_i32 s46, s2, 0x3d0
	s_add_i32 s70, s2, 0x3e0
	;; [unrolled: 1-line block ×17, first 2 shown]
	scratch_load_dwordx4 v[38:41], off, s46
	scratch_load_dwordx4 v[42:45], off, s70
	;; [unrolled: 1-line block ×17, first 2 shown]
	v_add_u32_e32 v0, s2, v36
	s_addk_i32 s2, 0x110
	s_cmp_lg_u32 s2, 0
	s_waitcnt vmcnt(16)
	ds_write2_b64 v0, v[38:39], v[40:41] offset0:102 offset1:103
	s_waitcnt vmcnt(15)
	ds_write2_b64 v0, v[42:43], v[44:45] offset0:104 offset1:105
	;; [unrolled: 2-line block ×17, first 2 shown]
	s_cbranch_scc1 .LBB121_119
; %bb.120:
	ds_read2_b64 v[36:39], v253 offset1:1
	s_waitcnt lgkmcnt(0)
	v_cmp_neq_f64_e32 vcc, 0, v[36:37]
	v_cmp_neq_f64_e64 s[2:3], 0, v[38:39]
	s_or_b64 s[2:3], vcc, s[2:3]
	s_and_b64 exec, exec, s[2:3]
	s_cbranch_execz .LBB121_126
; %bb.121:
	v_cmp_ngt_f64_e64 s[2:3], |v[36:37]|, |v[38:39]|
                                        ; implicit-def: $vgpr40_vgpr41
	s_and_saveexec_b64 s[70:71], s[2:3]
	s_xor_b64 s[2:3], exec, s[70:71]
                                        ; implicit-def: $vgpr42_vgpr43
	s_cbranch_execz .LBB121_123
; %bb.122:
	v_div_scale_f64 v[0:1], s[70:71], v[38:39], v[38:39], v[36:37]
	v_rcp_f64_e32 v[2:3], v[0:1]
	v_div_scale_f64 v[40:41], vcc, v[36:37], v[38:39], v[36:37]
	v_fma_f64 v[42:43], -v[0:1], v[2:3], 1.0
	v_fmac_f64_e32 v[2:3], v[2:3], v[42:43]
	v_fma_f64 v[42:43], -v[0:1], v[2:3], 1.0
	v_fmac_f64_e32 v[2:3], v[2:3], v[42:43]
	v_mul_f64 v[42:43], v[40:41], v[2:3]
	v_fma_f64 v[0:1], -v[0:1], v[42:43], v[40:41]
	v_div_fmas_f64 v[0:1], v[0:1], v[2:3], v[42:43]
	v_div_fixup_f64 v[0:1], v[0:1], v[38:39], v[36:37]
	v_fmac_f64_e32 v[38:39], v[36:37], v[0:1]
	v_div_scale_f64 v[2:3], s[70:71], v[38:39], v[38:39], 1.0
	v_rcp_f64_e32 v[36:37], v[2:3]
	s_nop 0
	v_fma_f64 v[40:41], -v[2:3], v[36:37], 1.0
	v_fmac_f64_e32 v[36:37], v[36:37], v[40:41]
	v_fma_f64 v[40:41], -v[2:3], v[36:37], 1.0
	v_fmac_f64_e32 v[36:37], v[36:37], v[40:41]
	v_div_scale_f64 v[40:41], vcc, 1.0, v[38:39], 1.0
	v_mul_f64 v[42:43], v[40:41], v[36:37]
	v_fma_f64 v[2:3], -v[2:3], v[42:43], v[40:41]
	s_nop 1
	v_div_fmas_f64 v[2:3], v[2:3], v[36:37], v[42:43]
	v_div_fixup_f64 v[42:43], v[2:3], v[38:39], 1.0
	v_mul_f64 v[40:41], v[0:1], v[42:43]
	v_xor_b32_e32 v43, 0x80000000, v43
                                        ; implicit-def: $vgpr36_vgpr37
.LBB121_123:
	s_andn2_saveexec_b64 s[2:3], s[2:3]
	s_cbranch_execz .LBB121_125
; %bb.124:
	v_div_scale_f64 v[0:1], s[70:71], v[36:37], v[36:37], v[38:39]
	v_rcp_f64_e32 v[2:3], v[0:1]
	v_div_scale_f64 v[40:41], vcc, v[38:39], v[36:37], v[38:39]
	v_fma_f64 v[42:43], -v[0:1], v[2:3], 1.0
	v_fmac_f64_e32 v[2:3], v[2:3], v[42:43]
	v_fma_f64 v[42:43], -v[0:1], v[2:3], 1.0
	v_fmac_f64_e32 v[2:3], v[2:3], v[42:43]
	v_mul_f64 v[42:43], v[40:41], v[2:3]
	v_fma_f64 v[0:1], -v[0:1], v[42:43], v[40:41]
	v_div_fmas_f64 v[0:1], v[0:1], v[2:3], v[42:43]
	v_div_fixup_f64 v[0:1], v[0:1], v[36:37], v[38:39]
	v_fmac_f64_e32 v[36:37], v[38:39], v[0:1]
	v_div_scale_f64 v[2:3], s[70:71], v[36:37], v[36:37], 1.0
	v_rcp_f64_e32 v[38:39], v[2:3]
	s_nop 0
	v_fma_f64 v[40:41], -v[2:3], v[38:39], 1.0
	v_fmac_f64_e32 v[38:39], v[38:39], v[40:41]
	v_fma_f64 v[40:41], -v[2:3], v[38:39], 1.0
	v_fmac_f64_e32 v[38:39], v[38:39], v[40:41]
	v_div_scale_f64 v[40:41], vcc, 1.0, v[36:37], 1.0
	v_mul_f64 v[42:43], v[40:41], v[38:39]
	v_fma_f64 v[2:3], -v[2:3], v[42:43], v[40:41]
	s_nop 1
	v_div_fmas_f64 v[2:3], v[2:3], v[38:39], v[42:43]
	v_div_fixup_f64 v[40:41], v[2:3], v[36:37], 1.0
	v_mul_f64 v[42:43], v[0:1], -v[40:41]
.LBB121_125:
	s_or_b64 exec, exec, s[2:3]
	ds_write2_b64 v253, v[40:41], v[42:43] offset1:1
.LBB121_126:
	s_or_b64 exec, exec, s[4:5]
	s_waitcnt lgkmcnt(0)
	s_barrier
	ds_read2_b64 v[36:39], v253 offset1:1
	v_cmp_lt_u32_e32 vcc, 9, v252
	s_and_saveexec_b64 s[2:3], vcc
	s_cbranch_execz .LBB121_129
; %bb.127:
	scratch_load_dwordx4 v[40:43], off, off offset:144
	s_movk_i32 s4, 0xfcd0
	s_waitcnt vmcnt(0) lgkmcnt(0)
	v_mul_f64 v[0:1], v[38:39], v[42:43]
	v_mul_f64 v[44:45], v[36:37], v[42:43]
	v_fma_f64 v[42:43], v[36:37], v[40:41], -v[0:1]
	v_fmac_f64_e32 v[44:45], v[38:39], v[40:41]
	scratch_store_dwordx4 off, v[42:45], off offset:144
.LBB121_128:                            ; =>This Inner Loop Header: Depth=1
	scratch_load_dwordx4 v[40:43], off, off offset:144
	s_add_i32 s46, s4, 0x3d0
	scratch_load_dwordx4 v[44:47], off, s46
	v_add_u32_e32 v64, s4, v248
	ds_read2_b64 v[48:51], v64 offset0:122 offset1:123
	ds_read2_b64 v[52:55], v64 offset0:124 offset1:125
	s_add_i32 s70, s4, 0x3e0
	s_add_i32 s5, s4, 0x3f0
	scratch_load_dwordx4 v[56:59], off, s70
	scratch_load_dwordx4 v[60:63], off, s5
	s_add_i32 s4, s4, 48
	s_cmp_lg_u32 s4, 0
	s_waitcnt vmcnt(3) lgkmcnt(1)
	v_mul_f64 v[0:1], v[50:51], v[42:43]
	v_mul_f64 v[2:3], v[48:49], v[42:43]
	v_fma_f64 v[0:1], v[48:49], v[40:41], -v[0:1]
	v_fmac_f64_e32 v[2:3], v[50:51], v[40:41]
	s_waitcnt vmcnt(2)
	v_add_f64 v[40:41], v[44:45], -v[0:1]
	v_add_f64 v[42:43], v[46:47], -v[2:3]
	scratch_store_dwordx4 off, v[40:43], s46
	scratch_load_dwordx4 v[40:43], off, off offset:144
	ds_read2_b64 v[44:47], v64 offset0:126 offset1:127
	s_waitcnt vmcnt(0) lgkmcnt(1)
	v_mul_f64 v[0:1], v[54:55], v[42:43]
	v_mul_f64 v[2:3], v[52:53], v[42:43]
	v_fma_f64 v[0:1], v[52:53], v[40:41], -v[0:1]
	v_fmac_f64_e32 v[2:3], v[54:55], v[40:41]
	v_add_f64 v[40:41], v[56:57], -v[0:1]
	v_add_f64 v[42:43], v[58:59], -v[2:3]
	scratch_store_dwordx4 off, v[40:43], s70
	scratch_load_dwordx4 v[40:43], off, off offset:144
	s_waitcnt vmcnt(0) lgkmcnt(0)
	v_mul_f64 v[0:1], v[46:47], v[42:43]
	v_mul_f64 v[2:3], v[44:45], v[42:43]
	v_fma_f64 v[0:1], v[44:45], v[40:41], -v[0:1]
	v_fmac_f64_e32 v[2:3], v[46:47], v[40:41]
	v_add_f64 v[40:41], v[60:61], -v[0:1]
	v_add_f64 v[42:43], v[62:63], -v[2:3]
	scratch_store_dwordx4 off, v[40:43], s5
	s_cbranch_scc1 .LBB121_128
.LBB121_129:
	s_or_b64 exec, exec, s[2:3]
	v_cmp_eq_u32_e32 vcc, 10, v252
	s_waitcnt lgkmcnt(0)
	s_barrier
	s_and_saveexec_b64 s[4:5], vcc
	s_cbranch_execz .LBB121_138
; %bb.130:
	scratch_load_dwordx4 v[42:45], off, s60
	v_add_u32_e32 v40, 0xb0, v248
	s_movk_i32 s2, 0xfce0
	s_waitcnt vmcnt(0)
	ds_write2_b64 v253, v[42:43], v[44:45] offset1:1
.LBB121_131:                            ; =>This Inner Loop Header: Depth=1
	s_add_i32 s46, s2, 0x3d0
	s_add_i32 s70, s2, 0x3e0
	s_add_i32 s71, s2, 0x3f0
	s_add_i32 s72, s2, 0x400
	s_add_i32 s73, s2, 0x410
	s_add_i32 s74, s2, 0x420
	s_add_i32 s75, s2, 0x430
	s_add_i32 s76, s2, 0x440
	s_add_i32 s77, s2, 0x450
	s_add_i32 s3, s2, 0x460
	scratch_load_dwordx4 v[42:45], off, s46
	scratch_load_dwordx4 v[46:49], off, s70
	;; [unrolled: 1-line block ×10, first 2 shown]
	v_add_u32_e32 v0, s2, v40
	s_addk_i32 s2, 0xa0
	s_cmp_lg_u32 s2, 0
	s_waitcnt vmcnt(9)
	ds_write2_b64 v0, v[42:43], v[44:45] offset0:100 offset1:101
	s_waitcnt vmcnt(8)
	ds_write2_b64 v0, v[46:47], v[48:49] offset0:102 offset1:103
	s_waitcnt vmcnt(7)
	ds_write2_b64 v0, v[50:51], v[52:53] offset0:104 offset1:105
	s_waitcnt vmcnt(6)
	ds_write2_b64 v0, v[54:55], v[56:57] offset0:106 offset1:107
	s_waitcnt vmcnt(5)
	ds_write2_b64 v0, v[58:59], v[60:61] offset0:108 offset1:109
	s_waitcnt vmcnt(4)
	ds_write2_b64 v0, v[62:63], v[64:65] offset0:110 offset1:111
	s_waitcnt vmcnt(3)
	ds_write2_b64 v0, v[66:67], v[68:69] offset0:112 offset1:113
	s_waitcnt vmcnt(2)
	ds_write2_b64 v0, v[70:71], v[72:73] offset0:114 offset1:115
	s_waitcnt vmcnt(1)
	ds_write2_b64 v0, v[74:75], v[76:77] offset0:116 offset1:117
	s_waitcnt vmcnt(0)
	ds_write2_b64 v0, v[78:79], v[80:81] offset0:118 offset1:119
	s_cbranch_scc1 .LBB121_131
; %bb.132:
	ds_read2_b64 v[40:43], v253 offset1:1
	s_waitcnt lgkmcnt(0)
	v_cmp_neq_f64_e32 vcc, 0, v[40:41]
	v_cmp_neq_f64_e64 s[2:3], 0, v[42:43]
	s_or_b64 s[2:3], vcc, s[2:3]
	s_and_b64 exec, exec, s[2:3]
	s_cbranch_execz .LBB121_138
; %bb.133:
	v_cmp_ngt_f64_e64 s[2:3], |v[40:41]|, |v[42:43]|
                                        ; implicit-def: $vgpr44_vgpr45
	s_and_saveexec_b64 s[70:71], s[2:3]
	s_xor_b64 s[2:3], exec, s[70:71]
                                        ; implicit-def: $vgpr46_vgpr47
	s_cbranch_execz .LBB121_135
; %bb.134:
	v_div_scale_f64 v[0:1], s[70:71], v[42:43], v[42:43], v[40:41]
	v_rcp_f64_e32 v[2:3], v[0:1]
	v_div_scale_f64 v[44:45], vcc, v[40:41], v[42:43], v[40:41]
	v_fma_f64 v[46:47], -v[0:1], v[2:3], 1.0
	v_fmac_f64_e32 v[2:3], v[2:3], v[46:47]
	v_fma_f64 v[46:47], -v[0:1], v[2:3], 1.0
	v_fmac_f64_e32 v[2:3], v[2:3], v[46:47]
	v_mul_f64 v[46:47], v[44:45], v[2:3]
	v_fma_f64 v[0:1], -v[0:1], v[46:47], v[44:45]
	v_div_fmas_f64 v[0:1], v[0:1], v[2:3], v[46:47]
	v_div_fixup_f64 v[0:1], v[0:1], v[42:43], v[40:41]
	v_fmac_f64_e32 v[42:43], v[40:41], v[0:1]
	v_div_scale_f64 v[2:3], s[70:71], v[42:43], v[42:43], 1.0
	v_rcp_f64_e32 v[40:41], v[2:3]
	s_nop 0
	v_fma_f64 v[44:45], -v[2:3], v[40:41], 1.0
	v_fmac_f64_e32 v[40:41], v[40:41], v[44:45]
	v_fma_f64 v[44:45], -v[2:3], v[40:41], 1.0
	v_fmac_f64_e32 v[40:41], v[40:41], v[44:45]
	v_div_scale_f64 v[44:45], vcc, 1.0, v[42:43], 1.0
	v_mul_f64 v[46:47], v[44:45], v[40:41]
	v_fma_f64 v[2:3], -v[2:3], v[46:47], v[44:45]
	s_nop 1
	v_div_fmas_f64 v[2:3], v[2:3], v[40:41], v[46:47]
	v_div_fixup_f64 v[46:47], v[2:3], v[42:43], 1.0
	v_mul_f64 v[44:45], v[0:1], v[46:47]
	v_xor_b32_e32 v47, 0x80000000, v47
                                        ; implicit-def: $vgpr40_vgpr41
.LBB121_135:
	s_andn2_saveexec_b64 s[2:3], s[2:3]
	s_cbranch_execz .LBB121_137
; %bb.136:
	v_div_scale_f64 v[0:1], s[70:71], v[40:41], v[40:41], v[42:43]
	v_rcp_f64_e32 v[2:3], v[0:1]
	v_div_scale_f64 v[44:45], vcc, v[42:43], v[40:41], v[42:43]
	v_fma_f64 v[46:47], -v[0:1], v[2:3], 1.0
	v_fmac_f64_e32 v[2:3], v[2:3], v[46:47]
	v_fma_f64 v[46:47], -v[0:1], v[2:3], 1.0
	v_fmac_f64_e32 v[2:3], v[2:3], v[46:47]
	v_mul_f64 v[46:47], v[44:45], v[2:3]
	v_fma_f64 v[0:1], -v[0:1], v[46:47], v[44:45]
	v_div_fmas_f64 v[0:1], v[0:1], v[2:3], v[46:47]
	v_div_fixup_f64 v[0:1], v[0:1], v[40:41], v[42:43]
	v_fmac_f64_e32 v[40:41], v[42:43], v[0:1]
	v_div_scale_f64 v[2:3], s[70:71], v[40:41], v[40:41], 1.0
	v_rcp_f64_e32 v[42:43], v[2:3]
	s_nop 0
	v_fma_f64 v[44:45], -v[2:3], v[42:43], 1.0
	v_fmac_f64_e32 v[42:43], v[42:43], v[44:45]
	v_fma_f64 v[44:45], -v[2:3], v[42:43], 1.0
	v_fmac_f64_e32 v[42:43], v[42:43], v[44:45]
	v_div_scale_f64 v[44:45], vcc, 1.0, v[40:41], 1.0
	v_mul_f64 v[46:47], v[44:45], v[42:43]
	v_fma_f64 v[2:3], -v[2:3], v[46:47], v[44:45]
	s_nop 1
	v_div_fmas_f64 v[2:3], v[2:3], v[42:43], v[46:47]
	v_div_fixup_f64 v[44:45], v[2:3], v[40:41], 1.0
	v_mul_f64 v[46:47], v[0:1], -v[44:45]
.LBB121_137:
	s_or_b64 exec, exec, s[2:3]
	ds_write2_b64 v253, v[44:45], v[46:47] offset1:1
.LBB121_138:
	s_or_b64 exec, exec, s[4:5]
	s_waitcnt lgkmcnt(0)
	s_barrier
	ds_read2_b64 v[40:43], v253 offset1:1
	v_cmp_lt_u32_e32 vcc, 10, v252
	s_and_saveexec_b64 s[2:3], vcc
	s_cbranch_execz .LBB121_141
; %bb.139:
	scratch_load_dwordx4 v[46:49], off, off offset:160
	v_add_u32_e32 v44, 0xb0, v248
	s_movk_i32 s4, 0xfce0
	s_waitcnt vmcnt(0) lgkmcnt(0)
	v_mul_f64 v[0:1], v[42:43], v[48:49]
	v_mul_f64 v[50:51], v[40:41], v[48:49]
	v_fma_f64 v[48:49], v[40:41], v[46:47], -v[0:1]
	v_fmac_f64_e32 v[50:51], v[42:43], v[46:47]
	scratch_store_dwordx4 off, v[48:51], off offset:160
.LBB121_140:                            ; =>This Inner Loop Header: Depth=1
	scratch_load_dwordx4 v[46:49], off, off offset:160
	s_add_i32 s46, s4, 0x3d0
	scratch_load_dwordx4 v[50:53], off, s46
	v_add_u32_e32 v45, s4, v44
	ds_read2_b64 v[54:57], v45 offset0:100 offset1:101
	ds_read2_b64 v[58:61], v45 offset0:102 offset1:103
	s_add_i32 s70, s4, 0x3e0
	s_add_i32 s71, s4, 0x410
	scratch_load_dwordx4 v[62:65], off, s70
	scratch_load_dwordx4 v[66:69], off, s71
	s_add_i32 s5, s4, 0x400
	s_waitcnt vmcnt(3) lgkmcnt(1)
	v_mul_f64 v[0:1], v[56:57], v[48:49]
	v_mul_f64 v[2:3], v[54:55], v[48:49]
	v_fma_f64 v[0:1], v[54:55], v[46:47], -v[0:1]
	v_fmac_f64_e32 v[2:3], v[56:57], v[46:47]
	s_waitcnt vmcnt(2)
	v_add_f64 v[46:47], v[50:51], -v[0:1]
	v_add_f64 v[48:49], v[52:53], -v[2:3]
	scratch_store_dwordx4 off, v[46:49], s46
	scratch_load_dwordx4 v[46:49], off, off offset:160
	s_add_i32 s46, s4, 0x3f0
	s_addk_i32 s4, 0x50
	s_cmp_lg_u32 s4, 0
	s_waitcnt vmcnt(0) lgkmcnt(0)
	v_mul_f64 v[0:1], v[60:61], v[48:49]
	v_mul_f64 v[2:3], v[58:59], v[48:49]
	v_fma_f64 v[0:1], v[58:59], v[46:47], -v[0:1]
	v_fmac_f64_e32 v[2:3], v[60:61], v[46:47]
	v_add_f64 v[46:47], v[62:63], -v[0:1]
	v_add_f64 v[48:49], v[64:65], -v[2:3]
	scratch_store_dwordx4 off, v[46:49], s70
	scratch_load_dwordx4 v[46:49], off, off offset:160
	s_nop 0
	scratch_load_dwordx4 v[50:53], off, s46
	ds_read2_b64 v[54:57], v45 offset0:104 offset1:105
	ds_read2_b64 v[58:61], v45 offset0:106 offset1:107
	scratch_load_dwordx4 v[62:65], off, s5
	s_waitcnt vmcnt(2) lgkmcnt(1)
	v_mul_f64 v[0:1], v[56:57], v[48:49]
	v_mul_f64 v[2:3], v[54:55], v[48:49]
	v_fma_f64 v[0:1], v[54:55], v[46:47], -v[0:1]
	v_fmac_f64_e32 v[2:3], v[56:57], v[46:47]
	s_waitcnt vmcnt(1)
	v_add_f64 v[46:47], v[50:51], -v[0:1]
	v_add_f64 v[48:49], v[52:53], -v[2:3]
	scratch_store_dwordx4 off, v[46:49], s46
	scratch_load_dwordx4 v[46:49], off, off offset:160
	ds_read2_b64 v[50:53], v45 offset0:108 offset1:109
	s_waitcnt vmcnt(0) lgkmcnt(1)
	v_mul_f64 v[0:1], v[60:61], v[48:49]
	v_mul_f64 v[2:3], v[58:59], v[48:49]
	v_fma_f64 v[0:1], v[58:59], v[46:47], -v[0:1]
	v_fmac_f64_e32 v[2:3], v[60:61], v[46:47]
	v_add_f64 v[46:47], v[62:63], -v[0:1]
	v_add_f64 v[48:49], v[64:65], -v[2:3]
	scratch_store_dwordx4 off, v[46:49], s5
	scratch_load_dwordx4 v[46:49], off, off offset:160
	s_waitcnt vmcnt(0) lgkmcnt(0)
	v_mul_f64 v[0:1], v[52:53], v[48:49]
	v_mul_f64 v[2:3], v[50:51], v[48:49]
	v_fma_f64 v[0:1], v[50:51], v[46:47], -v[0:1]
	v_fmac_f64_e32 v[2:3], v[52:53], v[46:47]
	v_add_f64 v[46:47], v[66:67], -v[0:1]
	v_add_f64 v[48:49], v[68:69], -v[2:3]
	scratch_store_dwordx4 off, v[46:49], s71
	s_cbranch_scc1 .LBB121_140
.LBB121_141:
	s_or_b64 exec, exec, s[2:3]
	v_cmp_eq_u32_e32 vcc, 11, v252
	s_waitcnt lgkmcnt(0)
	s_barrier
	s_and_saveexec_b64 s[4:5], vcc
	s_cbranch_execz .LBB121_150
; %bb.142:
	scratch_load_dwordx4 v[46:49], off, s59
	v_add_u32_e32 v44, 0xc0, v248
	s_movk_i32 s2, 0xfcf0
	s_waitcnt vmcnt(0)
	ds_write2_b64 v253, v[46:47], v[48:49] offset1:1
.LBB121_143:                            ; =>This Inner Loop Header: Depth=1
	s_add_i32 s46, s2, 0x3d0
	s_add_i32 s70, s2, 0x3e0
	;; [unrolled: 1-line block ×7, first 2 shown]
	scratch_load_dwordx4 v[46:49], off, s46
	scratch_load_dwordx4 v[50:53], off, s70
	;; [unrolled: 1-line block ×7, first 2 shown]
	v_add_u32_e32 v0, s2, v44
	s_addk_i32 s2, 0x70
	s_cmp_lg_u32 s2, 0
	s_waitcnt vmcnt(6)
	ds_write2_b64 v0, v[46:47], v[48:49] offset0:98 offset1:99
	s_waitcnt vmcnt(5)
	ds_write2_b64 v0, v[50:51], v[52:53] offset0:100 offset1:101
	s_waitcnt vmcnt(4)
	ds_write2_b64 v0, v[54:55], v[56:57] offset0:102 offset1:103
	s_waitcnt vmcnt(3)
	ds_write2_b64 v0, v[58:59], v[60:61] offset0:104 offset1:105
	s_waitcnt vmcnt(2)
	ds_write2_b64 v0, v[62:63], v[64:65] offset0:106 offset1:107
	s_waitcnt vmcnt(1)
	ds_write2_b64 v0, v[66:67], v[68:69] offset0:108 offset1:109
	s_waitcnt vmcnt(0)
	ds_write2_b64 v0, v[70:71], v[72:73] offset0:110 offset1:111
	s_cbranch_scc1 .LBB121_143
; %bb.144:
	ds_read2_b64 v[44:47], v253 offset1:1
	s_waitcnt lgkmcnt(0)
	v_cmp_neq_f64_e32 vcc, 0, v[44:45]
	v_cmp_neq_f64_e64 s[2:3], 0, v[46:47]
	s_or_b64 s[2:3], vcc, s[2:3]
	s_and_b64 exec, exec, s[2:3]
	s_cbranch_execz .LBB121_150
; %bb.145:
	v_cmp_ngt_f64_e64 s[2:3], |v[44:45]|, |v[46:47]|
                                        ; implicit-def: $vgpr48_vgpr49
	s_and_saveexec_b64 s[70:71], s[2:3]
	s_xor_b64 s[2:3], exec, s[70:71]
                                        ; implicit-def: $vgpr50_vgpr51
	s_cbranch_execz .LBB121_147
; %bb.146:
	v_div_scale_f64 v[0:1], s[70:71], v[46:47], v[46:47], v[44:45]
	v_rcp_f64_e32 v[2:3], v[0:1]
	v_div_scale_f64 v[48:49], vcc, v[44:45], v[46:47], v[44:45]
	v_fma_f64 v[50:51], -v[0:1], v[2:3], 1.0
	v_fmac_f64_e32 v[2:3], v[2:3], v[50:51]
	v_fma_f64 v[50:51], -v[0:1], v[2:3], 1.0
	v_fmac_f64_e32 v[2:3], v[2:3], v[50:51]
	v_mul_f64 v[50:51], v[48:49], v[2:3]
	v_fma_f64 v[0:1], -v[0:1], v[50:51], v[48:49]
	v_div_fmas_f64 v[0:1], v[0:1], v[2:3], v[50:51]
	v_div_fixup_f64 v[0:1], v[0:1], v[46:47], v[44:45]
	v_fmac_f64_e32 v[46:47], v[44:45], v[0:1]
	v_div_scale_f64 v[2:3], s[70:71], v[46:47], v[46:47], 1.0
	v_rcp_f64_e32 v[44:45], v[2:3]
	s_nop 0
	v_fma_f64 v[48:49], -v[2:3], v[44:45], 1.0
	v_fmac_f64_e32 v[44:45], v[44:45], v[48:49]
	v_fma_f64 v[48:49], -v[2:3], v[44:45], 1.0
	v_fmac_f64_e32 v[44:45], v[44:45], v[48:49]
	v_div_scale_f64 v[48:49], vcc, 1.0, v[46:47], 1.0
	v_mul_f64 v[50:51], v[48:49], v[44:45]
	v_fma_f64 v[2:3], -v[2:3], v[50:51], v[48:49]
	s_nop 1
	v_div_fmas_f64 v[2:3], v[2:3], v[44:45], v[50:51]
	v_div_fixup_f64 v[50:51], v[2:3], v[46:47], 1.0
	v_mul_f64 v[48:49], v[0:1], v[50:51]
	v_xor_b32_e32 v51, 0x80000000, v51
                                        ; implicit-def: $vgpr44_vgpr45
.LBB121_147:
	s_andn2_saveexec_b64 s[2:3], s[2:3]
	s_cbranch_execz .LBB121_149
; %bb.148:
	v_div_scale_f64 v[0:1], s[70:71], v[44:45], v[44:45], v[46:47]
	v_rcp_f64_e32 v[2:3], v[0:1]
	v_div_scale_f64 v[48:49], vcc, v[46:47], v[44:45], v[46:47]
	v_fma_f64 v[50:51], -v[0:1], v[2:3], 1.0
	v_fmac_f64_e32 v[2:3], v[2:3], v[50:51]
	v_fma_f64 v[50:51], -v[0:1], v[2:3], 1.0
	v_fmac_f64_e32 v[2:3], v[2:3], v[50:51]
	v_mul_f64 v[50:51], v[48:49], v[2:3]
	v_fma_f64 v[0:1], -v[0:1], v[50:51], v[48:49]
	v_div_fmas_f64 v[0:1], v[0:1], v[2:3], v[50:51]
	v_div_fixup_f64 v[0:1], v[0:1], v[44:45], v[46:47]
	v_fmac_f64_e32 v[44:45], v[46:47], v[0:1]
	v_div_scale_f64 v[2:3], s[70:71], v[44:45], v[44:45], 1.0
	v_rcp_f64_e32 v[46:47], v[2:3]
	s_nop 0
	v_fma_f64 v[48:49], -v[2:3], v[46:47], 1.0
	v_fmac_f64_e32 v[46:47], v[46:47], v[48:49]
	v_fma_f64 v[48:49], -v[2:3], v[46:47], 1.0
	v_fmac_f64_e32 v[46:47], v[46:47], v[48:49]
	v_div_scale_f64 v[48:49], vcc, 1.0, v[44:45], 1.0
	v_mul_f64 v[50:51], v[48:49], v[46:47]
	v_fma_f64 v[2:3], -v[2:3], v[50:51], v[48:49]
	s_nop 1
	v_div_fmas_f64 v[2:3], v[2:3], v[46:47], v[50:51]
	v_div_fixup_f64 v[48:49], v[2:3], v[44:45], 1.0
	v_mul_f64 v[50:51], v[0:1], -v[48:49]
.LBB121_149:
	s_or_b64 exec, exec, s[2:3]
	ds_write2_b64 v253, v[48:49], v[50:51] offset1:1
.LBB121_150:
	s_or_b64 exec, exec, s[4:5]
	s_waitcnt lgkmcnt(0)
	s_barrier
	ds_read2_b64 v[44:47], v253 offset1:1
	v_cmp_lt_u32_e32 vcc, 11, v252
	s_and_saveexec_b64 s[2:3], vcc
	s_cbranch_execz .LBB121_153
; %bb.151:
	scratch_load_dwordx4 v[50:53], off, off offset:176
	v_add_u32_e32 v48, 0xc0, v248
	s_movk_i32 s4, 0xfcf0
	s_waitcnt vmcnt(0) lgkmcnt(0)
	v_mul_f64 v[0:1], v[46:47], v[52:53]
	v_mul_f64 v[54:55], v[44:45], v[52:53]
	v_fma_f64 v[52:53], v[44:45], v[50:51], -v[0:1]
	v_fmac_f64_e32 v[54:55], v[46:47], v[50:51]
	scratch_store_dwordx4 off, v[52:55], off offset:176
.LBB121_152:                            ; =>This Inner Loop Header: Depth=1
	scratch_load_dwordx4 v[50:53], off, off offset:176
	s_add_i32 s46, s4, 0x3d0
	scratch_load_dwordx4 v[54:57], off, s46
	v_add_u32_e32 v49, s4, v48
	ds_read2_b64 v[58:61], v49 offset0:98 offset1:99
	ds_read2_b64 v[62:65], v49 offset0:100 offset1:101
	s_add_i32 s70, s4, 0x3e0
	s_add_i32 s71, s4, 0x430
	scratch_load_dwordx4 v[66:69], off, s70
	scratch_load_dwordx4 v[70:73], off, s71
	s_add_i32 s5, s4, 0x420
	s_waitcnt vmcnt(3) lgkmcnt(1)
	v_mul_f64 v[0:1], v[60:61], v[52:53]
	v_mul_f64 v[2:3], v[58:59], v[52:53]
	v_fma_f64 v[0:1], v[58:59], v[50:51], -v[0:1]
	v_fmac_f64_e32 v[2:3], v[60:61], v[50:51]
	s_waitcnt vmcnt(2)
	v_add_f64 v[50:51], v[54:55], -v[0:1]
	v_add_f64 v[52:53], v[56:57], -v[2:3]
	scratch_store_dwordx4 off, v[50:53], s46
	scratch_load_dwordx4 v[50:53], off, off offset:176
	s_add_i32 s46, s4, 0x3f0
	s_waitcnt vmcnt(0) lgkmcnt(0)
	v_mul_f64 v[0:1], v[64:65], v[52:53]
	v_mul_f64 v[2:3], v[62:63], v[52:53]
	v_fma_f64 v[0:1], v[62:63], v[50:51], -v[0:1]
	v_fmac_f64_e32 v[2:3], v[64:65], v[50:51]
	v_add_f64 v[50:51], v[66:67], -v[0:1]
	v_add_f64 v[52:53], v[68:69], -v[2:3]
	scratch_store_dwordx4 off, v[50:53], s70
	scratch_load_dwordx4 v[50:53], off, off offset:176
	s_nop 0
	scratch_load_dwordx4 v[54:57], off, s46
	ds_read2_b64 v[58:61], v49 offset0:102 offset1:103
	ds_read2_b64 v[62:65], v49 offset0:104 offset1:105
	s_add_i32 s70, s4, 0x400
	scratch_load_dwordx4 v[66:69], off, s70
	s_waitcnt vmcnt(2) lgkmcnt(1)
	v_mul_f64 v[0:1], v[60:61], v[52:53]
	v_mul_f64 v[2:3], v[58:59], v[52:53]
	v_fma_f64 v[0:1], v[58:59], v[50:51], -v[0:1]
	v_fmac_f64_e32 v[2:3], v[60:61], v[50:51]
	s_waitcnt vmcnt(1)
	v_add_f64 v[50:51], v[54:55], -v[0:1]
	v_add_f64 v[52:53], v[56:57], -v[2:3]
	scratch_store_dwordx4 off, v[50:53], s46
	scratch_load_dwordx4 v[50:53], off, off offset:176
	s_add_i32 s46, s4, 0x410
	s_addk_i32 s4, 0x70
	s_cmp_lg_u32 s4, 0
	s_waitcnt vmcnt(0) lgkmcnt(0)
	v_mul_f64 v[0:1], v[64:65], v[52:53]
	v_mul_f64 v[2:3], v[62:63], v[52:53]
	v_fma_f64 v[0:1], v[62:63], v[50:51], -v[0:1]
	v_fmac_f64_e32 v[2:3], v[64:65], v[50:51]
	v_add_f64 v[50:51], v[66:67], -v[0:1]
	v_add_f64 v[52:53], v[68:69], -v[2:3]
	scratch_store_dwordx4 off, v[50:53], s70
	scratch_load_dwordx4 v[50:53], off, off offset:176
	s_nop 0
	scratch_load_dwordx4 v[54:57], off, s46
	ds_read2_b64 v[58:61], v49 offset0:106 offset1:107
	ds_read2_b64 v[62:65], v49 offset0:108 offset1:109
	scratch_load_dwordx4 v[66:69], off, s5
	s_waitcnt vmcnt(2) lgkmcnt(1)
	v_mul_f64 v[0:1], v[60:61], v[52:53]
	v_mul_f64 v[2:3], v[58:59], v[52:53]
	v_fma_f64 v[0:1], v[58:59], v[50:51], -v[0:1]
	v_fmac_f64_e32 v[2:3], v[60:61], v[50:51]
	s_waitcnt vmcnt(1)
	v_add_f64 v[50:51], v[54:55], -v[0:1]
	v_add_f64 v[52:53], v[56:57], -v[2:3]
	scratch_store_dwordx4 off, v[50:53], s46
	scratch_load_dwordx4 v[50:53], off, off offset:176
	ds_read2_b64 v[54:57], v49 offset0:110 offset1:111
	s_waitcnt vmcnt(0) lgkmcnt(1)
	v_mul_f64 v[0:1], v[64:65], v[52:53]
	v_mul_f64 v[2:3], v[62:63], v[52:53]
	v_fma_f64 v[0:1], v[62:63], v[50:51], -v[0:1]
	v_fmac_f64_e32 v[2:3], v[64:65], v[50:51]
	v_add_f64 v[50:51], v[66:67], -v[0:1]
	v_add_f64 v[52:53], v[68:69], -v[2:3]
	scratch_store_dwordx4 off, v[50:53], s5
	scratch_load_dwordx4 v[50:53], off, off offset:176
	s_waitcnt vmcnt(0) lgkmcnt(0)
	v_mul_f64 v[0:1], v[56:57], v[52:53]
	v_mul_f64 v[2:3], v[54:55], v[52:53]
	v_fma_f64 v[0:1], v[54:55], v[50:51], -v[0:1]
	v_fmac_f64_e32 v[2:3], v[56:57], v[50:51]
	v_add_f64 v[50:51], v[70:71], -v[0:1]
	v_add_f64 v[52:53], v[72:73], -v[2:3]
	scratch_store_dwordx4 off, v[50:53], s71
	s_cbranch_scc1 .LBB121_152
.LBB121_153:
	s_or_b64 exec, exec, s[2:3]
	v_cmp_eq_u32_e32 vcc, 12, v252
	s_waitcnt lgkmcnt(0)
	s_barrier
	s_and_saveexec_b64 s[4:5], vcc
	s_cbranch_execz .LBB121_162
; %bb.154:
	scratch_load_dwordx4 v[50:53], off, s58
	v_add_u32_e32 v48, 0xd0, v248
	s_movk_i32 s2, 0xfd00
	s_waitcnt vmcnt(0)
	ds_write2_b64 v253, v[50:51], v[52:53] offset1:1
.LBB121_155:                            ; =>This Inner Loop Header: Depth=1
	s_add_i32 s46, s2, 0x3d0
	s_add_i32 s70, s2, 0x3e0
	;; [unrolled: 1-line block ×16, first 2 shown]
	scratch_load_dwordx4 v[50:53], off, s46
	scratch_load_dwordx4 v[54:57], off, s70
	;; [unrolled: 1-line block ×16, first 2 shown]
	v_add_u32_e32 v0, s2, v48
	s_addk_i32 s2, 0x100
	s_cmp_lg_u32 s2, 0
	s_waitcnt vmcnt(15)
	ds_write2_b64 v0, v[50:51], v[52:53] offset0:96 offset1:97
	s_waitcnt vmcnt(14)
	ds_write2_b64 v0, v[54:55], v[56:57] offset0:98 offset1:99
	;; [unrolled: 2-line block ×16, first 2 shown]
	s_cbranch_scc1 .LBB121_155
; %bb.156:
	ds_read2_b64 v[48:51], v253 offset1:1
	s_waitcnt lgkmcnt(0)
	v_cmp_neq_f64_e32 vcc, 0, v[48:49]
	v_cmp_neq_f64_e64 s[2:3], 0, v[50:51]
	s_or_b64 s[2:3], vcc, s[2:3]
	s_and_b64 exec, exec, s[2:3]
	s_cbranch_execz .LBB121_162
; %bb.157:
	v_cmp_ngt_f64_e64 s[2:3], |v[48:49]|, |v[50:51]|
                                        ; implicit-def: $vgpr52_vgpr53
	s_and_saveexec_b64 s[70:71], s[2:3]
	s_xor_b64 s[2:3], exec, s[70:71]
                                        ; implicit-def: $vgpr54_vgpr55
	s_cbranch_execz .LBB121_159
; %bb.158:
	v_div_scale_f64 v[0:1], s[70:71], v[50:51], v[50:51], v[48:49]
	v_rcp_f64_e32 v[2:3], v[0:1]
	v_div_scale_f64 v[52:53], vcc, v[48:49], v[50:51], v[48:49]
	v_fma_f64 v[54:55], -v[0:1], v[2:3], 1.0
	v_fmac_f64_e32 v[2:3], v[2:3], v[54:55]
	v_fma_f64 v[54:55], -v[0:1], v[2:3], 1.0
	v_fmac_f64_e32 v[2:3], v[2:3], v[54:55]
	v_mul_f64 v[54:55], v[52:53], v[2:3]
	v_fma_f64 v[0:1], -v[0:1], v[54:55], v[52:53]
	v_div_fmas_f64 v[0:1], v[0:1], v[2:3], v[54:55]
	v_div_fixup_f64 v[0:1], v[0:1], v[50:51], v[48:49]
	v_fmac_f64_e32 v[50:51], v[48:49], v[0:1]
	v_div_scale_f64 v[2:3], s[70:71], v[50:51], v[50:51], 1.0
	v_rcp_f64_e32 v[48:49], v[2:3]
	s_nop 0
	v_fma_f64 v[52:53], -v[2:3], v[48:49], 1.0
	v_fmac_f64_e32 v[48:49], v[48:49], v[52:53]
	v_fma_f64 v[52:53], -v[2:3], v[48:49], 1.0
	v_fmac_f64_e32 v[48:49], v[48:49], v[52:53]
	v_div_scale_f64 v[52:53], vcc, 1.0, v[50:51], 1.0
	v_mul_f64 v[54:55], v[52:53], v[48:49]
	v_fma_f64 v[2:3], -v[2:3], v[54:55], v[52:53]
	s_nop 1
	v_div_fmas_f64 v[2:3], v[2:3], v[48:49], v[54:55]
	v_div_fixup_f64 v[54:55], v[2:3], v[50:51], 1.0
	v_mul_f64 v[52:53], v[0:1], v[54:55]
	v_xor_b32_e32 v55, 0x80000000, v55
                                        ; implicit-def: $vgpr48_vgpr49
.LBB121_159:
	s_andn2_saveexec_b64 s[2:3], s[2:3]
	s_cbranch_execz .LBB121_161
; %bb.160:
	v_div_scale_f64 v[0:1], s[70:71], v[48:49], v[48:49], v[50:51]
	v_rcp_f64_e32 v[2:3], v[0:1]
	v_div_scale_f64 v[52:53], vcc, v[50:51], v[48:49], v[50:51]
	v_fma_f64 v[54:55], -v[0:1], v[2:3], 1.0
	v_fmac_f64_e32 v[2:3], v[2:3], v[54:55]
	v_fma_f64 v[54:55], -v[0:1], v[2:3], 1.0
	v_fmac_f64_e32 v[2:3], v[2:3], v[54:55]
	v_mul_f64 v[54:55], v[52:53], v[2:3]
	v_fma_f64 v[0:1], -v[0:1], v[54:55], v[52:53]
	v_div_fmas_f64 v[0:1], v[0:1], v[2:3], v[54:55]
	v_div_fixup_f64 v[0:1], v[0:1], v[48:49], v[50:51]
	v_fmac_f64_e32 v[48:49], v[50:51], v[0:1]
	v_div_scale_f64 v[2:3], s[70:71], v[48:49], v[48:49], 1.0
	v_rcp_f64_e32 v[50:51], v[2:3]
	s_nop 0
	v_fma_f64 v[52:53], -v[2:3], v[50:51], 1.0
	v_fmac_f64_e32 v[50:51], v[50:51], v[52:53]
	v_fma_f64 v[52:53], -v[2:3], v[50:51], 1.0
	v_fmac_f64_e32 v[50:51], v[50:51], v[52:53]
	v_div_scale_f64 v[52:53], vcc, 1.0, v[48:49], 1.0
	v_mul_f64 v[54:55], v[52:53], v[50:51]
	v_fma_f64 v[2:3], -v[2:3], v[54:55], v[52:53]
	s_nop 1
	v_div_fmas_f64 v[2:3], v[2:3], v[50:51], v[54:55]
	v_div_fixup_f64 v[52:53], v[2:3], v[48:49], 1.0
	v_mul_f64 v[54:55], v[0:1], -v[52:53]
.LBB121_161:
	s_or_b64 exec, exec, s[2:3]
	ds_write2_b64 v253, v[52:53], v[54:55] offset1:1
.LBB121_162:
	s_or_b64 exec, exec, s[4:5]
	s_waitcnt lgkmcnt(0)
	s_barrier
	ds_read2_b64 v[48:51], v253 offset1:1
	v_cmp_lt_u32_e32 vcc, 12, v252
	s_and_saveexec_b64 s[2:3], vcc
	s_cbranch_execz .LBB121_165
; %bb.163:
	scratch_load_dwordx4 v[54:57], off, off offset:192
	v_add_u32_e32 v52, 0xd0, v248
	s_movk_i32 s4, 0xfd00
	s_waitcnt vmcnt(0) lgkmcnt(0)
	v_mul_f64 v[0:1], v[50:51], v[56:57]
	v_mul_f64 v[58:59], v[48:49], v[56:57]
	v_fma_f64 v[56:57], v[48:49], v[54:55], -v[0:1]
	v_fmac_f64_e32 v[58:59], v[50:51], v[54:55]
	scratch_store_dwordx4 off, v[56:59], off offset:192
.LBB121_164:                            ; =>This Inner Loop Header: Depth=1
	scratch_load_dwordx4 v[54:57], off, off offset:192
	s_add_i32 s46, s4, 0x3d0
	scratch_load_dwordx4 v[58:61], off, s46
	v_add_u32_e32 v53, s4, v52
	ds_read2_b64 v[62:65], v53 offset0:96 offset1:97
	ds_read2_b64 v[66:69], v53 offset0:98 offset1:99
	s_add_i32 s70, s4, 0x3e0
	scratch_load_dwordx4 v[70:73], off, s70
	s_add_i32 s5, s4, 0x440
	s_waitcnt vmcnt(2) lgkmcnt(1)
	v_mul_f64 v[0:1], v[64:65], v[56:57]
	v_mul_f64 v[2:3], v[62:63], v[56:57]
	v_fma_f64 v[0:1], v[62:63], v[54:55], -v[0:1]
	v_fmac_f64_e32 v[2:3], v[64:65], v[54:55]
	s_waitcnt vmcnt(1)
	v_add_f64 v[54:55], v[58:59], -v[0:1]
	v_add_f64 v[56:57], v[60:61], -v[2:3]
	scratch_store_dwordx4 off, v[54:57], s46
	scratch_load_dwordx4 v[54:57], off, off offset:192
	s_add_i32 s46, s4, 0x3f0
	s_waitcnt vmcnt(0) lgkmcnt(0)
	v_mul_f64 v[0:1], v[68:69], v[56:57]
	v_mul_f64 v[2:3], v[66:67], v[56:57]
	v_fma_f64 v[0:1], v[66:67], v[54:55], -v[0:1]
	v_fmac_f64_e32 v[2:3], v[68:69], v[54:55]
	v_add_f64 v[54:55], v[70:71], -v[0:1]
	v_add_f64 v[56:57], v[72:73], -v[2:3]
	scratch_store_dwordx4 off, v[54:57], s70
	scratch_load_dwordx4 v[54:57], off, off offset:192
	s_nop 0
	scratch_load_dwordx4 v[58:61], off, s46
	ds_read2_b64 v[62:65], v53 offset0:100 offset1:101
	ds_read2_b64 v[66:69], v53 offset0:102 offset1:103
	s_add_i32 s70, s4, 0x400
	scratch_load_dwordx4 v[70:73], off, s70
	s_waitcnt vmcnt(2) lgkmcnt(1)
	v_mul_f64 v[0:1], v[64:65], v[56:57]
	v_mul_f64 v[2:3], v[62:63], v[56:57]
	v_fma_f64 v[0:1], v[62:63], v[54:55], -v[0:1]
	v_fmac_f64_e32 v[2:3], v[64:65], v[54:55]
	s_waitcnt vmcnt(1)
	v_add_f64 v[54:55], v[58:59], -v[0:1]
	v_add_f64 v[56:57], v[60:61], -v[2:3]
	scratch_store_dwordx4 off, v[54:57], s46
	scratch_load_dwordx4 v[54:57], off, off offset:192
	s_add_i32 s46, s4, 0x410
	s_waitcnt vmcnt(0) lgkmcnt(0)
	v_mul_f64 v[0:1], v[68:69], v[56:57]
	v_mul_f64 v[2:3], v[66:67], v[56:57]
	v_fma_f64 v[0:1], v[66:67], v[54:55], -v[0:1]
	v_fmac_f64_e32 v[2:3], v[68:69], v[54:55]
	v_add_f64 v[54:55], v[70:71], -v[0:1]
	v_add_f64 v[56:57], v[72:73], -v[2:3]
	scratch_store_dwordx4 off, v[54:57], s70
	scratch_load_dwordx4 v[54:57], off, off offset:192
	s_nop 0
	scratch_load_dwordx4 v[58:61], off, s46
	ds_read2_b64 v[62:65], v53 offset0:104 offset1:105
	ds_read2_b64 v[66:69], v53 offset0:106 offset1:107
	s_add_i32 s70, s4, 0x420
	scratch_load_dwordx4 v[70:73], off, s70
	s_waitcnt vmcnt(2) lgkmcnt(1)
	v_mul_f64 v[0:1], v[64:65], v[56:57]
	v_mul_f64 v[2:3], v[62:63], v[56:57]
	v_fma_f64 v[0:1], v[62:63], v[54:55], -v[0:1]
	v_fmac_f64_e32 v[2:3], v[64:65], v[54:55]
	s_waitcnt vmcnt(1)
	v_add_f64 v[54:55], v[58:59], -v[0:1]
	v_add_f64 v[56:57], v[60:61], -v[2:3]
	scratch_store_dwordx4 off, v[54:57], s46
	scratch_load_dwordx4 v[54:57], off, off offset:192
	s_add_i32 s46, s4, 0x430
	s_addk_i32 s4, 0x80
	s_cmp_lg_u32 s4, 0
	s_waitcnt vmcnt(0) lgkmcnt(0)
	v_mul_f64 v[0:1], v[68:69], v[56:57]
	v_mul_f64 v[2:3], v[66:67], v[56:57]
	v_fma_f64 v[0:1], v[66:67], v[54:55], -v[0:1]
	v_fmac_f64_e32 v[2:3], v[68:69], v[54:55]
	v_add_f64 v[54:55], v[70:71], -v[0:1]
	v_add_f64 v[56:57], v[72:73], -v[2:3]
	scratch_store_dwordx4 off, v[54:57], s70
	scratch_load_dwordx4 v[54:57], off, off offset:192
	s_nop 0
	scratch_load_dwordx4 v[58:61], off, s46
	ds_read2_b64 v[62:65], v53 offset0:108 offset1:109
	ds_read2_b64 v[66:69], v53 offset0:110 offset1:111
	scratch_load_dwordx4 v[70:73], off, s5
	s_waitcnt vmcnt(2) lgkmcnt(1)
	v_mul_f64 v[0:1], v[64:65], v[56:57]
	v_mul_f64 v[2:3], v[62:63], v[56:57]
	v_fma_f64 v[0:1], v[62:63], v[54:55], -v[0:1]
	v_fmac_f64_e32 v[2:3], v[64:65], v[54:55]
	s_waitcnt vmcnt(1)
	v_add_f64 v[54:55], v[58:59], -v[0:1]
	v_add_f64 v[56:57], v[60:61], -v[2:3]
	scratch_store_dwordx4 off, v[54:57], s46
	scratch_load_dwordx4 v[54:57], off, off offset:192
	s_waitcnt vmcnt(0) lgkmcnt(0)
	v_mul_f64 v[0:1], v[68:69], v[56:57]
	v_mul_f64 v[2:3], v[66:67], v[56:57]
	v_fma_f64 v[0:1], v[66:67], v[54:55], -v[0:1]
	v_fmac_f64_e32 v[2:3], v[68:69], v[54:55]
	v_add_f64 v[54:55], v[70:71], -v[0:1]
	v_add_f64 v[56:57], v[72:73], -v[2:3]
	scratch_store_dwordx4 off, v[54:57], s5
	s_cbranch_scc1 .LBB121_164
.LBB121_165:
	s_or_b64 exec, exec, s[2:3]
	v_cmp_eq_u32_e32 vcc, 13, v252
	s_waitcnt lgkmcnt(0)
	s_barrier
	s_and_saveexec_b64 s[4:5], vcc
	s_cbranch_execz .LBB121_176
; %bb.166:
	scratch_load_dwordx4 v[52:55], off, s57
	s_mov_b32 s46, 0
	s_waitcnt vmcnt(0)
	ds_write2_b64 v253, v[52:53], v[54:55] offset1:1
	v_add_u32_e32 v52, 0xe0, v248
	s_branch .LBB121_168
.LBB121_167:                            ;   in Loop: Header=BB121_168 Depth=1
	s_andn2_b64 vcc, exec, s[2:3]
	s_cbranch_vccz .LBB121_170
.LBB121_168:                            ; =>This Inner Loop Header: Depth=1
	s_add_i32 s2, s46, 0xe0
	s_add_i32 s3, s46, 0xf0
	scratch_load_dwordx4 v[54:57], off, s2
	scratch_load_dwordx4 v[58:61], off, s3
	s_add_i32 s2, s46, 0x100
	s_add_i32 s3, s46, 0x110
	scratch_load_dwordx4 v[62:65], off, s2
	scratch_load_dwordx4 v[66:69], off, s3
	;; [unrolled: 4-line block ×3, first 2 shown]
	s_add_i32 s2, s46, 0x140
	scratch_load_dwordx4 v[78:81], off, s2
	s_mov_b32 s70, s46
	v_add_u32_e32 v53, s46, v52
	s_cmpk_eq_i32 s46, 0x280
	s_mov_b64 s[2:3], -1
	s_waitcnt vmcnt(6)
	ds_write2_b64 v53, v[54:55], v[56:57] offset1:1
	s_waitcnt vmcnt(5)
	ds_write2_b64 v53, v[58:59], v[60:61] offset0:2 offset1:3
	s_waitcnt vmcnt(4)
	ds_write2_b64 v53, v[62:63], v[64:65] offset0:4 offset1:5
	;; [unrolled: 2-line block ×6, first 2 shown]
	s_cbranch_scc1 .LBB121_167
; %bb.169:                              ;   in Loop: Header=BB121_168 Depth=1
	s_addk_i32 s70, 0x150
	scratch_load_dwordx4 v[54:57], off, s70
	s_addk_i32 s46, 0x80
	s_mov_b64 s[2:3], 0
	s_waitcnt vmcnt(0)
	ds_write2_b64 v53, v[54:55], v[56:57] offset0:14 offset1:15
	s_branch .LBB121_167
.LBB121_170:
	ds_read2_b64 v[52:55], v253 offset1:1
	s_waitcnt lgkmcnt(0)
	v_cmp_neq_f64_e32 vcc, 0, v[52:53]
	v_cmp_neq_f64_e64 s[2:3], 0, v[54:55]
	s_or_b64 s[2:3], vcc, s[2:3]
	s_and_b64 exec, exec, s[2:3]
	s_cbranch_execz .LBB121_176
; %bb.171:
	v_cmp_ngt_f64_e64 s[2:3], |v[52:53]|, |v[54:55]|
                                        ; implicit-def: $vgpr56_vgpr57
	s_and_saveexec_b64 s[70:71], s[2:3]
	s_xor_b64 s[2:3], exec, s[70:71]
                                        ; implicit-def: $vgpr58_vgpr59
	s_cbranch_execz .LBB121_173
; %bb.172:
	v_div_scale_f64 v[0:1], s[70:71], v[54:55], v[54:55], v[52:53]
	v_rcp_f64_e32 v[2:3], v[0:1]
	v_div_scale_f64 v[56:57], vcc, v[52:53], v[54:55], v[52:53]
	v_fma_f64 v[58:59], -v[0:1], v[2:3], 1.0
	v_fmac_f64_e32 v[2:3], v[2:3], v[58:59]
	v_fma_f64 v[58:59], -v[0:1], v[2:3], 1.0
	v_fmac_f64_e32 v[2:3], v[2:3], v[58:59]
	v_mul_f64 v[58:59], v[56:57], v[2:3]
	v_fma_f64 v[0:1], -v[0:1], v[58:59], v[56:57]
	v_div_fmas_f64 v[0:1], v[0:1], v[2:3], v[58:59]
	v_div_fixup_f64 v[0:1], v[0:1], v[54:55], v[52:53]
	v_fmac_f64_e32 v[54:55], v[52:53], v[0:1]
	v_div_scale_f64 v[2:3], s[70:71], v[54:55], v[54:55], 1.0
	v_rcp_f64_e32 v[52:53], v[2:3]
	s_nop 0
	v_fma_f64 v[56:57], -v[2:3], v[52:53], 1.0
	v_fmac_f64_e32 v[52:53], v[52:53], v[56:57]
	v_fma_f64 v[56:57], -v[2:3], v[52:53], 1.0
	v_fmac_f64_e32 v[52:53], v[52:53], v[56:57]
	v_div_scale_f64 v[56:57], vcc, 1.0, v[54:55], 1.0
	v_mul_f64 v[58:59], v[56:57], v[52:53]
	v_fma_f64 v[2:3], -v[2:3], v[58:59], v[56:57]
	s_nop 1
	v_div_fmas_f64 v[2:3], v[2:3], v[52:53], v[58:59]
	v_div_fixup_f64 v[58:59], v[2:3], v[54:55], 1.0
	v_mul_f64 v[56:57], v[0:1], v[58:59]
	v_xor_b32_e32 v59, 0x80000000, v59
                                        ; implicit-def: $vgpr52_vgpr53
.LBB121_173:
	s_andn2_saveexec_b64 s[2:3], s[2:3]
	s_cbranch_execz .LBB121_175
; %bb.174:
	v_div_scale_f64 v[0:1], s[70:71], v[52:53], v[52:53], v[54:55]
	v_rcp_f64_e32 v[2:3], v[0:1]
	v_div_scale_f64 v[56:57], vcc, v[54:55], v[52:53], v[54:55]
	v_fma_f64 v[58:59], -v[0:1], v[2:3], 1.0
	v_fmac_f64_e32 v[2:3], v[2:3], v[58:59]
	v_fma_f64 v[58:59], -v[0:1], v[2:3], 1.0
	v_fmac_f64_e32 v[2:3], v[2:3], v[58:59]
	v_mul_f64 v[58:59], v[56:57], v[2:3]
	v_fma_f64 v[0:1], -v[0:1], v[58:59], v[56:57]
	v_div_fmas_f64 v[0:1], v[0:1], v[2:3], v[58:59]
	v_div_fixup_f64 v[0:1], v[0:1], v[52:53], v[54:55]
	v_fmac_f64_e32 v[52:53], v[54:55], v[0:1]
	v_div_scale_f64 v[2:3], s[70:71], v[52:53], v[52:53], 1.0
	v_rcp_f64_e32 v[54:55], v[2:3]
	s_nop 0
	v_fma_f64 v[56:57], -v[2:3], v[54:55], 1.0
	v_fmac_f64_e32 v[54:55], v[54:55], v[56:57]
	v_fma_f64 v[56:57], -v[2:3], v[54:55], 1.0
	v_fmac_f64_e32 v[54:55], v[54:55], v[56:57]
	v_div_scale_f64 v[56:57], vcc, 1.0, v[52:53], 1.0
	v_mul_f64 v[58:59], v[56:57], v[54:55]
	v_fma_f64 v[2:3], -v[2:3], v[58:59], v[56:57]
	s_nop 1
	v_div_fmas_f64 v[2:3], v[2:3], v[54:55], v[58:59]
	v_div_fixup_f64 v[56:57], v[2:3], v[52:53], 1.0
	v_mul_f64 v[58:59], v[0:1], -v[56:57]
.LBB121_175:
	s_or_b64 exec, exec, s[2:3]
	ds_write2_b64 v253, v[56:57], v[58:59] offset1:1
.LBB121_176:
	s_or_b64 exec, exec, s[4:5]
	s_waitcnt lgkmcnt(0)
	s_barrier
	ds_read2_b64 v[52:55], v253 offset1:1
	v_cmp_lt_u32_e32 vcc, 13, v252
	s_and_saveexec_b64 s[2:3], vcc
	s_cbranch_execz .LBB121_181
; %bb.177:
	scratch_load_dwordx4 v[60:63], off, off offset:208
	s_mov_b32 s70, 0
	s_waitcnt vmcnt(0) lgkmcnt(0)
	v_mul_f64 v[0:1], v[54:55], v[62:63]
	v_mul_f64 v[58:59], v[52:53], v[62:63]
	v_fma_f64 v[56:57], v[52:53], v[60:61], -v[0:1]
	v_fmac_f64_e32 v[58:59], v[54:55], v[60:61]
	v_add_u32_e32 v60, 0xe0, v248
	scratch_store_dwordx4 off, v[56:59], off offset:208
	s_branch .LBB121_179
.LBB121_178:                            ;   in Loop: Header=BB121_179 Depth=1
	s_andn2_b64 vcc, exec, s[4:5]
	s_cbranch_vccz .LBB121_181
.LBB121_179:                            ; =>This Inner Loop Header: Depth=1
	v_add_u32_e32 v61, s70, v60
	ds_read2_b64 v[62:65], v61 offset1:1
	s_add_i32 s4, s70, 0xe0
	s_mov_b32 s71, s70
	s_waitcnt lgkmcnt(0)
	v_mul_f64 v[0:1], v[64:65], v[58:59]
	v_mul_f64 v[2:3], v[62:63], v[58:59]
	v_fma_f64 v[0:1], v[62:63], v[56:57], -v[0:1]
	v_fmac_f64_e32 v[2:3], v[64:65], v[56:57]
	scratch_load_dwordx4 v[62:65], off, s4
	s_waitcnt vmcnt(0)
	v_add_f64 v[62:63], v[62:63], -v[0:1]
	v_add_f64 v[64:65], v[64:65], -v[2:3]
	scratch_store_dwordx4 off, v[62:65], s4
	ds_read2_b64 v[62:65], v61 offset0:2 offset1:3
	s_add_i32 s4, s70, 0xf0
	s_waitcnt lgkmcnt(0)
	v_mul_f64 v[0:1], v[64:65], v[58:59]
	v_mul_f64 v[2:3], v[62:63], v[58:59]
	v_fma_f64 v[0:1], v[62:63], v[56:57], -v[0:1]
	v_fmac_f64_e32 v[2:3], v[64:65], v[56:57]
	scratch_load_dwordx4 v[62:65], off, s4
	s_waitcnt vmcnt(0)
	v_add_f64 v[62:63], v[62:63], -v[0:1]
	v_add_f64 v[64:65], v[64:65], -v[2:3]
	scratch_store_dwordx4 off, v[62:65], s4
	ds_read2_b64 v[62:65], v61 offset0:4 offset1:5
	s_add_i32 s4, s70, 0x100
	;; [unrolled: 12-line block ×5, first 2 shown]
	s_waitcnt lgkmcnt(0)
	v_mul_f64 v[0:1], v[64:65], v[58:59]
	v_mul_f64 v[2:3], v[62:63], v[58:59]
	v_fma_f64 v[0:1], v[62:63], v[56:57], -v[0:1]
	v_fmac_f64_e32 v[2:3], v[64:65], v[56:57]
	scratch_load_dwordx4 v[56:59], off, s4
	ds_read2_b64 v[62:65], v61 offset0:12 offset1:13
	s_waitcnt vmcnt(0)
	v_add_f64 v[56:57], v[56:57], -v[0:1]
	v_add_f64 v[58:59], v[58:59], -v[2:3]
	scratch_store_dwordx4 off, v[56:59], s4
	scratch_load_dwordx4 v[56:59], off, off offset:208
	s_add_i32 s4, s70, 0x140
	s_cmpk_eq_i32 s70, 0x280
	s_waitcnt vmcnt(0) lgkmcnt(0)
	v_mul_f64 v[0:1], v[64:65], v[58:59]
	v_mul_f64 v[2:3], v[62:63], v[58:59]
	v_fma_f64 v[0:1], v[62:63], v[56:57], -v[0:1]
	v_fmac_f64_e32 v[2:3], v[64:65], v[56:57]
	scratch_load_dwordx4 v[62:65], off, s4
	s_waitcnt vmcnt(0)
	v_add_f64 v[62:63], v[62:63], -v[0:1]
	v_add_f64 v[64:65], v[64:65], -v[2:3]
	scratch_store_dwordx4 off, v[62:65], s4
	s_mov_b64 s[4:5], -1
	s_cbranch_scc1 .LBB121_178
; %bb.180:                              ;   in Loop: Header=BB121_179 Depth=1
	s_addk_i32 s71, 0x150
	scratch_load_dwordx4 v[62:65], off, s71
	ds_read2_b64 v[66:69], v61 offset0:14 offset1:15
	s_addk_i32 s70, 0x80
	s_mov_b64 s[4:5], 0
	s_waitcnt lgkmcnt(0)
	v_mul_f64 v[0:1], v[68:69], v[58:59]
	v_mul_f64 v[2:3], v[66:67], v[58:59]
	v_fma_f64 v[0:1], v[66:67], v[56:57], -v[0:1]
	v_fmac_f64_e32 v[2:3], v[68:69], v[56:57]
	s_waitcnt vmcnt(0)
	v_add_f64 v[62:63], v[62:63], -v[0:1]
	v_add_f64 v[64:65], v[64:65], -v[2:3]
	scratch_store_dwordx4 off, v[62:65], s71
	s_branch .LBB121_178
.LBB121_181:
	s_or_b64 exec, exec, s[2:3]
	v_cmp_eq_u32_e32 vcc, 14, v252
	s_waitcnt lgkmcnt(0)
	s_barrier
	s_and_saveexec_b64 s[4:5], vcc
	s_cbranch_execz .LBB121_190
; %bb.182:
	scratch_load_dwordx4 v[56:59], off, s56
	s_mov_b32 s2, 0
	s_waitcnt vmcnt(0)
	ds_write2_b64 v253, v[56:57], v[58:59] offset1:1
	v_add_u32_e32 v56, 0xf0, v248
.LBB121_183:                            ; =>This Inner Loop Header: Depth=1
	s_add_i32 s46, s2, 0xf0
	s_add_i32 s3, s2, 0x100
	scratch_load_dwordx4 v[58:61], off, s46
	scratch_load_dwordx4 v[62:65], off, s3
	v_add_u32_e32 v0, s2, v56
	s_add_i32 s2, s2, 32
	s_cmpk_lg_i32 s2, 0x2e0
	s_waitcnt vmcnt(1)
	ds_write2_b64 v0, v[58:59], v[60:61] offset1:1
	s_waitcnt vmcnt(0)
	ds_write2_b64 v0, v[62:63], v[64:65] offset0:2 offset1:3
	s_cbranch_scc1 .LBB121_183
; %bb.184:
	ds_read2_b64 v[56:59], v253 offset1:1
	s_waitcnt lgkmcnt(0)
	v_cmp_neq_f64_e32 vcc, 0, v[56:57]
	v_cmp_neq_f64_e64 s[2:3], 0, v[58:59]
	s_or_b64 s[2:3], vcc, s[2:3]
	s_and_b64 exec, exec, s[2:3]
	s_cbranch_execz .LBB121_190
; %bb.185:
	v_cmp_ngt_f64_e64 s[2:3], |v[56:57]|, |v[58:59]|
                                        ; implicit-def: $vgpr60_vgpr61
	s_and_saveexec_b64 s[70:71], s[2:3]
	s_xor_b64 s[2:3], exec, s[70:71]
                                        ; implicit-def: $vgpr62_vgpr63
	s_cbranch_execz .LBB121_187
; %bb.186:
	v_div_scale_f64 v[0:1], s[70:71], v[58:59], v[58:59], v[56:57]
	v_rcp_f64_e32 v[2:3], v[0:1]
	v_div_scale_f64 v[60:61], vcc, v[56:57], v[58:59], v[56:57]
	v_fma_f64 v[62:63], -v[0:1], v[2:3], 1.0
	v_fmac_f64_e32 v[2:3], v[2:3], v[62:63]
	v_fma_f64 v[62:63], -v[0:1], v[2:3], 1.0
	v_fmac_f64_e32 v[2:3], v[2:3], v[62:63]
	v_mul_f64 v[62:63], v[60:61], v[2:3]
	v_fma_f64 v[0:1], -v[0:1], v[62:63], v[60:61]
	v_div_fmas_f64 v[0:1], v[0:1], v[2:3], v[62:63]
	v_div_fixup_f64 v[0:1], v[0:1], v[58:59], v[56:57]
	v_fmac_f64_e32 v[58:59], v[56:57], v[0:1]
	v_div_scale_f64 v[2:3], s[70:71], v[58:59], v[58:59], 1.0
	v_rcp_f64_e32 v[56:57], v[2:3]
	s_nop 0
	v_fma_f64 v[60:61], -v[2:3], v[56:57], 1.0
	v_fmac_f64_e32 v[56:57], v[56:57], v[60:61]
	v_fma_f64 v[60:61], -v[2:3], v[56:57], 1.0
	v_fmac_f64_e32 v[56:57], v[56:57], v[60:61]
	v_div_scale_f64 v[60:61], vcc, 1.0, v[58:59], 1.0
	v_mul_f64 v[62:63], v[60:61], v[56:57]
	v_fma_f64 v[2:3], -v[2:3], v[62:63], v[60:61]
	s_nop 1
	v_div_fmas_f64 v[2:3], v[2:3], v[56:57], v[62:63]
	v_div_fixup_f64 v[62:63], v[2:3], v[58:59], 1.0
	v_mul_f64 v[60:61], v[0:1], v[62:63]
	v_xor_b32_e32 v63, 0x80000000, v63
                                        ; implicit-def: $vgpr56_vgpr57
.LBB121_187:
	s_andn2_saveexec_b64 s[2:3], s[2:3]
	s_cbranch_execz .LBB121_189
; %bb.188:
	v_div_scale_f64 v[0:1], s[70:71], v[56:57], v[56:57], v[58:59]
	v_rcp_f64_e32 v[2:3], v[0:1]
	v_div_scale_f64 v[60:61], vcc, v[58:59], v[56:57], v[58:59]
	v_fma_f64 v[62:63], -v[0:1], v[2:3], 1.0
	v_fmac_f64_e32 v[2:3], v[2:3], v[62:63]
	v_fma_f64 v[62:63], -v[0:1], v[2:3], 1.0
	v_fmac_f64_e32 v[2:3], v[2:3], v[62:63]
	v_mul_f64 v[62:63], v[60:61], v[2:3]
	v_fma_f64 v[0:1], -v[0:1], v[62:63], v[60:61]
	v_div_fmas_f64 v[0:1], v[0:1], v[2:3], v[62:63]
	v_div_fixup_f64 v[0:1], v[0:1], v[56:57], v[58:59]
	v_fmac_f64_e32 v[56:57], v[58:59], v[0:1]
	v_div_scale_f64 v[2:3], s[70:71], v[56:57], v[56:57], 1.0
	v_rcp_f64_e32 v[58:59], v[2:3]
	s_nop 0
	v_fma_f64 v[60:61], -v[2:3], v[58:59], 1.0
	v_fmac_f64_e32 v[58:59], v[58:59], v[60:61]
	v_fma_f64 v[60:61], -v[2:3], v[58:59], 1.0
	v_fmac_f64_e32 v[58:59], v[58:59], v[60:61]
	v_div_scale_f64 v[60:61], vcc, 1.0, v[56:57], 1.0
	v_mul_f64 v[62:63], v[60:61], v[58:59]
	v_fma_f64 v[2:3], -v[2:3], v[62:63], v[60:61]
	s_nop 1
	v_div_fmas_f64 v[2:3], v[2:3], v[58:59], v[62:63]
	v_div_fixup_f64 v[60:61], v[2:3], v[56:57], 1.0
	v_mul_f64 v[62:63], v[0:1], -v[60:61]
.LBB121_189:
	s_or_b64 exec, exec, s[2:3]
	ds_write2_b64 v253, v[60:61], v[62:63] offset1:1
.LBB121_190:
	s_or_b64 exec, exec, s[4:5]
	s_waitcnt lgkmcnt(0)
	s_barrier
	ds_read2_b64 v[56:59], v253 offset1:1
	v_cmp_lt_u32_e32 vcc, 14, v252
	s_and_saveexec_b64 s[2:3], vcc
	s_cbranch_execz .LBB121_193
; %bb.191:
	scratch_load_dwordx4 v[64:67], off, off offset:224
	s_mov_b32 s4, 0
	s_waitcnt vmcnt(0) lgkmcnt(0)
	v_mul_f64 v[0:1], v[58:59], v[66:67]
	v_mul_f64 v[62:63], v[56:57], v[66:67]
	v_fma_f64 v[60:61], v[56:57], v[64:65], -v[0:1]
	v_fmac_f64_e32 v[62:63], v[58:59], v[64:65]
	v_add_u32_e32 v64, 0xf0, v248
	scratch_store_dwordx4 off, v[60:63], off offset:224
.LBB121_192:                            ; =>This Inner Loop Header: Depth=1
	s_add_i32 s46, s4, 0xf0
	s_add_i32 s5, s4, 0x100
	scratch_load_dwordx4 v[66:69], off, s46
	scratch_load_dwordx4 v[70:73], off, s5
	v_add_u32_e32 v0, s4, v64
	ds_read2_b64 v[74:77], v0 offset1:1
	ds_read2_b64 v[78:81], v0 offset0:2 offset1:3
	s_add_i32 s4, s4, 32
	s_cmpk_lg_i32 s4, 0x2e0
	s_waitcnt lgkmcnt(1)
	v_mul_f64 v[0:1], v[76:77], v[62:63]
	v_mul_f64 v[2:3], v[74:75], v[62:63]
	s_waitcnt lgkmcnt(0)
	v_mul_f64 v[82:83], v[80:81], v[62:63]
	v_mul_f64 v[84:85], v[78:79], v[62:63]
	v_fma_f64 v[0:1], v[74:75], v[60:61], -v[0:1]
	v_fmac_f64_e32 v[2:3], v[76:77], v[60:61]
	v_fma_f64 v[74:75], v[78:79], v[60:61], -v[82:83]
	v_fmac_f64_e32 v[84:85], v[80:81], v[60:61]
	s_waitcnt vmcnt(1)
	v_add_f64 v[66:67], v[66:67], -v[0:1]
	v_add_f64 v[68:69], v[68:69], -v[2:3]
	s_waitcnt vmcnt(0)
	v_add_f64 v[70:71], v[70:71], -v[74:75]
	v_add_f64 v[72:73], v[72:73], -v[84:85]
	scratch_store_dwordx4 off, v[66:69], s46
	scratch_store_dwordx4 off, v[70:73], s5
	s_cbranch_scc1 .LBB121_192
.LBB121_193:
	s_or_b64 exec, exec, s[2:3]
	v_cmp_eq_u32_e32 vcc, 15, v252
	s_waitcnt lgkmcnt(0)
	s_barrier
	s_and_saveexec_b64 s[4:5], vcc
	s_cbranch_execz .LBB121_202
; %bb.194:
	scratch_load_dwordx4 v[62:65], off, s55
	v_add_u32_e32 v60, 0x100, v248
	s_movk_i32 s2, 0xfd30
	s_waitcnt vmcnt(0)
	ds_write2_b64 v253, v[62:63], v[64:65] offset1:1
.LBB121_195:                            ; =>This Inner Loop Header: Depth=1
	s_add_i32 s46, s2, 0x3d0
	s_add_i32 s70, s2, 0x3e0
	;; [unrolled: 1-line block ×15, first 2 shown]
	scratch_load_dwordx4 v[62:65], off, s46
	scratch_load_dwordx4 v[66:69], off, s70
	;; [unrolled: 1-line block ×15, first 2 shown]
	v_add_u32_e32 v0, s2, v60
	s_addk_i32 s2, 0xf0
	s_cmp_lg_u32 s2, 0
	s_waitcnt vmcnt(14)
	ds_write2_b64 v0, v[62:63], v[64:65] offset0:90 offset1:91
	s_waitcnt vmcnt(13)
	ds_write2_b64 v0, v[66:67], v[68:69] offset0:92 offset1:93
	;; [unrolled: 2-line block ×15, first 2 shown]
	s_cbranch_scc1 .LBB121_195
; %bb.196:
	ds_read2_b64 v[60:63], v253 offset1:1
	s_waitcnt lgkmcnt(0)
	v_cmp_neq_f64_e32 vcc, 0, v[60:61]
	v_cmp_neq_f64_e64 s[2:3], 0, v[62:63]
	s_or_b64 s[2:3], vcc, s[2:3]
	s_and_b64 exec, exec, s[2:3]
	s_cbranch_execz .LBB121_202
; %bb.197:
	v_cmp_ngt_f64_e64 s[2:3], |v[60:61]|, |v[62:63]|
                                        ; implicit-def: $vgpr64_vgpr65
	s_and_saveexec_b64 s[70:71], s[2:3]
	s_xor_b64 s[2:3], exec, s[70:71]
                                        ; implicit-def: $vgpr66_vgpr67
	s_cbranch_execz .LBB121_199
; %bb.198:
	v_div_scale_f64 v[0:1], s[70:71], v[62:63], v[62:63], v[60:61]
	v_rcp_f64_e32 v[2:3], v[0:1]
	v_div_scale_f64 v[64:65], vcc, v[60:61], v[62:63], v[60:61]
	v_fma_f64 v[66:67], -v[0:1], v[2:3], 1.0
	v_fmac_f64_e32 v[2:3], v[2:3], v[66:67]
	v_fma_f64 v[66:67], -v[0:1], v[2:3], 1.0
	v_fmac_f64_e32 v[2:3], v[2:3], v[66:67]
	v_mul_f64 v[66:67], v[64:65], v[2:3]
	v_fma_f64 v[0:1], -v[0:1], v[66:67], v[64:65]
	v_div_fmas_f64 v[0:1], v[0:1], v[2:3], v[66:67]
	v_div_fixup_f64 v[0:1], v[0:1], v[62:63], v[60:61]
	v_fmac_f64_e32 v[62:63], v[60:61], v[0:1]
	v_div_scale_f64 v[2:3], s[70:71], v[62:63], v[62:63], 1.0
	v_rcp_f64_e32 v[60:61], v[2:3]
	s_nop 0
	v_fma_f64 v[64:65], -v[2:3], v[60:61], 1.0
	v_fmac_f64_e32 v[60:61], v[60:61], v[64:65]
	v_fma_f64 v[64:65], -v[2:3], v[60:61], 1.0
	v_fmac_f64_e32 v[60:61], v[60:61], v[64:65]
	v_div_scale_f64 v[64:65], vcc, 1.0, v[62:63], 1.0
	v_mul_f64 v[66:67], v[64:65], v[60:61]
	v_fma_f64 v[2:3], -v[2:3], v[66:67], v[64:65]
	s_nop 1
	v_div_fmas_f64 v[2:3], v[2:3], v[60:61], v[66:67]
	v_div_fixup_f64 v[66:67], v[2:3], v[62:63], 1.0
	v_mul_f64 v[64:65], v[0:1], v[66:67]
	v_xor_b32_e32 v67, 0x80000000, v67
                                        ; implicit-def: $vgpr60_vgpr61
.LBB121_199:
	s_andn2_saveexec_b64 s[2:3], s[2:3]
	s_cbranch_execz .LBB121_201
; %bb.200:
	v_div_scale_f64 v[0:1], s[70:71], v[60:61], v[60:61], v[62:63]
	v_rcp_f64_e32 v[2:3], v[0:1]
	v_div_scale_f64 v[64:65], vcc, v[62:63], v[60:61], v[62:63]
	v_fma_f64 v[66:67], -v[0:1], v[2:3], 1.0
	v_fmac_f64_e32 v[2:3], v[2:3], v[66:67]
	v_fma_f64 v[66:67], -v[0:1], v[2:3], 1.0
	v_fmac_f64_e32 v[2:3], v[2:3], v[66:67]
	v_mul_f64 v[66:67], v[64:65], v[2:3]
	v_fma_f64 v[0:1], -v[0:1], v[66:67], v[64:65]
	v_div_fmas_f64 v[0:1], v[0:1], v[2:3], v[66:67]
	v_div_fixup_f64 v[0:1], v[0:1], v[60:61], v[62:63]
	v_fmac_f64_e32 v[60:61], v[62:63], v[0:1]
	v_div_scale_f64 v[2:3], s[70:71], v[60:61], v[60:61], 1.0
	v_rcp_f64_e32 v[62:63], v[2:3]
	s_nop 0
	v_fma_f64 v[64:65], -v[2:3], v[62:63], 1.0
	v_fmac_f64_e32 v[62:63], v[62:63], v[64:65]
	v_fma_f64 v[64:65], -v[2:3], v[62:63], 1.0
	v_fmac_f64_e32 v[62:63], v[62:63], v[64:65]
	v_div_scale_f64 v[64:65], vcc, 1.0, v[60:61], 1.0
	v_mul_f64 v[66:67], v[64:65], v[62:63]
	v_fma_f64 v[2:3], -v[2:3], v[66:67], v[64:65]
	s_nop 1
	v_div_fmas_f64 v[2:3], v[2:3], v[62:63], v[66:67]
	v_div_fixup_f64 v[64:65], v[2:3], v[60:61], 1.0
	v_mul_f64 v[66:67], v[0:1], -v[64:65]
.LBB121_201:
	s_or_b64 exec, exec, s[2:3]
	ds_write2_b64 v253, v[64:65], v[66:67] offset1:1
.LBB121_202:
	s_or_b64 exec, exec, s[4:5]
	s_waitcnt lgkmcnt(0)
	s_barrier
	ds_read2_b64 v[60:63], v253 offset1:1
	v_cmp_lt_u32_e32 vcc, 15, v252
	s_and_saveexec_b64 s[2:3], vcc
	s_cbranch_execz .LBB121_205
; %bb.203:
	scratch_load_dwordx4 v[66:69], off, off offset:240
	v_add_u32_e32 v64, 0x100, v248
	s_movk_i32 s4, 0xfd30
	s_waitcnt vmcnt(0) lgkmcnt(0)
	v_mul_f64 v[0:1], v[62:63], v[68:69]
	v_mul_f64 v[70:71], v[60:61], v[68:69]
	v_fma_f64 v[68:69], v[60:61], v[66:67], -v[0:1]
	v_fmac_f64_e32 v[70:71], v[62:63], v[66:67]
	scratch_store_dwordx4 off, v[68:71], off offset:240
.LBB121_204:                            ; =>This Inner Loop Header: Depth=1
	scratch_load_dwordx4 v[66:69], off, off offset:240
	s_add_i32 s46, s4, 0x3d0
	scratch_load_dwordx4 v[70:73], off, s46
	v_add_u32_e32 v65, s4, v64
	ds_read2_b64 v[74:77], v65 offset0:90 offset1:91
	ds_read2_b64 v[78:81], v65 offset0:92 offset1:93
	s_add_i32 s70, s4, 0x3e0
	s_add_i32 s71, s4, 0x450
	scratch_load_dwordx4 v[82:85], off, s70
	scratch_load_dwordx4 v[86:89], off, s71
	s_add_i32 s5, s4, 0x440
	s_waitcnt vmcnt(3) lgkmcnt(1)
	v_mul_f64 v[0:1], v[76:77], v[68:69]
	v_mul_f64 v[2:3], v[74:75], v[68:69]
	v_fma_f64 v[0:1], v[74:75], v[66:67], -v[0:1]
	v_fmac_f64_e32 v[2:3], v[76:77], v[66:67]
	s_waitcnt vmcnt(2)
	v_add_f64 v[66:67], v[70:71], -v[0:1]
	v_add_f64 v[68:69], v[72:73], -v[2:3]
	scratch_store_dwordx4 off, v[66:69], s46
	scratch_load_dwordx4 v[66:69], off, off offset:240
	s_add_i32 s46, s4, 0x3f0
	s_waitcnt vmcnt(0) lgkmcnt(0)
	v_mul_f64 v[0:1], v[80:81], v[68:69]
	v_mul_f64 v[2:3], v[78:79], v[68:69]
	v_fma_f64 v[0:1], v[78:79], v[66:67], -v[0:1]
	v_fmac_f64_e32 v[2:3], v[80:81], v[66:67]
	v_add_f64 v[66:67], v[82:83], -v[0:1]
	v_add_f64 v[68:69], v[84:85], -v[2:3]
	scratch_store_dwordx4 off, v[66:69], s70
	scratch_load_dwordx4 v[66:69], off, off offset:240
	s_nop 0
	scratch_load_dwordx4 v[70:73], off, s46
	ds_read2_b64 v[74:77], v65 offset0:94 offset1:95
	ds_read2_b64 v[78:81], v65 offset0:96 offset1:97
	s_add_i32 s70, s4, 0x400
	scratch_load_dwordx4 v[82:85], off, s70
	s_waitcnt vmcnt(2) lgkmcnt(1)
	v_mul_f64 v[0:1], v[76:77], v[68:69]
	v_mul_f64 v[2:3], v[74:75], v[68:69]
	v_fma_f64 v[0:1], v[74:75], v[66:67], -v[0:1]
	v_fmac_f64_e32 v[2:3], v[76:77], v[66:67]
	s_waitcnt vmcnt(1)
	v_add_f64 v[66:67], v[70:71], -v[0:1]
	v_add_f64 v[68:69], v[72:73], -v[2:3]
	scratch_store_dwordx4 off, v[66:69], s46
	scratch_load_dwordx4 v[66:69], off, off offset:240
	s_add_i32 s46, s4, 0x410
	s_waitcnt vmcnt(0) lgkmcnt(0)
	v_mul_f64 v[0:1], v[80:81], v[68:69]
	v_mul_f64 v[2:3], v[78:79], v[68:69]
	v_fma_f64 v[0:1], v[78:79], v[66:67], -v[0:1]
	v_fmac_f64_e32 v[2:3], v[80:81], v[66:67]
	v_add_f64 v[66:67], v[82:83], -v[0:1]
	v_add_f64 v[68:69], v[84:85], -v[2:3]
	scratch_store_dwordx4 off, v[66:69], s70
	scratch_load_dwordx4 v[66:69], off, off offset:240
	s_nop 0
	scratch_load_dwordx4 v[70:73], off, s46
	ds_read2_b64 v[74:77], v65 offset0:98 offset1:99
	ds_read2_b64 v[78:81], v65 offset0:100 offset1:101
	s_add_i32 s70, s4, 0x420
	scratch_load_dwordx4 v[82:85], off, s70
	s_waitcnt vmcnt(2) lgkmcnt(1)
	v_mul_f64 v[0:1], v[76:77], v[68:69]
	v_mul_f64 v[2:3], v[74:75], v[68:69]
	v_fma_f64 v[0:1], v[74:75], v[66:67], -v[0:1]
	v_fmac_f64_e32 v[2:3], v[76:77], v[66:67]
	s_waitcnt vmcnt(1)
	v_add_f64 v[66:67], v[70:71], -v[0:1]
	v_add_f64 v[68:69], v[72:73], -v[2:3]
	scratch_store_dwordx4 off, v[66:69], s46
	scratch_load_dwordx4 v[66:69], off, off offset:240
	s_add_i32 s46, s4, 0x430
	s_addk_i32 s4, 0x90
	s_cmp_lg_u32 s4, 0
	s_waitcnt vmcnt(0) lgkmcnt(0)
	v_mul_f64 v[0:1], v[80:81], v[68:69]
	v_mul_f64 v[2:3], v[78:79], v[68:69]
	v_fma_f64 v[0:1], v[78:79], v[66:67], -v[0:1]
	v_fmac_f64_e32 v[2:3], v[80:81], v[66:67]
	v_add_f64 v[66:67], v[82:83], -v[0:1]
	v_add_f64 v[68:69], v[84:85], -v[2:3]
	scratch_store_dwordx4 off, v[66:69], s70
	scratch_load_dwordx4 v[66:69], off, off offset:240
	s_nop 0
	scratch_load_dwordx4 v[70:73], off, s46
	ds_read2_b64 v[74:77], v65 offset0:102 offset1:103
	ds_read2_b64 v[78:81], v65 offset0:104 offset1:105
	scratch_load_dwordx4 v[82:85], off, s5
	s_waitcnt vmcnt(2) lgkmcnt(1)
	v_mul_f64 v[0:1], v[76:77], v[68:69]
	v_mul_f64 v[2:3], v[74:75], v[68:69]
	v_fma_f64 v[0:1], v[74:75], v[66:67], -v[0:1]
	v_fmac_f64_e32 v[2:3], v[76:77], v[66:67]
	s_waitcnt vmcnt(1)
	v_add_f64 v[66:67], v[70:71], -v[0:1]
	v_add_f64 v[68:69], v[72:73], -v[2:3]
	scratch_store_dwordx4 off, v[66:69], s46
	scratch_load_dwordx4 v[66:69], off, off offset:240
	ds_read2_b64 v[70:73], v65 offset0:106 offset1:107
	s_waitcnt vmcnt(0) lgkmcnt(1)
	v_mul_f64 v[0:1], v[80:81], v[68:69]
	v_mul_f64 v[2:3], v[78:79], v[68:69]
	v_fma_f64 v[0:1], v[78:79], v[66:67], -v[0:1]
	v_fmac_f64_e32 v[2:3], v[80:81], v[66:67]
	v_add_f64 v[66:67], v[82:83], -v[0:1]
	v_add_f64 v[68:69], v[84:85], -v[2:3]
	scratch_store_dwordx4 off, v[66:69], s5
	scratch_load_dwordx4 v[66:69], off, off offset:240
	s_waitcnt vmcnt(0) lgkmcnt(0)
	v_mul_f64 v[0:1], v[72:73], v[68:69]
	v_mul_f64 v[2:3], v[70:71], v[68:69]
	v_fma_f64 v[0:1], v[70:71], v[66:67], -v[0:1]
	v_fmac_f64_e32 v[2:3], v[72:73], v[66:67]
	v_add_f64 v[66:67], v[86:87], -v[0:1]
	v_add_f64 v[68:69], v[88:89], -v[2:3]
	scratch_store_dwordx4 off, v[66:69], s71
	s_cbranch_scc1 .LBB121_204
.LBB121_205:
	s_or_b64 exec, exec, s[2:3]
	v_cmp_eq_u32_e32 vcc, 16, v252
	s_waitcnt lgkmcnt(0)
	s_barrier
	s_and_saveexec_b64 s[4:5], vcc
	s_cbranch_execz .LBB121_214
; %bb.206:
	scratch_load_dwordx4 v[66:69], off, s54
	v_add_u32_e32 v64, 0x110, v248
	s_movk_i32 s2, 0xfd40
	s_waitcnt vmcnt(0)
	ds_write2_b64 v253, v[66:67], v[68:69] offset1:1
.LBB121_207:                            ; =>This Inner Loop Header: Depth=1
	s_add_i32 s46, s2, 0x3d0
	s_add_i32 s70, s2, 0x3e0
	;; [unrolled: 1-line block ×11, first 2 shown]
	scratch_load_dwordx4 v[66:69], off, s46
	scratch_load_dwordx4 v[70:73], off, s70
	;; [unrolled: 1-line block ×11, first 2 shown]
	v_add_u32_e32 v0, s2, v64
	s_addk_i32 s2, 0xb0
	s_cmp_lg_u32 s2, 0
	s_waitcnt vmcnt(10)
	ds_write2_b64 v0, v[66:67], v[68:69] offset0:88 offset1:89
	s_waitcnt vmcnt(9)
	ds_write2_b64 v0, v[70:71], v[72:73] offset0:90 offset1:91
	;; [unrolled: 2-line block ×11, first 2 shown]
	s_cbranch_scc1 .LBB121_207
; %bb.208:
	ds_read2_b64 v[64:67], v253 offset1:1
	s_waitcnt lgkmcnt(0)
	v_cmp_neq_f64_e32 vcc, 0, v[64:65]
	v_cmp_neq_f64_e64 s[2:3], 0, v[66:67]
	s_or_b64 s[2:3], vcc, s[2:3]
	s_and_b64 exec, exec, s[2:3]
	s_cbranch_execz .LBB121_214
; %bb.209:
	v_cmp_ngt_f64_e64 s[2:3], |v[64:65]|, |v[66:67]|
                                        ; implicit-def: $vgpr68_vgpr69
	s_and_saveexec_b64 s[70:71], s[2:3]
	s_xor_b64 s[2:3], exec, s[70:71]
                                        ; implicit-def: $vgpr70_vgpr71
	s_cbranch_execz .LBB121_211
; %bb.210:
	v_div_scale_f64 v[0:1], s[70:71], v[66:67], v[66:67], v[64:65]
	v_rcp_f64_e32 v[2:3], v[0:1]
	v_div_scale_f64 v[68:69], vcc, v[64:65], v[66:67], v[64:65]
	v_fma_f64 v[70:71], -v[0:1], v[2:3], 1.0
	v_fmac_f64_e32 v[2:3], v[2:3], v[70:71]
	v_fma_f64 v[70:71], -v[0:1], v[2:3], 1.0
	v_fmac_f64_e32 v[2:3], v[2:3], v[70:71]
	v_mul_f64 v[70:71], v[68:69], v[2:3]
	v_fma_f64 v[0:1], -v[0:1], v[70:71], v[68:69]
	v_div_fmas_f64 v[0:1], v[0:1], v[2:3], v[70:71]
	v_div_fixup_f64 v[0:1], v[0:1], v[66:67], v[64:65]
	v_fmac_f64_e32 v[66:67], v[64:65], v[0:1]
	v_div_scale_f64 v[2:3], s[70:71], v[66:67], v[66:67], 1.0
	v_rcp_f64_e32 v[64:65], v[2:3]
	s_nop 0
	v_fma_f64 v[68:69], -v[2:3], v[64:65], 1.0
	v_fmac_f64_e32 v[64:65], v[64:65], v[68:69]
	v_fma_f64 v[68:69], -v[2:3], v[64:65], 1.0
	v_fmac_f64_e32 v[64:65], v[64:65], v[68:69]
	v_div_scale_f64 v[68:69], vcc, 1.0, v[66:67], 1.0
	v_mul_f64 v[70:71], v[68:69], v[64:65]
	v_fma_f64 v[2:3], -v[2:3], v[70:71], v[68:69]
	s_nop 1
	v_div_fmas_f64 v[2:3], v[2:3], v[64:65], v[70:71]
	v_div_fixup_f64 v[70:71], v[2:3], v[66:67], 1.0
	v_mul_f64 v[68:69], v[0:1], v[70:71]
	v_xor_b32_e32 v71, 0x80000000, v71
                                        ; implicit-def: $vgpr64_vgpr65
.LBB121_211:
	s_andn2_saveexec_b64 s[2:3], s[2:3]
	s_cbranch_execz .LBB121_213
; %bb.212:
	v_div_scale_f64 v[0:1], s[70:71], v[64:65], v[64:65], v[66:67]
	v_rcp_f64_e32 v[2:3], v[0:1]
	v_div_scale_f64 v[68:69], vcc, v[66:67], v[64:65], v[66:67]
	v_fma_f64 v[70:71], -v[0:1], v[2:3], 1.0
	v_fmac_f64_e32 v[2:3], v[2:3], v[70:71]
	v_fma_f64 v[70:71], -v[0:1], v[2:3], 1.0
	v_fmac_f64_e32 v[2:3], v[2:3], v[70:71]
	v_mul_f64 v[70:71], v[68:69], v[2:3]
	v_fma_f64 v[0:1], -v[0:1], v[70:71], v[68:69]
	v_div_fmas_f64 v[0:1], v[0:1], v[2:3], v[70:71]
	v_div_fixup_f64 v[0:1], v[0:1], v[64:65], v[66:67]
	v_fmac_f64_e32 v[64:65], v[66:67], v[0:1]
	v_div_scale_f64 v[2:3], s[70:71], v[64:65], v[64:65], 1.0
	v_rcp_f64_e32 v[66:67], v[2:3]
	s_nop 0
	v_fma_f64 v[68:69], -v[2:3], v[66:67], 1.0
	v_fmac_f64_e32 v[66:67], v[66:67], v[68:69]
	v_fma_f64 v[68:69], -v[2:3], v[66:67], 1.0
	v_fmac_f64_e32 v[66:67], v[66:67], v[68:69]
	v_div_scale_f64 v[68:69], vcc, 1.0, v[64:65], 1.0
	v_mul_f64 v[70:71], v[68:69], v[66:67]
	v_fma_f64 v[2:3], -v[2:3], v[70:71], v[68:69]
	s_nop 1
	v_div_fmas_f64 v[2:3], v[2:3], v[66:67], v[70:71]
	v_div_fixup_f64 v[68:69], v[2:3], v[64:65], 1.0
	v_mul_f64 v[70:71], v[0:1], -v[68:69]
.LBB121_213:
	s_or_b64 exec, exec, s[2:3]
	ds_write2_b64 v253, v[68:69], v[70:71] offset1:1
.LBB121_214:
	s_or_b64 exec, exec, s[4:5]
	s_waitcnt lgkmcnt(0)
	s_barrier
	ds_read2_b64 v[64:67], v253 offset1:1
	v_cmp_lt_u32_e32 vcc, 16, v252
	s_and_saveexec_b64 s[2:3], vcc
	s_cbranch_execz .LBB121_217
; %bb.215:
	scratch_load_dwordx4 v[70:73], off, off offset:256
	v_add_u32_e32 v68, 0x110, v248
	s_movk_i32 s4, 0xfd40
	s_waitcnt vmcnt(0) lgkmcnt(0)
	v_mul_f64 v[0:1], v[66:67], v[72:73]
	v_mul_f64 v[74:75], v[64:65], v[72:73]
	v_fma_f64 v[72:73], v[64:65], v[70:71], -v[0:1]
	v_fmac_f64_e32 v[74:75], v[66:67], v[70:71]
	scratch_store_dwordx4 off, v[72:75], off offset:256
.LBB121_216:                            ; =>This Inner Loop Header: Depth=1
	scratch_load_dwordx4 v[70:73], off, off offset:256
	s_add_i32 s46, s4, 0x3d0
	scratch_load_dwordx4 v[74:77], off, s46
	v_add_u32_e32 v69, s4, v68
	ds_read2_b64 v[78:81], v69 offset0:88 offset1:89
	ds_read2_b64 v[82:85], v69 offset0:90 offset1:91
	s_add_i32 s70, s4, 0x3e0
	scratch_load_dwordx4 v[86:89], off, s70
	s_add_i32 s5, s4, 0x400
	s_waitcnt vmcnt(2) lgkmcnt(1)
	v_mul_f64 v[0:1], v[80:81], v[72:73]
	v_mul_f64 v[2:3], v[78:79], v[72:73]
	v_fma_f64 v[0:1], v[78:79], v[70:71], -v[0:1]
	v_fmac_f64_e32 v[2:3], v[80:81], v[70:71]
	s_waitcnt vmcnt(1)
	v_add_f64 v[70:71], v[74:75], -v[0:1]
	v_add_f64 v[72:73], v[76:77], -v[2:3]
	scratch_store_dwordx4 off, v[70:73], s46
	scratch_load_dwordx4 v[70:73], off, off offset:256
	s_add_i32 s46, s4, 0x3f0
	s_add_i32 s4, s4, 64
	s_cmp_lg_u32 s4, 0
	s_waitcnt vmcnt(0) lgkmcnt(0)
	v_mul_f64 v[0:1], v[84:85], v[72:73]
	v_mul_f64 v[2:3], v[82:83], v[72:73]
	v_fma_f64 v[0:1], v[82:83], v[70:71], -v[0:1]
	v_fmac_f64_e32 v[2:3], v[84:85], v[70:71]
	v_add_f64 v[70:71], v[86:87], -v[0:1]
	v_add_f64 v[72:73], v[88:89], -v[2:3]
	scratch_store_dwordx4 off, v[70:73], s70
	scratch_load_dwordx4 v[70:73], off, off offset:256
	s_nop 0
	scratch_load_dwordx4 v[74:77], off, s46
	ds_read2_b64 v[78:81], v69 offset0:92 offset1:93
	ds_read2_b64 v[82:85], v69 offset0:94 offset1:95
	scratch_load_dwordx4 v[86:89], off, s5
	s_waitcnt vmcnt(2) lgkmcnt(1)
	v_mul_f64 v[0:1], v[80:81], v[72:73]
	v_mul_f64 v[2:3], v[78:79], v[72:73]
	v_fma_f64 v[0:1], v[78:79], v[70:71], -v[0:1]
	v_fmac_f64_e32 v[2:3], v[80:81], v[70:71]
	s_waitcnt vmcnt(1)
	v_add_f64 v[70:71], v[74:75], -v[0:1]
	v_add_f64 v[72:73], v[76:77], -v[2:3]
	scratch_store_dwordx4 off, v[70:73], s46
	scratch_load_dwordx4 v[70:73], off, off offset:256
	s_waitcnt vmcnt(0) lgkmcnt(0)
	v_mul_f64 v[0:1], v[84:85], v[72:73]
	v_mul_f64 v[2:3], v[82:83], v[72:73]
	v_fma_f64 v[0:1], v[82:83], v[70:71], -v[0:1]
	v_fmac_f64_e32 v[2:3], v[84:85], v[70:71]
	v_add_f64 v[70:71], v[86:87], -v[0:1]
	v_add_f64 v[72:73], v[88:89], -v[2:3]
	scratch_store_dwordx4 off, v[70:73], s5
	s_cbranch_scc1 .LBB121_216
.LBB121_217:
	s_or_b64 exec, exec, s[2:3]
	v_cmp_eq_u32_e32 vcc, 17, v252
	s_waitcnt lgkmcnt(0)
	s_barrier
	s_and_saveexec_b64 s[4:5], vcc
	s_cbranch_execz .LBB121_228
; %bb.218:
	scratch_load_dwordx4 v[68:71], off, s53
	s_mov_b32 s46, 0
	s_waitcnt vmcnt(0)
	ds_write2_b64 v253, v[68:69], v[70:71] offset1:1
	v_add_u32_e32 v68, 0x120, v248
	s_branch .LBB121_220
.LBB121_219:                            ;   in Loop: Header=BB121_220 Depth=1
	s_andn2_b64 vcc, exec, s[2:3]
	s_cbranch_vccz .LBB121_222
.LBB121_220:                            ; =>This Inner Loop Header: Depth=1
	s_add_i32 s2, s46, 0x120
	s_add_i32 s3, s46, 0x130
	scratch_load_dwordx4 v[70:73], off, s2
	scratch_load_dwordx4 v[74:77], off, s3
	s_add_i32 s2, s46, 0x140
	scratch_load_dwordx4 v[78:81], off, s2
	s_mov_b32 s70, s46
	v_add_u32_e32 v69, s46, v68
	s_cmpk_eq_i32 s46, 0x280
	s_mov_b64 s[2:3], -1
	s_waitcnt vmcnt(2)
	ds_write2_b64 v69, v[70:71], v[72:73] offset1:1
	s_waitcnt vmcnt(1)
	ds_write2_b64 v69, v[74:75], v[76:77] offset0:2 offset1:3
	s_waitcnt vmcnt(0)
	ds_write2_b64 v69, v[78:79], v[80:81] offset0:4 offset1:5
	s_cbranch_scc1 .LBB121_219
; %bb.221:                              ;   in Loop: Header=BB121_220 Depth=1
	s_add_i32 s2, s70, 0x150
	s_add_i32 s3, s70, 0x160
	scratch_load_dwordx4 v[70:73], off, s2
	scratch_load_dwordx4 v[74:77], off, s3
	s_add_i32 s2, s70, 0x170
	s_add_i32 s3, s70, 0x180
	scratch_load_dwordx4 v[78:81], off, s2
	scratch_load_dwordx4 v[82:85], off, s3
	s_addk_i32 s70, 0x190
	scratch_load_dwordx4 v[86:89], off, s70
	s_addk_i32 s46, 0x80
	s_mov_b64 s[2:3], 0
	s_waitcnt vmcnt(4)
	ds_write2_b64 v69, v[70:71], v[72:73] offset0:6 offset1:7
	s_waitcnt vmcnt(3)
	ds_write2_b64 v69, v[74:75], v[76:77] offset0:8 offset1:9
	;; [unrolled: 2-line block ×5, first 2 shown]
	s_branch .LBB121_219
.LBB121_222:
	ds_read2_b64 v[68:71], v253 offset1:1
	s_waitcnt lgkmcnt(0)
	v_cmp_neq_f64_e32 vcc, 0, v[68:69]
	v_cmp_neq_f64_e64 s[2:3], 0, v[70:71]
	s_or_b64 s[2:3], vcc, s[2:3]
	s_and_b64 exec, exec, s[2:3]
	s_cbranch_execz .LBB121_228
; %bb.223:
	v_cmp_ngt_f64_e64 s[2:3], |v[68:69]|, |v[70:71]|
                                        ; implicit-def: $vgpr72_vgpr73
	s_and_saveexec_b64 s[70:71], s[2:3]
	s_xor_b64 s[2:3], exec, s[70:71]
                                        ; implicit-def: $vgpr74_vgpr75
	s_cbranch_execz .LBB121_225
; %bb.224:
	v_div_scale_f64 v[0:1], s[70:71], v[70:71], v[70:71], v[68:69]
	v_rcp_f64_e32 v[2:3], v[0:1]
	v_div_scale_f64 v[72:73], vcc, v[68:69], v[70:71], v[68:69]
	v_fma_f64 v[74:75], -v[0:1], v[2:3], 1.0
	v_fmac_f64_e32 v[2:3], v[2:3], v[74:75]
	v_fma_f64 v[74:75], -v[0:1], v[2:3], 1.0
	v_fmac_f64_e32 v[2:3], v[2:3], v[74:75]
	v_mul_f64 v[74:75], v[72:73], v[2:3]
	v_fma_f64 v[0:1], -v[0:1], v[74:75], v[72:73]
	v_div_fmas_f64 v[0:1], v[0:1], v[2:3], v[74:75]
	v_div_fixup_f64 v[0:1], v[0:1], v[70:71], v[68:69]
	v_fmac_f64_e32 v[70:71], v[68:69], v[0:1]
	v_div_scale_f64 v[2:3], s[70:71], v[70:71], v[70:71], 1.0
	v_rcp_f64_e32 v[68:69], v[2:3]
	s_nop 0
	v_fma_f64 v[72:73], -v[2:3], v[68:69], 1.0
	v_fmac_f64_e32 v[68:69], v[68:69], v[72:73]
	v_fma_f64 v[72:73], -v[2:3], v[68:69], 1.0
	v_fmac_f64_e32 v[68:69], v[68:69], v[72:73]
	v_div_scale_f64 v[72:73], vcc, 1.0, v[70:71], 1.0
	v_mul_f64 v[74:75], v[72:73], v[68:69]
	v_fma_f64 v[2:3], -v[2:3], v[74:75], v[72:73]
	s_nop 1
	v_div_fmas_f64 v[2:3], v[2:3], v[68:69], v[74:75]
	v_div_fixup_f64 v[74:75], v[2:3], v[70:71], 1.0
	v_mul_f64 v[72:73], v[0:1], v[74:75]
	v_xor_b32_e32 v75, 0x80000000, v75
                                        ; implicit-def: $vgpr68_vgpr69
.LBB121_225:
	s_andn2_saveexec_b64 s[2:3], s[2:3]
	s_cbranch_execz .LBB121_227
; %bb.226:
	v_div_scale_f64 v[0:1], s[70:71], v[68:69], v[68:69], v[70:71]
	v_rcp_f64_e32 v[2:3], v[0:1]
	v_div_scale_f64 v[72:73], vcc, v[70:71], v[68:69], v[70:71]
	v_fma_f64 v[74:75], -v[0:1], v[2:3], 1.0
	v_fmac_f64_e32 v[2:3], v[2:3], v[74:75]
	v_fma_f64 v[74:75], -v[0:1], v[2:3], 1.0
	v_fmac_f64_e32 v[2:3], v[2:3], v[74:75]
	v_mul_f64 v[74:75], v[72:73], v[2:3]
	v_fma_f64 v[0:1], -v[0:1], v[74:75], v[72:73]
	v_div_fmas_f64 v[0:1], v[0:1], v[2:3], v[74:75]
	v_div_fixup_f64 v[0:1], v[0:1], v[68:69], v[70:71]
	v_fmac_f64_e32 v[68:69], v[70:71], v[0:1]
	v_div_scale_f64 v[2:3], s[70:71], v[68:69], v[68:69], 1.0
	v_rcp_f64_e32 v[70:71], v[2:3]
	s_nop 0
	v_fma_f64 v[72:73], -v[2:3], v[70:71], 1.0
	v_fmac_f64_e32 v[70:71], v[70:71], v[72:73]
	v_fma_f64 v[72:73], -v[2:3], v[70:71], 1.0
	v_fmac_f64_e32 v[70:71], v[70:71], v[72:73]
	v_div_scale_f64 v[72:73], vcc, 1.0, v[68:69], 1.0
	v_mul_f64 v[74:75], v[72:73], v[70:71]
	v_fma_f64 v[2:3], -v[2:3], v[74:75], v[72:73]
	s_nop 1
	v_div_fmas_f64 v[2:3], v[2:3], v[70:71], v[74:75]
	v_div_fixup_f64 v[72:73], v[2:3], v[68:69], 1.0
	v_mul_f64 v[74:75], v[0:1], -v[72:73]
.LBB121_227:
	s_or_b64 exec, exec, s[2:3]
	ds_write2_b64 v253, v[72:73], v[74:75] offset1:1
.LBB121_228:
	s_or_b64 exec, exec, s[4:5]
	s_waitcnt lgkmcnt(0)
	s_barrier
	ds_read2_b64 v[68:71], v253 offset1:1
	v_cmp_lt_u32_e32 vcc, 17, v252
	s_and_saveexec_b64 s[2:3], vcc
	s_cbranch_execz .LBB121_233
; %bb.229:
	scratch_load_dwordx4 v[76:79], off, off offset:272
	s_mov_b32 s70, 0
	s_waitcnt vmcnt(0) lgkmcnt(0)
	v_mul_f64 v[0:1], v[70:71], v[78:79]
	v_mul_f64 v[74:75], v[68:69], v[78:79]
	v_fma_f64 v[72:73], v[68:69], v[76:77], -v[0:1]
	v_fmac_f64_e32 v[74:75], v[70:71], v[76:77]
	v_add_u32_e32 v76, 0x120, v248
	scratch_store_dwordx4 off, v[72:75], off offset:272
	s_branch .LBB121_231
.LBB121_230:                            ;   in Loop: Header=BB121_231 Depth=1
	s_andn2_b64 vcc, exec, s[4:5]
	s_cbranch_vccz .LBB121_233
.LBB121_231:                            ; =>This Inner Loop Header: Depth=1
	s_add_i32 s4, s70, 0x120
	scratch_load_dwordx4 v[78:81], off, s4
	s_add_i32 s5, s70, 0x130
	s_add_i32 s71, s70, 0x140
	scratch_load_dwordx4 v[82:85], off, s5
	scratch_load_dwordx4 v[86:89], off, s71
	v_add_u32_e32 v77, s70, v76
	ds_read2_b64 v[90:93], v77 offset1:1
	ds_read2_b64 v[94:97], v77 offset0:2 offset1:3
	ds_read2_b64 v[98:101], v77 offset0:4 offset1:5
	s_mov_b32 s46, s70
	s_cmpk_eq_i32 s70, 0x280
	s_waitcnt lgkmcnt(2)
	v_mul_f64 v[0:1], v[92:93], v[74:75]
	v_mul_f64 v[2:3], v[90:91], v[74:75]
	s_waitcnt lgkmcnt(1)
	v_mul_f64 v[102:103], v[96:97], v[74:75]
	v_mul_f64 v[104:105], v[94:95], v[74:75]
	s_waitcnt lgkmcnt(0)
	v_mul_f64 v[106:107], v[100:101], v[74:75]
	v_mul_f64 v[108:109], v[98:99], v[74:75]
	v_fma_f64 v[0:1], v[90:91], v[72:73], -v[0:1]
	v_fmac_f64_e32 v[2:3], v[92:93], v[72:73]
	v_fma_f64 v[90:91], v[94:95], v[72:73], -v[102:103]
	v_fmac_f64_e32 v[104:105], v[96:97], v[72:73]
	;; [unrolled: 2-line block ×3, first 2 shown]
	s_waitcnt vmcnt(2)
	v_add_f64 v[78:79], v[78:79], -v[0:1]
	v_add_f64 v[80:81], v[80:81], -v[2:3]
	s_waitcnt vmcnt(1)
	v_add_f64 v[82:83], v[82:83], -v[90:91]
	v_add_f64 v[84:85], v[84:85], -v[104:105]
	;; [unrolled: 3-line block ×3, first 2 shown]
	scratch_store_dwordx4 off, v[78:81], s4
	scratch_store_dwordx4 off, v[82:85], s5
	;; [unrolled: 1-line block ×3, first 2 shown]
	s_mov_b64 s[4:5], -1
	s_cbranch_scc1 .LBB121_230
; %bb.232:                              ;   in Loop: Header=BB121_231 Depth=1
	ds_read2_b64 v[78:81], v77 offset0:6 offset1:7
	s_add_i32 s4, s46, 0x150
	s_addk_i32 s70, 0x80
	s_waitcnt lgkmcnt(0)
	v_mul_f64 v[0:1], v[80:81], v[74:75]
	v_mul_f64 v[2:3], v[78:79], v[74:75]
	v_fma_f64 v[0:1], v[78:79], v[72:73], -v[0:1]
	v_fmac_f64_e32 v[2:3], v[80:81], v[72:73]
	scratch_load_dwordx4 v[78:81], off, s4
	s_waitcnt vmcnt(0)
	v_add_f64 v[78:79], v[78:79], -v[0:1]
	v_add_f64 v[80:81], v[80:81], -v[2:3]
	scratch_store_dwordx4 off, v[78:81], s4
	ds_read2_b64 v[78:81], v77 offset0:8 offset1:9
	s_add_i32 s4, s46, 0x160
	s_waitcnt lgkmcnt(0)
	v_mul_f64 v[0:1], v[80:81], v[74:75]
	v_mul_f64 v[2:3], v[78:79], v[74:75]
	v_fma_f64 v[0:1], v[78:79], v[72:73], -v[0:1]
	v_fmac_f64_e32 v[2:3], v[80:81], v[72:73]
	scratch_load_dwordx4 v[78:81], off, s4
	s_waitcnt vmcnt(0)
	v_add_f64 v[78:79], v[78:79], -v[0:1]
	v_add_f64 v[80:81], v[80:81], -v[2:3]
	scratch_store_dwordx4 off, v[78:81], s4
	ds_read2_b64 v[78:81], v77 offset0:10 offset1:11
	s_add_i32 s4, s46, 0x170
	;; [unrolled: 12-line block ×3, first 2 shown]
	s_addk_i32 s46, 0x190
	s_waitcnt lgkmcnt(0)
	v_mul_f64 v[0:1], v[80:81], v[74:75]
	v_mul_f64 v[2:3], v[78:79], v[74:75]
	v_fma_f64 v[0:1], v[78:79], v[72:73], -v[0:1]
	v_fmac_f64_e32 v[2:3], v[80:81], v[72:73]
	scratch_load_dwordx4 v[78:81], off, s4
	s_waitcnt vmcnt(0)
	v_add_f64 v[78:79], v[78:79], -v[0:1]
	v_add_f64 v[80:81], v[80:81], -v[2:3]
	scratch_store_dwordx4 off, v[78:81], s4
	ds_read2_b64 v[78:81], v77 offset0:14 offset1:15
	s_mov_b64 s[4:5], 0
	s_waitcnt lgkmcnt(0)
	v_mul_f64 v[0:1], v[80:81], v[74:75]
	v_mul_f64 v[2:3], v[78:79], v[74:75]
	v_fma_f64 v[0:1], v[78:79], v[72:73], -v[0:1]
	v_fmac_f64_e32 v[2:3], v[80:81], v[72:73]
	scratch_load_dwordx4 v[78:81], off, s46
	s_waitcnt vmcnt(0)
	v_add_f64 v[78:79], v[78:79], -v[0:1]
	v_add_f64 v[80:81], v[80:81], -v[2:3]
	scratch_store_dwordx4 off, v[78:81], s46
	s_branch .LBB121_230
.LBB121_233:
	s_or_b64 exec, exec, s[2:3]
	v_cmp_eq_u32_e32 vcc, 18, v252
	s_waitcnt lgkmcnt(0)
	s_barrier
	s_and_saveexec_b64 s[4:5], vcc
	s_cbranch_execz .LBB121_242
; %bb.234:
	scratch_load_dwordx4 v[74:77], off, s52
	v_add_u32_e32 v72, 0x130, v248
	s_movk_i32 s2, 0xfd60
	s_waitcnt vmcnt(0)
	ds_write2_b64 v253, v[74:75], v[76:77] offset1:1
.LBB121_235:                            ; =>This Inner Loop Header: Depth=1
	s_add_i32 s46, s2, 0x3d0
	scratch_load_dwordx4 v[74:77], off, s46
	v_add_u32_e32 v0, s2, v72
	s_add_i32 s46, s2, 0x3e0
	s_add_i32 s3, s2, 0x4a0
	s_waitcnt vmcnt(0)
	ds_write2_b64 v0, v[74:75], v[76:77] offset0:84 offset1:85
	scratch_load_dwordx4 v[74:77], off, s46
	s_add_i32 s46, s2, 0x3f0
	s_waitcnt vmcnt(0)
	ds_write2_b64 v0, v[74:75], v[76:77] offset0:86 offset1:87
	scratch_load_dwordx4 v[74:77], off, s46
	;; [unrolled: 4-line block ×11, first 2 shown]
	s_add_i32 s46, s2, 0x490
	s_addk_i32 s2, 0xe0
	s_cmp_lg_u32 s2, 0
	s_waitcnt vmcnt(0)
	ds_write2_b64 v0, v[74:75], v[76:77] offset0:106 offset1:107
	scratch_load_dwordx4 v[74:77], off, s46
	s_waitcnt vmcnt(0)
	ds_write2_b64 v0, v[74:75], v[76:77] offset0:108 offset1:109
	scratch_load_dwordx4 v[74:77], off, s3
	s_waitcnt vmcnt(0)
	ds_write2_b64 v0, v[74:75], v[76:77] offset0:110 offset1:111
	s_cbranch_scc1 .LBB121_235
; %bb.236:
	ds_read2_b64 v[72:75], v253 offset1:1
	s_waitcnt lgkmcnt(0)
	v_cmp_neq_f64_e32 vcc, 0, v[72:73]
	v_cmp_neq_f64_e64 s[2:3], 0, v[74:75]
	s_or_b64 s[2:3], vcc, s[2:3]
	s_and_b64 exec, exec, s[2:3]
	s_cbranch_execz .LBB121_242
; %bb.237:
	v_cmp_ngt_f64_e64 s[2:3], |v[72:73]|, |v[74:75]|
                                        ; implicit-def: $vgpr76_vgpr77
	s_and_saveexec_b64 s[70:71], s[2:3]
	s_xor_b64 s[2:3], exec, s[70:71]
                                        ; implicit-def: $vgpr78_vgpr79
	s_cbranch_execz .LBB121_239
; %bb.238:
	v_div_scale_f64 v[0:1], s[70:71], v[74:75], v[74:75], v[72:73]
	v_rcp_f64_e32 v[2:3], v[0:1]
	v_div_scale_f64 v[76:77], vcc, v[72:73], v[74:75], v[72:73]
	v_fma_f64 v[78:79], -v[0:1], v[2:3], 1.0
	v_fmac_f64_e32 v[2:3], v[2:3], v[78:79]
	v_fma_f64 v[78:79], -v[0:1], v[2:3], 1.0
	v_fmac_f64_e32 v[2:3], v[2:3], v[78:79]
	v_mul_f64 v[78:79], v[76:77], v[2:3]
	v_fma_f64 v[0:1], -v[0:1], v[78:79], v[76:77]
	v_div_fmas_f64 v[0:1], v[0:1], v[2:3], v[78:79]
	v_div_fixup_f64 v[0:1], v[0:1], v[74:75], v[72:73]
	v_fmac_f64_e32 v[74:75], v[72:73], v[0:1]
	v_div_scale_f64 v[2:3], s[70:71], v[74:75], v[74:75], 1.0
	v_rcp_f64_e32 v[72:73], v[2:3]
	s_nop 0
	v_fma_f64 v[76:77], -v[2:3], v[72:73], 1.0
	v_fmac_f64_e32 v[72:73], v[72:73], v[76:77]
	v_fma_f64 v[76:77], -v[2:3], v[72:73], 1.0
	v_fmac_f64_e32 v[72:73], v[72:73], v[76:77]
	v_div_scale_f64 v[76:77], vcc, 1.0, v[74:75], 1.0
	v_mul_f64 v[78:79], v[76:77], v[72:73]
	v_fma_f64 v[2:3], -v[2:3], v[78:79], v[76:77]
	s_nop 1
	v_div_fmas_f64 v[2:3], v[2:3], v[72:73], v[78:79]
	v_div_fixup_f64 v[78:79], v[2:3], v[74:75], 1.0
	v_mul_f64 v[76:77], v[0:1], v[78:79]
	v_xor_b32_e32 v79, 0x80000000, v79
                                        ; implicit-def: $vgpr72_vgpr73
.LBB121_239:
	s_andn2_saveexec_b64 s[2:3], s[2:3]
	s_cbranch_execz .LBB121_241
; %bb.240:
	v_div_scale_f64 v[0:1], s[70:71], v[72:73], v[72:73], v[74:75]
	v_rcp_f64_e32 v[2:3], v[0:1]
	v_div_scale_f64 v[76:77], vcc, v[74:75], v[72:73], v[74:75]
	v_fma_f64 v[78:79], -v[0:1], v[2:3], 1.0
	v_fmac_f64_e32 v[2:3], v[2:3], v[78:79]
	v_fma_f64 v[78:79], -v[0:1], v[2:3], 1.0
	v_fmac_f64_e32 v[2:3], v[2:3], v[78:79]
	v_mul_f64 v[78:79], v[76:77], v[2:3]
	v_fma_f64 v[0:1], -v[0:1], v[78:79], v[76:77]
	v_div_fmas_f64 v[0:1], v[0:1], v[2:3], v[78:79]
	v_div_fixup_f64 v[0:1], v[0:1], v[72:73], v[74:75]
	v_fmac_f64_e32 v[72:73], v[74:75], v[0:1]
	v_div_scale_f64 v[2:3], s[70:71], v[72:73], v[72:73], 1.0
	v_rcp_f64_e32 v[74:75], v[2:3]
	s_nop 0
	v_fma_f64 v[76:77], -v[2:3], v[74:75], 1.0
	v_fmac_f64_e32 v[74:75], v[74:75], v[76:77]
	v_fma_f64 v[76:77], -v[2:3], v[74:75], 1.0
	v_fmac_f64_e32 v[74:75], v[74:75], v[76:77]
	v_div_scale_f64 v[76:77], vcc, 1.0, v[72:73], 1.0
	v_mul_f64 v[78:79], v[76:77], v[74:75]
	v_fma_f64 v[2:3], -v[2:3], v[78:79], v[76:77]
	s_nop 1
	v_div_fmas_f64 v[2:3], v[2:3], v[74:75], v[78:79]
	v_div_fixup_f64 v[76:77], v[2:3], v[72:73], 1.0
	v_mul_f64 v[78:79], v[0:1], -v[76:77]
.LBB121_241:
	s_or_b64 exec, exec, s[2:3]
	ds_write2_b64 v253, v[76:77], v[78:79] offset1:1
.LBB121_242:
	s_or_b64 exec, exec, s[4:5]
	s_waitcnt lgkmcnt(0)
	s_barrier
	ds_read2_b64 v[72:75], v253 offset1:1
	v_cmp_lt_u32_e32 vcc, 18, v252
	s_and_saveexec_b64 s[2:3], vcc
	s_cbranch_execz .LBB121_245
; %bb.243:
	scratch_load_dwordx4 v[78:81], off, off offset:288
	v_add_u32_e32 v76, 0x130, v248
	s_movk_i32 s4, 0xfd60
	s_waitcnt vmcnt(0) lgkmcnt(0)
	v_mul_f64 v[0:1], v[74:75], v[80:81]
	v_mul_f64 v[82:83], v[72:73], v[80:81]
	v_fma_f64 v[80:81], v[72:73], v[78:79], -v[0:1]
	v_fmac_f64_e32 v[82:83], v[74:75], v[78:79]
	scratch_store_dwordx4 off, v[80:83], off offset:288
.LBB121_244:                            ; =>This Inner Loop Header: Depth=1
	scratch_load_dwordx4 v[78:81], off, off offset:288
	s_add_i32 s46, s4, 0x3d0
	scratch_load_dwordx4 v[82:85], off, s46
	v_add_u32_e32 v77, s4, v76
	ds_read2_b64 v[86:89], v77 offset0:84 offset1:85
	ds_read2_b64 v[90:93], v77 offset0:86 offset1:87
	s_add_i32 s70, s4, 0x3e0
	s_add_i32 s71, s4, 0x430
	scratch_load_dwordx4 v[94:97], off, s70
	scratch_load_dwordx4 v[98:101], off, s71
	s_add_i32 s5, s4, 0x420
	s_waitcnt vmcnt(3) lgkmcnt(1)
	v_mul_f64 v[0:1], v[88:89], v[80:81]
	v_mul_f64 v[2:3], v[86:87], v[80:81]
	v_fma_f64 v[0:1], v[86:87], v[78:79], -v[0:1]
	v_fmac_f64_e32 v[2:3], v[88:89], v[78:79]
	s_waitcnt vmcnt(2)
	v_add_f64 v[78:79], v[82:83], -v[0:1]
	v_add_f64 v[80:81], v[84:85], -v[2:3]
	scratch_store_dwordx4 off, v[78:81], s46
	scratch_load_dwordx4 v[78:81], off, off offset:288
	s_add_i32 s46, s4, 0x3f0
	s_waitcnt vmcnt(0) lgkmcnt(0)
	v_mul_f64 v[0:1], v[92:93], v[80:81]
	v_mul_f64 v[2:3], v[90:91], v[80:81]
	v_fma_f64 v[0:1], v[90:91], v[78:79], -v[0:1]
	v_fmac_f64_e32 v[2:3], v[92:93], v[78:79]
	v_add_f64 v[78:79], v[94:95], -v[0:1]
	v_add_f64 v[80:81], v[96:97], -v[2:3]
	scratch_store_dwordx4 off, v[78:81], s70
	scratch_load_dwordx4 v[78:81], off, off offset:288
	s_nop 0
	scratch_load_dwordx4 v[82:85], off, s46
	ds_read2_b64 v[86:89], v77 offset0:88 offset1:89
	ds_read2_b64 v[90:93], v77 offset0:90 offset1:91
	s_add_i32 s70, s4, 0x400
	scratch_load_dwordx4 v[94:97], off, s70
	s_waitcnt vmcnt(2) lgkmcnt(1)
	v_mul_f64 v[0:1], v[88:89], v[80:81]
	v_mul_f64 v[2:3], v[86:87], v[80:81]
	v_fma_f64 v[0:1], v[86:87], v[78:79], -v[0:1]
	v_fmac_f64_e32 v[2:3], v[88:89], v[78:79]
	s_waitcnt vmcnt(1)
	v_add_f64 v[78:79], v[82:83], -v[0:1]
	v_add_f64 v[80:81], v[84:85], -v[2:3]
	scratch_store_dwordx4 off, v[78:81], s46
	scratch_load_dwordx4 v[78:81], off, off offset:288
	s_add_i32 s46, s4, 0x410
	s_addk_i32 s4, 0x70
	s_cmp_lg_u32 s4, 0
	s_waitcnt vmcnt(0) lgkmcnt(0)
	v_mul_f64 v[0:1], v[92:93], v[80:81]
	v_mul_f64 v[2:3], v[90:91], v[80:81]
	v_fma_f64 v[0:1], v[90:91], v[78:79], -v[0:1]
	v_fmac_f64_e32 v[2:3], v[92:93], v[78:79]
	v_add_f64 v[78:79], v[94:95], -v[0:1]
	v_add_f64 v[80:81], v[96:97], -v[2:3]
	scratch_store_dwordx4 off, v[78:81], s70
	scratch_load_dwordx4 v[78:81], off, off offset:288
	s_nop 0
	scratch_load_dwordx4 v[82:85], off, s46
	ds_read2_b64 v[86:89], v77 offset0:92 offset1:93
	ds_read2_b64 v[90:93], v77 offset0:94 offset1:95
	scratch_load_dwordx4 v[94:97], off, s5
	s_waitcnt vmcnt(2) lgkmcnt(1)
	v_mul_f64 v[0:1], v[88:89], v[80:81]
	v_mul_f64 v[2:3], v[86:87], v[80:81]
	v_fma_f64 v[0:1], v[86:87], v[78:79], -v[0:1]
	v_fmac_f64_e32 v[2:3], v[88:89], v[78:79]
	s_waitcnt vmcnt(1)
	v_add_f64 v[78:79], v[82:83], -v[0:1]
	v_add_f64 v[80:81], v[84:85], -v[2:3]
	scratch_store_dwordx4 off, v[78:81], s46
	scratch_load_dwordx4 v[78:81], off, off offset:288
	ds_read2_b64 v[82:85], v77 offset0:96 offset1:97
	s_waitcnt vmcnt(0) lgkmcnt(1)
	v_mul_f64 v[0:1], v[92:93], v[80:81]
	v_mul_f64 v[2:3], v[90:91], v[80:81]
	v_fma_f64 v[0:1], v[90:91], v[78:79], -v[0:1]
	v_fmac_f64_e32 v[2:3], v[92:93], v[78:79]
	v_add_f64 v[78:79], v[94:95], -v[0:1]
	v_add_f64 v[80:81], v[96:97], -v[2:3]
	scratch_store_dwordx4 off, v[78:81], s5
	scratch_load_dwordx4 v[78:81], off, off offset:288
	s_waitcnt vmcnt(0) lgkmcnt(0)
	v_mul_f64 v[0:1], v[84:85], v[80:81]
	v_mul_f64 v[2:3], v[82:83], v[80:81]
	v_fma_f64 v[0:1], v[82:83], v[78:79], -v[0:1]
	v_fmac_f64_e32 v[2:3], v[84:85], v[78:79]
	v_add_f64 v[78:79], v[98:99], -v[0:1]
	v_add_f64 v[80:81], v[100:101], -v[2:3]
	scratch_store_dwordx4 off, v[78:81], s71
	s_cbranch_scc1 .LBB121_244
.LBB121_245:
	s_or_b64 exec, exec, s[2:3]
	v_cmp_eq_u32_e32 vcc, 19, v252
	s_waitcnt lgkmcnt(0)
	s_barrier
	s_and_saveexec_b64 s[4:5], vcc
	s_cbranch_execz .LBB121_256
; %bb.246:
	scratch_load_dwordx4 v[76:79], off, s51
	s_mov_b32 s46, 0
	s_waitcnt vmcnt(0)
	ds_write2_b64 v253, v[76:77], v[78:79] offset1:1
	v_add_u32_e32 v76, 0x140, v248
	s_branch .LBB121_248
.LBB121_247:                            ;   in Loop: Header=BB121_248 Depth=1
	s_andn2_b64 vcc, exec, s[2:3]
	s_cbranch_vccz .LBB121_250
.LBB121_248:                            ; =>This Inner Loop Header: Depth=1
	s_add_i32 s2, s46, 0x140
	scratch_load_dwordx4 v[78:81], off, s2
	s_mov_b32 s70, s46
	v_add_u32_e32 v77, s46, v76
	s_cmpk_eq_i32 s46, 0x280
	s_mov_b64 s[2:3], -1
	s_waitcnt vmcnt(0)
	ds_write2_b64 v77, v[78:79], v[80:81] offset1:1
	s_cbranch_scc1 .LBB121_247
; %bb.249:                              ;   in Loop: Header=BB121_248 Depth=1
	s_add_i32 s2, s70, 0x150
	s_add_i32 s3, s70, 0x160
	scratch_load_dwordx4 v[78:81], off, s2
	scratch_load_dwordx4 v[82:85], off, s3
	s_add_i32 s2, s70, 0x170
	s_add_i32 s3, s70, 0x180
	scratch_load_dwordx4 v[86:89], off, s2
	scratch_load_dwordx4 v[90:93], off, s3
	;; [unrolled: 4-line block ×3, first 2 shown]
	s_addk_i32 s70, 0x1b0
	scratch_load_dwordx4 v[102:105], off, s70
	s_addk_i32 s46, 0x80
	s_mov_b64 s[2:3], 0
	s_waitcnt vmcnt(6)
	ds_write2_b64 v77, v[78:79], v[80:81] offset0:2 offset1:3
	s_waitcnt vmcnt(5)
	ds_write2_b64 v77, v[82:83], v[84:85] offset0:4 offset1:5
	;; [unrolled: 2-line block ×7, first 2 shown]
	s_branch .LBB121_247
.LBB121_250:
	ds_read2_b64 v[76:79], v253 offset1:1
	s_waitcnt lgkmcnt(0)
	v_cmp_neq_f64_e32 vcc, 0, v[76:77]
	v_cmp_neq_f64_e64 s[2:3], 0, v[78:79]
	s_or_b64 s[2:3], vcc, s[2:3]
	s_and_b64 exec, exec, s[2:3]
	s_cbranch_execz .LBB121_256
; %bb.251:
	v_cmp_ngt_f64_e64 s[2:3], |v[76:77]|, |v[78:79]|
                                        ; implicit-def: $vgpr80_vgpr81
	s_and_saveexec_b64 s[70:71], s[2:3]
	s_xor_b64 s[2:3], exec, s[70:71]
                                        ; implicit-def: $vgpr82_vgpr83
	s_cbranch_execz .LBB121_253
; %bb.252:
	v_div_scale_f64 v[0:1], s[70:71], v[78:79], v[78:79], v[76:77]
	v_rcp_f64_e32 v[2:3], v[0:1]
	v_div_scale_f64 v[80:81], vcc, v[76:77], v[78:79], v[76:77]
	v_fma_f64 v[82:83], -v[0:1], v[2:3], 1.0
	v_fmac_f64_e32 v[2:3], v[2:3], v[82:83]
	v_fma_f64 v[82:83], -v[0:1], v[2:3], 1.0
	v_fmac_f64_e32 v[2:3], v[2:3], v[82:83]
	v_mul_f64 v[82:83], v[80:81], v[2:3]
	v_fma_f64 v[0:1], -v[0:1], v[82:83], v[80:81]
	v_div_fmas_f64 v[0:1], v[0:1], v[2:3], v[82:83]
	v_div_fixup_f64 v[0:1], v[0:1], v[78:79], v[76:77]
	v_fmac_f64_e32 v[78:79], v[76:77], v[0:1]
	v_div_scale_f64 v[2:3], s[70:71], v[78:79], v[78:79], 1.0
	v_rcp_f64_e32 v[76:77], v[2:3]
	s_nop 0
	v_fma_f64 v[80:81], -v[2:3], v[76:77], 1.0
	v_fmac_f64_e32 v[76:77], v[76:77], v[80:81]
	v_fma_f64 v[80:81], -v[2:3], v[76:77], 1.0
	v_fmac_f64_e32 v[76:77], v[76:77], v[80:81]
	v_div_scale_f64 v[80:81], vcc, 1.0, v[78:79], 1.0
	v_mul_f64 v[82:83], v[80:81], v[76:77]
	v_fma_f64 v[2:3], -v[2:3], v[82:83], v[80:81]
	s_nop 1
	v_div_fmas_f64 v[2:3], v[2:3], v[76:77], v[82:83]
	v_div_fixup_f64 v[82:83], v[2:3], v[78:79], 1.0
	v_mul_f64 v[80:81], v[0:1], v[82:83]
	v_xor_b32_e32 v83, 0x80000000, v83
                                        ; implicit-def: $vgpr76_vgpr77
.LBB121_253:
	s_andn2_saveexec_b64 s[2:3], s[2:3]
	s_cbranch_execz .LBB121_255
; %bb.254:
	v_div_scale_f64 v[0:1], s[70:71], v[76:77], v[76:77], v[78:79]
	v_rcp_f64_e32 v[2:3], v[0:1]
	v_div_scale_f64 v[80:81], vcc, v[78:79], v[76:77], v[78:79]
	v_fma_f64 v[82:83], -v[0:1], v[2:3], 1.0
	v_fmac_f64_e32 v[2:3], v[2:3], v[82:83]
	v_fma_f64 v[82:83], -v[0:1], v[2:3], 1.0
	v_fmac_f64_e32 v[2:3], v[2:3], v[82:83]
	v_mul_f64 v[82:83], v[80:81], v[2:3]
	v_fma_f64 v[0:1], -v[0:1], v[82:83], v[80:81]
	v_div_fmas_f64 v[0:1], v[0:1], v[2:3], v[82:83]
	v_div_fixup_f64 v[0:1], v[0:1], v[76:77], v[78:79]
	v_fmac_f64_e32 v[76:77], v[78:79], v[0:1]
	v_div_scale_f64 v[2:3], s[70:71], v[76:77], v[76:77], 1.0
	v_rcp_f64_e32 v[78:79], v[2:3]
	s_nop 0
	v_fma_f64 v[80:81], -v[2:3], v[78:79], 1.0
	v_fmac_f64_e32 v[78:79], v[78:79], v[80:81]
	v_fma_f64 v[80:81], -v[2:3], v[78:79], 1.0
	v_fmac_f64_e32 v[78:79], v[78:79], v[80:81]
	v_div_scale_f64 v[80:81], vcc, 1.0, v[76:77], 1.0
	v_mul_f64 v[82:83], v[80:81], v[78:79]
	v_fma_f64 v[2:3], -v[2:3], v[82:83], v[80:81]
	s_nop 1
	v_div_fmas_f64 v[2:3], v[2:3], v[78:79], v[82:83]
	v_div_fixup_f64 v[80:81], v[2:3], v[76:77], 1.0
	v_mul_f64 v[82:83], v[0:1], -v[80:81]
.LBB121_255:
	s_or_b64 exec, exec, s[2:3]
	ds_write2_b64 v253, v[80:81], v[82:83] offset1:1
.LBB121_256:
	s_or_b64 exec, exec, s[4:5]
	s_waitcnt lgkmcnt(0)
	s_barrier
	ds_read2_b64 v[76:79], v253 offset1:1
	v_cmp_lt_u32_e32 vcc, 19, v252
	s_and_saveexec_b64 s[2:3], vcc
	s_cbranch_execz .LBB121_261
; %bb.257:
	scratch_load_dwordx4 v[84:87], off, off offset:304
	s_mov_b32 s70, 0
	s_waitcnt vmcnt(0) lgkmcnt(0)
	v_mul_f64 v[0:1], v[78:79], v[86:87]
	v_mul_f64 v[82:83], v[76:77], v[86:87]
	v_fma_f64 v[80:81], v[76:77], v[84:85], -v[0:1]
	v_fmac_f64_e32 v[82:83], v[78:79], v[84:85]
	v_add_u32_e32 v84, 0x140, v248
	scratch_store_dwordx4 off, v[80:83], off offset:304
	s_branch .LBB121_259
.LBB121_258:                            ;   in Loop: Header=BB121_259 Depth=1
	s_andn2_b64 vcc, exec, s[4:5]
	s_cbranch_vccz .LBB121_261
.LBB121_259:                            ; =>This Inner Loop Header: Depth=1
	s_add_i32 s4, s70, 0x140
	scratch_load_dwordx4 v[86:89], off, s4
	v_add_u32_e32 v85, s70, v84
	ds_read2_b64 v[90:93], v85 offset1:1
	s_mov_b32 s71, s70
	s_cmpk_eq_i32 s70, 0x280
	s_waitcnt lgkmcnt(0)
	v_mul_f64 v[0:1], v[92:93], v[82:83]
	v_mul_f64 v[2:3], v[90:91], v[82:83]
	v_fma_f64 v[0:1], v[90:91], v[80:81], -v[0:1]
	v_fmac_f64_e32 v[2:3], v[92:93], v[80:81]
	s_waitcnt vmcnt(0)
	v_add_f64 v[86:87], v[86:87], -v[0:1]
	v_add_f64 v[88:89], v[88:89], -v[2:3]
	scratch_store_dwordx4 off, v[86:89], s4
	s_mov_b64 s[4:5], -1
	s_cbranch_scc1 .LBB121_258
; %bb.260:                              ;   in Loop: Header=BB121_259 Depth=1
	ds_read2_b64 v[86:89], v85 offset0:2 offset1:3
	s_add_i32 s4, s71, 0x150
	s_addk_i32 s70, 0x80
	s_waitcnt lgkmcnt(0)
	v_mul_f64 v[0:1], v[88:89], v[82:83]
	v_mul_f64 v[2:3], v[86:87], v[82:83]
	v_fma_f64 v[0:1], v[86:87], v[80:81], -v[0:1]
	v_fmac_f64_e32 v[2:3], v[88:89], v[80:81]
	scratch_load_dwordx4 v[86:89], off, s4
	s_waitcnt vmcnt(0)
	v_add_f64 v[86:87], v[86:87], -v[0:1]
	v_add_f64 v[88:89], v[88:89], -v[2:3]
	scratch_store_dwordx4 off, v[86:89], s4
	ds_read2_b64 v[86:89], v85 offset0:4 offset1:5
	s_add_i32 s4, s71, 0x160
	s_waitcnt lgkmcnt(0)
	v_mul_f64 v[0:1], v[88:89], v[82:83]
	v_mul_f64 v[2:3], v[86:87], v[82:83]
	v_fma_f64 v[0:1], v[86:87], v[80:81], -v[0:1]
	v_fmac_f64_e32 v[2:3], v[88:89], v[80:81]
	scratch_load_dwordx4 v[86:89], off, s4
	s_waitcnt vmcnt(0)
	v_add_f64 v[86:87], v[86:87], -v[0:1]
	v_add_f64 v[88:89], v[88:89], -v[2:3]
	scratch_store_dwordx4 off, v[86:89], s4
	ds_read2_b64 v[86:89], v85 offset0:6 offset1:7
	s_add_i32 s4, s71, 0x170
	s_waitcnt lgkmcnt(0)
	v_mul_f64 v[0:1], v[88:89], v[82:83]
	v_mul_f64 v[2:3], v[86:87], v[82:83]
	v_fma_f64 v[0:1], v[86:87], v[80:81], -v[0:1]
	v_fmac_f64_e32 v[2:3], v[88:89], v[80:81]
	scratch_load_dwordx4 v[86:89], off, s4
	s_waitcnt vmcnt(0)
	v_add_f64 v[86:87], v[86:87], -v[0:1]
	v_add_f64 v[88:89], v[88:89], -v[2:3]
	scratch_store_dwordx4 off, v[86:89], s4
	ds_read2_b64 v[86:89], v85 offset0:8 offset1:9
	s_add_i32 s4, s71, 0x180
	s_waitcnt lgkmcnt(0)
	v_mul_f64 v[0:1], v[88:89], v[82:83]
	v_mul_f64 v[2:3], v[86:87], v[82:83]
	v_fma_f64 v[0:1], v[86:87], v[80:81], -v[0:1]
	v_fmac_f64_e32 v[2:3], v[88:89], v[80:81]
	scratch_load_dwordx4 v[86:89], off, s4
	s_waitcnt vmcnt(0)
	v_add_f64 v[86:87], v[86:87], -v[0:1]
	v_add_f64 v[88:89], v[88:89], -v[2:3]
	scratch_store_dwordx4 off, v[86:89], s4
	ds_read2_b64 v[86:89], v85 offset0:10 offset1:11
	s_add_i32 s4, s71, 0x190
	s_waitcnt lgkmcnt(0)
	v_mul_f64 v[0:1], v[88:89], v[82:83]
	v_mul_f64 v[2:3], v[86:87], v[82:83]
	v_fma_f64 v[0:1], v[86:87], v[80:81], -v[0:1]
	v_fmac_f64_e32 v[2:3], v[88:89], v[80:81]
	scratch_load_dwordx4 v[86:89], off, s4
	s_waitcnt vmcnt(0)
	v_add_f64 v[86:87], v[86:87], -v[0:1]
	v_add_f64 v[88:89], v[88:89], -v[2:3]
	scratch_store_dwordx4 off, v[86:89], s4
	ds_read2_b64 v[86:89], v85 offset0:12 offset1:13
	s_add_i32 s4, s71, 0x1a0
	s_addk_i32 s71, 0x1b0
	s_waitcnt lgkmcnt(0)
	v_mul_f64 v[0:1], v[88:89], v[82:83]
	v_mul_f64 v[2:3], v[86:87], v[82:83]
	v_fma_f64 v[0:1], v[86:87], v[80:81], -v[0:1]
	v_fmac_f64_e32 v[2:3], v[88:89], v[80:81]
	scratch_load_dwordx4 v[80:83], off, s4
	ds_read2_b64 v[86:89], v85 offset0:14 offset1:15
	s_waitcnt vmcnt(0)
	v_add_f64 v[80:81], v[80:81], -v[0:1]
	v_add_f64 v[82:83], v[82:83], -v[2:3]
	scratch_store_dwordx4 off, v[80:83], s4
	scratch_load_dwordx4 v[80:83], off, off offset:304
	s_mov_b64 s[4:5], 0
	s_waitcnt vmcnt(0) lgkmcnt(0)
	v_mul_f64 v[0:1], v[88:89], v[82:83]
	v_mul_f64 v[2:3], v[86:87], v[82:83]
	v_fma_f64 v[0:1], v[86:87], v[80:81], -v[0:1]
	v_fmac_f64_e32 v[2:3], v[88:89], v[80:81]
	scratch_load_dwordx4 v[86:89], off, s71
	s_waitcnt vmcnt(0)
	v_add_f64 v[86:87], v[86:87], -v[0:1]
	v_add_f64 v[88:89], v[88:89], -v[2:3]
	scratch_store_dwordx4 off, v[86:89], s71
	s_branch .LBB121_258
.LBB121_261:
	s_or_b64 exec, exec, s[2:3]
	v_cmp_eq_u32_e32 vcc, 20, v252
	s_waitcnt lgkmcnt(0)
	s_barrier
	s_and_saveexec_b64 s[4:5], vcc
	s_cbranch_execz .LBB121_270
; %bb.262:
	scratch_load_dwordx4 v[82:85], off, s50
	v_add_u32_e32 v80, 0x150, v248
	s_movk_i32 s2, 0xfd80
	s_waitcnt vmcnt(0)
	ds_write2_b64 v253, v[82:83], v[84:85] offset1:1
.LBB121_263:                            ; =>This Inner Loop Header: Depth=1
	s_add_i32 s46, s2, 0x3d0
	s_add_i32 s70, s2, 0x3e0
	;; [unrolled: 1-line block ×10, first 2 shown]
	scratch_load_dwordx4 v[82:85], off, s46
	scratch_load_dwordx4 v[86:89], off, s70
	;; [unrolled: 1-line block ×10, first 2 shown]
	v_add_u32_e32 v0, s2, v80
	s_addk_i32 s2, 0xa0
	s_cmp_lg_u32 s2, 0
	s_waitcnt vmcnt(9)
	ds_write2_b64 v0, v[82:83], v[84:85] offset0:80 offset1:81
	s_waitcnt vmcnt(8)
	ds_write2_b64 v0, v[86:87], v[88:89] offset0:82 offset1:83
	;; [unrolled: 2-line block ×10, first 2 shown]
	s_cbranch_scc1 .LBB121_263
; %bb.264:
	ds_read2_b64 v[80:83], v253 offset1:1
	s_waitcnt lgkmcnt(0)
	v_cmp_neq_f64_e32 vcc, 0, v[80:81]
	v_cmp_neq_f64_e64 s[2:3], 0, v[82:83]
	s_or_b64 s[2:3], vcc, s[2:3]
	s_and_b64 exec, exec, s[2:3]
	s_cbranch_execz .LBB121_270
; %bb.265:
	v_cmp_ngt_f64_e64 s[2:3], |v[80:81]|, |v[82:83]|
                                        ; implicit-def: $vgpr84_vgpr85
	s_and_saveexec_b64 s[70:71], s[2:3]
	s_xor_b64 s[2:3], exec, s[70:71]
                                        ; implicit-def: $vgpr86_vgpr87
	s_cbranch_execz .LBB121_267
; %bb.266:
	v_div_scale_f64 v[0:1], s[70:71], v[82:83], v[82:83], v[80:81]
	v_rcp_f64_e32 v[2:3], v[0:1]
	v_div_scale_f64 v[84:85], vcc, v[80:81], v[82:83], v[80:81]
	v_fma_f64 v[86:87], -v[0:1], v[2:3], 1.0
	v_fmac_f64_e32 v[2:3], v[2:3], v[86:87]
	v_fma_f64 v[86:87], -v[0:1], v[2:3], 1.0
	v_fmac_f64_e32 v[2:3], v[2:3], v[86:87]
	v_mul_f64 v[86:87], v[84:85], v[2:3]
	v_fma_f64 v[0:1], -v[0:1], v[86:87], v[84:85]
	v_div_fmas_f64 v[0:1], v[0:1], v[2:3], v[86:87]
	v_div_fixup_f64 v[0:1], v[0:1], v[82:83], v[80:81]
	v_fmac_f64_e32 v[82:83], v[80:81], v[0:1]
	v_div_scale_f64 v[2:3], s[70:71], v[82:83], v[82:83], 1.0
	v_rcp_f64_e32 v[80:81], v[2:3]
	s_nop 0
	v_fma_f64 v[84:85], -v[2:3], v[80:81], 1.0
	v_fmac_f64_e32 v[80:81], v[80:81], v[84:85]
	v_fma_f64 v[84:85], -v[2:3], v[80:81], 1.0
	v_fmac_f64_e32 v[80:81], v[80:81], v[84:85]
	v_div_scale_f64 v[84:85], vcc, 1.0, v[82:83], 1.0
	v_mul_f64 v[86:87], v[84:85], v[80:81]
	v_fma_f64 v[2:3], -v[2:3], v[86:87], v[84:85]
	s_nop 1
	v_div_fmas_f64 v[2:3], v[2:3], v[80:81], v[86:87]
	v_div_fixup_f64 v[86:87], v[2:3], v[82:83], 1.0
	v_mul_f64 v[84:85], v[0:1], v[86:87]
	v_xor_b32_e32 v87, 0x80000000, v87
                                        ; implicit-def: $vgpr80_vgpr81
.LBB121_267:
	s_andn2_saveexec_b64 s[2:3], s[2:3]
	s_cbranch_execz .LBB121_269
; %bb.268:
	v_div_scale_f64 v[0:1], s[70:71], v[80:81], v[80:81], v[82:83]
	v_rcp_f64_e32 v[2:3], v[0:1]
	v_div_scale_f64 v[84:85], vcc, v[82:83], v[80:81], v[82:83]
	v_fma_f64 v[86:87], -v[0:1], v[2:3], 1.0
	v_fmac_f64_e32 v[2:3], v[2:3], v[86:87]
	v_fma_f64 v[86:87], -v[0:1], v[2:3], 1.0
	v_fmac_f64_e32 v[2:3], v[2:3], v[86:87]
	v_mul_f64 v[86:87], v[84:85], v[2:3]
	v_fma_f64 v[0:1], -v[0:1], v[86:87], v[84:85]
	v_div_fmas_f64 v[0:1], v[0:1], v[2:3], v[86:87]
	v_div_fixup_f64 v[0:1], v[0:1], v[80:81], v[82:83]
	v_fmac_f64_e32 v[80:81], v[82:83], v[0:1]
	v_div_scale_f64 v[2:3], s[70:71], v[80:81], v[80:81], 1.0
	v_rcp_f64_e32 v[82:83], v[2:3]
	s_nop 0
	v_fma_f64 v[84:85], -v[2:3], v[82:83], 1.0
	v_fmac_f64_e32 v[82:83], v[82:83], v[84:85]
	v_fma_f64 v[84:85], -v[2:3], v[82:83], 1.0
	v_fmac_f64_e32 v[82:83], v[82:83], v[84:85]
	v_div_scale_f64 v[84:85], vcc, 1.0, v[80:81], 1.0
	v_mul_f64 v[86:87], v[84:85], v[82:83]
	v_fma_f64 v[2:3], -v[2:3], v[86:87], v[84:85]
	s_nop 1
	v_div_fmas_f64 v[2:3], v[2:3], v[82:83], v[86:87]
	v_div_fixup_f64 v[84:85], v[2:3], v[80:81], 1.0
	v_mul_f64 v[86:87], v[0:1], -v[84:85]
.LBB121_269:
	s_or_b64 exec, exec, s[2:3]
	ds_write2_b64 v253, v[84:85], v[86:87] offset1:1
.LBB121_270:
	s_or_b64 exec, exec, s[4:5]
	s_waitcnt lgkmcnt(0)
	s_barrier
	ds_read2_b64 v[80:83], v253 offset1:1
	v_cmp_lt_u32_e32 vcc, 20, v252
	s_and_saveexec_b64 s[2:3], vcc
	s_cbranch_execz .LBB121_273
; %bb.271:
	scratch_load_dwordx4 v[86:89], off, off offset:320
	v_add_u32_e32 v84, 0x150, v248
	s_movk_i32 s4, 0xfd80
	s_waitcnt vmcnt(0) lgkmcnt(0)
	v_mul_f64 v[0:1], v[82:83], v[88:89]
	v_mul_f64 v[90:91], v[80:81], v[88:89]
	v_fma_f64 v[88:89], v[80:81], v[86:87], -v[0:1]
	v_fmac_f64_e32 v[90:91], v[82:83], v[86:87]
	scratch_store_dwordx4 off, v[88:91], off offset:320
.LBB121_272:                            ; =>This Inner Loop Header: Depth=1
	scratch_load_dwordx4 v[86:89], off, off offset:320
	s_add_i32 s46, s4, 0x3d0
	scratch_load_dwordx4 v[90:93], off, s46
	v_add_u32_e32 v85, s4, v84
	ds_read2_b64 v[94:97], v85 offset0:80 offset1:81
	ds_read2_b64 v[98:101], v85 offset0:82 offset1:83
	s_add_i32 s70, s4, 0x3e0
	scratch_load_dwordx4 v[102:105], off, s70
	s_add_i32 s5, s4, 0x440
	s_waitcnt vmcnt(2) lgkmcnt(1)
	v_mul_f64 v[0:1], v[96:97], v[88:89]
	v_mul_f64 v[2:3], v[94:95], v[88:89]
	v_fma_f64 v[0:1], v[94:95], v[86:87], -v[0:1]
	v_fmac_f64_e32 v[2:3], v[96:97], v[86:87]
	s_waitcnt vmcnt(1)
	v_add_f64 v[86:87], v[90:91], -v[0:1]
	v_add_f64 v[88:89], v[92:93], -v[2:3]
	scratch_store_dwordx4 off, v[86:89], s46
	scratch_load_dwordx4 v[86:89], off, off offset:320
	s_add_i32 s46, s4, 0x3f0
	s_waitcnt vmcnt(0) lgkmcnt(0)
	v_mul_f64 v[0:1], v[100:101], v[88:89]
	v_mul_f64 v[2:3], v[98:99], v[88:89]
	v_fma_f64 v[0:1], v[98:99], v[86:87], -v[0:1]
	v_fmac_f64_e32 v[2:3], v[100:101], v[86:87]
	v_add_f64 v[86:87], v[102:103], -v[0:1]
	v_add_f64 v[88:89], v[104:105], -v[2:3]
	scratch_store_dwordx4 off, v[86:89], s70
	scratch_load_dwordx4 v[86:89], off, off offset:320
	s_nop 0
	scratch_load_dwordx4 v[90:93], off, s46
	ds_read2_b64 v[94:97], v85 offset0:84 offset1:85
	ds_read2_b64 v[98:101], v85 offset0:86 offset1:87
	s_add_i32 s70, s4, 0x400
	scratch_load_dwordx4 v[102:105], off, s70
	s_waitcnt vmcnt(2) lgkmcnt(1)
	v_mul_f64 v[0:1], v[96:97], v[88:89]
	v_mul_f64 v[2:3], v[94:95], v[88:89]
	v_fma_f64 v[0:1], v[94:95], v[86:87], -v[0:1]
	v_fmac_f64_e32 v[2:3], v[96:97], v[86:87]
	s_waitcnt vmcnt(1)
	v_add_f64 v[86:87], v[90:91], -v[0:1]
	v_add_f64 v[88:89], v[92:93], -v[2:3]
	scratch_store_dwordx4 off, v[86:89], s46
	scratch_load_dwordx4 v[86:89], off, off offset:320
	s_add_i32 s46, s4, 0x410
	s_waitcnt vmcnt(0) lgkmcnt(0)
	v_mul_f64 v[0:1], v[100:101], v[88:89]
	v_mul_f64 v[2:3], v[98:99], v[88:89]
	v_fma_f64 v[0:1], v[98:99], v[86:87], -v[0:1]
	v_fmac_f64_e32 v[2:3], v[100:101], v[86:87]
	v_add_f64 v[86:87], v[102:103], -v[0:1]
	v_add_f64 v[88:89], v[104:105], -v[2:3]
	scratch_store_dwordx4 off, v[86:89], s70
	scratch_load_dwordx4 v[86:89], off, off offset:320
	s_nop 0
	scratch_load_dwordx4 v[90:93], off, s46
	ds_read2_b64 v[94:97], v85 offset0:88 offset1:89
	ds_read2_b64 v[98:101], v85 offset0:90 offset1:91
	s_add_i32 s70, s4, 0x420
	scratch_load_dwordx4 v[102:105], off, s70
	s_waitcnt vmcnt(2) lgkmcnt(1)
	v_mul_f64 v[0:1], v[96:97], v[88:89]
	v_mul_f64 v[2:3], v[94:95], v[88:89]
	v_fma_f64 v[0:1], v[94:95], v[86:87], -v[0:1]
	v_fmac_f64_e32 v[2:3], v[96:97], v[86:87]
	s_waitcnt vmcnt(1)
	v_add_f64 v[86:87], v[90:91], -v[0:1]
	v_add_f64 v[88:89], v[92:93], -v[2:3]
	scratch_store_dwordx4 off, v[86:89], s46
	scratch_load_dwordx4 v[86:89], off, off offset:320
	s_add_i32 s46, s4, 0x430
	s_addk_i32 s4, 0x80
	s_cmp_lg_u32 s4, 0
	s_waitcnt vmcnt(0) lgkmcnt(0)
	v_mul_f64 v[0:1], v[100:101], v[88:89]
	v_mul_f64 v[2:3], v[98:99], v[88:89]
	v_fma_f64 v[0:1], v[98:99], v[86:87], -v[0:1]
	v_fmac_f64_e32 v[2:3], v[100:101], v[86:87]
	v_add_f64 v[86:87], v[102:103], -v[0:1]
	v_add_f64 v[88:89], v[104:105], -v[2:3]
	scratch_store_dwordx4 off, v[86:89], s70
	scratch_load_dwordx4 v[86:89], off, off offset:320
	s_nop 0
	scratch_load_dwordx4 v[90:93], off, s46
	ds_read2_b64 v[94:97], v85 offset0:92 offset1:93
	ds_read2_b64 v[98:101], v85 offset0:94 offset1:95
	scratch_load_dwordx4 v[102:105], off, s5
	s_waitcnt vmcnt(2) lgkmcnt(1)
	v_mul_f64 v[0:1], v[96:97], v[88:89]
	v_mul_f64 v[2:3], v[94:95], v[88:89]
	v_fma_f64 v[0:1], v[94:95], v[86:87], -v[0:1]
	v_fmac_f64_e32 v[2:3], v[96:97], v[86:87]
	s_waitcnt vmcnt(1)
	v_add_f64 v[86:87], v[90:91], -v[0:1]
	v_add_f64 v[88:89], v[92:93], -v[2:3]
	scratch_store_dwordx4 off, v[86:89], s46
	scratch_load_dwordx4 v[86:89], off, off offset:320
	s_waitcnt vmcnt(0) lgkmcnt(0)
	v_mul_f64 v[0:1], v[100:101], v[88:89]
	v_mul_f64 v[2:3], v[98:99], v[88:89]
	v_fma_f64 v[0:1], v[98:99], v[86:87], -v[0:1]
	v_fmac_f64_e32 v[2:3], v[100:101], v[86:87]
	v_add_f64 v[86:87], v[102:103], -v[0:1]
	v_add_f64 v[88:89], v[104:105], -v[2:3]
	scratch_store_dwordx4 off, v[86:89], s5
	s_cbranch_scc1 .LBB121_272
.LBB121_273:
	s_or_b64 exec, exec, s[2:3]
	v_cmp_eq_u32_e32 vcc, 21, v252
	s_waitcnt lgkmcnt(0)
	s_barrier
	s_and_saveexec_b64 s[4:5], vcc
	s_cbranch_execz .LBB121_282
; %bb.274:
	scratch_load_dwordx4 v[86:89], off, s49
	v_add_u32_e32 v84, 0x160, v248
	s_movk_i32 s2, 0xfd90
	s_waitcnt vmcnt(0)
	ds_write2_b64 v253, v[86:87], v[88:89] offset1:1
.LBB121_275:                            ; =>This Inner Loop Header: Depth=1
	s_add_i32 s46, s2, 0x3d0
	scratch_load_dwordx4 v[86:89], off, s46
	v_add_u32_e32 v0, s2, v84
	s_add_i32 s46, s2, 0x3e0
	s_add_i32 s3, s2, 0x490
	s_waitcnt vmcnt(0)
	ds_write2_b64 v0, v[86:87], v[88:89] offset0:78 offset1:79
	scratch_load_dwordx4 v[86:89], off, s46
	s_add_i32 s46, s2, 0x3f0
	s_waitcnt vmcnt(0)
	ds_write2_b64 v0, v[86:87], v[88:89] offset0:80 offset1:81
	scratch_load_dwordx4 v[86:89], off, s46
	;; [unrolled: 4-line block ×10, first 2 shown]
	s_add_i32 s46, s2, 0x480
	s_addk_i32 s2, 0xd0
	s_cmp_lg_u32 s2, 0
	s_waitcnt vmcnt(0)
	ds_write2_b64 v0, v[86:87], v[88:89] offset0:98 offset1:99
	scratch_load_dwordx4 v[86:89], off, s46
	s_waitcnt vmcnt(0)
	ds_write2_b64 v0, v[86:87], v[88:89] offset0:100 offset1:101
	scratch_load_dwordx4 v[86:89], off, s3
	s_waitcnt vmcnt(0)
	ds_write2_b64 v0, v[86:87], v[88:89] offset0:102 offset1:103
	s_cbranch_scc1 .LBB121_275
; %bb.276:
	ds_read2_b64 v[84:87], v253 offset1:1
	s_waitcnt lgkmcnt(0)
	v_cmp_neq_f64_e32 vcc, 0, v[84:85]
	v_cmp_neq_f64_e64 s[2:3], 0, v[86:87]
	s_or_b64 s[2:3], vcc, s[2:3]
	s_and_b64 exec, exec, s[2:3]
	s_cbranch_execz .LBB121_282
; %bb.277:
	v_cmp_ngt_f64_e64 s[2:3], |v[84:85]|, |v[86:87]|
                                        ; implicit-def: $vgpr88_vgpr89
	s_and_saveexec_b64 s[70:71], s[2:3]
	s_xor_b64 s[2:3], exec, s[70:71]
                                        ; implicit-def: $vgpr90_vgpr91
	s_cbranch_execz .LBB121_279
; %bb.278:
	v_div_scale_f64 v[0:1], s[70:71], v[86:87], v[86:87], v[84:85]
	v_rcp_f64_e32 v[2:3], v[0:1]
	v_div_scale_f64 v[88:89], vcc, v[84:85], v[86:87], v[84:85]
	v_fma_f64 v[90:91], -v[0:1], v[2:3], 1.0
	v_fmac_f64_e32 v[2:3], v[2:3], v[90:91]
	v_fma_f64 v[90:91], -v[0:1], v[2:3], 1.0
	v_fmac_f64_e32 v[2:3], v[2:3], v[90:91]
	v_mul_f64 v[90:91], v[88:89], v[2:3]
	v_fma_f64 v[0:1], -v[0:1], v[90:91], v[88:89]
	v_div_fmas_f64 v[0:1], v[0:1], v[2:3], v[90:91]
	v_div_fixup_f64 v[0:1], v[0:1], v[86:87], v[84:85]
	v_fmac_f64_e32 v[86:87], v[84:85], v[0:1]
	v_div_scale_f64 v[2:3], s[70:71], v[86:87], v[86:87], 1.0
	v_rcp_f64_e32 v[84:85], v[2:3]
	s_nop 0
	v_fma_f64 v[88:89], -v[2:3], v[84:85], 1.0
	v_fmac_f64_e32 v[84:85], v[84:85], v[88:89]
	v_fma_f64 v[88:89], -v[2:3], v[84:85], 1.0
	v_fmac_f64_e32 v[84:85], v[84:85], v[88:89]
	v_div_scale_f64 v[88:89], vcc, 1.0, v[86:87], 1.0
	v_mul_f64 v[90:91], v[88:89], v[84:85]
	v_fma_f64 v[2:3], -v[2:3], v[90:91], v[88:89]
	s_nop 1
	v_div_fmas_f64 v[2:3], v[2:3], v[84:85], v[90:91]
	v_div_fixup_f64 v[90:91], v[2:3], v[86:87], 1.0
	v_mul_f64 v[88:89], v[0:1], v[90:91]
	v_xor_b32_e32 v91, 0x80000000, v91
                                        ; implicit-def: $vgpr84_vgpr85
.LBB121_279:
	s_andn2_saveexec_b64 s[2:3], s[2:3]
	s_cbranch_execz .LBB121_281
; %bb.280:
	v_div_scale_f64 v[0:1], s[70:71], v[84:85], v[84:85], v[86:87]
	v_rcp_f64_e32 v[2:3], v[0:1]
	v_div_scale_f64 v[88:89], vcc, v[86:87], v[84:85], v[86:87]
	v_fma_f64 v[90:91], -v[0:1], v[2:3], 1.0
	v_fmac_f64_e32 v[2:3], v[2:3], v[90:91]
	v_fma_f64 v[90:91], -v[0:1], v[2:3], 1.0
	v_fmac_f64_e32 v[2:3], v[2:3], v[90:91]
	v_mul_f64 v[90:91], v[88:89], v[2:3]
	v_fma_f64 v[0:1], -v[0:1], v[90:91], v[88:89]
	v_div_fmas_f64 v[0:1], v[0:1], v[2:3], v[90:91]
	v_div_fixup_f64 v[0:1], v[0:1], v[84:85], v[86:87]
	v_fmac_f64_e32 v[84:85], v[86:87], v[0:1]
	v_div_scale_f64 v[2:3], s[70:71], v[84:85], v[84:85], 1.0
	v_rcp_f64_e32 v[86:87], v[2:3]
	s_nop 0
	v_fma_f64 v[88:89], -v[2:3], v[86:87], 1.0
	v_fmac_f64_e32 v[86:87], v[86:87], v[88:89]
	v_fma_f64 v[88:89], -v[2:3], v[86:87], 1.0
	v_fmac_f64_e32 v[86:87], v[86:87], v[88:89]
	v_div_scale_f64 v[88:89], vcc, 1.0, v[84:85], 1.0
	v_mul_f64 v[90:91], v[88:89], v[86:87]
	v_fma_f64 v[2:3], -v[2:3], v[90:91], v[88:89]
	s_nop 1
	v_div_fmas_f64 v[2:3], v[2:3], v[86:87], v[90:91]
	v_div_fixup_f64 v[88:89], v[2:3], v[84:85], 1.0
	v_mul_f64 v[90:91], v[0:1], -v[88:89]
.LBB121_281:
	s_or_b64 exec, exec, s[2:3]
	ds_write2_b64 v253, v[88:89], v[90:91] offset1:1
.LBB121_282:
	s_or_b64 exec, exec, s[4:5]
	s_waitcnt lgkmcnt(0)
	s_barrier
	ds_read2_b64 v[84:87], v253 offset1:1
	v_cmp_lt_u32_e32 vcc, 21, v252
	s_and_saveexec_b64 s[2:3], vcc
	s_cbranch_execz .LBB121_285
; %bb.283:
	scratch_load_dwordx4 v[88:91], off, off offset:336
	s_movk_i32 s4, 0xfd90
	s_waitcnt vmcnt(0) lgkmcnt(0)
	v_mul_f64 v[0:1], v[86:87], v[90:91]
	v_mul_f64 v[92:93], v[84:85], v[90:91]
	v_fma_f64 v[90:91], v[84:85], v[88:89], -v[0:1]
	v_fmac_f64_e32 v[92:93], v[86:87], v[88:89]
	scratch_store_dwordx4 off, v[90:93], off offset:336
.LBB121_284:                            ; =>This Inner Loop Header: Depth=1
	scratch_load_dwordx4 v[88:91], off, off offset:336
	s_add_i32 s46, s4, 0x3d0
	scratch_load_dwordx4 v[92:95], off, s46
	v_add_u32_e32 v112, s4, v248
	ds_read2_b64 v[96:99], v112 offset0:122 offset1:123
	ds_read2_b64 v[100:103], v112 offset0:124 offset1:125
	s_add_i32 s70, s4, 0x3e0
	s_add_i32 s5, s4, 0x3f0
	scratch_load_dwordx4 v[104:107], off, s70
	scratch_load_dwordx4 v[108:111], off, s5
	s_add_i32 s4, s4, 48
	s_cmp_lg_u32 s4, 0
	s_waitcnt vmcnt(3) lgkmcnt(1)
	v_mul_f64 v[0:1], v[98:99], v[90:91]
	v_mul_f64 v[2:3], v[96:97], v[90:91]
	v_fma_f64 v[0:1], v[96:97], v[88:89], -v[0:1]
	v_fmac_f64_e32 v[2:3], v[98:99], v[88:89]
	s_waitcnt vmcnt(2)
	v_add_f64 v[88:89], v[92:93], -v[0:1]
	v_add_f64 v[90:91], v[94:95], -v[2:3]
	scratch_store_dwordx4 off, v[88:91], s46
	scratch_load_dwordx4 v[88:91], off, off offset:336
	ds_read2_b64 v[92:95], v112 offset0:126 offset1:127
	s_waitcnt vmcnt(0) lgkmcnt(1)
	v_mul_f64 v[0:1], v[102:103], v[90:91]
	v_mul_f64 v[2:3], v[100:101], v[90:91]
	v_fma_f64 v[0:1], v[100:101], v[88:89], -v[0:1]
	v_fmac_f64_e32 v[2:3], v[102:103], v[88:89]
	v_add_f64 v[88:89], v[104:105], -v[0:1]
	v_add_f64 v[90:91], v[106:107], -v[2:3]
	scratch_store_dwordx4 off, v[88:91], s70
	scratch_load_dwordx4 v[88:91], off, off offset:336
	s_waitcnt vmcnt(0) lgkmcnt(0)
	v_mul_f64 v[0:1], v[94:95], v[90:91]
	v_mul_f64 v[2:3], v[92:93], v[90:91]
	v_fma_f64 v[0:1], v[92:93], v[88:89], -v[0:1]
	v_fmac_f64_e32 v[2:3], v[94:95], v[88:89]
	v_add_f64 v[88:89], v[108:109], -v[0:1]
	v_add_f64 v[90:91], v[110:111], -v[2:3]
	scratch_store_dwordx4 off, v[88:91], s5
	s_cbranch_scc1 .LBB121_284
.LBB121_285:
	s_or_b64 exec, exec, s[2:3]
	v_cmp_eq_u32_e32 vcc, 22, v252
	s_waitcnt lgkmcnt(0)
	s_barrier
	s_and_saveexec_b64 s[4:5], vcc
	s_cbranch_execz .LBB121_294
; %bb.286:
	scratch_load_dwordx4 v[88:91], off, s48
	s_mov_b32 s2, 0
	s_waitcnt vmcnt(0)
	ds_write2_b64 v253, v[88:89], v[90:91] offset1:1
	v_add_u32_e32 v88, 0x170, v248
.LBB121_287:                            ; =>This Inner Loop Header: Depth=1
	s_add_i32 s46, s2, 0x170
	s_add_i32 s3, s2, 0x180
	scratch_load_dwordx4 v[90:93], off, s46
	scratch_load_dwordx4 v[94:97], off, s3
	v_add_u32_e32 v0, s2, v88
	s_add_i32 s2, s2, 32
	s_cmpk_lg_i32 s2, 0x260
	s_waitcnt vmcnt(1)
	ds_write2_b64 v0, v[90:91], v[92:93] offset1:1
	s_waitcnt vmcnt(0)
	ds_write2_b64 v0, v[94:95], v[96:97] offset0:2 offset1:3
	s_cbranch_scc1 .LBB121_287
; %bb.288:
	ds_read2_b64 v[88:91], v253 offset1:1
	s_waitcnt lgkmcnt(0)
	v_cmp_neq_f64_e32 vcc, 0, v[88:89]
	v_cmp_neq_f64_e64 s[2:3], 0, v[90:91]
	s_or_b64 s[2:3], vcc, s[2:3]
	s_and_b64 exec, exec, s[2:3]
	s_cbranch_execz .LBB121_294
; %bb.289:
	v_cmp_ngt_f64_e64 s[2:3], |v[88:89]|, |v[90:91]|
                                        ; implicit-def: $vgpr92_vgpr93
	s_and_saveexec_b64 s[70:71], s[2:3]
	s_xor_b64 s[2:3], exec, s[70:71]
                                        ; implicit-def: $vgpr94_vgpr95
	s_cbranch_execz .LBB121_291
; %bb.290:
	v_div_scale_f64 v[0:1], s[70:71], v[90:91], v[90:91], v[88:89]
	v_rcp_f64_e32 v[2:3], v[0:1]
	v_div_scale_f64 v[92:93], vcc, v[88:89], v[90:91], v[88:89]
	v_fma_f64 v[94:95], -v[0:1], v[2:3], 1.0
	v_fmac_f64_e32 v[2:3], v[2:3], v[94:95]
	v_fma_f64 v[94:95], -v[0:1], v[2:3], 1.0
	v_fmac_f64_e32 v[2:3], v[2:3], v[94:95]
	v_mul_f64 v[94:95], v[92:93], v[2:3]
	v_fma_f64 v[0:1], -v[0:1], v[94:95], v[92:93]
	v_div_fmas_f64 v[0:1], v[0:1], v[2:3], v[94:95]
	v_div_fixup_f64 v[0:1], v[0:1], v[90:91], v[88:89]
	v_fmac_f64_e32 v[90:91], v[88:89], v[0:1]
	v_div_scale_f64 v[2:3], s[70:71], v[90:91], v[90:91], 1.0
	v_rcp_f64_e32 v[88:89], v[2:3]
	s_nop 0
	v_fma_f64 v[92:93], -v[2:3], v[88:89], 1.0
	v_fmac_f64_e32 v[88:89], v[88:89], v[92:93]
	v_fma_f64 v[92:93], -v[2:3], v[88:89], 1.0
	v_fmac_f64_e32 v[88:89], v[88:89], v[92:93]
	v_div_scale_f64 v[92:93], vcc, 1.0, v[90:91], 1.0
	v_mul_f64 v[94:95], v[92:93], v[88:89]
	v_fma_f64 v[2:3], -v[2:3], v[94:95], v[92:93]
	s_nop 1
	v_div_fmas_f64 v[2:3], v[2:3], v[88:89], v[94:95]
	v_div_fixup_f64 v[94:95], v[2:3], v[90:91], 1.0
	v_mul_f64 v[92:93], v[0:1], v[94:95]
	v_xor_b32_e32 v95, 0x80000000, v95
                                        ; implicit-def: $vgpr88_vgpr89
.LBB121_291:
	s_andn2_saveexec_b64 s[2:3], s[2:3]
	s_cbranch_execz .LBB121_293
; %bb.292:
	v_div_scale_f64 v[0:1], s[70:71], v[88:89], v[88:89], v[90:91]
	v_rcp_f64_e32 v[2:3], v[0:1]
	v_div_scale_f64 v[92:93], vcc, v[90:91], v[88:89], v[90:91]
	v_fma_f64 v[94:95], -v[0:1], v[2:3], 1.0
	v_fmac_f64_e32 v[2:3], v[2:3], v[94:95]
	v_fma_f64 v[94:95], -v[0:1], v[2:3], 1.0
	v_fmac_f64_e32 v[2:3], v[2:3], v[94:95]
	v_mul_f64 v[94:95], v[92:93], v[2:3]
	v_fma_f64 v[0:1], -v[0:1], v[94:95], v[92:93]
	v_div_fmas_f64 v[0:1], v[0:1], v[2:3], v[94:95]
	v_div_fixup_f64 v[0:1], v[0:1], v[88:89], v[90:91]
	v_fmac_f64_e32 v[88:89], v[90:91], v[0:1]
	v_div_scale_f64 v[2:3], s[70:71], v[88:89], v[88:89], 1.0
	v_rcp_f64_e32 v[90:91], v[2:3]
	s_nop 0
	v_fma_f64 v[92:93], -v[2:3], v[90:91], 1.0
	v_fmac_f64_e32 v[90:91], v[90:91], v[92:93]
	v_fma_f64 v[92:93], -v[2:3], v[90:91], 1.0
	v_fmac_f64_e32 v[90:91], v[90:91], v[92:93]
	v_div_scale_f64 v[92:93], vcc, 1.0, v[88:89], 1.0
	v_mul_f64 v[94:95], v[92:93], v[90:91]
	v_fma_f64 v[2:3], -v[2:3], v[94:95], v[92:93]
	s_nop 1
	v_div_fmas_f64 v[2:3], v[2:3], v[90:91], v[94:95]
	v_div_fixup_f64 v[92:93], v[2:3], v[88:89], 1.0
	v_mul_f64 v[94:95], v[0:1], -v[92:93]
.LBB121_293:
	s_or_b64 exec, exec, s[2:3]
	ds_write2_b64 v253, v[92:93], v[94:95] offset1:1
.LBB121_294:
	s_or_b64 exec, exec, s[4:5]
	s_waitcnt lgkmcnt(0)
	s_barrier
	ds_read2_b64 v[88:91], v253 offset1:1
	v_cmp_lt_u32_e32 vcc, 22, v252
	s_and_saveexec_b64 s[2:3], vcc
	s_cbranch_execz .LBB121_297
; %bb.295:
	scratch_load_dwordx4 v[96:99], off, off offset:352
	s_mov_b32 s4, 0
	s_waitcnt vmcnt(0) lgkmcnt(0)
	v_mul_f64 v[0:1], v[90:91], v[98:99]
	v_mul_f64 v[94:95], v[88:89], v[98:99]
	v_fma_f64 v[92:93], v[88:89], v[96:97], -v[0:1]
	v_fmac_f64_e32 v[94:95], v[90:91], v[96:97]
	v_add_u32_e32 v96, 0x170, v248
	scratch_store_dwordx4 off, v[92:95], off offset:352
.LBB121_296:                            ; =>This Inner Loop Header: Depth=1
	s_add_i32 s46, s4, 0x170
	s_add_i32 s5, s4, 0x180
	scratch_load_dwordx4 v[98:101], off, s46
	scratch_load_dwordx4 v[102:105], off, s5
	v_add_u32_e32 v0, s4, v96
	ds_read2_b64 v[106:109], v0 offset1:1
	ds_read2_b64 v[110:113], v0 offset0:2 offset1:3
	s_add_i32 s4, s4, 32
	s_cmpk_lg_i32 s4, 0x260
	s_waitcnt lgkmcnt(1)
	v_mul_f64 v[0:1], v[108:109], v[94:95]
	v_mul_f64 v[2:3], v[106:107], v[94:95]
	s_waitcnt lgkmcnt(0)
	v_mul_f64 v[114:115], v[112:113], v[94:95]
	v_mul_f64 v[116:117], v[110:111], v[94:95]
	v_fma_f64 v[0:1], v[106:107], v[92:93], -v[0:1]
	v_fmac_f64_e32 v[2:3], v[108:109], v[92:93]
	v_fma_f64 v[106:107], v[110:111], v[92:93], -v[114:115]
	v_fmac_f64_e32 v[116:117], v[112:113], v[92:93]
	s_waitcnt vmcnt(1)
	v_add_f64 v[98:99], v[98:99], -v[0:1]
	v_add_f64 v[100:101], v[100:101], -v[2:3]
	s_waitcnt vmcnt(0)
	v_add_f64 v[102:103], v[102:103], -v[106:107]
	v_add_f64 v[104:105], v[104:105], -v[116:117]
	scratch_store_dwordx4 off, v[98:101], s46
	scratch_store_dwordx4 off, v[102:105], s5
	s_cbranch_scc1 .LBB121_296
.LBB121_297:
	s_or_b64 exec, exec, s[2:3]
	v_cmp_eq_u32_e32 vcc, 23, v252
	s_waitcnt lgkmcnt(0)
	s_barrier
	s_and_saveexec_b64 s[4:5], vcc
	s_cbranch_execz .LBB121_308
; %bb.298:
	scratch_load_dwordx4 v[92:95], off, s47
	s_mov_b32 s46, 0
	s_waitcnt vmcnt(0)
	ds_write2_b64 v253, v[92:93], v[94:95] offset1:1
	v_add_u32_e32 v92, 0x180, v248
	s_branch .LBB121_300
.LBB121_299:                            ;   in Loop: Header=BB121_300 Depth=1
	s_andn2_b64 vcc, exec, s[2:3]
	s_cbranch_vccz .LBB121_302
.LBB121_300:                            ; =>This Inner Loop Header: Depth=1
	s_add_i32 s2, s46, 0x180
	s_add_i32 s3, s46, 0x190
	scratch_load_dwordx4 v[94:97], off, s2
	scratch_load_dwordx4 v[98:101], off, s3
	s_add_i32 s2, s46, 0x1a0
	s_add_i32 s3, s46, 0x1b0
	scratch_load_dwordx4 v[102:105], off, s2
	scratch_load_dwordx4 v[106:109], off, s3
	s_add_i32 s2, s46, 0x1c0
	scratch_load_dwordx4 v[110:113], off, s2
	s_mov_b32 s70, s46
	v_add_u32_e32 v93, s46, v92
	s_cmpk_eq_i32 s46, 0x200
	s_mov_b64 s[2:3], -1
	s_waitcnt vmcnt(4)
	ds_write2_b64 v93, v[94:95], v[96:97] offset1:1
	s_waitcnt vmcnt(3)
	ds_write2_b64 v93, v[98:99], v[100:101] offset0:2 offset1:3
	s_waitcnt vmcnt(2)
	ds_write2_b64 v93, v[102:103], v[104:105] offset0:4 offset1:5
	;; [unrolled: 2-line block ×4, first 2 shown]
	s_cbranch_scc1 .LBB121_299
; %bb.301:                              ;   in Loop: Header=BB121_300 Depth=1
	s_add_i32 s2, s70, 0x1d0
	s_add_i32 s3, s70, 0x1e0
	scratch_load_dwordx4 v[94:97], off, s2
	scratch_load_dwordx4 v[98:101], off, s3
	s_addk_i32 s70, 0x1f0
	scratch_load_dwordx4 v[102:105], off, s70
	s_addk_i32 s46, 0x80
	s_mov_b64 s[2:3], 0
	s_waitcnt vmcnt(2)
	ds_write2_b64 v93, v[94:95], v[96:97] offset0:10 offset1:11
	s_waitcnt vmcnt(1)
	ds_write2_b64 v93, v[98:99], v[100:101] offset0:12 offset1:13
	;; [unrolled: 2-line block ×3, first 2 shown]
	s_branch .LBB121_299
.LBB121_302:
	ds_read2_b64 v[92:95], v253 offset1:1
	s_waitcnt lgkmcnt(0)
	v_cmp_neq_f64_e32 vcc, 0, v[92:93]
	v_cmp_neq_f64_e64 s[2:3], 0, v[94:95]
	s_or_b64 s[2:3], vcc, s[2:3]
	s_and_b64 exec, exec, s[2:3]
	s_cbranch_execz .LBB121_308
; %bb.303:
	v_cmp_ngt_f64_e64 s[2:3], |v[92:93]|, |v[94:95]|
                                        ; implicit-def: $vgpr96_vgpr97
	s_and_saveexec_b64 s[70:71], s[2:3]
	s_xor_b64 s[2:3], exec, s[70:71]
                                        ; implicit-def: $vgpr98_vgpr99
	s_cbranch_execz .LBB121_305
; %bb.304:
	v_div_scale_f64 v[0:1], s[70:71], v[94:95], v[94:95], v[92:93]
	v_rcp_f64_e32 v[2:3], v[0:1]
	v_div_scale_f64 v[96:97], vcc, v[92:93], v[94:95], v[92:93]
	v_fma_f64 v[98:99], -v[0:1], v[2:3], 1.0
	v_fmac_f64_e32 v[2:3], v[2:3], v[98:99]
	v_fma_f64 v[98:99], -v[0:1], v[2:3], 1.0
	v_fmac_f64_e32 v[2:3], v[2:3], v[98:99]
	v_mul_f64 v[98:99], v[96:97], v[2:3]
	v_fma_f64 v[0:1], -v[0:1], v[98:99], v[96:97]
	v_div_fmas_f64 v[0:1], v[0:1], v[2:3], v[98:99]
	v_div_fixup_f64 v[0:1], v[0:1], v[94:95], v[92:93]
	v_fmac_f64_e32 v[94:95], v[92:93], v[0:1]
	v_div_scale_f64 v[2:3], s[70:71], v[94:95], v[94:95], 1.0
	v_rcp_f64_e32 v[92:93], v[2:3]
	s_nop 0
	v_fma_f64 v[96:97], -v[2:3], v[92:93], 1.0
	v_fmac_f64_e32 v[92:93], v[92:93], v[96:97]
	v_fma_f64 v[96:97], -v[2:3], v[92:93], 1.0
	v_fmac_f64_e32 v[92:93], v[92:93], v[96:97]
	v_div_scale_f64 v[96:97], vcc, 1.0, v[94:95], 1.0
	v_mul_f64 v[98:99], v[96:97], v[92:93]
	v_fma_f64 v[2:3], -v[2:3], v[98:99], v[96:97]
	s_nop 1
	v_div_fmas_f64 v[2:3], v[2:3], v[92:93], v[98:99]
	v_div_fixup_f64 v[98:99], v[2:3], v[94:95], 1.0
	v_mul_f64 v[96:97], v[0:1], v[98:99]
	v_xor_b32_e32 v99, 0x80000000, v99
                                        ; implicit-def: $vgpr92_vgpr93
.LBB121_305:
	s_andn2_saveexec_b64 s[2:3], s[2:3]
	s_cbranch_execz .LBB121_307
; %bb.306:
	v_div_scale_f64 v[0:1], s[70:71], v[92:93], v[92:93], v[94:95]
	v_rcp_f64_e32 v[2:3], v[0:1]
	v_div_scale_f64 v[96:97], vcc, v[94:95], v[92:93], v[94:95]
	v_fma_f64 v[98:99], -v[0:1], v[2:3], 1.0
	v_fmac_f64_e32 v[2:3], v[2:3], v[98:99]
	v_fma_f64 v[98:99], -v[0:1], v[2:3], 1.0
	v_fmac_f64_e32 v[2:3], v[2:3], v[98:99]
	v_mul_f64 v[98:99], v[96:97], v[2:3]
	v_fma_f64 v[0:1], -v[0:1], v[98:99], v[96:97]
	v_div_fmas_f64 v[0:1], v[0:1], v[2:3], v[98:99]
	v_div_fixup_f64 v[0:1], v[0:1], v[92:93], v[94:95]
	v_fmac_f64_e32 v[92:93], v[94:95], v[0:1]
	v_div_scale_f64 v[2:3], s[70:71], v[92:93], v[92:93], 1.0
	v_rcp_f64_e32 v[94:95], v[2:3]
	s_nop 0
	v_fma_f64 v[96:97], -v[2:3], v[94:95], 1.0
	v_fmac_f64_e32 v[94:95], v[94:95], v[96:97]
	v_fma_f64 v[96:97], -v[2:3], v[94:95], 1.0
	v_fmac_f64_e32 v[94:95], v[94:95], v[96:97]
	v_div_scale_f64 v[96:97], vcc, 1.0, v[92:93], 1.0
	v_mul_f64 v[98:99], v[96:97], v[94:95]
	v_fma_f64 v[2:3], -v[2:3], v[98:99], v[96:97]
	s_nop 1
	v_div_fmas_f64 v[2:3], v[2:3], v[94:95], v[98:99]
	v_div_fixup_f64 v[96:97], v[2:3], v[92:93], 1.0
	v_mul_f64 v[98:99], v[0:1], -v[96:97]
.LBB121_307:
	s_or_b64 exec, exec, s[2:3]
	ds_write2_b64 v253, v[96:97], v[98:99] offset1:1
.LBB121_308:
	s_or_b64 exec, exec, s[4:5]
	s_waitcnt lgkmcnt(0)
	s_barrier
	ds_read2_b64 v[92:95], v253 offset1:1
	v_cmp_lt_u32_e32 vcc, 23, v252
	s_and_saveexec_b64 s[2:3], vcc
	s_cbranch_execz .LBB121_313
; %bb.309:
	scratch_load_dwordx4 v[100:103], off, off offset:368
	s_mov_b32 s70, 0
	s_waitcnt vmcnt(0) lgkmcnt(0)
	v_mul_f64 v[0:1], v[94:95], v[102:103]
	v_mul_f64 v[98:99], v[92:93], v[102:103]
	v_fma_f64 v[96:97], v[92:93], v[100:101], -v[0:1]
	v_fmac_f64_e32 v[98:99], v[94:95], v[100:101]
	v_add_u32_e32 v100, 0x180, v248
	scratch_store_dwordx4 off, v[96:99], off offset:368
	s_branch .LBB121_311
.LBB121_310:                            ;   in Loop: Header=BB121_311 Depth=1
	s_andn2_b64 vcc, exec, s[4:5]
	s_cbranch_vccz .LBB121_313
.LBB121_311:                            ; =>This Inner Loop Header: Depth=1
	v_add_u32_e32 v101, s70, v100
	ds_read2_b64 v[102:105], v101 offset1:1
	s_add_i32 s4, s70, 0x180
	s_mov_b32 s71, s70
	s_waitcnt lgkmcnt(0)
	v_mul_f64 v[0:1], v[104:105], v[98:99]
	v_mul_f64 v[2:3], v[102:103], v[98:99]
	v_fma_f64 v[0:1], v[102:103], v[96:97], -v[0:1]
	v_fmac_f64_e32 v[2:3], v[104:105], v[96:97]
	scratch_load_dwordx4 v[102:105], off, s4
	s_waitcnt vmcnt(0)
	v_add_f64 v[102:103], v[102:103], -v[0:1]
	v_add_f64 v[104:105], v[104:105], -v[2:3]
	scratch_store_dwordx4 off, v[102:105], s4
	ds_read2_b64 v[102:105], v101 offset0:2 offset1:3
	s_add_i32 s4, s70, 0x190
	s_waitcnt lgkmcnt(0)
	v_mul_f64 v[0:1], v[104:105], v[98:99]
	v_mul_f64 v[2:3], v[102:103], v[98:99]
	v_fma_f64 v[0:1], v[102:103], v[96:97], -v[0:1]
	v_fmac_f64_e32 v[2:3], v[104:105], v[96:97]
	scratch_load_dwordx4 v[102:105], off, s4
	s_waitcnt vmcnt(0)
	v_add_f64 v[102:103], v[102:103], -v[0:1]
	v_add_f64 v[104:105], v[104:105], -v[2:3]
	scratch_store_dwordx4 off, v[102:105], s4
	ds_read2_b64 v[102:105], v101 offset0:4 offset1:5
	s_add_i32 s4, s70, 0x1a0
	;; [unrolled: 12-line block ×4, first 2 shown]
	s_cmpk_eq_i32 s70, 0x200
	s_waitcnt lgkmcnt(0)
	v_mul_f64 v[0:1], v[104:105], v[98:99]
	v_mul_f64 v[2:3], v[102:103], v[98:99]
	v_fma_f64 v[0:1], v[102:103], v[96:97], -v[0:1]
	v_fmac_f64_e32 v[2:3], v[104:105], v[96:97]
	scratch_load_dwordx4 v[102:105], off, s4
	s_waitcnt vmcnt(0)
	v_add_f64 v[102:103], v[102:103], -v[0:1]
	v_add_f64 v[104:105], v[104:105], -v[2:3]
	scratch_store_dwordx4 off, v[102:105], s4
	s_mov_b64 s[4:5], -1
	s_cbranch_scc1 .LBB121_310
; %bb.312:                              ;   in Loop: Header=BB121_311 Depth=1
	ds_read2_b64 v[102:105], v101 offset0:10 offset1:11
	s_add_i32 s4, s71, 0x1d0
	s_addk_i32 s70, 0x80
	s_waitcnt lgkmcnt(0)
	v_mul_f64 v[0:1], v[104:105], v[98:99]
	v_mul_f64 v[2:3], v[102:103], v[98:99]
	v_fma_f64 v[0:1], v[102:103], v[96:97], -v[0:1]
	v_fmac_f64_e32 v[2:3], v[104:105], v[96:97]
	scratch_load_dwordx4 v[102:105], off, s4
	s_waitcnt vmcnt(0)
	v_add_f64 v[102:103], v[102:103], -v[0:1]
	v_add_f64 v[104:105], v[104:105], -v[2:3]
	scratch_store_dwordx4 off, v[102:105], s4
	ds_read2_b64 v[102:105], v101 offset0:12 offset1:13
	s_add_i32 s4, s71, 0x1e0
	s_addk_i32 s71, 0x1f0
	s_waitcnt lgkmcnt(0)
	v_mul_f64 v[0:1], v[104:105], v[98:99]
	v_mul_f64 v[2:3], v[102:103], v[98:99]
	v_fma_f64 v[0:1], v[102:103], v[96:97], -v[0:1]
	v_fmac_f64_e32 v[2:3], v[104:105], v[96:97]
	scratch_load_dwordx4 v[102:105], off, s4
	s_waitcnt vmcnt(0)
	v_add_f64 v[102:103], v[102:103], -v[0:1]
	v_add_f64 v[104:105], v[104:105], -v[2:3]
	scratch_store_dwordx4 off, v[102:105], s4
	ds_read2_b64 v[102:105], v101 offset0:14 offset1:15
	s_mov_b64 s[4:5], 0
	s_waitcnt lgkmcnt(0)
	v_mul_f64 v[0:1], v[104:105], v[98:99]
	v_mul_f64 v[2:3], v[102:103], v[98:99]
	v_fma_f64 v[0:1], v[102:103], v[96:97], -v[0:1]
	v_fmac_f64_e32 v[2:3], v[104:105], v[96:97]
	scratch_load_dwordx4 v[102:105], off, s71
	s_waitcnt vmcnt(0)
	v_add_f64 v[102:103], v[102:103], -v[0:1]
	v_add_f64 v[104:105], v[104:105], -v[2:3]
	scratch_store_dwordx4 off, v[102:105], s71
	s_branch .LBB121_310
.LBB121_313:
	s_or_b64 exec, exec, s[2:3]
	v_cmp_eq_u32_e32 vcc, 24, v252
	s_waitcnt lgkmcnt(0)
	s_barrier
	s_and_saveexec_b64 s[4:5], vcc
	s_cbranch_execz .LBB121_320
; %bb.314:
	scratch_load_dwordx4 v[96:99], off, s85
	s_waitcnt vmcnt(0)
	ds_write2_b64 v253, v[96:97], v[98:99] offset1:1
	scratch_load_dwordx4 v[96:99], off, s45
	s_waitcnt vmcnt(0)
	ds_write2_b64 v248, v[96:97], v[98:99] offset0:50 offset1:51
	scratch_load_dwordx4 v[96:99], off, s44
	s_waitcnt vmcnt(0)
	ds_write2_b64 v248, v[96:97], v[98:99] offset0:52 offset1:53
	;; [unrolled: 3-line block ×36, first 2 shown]
	ds_read2_b64 v[96:99], v253 offset1:1
	s_waitcnt lgkmcnt(0)
	v_cmp_neq_f64_e32 vcc, 0, v[96:97]
	v_cmp_neq_f64_e64 s[2:3], 0, v[98:99]
	s_or_b64 s[2:3], vcc, s[2:3]
	s_and_b64 exec, exec, s[2:3]
	s_cbranch_execz .LBB121_320
; %bb.315:
	v_cmp_ngt_f64_e64 s[2:3], |v[96:97]|, |v[98:99]|
                                        ; implicit-def: $vgpr100_vgpr101
	s_and_saveexec_b64 s[70:71], s[2:3]
	s_xor_b64 s[2:3], exec, s[70:71]
                                        ; implicit-def: $vgpr102_vgpr103
	s_cbranch_execz .LBB121_317
; %bb.316:
	v_div_scale_f64 v[0:1], s[70:71], v[98:99], v[98:99], v[96:97]
	v_rcp_f64_e32 v[2:3], v[0:1]
	v_div_scale_f64 v[100:101], vcc, v[96:97], v[98:99], v[96:97]
	v_fma_f64 v[102:103], -v[0:1], v[2:3], 1.0
	v_fmac_f64_e32 v[2:3], v[2:3], v[102:103]
	v_fma_f64 v[102:103], -v[0:1], v[2:3], 1.0
	v_fmac_f64_e32 v[2:3], v[2:3], v[102:103]
	v_mul_f64 v[102:103], v[100:101], v[2:3]
	v_fma_f64 v[0:1], -v[0:1], v[102:103], v[100:101]
	v_div_fmas_f64 v[0:1], v[0:1], v[2:3], v[102:103]
	v_div_fixup_f64 v[0:1], v[0:1], v[98:99], v[96:97]
	v_fmac_f64_e32 v[98:99], v[96:97], v[0:1]
	v_div_scale_f64 v[2:3], s[70:71], v[98:99], v[98:99], 1.0
	v_rcp_f64_e32 v[96:97], v[2:3]
	s_nop 0
	v_fma_f64 v[100:101], -v[2:3], v[96:97], 1.0
	v_fmac_f64_e32 v[96:97], v[96:97], v[100:101]
	v_fma_f64 v[100:101], -v[2:3], v[96:97], 1.0
	v_fmac_f64_e32 v[96:97], v[96:97], v[100:101]
	v_div_scale_f64 v[100:101], vcc, 1.0, v[98:99], 1.0
	v_mul_f64 v[102:103], v[100:101], v[96:97]
	v_fma_f64 v[2:3], -v[2:3], v[102:103], v[100:101]
	s_nop 1
	v_div_fmas_f64 v[2:3], v[2:3], v[96:97], v[102:103]
	v_div_fixup_f64 v[102:103], v[2:3], v[98:99], 1.0
	v_mul_f64 v[100:101], v[0:1], v[102:103]
	v_xor_b32_e32 v103, 0x80000000, v103
                                        ; implicit-def: $vgpr96_vgpr97
.LBB121_317:
	s_andn2_saveexec_b64 s[2:3], s[2:3]
	s_cbranch_execz .LBB121_319
; %bb.318:
	v_div_scale_f64 v[0:1], s[70:71], v[96:97], v[96:97], v[98:99]
	v_rcp_f64_e32 v[2:3], v[0:1]
	v_div_scale_f64 v[100:101], vcc, v[98:99], v[96:97], v[98:99]
	v_fma_f64 v[102:103], -v[0:1], v[2:3], 1.0
	v_fmac_f64_e32 v[2:3], v[2:3], v[102:103]
	v_fma_f64 v[102:103], -v[0:1], v[2:3], 1.0
	v_fmac_f64_e32 v[2:3], v[2:3], v[102:103]
	v_mul_f64 v[102:103], v[100:101], v[2:3]
	v_fma_f64 v[0:1], -v[0:1], v[102:103], v[100:101]
	v_div_fmas_f64 v[0:1], v[0:1], v[2:3], v[102:103]
	v_div_fixup_f64 v[0:1], v[0:1], v[96:97], v[98:99]
	v_fmac_f64_e32 v[96:97], v[98:99], v[0:1]
	v_div_scale_f64 v[2:3], s[70:71], v[96:97], v[96:97], 1.0
	v_rcp_f64_e32 v[98:99], v[2:3]
	s_nop 0
	v_fma_f64 v[100:101], -v[2:3], v[98:99], 1.0
	v_fmac_f64_e32 v[98:99], v[98:99], v[100:101]
	v_fma_f64 v[100:101], -v[2:3], v[98:99], 1.0
	v_fmac_f64_e32 v[98:99], v[98:99], v[100:101]
	v_div_scale_f64 v[100:101], vcc, 1.0, v[96:97], 1.0
	v_mul_f64 v[102:103], v[100:101], v[98:99]
	v_fma_f64 v[2:3], -v[2:3], v[102:103], v[100:101]
	s_nop 1
	v_div_fmas_f64 v[2:3], v[2:3], v[98:99], v[102:103]
	v_div_fixup_f64 v[100:101], v[2:3], v[96:97], 1.0
	v_mul_f64 v[102:103], v[0:1], -v[100:101]
.LBB121_319:
	s_or_b64 exec, exec, s[2:3]
	ds_write2_b64 v253, v[100:101], v[102:103] offset1:1
.LBB121_320:
	s_or_b64 exec, exec, s[4:5]
	s_waitcnt lgkmcnt(0)
	s_barrier
	ds_read2_b64 v[96:99], v253 offset1:1
	v_cmp_lt_u32_e32 vcc, 24, v252
	s_and_saveexec_b64 s[2:3], vcc
	s_cbranch_execz .LBB121_323
; %bb.321:
	scratch_load_dwordx4 v[100:103], off, off offset:384
	v_add_u32_e32 v112, 0x190, v248
	s_movk_i32 s4, 0xfdc0
	s_waitcnt vmcnt(0) lgkmcnt(0)
	v_mul_f64 v[0:1], v[98:99], v[102:103]
	v_mul_f64 v[104:105], v[96:97], v[102:103]
	v_fma_f64 v[102:103], v[96:97], v[100:101], -v[0:1]
	v_fmac_f64_e32 v[104:105], v[98:99], v[100:101]
	scratch_store_dwordx4 off, v[102:105], off offset:384
.LBB121_322:                            ; =>This Inner Loop Header: Depth=1
	scratch_load_dwordx4 v[100:103], off, off offset:384
	s_add_i32 s46, s4, 0x3d0
	scratch_load_dwordx4 v[104:107], off, s46
	v_add_u32_e32 v113, s4, v112
	ds_read2_b64 v[108:111], v113 offset0:72 offset1:73
	s_add_i32 s70, s4, 0x3e0
	s_add_i32 s5, s4, 0x450
	s_waitcnt vmcnt(1) lgkmcnt(0)
	v_mul_f64 v[0:1], v[110:111], v[102:103]
	v_mul_f64 v[2:3], v[108:109], v[102:103]
	v_fma_f64 v[0:1], v[108:109], v[100:101], -v[0:1]
	v_fmac_f64_e32 v[2:3], v[110:111], v[100:101]
	s_waitcnt vmcnt(0)
	v_add_f64 v[100:101], v[104:105], -v[0:1]
	v_add_f64 v[102:103], v[106:107], -v[2:3]
	scratch_store_dwordx4 off, v[100:103], s46
	scratch_load_dwordx4 v[100:103], off, off offset:384
	s_nop 0
	scratch_load_dwordx4 v[104:107], off, s70
	ds_read2_b64 v[108:111], v113 offset0:74 offset1:75
	s_add_i32 s46, s4, 0x3f0
	s_waitcnt vmcnt(1) lgkmcnt(0)
	v_mul_f64 v[0:1], v[110:111], v[102:103]
	v_mul_f64 v[2:3], v[108:109], v[102:103]
	v_fma_f64 v[0:1], v[108:109], v[100:101], -v[0:1]
	v_fmac_f64_e32 v[2:3], v[110:111], v[100:101]
	s_waitcnt vmcnt(0)
	v_add_f64 v[100:101], v[104:105], -v[0:1]
	v_add_f64 v[102:103], v[106:107], -v[2:3]
	scratch_store_dwordx4 off, v[100:103], s70
	scratch_load_dwordx4 v[100:103], off, off offset:384
	s_nop 0
	scratch_load_dwordx4 v[104:107], off, s46
	ds_read2_b64 v[108:111], v113 offset0:76 offset1:77
	;; [unrolled: 14-line block ×6, first 2 shown]
	s_add_i32 s70, s4, 0x440
	s_addk_i32 s4, 0x90
	s_cmp_lg_u32 s4, 0
	s_waitcnt vmcnt(1) lgkmcnt(0)
	v_mul_f64 v[0:1], v[110:111], v[102:103]
	v_mul_f64 v[2:3], v[108:109], v[102:103]
	v_fma_f64 v[0:1], v[108:109], v[100:101], -v[0:1]
	v_fmac_f64_e32 v[2:3], v[110:111], v[100:101]
	s_waitcnt vmcnt(0)
	v_add_f64 v[100:101], v[104:105], -v[0:1]
	v_add_f64 v[102:103], v[106:107], -v[2:3]
	scratch_store_dwordx4 off, v[100:103], s46
	scratch_load_dwordx4 v[104:107], off, off offset:384
	s_nop 0
	scratch_load_dwordx4 v[100:103], off, s70
	ds_read2_b64 v[108:111], v113 offset0:86 offset1:87
	s_waitcnt vmcnt(1) lgkmcnt(0)
	v_mul_f64 v[0:1], v[110:111], v[106:107]
	v_mul_f64 v[2:3], v[108:109], v[106:107]
	v_fma_f64 v[0:1], v[108:109], v[104:105], -v[0:1]
	v_fmac_f64_e32 v[2:3], v[110:111], v[104:105]
	s_waitcnt vmcnt(0)
	v_add_f64 v[100:101], v[100:101], -v[0:1]
	v_add_f64 v[102:103], v[102:103], -v[2:3]
	scratch_store_dwordx4 off, v[100:103], s70
	scratch_load_dwordx4 v[100:103], off, off offset:384
	s_nop 0
	scratch_load_dwordx4 v[104:107], off, s5
	ds_read2_b64 v[108:111], v113 offset0:88 offset1:89
	s_waitcnt vmcnt(1) lgkmcnt(0)
	v_mul_f64 v[0:1], v[110:111], v[102:103]
	v_mul_f64 v[2:3], v[108:109], v[102:103]
	v_fma_f64 v[0:1], v[108:109], v[100:101], -v[0:1]
	v_fmac_f64_e32 v[2:3], v[110:111], v[100:101]
	s_waitcnt vmcnt(0)
	v_add_f64 v[100:101], v[104:105], -v[0:1]
	v_add_f64 v[102:103], v[106:107], -v[2:3]
	scratch_store_dwordx4 off, v[100:103], s5
	s_cbranch_scc1 .LBB121_322
.LBB121_323:
	s_or_b64 exec, exec, s[2:3]
	v_cmp_eq_u32_e32 vcc, 25, v252
	s_waitcnt lgkmcnt(0)
	s_barrier
	s_and_saveexec_b64 s[4:5], vcc
	s_cbranch_execz .LBB121_330
; %bb.324:
	scratch_load_dwordx4 v[100:103], off, s45
	s_waitcnt vmcnt(0)
	ds_write2_b64 v253, v[100:101], v[102:103] offset1:1
	scratch_load_dwordx4 v[100:103], off, s44
	s_waitcnt vmcnt(0)
	ds_write2_b64 v248, v[100:101], v[102:103] offset0:52 offset1:53
	scratch_load_dwordx4 v[100:103], off, s43
	s_waitcnt vmcnt(0)
	ds_write2_b64 v248, v[100:101], v[102:103] offset0:54 offset1:55
	;; [unrolled: 3-line block ×35, first 2 shown]
	ds_read2_b64 v[100:103], v253 offset1:1
	s_waitcnt lgkmcnt(0)
	v_cmp_neq_f64_e32 vcc, 0, v[100:101]
	v_cmp_neq_f64_e64 s[2:3], 0, v[102:103]
	s_or_b64 s[2:3], vcc, s[2:3]
	s_and_b64 exec, exec, s[2:3]
	s_cbranch_execz .LBB121_330
; %bb.325:
	v_cmp_ngt_f64_e64 s[2:3], |v[100:101]|, |v[102:103]|
                                        ; implicit-def: $vgpr104_vgpr105
	s_and_saveexec_b64 s[70:71], s[2:3]
	s_xor_b64 s[2:3], exec, s[70:71]
                                        ; implicit-def: $vgpr106_vgpr107
	s_cbranch_execz .LBB121_327
; %bb.326:
	v_div_scale_f64 v[0:1], s[70:71], v[102:103], v[102:103], v[100:101]
	v_rcp_f64_e32 v[2:3], v[0:1]
	v_div_scale_f64 v[104:105], vcc, v[100:101], v[102:103], v[100:101]
	v_fma_f64 v[106:107], -v[0:1], v[2:3], 1.0
	v_fmac_f64_e32 v[2:3], v[2:3], v[106:107]
	v_fma_f64 v[106:107], -v[0:1], v[2:3], 1.0
	v_fmac_f64_e32 v[2:3], v[2:3], v[106:107]
	v_mul_f64 v[106:107], v[104:105], v[2:3]
	v_fma_f64 v[0:1], -v[0:1], v[106:107], v[104:105]
	v_div_fmas_f64 v[0:1], v[0:1], v[2:3], v[106:107]
	v_div_fixup_f64 v[0:1], v[0:1], v[102:103], v[100:101]
	v_fmac_f64_e32 v[102:103], v[100:101], v[0:1]
	v_div_scale_f64 v[2:3], s[70:71], v[102:103], v[102:103], 1.0
	v_rcp_f64_e32 v[100:101], v[2:3]
	s_nop 0
	v_fma_f64 v[104:105], -v[2:3], v[100:101], 1.0
	v_fmac_f64_e32 v[100:101], v[100:101], v[104:105]
	v_fma_f64 v[104:105], -v[2:3], v[100:101], 1.0
	v_fmac_f64_e32 v[100:101], v[100:101], v[104:105]
	v_div_scale_f64 v[104:105], vcc, 1.0, v[102:103], 1.0
	v_mul_f64 v[106:107], v[104:105], v[100:101]
	v_fma_f64 v[2:3], -v[2:3], v[106:107], v[104:105]
	s_nop 1
	v_div_fmas_f64 v[2:3], v[2:3], v[100:101], v[106:107]
	v_div_fixup_f64 v[106:107], v[2:3], v[102:103], 1.0
	v_mul_f64 v[104:105], v[0:1], v[106:107]
	v_xor_b32_e32 v107, 0x80000000, v107
                                        ; implicit-def: $vgpr100_vgpr101
.LBB121_327:
	s_andn2_saveexec_b64 s[2:3], s[2:3]
	s_cbranch_execz .LBB121_329
; %bb.328:
	v_div_scale_f64 v[0:1], s[70:71], v[100:101], v[100:101], v[102:103]
	v_rcp_f64_e32 v[2:3], v[0:1]
	v_div_scale_f64 v[104:105], vcc, v[102:103], v[100:101], v[102:103]
	v_fma_f64 v[106:107], -v[0:1], v[2:3], 1.0
	v_fmac_f64_e32 v[2:3], v[2:3], v[106:107]
	v_fma_f64 v[106:107], -v[0:1], v[2:3], 1.0
	v_fmac_f64_e32 v[2:3], v[2:3], v[106:107]
	v_mul_f64 v[106:107], v[104:105], v[2:3]
	v_fma_f64 v[0:1], -v[0:1], v[106:107], v[104:105]
	v_div_fmas_f64 v[0:1], v[0:1], v[2:3], v[106:107]
	v_div_fixup_f64 v[0:1], v[0:1], v[100:101], v[102:103]
	v_fmac_f64_e32 v[100:101], v[102:103], v[0:1]
	v_div_scale_f64 v[2:3], s[70:71], v[100:101], v[100:101], 1.0
	v_rcp_f64_e32 v[102:103], v[2:3]
	s_nop 0
	v_fma_f64 v[104:105], -v[2:3], v[102:103], 1.0
	v_fmac_f64_e32 v[102:103], v[102:103], v[104:105]
	v_fma_f64 v[104:105], -v[2:3], v[102:103], 1.0
	v_fmac_f64_e32 v[102:103], v[102:103], v[104:105]
	v_div_scale_f64 v[104:105], vcc, 1.0, v[100:101], 1.0
	v_mul_f64 v[106:107], v[104:105], v[102:103]
	v_fma_f64 v[2:3], -v[2:3], v[106:107], v[104:105]
	s_nop 1
	v_div_fmas_f64 v[2:3], v[2:3], v[102:103], v[106:107]
	v_div_fixup_f64 v[104:105], v[2:3], v[100:101], 1.0
	v_mul_f64 v[106:107], v[0:1], -v[104:105]
.LBB121_329:
	s_or_b64 exec, exec, s[2:3]
	ds_write2_b64 v253, v[104:105], v[106:107] offset1:1
.LBB121_330:
	s_or_b64 exec, exec, s[4:5]
	s_waitcnt lgkmcnt(0)
	s_barrier
	ds_read2_b64 v[100:103], v253 offset1:1
	v_cmp_lt_u32_e32 vcc, 25, v252
	s_and_saveexec_b64 s[2:3], vcc
	s_cbranch_execz .LBB121_333
; %bb.331:
	scratch_load_dwordx4 v[104:107], off, off offset:400
	v_add_u32_e32 v108, 0x1a0, v248
	s_movk_i32 s4, 0xfdd0
	s_waitcnt vmcnt(0) lgkmcnt(0)
	v_mul_f64 v[0:1], v[102:103], v[106:107]
	v_mul_f64 v[112:113], v[100:101], v[106:107]
	v_fma_f64 v[110:111], v[100:101], v[104:105], -v[0:1]
	v_fmac_f64_e32 v[112:113], v[102:103], v[104:105]
	scratch_store_dwordx4 off, v[110:113], off offset:400
.LBB121_332:                            ; =>This Inner Loop Header: Depth=1
	scratch_load_dwordx4 v[110:113], off, off offset:400
	v_add_u32_e32 v109, s4, v108
	ds_read2_b64 v[104:107], v109 offset0:70 offset1:71
	s_add_i32 s46, s4, 0x3d0
	s_add_i32 s5, s4, 0x430
	s_waitcnt vmcnt(0) lgkmcnt(0)
	v_mul_f64 v[0:1], v[106:107], v[112:113]
	v_mul_f64 v[2:3], v[104:105], v[112:113]
	v_fma_f64 v[0:1], v[104:105], v[110:111], -v[0:1]
	v_fmac_f64_e32 v[2:3], v[106:107], v[110:111]
	scratch_load_dwordx4 v[104:107], off, s46
	s_waitcnt vmcnt(0)
	v_add_f64 v[104:105], v[104:105], -v[0:1]
	v_add_f64 v[106:107], v[106:107], -v[2:3]
	scratch_store_dwordx4 off, v[104:107], s46
	scratch_load_dwordx4 v[110:113], off, off offset:400
	ds_read2_b64 v[104:107], v109 offset0:72 offset1:73
	s_add_i32 s46, s4, 0x3e0
	s_waitcnt vmcnt(0) lgkmcnt(0)
	v_mul_f64 v[0:1], v[106:107], v[112:113]
	v_mul_f64 v[2:3], v[104:105], v[112:113]
	v_fma_f64 v[0:1], v[104:105], v[110:111], -v[0:1]
	v_fmac_f64_e32 v[2:3], v[106:107], v[110:111]
	scratch_load_dwordx4 v[104:107], off, s46
	s_waitcnt vmcnt(0)
	v_add_f64 v[104:105], v[104:105], -v[0:1]
	v_add_f64 v[106:107], v[106:107], -v[2:3]
	scratch_store_dwordx4 off, v[104:107], s46
	scratch_load_dwordx4 v[110:113], off, off offset:400
	ds_read2_b64 v[104:107], v109 offset0:74 offset1:75
	;; [unrolled: 13-line block ×5, first 2 shown]
	s_add_i32 s46, s4, 0x420
	s_addk_i32 s4, 0x70
	s_cmp_lg_u32 s4, 0
	s_waitcnt vmcnt(0) lgkmcnt(0)
	v_mul_f64 v[0:1], v[106:107], v[112:113]
	v_mul_f64 v[2:3], v[104:105], v[112:113]
	v_fma_f64 v[0:1], v[104:105], v[110:111], -v[0:1]
	v_fmac_f64_e32 v[2:3], v[106:107], v[110:111]
	scratch_load_dwordx4 v[104:107], off, s46
	ds_read2_b64 v[110:113], v109 offset0:82 offset1:83
	s_waitcnt vmcnt(0)
	v_add_f64 v[104:105], v[104:105], -v[0:1]
	v_add_f64 v[106:107], v[106:107], -v[2:3]
	scratch_store_dwordx4 off, v[104:107], s46
	scratch_load_dwordx4 v[114:117], off, off offset:400
	s_waitcnt vmcnt(0) lgkmcnt(0)
	v_mul_f64 v[0:1], v[112:113], v[116:117]
	v_mul_f64 v[106:107], v[110:111], v[116:117]
	v_fma_f64 v[104:105], v[110:111], v[114:115], -v[0:1]
	v_fmac_f64_e32 v[106:107], v[112:113], v[114:115]
	scratch_load_dwordx4 v[110:113], off, s5
	s_waitcnt vmcnt(0)
	v_add_f64 v[104:105], v[110:111], -v[104:105]
	v_add_f64 v[106:107], v[112:113], -v[106:107]
	scratch_store_dwordx4 off, v[104:107], s5
	s_cbranch_scc1 .LBB121_332
.LBB121_333:
	s_or_b64 exec, exec, s[2:3]
	v_cmp_eq_u32_e32 vcc, 26, v252
	s_waitcnt lgkmcnt(0)
	s_barrier
	s_and_saveexec_b64 s[4:5], vcc
	s_cbranch_execz .LBB121_340
; %bb.334:
	scratch_load_dwordx4 v[104:107], off, s44
	s_waitcnt vmcnt(0)
	ds_write2_b64 v253, v[104:105], v[106:107] offset1:1
	scratch_load_dwordx4 v[104:107], off, s43
	s_waitcnt vmcnt(0)
	ds_write2_b64 v248, v[104:105], v[106:107] offset0:54 offset1:55
	scratch_load_dwordx4 v[104:107], off, s42
	s_waitcnt vmcnt(0)
	ds_write2_b64 v248, v[104:105], v[106:107] offset0:56 offset1:57
	;; [unrolled: 3-line block ×34, first 2 shown]
	ds_read2_b64 v[104:107], v253 offset1:1
	s_waitcnt lgkmcnt(0)
	v_cmp_neq_f64_e32 vcc, 0, v[104:105]
	v_cmp_neq_f64_e64 s[2:3], 0, v[106:107]
	s_or_b64 s[2:3], vcc, s[2:3]
	s_and_b64 exec, exec, s[2:3]
	s_cbranch_execz .LBB121_340
; %bb.335:
	v_cmp_ngt_f64_e64 s[2:3], |v[104:105]|, |v[106:107]|
                                        ; implicit-def: $vgpr108_vgpr109
	s_and_saveexec_b64 s[70:71], s[2:3]
	s_xor_b64 s[2:3], exec, s[70:71]
                                        ; implicit-def: $vgpr110_vgpr111
	s_cbranch_execz .LBB121_337
; %bb.336:
	v_div_scale_f64 v[0:1], s[70:71], v[106:107], v[106:107], v[104:105]
	v_rcp_f64_e32 v[2:3], v[0:1]
	v_div_scale_f64 v[108:109], vcc, v[104:105], v[106:107], v[104:105]
	v_fma_f64 v[110:111], -v[0:1], v[2:3], 1.0
	v_fmac_f64_e32 v[2:3], v[2:3], v[110:111]
	v_fma_f64 v[110:111], -v[0:1], v[2:3], 1.0
	v_fmac_f64_e32 v[2:3], v[2:3], v[110:111]
	v_mul_f64 v[110:111], v[108:109], v[2:3]
	v_fma_f64 v[0:1], -v[0:1], v[110:111], v[108:109]
	v_div_fmas_f64 v[0:1], v[0:1], v[2:3], v[110:111]
	v_div_fixup_f64 v[0:1], v[0:1], v[106:107], v[104:105]
	v_fmac_f64_e32 v[106:107], v[104:105], v[0:1]
	v_div_scale_f64 v[2:3], s[70:71], v[106:107], v[106:107], 1.0
	v_rcp_f64_e32 v[104:105], v[2:3]
	s_nop 0
	v_fma_f64 v[108:109], -v[2:3], v[104:105], 1.0
	v_fmac_f64_e32 v[104:105], v[104:105], v[108:109]
	v_fma_f64 v[108:109], -v[2:3], v[104:105], 1.0
	v_fmac_f64_e32 v[104:105], v[104:105], v[108:109]
	v_div_scale_f64 v[108:109], vcc, 1.0, v[106:107], 1.0
	v_mul_f64 v[110:111], v[108:109], v[104:105]
	v_fma_f64 v[2:3], -v[2:3], v[110:111], v[108:109]
	s_nop 1
	v_div_fmas_f64 v[2:3], v[2:3], v[104:105], v[110:111]
	v_div_fixup_f64 v[110:111], v[2:3], v[106:107], 1.0
	v_mul_f64 v[108:109], v[0:1], v[110:111]
	v_xor_b32_e32 v111, 0x80000000, v111
                                        ; implicit-def: $vgpr104_vgpr105
.LBB121_337:
	s_andn2_saveexec_b64 s[2:3], s[2:3]
	s_cbranch_execz .LBB121_339
; %bb.338:
	v_div_scale_f64 v[0:1], s[70:71], v[104:105], v[104:105], v[106:107]
	v_rcp_f64_e32 v[2:3], v[0:1]
	v_div_scale_f64 v[108:109], vcc, v[106:107], v[104:105], v[106:107]
	v_fma_f64 v[110:111], -v[0:1], v[2:3], 1.0
	v_fmac_f64_e32 v[2:3], v[2:3], v[110:111]
	v_fma_f64 v[110:111], -v[0:1], v[2:3], 1.0
	v_fmac_f64_e32 v[2:3], v[2:3], v[110:111]
	v_mul_f64 v[110:111], v[108:109], v[2:3]
	v_fma_f64 v[0:1], -v[0:1], v[110:111], v[108:109]
	v_div_fmas_f64 v[0:1], v[0:1], v[2:3], v[110:111]
	v_div_fixup_f64 v[0:1], v[0:1], v[104:105], v[106:107]
	v_fmac_f64_e32 v[104:105], v[106:107], v[0:1]
	v_div_scale_f64 v[2:3], s[70:71], v[104:105], v[104:105], 1.0
	v_rcp_f64_e32 v[106:107], v[2:3]
	s_nop 0
	v_fma_f64 v[108:109], -v[2:3], v[106:107], 1.0
	v_fmac_f64_e32 v[106:107], v[106:107], v[108:109]
	v_fma_f64 v[108:109], -v[2:3], v[106:107], 1.0
	v_fmac_f64_e32 v[106:107], v[106:107], v[108:109]
	v_div_scale_f64 v[108:109], vcc, 1.0, v[104:105], 1.0
	v_mul_f64 v[110:111], v[108:109], v[106:107]
	v_fma_f64 v[2:3], -v[2:3], v[110:111], v[108:109]
	s_nop 1
	v_div_fmas_f64 v[2:3], v[2:3], v[106:107], v[110:111]
	v_div_fixup_f64 v[108:109], v[2:3], v[104:105], 1.0
	v_mul_f64 v[110:111], v[0:1], -v[108:109]
.LBB121_339:
	s_or_b64 exec, exec, s[2:3]
	ds_write2_b64 v253, v[108:109], v[110:111] offset1:1
.LBB121_340:
	s_or_b64 exec, exec, s[4:5]
	s_waitcnt lgkmcnt(0)
	s_barrier
	ds_read2_b64 v[104:107], v253 offset1:1
	v_cmp_lt_u32_e32 vcc, 26, v252
	s_and_saveexec_b64 s[2:3], vcc
	s_cbranch_execz .LBB121_343
; %bb.341:
	scratch_load_dwordx4 v[112:115], off, off offset:416
	s_mov_b32 s4, 0
	s_waitcnt vmcnt(0) lgkmcnt(0)
	v_mul_f64 v[0:1], v[106:107], v[114:115]
	v_mul_f64 v[110:111], v[104:105], v[114:115]
	v_fma_f64 v[108:109], v[104:105], v[112:113], -v[0:1]
	v_fmac_f64_e32 v[110:111], v[106:107], v[112:113]
	v_add_u32_e32 v112, 0x1b0, v248
	scratch_store_dwordx4 off, v[108:111], off offset:416
.LBB121_342:                            ; =>This Inner Loop Header: Depth=1
	v_add_u32_e32 v113, s4, v112
	ds_read2_b64 v[114:117], v113 offset1:1
	s_add_i32 s46, s4, 0x1b0
	s_add_i32 s5, s4, 0x1c0
	;; [unrolled: 1-line block ×3, first 2 shown]
	s_cmpk_lg_i32 s4, 0x220
	s_waitcnt lgkmcnt(0)
	v_mul_f64 v[0:1], v[116:117], v[110:111]
	v_mul_f64 v[2:3], v[114:115], v[110:111]
	v_fma_f64 v[0:1], v[114:115], v[108:109], -v[0:1]
	v_fmac_f64_e32 v[2:3], v[116:117], v[108:109]
	scratch_load_dwordx4 v[114:117], off, s46
	s_waitcnt vmcnt(0)
	v_add_f64 v[114:115], v[114:115], -v[0:1]
	v_add_f64 v[116:117], v[116:117], -v[2:3]
	scratch_store_dwordx4 off, v[114:117], s46
	ds_read2_b64 v[114:117], v113 offset0:2 offset1:3
	s_waitcnt lgkmcnt(0)
	v_mul_f64 v[0:1], v[116:117], v[110:111]
	v_mul_f64 v[2:3], v[114:115], v[110:111]
	v_fma_f64 v[0:1], v[114:115], v[108:109], -v[0:1]
	v_fmac_f64_e32 v[2:3], v[116:117], v[108:109]
	scratch_load_dwordx4 v[114:117], off, s5
	s_waitcnt vmcnt(0)
	v_add_f64 v[114:115], v[114:115], -v[0:1]
	v_add_f64 v[116:117], v[116:117], -v[2:3]
	scratch_store_dwordx4 off, v[114:117], s5
	s_cbranch_scc1 .LBB121_342
.LBB121_343:
	s_or_b64 exec, exec, s[2:3]
	v_cmp_eq_u32_e32 vcc, 27, v252
	s_waitcnt lgkmcnt(0)
	s_barrier
	s_and_saveexec_b64 s[4:5], vcc
	s_cbranch_execz .LBB121_350
; %bb.344:
	scratch_load_dwordx4 v[108:111], off, s43
	s_waitcnt vmcnt(0)
	ds_write2_b64 v253, v[108:109], v[110:111] offset1:1
	scratch_load_dwordx4 v[108:111], off, s42
	s_waitcnt vmcnt(0)
	ds_write2_b64 v248, v[108:109], v[110:111] offset0:56 offset1:57
	scratch_load_dwordx4 v[108:111], off, s41
	s_waitcnt vmcnt(0)
	ds_write2_b64 v248, v[108:109], v[110:111] offset0:58 offset1:59
	;; [unrolled: 3-line block ×33, first 2 shown]
	ds_read2_b64 v[108:111], v253 offset1:1
	s_waitcnt lgkmcnt(0)
	v_cmp_neq_f64_e32 vcc, 0, v[108:109]
	v_cmp_neq_f64_e64 s[2:3], 0, v[110:111]
	s_or_b64 s[2:3], vcc, s[2:3]
	s_and_b64 exec, exec, s[2:3]
	s_cbranch_execz .LBB121_350
; %bb.345:
	v_cmp_ngt_f64_e64 s[2:3], |v[108:109]|, |v[110:111]|
                                        ; implicit-def: $vgpr112_vgpr113
	s_and_saveexec_b64 s[70:71], s[2:3]
	s_xor_b64 s[2:3], exec, s[70:71]
                                        ; implicit-def: $vgpr114_vgpr115
	s_cbranch_execz .LBB121_347
; %bb.346:
	v_div_scale_f64 v[0:1], s[70:71], v[110:111], v[110:111], v[108:109]
	v_rcp_f64_e32 v[2:3], v[0:1]
	v_div_scale_f64 v[112:113], vcc, v[108:109], v[110:111], v[108:109]
	v_fma_f64 v[114:115], -v[0:1], v[2:3], 1.0
	v_fmac_f64_e32 v[2:3], v[2:3], v[114:115]
	v_fma_f64 v[114:115], -v[0:1], v[2:3], 1.0
	v_fmac_f64_e32 v[2:3], v[2:3], v[114:115]
	v_mul_f64 v[114:115], v[112:113], v[2:3]
	v_fma_f64 v[0:1], -v[0:1], v[114:115], v[112:113]
	v_div_fmas_f64 v[0:1], v[0:1], v[2:3], v[114:115]
	v_div_fixup_f64 v[0:1], v[0:1], v[110:111], v[108:109]
	v_fmac_f64_e32 v[110:111], v[108:109], v[0:1]
	v_div_scale_f64 v[2:3], s[70:71], v[110:111], v[110:111], 1.0
	v_rcp_f64_e32 v[108:109], v[2:3]
	s_nop 0
	v_fma_f64 v[112:113], -v[2:3], v[108:109], 1.0
	v_fmac_f64_e32 v[108:109], v[108:109], v[112:113]
	v_fma_f64 v[112:113], -v[2:3], v[108:109], 1.0
	v_fmac_f64_e32 v[108:109], v[108:109], v[112:113]
	v_div_scale_f64 v[112:113], vcc, 1.0, v[110:111], 1.0
	v_mul_f64 v[114:115], v[112:113], v[108:109]
	v_fma_f64 v[2:3], -v[2:3], v[114:115], v[112:113]
	s_nop 1
	v_div_fmas_f64 v[2:3], v[2:3], v[108:109], v[114:115]
	v_div_fixup_f64 v[114:115], v[2:3], v[110:111], 1.0
	v_mul_f64 v[112:113], v[0:1], v[114:115]
	v_xor_b32_e32 v115, 0x80000000, v115
                                        ; implicit-def: $vgpr108_vgpr109
.LBB121_347:
	s_andn2_saveexec_b64 s[2:3], s[2:3]
	s_cbranch_execz .LBB121_349
; %bb.348:
	v_div_scale_f64 v[0:1], s[70:71], v[108:109], v[108:109], v[110:111]
	v_rcp_f64_e32 v[2:3], v[0:1]
	v_div_scale_f64 v[112:113], vcc, v[110:111], v[108:109], v[110:111]
	v_fma_f64 v[114:115], -v[0:1], v[2:3], 1.0
	v_fmac_f64_e32 v[2:3], v[2:3], v[114:115]
	v_fma_f64 v[114:115], -v[0:1], v[2:3], 1.0
	v_fmac_f64_e32 v[2:3], v[2:3], v[114:115]
	v_mul_f64 v[114:115], v[112:113], v[2:3]
	v_fma_f64 v[0:1], -v[0:1], v[114:115], v[112:113]
	v_div_fmas_f64 v[0:1], v[0:1], v[2:3], v[114:115]
	v_div_fixup_f64 v[0:1], v[0:1], v[108:109], v[110:111]
	v_fmac_f64_e32 v[108:109], v[110:111], v[0:1]
	v_div_scale_f64 v[2:3], s[70:71], v[108:109], v[108:109], 1.0
	v_rcp_f64_e32 v[110:111], v[2:3]
	s_nop 0
	v_fma_f64 v[112:113], -v[2:3], v[110:111], 1.0
	v_fmac_f64_e32 v[110:111], v[110:111], v[112:113]
	v_fma_f64 v[112:113], -v[2:3], v[110:111], 1.0
	v_fmac_f64_e32 v[110:111], v[110:111], v[112:113]
	v_div_scale_f64 v[112:113], vcc, 1.0, v[108:109], 1.0
	v_mul_f64 v[114:115], v[112:113], v[110:111]
	v_fma_f64 v[2:3], -v[2:3], v[114:115], v[112:113]
	s_nop 1
	v_div_fmas_f64 v[2:3], v[2:3], v[110:111], v[114:115]
	v_div_fixup_f64 v[112:113], v[2:3], v[108:109], 1.0
	v_mul_f64 v[114:115], v[0:1], -v[112:113]
.LBB121_349:
	s_or_b64 exec, exec, s[2:3]
	ds_write2_b64 v253, v[112:113], v[114:115] offset1:1
.LBB121_350:
	s_or_b64 exec, exec, s[4:5]
	s_waitcnt lgkmcnt(0)
	s_barrier
	ds_read2_b64 v[108:111], v253 offset1:1
	v_cmp_lt_u32_e32 vcc, 27, v252
	s_and_saveexec_b64 s[2:3], vcc
	s_cbranch_execz .LBB121_353
; %bb.351:
	scratch_load_dwordx4 v[112:115], off, off offset:432
	s_movk_i32 s4, 0xfdf0
	s_waitcnt vmcnt(0) lgkmcnt(0)
	v_mul_f64 v[0:1], v[110:111], v[114:115]
	v_mul_f64 v[116:117], v[108:109], v[114:115]
	v_fma_f64 v[114:115], v[108:109], v[112:113], -v[0:1]
	v_fmac_f64_e32 v[116:117], v[110:111], v[112:113]
	scratch_store_dwordx4 off, v[114:117], off offset:432
.LBB121_352:                            ; =>This Inner Loop Header: Depth=1
	scratch_load_dwordx4 v[116:119], off, off offset:432
	v_add_u32_e32 v120, s4, v248
	ds_read2_b64 v[112:115], v120 offset0:122 offset1:123
	s_add_i32 s46, s4, 0x3d0
	s_add_i32 s5, s4, 0x3f0
	s_waitcnt vmcnt(0) lgkmcnt(0)
	v_mul_f64 v[0:1], v[114:115], v[118:119]
	v_mul_f64 v[2:3], v[112:113], v[118:119]
	v_fma_f64 v[0:1], v[112:113], v[116:117], -v[0:1]
	v_fmac_f64_e32 v[2:3], v[114:115], v[116:117]
	scratch_load_dwordx4 v[112:115], off, s46
	s_waitcnt vmcnt(0)
	v_add_f64 v[112:113], v[112:113], -v[0:1]
	v_add_f64 v[114:115], v[114:115], -v[2:3]
	scratch_store_dwordx4 off, v[112:115], s46
	scratch_load_dwordx4 v[116:119], off, off offset:432
	ds_read2_b64 v[112:115], v120 offset0:124 offset1:125
	s_add_i32 s46, s4, 0x3e0
	s_add_i32 s4, s4, 48
	s_cmp_lg_u32 s4, 0
	s_waitcnt vmcnt(0) lgkmcnt(0)
	v_mul_f64 v[0:1], v[114:115], v[118:119]
	v_mul_f64 v[2:3], v[112:113], v[118:119]
	v_fma_f64 v[0:1], v[112:113], v[116:117], -v[0:1]
	v_fmac_f64_e32 v[2:3], v[114:115], v[116:117]
	scratch_load_dwordx4 v[112:115], off, s46
	s_waitcnt vmcnt(0)
	v_add_f64 v[112:113], v[112:113], -v[0:1]
	v_add_f64 v[114:115], v[114:115], -v[2:3]
	scratch_store_dwordx4 off, v[112:115], s46
	scratch_load_dwordx4 v[116:119], off, off offset:432
	ds_read2_b64 v[112:115], v120 offset0:126 offset1:127
	s_waitcnt vmcnt(0) lgkmcnt(0)
	v_mul_f64 v[0:1], v[114:115], v[118:119]
	v_mul_f64 v[2:3], v[112:113], v[118:119]
	v_fma_f64 v[0:1], v[112:113], v[116:117], -v[0:1]
	v_fmac_f64_e32 v[2:3], v[114:115], v[116:117]
	scratch_load_dwordx4 v[112:115], off, s5
	s_waitcnt vmcnt(0)
	v_add_f64 v[112:113], v[112:113], -v[0:1]
	v_add_f64 v[114:115], v[114:115], -v[2:3]
	scratch_store_dwordx4 off, v[112:115], s5
	s_cbranch_scc1 .LBB121_352
.LBB121_353:
	s_or_b64 exec, exec, s[2:3]
	v_cmp_eq_u32_e32 vcc, 28, v252
	s_waitcnt lgkmcnt(0)
	s_barrier
	s_and_saveexec_b64 s[4:5], vcc
	s_cbranch_execz .LBB121_360
; %bb.354:
	scratch_load_dwordx4 v[112:115], off, s42
	s_waitcnt vmcnt(0)
	ds_write2_b64 v253, v[112:113], v[114:115] offset1:1
	scratch_load_dwordx4 v[112:115], off, s41
	s_waitcnt vmcnt(0)
	ds_write2_b64 v248, v[112:113], v[114:115] offset0:58 offset1:59
	scratch_load_dwordx4 v[112:115], off, s40
	s_waitcnt vmcnt(0)
	ds_write2_b64 v248, v[112:113], v[114:115] offset0:60 offset1:61
	;; [unrolled: 3-line block ×32, first 2 shown]
	ds_read2_b64 v[112:115], v253 offset1:1
	s_waitcnt lgkmcnt(0)
	v_cmp_neq_f64_e32 vcc, 0, v[112:113]
	v_cmp_neq_f64_e64 s[2:3], 0, v[114:115]
	s_or_b64 s[2:3], vcc, s[2:3]
	s_and_b64 exec, exec, s[2:3]
	s_cbranch_execz .LBB121_360
; %bb.355:
	v_cmp_ngt_f64_e64 s[2:3], |v[112:113]|, |v[114:115]|
                                        ; implicit-def: $vgpr116_vgpr117
	s_and_saveexec_b64 s[70:71], s[2:3]
	s_xor_b64 s[2:3], exec, s[70:71]
                                        ; implicit-def: $vgpr118_vgpr119
	s_cbranch_execz .LBB121_357
; %bb.356:
	v_div_scale_f64 v[0:1], s[70:71], v[114:115], v[114:115], v[112:113]
	v_rcp_f64_e32 v[2:3], v[0:1]
	v_div_scale_f64 v[116:117], vcc, v[112:113], v[114:115], v[112:113]
	v_fma_f64 v[118:119], -v[0:1], v[2:3], 1.0
	v_fmac_f64_e32 v[2:3], v[2:3], v[118:119]
	v_fma_f64 v[118:119], -v[0:1], v[2:3], 1.0
	v_fmac_f64_e32 v[2:3], v[2:3], v[118:119]
	v_mul_f64 v[118:119], v[116:117], v[2:3]
	v_fma_f64 v[0:1], -v[0:1], v[118:119], v[116:117]
	v_div_fmas_f64 v[0:1], v[0:1], v[2:3], v[118:119]
	v_div_fixup_f64 v[0:1], v[0:1], v[114:115], v[112:113]
	v_fmac_f64_e32 v[114:115], v[112:113], v[0:1]
	v_div_scale_f64 v[2:3], s[70:71], v[114:115], v[114:115], 1.0
	v_rcp_f64_e32 v[112:113], v[2:3]
	s_nop 0
	v_fma_f64 v[116:117], -v[2:3], v[112:113], 1.0
	v_fmac_f64_e32 v[112:113], v[112:113], v[116:117]
	v_fma_f64 v[116:117], -v[2:3], v[112:113], 1.0
	v_fmac_f64_e32 v[112:113], v[112:113], v[116:117]
	v_div_scale_f64 v[116:117], vcc, 1.0, v[114:115], 1.0
	v_mul_f64 v[118:119], v[116:117], v[112:113]
	v_fma_f64 v[2:3], -v[2:3], v[118:119], v[116:117]
	s_nop 1
	v_div_fmas_f64 v[2:3], v[2:3], v[112:113], v[118:119]
	v_div_fixup_f64 v[118:119], v[2:3], v[114:115], 1.0
	v_mul_f64 v[116:117], v[0:1], v[118:119]
	v_xor_b32_e32 v119, 0x80000000, v119
                                        ; implicit-def: $vgpr112_vgpr113
.LBB121_357:
	s_andn2_saveexec_b64 s[2:3], s[2:3]
	s_cbranch_execz .LBB121_359
; %bb.358:
	v_div_scale_f64 v[0:1], s[70:71], v[112:113], v[112:113], v[114:115]
	v_rcp_f64_e32 v[2:3], v[0:1]
	v_div_scale_f64 v[116:117], vcc, v[114:115], v[112:113], v[114:115]
	v_fma_f64 v[118:119], -v[0:1], v[2:3], 1.0
	v_fmac_f64_e32 v[2:3], v[2:3], v[118:119]
	v_fma_f64 v[118:119], -v[0:1], v[2:3], 1.0
	v_fmac_f64_e32 v[2:3], v[2:3], v[118:119]
	v_mul_f64 v[118:119], v[116:117], v[2:3]
	v_fma_f64 v[0:1], -v[0:1], v[118:119], v[116:117]
	v_div_fmas_f64 v[0:1], v[0:1], v[2:3], v[118:119]
	v_div_fixup_f64 v[0:1], v[0:1], v[112:113], v[114:115]
	v_fmac_f64_e32 v[112:113], v[114:115], v[0:1]
	v_div_scale_f64 v[2:3], s[70:71], v[112:113], v[112:113], 1.0
	v_rcp_f64_e32 v[114:115], v[2:3]
	s_nop 0
	v_fma_f64 v[116:117], -v[2:3], v[114:115], 1.0
	v_fmac_f64_e32 v[114:115], v[114:115], v[116:117]
	v_fma_f64 v[116:117], -v[2:3], v[114:115], 1.0
	v_fmac_f64_e32 v[114:115], v[114:115], v[116:117]
	v_div_scale_f64 v[116:117], vcc, 1.0, v[112:113], 1.0
	v_mul_f64 v[118:119], v[116:117], v[114:115]
	v_fma_f64 v[2:3], -v[2:3], v[118:119], v[116:117]
	s_nop 1
	v_div_fmas_f64 v[2:3], v[2:3], v[114:115], v[118:119]
	v_div_fixup_f64 v[116:117], v[2:3], v[112:113], 1.0
	v_mul_f64 v[118:119], v[0:1], -v[116:117]
.LBB121_359:
	s_or_b64 exec, exec, s[2:3]
	ds_write2_b64 v253, v[116:117], v[118:119] offset1:1
.LBB121_360:
	s_or_b64 exec, exec, s[4:5]
	s_waitcnt lgkmcnt(0)
	s_barrier
	ds_read2_b64 v[112:115], v253 offset1:1
	v_cmp_lt_u32_e32 vcc, 28, v252
	s_and_saveexec_b64 s[2:3], vcc
	s_cbranch_execz .LBB121_362
; %bb.361:
	scratch_load_dwordx4 v[116:119], off, off offset:448
	s_waitcnt vmcnt(0) lgkmcnt(0)
	v_mul_f64 v[0:1], v[114:115], v[118:119]
	v_mul_f64 v[122:123], v[112:113], v[118:119]
	v_fma_f64 v[120:121], v[112:113], v[116:117], -v[0:1]
	v_fmac_f64_e32 v[122:123], v[114:115], v[116:117]
	ds_read2_b64 v[116:119], v248 offset0:58 offset1:59
	scratch_store_dwordx4 off, v[120:123], off offset:448
	s_waitcnt lgkmcnt(0)
	v_mul_f64 v[0:1], v[118:119], v[122:123]
	v_mul_f64 v[2:3], v[116:117], v[122:123]
	v_fma_f64 v[0:1], v[116:117], v[120:121], -v[0:1]
	v_fmac_f64_e32 v[2:3], v[118:119], v[120:121]
	scratch_load_dwordx4 v[116:119], off, off offset:464
	s_waitcnt vmcnt(0)
	v_add_f64 v[116:117], v[116:117], -v[0:1]
	v_add_f64 v[118:119], v[118:119], -v[2:3]
	scratch_store_dwordx4 off, v[116:119], off offset:464
	ds_read2_b64 v[116:119], v248 offset0:60 offset1:61
	s_waitcnt lgkmcnt(0)
	v_mul_f64 v[0:1], v[118:119], v[122:123]
	v_mul_f64 v[2:3], v[116:117], v[122:123]
	v_fma_f64 v[0:1], v[116:117], v[120:121], -v[0:1]
	v_fmac_f64_e32 v[2:3], v[118:119], v[120:121]
	scratch_load_dwordx4 v[116:119], off, off offset:480
	s_waitcnt vmcnt(0)
	v_add_f64 v[116:117], v[116:117], -v[0:1]
	v_add_f64 v[118:119], v[118:119], -v[2:3]
	scratch_store_dwordx4 off, v[116:119], off offset:480
	ds_read2_b64 v[116:119], v248 offset0:62 offset1:63
	;; [unrolled: 11-line block ×5, first 2 shown]
	s_waitcnt lgkmcnt(0)
	v_mul_f64 v[0:1], v[118:119], v[122:123]
	v_mul_f64 v[2:3], v[116:117], v[122:123]
	v_fma_f64 v[0:1], v[116:117], v[120:121], -v[0:1]
	v_fmac_f64_e32 v[2:3], v[118:119], v[120:121]
	scratch_load_dwordx4 v[116:119], off, off offset:544
	ds_read2_b64 v[120:123], v248 offset0:70 offset1:71
	s_waitcnt vmcnt(0)
	v_add_f64 v[116:117], v[116:117], -v[0:1]
	v_add_f64 v[118:119], v[118:119], -v[2:3]
	scratch_store_dwordx4 off, v[116:119], off offset:544
	scratch_load_dwordx2 v[0:1], off, off offset:448
	s_nop 0
	scratch_load_dwordx4 v[116:119], off, off offset:448
	s_waitcnt vmcnt(0) lgkmcnt(0)
	v_mul_f64 v[2:3], v[122:123], v[118:119]
	v_mul_f64 v[124:125], v[120:121], v[118:119]
	v_fma_f64 v[2:3], v[120:121], v[0:1], -v[2:3]
	v_fmac_f64_e32 v[124:125], v[122:123], v[0:1]
	scratch_load_dwordx4 v[120:123], off, off offset:560
	s_waitcnt vmcnt(0)
	v_add_f64 v[120:121], v[120:121], -v[2:3]
	v_add_f64 v[122:123], v[122:123], -v[124:125]
	scratch_store_dwordx4 off, v[120:123], off offset:560
	ds_read2_b64 v[120:123], v248 offset0:72 offset1:73
	s_waitcnt lgkmcnt(0)
	v_mul_f64 v[2:3], v[122:123], v[118:119]
	v_mul_f64 v[124:125], v[120:121], v[118:119]
	v_fma_f64 v[2:3], v[120:121], v[0:1], -v[2:3]
	v_fmac_f64_e32 v[124:125], v[122:123], v[0:1]
	scratch_load_dwordx4 v[120:123], off, off offset:576
	s_waitcnt vmcnt(0)
	v_add_f64 v[120:121], v[120:121], -v[2:3]
	v_add_f64 v[122:123], v[122:123], -v[124:125]
	scratch_store_dwordx4 off, v[120:123], off offset:576
	ds_read2_b64 v[120:123], v248 offset0:74 offset1:75
	s_waitcnt lgkmcnt(0)
	v_mul_f64 v[2:3], v[122:123], v[118:119]
	v_mul_f64 v[124:125], v[120:121], v[118:119]
	v_fma_f64 v[2:3], v[120:121], v[0:1], -v[2:3]
	v_fmac_f64_e32 v[124:125], v[122:123], v[0:1]
	scratch_load_dwordx4 v[120:123], off, off offset:592
	s_waitcnt vmcnt(0)
	v_add_f64 v[120:121], v[120:121], -v[2:3]
	v_add_f64 v[122:123], v[122:123], -v[124:125]
	scratch_store_dwordx4 off, v[120:123], off offset:592
	ds_read2_b64 v[120:123], v248 offset0:76 offset1:77
	s_waitcnt lgkmcnt(0)
	v_mul_f64 v[2:3], v[122:123], v[118:119]
	v_mul_f64 v[124:125], v[120:121], v[118:119]
	v_fma_f64 v[2:3], v[120:121], v[0:1], -v[2:3]
	v_fmac_f64_e32 v[124:125], v[122:123], v[0:1]
	scratch_load_dwordx4 v[120:123], off, off offset:608
	s_waitcnt vmcnt(0)
	v_add_f64 v[120:121], v[120:121], -v[2:3]
	v_add_f64 v[122:123], v[122:123], -v[124:125]
	scratch_store_dwordx4 off, v[120:123], off offset:608
	ds_read2_b64 v[120:123], v248 offset0:78 offset1:79
	s_waitcnt lgkmcnt(0)
	v_mul_f64 v[2:3], v[122:123], v[118:119]
	v_mul_f64 v[124:125], v[120:121], v[118:119]
	v_fma_f64 v[2:3], v[120:121], v[0:1], -v[2:3]
	v_fmac_f64_e32 v[124:125], v[122:123], v[0:1]
	scratch_load_dwordx4 v[120:123], off, off offset:624
	s_waitcnt vmcnt(0)
	v_add_f64 v[120:121], v[120:121], -v[2:3]
	v_add_f64 v[122:123], v[122:123], -v[124:125]
	scratch_store_dwordx4 off, v[120:123], off offset:624
	ds_read2_b64 v[120:123], v248 offset0:80 offset1:81
	s_waitcnt lgkmcnt(0)
	v_mul_f64 v[2:3], v[122:123], v[118:119]
	v_fma_f64 v[2:3], v[120:121], v[0:1], -v[2:3]
	v_mul_f64 v[124:125], v[120:121], v[118:119]
	scratch_load_dwordx4 v[118:121], off, off offset:640
	v_fmac_f64_e32 v[124:125], v[122:123], v[0:1]
	s_waitcnt vmcnt(0)
	v_add_f64 v[118:119], v[118:119], -v[2:3]
	v_add_f64 v[120:121], v[120:121], -v[124:125]
	scratch_store_dwordx4 off, v[118:121], off offset:640
	ds_read2_b64 v[120:123], v248 offset0:82 offset1:83
	scratch_load_dwordx2 v[118:119], off, off offset:448
	scratch_load_dwordx2 v[0:1], off, off offset:456
	s_waitcnt vmcnt(0) lgkmcnt(0)
	v_mul_f64 v[2:3], v[122:123], v[0:1]
	v_mul_f64 v[124:125], v[120:121], v[0:1]
	v_fma_f64 v[2:3], v[120:121], v[118:119], -v[2:3]
	v_fmac_f64_e32 v[124:125], v[122:123], v[118:119]
	scratch_load_dwordx4 v[120:123], off, off offset:656
	s_waitcnt vmcnt(0)
	v_add_f64 v[120:121], v[120:121], -v[2:3]
	v_add_f64 v[122:123], v[122:123], -v[124:125]
	scratch_store_dwordx4 off, v[120:123], off offset:656
	ds_read2_b64 v[120:123], v248 offset0:84 offset1:85
	s_waitcnt lgkmcnt(0)
	v_mul_f64 v[2:3], v[122:123], v[0:1]
	v_mul_f64 v[124:125], v[120:121], v[0:1]
	v_fma_f64 v[2:3], v[120:121], v[118:119], -v[2:3]
	v_fmac_f64_e32 v[124:125], v[122:123], v[118:119]
	scratch_load_dwordx4 v[120:123], off, off offset:672
	s_waitcnt vmcnt(0)
	v_add_f64 v[120:121], v[120:121], -v[2:3]
	v_add_f64 v[122:123], v[122:123], -v[124:125]
	scratch_store_dwordx4 off, v[120:123], off offset:672
	ds_read2_b64 v[120:123], v248 offset0:86 offset1:87
	s_waitcnt lgkmcnt(0)
	;; [unrolled: 11-line block ×5, first 2 shown]
	v_mul_f64 v[2:3], v[122:123], v[0:1]
	v_mul_f64 v[0:1], v[120:121], v[0:1]
	v_fma_f64 v[2:3], v[120:121], v[118:119], -v[2:3]
	v_fmac_f64_e32 v[0:1], v[122:123], v[118:119]
	scratch_load_dwordx4 v[118:121], off, off offset:736
	s_waitcnt vmcnt(0)
	v_add_f64 v[118:119], v[118:119], -v[2:3]
	v_add_f64 v[120:121], v[120:121], -v[0:1]
	scratch_store_dwordx4 off, v[118:121], off offset:736
	ds_read2_b64 v[118:121], v248 offset0:94 offset1:95
	scratch_load_dwordx2 v[0:1], off, off offset:448
	scratch_load_dwordx2 v[2:3], off, off offset:456
	s_waitcnt vmcnt(0) lgkmcnt(0)
	v_mul_f64 v[122:123], v[120:121], v[2:3]
	v_mul_f64 v[124:125], v[118:119], v[2:3]
	v_fma_f64 v[122:123], v[118:119], v[0:1], -v[122:123]
	v_fmac_f64_e32 v[124:125], v[120:121], v[0:1]
	scratch_load_dwordx4 v[118:121], off, off offset:752
	s_waitcnt vmcnt(0)
	v_add_f64 v[118:119], v[118:119], -v[122:123]
	v_add_f64 v[120:121], v[120:121], -v[124:125]
	scratch_store_dwordx4 off, v[118:121], off offset:752
	ds_read2_b64 v[118:121], v248 offset0:96 offset1:97
	s_waitcnt lgkmcnt(0)
	v_mul_f64 v[122:123], v[120:121], v[2:3]
	v_mul_f64 v[124:125], v[118:119], v[2:3]
	v_fma_f64 v[122:123], v[118:119], v[0:1], -v[122:123]
	v_fmac_f64_e32 v[124:125], v[120:121], v[0:1]
	scratch_load_dwordx4 v[118:121], off, off offset:768
	s_waitcnt vmcnt(0)
	v_add_f64 v[118:119], v[118:119], -v[122:123]
	v_add_f64 v[120:121], v[120:121], -v[124:125]
	scratch_store_dwordx4 off, v[118:121], off offset:768
	ds_read2_b64 v[118:121], v248 offset0:98 offset1:99
	s_waitcnt lgkmcnt(0)
	;; [unrolled: 11-line block ×5, first 2 shown]
	v_mul_f64 v[122:123], v[120:121], v[2:3]
	v_mul_f64 v[2:3], v[118:119], v[2:3]
	v_fma_f64 v[122:123], v[118:119], v[0:1], -v[122:123]
	v_fmac_f64_e32 v[2:3], v[120:121], v[0:1]
	scratch_load_dwordx4 v[118:121], off, off offset:832
	s_waitcnt vmcnt(0)
	v_add_f64 v[118:119], v[118:119], -v[122:123]
	v_add_f64 v[120:121], v[120:121], -v[2:3]
	scratch_store_dwordx4 off, v[118:121], off offset:832
	ds_read2_b64 v[122:125], v248 offset0:106 offset1:107
	scratch_load_dwordx2 v[118:119], off, off offset:448
	scratch_load_dwordx2 v[120:121], off, off offset:456
	s_waitcnt vmcnt(0) lgkmcnt(0)
	v_mul_f64 v[0:1], v[124:125], v[120:121]
	v_mul_f64 v[2:3], v[122:123], v[120:121]
	v_fma_f64 v[0:1], v[122:123], v[118:119], -v[0:1]
	v_fmac_f64_e32 v[2:3], v[124:125], v[118:119]
	scratch_load_dwordx4 v[122:125], off, off offset:848
	s_waitcnt vmcnt(0)
	v_add_f64 v[122:123], v[122:123], -v[0:1]
	v_add_f64 v[124:125], v[124:125], -v[2:3]
	scratch_store_dwordx4 off, v[122:125], off offset:848
	ds_read2_b64 v[124:127], v248 offset0:108 offset1:109
	s_waitcnt lgkmcnt(0)
	v_mul_f64 v[0:1], v[126:127], v[120:121]
	v_fma_f64 v[122:123], v[124:125], v[118:119], -v[0:1]
	v_mul_f64 v[124:125], v[124:125], v[120:121]
	v_fmac_f64_e32 v[124:125], v[126:127], v[118:119]
	scratch_load_dwordx4 v[126:129], off, off offset:864
	s_waitcnt vmcnt(0)
	v_add_f64 v[122:123], v[126:127], -v[122:123]
	v_add_f64 v[124:125], v[128:129], -v[124:125]
	scratch_store_dwordx4 off, v[122:125], off offset:864
	ds_read2_b64 v[122:125], v248 offset0:110 offset1:111
	s_waitcnt lgkmcnt(0)
	v_mul_f64 v[0:1], v[124:125], v[120:121]
	v_mul_f64 v[2:3], v[122:123], v[120:121]
	v_fma_f64 v[0:1], v[122:123], v[118:119], -v[0:1]
	v_fmac_f64_e32 v[2:3], v[124:125], v[118:119]
	scratch_load_dwordx4 v[122:125], off, off offset:880
	s_waitcnt vmcnt(0)
	v_add_f64 v[122:123], v[122:123], -v[0:1]
	v_add_f64 v[124:125], v[124:125], -v[2:3]
	scratch_store_dwordx4 off, v[122:125], off offset:880
	ds_read2_b64 v[122:125], v248 offset0:112 offset1:113
	s_waitcnt lgkmcnt(0)
	v_mul_f64 v[0:1], v[124:125], v[120:121]
	v_mul_f64 v[2:3], v[122:123], v[120:121]
	v_fma_f64 v[0:1], v[122:123], v[118:119], -v[0:1]
	;; [unrolled: 11-line block ×4, first 2 shown]
	v_fmac_f64_e32 v[2:3], v[124:125], v[118:119]
	scratch_load_dwordx4 v[118:121], off, off offset:928
	s_waitcnt vmcnt(0)
	v_add_f64 v[118:119], v[118:119], -v[0:1]
	scratch_load_dwordx2 v[0:1], off, off offset:456
	v_add_f64 v[120:121], v[120:121], -v[2:3]
	scratch_store_dwordx4 off, v[118:121], off offset:928
	ds_read2_b64 v[118:121], v248 offset0:118 offset1:119
	s_waitcnt vmcnt(1) lgkmcnt(0)
	v_mul_f64 v[2:3], v[120:121], v[0:1]
	v_mul_f64 v[122:123], v[118:119], v[0:1]
	v_fma_f64 v[2:3], v[118:119], v[116:117], -v[2:3]
	v_fmac_f64_e32 v[122:123], v[120:121], v[116:117]
	scratch_load_dwordx4 v[118:121], off, off offset:944
	s_waitcnt vmcnt(0)
	v_add_f64 v[118:119], v[118:119], -v[2:3]
	v_add_f64 v[120:121], v[120:121], -v[122:123]
	scratch_store_dwordx4 off, v[118:121], off offset:944
	ds_read2_b64 v[120:123], v248 offset0:120 offset1:121
	s_waitcnt lgkmcnt(0)
	v_mul_f64 v[2:3], v[122:123], v[0:1]
	v_fma_f64 v[118:119], v[120:121], v[116:117], -v[2:3]
	v_mul_f64 v[120:121], v[120:121], v[0:1]
	v_fmac_f64_e32 v[120:121], v[122:123], v[116:117]
	scratch_load_dwordx4 v[122:125], off, off offset:960
	s_waitcnt vmcnt(0)
	v_add_f64 v[116:117], v[122:123], -v[118:119]
	v_add_f64 v[118:119], v[124:125], -v[120:121]
	scratch_store_dwordx4 off, v[116:119], off offset:960
.LBB121_362:
	s_or_b64 exec, exec, s[2:3]
	v_cmp_eq_u32_e32 vcc, 29, v252
	s_waitcnt lgkmcnt(0)
	s_barrier
	s_and_saveexec_b64 s[4:5], vcc
	s_cbranch_execz .LBB121_369
; %bb.363:
	scratch_load_dwordx4 v[116:119], off, s41
	s_waitcnt vmcnt(0)
	ds_write2_b64 v253, v[116:117], v[118:119] offset1:1
	scratch_load_dwordx4 v[116:119], off, s40
	s_waitcnt vmcnt(0)
	ds_write2_b64 v248, v[116:117], v[118:119] offset0:60 offset1:61
	scratch_load_dwordx4 v[116:119], off, s39
	s_waitcnt vmcnt(0)
	ds_write2_b64 v248, v[116:117], v[118:119] offset0:62 offset1:63
	;; [unrolled: 3-line block ×31, first 2 shown]
	ds_read2_b64 v[116:119], v253 offset1:1
	s_waitcnt lgkmcnt(0)
	v_cmp_neq_f64_e32 vcc, 0, v[116:117]
	v_cmp_neq_f64_e64 s[2:3], 0, v[118:119]
	s_or_b64 s[2:3], vcc, s[2:3]
	s_and_b64 exec, exec, s[2:3]
	s_cbranch_execz .LBB121_369
; %bb.364:
	v_cmp_ngt_f64_e64 s[2:3], |v[116:117]|, |v[118:119]|
                                        ; implicit-def: $vgpr120_vgpr121
	s_and_saveexec_b64 s[70:71], s[2:3]
	s_xor_b64 s[2:3], exec, s[70:71]
                                        ; implicit-def: $vgpr122_vgpr123
	s_cbranch_execz .LBB121_366
; %bb.365:
	v_div_scale_f64 v[0:1], s[70:71], v[118:119], v[118:119], v[116:117]
	v_rcp_f64_e32 v[2:3], v[0:1]
	v_div_scale_f64 v[120:121], vcc, v[116:117], v[118:119], v[116:117]
	v_fma_f64 v[122:123], -v[0:1], v[2:3], 1.0
	v_fmac_f64_e32 v[2:3], v[2:3], v[122:123]
	v_fma_f64 v[122:123], -v[0:1], v[2:3], 1.0
	v_fmac_f64_e32 v[2:3], v[2:3], v[122:123]
	v_mul_f64 v[122:123], v[120:121], v[2:3]
	v_fma_f64 v[0:1], -v[0:1], v[122:123], v[120:121]
	v_div_fmas_f64 v[0:1], v[0:1], v[2:3], v[122:123]
	v_div_fixup_f64 v[0:1], v[0:1], v[118:119], v[116:117]
	v_fmac_f64_e32 v[118:119], v[116:117], v[0:1]
	v_div_scale_f64 v[2:3], s[70:71], v[118:119], v[118:119], 1.0
	v_rcp_f64_e32 v[116:117], v[2:3]
	s_nop 0
	v_fma_f64 v[120:121], -v[2:3], v[116:117], 1.0
	v_fmac_f64_e32 v[116:117], v[116:117], v[120:121]
	v_fma_f64 v[120:121], -v[2:3], v[116:117], 1.0
	v_fmac_f64_e32 v[116:117], v[116:117], v[120:121]
	v_div_scale_f64 v[120:121], vcc, 1.0, v[118:119], 1.0
	v_mul_f64 v[122:123], v[120:121], v[116:117]
	v_fma_f64 v[2:3], -v[2:3], v[122:123], v[120:121]
	s_nop 1
	v_div_fmas_f64 v[2:3], v[2:3], v[116:117], v[122:123]
	v_div_fixup_f64 v[122:123], v[2:3], v[118:119], 1.0
	v_mul_f64 v[120:121], v[0:1], v[122:123]
	v_xor_b32_e32 v123, 0x80000000, v123
                                        ; implicit-def: $vgpr116_vgpr117
.LBB121_366:
	s_andn2_saveexec_b64 s[2:3], s[2:3]
	s_cbranch_execz .LBB121_368
; %bb.367:
	v_div_scale_f64 v[0:1], s[70:71], v[116:117], v[116:117], v[118:119]
	v_rcp_f64_e32 v[2:3], v[0:1]
	v_div_scale_f64 v[120:121], vcc, v[118:119], v[116:117], v[118:119]
	v_fma_f64 v[122:123], -v[0:1], v[2:3], 1.0
	v_fmac_f64_e32 v[2:3], v[2:3], v[122:123]
	v_fma_f64 v[122:123], -v[0:1], v[2:3], 1.0
	v_fmac_f64_e32 v[2:3], v[2:3], v[122:123]
	v_mul_f64 v[122:123], v[120:121], v[2:3]
	v_fma_f64 v[0:1], -v[0:1], v[122:123], v[120:121]
	v_div_fmas_f64 v[0:1], v[0:1], v[2:3], v[122:123]
	v_div_fixup_f64 v[0:1], v[0:1], v[116:117], v[118:119]
	v_fmac_f64_e32 v[116:117], v[118:119], v[0:1]
	v_div_scale_f64 v[2:3], s[70:71], v[116:117], v[116:117], 1.0
	v_rcp_f64_e32 v[118:119], v[2:3]
	s_nop 0
	v_fma_f64 v[120:121], -v[2:3], v[118:119], 1.0
	v_fmac_f64_e32 v[118:119], v[118:119], v[120:121]
	v_fma_f64 v[120:121], -v[2:3], v[118:119], 1.0
	v_fmac_f64_e32 v[118:119], v[118:119], v[120:121]
	v_div_scale_f64 v[120:121], vcc, 1.0, v[116:117], 1.0
	v_mul_f64 v[122:123], v[120:121], v[118:119]
	v_fma_f64 v[2:3], -v[2:3], v[122:123], v[120:121]
	s_nop 1
	v_div_fmas_f64 v[2:3], v[2:3], v[118:119], v[122:123]
	v_div_fixup_f64 v[120:121], v[2:3], v[116:117], 1.0
	v_mul_f64 v[122:123], v[0:1], -v[120:121]
.LBB121_368:
	s_or_b64 exec, exec, s[2:3]
	ds_write2_b64 v253, v[120:121], v[122:123] offset1:1
.LBB121_369:
	s_or_b64 exec, exec, s[4:5]
	s_waitcnt lgkmcnt(0)
	s_barrier
	ds_read2_b64 v[116:119], v253 offset1:1
	v_cmp_lt_u32_e32 vcc, 29, v252
	s_and_saveexec_b64 s[2:3], vcc
	s_cbranch_execz .LBB121_371
; %bb.370:
	scratch_load_dwordx4 v[120:123], off, off offset:464
	s_waitcnt vmcnt(0) lgkmcnt(0)
	v_mul_f64 v[0:1], v[118:119], v[122:123]
	v_mul_f64 v[126:127], v[116:117], v[122:123]
	v_fma_f64 v[124:125], v[116:117], v[120:121], -v[0:1]
	v_fmac_f64_e32 v[126:127], v[118:119], v[120:121]
	ds_read2_b64 v[120:123], v248 offset0:60 offset1:61
	scratch_store_dwordx4 off, v[124:127], off offset:464
	s_waitcnt lgkmcnt(0)
	v_mul_f64 v[0:1], v[122:123], v[126:127]
	v_mul_f64 v[2:3], v[120:121], v[126:127]
	v_fma_f64 v[0:1], v[120:121], v[124:125], -v[0:1]
	v_fmac_f64_e32 v[2:3], v[122:123], v[124:125]
	scratch_load_dwordx4 v[120:123], off, off offset:480
	s_waitcnt vmcnt(0)
	v_add_f64 v[120:121], v[120:121], -v[0:1]
	v_add_f64 v[122:123], v[122:123], -v[2:3]
	scratch_store_dwordx4 off, v[120:123], off offset:480
	ds_read2_b64 v[120:123], v248 offset0:62 offset1:63
	s_waitcnt lgkmcnt(0)
	v_mul_f64 v[0:1], v[122:123], v[126:127]
	v_mul_f64 v[2:3], v[120:121], v[126:127]
	v_fma_f64 v[0:1], v[120:121], v[124:125], -v[0:1]
	v_fmac_f64_e32 v[2:3], v[122:123], v[124:125]
	scratch_load_dwordx4 v[120:123], off, off offset:496
	s_waitcnt vmcnt(0)
	v_add_f64 v[120:121], v[120:121], -v[0:1]
	v_add_f64 v[122:123], v[122:123], -v[2:3]
	scratch_store_dwordx4 off, v[120:123], off offset:496
	ds_read2_b64 v[120:123], v248 offset0:64 offset1:65
	;; [unrolled: 11-line block ×5, first 2 shown]
	s_waitcnt lgkmcnt(0)
	v_mul_f64 v[0:1], v[122:123], v[126:127]
	v_mul_f64 v[2:3], v[120:121], v[126:127]
	v_fma_f64 v[0:1], v[120:121], v[124:125], -v[0:1]
	v_fmac_f64_e32 v[2:3], v[122:123], v[124:125]
	scratch_load_dwordx4 v[120:123], off, off offset:560
	ds_read2_b64 v[124:127], v248 offset0:72 offset1:73
	s_waitcnt vmcnt(0)
	v_add_f64 v[120:121], v[120:121], -v[0:1]
	v_add_f64 v[122:123], v[122:123], -v[2:3]
	scratch_store_dwordx4 off, v[120:123], off offset:560
	scratch_load_dwordx2 v[0:1], off, off offset:464
	s_nop 0
	scratch_load_dwordx4 v[120:123], off, off offset:464
	s_waitcnt vmcnt(0) lgkmcnt(0)
	v_mul_f64 v[2:3], v[126:127], v[122:123]
	v_mul_f64 v[128:129], v[124:125], v[122:123]
	v_fma_f64 v[2:3], v[124:125], v[0:1], -v[2:3]
	v_fmac_f64_e32 v[128:129], v[126:127], v[0:1]
	scratch_load_dwordx4 v[124:127], off, off offset:576
	s_waitcnt vmcnt(0)
	v_add_f64 v[124:125], v[124:125], -v[2:3]
	v_add_f64 v[126:127], v[126:127], -v[128:129]
	scratch_store_dwordx4 off, v[124:127], off offset:576
	ds_read2_b64 v[124:127], v248 offset0:74 offset1:75
	s_waitcnt lgkmcnt(0)
	v_mul_f64 v[2:3], v[126:127], v[122:123]
	v_mul_f64 v[128:129], v[124:125], v[122:123]
	v_fma_f64 v[2:3], v[124:125], v[0:1], -v[2:3]
	v_fmac_f64_e32 v[128:129], v[126:127], v[0:1]
	scratch_load_dwordx4 v[124:127], off, off offset:592
	s_waitcnt vmcnt(0)
	v_add_f64 v[124:125], v[124:125], -v[2:3]
	v_add_f64 v[126:127], v[126:127], -v[128:129]
	scratch_store_dwordx4 off, v[124:127], off offset:592
	ds_read2_b64 v[124:127], v248 offset0:76 offset1:77
	s_waitcnt lgkmcnt(0)
	;; [unrolled: 11-line block ×5, first 2 shown]
	v_mul_f64 v[2:3], v[126:127], v[122:123]
	v_fma_f64 v[2:3], v[124:125], v[0:1], -v[2:3]
	v_mul_f64 v[128:129], v[124:125], v[122:123]
	scratch_load_dwordx4 v[122:125], off, off offset:656
	v_fmac_f64_e32 v[128:129], v[126:127], v[0:1]
	s_waitcnt vmcnt(0)
	v_add_f64 v[122:123], v[122:123], -v[2:3]
	v_add_f64 v[124:125], v[124:125], -v[128:129]
	scratch_store_dwordx4 off, v[122:125], off offset:656
	ds_read2_b64 v[124:127], v248 offset0:84 offset1:85
	scratch_load_dwordx2 v[122:123], off, off offset:464
	scratch_load_dwordx2 v[0:1], off, off offset:472
	s_waitcnt vmcnt(0) lgkmcnt(0)
	v_mul_f64 v[2:3], v[126:127], v[0:1]
	v_mul_f64 v[128:129], v[124:125], v[0:1]
	v_fma_f64 v[2:3], v[124:125], v[122:123], -v[2:3]
	v_fmac_f64_e32 v[128:129], v[126:127], v[122:123]
	scratch_load_dwordx4 v[124:127], off, off offset:672
	s_waitcnt vmcnt(0)
	v_add_f64 v[124:125], v[124:125], -v[2:3]
	v_add_f64 v[126:127], v[126:127], -v[128:129]
	scratch_store_dwordx4 off, v[124:127], off offset:672
	ds_read2_b64 v[124:127], v248 offset0:86 offset1:87
	s_waitcnt lgkmcnt(0)
	v_mul_f64 v[2:3], v[126:127], v[0:1]
	v_mul_f64 v[128:129], v[124:125], v[0:1]
	v_fma_f64 v[2:3], v[124:125], v[122:123], -v[2:3]
	v_fmac_f64_e32 v[128:129], v[126:127], v[122:123]
	scratch_load_dwordx4 v[124:127], off, off offset:688
	s_waitcnt vmcnt(0)
	v_add_f64 v[124:125], v[124:125], -v[2:3]
	v_add_f64 v[126:127], v[126:127], -v[128:129]
	scratch_store_dwordx4 off, v[124:127], off offset:688
	ds_read2_b64 v[124:127], v248 offset0:88 offset1:89
	s_waitcnt lgkmcnt(0)
	;; [unrolled: 11-line block ×5, first 2 shown]
	v_mul_f64 v[2:3], v[126:127], v[0:1]
	v_mul_f64 v[0:1], v[124:125], v[0:1]
	v_fma_f64 v[2:3], v[124:125], v[122:123], -v[2:3]
	v_fmac_f64_e32 v[0:1], v[126:127], v[122:123]
	scratch_load_dwordx4 v[122:125], off, off offset:752
	s_waitcnt vmcnt(0)
	v_add_f64 v[122:123], v[122:123], -v[2:3]
	v_add_f64 v[124:125], v[124:125], -v[0:1]
	scratch_store_dwordx4 off, v[122:125], off offset:752
	ds_read2_b64 v[122:125], v248 offset0:96 offset1:97
	scratch_load_dwordx2 v[0:1], off, off offset:464
	scratch_load_dwordx2 v[2:3], off, off offset:472
	s_waitcnt vmcnt(0) lgkmcnt(0)
	v_mul_f64 v[126:127], v[124:125], v[2:3]
	v_mul_f64 v[128:129], v[122:123], v[2:3]
	v_fma_f64 v[126:127], v[122:123], v[0:1], -v[126:127]
	v_fmac_f64_e32 v[128:129], v[124:125], v[0:1]
	scratch_load_dwordx4 v[122:125], off, off offset:768
	s_waitcnt vmcnt(0)
	v_add_f64 v[122:123], v[122:123], -v[126:127]
	v_add_f64 v[124:125], v[124:125], -v[128:129]
	scratch_store_dwordx4 off, v[122:125], off offset:768
	ds_read2_b64 v[122:125], v248 offset0:98 offset1:99
	s_waitcnt lgkmcnt(0)
	v_mul_f64 v[126:127], v[124:125], v[2:3]
	v_mul_f64 v[128:129], v[122:123], v[2:3]
	v_fma_f64 v[126:127], v[122:123], v[0:1], -v[126:127]
	v_fmac_f64_e32 v[128:129], v[124:125], v[0:1]
	scratch_load_dwordx4 v[122:125], off, off offset:784
	s_waitcnt vmcnt(0)
	v_add_f64 v[122:123], v[122:123], -v[126:127]
	v_add_f64 v[124:125], v[124:125], -v[128:129]
	scratch_store_dwordx4 off, v[122:125], off offset:784
	ds_read2_b64 v[122:125], v248 offset0:100 offset1:101
	s_waitcnt lgkmcnt(0)
	;; [unrolled: 11-line block ×5, first 2 shown]
	v_mul_f64 v[126:127], v[124:125], v[2:3]
	v_mul_f64 v[2:3], v[122:123], v[2:3]
	v_fma_f64 v[126:127], v[122:123], v[0:1], -v[126:127]
	v_fmac_f64_e32 v[2:3], v[124:125], v[0:1]
	scratch_load_dwordx4 v[122:125], off, off offset:848
	s_waitcnt vmcnt(0)
	v_add_f64 v[122:123], v[122:123], -v[126:127]
	v_add_f64 v[124:125], v[124:125], -v[2:3]
	scratch_store_dwordx4 off, v[122:125], off offset:848
	ds_read2_b64 v[126:129], v248 offset0:108 offset1:109
	scratch_load_dwordx2 v[122:123], off, off offset:464
	scratch_load_dwordx2 v[124:125], off, off offset:472
	s_waitcnt vmcnt(0) lgkmcnt(0)
	v_mul_f64 v[0:1], v[128:129], v[124:125]
	v_mul_f64 v[2:3], v[126:127], v[124:125]
	v_fma_f64 v[0:1], v[126:127], v[122:123], -v[0:1]
	v_fmac_f64_e32 v[2:3], v[128:129], v[122:123]
	scratch_load_dwordx4 v[126:129], off, off offset:864
	s_waitcnt vmcnt(0)
	v_add_f64 v[126:127], v[126:127], -v[0:1]
	v_add_f64 v[128:129], v[128:129], -v[2:3]
	scratch_store_dwordx4 off, v[126:129], off offset:864
	ds_read2_b64 v[128:131], v248 offset0:110 offset1:111
	s_waitcnt lgkmcnt(0)
	v_mul_f64 v[0:1], v[130:131], v[124:125]
	v_fma_f64 v[126:127], v[128:129], v[122:123], -v[0:1]
	v_mul_f64 v[128:129], v[128:129], v[124:125]
	v_fmac_f64_e32 v[128:129], v[130:131], v[122:123]
	scratch_load_dwordx4 v[130:133], off, off offset:880
	s_waitcnt vmcnt(0)
	v_add_f64 v[126:127], v[130:131], -v[126:127]
	v_add_f64 v[128:129], v[132:133], -v[128:129]
	scratch_store_dwordx4 off, v[126:129], off offset:880
	ds_read2_b64 v[126:129], v248 offset0:112 offset1:113
	s_waitcnt lgkmcnt(0)
	v_mul_f64 v[0:1], v[128:129], v[124:125]
	v_mul_f64 v[2:3], v[126:127], v[124:125]
	v_fma_f64 v[0:1], v[126:127], v[122:123], -v[0:1]
	v_fmac_f64_e32 v[2:3], v[128:129], v[122:123]
	scratch_load_dwordx4 v[126:129], off, off offset:896
	s_waitcnt vmcnt(0)
	v_add_f64 v[126:127], v[126:127], -v[0:1]
	v_add_f64 v[128:129], v[128:129], -v[2:3]
	scratch_store_dwordx4 off, v[126:129], off offset:896
	ds_read2_b64 v[126:129], v248 offset0:114 offset1:115
	s_waitcnt lgkmcnt(0)
	v_mul_f64 v[0:1], v[128:129], v[124:125]
	v_mul_f64 v[2:3], v[126:127], v[124:125]
	v_fma_f64 v[0:1], v[126:127], v[122:123], -v[0:1]
	;; [unrolled: 11-line block ×4, first 2 shown]
	v_fmac_f64_e32 v[2:3], v[128:129], v[122:123]
	scratch_load_dwordx4 v[122:125], off, off offset:944
	s_waitcnt vmcnt(0)
	v_add_f64 v[122:123], v[122:123], -v[0:1]
	scratch_load_dwordx2 v[0:1], off, off offset:472
	v_add_f64 v[124:125], v[124:125], -v[2:3]
	scratch_store_dwordx4 off, v[122:125], off offset:944
	ds_read2_b64 v[124:127], v248 offset0:120 offset1:121
	s_waitcnt vmcnt(1) lgkmcnt(0)
	v_mul_f64 v[2:3], v[126:127], v[0:1]
	v_fma_f64 v[122:123], v[124:125], v[120:121], -v[2:3]
	v_mul_f64 v[124:125], v[124:125], v[0:1]
	v_fmac_f64_e32 v[124:125], v[126:127], v[120:121]
	scratch_load_dwordx4 v[126:129], off, off offset:960
	s_waitcnt vmcnt(0)
	v_add_f64 v[120:121], v[126:127], -v[122:123]
	v_add_f64 v[122:123], v[128:129], -v[124:125]
	scratch_store_dwordx4 off, v[120:123], off offset:960
.LBB121_371:
	s_or_b64 exec, exec, s[2:3]
	v_cmp_eq_u32_e32 vcc, 30, v252
	s_waitcnt lgkmcnt(0)
	s_barrier
	s_and_saveexec_b64 s[4:5], vcc
	s_cbranch_execz .LBB121_378
; %bb.372:
	scratch_load_dwordx4 v[120:123], off, s40
	s_waitcnt vmcnt(0)
	ds_write2_b64 v253, v[120:121], v[122:123] offset1:1
	scratch_load_dwordx4 v[120:123], off, s39
	s_waitcnt vmcnt(0)
	ds_write2_b64 v248, v[120:121], v[122:123] offset0:62 offset1:63
	scratch_load_dwordx4 v[120:123], off, s38
	s_waitcnt vmcnt(0)
	ds_write2_b64 v248, v[120:121], v[122:123] offset0:64 offset1:65
	;; [unrolled: 3-line block ×30, first 2 shown]
	ds_read2_b64 v[120:123], v253 offset1:1
	s_waitcnt lgkmcnt(0)
	v_cmp_neq_f64_e32 vcc, 0, v[120:121]
	v_cmp_neq_f64_e64 s[2:3], 0, v[122:123]
	s_or_b64 s[2:3], vcc, s[2:3]
	s_and_b64 exec, exec, s[2:3]
	s_cbranch_execz .LBB121_378
; %bb.373:
	v_cmp_ngt_f64_e64 s[2:3], |v[120:121]|, |v[122:123]|
                                        ; implicit-def: $vgpr124_vgpr125
	s_and_saveexec_b64 s[70:71], s[2:3]
	s_xor_b64 s[2:3], exec, s[70:71]
                                        ; implicit-def: $vgpr126_vgpr127
	s_cbranch_execz .LBB121_375
; %bb.374:
	v_div_scale_f64 v[0:1], s[70:71], v[122:123], v[122:123], v[120:121]
	v_rcp_f64_e32 v[2:3], v[0:1]
	v_div_scale_f64 v[124:125], vcc, v[120:121], v[122:123], v[120:121]
	v_fma_f64 v[126:127], -v[0:1], v[2:3], 1.0
	v_fmac_f64_e32 v[2:3], v[2:3], v[126:127]
	v_fma_f64 v[126:127], -v[0:1], v[2:3], 1.0
	v_fmac_f64_e32 v[2:3], v[2:3], v[126:127]
	v_mul_f64 v[126:127], v[124:125], v[2:3]
	v_fma_f64 v[0:1], -v[0:1], v[126:127], v[124:125]
	v_div_fmas_f64 v[0:1], v[0:1], v[2:3], v[126:127]
	v_div_fixup_f64 v[0:1], v[0:1], v[122:123], v[120:121]
	v_fmac_f64_e32 v[122:123], v[120:121], v[0:1]
	v_div_scale_f64 v[2:3], s[70:71], v[122:123], v[122:123], 1.0
	v_rcp_f64_e32 v[120:121], v[2:3]
	s_nop 0
	v_fma_f64 v[124:125], -v[2:3], v[120:121], 1.0
	v_fmac_f64_e32 v[120:121], v[120:121], v[124:125]
	v_fma_f64 v[124:125], -v[2:3], v[120:121], 1.0
	v_fmac_f64_e32 v[120:121], v[120:121], v[124:125]
	v_div_scale_f64 v[124:125], vcc, 1.0, v[122:123], 1.0
	v_mul_f64 v[126:127], v[124:125], v[120:121]
	v_fma_f64 v[2:3], -v[2:3], v[126:127], v[124:125]
	s_nop 1
	v_div_fmas_f64 v[2:3], v[2:3], v[120:121], v[126:127]
	v_div_fixup_f64 v[126:127], v[2:3], v[122:123], 1.0
	v_mul_f64 v[124:125], v[0:1], v[126:127]
	v_xor_b32_e32 v127, 0x80000000, v127
                                        ; implicit-def: $vgpr120_vgpr121
.LBB121_375:
	s_andn2_saveexec_b64 s[2:3], s[2:3]
	s_cbranch_execz .LBB121_377
; %bb.376:
	v_div_scale_f64 v[0:1], s[70:71], v[120:121], v[120:121], v[122:123]
	v_rcp_f64_e32 v[2:3], v[0:1]
	v_div_scale_f64 v[124:125], vcc, v[122:123], v[120:121], v[122:123]
	v_fma_f64 v[126:127], -v[0:1], v[2:3], 1.0
	v_fmac_f64_e32 v[2:3], v[2:3], v[126:127]
	v_fma_f64 v[126:127], -v[0:1], v[2:3], 1.0
	v_fmac_f64_e32 v[2:3], v[2:3], v[126:127]
	v_mul_f64 v[126:127], v[124:125], v[2:3]
	v_fma_f64 v[0:1], -v[0:1], v[126:127], v[124:125]
	v_div_fmas_f64 v[0:1], v[0:1], v[2:3], v[126:127]
	v_div_fixup_f64 v[0:1], v[0:1], v[120:121], v[122:123]
	v_fmac_f64_e32 v[120:121], v[122:123], v[0:1]
	v_div_scale_f64 v[2:3], s[70:71], v[120:121], v[120:121], 1.0
	v_rcp_f64_e32 v[122:123], v[2:3]
	s_nop 0
	v_fma_f64 v[124:125], -v[2:3], v[122:123], 1.0
	v_fmac_f64_e32 v[122:123], v[122:123], v[124:125]
	v_fma_f64 v[124:125], -v[2:3], v[122:123], 1.0
	v_fmac_f64_e32 v[122:123], v[122:123], v[124:125]
	v_div_scale_f64 v[124:125], vcc, 1.0, v[120:121], 1.0
	v_mul_f64 v[126:127], v[124:125], v[122:123]
	v_fma_f64 v[2:3], -v[2:3], v[126:127], v[124:125]
	s_nop 1
	v_div_fmas_f64 v[2:3], v[2:3], v[122:123], v[126:127]
	v_div_fixup_f64 v[124:125], v[2:3], v[120:121], 1.0
	v_mul_f64 v[126:127], v[0:1], -v[124:125]
.LBB121_377:
	s_or_b64 exec, exec, s[2:3]
	ds_write2_b64 v253, v[124:125], v[126:127] offset1:1
.LBB121_378:
	s_or_b64 exec, exec, s[4:5]
	s_waitcnt lgkmcnt(0)
	s_barrier
	ds_read2_b64 v[120:123], v253 offset1:1
	v_cmp_lt_u32_e32 vcc, 30, v252
	s_and_saveexec_b64 s[2:3], vcc
	s_cbranch_execz .LBB121_380
; %bb.379:
	scratch_load_dwordx4 v[124:127], off, off offset:480
	s_waitcnt vmcnt(0) lgkmcnt(0)
	v_mul_f64 v[0:1], v[122:123], v[126:127]
	v_mul_f64 v[130:131], v[120:121], v[126:127]
	v_fma_f64 v[128:129], v[120:121], v[124:125], -v[0:1]
	v_fmac_f64_e32 v[130:131], v[122:123], v[124:125]
	ds_read2_b64 v[124:127], v248 offset0:62 offset1:63
	scratch_store_dwordx4 off, v[128:131], off offset:480
	s_waitcnt lgkmcnt(0)
	v_mul_f64 v[0:1], v[126:127], v[130:131]
	v_mul_f64 v[2:3], v[124:125], v[130:131]
	v_fma_f64 v[0:1], v[124:125], v[128:129], -v[0:1]
	v_fmac_f64_e32 v[2:3], v[126:127], v[128:129]
	scratch_load_dwordx4 v[124:127], off, off offset:496
	s_waitcnt vmcnt(0)
	v_add_f64 v[124:125], v[124:125], -v[0:1]
	v_add_f64 v[126:127], v[126:127], -v[2:3]
	scratch_store_dwordx4 off, v[124:127], off offset:496
	ds_read2_b64 v[124:127], v248 offset0:64 offset1:65
	s_waitcnt lgkmcnt(0)
	v_mul_f64 v[0:1], v[126:127], v[130:131]
	v_mul_f64 v[2:3], v[124:125], v[130:131]
	v_fma_f64 v[0:1], v[124:125], v[128:129], -v[0:1]
	v_fmac_f64_e32 v[2:3], v[126:127], v[128:129]
	scratch_load_dwordx4 v[124:127], off, off offset:512
	s_waitcnt vmcnt(0)
	v_add_f64 v[124:125], v[124:125], -v[0:1]
	v_add_f64 v[126:127], v[126:127], -v[2:3]
	scratch_store_dwordx4 off, v[124:127], off offset:512
	ds_read2_b64 v[124:127], v248 offset0:66 offset1:67
	;; [unrolled: 11-line block ×5, first 2 shown]
	s_waitcnt lgkmcnt(0)
	v_mul_f64 v[0:1], v[126:127], v[130:131]
	v_mul_f64 v[2:3], v[124:125], v[130:131]
	v_fma_f64 v[0:1], v[124:125], v[128:129], -v[0:1]
	v_fmac_f64_e32 v[2:3], v[126:127], v[128:129]
	scratch_load_dwordx4 v[124:127], off, off offset:576
	ds_read2_b64 v[128:131], v248 offset0:74 offset1:75
	s_waitcnt vmcnt(0)
	v_add_f64 v[124:125], v[124:125], -v[0:1]
	v_add_f64 v[126:127], v[126:127], -v[2:3]
	scratch_store_dwordx4 off, v[124:127], off offset:576
	scratch_load_dwordx2 v[0:1], off, off offset:480
	s_nop 0
	scratch_load_dwordx4 v[124:127], off, off offset:480
	s_waitcnt vmcnt(0) lgkmcnt(0)
	v_mul_f64 v[2:3], v[130:131], v[126:127]
	v_mul_f64 v[132:133], v[128:129], v[126:127]
	v_fma_f64 v[2:3], v[128:129], v[0:1], -v[2:3]
	v_fmac_f64_e32 v[132:133], v[130:131], v[0:1]
	scratch_load_dwordx4 v[128:131], off, off offset:592
	s_waitcnt vmcnt(0)
	v_add_f64 v[128:129], v[128:129], -v[2:3]
	v_add_f64 v[130:131], v[130:131], -v[132:133]
	scratch_store_dwordx4 off, v[128:131], off offset:592
	ds_read2_b64 v[128:131], v248 offset0:76 offset1:77
	s_waitcnt lgkmcnt(0)
	v_mul_f64 v[2:3], v[130:131], v[126:127]
	v_mul_f64 v[132:133], v[128:129], v[126:127]
	v_fma_f64 v[2:3], v[128:129], v[0:1], -v[2:3]
	v_fmac_f64_e32 v[132:133], v[130:131], v[0:1]
	scratch_load_dwordx4 v[128:131], off, off offset:608
	s_waitcnt vmcnt(0)
	v_add_f64 v[128:129], v[128:129], -v[2:3]
	v_add_f64 v[130:131], v[130:131], -v[132:133]
	scratch_store_dwordx4 off, v[128:131], off offset:608
	ds_read2_b64 v[128:131], v248 offset0:78 offset1:79
	s_waitcnt lgkmcnt(0)
	;; [unrolled: 11-line block ×5, first 2 shown]
	v_mul_f64 v[2:3], v[130:131], v[126:127]
	v_fma_f64 v[2:3], v[128:129], v[0:1], -v[2:3]
	v_mul_f64 v[132:133], v[128:129], v[126:127]
	scratch_load_dwordx4 v[126:129], off, off offset:672
	v_fmac_f64_e32 v[132:133], v[130:131], v[0:1]
	s_waitcnt vmcnt(0)
	v_add_f64 v[126:127], v[126:127], -v[2:3]
	v_add_f64 v[128:129], v[128:129], -v[132:133]
	scratch_store_dwordx4 off, v[126:129], off offset:672
	ds_read2_b64 v[128:131], v248 offset0:86 offset1:87
	scratch_load_dwordx2 v[126:127], off, off offset:480
	scratch_load_dwordx2 v[0:1], off, off offset:488
	s_waitcnt vmcnt(0) lgkmcnt(0)
	v_mul_f64 v[2:3], v[130:131], v[0:1]
	v_mul_f64 v[132:133], v[128:129], v[0:1]
	v_fma_f64 v[2:3], v[128:129], v[126:127], -v[2:3]
	v_fmac_f64_e32 v[132:133], v[130:131], v[126:127]
	scratch_load_dwordx4 v[128:131], off, off offset:688
	s_waitcnt vmcnt(0)
	v_add_f64 v[128:129], v[128:129], -v[2:3]
	v_add_f64 v[130:131], v[130:131], -v[132:133]
	scratch_store_dwordx4 off, v[128:131], off offset:688
	ds_read2_b64 v[128:131], v248 offset0:88 offset1:89
	s_waitcnt lgkmcnt(0)
	v_mul_f64 v[2:3], v[130:131], v[0:1]
	v_mul_f64 v[132:133], v[128:129], v[0:1]
	v_fma_f64 v[2:3], v[128:129], v[126:127], -v[2:3]
	v_fmac_f64_e32 v[132:133], v[130:131], v[126:127]
	scratch_load_dwordx4 v[128:131], off, off offset:704
	s_waitcnt vmcnt(0)
	v_add_f64 v[128:129], v[128:129], -v[2:3]
	v_add_f64 v[130:131], v[130:131], -v[132:133]
	scratch_store_dwordx4 off, v[128:131], off offset:704
	ds_read2_b64 v[128:131], v248 offset0:90 offset1:91
	s_waitcnt lgkmcnt(0)
	;; [unrolled: 11-line block ×5, first 2 shown]
	v_mul_f64 v[2:3], v[130:131], v[0:1]
	v_mul_f64 v[0:1], v[128:129], v[0:1]
	v_fma_f64 v[2:3], v[128:129], v[126:127], -v[2:3]
	v_fmac_f64_e32 v[0:1], v[130:131], v[126:127]
	scratch_load_dwordx4 v[126:129], off, off offset:768
	s_waitcnt vmcnt(0)
	v_add_f64 v[126:127], v[126:127], -v[2:3]
	v_add_f64 v[128:129], v[128:129], -v[0:1]
	scratch_store_dwordx4 off, v[126:129], off offset:768
	ds_read2_b64 v[126:129], v248 offset0:98 offset1:99
	scratch_load_dwordx2 v[0:1], off, off offset:480
	scratch_load_dwordx2 v[2:3], off, off offset:488
	s_waitcnt vmcnt(0) lgkmcnt(0)
	v_mul_f64 v[130:131], v[128:129], v[2:3]
	v_mul_f64 v[132:133], v[126:127], v[2:3]
	v_fma_f64 v[130:131], v[126:127], v[0:1], -v[130:131]
	v_fmac_f64_e32 v[132:133], v[128:129], v[0:1]
	scratch_load_dwordx4 v[126:129], off, off offset:784
	s_waitcnt vmcnt(0)
	v_add_f64 v[126:127], v[126:127], -v[130:131]
	v_add_f64 v[128:129], v[128:129], -v[132:133]
	scratch_store_dwordx4 off, v[126:129], off offset:784
	ds_read2_b64 v[126:129], v248 offset0:100 offset1:101
	s_waitcnt lgkmcnt(0)
	v_mul_f64 v[130:131], v[128:129], v[2:3]
	v_mul_f64 v[132:133], v[126:127], v[2:3]
	v_fma_f64 v[130:131], v[126:127], v[0:1], -v[130:131]
	v_fmac_f64_e32 v[132:133], v[128:129], v[0:1]
	scratch_load_dwordx4 v[126:129], off, off offset:800
	s_waitcnt vmcnt(0)
	v_add_f64 v[126:127], v[126:127], -v[130:131]
	v_add_f64 v[128:129], v[128:129], -v[132:133]
	scratch_store_dwordx4 off, v[126:129], off offset:800
	ds_read2_b64 v[126:129], v248 offset0:102 offset1:103
	s_waitcnt lgkmcnt(0)
	v_mul_f64 v[130:131], v[128:129], v[2:3]
	v_mul_f64 v[132:133], v[126:127], v[2:3]
	v_fma_f64 v[130:131], v[126:127], v[0:1], -v[130:131]
	v_fmac_f64_e32 v[132:133], v[128:129], v[0:1]
	scratch_load_dwordx4 v[126:129], off, off offset:816
	s_waitcnt vmcnt(0)
	v_add_f64 v[126:127], v[126:127], -v[130:131]
	v_add_f64 v[128:129], v[128:129], -v[132:133]
	scratch_store_dwordx4 off, v[126:129], off offset:816
	ds_read2_b64 v[126:129], v248 offset0:104 offset1:105
	s_waitcnt lgkmcnt(0)
	v_mul_f64 v[130:131], v[128:129], v[2:3]
	v_mul_f64 v[132:133], v[126:127], v[2:3]
	v_fma_f64 v[130:131], v[126:127], v[0:1], -v[130:131]
	v_fmac_f64_e32 v[132:133], v[128:129], v[0:1]
	scratch_load_dwordx4 v[126:129], off, off offset:832
	s_waitcnt vmcnt(0)
	v_add_f64 v[126:127], v[126:127], -v[130:131]
	v_add_f64 v[128:129], v[128:129], -v[132:133]
	scratch_store_dwordx4 off, v[126:129], off offset:832
	ds_read2_b64 v[126:129], v248 offset0:106 offset1:107
	s_waitcnt lgkmcnt(0)
	v_mul_f64 v[130:131], v[128:129], v[2:3]
	v_mul_f64 v[132:133], v[126:127], v[2:3]
	v_fma_f64 v[130:131], v[126:127], v[0:1], -v[130:131]
	v_fmac_f64_e32 v[132:133], v[128:129], v[0:1]
	scratch_load_dwordx4 v[126:129], off, off offset:848
	s_waitcnt vmcnt(0)
	v_add_f64 v[126:127], v[126:127], -v[130:131]
	v_add_f64 v[128:129], v[128:129], -v[132:133]
	scratch_store_dwordx4 off, v[126:129], off offset:848
	ds_read2_b64 v[126:129], v248 offset0:108 offset1:109
	s_waitcnt lgkmcnt(0)
	v_mul_f64 v[130:131], v[128:129], v[2:3]
	v_mul_f64 v[2:3], v[126:127], v[2:3]
	v_fma_f64 v[130:131], v[126:127], v[0:1], -v[130:131]
	v_fmac_f64_e32 v[2:3], v[128:129], v[0:1]
	scratch_load_dwordx4 v[126:129], off, off offset:864
	s_waitcnt vmcnt(0)
	v_add_f64 v[126:127], v[126:127], -v[130:131]
	v_add_f64 v[128:129], v[128:129], -v[2:3]
	scratch_store_dwordx4 off, v[126:129], off offset:864
	scratch_load_dwordx2 v[126:127], off, off offset:488
	ds_read2_b64 v[128:131], v248 offset0:110 offset1:111
	s_waitcnt vmcnt(0) lgkmcnt(0)
	v_mul_f64 v[0:1], v[130:131], v[126:127]
	v_mul_f64 v[2:3], v[128:129], v[126:127]
	v_fma_f64 v[0:1], v[128:129], v[124:125], -v[0:1]
	v_fmac_f64_e32 v[2:3], v[130:131], v[124:125]
	scratch_load_dwordx4 v[128:131], off, off offset:880
	s_waitcnt vmcnt(0)
	v_add_f64 v[128:129], v[128:129], -v[0:1]
	v_add_f64 v[130:131], v[130:131], -v[2:3]
	scratch_store_dwordx4 off, v[128:131], off offset:880
	ds_read2_b64 v[130:133], v248 offset0:112 offset1:113
	s_waitcnt lgkmcnt(0)
	v_mul_f64 v[0:1], v[132:133], v[126:127]
	v_fma_f64 v[128:129], v[130:131], v[124:125], -v[0:1]
	v_mul_f64 v[130:131], v[130:131], v[126:127]
	v_fmac_f64_e32 v[130:131], v[132:133], v[124:125]
	scratch_load_dwordx4 v[132:135], off, off offset:896
	s_waitcnt vmcnt(0)
	v_add_f64 v[128:129], v[132:133], -v[128:129]
	v_add_f64 v[130:131], v[134:135], -v[130:131]
	scratch_store_dwordx4 off, v[128:131], off offset:896
	ds_read2_b64 v[128:131], v248 offset0:114 offset1:115
	s_waitcnt lgkmcnt(0)
	v_mul_f64 v[0:1], v[130:131], v[126:127]
	v_mul_f64 v[2:3], v[128:129], v[126:127]
	v_fma_f64 v[0:1], v[128:129], v[124:125], -v[0:1]
	v_fmac_f64_e32 v[2:3], v[130:131], v[124:125]
	scratch_load_dwordx4 v[128:131], off, off offset:912
	s_waitcnt vmcnt(0)
	v_add_f64 v[128:129], v[128:129], -v[0:1]
	v_add_f64 v[130:131], v[130:131], -v[2:3]
	scratch_store_dwordx4 off, v[128:131], off offset:912
	ds_read2_b64 v[128:131], v248 offset0:116 offset1:117
	s_waitcnt lgkmcnt(0)
	v_mul_f64 v[0:1], v[130:131], v[126:127]
	v_mul_f64 v[2:3], v[128:129], v[126:127]
	v_fma_f64 v[0:1], v[128:129], v[124:125], -v[0:1]
	;; [unrolled: 11-line block ×4, first 2 shown]
	v_fmac_f64_e32 v[126:127], v[132:133], v[124:125]
	scratch_load_dwordx4 v[130:133], off, off offset:960
	s_waitcnt vmcnt(0)
	v_add_f64 v[124:125], v[130:131], -v[128:129]
	v_add_f64 v[126:127], v[132:133], -v[126:127]
	scratch_store_dwordx4 off, v[124:127], off offset:960
.LBB121_380:
	s_or_b64 exec, exec, s[2:3]
	v_cmp_eq_u32_e32 vcc, 31, v252
	s_waitcnt lgkmcnt(0)
	s_barrier
	s_and_saveexec_b64 s[4:5], vcc
	s_cbranch_execz .LBB121_387
; %bb.381:
	scratch_load_dwordx4 v[124:127], off, s39
	s_waitcnt vmcnt(0)
	ds_write2_b64 v253, v[124:125], v[126:127] offset1:1
	scratch_load_dwordx4 v[124:127], off, s38
	s_waitcnt vmcnt(0)
	ds_write2_b64 v248, v[124:125], v[126:127] offset0:64 offset1:65
	scratch_load_dwordx4 v[124:127], off, s37
	s_waitcnt vmcnt(0)
	ds_write2_b64 v248, v[124:125], v[126:127] offset0:66 offset1:67
	;; [unrolled: 3-line block ×29, first 2 shown]
	ds_read2_b64 v[124:127], v253 offset1:1
	s_waitcnt lgkmcnt(0)
	v_cmp_neq_f64_e32 vcc, 0, v[124:125]
	v_cmp_neq_f64_e64 s[2:3], 0, v[126:127]
	s_or_b64 s[2:3], vcc, s[2:3]
	s_and_b64 exec, exec, s[2:3]
	s_cbranch_execz .LBB121_387
; %bb.382:
	v_cmp_ngt_f64_e64 s[2:3], |v[124:125]|, |v[126:127]|
                                        ; implicit-def: $vgpr128_vgpr129
	s_and_saveexec_b64 s[70:71], s[2:3]
	s_xor_b64 s[2:3], exec, s[70:71]
                                        ; implicit-def: $vgpr130_vgpr131
	s_cbranch_execz .LBB121_384
; %bb.383:
	v_div_scale_f64 v[0:1], s[70:71], v[126:127], v[126:127], v[124:125]
	v_rcp_f64_e32 v[2:3], v[0:1]
	v_div_scale_f64 v[128:129], vcc, v[124:125], v[126:127], v[124:125]
	v_fma_f64 v[130:131], -v[0:1], v[2:3], 1.0
	v_fmac_f64_e32 v[2:3], v[2:3], v[130:131]
	v_fma_f64 v[130:131], -v[0:1], v[2:3], 1.0
	v_fmac_f64_e32 v[2:3], v[2:3], v[130:131]
	v_mul_f64 v[130:131], v[128:129], v[2:3]
	v_fma_f64 v[0:1], -v[0:1], v[130:131], v[128:129]
	v_div_fmas_f64 v[0:1], v[0:1], v[2:3], v[130:131]
	v_div_fixup_f64 v[0:1], v[0:1], v[126:127], v[124:125]
	v_fmac_f64_e32 v[126:127], v[124:125], v[0:1]
	v_div_scale_f64 v[2:3], s[70:71], v[126:127], v[126:127], 1.0
	v_rcp_f64_e32 v[124:125], v[2:3]
	s_nop 0
	v_fma_f64 v[128:129], -v[2:3], v[124:125], 1.0
	v_fmac_f64_e32 v[124:125], v[124:125], v[128:129]
	v_fma_f64 v[128:129], -v[2:3], v[124:125], 1.0
	v_fmac_f64_e32 v[124:125], v[124:125], v[128:129]
	v_div_scale_f64 v[128:129], vcc, 1.0, v[126:127], 1.0
	v_mul_f64 v[130:131], v[128:129], v[124:125]
	v_fma_f64 v[2:3], -v[2:3], v[130:131], v[128:129]
	s_nop 1
	v_div_fmas_f64 v[2:3], v[2:3], v[124:125], v[130:131]
	v_div_fixup_f64 v[130:131], v[2:3], v[126:127], 1.0
	v_mul_f64 v[128:129], v[0:1], v[130:131]
	v_xor_b32_e32 v131, 0x80000000, v131
                                        ; implicit-def: $vgpr124_vgpr125
.LBB121_384:
	s_andn2_saveexec_b64 s[2:3], s[2:3]
	s_cbranch_execz .LBB121_386
; %bb.385:
	v_div_scale_f64 v[0:1], s[70:71], v[124:125], v[124:125], v[126:127]
	v_rcp_f64_e32 v[2:3], v[0:1]
	v_div_scale_f64 v[128:129], vcc, v[126:127], v[124:125], v[126:127]
	v_fma_f64 v[130:131], -v[0:1], v[2:3], 1.0
	v_fmac_f64_e32 v[2:3], v[2:3], v[130:131]
	v_fma_f64 v[130:131], -v[0:1], v[2:3], 1.0
	v_fmac_f64_e32 v[2:3], v[2:3], v[130:131]
	v_mul_f64 v[130:131], v[128:129], v[2:3]
	v_fma_f64 v[0:1], -v[0:1], v[130:131], v[128:129]
	v_div_fmas_f64 v[0:1], v[0:1], v[2:3], v[130:131]
	v_div_fixup_f64 v[0:1], v[0:1], v[124:125], v[126:127]
	v_fmac_f64_e32 v[124:125], v[126:127], v[0:1]
	v_div_scale_f64 v[2:3], s[70:71], v[124:125], v[124:125], 1.0
	v_rcp_f64_e32 v[126:127], v[2:3]
	s_nop 0
	v_fma_f64 v[128:129], -v[2:3], v[126:127], 1.0
	v_fmac_f64_e32 v[126:127], v[126:127], v[128:129]
	v_fma_f64 v[128:129], -v[2:3], v[126:127], 1.0
	v_fmac_f64_e32 v[126:127], v[126:127], v[128:129]
	v_div_scale_f64 v[128:129], vcc, 1.0, v[124:125], 1.0
	v_mul_f64 v[130:131], v[128:129], v[126:127]
	v_fma_f64 v[2:3], -v[2:3], v[130:131], v[128:129]
	s_nop 1
	v_div_fmas_f64 v[2:3], v[2:3], v[126:127], v[130:131]
	v_div_fixup_f64 v[128:129], v[2:3], v[124:125], 1.0
	v_mul_f64 v[130:131], v[0:1], -v[128:129]
.LBB121_386:
	s_or_b64 exec, exec, s[2:3]
	ds_write2_b64 v253, v[128:129], v[130:131] offset1:1
.LBB121_387:
	s_or_b64 exec, exec, s[4:5]
	s_waitcnt lgkmcnt(0)
	s_barrier
	ds_read2_b64 v[124:127], v253 offset1:1
	v_cmp_lt_u32_e32 vcc, 31, v252
	s_and_saveexec_b64 s[2:3], vcc
	s_cbranch_execz .LBB121_389
; %bb.388:
	scratch_load_dwordx4 v[128:131], off, off offset:496
	s_waitcnt vmcnt(0) lgkmcnt(0)
	v_mul_f64 v[0:1], v[126:127], v[130:131]
	v_mul_f64 v[134:135], v[124:125], v[130:131]
	v_fma_f64 v[132:133], v[124:125], v[128:129], -v[0:1]
	v_fmac_f64_e32 v[134:135], v[126:127], v[128:129]
	ds_read2_b64 v[128:131], v248 offset0:64 offset1:65
	scratch_store_dwordx4 off, v[132:135], off offset:496
	s_waitcnt lgkmcnt(0)
	v_mul_f64 v[0:1], v[130:131], v[134:135]
	v_mul_f64 v[2:3], v[128:129], v[134:135]
	v_fma_f64 v[0:1], v[128:129], v[132:133], -v[0:1]
	v_fmac_f64_e32 v[2:3], v[130:131], v[132:133]
	scratch_load_dwordx4 v[128:131], off, off offset:512
	s_waitcnt vmcnt(0)
	v_add_f64 v[128:129], v[128:129], -v[0:1]
	v_add_f64 v[130:131], v[130:131], -v[2:3]
	scratch_store_dwordx4 off, v[128:131], off offset:512
	ds_read2_b64 v[128:131], v248 offset0:66 offset1:67
	s_waitcnt lgkmcnt(0)
	v_mul_f64 v[0:1], v[130:131], v[134:135]
	v_mul_f64 v[2:3], v[128:129], v[134:135]
	v_fma_f64 v[0:1], v[128:129], v[132:133], -v[0:1]
	v_fmac_f64_e32 v[2:3], v[130:131], v[132:133]
	scratch_load_dwordx4 v[128:131], off, off offset:528
	s_waitcnt vmcnt(0)
	v_add_f64 v[128:129], v[128:129], -v[0:1]
	v_add_f64 v[130:131], v[130:131], -v[2:3]
	scratch_store_dwordx4 off, v[128:131], off offset:528
	ds_read2_b64 v[128:131], v248 offset0:68 offset1:69
	;; [unrolled: 11-line block ×5, first 2 shown]
	s_waitcnt lgkmcnt(0)
	v_mul_f64 v[0:1], v[130:131], v[134:135]
	v_mul_f64 v[2:3], v[128:129], v[134:135]
	v_fma_f64 v[0:1], v[128:129], v[132:133], -v[0:1]
	v_fmac_f64_e32 v[2:3], v[130:131], v[132:133]
	scratch_load_dwordx4 v[128:131], off, off offset:592
	ds_read2_b64 v[132:135], v248 offset0:76 offset1:77
	s_waitcnt vmcnt(0)
	v_add_f64 v[128:129], v[128:129], -v[0:1]
	v_add_f64 v[130:131], v[130:131], -v[2:3]
	scratch_store_dwordx4 off, v[128:131], off offset:592
	scratch_load_dwordx2 v[0:1], off, off offset:496
	s_nop 0
	scratch_load_dwordx4 v[128:131], off, off offset:496
	s_waitcnt vmcnt(0) lgkmcnt(0)
	v_mul_f64 v[2:3], v[134:135], v[130:131]
	v_mul_f64 v[136:137], v[132:133], v[130:131]
	v_fma_f64 v[2:3], v[132:133], v[0:1], -v[2:3]
	v_fmac_f64_e32 v[136:137], v[134:135], v[0:1]
	scratch_load_dwordx4 v[132:135], off, off offset:608
	s_waitcnt vmcnt(0)
	v_add_f64 v[132:133], v[132:133], -v[2:3]
	v_add_f64 v[134:135], v[134:135], -v[136:137]
	scratch_store_dwordx4 off, v[132:135], off offset:608
	ds_read2_b64 v[132:135], v248 offset0:78 offset1:79
	s_waitcnt lgkmcnt(0)
	v_mul_f64 v[2:3], v[134:135], v[130:131]
	v_mul_f64 v[136:137], v[132:133], v[130:131]
	v_fma_f64 v[2:3], v[132:133], v[0:1], -v[2:3]
	v_fmac_f64_e32 v[136:137], v[134:135], v[0:1]
	scratch_load_dwordx4 v[132:135], off, off offset:624
	s_waitcnt vmcnt(0)
	v_add_f64 v[132:133], v[132:133], -v[2:3]
	v_add_f64 v[134:135], v[134:135], -v[136:137]
	scratch_store_dwordx4 off, v[132:135], off offset:624
	ds_read2_b64 v[132:135], v248 offset0:80 offset1:81
	s_waitcnt lgkmcnt(0)
	;; [unrolled: 11-line block ×5, first 2 shown]
	v_mul_f64 v[2:3], v[134:135], v[130:131]
	v_fma_f64 v[2:3], v[132:133], v[0:1], -v[2:3]
	v_mul_f64 v[136:137], v[132:133], v[130:131]
	scratch_load_dwordx4 v[130:133], off, off offset:688
	v_fmac_f64_e32 v[136:137], v[134:135], v[0:1]
	s_waitcnt vmcnt(0)
	v_add_f64 v[130:131], v[130:131], -v[2:3]
	v_add_f64 v[132:133], v[132:133], -v[136:137]
	scratch_store_dwordx4 off, v[130:133], off offset:688
	ds_read2_b64 v[132:135], v248 offset0:88 offset1:89
	scratch_load_dwordx2 v[130:131], off, off offset:496
	scratch_load_dwordx2 v[0:1], off, off offset:504
	s_waitcnt vmcnt(0) lgkmcnt(0)
	v_mul_f64 v[2:3], v[134:135], v[0:1]
	v_mul_f64 v[136:137], v[132:133], v[0:1]
	v_fma_f64 v[2:3], v[132:133], v[130:131], -v[2:3]
	v_fmac_f64_e32 v[136:137], v[134:135], v[130:131]
	scratch_load_dwordx4 v[132:135], off, off offset:704
	s_waitcnt vmcnt(0)
	v_add_f64 v[132:133], v[132:133], -v[2:3]
	v_add_f64 v[134:135], v[134:135], -v[136:137]
	scratch_store_dwordx4 off, v[132:135], off offset:704
	ds_read2_b64 v[132:135], v248 offset0:90 offset1:91
	s_waitcnt lgkmcnt(0)
	v_mul_f64 v[2:3], v[134:135], v[0:1]
	v_mul_f64 v[136:137], v[132:133], v[0:1]
	v_fma_f64 v[2:3], v[132:133], v[130:131], -v[2:3]
	v_fmac_f64_e32 v[136:137], v[134:135], v[130:131]
	scratch_load_dwordx4 v[132:135], off, off offset:720
	s_waitcnt vmcnt(0)
	v_add_f64 v[132:133], v[132:133], -v[2:3]
	v_add_f64 v[134:135], v[134:135], -v[136:137]
	scratch_store_dwordx4 off, v[132:135], off offset:720
	ds_read2_b64 v[132:135], v248 offset0:92 offset1:93
	s_waitcnt lgkmcnt(0)
	;; [unrolled: 11-line block ×5, first 2 shown]
	v_mul_f64 v[2:3], v[134:135], v[0:1]
	v_mul_f64 v[0:1], v[132:133], v[0:1]
	v_fma_f64 v[2:3], v[132:133], v[130:131], -v[2:3]
	v_fmac_f64_e32 v[0:1], v[134:135], v[130:131]
	scratch_load_dwordx4 v[130:133], off, off offset:784
	s_waitcnt vmcnt(0)
	v_add_f64 v[130:131], v[130:131], -v[2:3]
	v_add_f64 v[132:133], v[132:133], -v[0:1]
	scratch_store_dwordx4 off, v[130:133], off offset:784
	ds_read2_b64 v[130:133], v248 offset0:100 offset1:101
	scratch_load_dwordx2 v[0:1], off, off offset:496
	scratch_load_dwordx2 v[2:3], off, off offset:504
	s_waitcnt vmcnt(0) lgkmcnt(0)
	v_mul_f64 v[134:135], v[132:133], v[2:3]
	v_mul_f64 v[136:137], v[130:131], v[2:3]
	v_fma_f64 v[134:135], v[130:131], v[0:1], -v[134:135]
	v_fmac_f64_e32 v[136:137], v[132:133], v[0:1]
	scratch_load_dwordx4 v[130:133], off, off offset:800
	s_waitcnt vmcnt(0)
	v_add_f64 v[130:131], v[130:131], -v[134:135]
	v_add_f64 v[132:133], v[132:133], -v[136:137]
	scratch_store_dwordx4 off, v[130:133], off offset:800
	ds_read2_b64 v[130:133], v248 offset0:102 offset1:103
	s_waitcnt lgkmcnt(0)
	v_mul_f64 v[134:135], v[132:133], v[2:3]
	v_mul_f64 v[136:137], v[130:131], v[2:3]
	v_fma_f64 v[134:135], v[130:131], v[0:1], -v[134:135]
	v_fmac_f64_e32 v[136:137], v[132:133], v[0:1]
	scratch_load_dwordx4 v[130:133], off, off offset:816
	s_waitcnt vmcnt(0)
	v_add_f64 v[130:131], v[130:131], -v[134:135]
	v_add_f64 v[132:133], v[132:133], -v[136:137]
	scratch_store_dwordx4 off, v[130:133], off offset:816
	ds_read2_b64 v[130:133], v248 offset0:104 offset1:105
	s_waitcnt lgkmcnt(0)
	;; [unrolled: 11-line block ×5, first 2 shown]
	v_mul_f64 v[134:135], v[132:133], v[2:3]
	v_mul_f64 v[2:3], v[130:131], v[2:3]
	v_fma_f64 v[134:135], v[130:131], v[0:1], -v[134:135]
	v_fmac_f64_e32 v[2:3], v[132:133], v[0:1]
	scratch_load_dwordx4 v[130:133], off, off offset:880
	s_waitcnt vmcnt(0)
	v_add_f64 v[130:131], v[130:131], -v[134:135]
	v_add_f64 v[132:133], v[132:133], -v[2:3]
	scratch_store_dwordx4 off, v[130:133], off offset:880
	scratch_load_dwordx2 v[130:131], off, off offset:504
	ds_read2_b64 v[132:135], v248 offset0:112 offset1:113
	s_waitcnt vmcnt(0) lgkmcnt(0)
	v_mul_f64 v[0:1], v[134:135], v[130:131]
	v_mul_f64 v[2:3], v[132:133], v[130:131]
	v_fma_f64 v[0:1], v[132:133], v[128:129], -v[0:1]
	v_fmac_f64_e32 v[2:3], v[134:135], v[128:129]
	scratch_load_dwordx4 v[132:135], off, off offset:896
	s_waitcnt vmcnt(0)
	v_add_f64 v[132:133], v[132:133], -v[0:1]
	v_add_f64 v[134:135], v[134:135], -v[2:3]
	scratch_store_dwordx4 off, v[132:135], off offset:896
	ds_read2_b64 v[134:137], v248 offset0:114 offset1:115
	s_waitcnt lgkmcnt(0)
	v_mul_f64 v[0:1], v[136:137], v[130:131]
	v_fma_f64 v[132:133], v[134:135], v[128:129], -v[0:1]
	v_mul_f64 v[134:135], v[134:135], v[130:131]
	v_fmac_f64_e32 v[134:135], v[136:137], v[128:129]
	scratch_load_dwordx4 v[136:139], off, off offset:912
	s_waitcnt vmcnt(0)
	v_add_f64 v[132:133], v[136:137], -v[132:133]
	v_add_f64 v[134:135], v[138:139], -v[134:135]
	scratch_store_dwordx4 off, v[132:135], off offset:912
	ds_read2_b64 v[132:135], v248 offset0:116 offset1:117
	s_waitcnt lgkmcnt(0)
	v_mul_f64 v[0:1], v[134:135], v[130:131]
	v_mul_f64 v[2:3], v[132:133], v[130:131]
	v_fma_f64 v[0:1], v[132:133], v[128:129], -v[0:1]
	v_fmac_f64_e32 v[2:3], v[134:135], v[128:129]
	scratch_load_dwordx4 v[132:135], off, off offset:928
	s_waitcnt vmcnt(0)
	v_add_f64 v[132:133], v[132:133], -v[0:1]
	v_add_f64 v[134:135], v[134:135], -v[2:3]
	scratch_store_dwordx4 off, v[132:135], off offset:928
	ds_read2_b64 v[132:135], v248 offset0:118 offset1:119
	s_waitcnt lgkmcnt(0)
	v_mul_f64 v[0:1], v[134:135], v[130:131]
	v_mul_f64 v[2:3], v[132:133], v[130:131]
	v_fma_f64 v[0:1], v[132:133], v[128:129], -v[0:1]
	;; [unrolled: 11-line block ×3, first 2 shown]
	v_fmac_f64_e32 v[130:131], v[136:137], v[128:129]
	scratch_load_dwordx4 v[134:137], off, off offset:960
	s_waitcnt vmcnt(0)
	v_add_f64 v[128:129], v[134:135], -v[132:133]
	v_add_f64 v[130:131], v[136:137], -v[130:131]
	scratch_store_dwordx4 off, v[128:131], off offset:960
.LBB121_389:
	s_or_b64 exec, exec, s[2:3]
	v_cmp_eq_u32_e32 vcc, 32, v252
	s_waitcnt lgkmcnt(0)
	s_barrier
	s_and_saveexec_b64 s[4:5], vcc
	s_cbranch_execz .LBB121_396
; %bb.390:
	scratch_load_dwordx4 v[128:131], off, s38
	s_waitcnt vmcnt(0)
	ds_write2_b64 v253, v[128:129], v[130:131] offset1:1
	scratch_load_dwordx4 v[128:131], off, s37
	s_waitcnt vmcnt(0)
	ds_write2_b64 v248, v[128:129], v[130:131] offset0:66 offset1:67
	scratch_load_dwordx4 v[128:131], off, s36
	s_waitcnt vmcnt(0)
	ds_write2_b64 v248, v[128:129], v[130:131] offset0:68 offset1:69
	;; [unrolled: 3-line block ×28, first 2 shown]
	ds_read2_b64 v[128:131], v253 offset1:1
	s_waitcnt lgkmcnt(0)
	v_cmp_neq_f64_e32 vcc, 0, v[128:129]
	v_cmp_neq_f64_e64 s[2:3], 0, v[130:131]
	s_or_b64 s[2:3], vcc, s[2:3]
	s_and_b64 exec, exec, s[2:3]
	s_cbranch_execz .LBB121_396
; %bb.391:
	v_cmp_ngt_f64_e64 s[2:3], |v[128:129]|, |v[130:131]|
                                        ; implicit-def: $vgpr132_vgpr133
	s_and_saveexec_b64 s[70:71], s[2:3]
	s_xor_b64 s[2:3], exec, s[70:71]
                                        ; implicit-def: $vgpr134_vgpr135
	s_cbranch_execz .LBB121_393
; %bb.392:
	v_div_scale_f64 v[0:1], s[70:71], v[130:131], v[130:131], v[128:129]
	v_rcp_f64_e32 v[2:3], v[0:1]
	v_div_scale_f64 v[132:133], vcc, v[128:129], v[130:131], v[128:129]
	v_fma_f64 v[134:135], -v[0:1], v[2:3], 1.0
	v_fmac_f64_e32 v[2:3], v[2:3], v[134:135]
	v_fma_f64 v[134:135], -v[0:1], v[2:3], 1.0
	v_fmac_f64_e32 v[2:3], v[2:3], v[134:135]
	v_mul_f64 v[134:135], v[132:133], v[2:3]
	v_fma_f64 v[0:1], -v[0:1], v[134:135], v[132:133]
	v_div_fmas_f64 v[0:1], v[0:1], v[2:3], v[134:135]
	v_div_fixup_f64 v[0:1], v[0:1], v[130:131], v[128:129]
	v_fmac_f64_e32 v[130:131], v[128:129], v[0:1]
	v_div_scale_f64 v[2:3], s[70:71], v[130:131], v[130:131], 1.0
	v_rcp_f64_e32 v[128:129], v[2:3]
	s_nop 0
	v_fma_f64 v[132:133], -v[2:3], v[128:129], 1.0
	v_fmac_f64_e32 v[128:129], v[128:129], v[132:133]
	v_fma_f64 v[132:133], -v[2:3], v[128:129], 1.0
	v_fmac_f64_e32 v[128:129], v[128:129], v[132:133]
	v_div_scale_f64 v[132:133], vcc, 1.0, v[130:131], 1.0
	v_mul_f64 v[134:135], v[132:133], v[128:129]
	v_fma_f64 v[2:3], -v[2:3], v[134:135], v[132:133]
	s_nop 1
	v_div_fmas_f64 v[2:3], v[2:3], v[128:129], v[134:135]
	v_div_fixup_f64 v[134:135], v[2:3], v[130:131], 1.0
	v_mul_f64 v[132:133], v[0:1], v[134:135]
	v_xor_b32_e32 v135, 0x80000000, v135
                                        ; implicit-def: $vgpr128_vgpr129
.LBB121_393:
	s_andn2_saveexec_b64 s[2:3], s[2:3]
	s_cbranch_execz .LBB121_395
; %bb.394:
	v_div_scale_f64 v[0:1], s[70:71], v[128:129], v[128:129], v[130:131]
	v_rcp_f64_e32 v[2:3], v[0:1]
	v_div_scale_f64 v[132:133], vcc, v[130:131], v[128:129], v[130:131]
	v_fma_f64 v[134:135], -v[0:1], v[2:3], 1.0
	v_fmac_f64_e32 v[2:3], v[2:3], v[134:135]
	v_fma_f64 v[134:135], -v[0:1], v[2:3], 1.0
	v_fmac_f64_e32 v[2:3], v[2:3], v[134:135]
	v_mul_f64 v[134:135], v[132:133], v[2:3]
	v_fma_f64 v[0:1], -v[0:1], v[134:135], v[132:133]
	v_div_fmas_f64 v[0:1], v[0:1], v[2:3], v[134:135]
	v_div_fixup_f64 v[0:1], v[0:1], v[128:129], v[130:131]
	v_fmac_f64_e32 v[128:129], v[130:131], v[0:1]
	v_div_scale_f64 v[2:3], s[70:71], v[128:129], v[128:129], 1.0
	v_rcp_f64_e32 v[130:131], v[2:3]
	s_nop 0
	v_fma_f64 v[132:133], -v[2:3], v[130:131], 1.0
	v_fmac_f64_e32 v[130:131], v[130:131], v[132:133]
	v_fma_f64 v[132:133], -v[2:3], v[130:131], 1.0
	v_fmac_f64_e32 v[130:131], v[130:131], v[132:133]
	v_div_scale_f64 v[132:133], vcc, 1.0, v[128:129], 1.0
	v_mul_f64 v[134:135], v[132:133], v[130:131]
	v_fma_f64 v[2:3], -v[2:3], v[134:135], v[132:133]
	s_nop 1
	v_div_fmas_f64 v[2:3], v[2:3], v[130:131], v[134:135]
	v_div_fixup_f64 v[132:133], v[2:3], v[128:129], 1.0
	v_mul_f64 v[134:135], v[0:1], -v[132:133]
.LBB121_395:
	s_or_b64 exec, exec, s[2:3]
	ds_write2_b64 v253, v[132:133], v[134:135] offset1:1
.LBB121_396:
	s_or_b64 exec, exec, s[4:5]
	s_waitcnt lgkmcnt(0)
	s_barrier
	ds_read2_b64 v[128:131], v253 offset1:1
	v_cmp_lt_u32_e32 vcc, 32, v252
	s_and_saveexec_b64 s[2:3], vcc
	s_cbranch_execz .LBB121_398
; %bb.397:
	scratch_load_dwordx4 v[132:135], off, off offset:512
	s_waitcnt vmcnt(0) lgkmcnt(0)
	v_mul_f64 v[0:1], v[130:131], v[134:135]
	v_mul_f64 v[138:139], v[128:129], v[134:135]
	v_fma_f64 v[136:137], v[128:129], v[132:133], -v[0:1]
	v_fmac_f64_e32 v[138:139], v[130:131], v[132:133]
	ds_read2_b64 v[132:135], v248 offset0:66 offset1:67
	scratch_store_dwordx4 off, v[136:139], off offset:512
	s_waitcnt lgkmcnt(0)
	v_mul_f64 v[0:1], v[134:135], v[138:139]
	v_mul_f64 v[2:3], v[132:133], v[138:139]
	v_fma_f64 v[0:1], v[132:133], v[136:137], -v[0:1]
	v_fmac_f64_e32 v[2:3], v[134:135], v[136:137]
	scratch_load_dwordx4 v[132:135], off, off offset:528
	s_waitcnt vmcnt(0)
	v_add_f64 v[132:133], v[132:133], -v[0:1]
	v_add_f64 v[134:135], v[134:135], -v[2:3]
	scratch_store_dwordx4 off, v[132:135], off offset:528
	ds_read2_b64 v[132:135], v248 offset0:68 offset1:69
	s_waitcnt lgkmcnt(0)
	v_mul_f64 v[0:1], v[134:135], v[138:139]
	v_mul_f64 v[2:3], v[132:133], v[138:139]
	v_fma_f64 v[0:1], v[132:133], v[136:137], -v[0:1]
	v_fmac_f64_e32 v[2:3], v[134:135], v[136:137]
	scratch_load_dwordx4 v[132:135], off, off offset:544
	s_waitcnt vmcnt(0)
	v_add_f64 v[132:133], v[132:133], -v[0:1]
	v_add_f64 v[134:135], v[134:135], -v[2:3]
	scratch_store_dwordx4 off, v[132:135], off offset:544
	ds_read2_b64 v[132:135], v248 offset0:70 offset1:71
	;; [unrolled: 11-line block ×5, first 2 shown]
	s_waitcnt lgkmcnt(0)
	v_mul_f64 v[0:1], v[134:135], v[138:139]
	v_mul_f64 v[2:3], v[132:133], v[138:139]
	v_fma_f64 v[0:1], v[132:133], v[136:137], -v[0:1]
	v_fmac_f64_e32 v[2:3], v[134:135], v[136:137]
	scratch_load_dwordx4 v[132:135], off, off offset:608
	ds_read2_b64 v[136:139], v248 offset0:78 offset1:79
	s_waitcnt vmcnt(0)
	v_add_f64 v[132:133], v[132:133], -v[0:1]
	v_add_f64 v[134:135], v[134:135], -v[2:3]
	scratch_store_dwordx4 off, v[132:135], off offset:608
	scratch_load_dwordx2 v[0:1], off, off offset:512
	s_nop 0
	scratch_load_dwordx4 v[132:135], off, off offset:512
	s_waitcnt vmcnt(0) lgkmcnt(0)
	v_mul_f64 v[2:3], v[138:139], v[134:135]
	v_mul_f64 v[140:141], v[136:137], v[134:135]
	v_fma_f64 v[2:3], v[136:137], v[0:1], -v[2:3]
	v_fmac_f64_e32 v[140:141], v[138:139], v[0:1]
	scratch_load_dwordx4 v[136:139], off, off offset:624
	s_waitcnt vmcnt(0)
	v_add_f64 v[136:137], v[136:137], -v[2:3]
	v_add_f64 v[138:139], v[138:139], -v[140:141]
	scratch_store_dwordx4 off, v[136:139], off offset:624
	ds_read2_b64 v[136:139], v248 offset0:80 offset1:81
	s_waitcnt lgkmcnt(0)
	v_mul_f64 v[2:3], v[138:139], v[134:135]
	v_mul_f64 v[140:141], v[136:137], v[134:135]
	v_fma_f64 v[2:3], v[136:137], v[0:1], -v[2:3]
	v_fmac_f64_e32 v[140:141], v[138:139], v[0:1]
	scratch_load_dwordx4 v[136:139], off, off offset:640
	s_waitcnt vmcnt(0)
	v_add_f64 v[136:137], v[136:137], -v[2:3]
	v_add_f64 v[138:139], v[138:139], -v[140:141]
	scratch_store_dwordx4 off, v[136:139], off offset:640
	ds_read2_b64 v[136:139], v248 offset0:82 offset1:83
	s_waitcnt lgkmcnt(0)
	;; [unrolled: 11-line block ×5, first 2 shown]
	v_mul_f64 v[2:3], v[138:139], v[134:135]
	v_fma_f64 v[2:3], v[136:137], v[0:1], -v[2:3]
	v_mul_f64 v[140:141], v[136:137], v[134:135]
	scratch_load_dwordx4 v[134:137], off, off offset:704
	v_fmac_f64_e32 v[140:141], v[138:139], v[0:1]
	s_waitcnt vmcnt(0)
	v_add_f64 v[134:135], v[134:135], -v[2:3]
	v_add_f64 v[136:137], v[136:137], -v[140:141]
	scratch_store_dwordx4 off, v[134:137], off offset:704
	ds_read2_b64 v[136:139], v248 offset0:90 offset1:91
	scratch_load_dwordx2 v[134:135], off, off offset:512
	scratch_load_dwordx2 v[0:1], off, off offset:520
	s_waitcnt vmcnt(0) lgkmcnt(0)
	v_mul_f64 v[2:3], v[138:139], v[0:1]
	v_mul_f64 v[140:141], v[136:137], v[0:1]
	v_fma_f64 v[2:3], v[136:137], v[134:135], -v[2:3]
	v_fmac_f64_e32 v[140:141], v[138:139], v[134:135]
	scratch_load_dwordx4 v[136:139], off, off offset:720
	s_waitcnt vmcnt(0)
	v_add_f64 v[136:137], v[136:137], -v[2:3]
	v_add_f64 v[138:139], v[138:139], -v[140:141]
	scratch_store_dwordx4 off, v[136:139], off offset:720
	ds_read2_b64 v[136:139], v248 offset0:92 offset1:93
	s_waitcnt lgkmcnt(0)
	v_mul_f64 v[2:3], v[138:139], v[0:1]
	v_mul_f64 v[140:141], v[136:137], v[0:1]
	v_fma_f64 v[2:3], v[136:137], v[134:135], -v[2:3]
	v_fmac_f64_e32 v[140:141], v[138:139], v[134:135]
	scratch_load_dwordx4 v[136:139], off, off offset:736
	s_waitcnt vmcnt(0)
	v_add_f64 v[136:137], v[136:137], -v[2:3]
	v_add_f64 v[138:139], v[138:139], -v[140:141]
	scratch_store_dwordx4 off, v[136:139], off offset:736
	ds_read2_b64 v[136:139], v248 offset0:94 offset1:95
	s_waitcnt lgkmcnt(0)
	;; [unrolled: 11-line block ×5, first 2 shown]
	v_mul_f64 v[2:3], v[138:139], v[0:1]
	v_mul_f64 v[0:1], v[136:137], v[0:1]
	v_fma_f64 v[2:3], v[136:137], v[134:135], -v[2:3]
	v_fmac_f64_e32 v[0:1], v[138:139], v[134:135]
	scratch_load_dwordx4 v[134:137], off, off offset:800
	s_waitcnt vmcnt(0)
	v_add_f64 v[134:135], v[134:135], -v[2:3]
	v_add_f64 v[136:137], v[136:137], -v[0:1]
	scratch_store_dwordx4 off, v[134:137], off offset:800
	ds_read2_b64 v[134:137], v248 offset0:102 offset1:103
	scratch_load_dwordx2 v[0:1], off, off offset:512
	scratch_load_dwordx2 v[2:3], off, off offset:520
	s_waitcnt vmcnt(0) lgkmcnt(0)
	v_mul_f64 v[138:139], v[136:137], v[2:3]
	v_mul_f64 v[140:141], v[134:135], v[2:3]
	v_fma_f64 v[138:139], v[134:135], v[0:1], -v[138:139]
	v_fmac_f64_e32 v[140:141], v[136:137], v[0:1]
	scratch_load_dwordx4 v[134:137], off, off offset:816
	s_waitcnt vmcnt(0)
	v_add_f64 v[134:135], v[134:135], -v[138:139]
	v_add_f64 v[136:137], v[136:137], -v[140:141]
	scratch_store_dwordx4 off, v[134:137], off offset:816
	ds_read2_b64 v[134:137], v248 offset0:104 offset1:105
	s_waitcnt lgkmcnt(0)
	v_mul_f64 v[138:139], v[136:137], v[2:3]
	v_mul_f64 v[140:141], v[134:135], v[2:3]
	v_fma_f64 v[138:139], v[134:135], v[0:1], -v[138:139]
	v_fmac_f64_e32 v[140:141], v[136:137], v[0:1]
	scratch_load_dwordx4 v[134:137], off, off offset:832
	s_waitcnt vmcnt(0)
	v_add_f64 v[134:135], v[134:135], -v[138:139]
	v_add_f64 v[136:137], v[136:137], -v[140:141]
	scratch_store_dwordx4 off, v[134:137], off offset:832
	ds_read2_b64 v[134:137], v248 offset0:106 offset1:107
	s_waitcnt lgkmcnt(0)
	;; [unrolled: 11-line block ×5, first 2 shown]
	v_mul_f64 v[138:139], v[136:137], v[2:3]
	v_mul_f64 v[2:3], v[134:135], v[2:3]
	v_fma_f64 v[138:139], v[134:135], v[0:1], -v[138:139]
	v_fmac_f64_e32 v[2:3], v[136:137], v[0:1]
	scratch_load_dwordx4 v[134:137], off, off offset:896
	s_waitcnt vmcnt(0)
	v_add_f64 v[134:135], v[134:135], -v[138:139]
	v_add_f64 v[136:137], v[136:137], -v[2:3]
	scratch_store_dwordx4 off, v[134:137], off offset:896
	scratch_load_dwordx2 v[134:135], off, off offset:520
	ds_read2_b64 v[136:139], v248 offset0:114 offset1:115
	s_waitcnt vmcnt(0) lgkmcnt(0)
	v_mul_f64 v[0:1], v[138:139], v[134:135]
	v_mul_f64 v[2:3], v[136:137], v[134:135]
	v_fma_f64 v[0:1], v[136:137], v[132:133], -v[0:1]
	v_fmac_f64_e32 v[2:3], v[138:139], v[132:133]
	scratch_load_dwordx4 v[136:139], off, off offset:912
	s_waitcnt vmcnt(0)
	v_add_f64 v[136:137], v[136:137], -v[0:1]
	v_add_f64 v[138:139], v[138:139], -v[2:3]
	scratch_store_dwordx4 off, v[136:139], off offset:912
	ds_read2_b64 v[138:141], v248 offset0:116 offset1:117
	s_waitcnt lgkmcnt(0)
	v_mul_f64 v[0:1], v[140:141], v[134:135]
	v_fma_f64 v[136:137], v[138:139], v[132:133], -v[0:1]
	v_mul_f64 v[138:139], v[138:139], v[134:135]
	v_fmac_f64_e32 v[138:139], v[140:141], v[132:133]
	scratch_load_dwordx4 v[140:143], off, off offset:928
	s_waitcnt vmcnt(0)
	v_add_f64 v[136:137], v[140:141], -v[136:137]
	v_add_f64 v[138:139], v[142:143], -v[138:139]
	scratch_store_dwordx4 off, v[136:139], off offset:928
	ds_read2_b64 v[136:139], v248 offset0:118 offset1:119
	s_waitcnt lgkmcnt(0)
	v_mul_f64 v[0:1], v[138:139], v[134:135]
	v_mul_f64 v[2:3], v[136:137], v[134:135]
	v_fma_f64 v[0:1], v[136:137], v[132:133], -v[0:1]
	v_fmac_f64_e32 v[2:3], v[138:139], v[132:133]
	scratch_load_dwordx4 v[136:139], off, off offset:944
	s_waitcnt vmcnt(0)
	v_add_f64 v[136:137], v[136:137], -v[0:1]
	v_add_f64 v[138:139], v[138:139], -v[2:3]
	scratch_store_dwordx4 off, v[136:139], off offset:944
	ds_read2_b64 v[138:141], v248 offset0:120 offset1:121
	s_waitcnt lgkmcnt(0)
	v_mul_f64 v[0:1], v[140:141], v[134:135]
	v_mul_f64 v[134:135], v[138:139], v[134:135]
	v_fma_f64 v[136:137], v[138:139], v[132:133], -v[0:1]
	v_fmac_f64_e32 v[134:135], v[140:141], v[132:133]
	scratch_load_dwordx4 v[138:141], off, off offset:960
	s_waitcnt vmcnt(0)
	v_add_f64 v[132:133], v[138:139], -v[136:137]
	v_add_f64 v[134:135], v[140:141], -v[134:135]
	scratch_store_dwordx4 off, v[132:135], off offset:960
.LBB121_398:
	s_or_b64 exec, exec, s[2:3]
	v_cmp_eq_u32_e32 vcc, 33, v252
	s_waitcnt lgkmcnt(0)
	s_barrier
	s_and_saveexec_b64 s[4:5], vcc
	s_cbranch_execz .LBB121_405
; %bb.399:
	scratch_load_dwordx4 v[132:135], off, s37
	s_waitcnt vmcnt(0)
	ds_write2_b64 v253, v[132:133], v[134:135] offset1:1
	scratch_load_dwordx4 v[132:135], off, s36
	s_waitcnt vmcnt(0)
	ds_write2_b64 v248, v[132:133], v[134:135] offset0:68 offset1:69
	scratch_load_dwordx4 v[132:135], off, s35
	s_waitcnt vmcnt(0)
	ds_write2_b64 v248, v[132:133], v[134:135] offset0:70 offset1:71
	;; [unrolled: 3-line block ×27, first 2 shown]
	ds_read2_b64 v[132:135], v253 offset1:1
	s_waitcnt lgkmcnt(0)
	v_cmp_neq_f64_e32 vcc, 0, v[132:133]
	v_cmp_neq_f64_e64 s[2:3], 0, v[134:135]
	s_or_b64 s[2:3], vcc, s[2:3]
	s_and_b64 exec, exec, s[2:3]
	s_cbranch_execz .LBB121_405
; %bb.400:
	v_cmp_ngt_f64_e64 s[2:3], |v[132:133]|, |v[134:135]|
                                        ; implicit-def: $vgpr136_vgpr137
	s_and_saveexec_b64 s[70:71], s[2:3]
	s_xor_b64 s[2:3], exec, s[70:71]
                                        ; implicit-def: $vgpr138_vgpr139
	s_cbranch_execz .LBB121_402
; %bb.401:
	v_div_scale_f64 v[0:1], s[70:71], v[134:135], v[134:135], v[132:133]
	v_rcp_f64_e32 v[2:3], v[0:1]
	v_div_scale_f64 v[136:137], vcc, v[132:133], v[134:135], v[132:133]
	v_fma_f64 v[138:139], -v[0:1], v[2:3], 1.0
	v_fmac_f64_e32 v[2:3], v[2:3], v[138:139]
	v_fma_f64 v[138:139], -v[0:1], v[2:3], 1.0
	v_fmac_f64_e32 v[2:3], v[2:3], v[138:139]
	v_mul_f64 v[138:139], v[136:137], v[2:3]
	v_fma_f64 v[0:1], -v[0:1], v[138:139], v[136:137]
	v_div_fmas_f64 v[0:1], v[0:1], v[2:3], v[138:139]
	v_div_fixup_f64 v[0:1], v[0:1], v[134:135], v[132:133]
	v_fmac_f64_e32 v[134:135], v[132:133], v[0:1]
	v_div_scale_f64 v[2:3], s[70:71], v[134:135], v[134:135], 1.0
	v_rcp_f64_e32 v[132:133], v[2:3]
	s_nop 0
	v_fma_f64 v[136:137], -v[2:3], v[132:133], 1.0
	v_fmac_f64_e32 v[132:133], v[132:133], v[136:137]
	v_fma_f64 v[136:137], -v[2:3], v[132:133], 1.0
	v_fmac_f64_e32 v[132:133], v[132:133], v[136:137]
	v_div_scale_f64 v[136:137], vcc, 1.0, v[134:135], 1.0
	v_mul_f64 v[138:139], v[136:137], v[132:133]
	v_fma_f64 v[2:3], -v[2:3], v[138:139], v[136:137]
	s_nop 1
	v_div_fmas_f64 v[2:3], v[2:3], v[132:133], v[138:139]
	v_div_fixup_f64 v[138:139], v[2:3], v[134:135], 1.0
	v_mul_f64 v[136:137], v[0:1], v[138:139]
	v_xor_b32_e32 v139, 0x80000000, v139
                                        ; implicit-def: $vgpr132_vgpr133
.LBB121_402:
	s_andn2_saveexec_b64 s[2:3], s[2:3]
	s_cbranch_execz .LBB121_404
; %bb.403:
	v_div_scale_f64 v[0:1], s[70:71], v[132:133], v[132:133], v[134:135]
	v_rcp_f64_e32 v[2:3], v[0:1]
	v_div_scale_f64 v[136:137], vcc, v[134:135], v[132:133], v[134:135]
	v_fma_f64 v[138:139], -v[0:1], v[2:3], 1.0
	v_fmac_f64_e32 v[2:3], v[2:3], v[138:139]
	v_fma_f64 v[138:139], -v[0:1], v[2:3], 1.0
	v_fmac_f64_e32 v[2:3], v[2:3], v[138:139]
	v_mul_f64 v[138:139], v[136:137], v[2:3]
	v_fma_f64 v[0:1], -v[0:1], v[138:139], v[136:137]
	v_div_fmas_f64 v[0:1], v[0:1], v[2:3], v[138:139]
	v_div_fixup_f64 v[0:1], v[0:1], v[132:133], v[134:135]
	v_fmac_f64_e32 v[132:133], v[134:135], v[0:1]
	v_div_scale_f64 v[2:3], s[70:71], v[132:133], v[132:133], 1.0
	v_rcp_f64_e32 v[134:135], v[2:3]
	s_nop 0
	v_fma_f64 v[136:137], -v[2:3], v[134:135], 1.0
	v_fmac_f64_e32 v[134:135], v[134:135], v[136:137]
	v_fma_f64 v[136:137], -v[2:3], v[134:135], 1.0
	v_fmac_f64_e32 v[134:135], v[134:135], v[136:137]
	v_div_scale_f64 v[136:137], vcc, 1.0, v[132:133], 1.0
	v_mul_f64 v[138:139], v[136:137], v[134:135]
	v_fma_f64 v[2:3], -v[2:3], v[138:139], v[136:137]
	s_nop 1
	v_div_fmas_f64 v[2:3], v[2:3], v[134:135], v[138:139]
	v_div_fixup_f64 v[136:137], v[2:3], v[132:133], 1.0
	v_mul_f64 v[138:139], v[0:1], -v[136:137]
.LBB121_404:
	s_or_b64 exec, exec, s[2:3]
	ds_write2_b64 v253, v[136:137], v[138:139] offset1:1
.LBB121_405:
	s_or_b64 exec, exec, s[4:5]
	s_waitcnt lgkmcnt(0)
	s_barrier
	ds_read2_b64 v[132:135], v253 offset1:1
	v_cmp_lt_u32_e32 vcc, 33, v252
	s_and_saveexec_b64 s[2:3], vcc
	s_cbranch_execz .LBB121_407
; %bb.406:
	scratch_load_dwordx4 v[136:139], off, off offset:528
	s_waitcnt vmcnt(0) lgkmcnt(0)
	v_mul_f64 v[0:1], v[134:135], v[138:139]
	v_mul_f64 v[142:143], v[132:133], v[138:139]
	v_fma_f64 v[140:141], v[132:133], v[136:137], -v[0:1]
	v_fmac_f64_e32 v[142:143], v[134:135], v[136:137]
	ds_read2_b64 v[136:139], v248 offset0:68 offset1:69
	scratch_store_dwordx4 off, v[140:143], off offset:528
	s_waitcnt lgkmcnt(0)
	v_mul_f64 v[0:1], v[138:139], v[142:143]
	v_mul_f64 v[2:3], v[136:137], v[142:143]
	v_fma_f64 v[0:1], v[136:137], v[140:141], -v[0:1]
	v_fmac_f64_e32 v[2:3], v[138:139], v[140:141]
	scratch_load_dwordx4 v[136:139], off, off offset:544
	s_waitcnt vmcnt(0)
	v_add_f64 v[136:137], v[136:137], -v[0:1]
	v_add_f64 v[138:139], v[138:139], -v[2:3]
	scratch_store_dwordx4 off, v[136:139], off offset:544
	ds_read2_b64 v[136:139], v248 offset0:70 offset1:71
	s_waitcnt lgkmcnt(0)
	v_mul_f64 v[0:1], v[138:139], v[142:143]
	v_mul_f64 v[2:3], v[136:137], v[142:143]
	v_fma_f64 v[0:1], v[136:137], v[140:141], -v[0:1]
	v_fmac_f64_e32 v[2:3], v[138:139], v[140:141]
	scratch_load_dwordx4 v[136:139], off, off offset:560
	s_waitcnt vmcnt(0)
	v_add_f64 v[136:137], v[136:137], -v[0:1]
	v_add_f64 v[138:139], v[138:139], -v[2:3]
	scratch_store_dwordx4 off, v[136:139], off offset:560
	ds_read2_b64 v[136:139], v248 offset0:72 offset1:73
	;; [unrolled: 11-line block ×5, first 2 shown]
	s_waitcnt lgkmcnt(0)
	v_mul_f64 v[0:1], v[138:139], v[142:143]
	v_mul_f64 v[2:3], v[136:137], v[142:143]
	v_fma_f64 v[0:1], v[136:137], v[140:141], -v[0:1]
	v_fmac_f64_e32 v[2:3], v[138:139], v[140:141]
	scratch_load_dwordx4 v[136:139], off, off offset:624
	ds_read2_b64 v[142:145], v248 offset0:80 offset1:81
	s_waitcnt vmcnt(0)
	v_add_f64 v[136:137], v[136:137], -v[0:1]
	v_add_f64 v[138:139], v[138:139], -v[2:3]
	scratch_store_dwordx4 off, v[136:139], off offset:624
	scratch_load_dwordx2 v[140:141], off, off offset:528
	s_nop 0
	scratch_load_dwordx4 v[136:139], off, off offset:528
	s_waitcnt vmcnt(0) lgkmcnt(0)
	v_mul_f64 v[0:1], v[144:145], v[138:139]
	v_mul_f64 v[2:3], v[142:143], v[138:139]
	v_fma_f64 v[0:1], v[142:143], v[140:141], -v[0:1]
	v_fmac_f64_e32 v[2:3], v[144:145], v[140:141]
	scratch_load_dwordx4 v[142:145], off, off offset:640
	s_waitcnt vmcnt(0)
	v_add_f64 v[142:143], v[142:143], -v[0:1]
	v_add_f64 v[144:145], v[144:145], -v[2:3]
	scratch_store_dwordx4 off, v[142:145], off offset:640
	ds_read2_b64 v[142:145], v248 offset0:82 offset1:83
	s_waitcnt lgkmcnt(0)
	v_mul_f64 v[0:1], v[144:145], v[138:139]
	v_mul_f64 v[2:3], v[142:143], v[138:139]
	v_fma_f64 v[0:1], v[142:143], v[140:141], -v[0:1]
	v_fmac_f64_e32 v[2:3], v[144:145], v[140:141]
	scratch_load_dwordx4 v[142:145], off, off offset:656
	s_waitcnt vmcnt(0)
	v_add_f64 v[142:143], v[142:143], -v[0:1]
	v_add_f64 v[144:145], v[144:145], -v[2:3]
	scratch_store_dwordx4 off, v[142:145], off offset:656
	ds_read2_b64 v[142:145], v248 offset0:84 offset1:85
	s_waitcnt lgkmcnt(0)
	v_mul_f64 v[0:1], v[144:145], v[138:139]
	v_mul_f64 v[2:3], v[142:143], v[138:139]
	v_fma_f64 v[0:1], v[142:143], v[140:141], -v[0:1]
	v_fmac_f64_e32 v[2:3], v[144:145], v[140:141]
	scratch_load_dwordx4 v[142:145], off, off offset:672
	s_waitcnt vmcnt(0)
	v_add_f64 v[142:143], v[142:143], -v[0:1]
	v_add_f64 v[144:145], v[144:145], -v[2:3]
	scratch_store_dwordx4 off, v[142:145], off offset:672
	ds_read2_b64 v[142:145], v248 offset0:86 offset1:87
	s_waitcnt lgkmcnt(0)
	v_mul_f64 v[0:1], v[144:145], v[138:139]
	v_mul_f64 v[2:3], v[142:143], v[138:139]
	v_fma_f64 v[0:1], v[142:143], v[140:141], -v[0:1]
	v_fmac_f64_e32 v[2:3], v[144:145], v[140:141]
	scratch_load_dwordx4 v[142:145], off, off offset:688
	s_waitcnt vmcnt(0)
	v_add_f64 v[142:143], v[142:143], -v[0:1]
	v_add_f64 v[144:145], v[144:145], -v[2:3]
	scratch_store_dwordx4 off, v[142:145], off offset:688
	ds_read2_b64 v[142:145], v248 offset0:88 offset1:89
	s_waitcnt lgkmcnt(0)
	v_mul_f64 v[0:1], v[144:145], v[138:139]
	v_mul_f64 v[2:3], v[142:143], v[138:139]
	v_fma_f64 v[0:1], v[142:143], v[140:141], -v[0:1]
	v_fmac_f64_e32 v[2:3], v[144:145], v[140:141]
	scratch_load_dwordx4 v[142:145], off, off offset:704
	s_waitcnt vmcnt(0)
	v_add_f64 v[142:143], v[142:143], -v[0:1]
	v_add_f64 v[144:145], v[144:145], -v[2:3]
	scratch_store_dwordx4 off, v[142:145], off offset:704
	ds_read2_b64 v[142:145], v248 offset0:90 offset1:91
	s_waitcnt lgkmcnt(0)
	v_mul_f64 v[0:1], v[144:145], v[138:139]
	v_mul_f64 v[2:3], v[142:143], v[138:139]
	v_fma_f64 v[0:1], v[142:143], v[140:141], -v[0:1]
	v_fmac_f64_e32 v[2:3], v[144:145], v[140:141]
	scratch_load_dwordx4 v[138:141], off, off offset:720
	s_waitcnt vmcnt(0)
	v_add_f64 v[138:139], v[138:139], -v[0:1]
	v_add_f64 v[140:141], v[140:141], -v[2:3]
	scratch_store_dwordx4 off, v[138:141], off offset:720
	ds_read2_b64 v[140:143], v248 offset0:92 offset1:93
	scratch_load_dwordx2 v[138:139], off, off offset:528
	scratch_load_dwordx2 v[0:1], off, off offset:536
	s_waitcnt vmcnt(0) lgkmcnt(0)
	v_mul_f64 v[2:3], v[142:143], v[0:1]
	v_mul_f64 v[144:145], v[140:141], v[0:1]
	v_fma_f64 v[2:3], v[140:141], v[138:139], -v[2:3]
	v_fmac_f64_e32 v[144:145], v[142:143], v[138:139]
	scratch_load_dwordx4 v[140:143], off, off offset:736
	s_waitcnt vmcnt(0)
	v_add_f64 v[140:141], v[140:141], -v[2:3]
	v_add_f64 v[142:143], v[142:143], -v[144:145]
	scratch_store_dwordx4 off, v[140:143], off offset:736
	ds_read2_b64 v[140:143], v248 offset0:94 offset1:95
	s_waitcnt lgkmcnt(0)
	v_mul_f64 v[2:3], v[142:143], v[0:1]
	v_mul_f64 v[144:145], v[140:141], v[0:1]
	v_fma_f64 v[2:3], v[140:141], v[138:139], -v[2:3]
	v_fmac_f64_e32 v[144:145], v[142:143], v[138:139]
	scratch_load_dwordx4 v[140:143], off, off offset:752
	s_waitcnt vmcnt(0)
	v_add_f64 v[140:141], v[140:141], -v[2:3]
	v_add_f64 v[142:143], v[142:143], -v[144:145]
	scratch_store_dwordx4 off, v[140:143], off offset:752
	ds_read2_b64 v[140:143], v248 offset0:96 offset1:97
	s_waitcnt lgkmcnt(0)
	;; [unrolled: 11-line block ×5, first 2 shown]
	v_mul_f64 v[2:3], v[142:143], v[0:1]
	v_mul_f64 v[0:1], v[140:141], v[0:1]
	v_fma_f64 v[2:3], v[140:141], v[138:139], -v[2:3]
	v_fmac_f64_e32 v[0:1], v[142:143], v[138:139]
	scratch_load_dwordx4 v[138:141], off, off offset:816
	s_waitcnt vmcnt(0)
	v_add_f64 v[138:139], v[138:139], -v[2:3]
	v_add_f64 v[140:141], v[140:141], -v[0:1]
	scratch_store_dwordx4 off, v[138:141], off offset:816
	ds_read2_b64 v[138:141], v248 offset0:104 offset1:105
	scratch_load_dwordx2 v[0:1], off, off offset:528
	scratch_load_dwordx2 v[2:3], off, off offset:536
	s_waitcnt vmcnt(0) lgkmcnt(0)
	v_mul_f64 v[142:143], v[140:141], v[2:3]
	v_mul_f64 v[144:145], v[138:139], v[2:3]
	v_fma_f64 v[142:143], v[138:139], v[0:1], -v[142:143]
	v_fmac_f64_e32 v[144:145], v[140:141], v[0:1]
	scratch_load_dwordx4 v[138:141], off, off offset:832
	s_waitcnt vmcnt(0)
	v_add_f64 v[138:139], v[138:139], -v[142:143]
	v_add_f64 v[140:141], v[140:141], -v[144:145]
	scratch_store_dwordx4 off, v[138:141], off offset:832
	ds_read2_b64 v[138:141], v248 offset0:106 offset1:107
	s_waitcnt lgkmcnt(0)
	v_mul_f64 v[142:143], v[140:141], v[2:3]
	v_mul_f64 v[144:145], v[138:139], v[2:3]
	v_fma_f64 v[142:143], v[138:139], v[0:1], -v[142:143]
	v_fmac_f64_e32 v[144:145], v[140:141], v[0:1]
	scratch_load_dwordx4 v[138:141], off, off offset:848
	s_waitcnt vmcnt(0)
	v_add_f64 v[138:139], v[138:139], -v[142:143]
	v_add_f64 v[140:141], v[140:141], -v[144:145]
	scratch_store_dwordx4 off, v[138:141], off offset:848
	ds_read2_b64 v[138:141], v248 offset0:108 offset1:109
	s_waitcnt lgkmcnt(0)
	;; [unrolled: 11-line block ×5, first 2 shown]
	v_mul_f64 v[142:143], v[140:141], v[2:3]
	v_mul_f64 v[2:3], v[138:139], v[2:3]
	v_fma_f64 v[142:143], v[138:139], v[0:1], -v[142:143]
	v_fmac_f64_e32 v[2:3], v[140:141], v[0:1]
	scratch_load_dwordx4 v[138:141], off, off offset:912
	scratch_load_dwordx2 v[0:1], off, off offset:536
	s_waitcnt vmcnt(1)
	v_add_f64 v[138:139], v[138:139], -v[142:143]
	v_add_f64 v[140:141], v[140:141], -v[2:3]
	scratch_store_dwordx4 off, v[138:141], off offset:912
	ds_read2_b64 v[138:141], v248 offset0:116 offset1:117
	s_waitcnt vmcnt(1) lgkmcnt(0)
	v_mul_f64 v[2:3], v[140:141], v[0:1]
	v_mul_f64 v[142:143], v[138:139], v[0:1]
	v_fma_f64 v[2:3], v[138:139], v[136:137], -v[2:3]
	v_fmac_f64_e32 v[142:143], v[140:141], v[136:137]
	scratch_load_dwordx4 v[138:141], off, off offset:928
	s_waitcnt vmcnt(0)
	v_add_f64 v[138:139], v[138:139], -v[2:3]
	v_add_f64 v[140:141], v[140:141], -v[142:143]
	scratch_store_dwordx4 off, v[138:141], off offset:928
	ds_read2_b64 v[138:141], v248 offset0:118 offset1:119
	s_waitcnt lgkmcnt(0)
	v_mul_f64 v[2:3], v[140:141], v[0:1]
	v_mul_f64 v[142:143], v[138:139], v[0:1]
	v_fma_f64 v[2:3], v[138:139], v[136:137], -v[2:3]
	v_fmac_f64_e32 v[142:143], v[140:141], v[136:137]
	scratch_load_dwordx4 v[138:141], off, off offset:944
	s_waitcnt vmcnt(0)
	v_add_f64 v[138:139], v[138:139], -v[2:3]
	v_add_f64 v[140:141], v[140:141], -v[142:143]
	scratch_store_dwordx4 off, v[138:141], off offset:944
	ds_read2_b64 v[140:143], v248 offset0:120 offset1:121
	s_waitcnt lgkmcnt(0)
	v_mul_f64 v[2:3], v[142:143], v[0:1]
	v_fma_f64 v[138:139], v[140:141], v[136:137], -v[2:3]
	v_mul_f64 v[140:141], v[140:141], v[0:1]
	v_fmac_f64_e32 v[140:141], v[142:143], v[136:137]
	scratch_load_dwordx4 v[142:145], off, off offset:960
	s_waitcnt vmcnt(0)
	v_add_f64 v[136:137], v[142:143], -v[138:139]
	v_add_f64 v[138:139], v[144:145], -v[140:141]
	scratch_store_dwordx4 off, v[136:139], off offset:960
.LBB121_407:
	s_or_b64 exec, exec, s[2:3]
	v_cmp_eq_u32_e32 vcc, 34, v252
	s_waitcnt lgkmcnt(0)
	s_barrier
	s_and_saveexec_b64 s[4:5], vcc
	s_cbranch_execz .LBB121_414
; %bb.408:
	scratch_load_dwordx4 v[136:139], off, s36
	s_waitcnt vmcnt(0)
	ds_write2_b64 v253, v[136:137], v[138:139] offset1:1
	scratch_load_dwordx4 v[136:139], off, s35
	s_waitcnt vmcnt(0)
	ds_write2_b64 v248, v[136:137], v[138:139] offset0:70 offset1:71
	scratch_load_dwordx4 v[136:139], off, s34
	s_waitcnt vmcnt(0)
	ds_write2_b64 v248, v[136:137], v[138:139] offset0:72 offset1:73
	;; [unrolled: 3-line block ×26, first 2 shown]
	ds_read2_b64 v[136:139], v253 offset1:1
	s_waitcnt lgkmcnt(0)
	v_cmp_neq_f64_e32 vcc, 0, v[136:137]
	v_cmp_neq_f64_e64 s[2:3], 0, v[138:139]
	s_or_b64 s[2:3], vcc, s[2:3]
	s_and_b64 exec, exec, s[2:3]
	s_cbranch_execz .LBB121_414
; %bb.409:
	v_cmp_ngt_f64_e64 s[2:3], |v[136:137]|, |v[138:139]|
                                        ; implicit-def: $vgpr140_vgpr141
	s_and_saveexec_b64 s[70:71], s[2:3]
	s_xor_b64 s[2:3], exec, s[70:71]
                                        ; implicit-def: $vgpr142_vgpr143
	s_cbranch_execz .LBB121_411
; %bb.410:
	v_div_scale_f64 v[0:1], s[70:71], v[138:139], v[138:139], v[136:137]
	v_rcp_f64_e32 v[2:3], v[0:1]
	v_div_scale_f64 v[140:141], vcc, v[136:137], v[138:139], v[136:137]
	v_fma_f64 v[142:143], -v[0:1], v[2:3], 1.0
	v_fmac_f64_e32 v[2:3], v[2:3], v[142:143]
	v_fma_f64 v[142:143], -v[0:1], v[2:3], 1.0
	v_fmac_f64_e32 v[2:3], v[2:3], v[142:143]
	v_mul_f64 v[142:143], v[140:141], v[2:3]
	v_fma_f64 v[0:1], -v[0:1], v[142:143], v[140:141]
	v_div_fmas_f64 v[0:1], v[0:1], v[2:3], v[142:143]
	v_div_fixup_f64 v[0:1], v[0:1], v[138:139], v[136:137]
	v_fmac_f64_e32 v[138:139], v[136:137], v[0:1]
	v_div_scale_f64 v[2:3], s[70:71], v[138:139], v[138:139], 1.0
	v_rcp_f64_e32 v[136:137], v[2:3]
	s_nop 0
	v_fma_f64 v[140:141], -v[2:3], v[136:137], 1.0
	v_fmac_f64_e32 v[136:137], v[136:137], v[140:141]
	v_fma_f64 v[140:141], -v[2:3], v[136:137], 1.0
	v_fmac_f64_e32 v[136:137], v[136:137], v[140:141]
	v_div_scale_f64 v[140:141], vcc, 1.0, v[138:139], 1.0
	v_mul_f64 v[142:143], v[140:141], v[136:137]
	v_fma_f64 v[2:3], -v[2:3], v[142:143], v[140:141]
	s_nop 1
	v_div_fmas_f64 v[2:3], v[2:3], v[136:137], v[142:143]
	v_div_fixup_f64 v[142:143], v[2:3], v[138:139], 1.0
	v_mul_f64 v[140:141], v[0:1], v[142:143]
	v_xor_b32_e32 v143, 0x80000000, v143
                                        ; implicit-def: $vgpr136_vgpr137
.LBB121_411:
	s_andn2_saveexec_b64 s[2:3], s[2:3]
	s_cbranch_execz .LBB121_413
; %bb.412:
	v_div_scale_f64 v[0:1], s[70:71], v[136:137], v[136:137], v[138:139]
	v_rcp_f64_e32 v[2:3], v[0:1]
	v_div_scale_f64 v[140:141], vcc, v[138:139], v[136:137], v[138:139]
	v_fma_f64 v[142:143], -v[0:1], v[2:3], 1.0
	v_fmac_f64_e32 v[2:3], v[2:3], v[142:143]
	v_fma_f64 v[142:143], -v[0:1], v[2:3], 1.0
	v_fmac_f64_e32 v[2:3], v[2:3], v[142:143]
	v_mul_f64 v[142:143], v[140:141], v[2:3]
	v_fma_f64 v[0:1], -v[0:1], v[142:143], v[140:141]
	v_div_fmas_f64 v[0:1], v[0:1], v[2:3], v[142:143]
	v_div_fixup_f64 v[0:1], v[0:1], v[136:137], v[138:139]
	v_fmac_f64_e32 v[136:137], v[138:139], v[0:1]
	v_div_scale_f64 v[2:3], s[70:71], v[136:137], v[136:137], 1.0
	v_rcp_f64_e32 v[138:139], v[2:3]
	s_nop 0
	v_fma_f64 v[140:141], -v[2:3], v[138:139], 1.0
	v_fmac_f64_e32 v[138:139], v[138:139], v[140:141]
	v_fma_f64 v[140:141], -v[2:3], v[138:139], 1.0
	v_fmac_f64_e32 v[138:139], v[138:139], v[140:141]
	v_div_scale_f64 v[140:141], vcc, 1.0, v[136:137], 1.0
	v_mul_f64 v[142:143], v[140:141], v[138:139]
	v_fma_f64 v[2:3], -v[2:3], v[142:143], v[140:141]
	s_nop 1
	v_div_fmas_f64 v[2:3], v[2:3], v[138:139], v[142:143]
	v_div_fixup_f64 v[140:141], v[2:3], v[136:137], 1.0
	v_mul_f64 v[142:143], v[0:1], -v[140:141]
.LBB121_413:
	s_or_b64 exec, exec, s[2:3]
	ds_write2_b64 v253, v[140:141], v[142:143] offset1:1
.LBB121_414:
	s_or_b64 exec, exec, s[4:5]
	s_waitcnt lgkmcnt(0)
	s_barrier
	ds_read2_b64 v[136:139], v253 offset1:1
	v_cmp_lt_u32_e32 vcc, 34, v252
	s_and_saveexec_b64 s[2:3], vcc
	s_cbranch_execz .LBB121_416
; %bb.415:
	scratch_load_dwordx4 v[140:143], off, off offset:544
	s_waitcnt vmcnt(0) lgkmcnt(0)
	v_mul_f64 v[0:1], v[138:139], v[142:143]
	v_mul_f64 v[146:147], v[136:137], v[142:143]
	v_fma_f64 v[144:145], v[136:137], v[140:141], -v[0:1]
	v_fmac_f64_e32 v[146:147], v[138:139], v[140:141]
	ds_read2_b64 v[140:143], v248 offset0:70 offset1:71
	scratch_store_dwordx4 off, v[144:147], off offset:544
	s_waitcnt lgkmcnt(0)
	v_mul_f64 v[0:1], v[142:143], v[146:147]
	v_mul_f64 v[2:3], v[140:141], v[146:147]
	v_fma_f64 v[0:1], v[140:141], v[144:145], -v[0:1]
	v_fmac_f64_e32 v[2:3], v[142:143], v[144:145]
	scratch_load_dwordx4 v[140:143], off, off offset:560
	s_waitcnt vmcnt(0)
	v_add_f64 v[140:141], v[140:141], -v[0:1]
	v_add_f64 v[142:143], v[142:143], -v[2:3]
	scratch_store_dwordx4 off, v[140:143], off offset:560
	ds_read2_b64 v[140:143], v248 offset0:72 offset1:73
	s_waitcnt lgkmcnt(0)
	v_mul_f64 v[0:1], v[142:143], v[146:147]
	v_mul_f64 v[2:3], v[140:141], v[146:147]
	v_fma_f64 v[0:1], v[140:141], v[144:145], -v[0:1]
	v_fmac_f64_e32 v[2:3], v[142:143], v[144:145]
	scratch_load_dwordx4 v[140:143], off, off offset:576
	s_waitcnt vmcnt(0)
	v_add_f64 v[140:141], v[140:141], -v[0:1]
	v_add_f64 v[142:143], v[142:143], -v[2:3]
	scratch_store_dwordx4 off, v[140:143], off offset:576
	ds_read2_b64 v[140:143], v248 offset0:74 offset1:75
	;; [unrolled: 11-line block ×5, first 2 shown]
	s_waitcnt lgkmcnt(0)
	v_mul_f64 v[0:1], v[142:143], v[146:147]
	v_mul_f64 v[2:3], v[140:141], v[146:147]
	v_fma_f64 v[0:1], v[140:141], v[144:145], -v[0:1]
	v_fmac_f64_e32 v[2:3], v[142:143], v[144:145]
	scratch_load_dwordx4 v[140:143], off, off offset:640
	ds_read2_b64 v[146:149], v248 offset0:82 offset1:83
	s_waitcnt vmcnt(0)
	v_add_f64 v[140:141], v[140:141], -v[0:1]
	v_add_f64 v[142:143], v[142:143], -v[2:3]
	scratch_store_dwordx4 off, v[140:143], off offset:640
	scratch_load_dwordx2 v[144:145], off, off offset:544
	s_nop 0
	scratch_load_dwordx4 v[140:143], off, off offset:544
	s_waitcnt vmcnt(0) lgkmcnt(0)
	v_mul_f64 v[0:1], v[148:149], v[142:143]
	v_mul_f64 v[2:3], v[146:147], v[142:143]
	v_fma_f64 v[0:1], v[146:147], v[144:145], -v[0:1]
	v_fmac_f64_e32 v[2:3], v[148:149], v[144:145]
	scratch_load_dwordx4 v[146:149], off, off offset:656
	s_waitcnt vmcnt(0)
	v_add_f64 v[146:147], v[146:147], -v[0:1]
	v_add_f64 v[148:149], v[148:149], -v[2:3]
	scratch_store_dwordx4 off, v[146:149], off offset:656
	ds_read2_b64 v[146:149], v248 offset0:84 offset1:85
	s_waitcnt lgkmcnt(0)
	v_mul_f64 v[0:1], v[148:149], v[142:143]
	v_mul_f64 v[2:3], v[146:147], v[142:143]
	v_fma_f64 v[0:1], v[146:147], v[144:145], -v[0:1]
	v_fmac_f64_e32 v[2:3], v[148:149], v[144:145]
	scratch_load_dwordx4 v[146:149], off, off offset:672
	s_waitcnt vmcnt(0)
	v_add_f64 v[146:147], v[146:147], -v[0:1]
	v_add_f64 v[148:149], v[148:149], -v[2:3]
	scratch_store_dwordx4 off, v[146:149], off offset:672
	ds_read2_b64 v[146:149], v248 offset0:86 offset1:87
	s_waitcnt lgkmcnt(0)
	;; [unrolled: 11-line block ×5, first 2 shown]
	v_mul_f64 v[0:1], v[148:149], v[142:143]
	v_mul_f64 v[2:3], v[146:147], v[142:143]
	v_fma_f64 v[0:1], v[146:147], v[144:145], -v[0:1]
	v_fmac_f64_e32 v[2:3], v[148:149], v[144:145]
	scratch_load_dwordx4 v[142:145], off, off offset:736
	s_waitcnt vmcnt(0)
	v_add_f64 v[142:143], v[142:143], -v[0:1]
	v_add_f64 v[144:145], v[144:145], -v[2:3]
	scratch_store_dwordx4 off, v[142:145], off offset:736
	ds_read2_b64 v[144:147], v248 offset0:94 offset1:95
	scratch_load_dwordx2 v[142:143], off, off offset:544
	scratch_load_dwordx2 v[0:1], off, off offset:552
	s_waitcnt vmcnt(0) lgkmcnt(0)
	v_mul_f64 v[2:3], v[146:147], v[0:1]
	v_mul_f64 v[148:149], v[144:145], v[0:1]
	v_fma_f64 v[2:3], v[144:145], v[142:143], -v[2:3]
	v_fmac_f64_e32 v[148:149], v[146:147], v[142:143]
	scratch_load_dwordx4 v[144:147], off, off offset:752
	s_waitcnt vmcnt(0)
	v_add_f64 v[144:145], v[144:145], -v[2:3]
	v_add_f64 v[146:147], v[146:147], -v[148:149]
	scratch_store_dwordx4 off, v[144:147], off offset:752
	ds_read2_b64 v[144:147], v248 offset0:96 offset1:97
	s_waitcnt lgkmcnt(0)
	v_mul_f64 v[2:3], v[146:147], v[0:1]
	v_mul_f64 v[148:149], v[144:145], v[0:1]
	v_fma_f64 v[2:3], v[144:145], v[142:143], -v[2:3]
	v_fmac_f64_e32 v[148:149], v[146:147], v[142:143]
	scratch_load_dwordx4 v[144:147], off, off offset:768
	s_waitcnt vmcnt(0)
	v_add_f64 v[144:145], v[144:145], -v[2:3]
	v_add_f64 v[146:147], v[146:147], -v[148:149]
	scratch_store_dwordx4 off, v[144:147], off offset:768
	ds_read2_b64 v[144:147], v248 offset0:98 offset1:99
	s_waitcnt lgkmcnt(0)
	;; [unrolled: 11-line block ×5, first 2 shown]
	v_mul_f64 v[2:3], v[146:147], v[0:1]
	v_mul_f64 v[0:1], v[144:145], v[0:1]
	v_fma_f64 v[2:3], v[144:145], v[142:143], -v[2:3]
	v_fmac_f64_e32 v[0:1], v[146:147], v[142:143]
	scratch_load_dwordx4 v[142:145], off, off offset:832
	s_waitcnt vmcnt(0)
	v_add_f64 v[142:143], v[142:143], -v[2:3]
	v_add_f64 v[144:145], v[144:145], -v[0:1]
	scratch_store_dwordx4 off, v[142:145], off offset:832
	ds_read2_b64 v[142:145], v248 offset0:106 offset1:107
	scratch_load_dwordx2 v[0:1], off, off offset:544
	scratch_load_dwordx2 v[2:3], off, off offset:552
	s_waitcnt vmcnt(0) lgkmcnt(0)
	v_mul_f64 v[146:147], v[144:145], v[2:3]
	v_mul_f64 v[148:149], v[142:143], v[2:3]
	v_fma_f64 v[146:147], v[142:143], v[0:1], -v[146:147]
	v_fmac_f64_e32 v[148:149], v[144:145], v[0:1]
	scratch_load_dwordx4 v[142:145], off, off offset:848
	s_waitcnt vmcnt(0)
	v_add_f64 v[142:143], v[142:143], -v[146:147]
	v_add_f64 v[144:145], v[144:145], -v[148:149]
	scratch_store_dwordx4 off, v[142:145], off offset:848
	ds_read2_b64 v[142:145], v248 offset0:108 offset1:109
	s_waitcnt lgkmcnt(0)
	v_mul_f64 v[146:147], v[144:145], v[2:3]
	v_mul_f64 v[148:149], v[142:143], v[2:3]
	v_fma_f64 v[146:147], v[142:143], v[0:1], -v[146:147]
	v_fmac_f64_e32 v[148:149], v[144:145], v[0:1]
	scratch_load_dwordx4 v[142:145], off, off offset:864
	s_waitcnt vmcnt(0)
	v_add_f64 v[142:143], v[142:143], -v[146:147]
	v_add_f64 v[144:145], v[144:145], -v[148:149]
	scratch_store_dwordx4 off, v[142:145], off offset:864
	ds_read2_b64 v[142:145], v248 offset0:110 offset1:111
	s_waitcnt lgkmcnt(0)
	;; [unrolled: 11-line block ×5, first 2 shown]
	v_mul_f64 v[146:147], v[144:145], v[2:3]
	v_mul_f64 v[2:3], v[142:143], v[2:3]
	v_fma_f64 v[146:147], v[142:143], v[0:1], -v[146:147]
	v_fmac_f64_e32 v[2:3], v[144:145], v[0:1]
	scratch_load_dwordx4 v[142:145], off, off offset:928
	scratch_load_dwordx2 v[0:1], off, off offset:552
	s_waitcnt vmcnt(1)
	v_add_f64 v[142:143], v[142:143], -v[146:147]
	v_add_f64 v[144:145], v[144:145], -v[2:3]
	scratch_store_dwordx4 off, v[142:145], off offset:928
	ds_read2_b64 v[142:145], v248 offset0:118 offset1:119
	s_waitcnt vmcnt(1) lgkmcnt(0)
	v_mul_f64 v[2:3], v[144:145], v[0:1]
	v_mul_f64 v[146:147], v[142:143], v[0:1]
	v_fma_f64 v[2:3], v[142:143], v[140:141], -v[2:3]
	v_fmac_f64_e32 v[146:147], v[144:145], v[140:141]
	scratch_load_dwordx4 v[142:145], off, off offset:944
	s_waitcnt vmcnt(0)
	v_add_f64 v[144:145], v[144:145], -v[146:147]
	ds_read2_b64 v[146:149], v248 offset0:120 offset1:121
	v_add_f64 v[142:143], v[142:143], -v[2:3]
	scratch_store_dwordx4 off, v[142:145], off offset:944
	s_waitcnt lgkmcnt(0)
	v_mul_f64 v[2:3], v[148:149], v[0:1]
	v_fma_f64 v[144:145], v[146:147], v[140:141], -v[2:3]
	v_mul_f64 v[146:147], v[146:147], v[0:1]
	v_fmac_f64_e32 v[146:147], v[148:149], v[140:141]
	scratch_load_dwordx4 v[140:143], off, off offset:960
	s_waitcnt vmcnt(0)
	v_add_f64 v[140:141], v[140:141], -v[144:145]
	v_add_f64 v[142:143], v[142:143], -v[146:147]
	scratch_store_dwordx4 off, v[140:143], off offset:960
.LBB121_416:
	s_or_b64 exec, exec, s[2:3]
	v_cmp_eq_u32_e32 vcc, 35, v252
	s_waitcnt lgkmcnt(0)
	s_barrier
	s_and_saveexec_b64 s[4:5], vcc
	s_cbranch_execz .LBB121_423
; %bb.417:
	scratch_load_dwordx4 v[140:143], off, s35
	s_waitcnt vmcnt(0)
	ds_write2_b64 v253, v[140:141], v[142:143] offset1:1
	scratch_load_dwordx4 v[140:143], off, s34
	s_waitcnt vmcnt(0)
	ds_write2_b64 v248, v[140:141], v[142:143] offset0:72 offset1:73
	scratch_load_dwordx4 v[140:143], off, s33
	s_waitcnt vmcnt(0)
	ds_write2_b64 v248, v[140:141], v[142:143] offset0:74 offset1:75
	;; [unrolled: 3-line block ×25, first 2 shown]
	ds_read2_b64 v[140:143], v253 offset1:1
	s_waitcnt lgkmcnt(0)
	v_cmp_neq_f64_e32 vcc, 0, v[140:141]
	v_cmp_neq_f64_e64 s[2:3], 0, v[142:143]
	s_or_b64 s[2:3], vcc, s[2:3]
	s_and_b64 exec, exec, s[2:3]
	s_cbranch_execz .LBB121_423
; %bb.418:
	v_cmp_ngt_f64_e64 s[2:3], |v[140:141]|, |v[142:143]|
                                        ; implicit-def: $vgpr144_vgpr145
	s_and_saveexec_b64 s[70:71], s[2:3]
	s_xor_b64 s[2:3], exec, s[70:71]
                                        ; implicit-def: $vgpr146_vgpr147
	s_cbranch_execz .LBB121_420
; %bb.419:
	v_div_scale_f64 v[0:1], s[70:71], v[142:143], v[142:143], v[140:141]
	v_rcp_f64_e32 v[2:3], v[0:1]
	v_div_scale_f64 v[144:145], vcc, v[140:141], v[142:143], v[140:141]
	v_fma_f64 v[146:147], -v[0:1], v[2:3], 1.0
	v_fmac_f64_e32 v[2:3], v[2:3], v[146:147]
	v_fma_f64 v[146:147], -v[0:1], v[2:3], 1.0
	v_fmac_f64_e32 v[2:3], v[2:3], v[146:147]
	v_mul_f64 v[146:147], v[144:145], v[2:3]
	v_fma_f64 v[0:1], -v[0:1], v[146:147], v[144:145]
	v_div_fmas_f64 v[0:1], v[0:1], v[2:3], v[146:147]
	v_div_fixup_f64 v[0:1], v[0:1], v[142:143], v[140:141]
	v_fmac_f64_e32 v[142:143], v[140:141], v[0:1]
	v_div_scale_f64 v[2:3], s[70:71], v[142:143], v[142:143], 1.0
	v_rcp_f64_e32 v[140:141], v[2:3]
	s_nop 0
	v_fma_f64 v[144:145], -v[2:3], v[140:141], 1.0
	v_fmac_f64_e32 v[140:141], v[140:141], v[144:145]
	v_fma_f64 v[144:145], -v[2:3], v[140:141], 1.0
	v_fmac_f64_e32 v[140:141], v[140:141], v[144:145]
	v_div_scale_f64 v[144:145], vcc, 1.0, v[142:143], 1.0
	v_mul_f64 v[146:147], v[144:145], v[140:141]
	v_fma_f64 v[2:3], -v[2:3], v[146:147], v[144:145]
	s_nop 1
	v_div_fmas_f64 v[2:3], v[2:3], v[140:141], v[146:147]
	v_div_fixup_f64 v[146:147], v[2:3], v[142:143], 1.0
	v_mul_f64 v[144:145], v[0:1], v[146:147]
	v_xor_b32_e32 v147, 0x80000000, v147
                                        ; implicit-def: $vgpr140_vgpr141
.LBB121_420:
	s_andn2_saveexec_b64 s[2:3], s[2:3]
	s_cbranch_execz .LBB121_422
; %bb.421:
	v_div_scale_f64 v[0:1], s[70:71], v[140:141], v[140:141], v[142:143]
	v_rcp_f64_e32 v[2:3], v[0:1]
	v_div_scale_f64 v[144:145], vcc, v[142:143], v[140:141], v[142:143]
	v_fma_f64 v[146:147], -v[0:1], v[2:3], 1.0
	v_fmac_f64_e32 v[2:3], v[2:3], v[146:147]
	v_fma_f64 v[146:147], -v[0:1], v[2:3], 1.0
	v_fmac_f64_e32 v[2:3], v[2:3], v[146:147]
	v_mul_f64 v[146:147], v[144:145], v[2:3]
	v_fma_f64 v[0:1], -v[0:1], v[146:147], v[144:145]
	v_div_fmas_f64 v[0:1], v[0:1], v[2:3], v[146:147]
	v_div_fixup_f64 v[0:1], v[0:1], v[140:141], v[142:143]
	v_fmac_f64_e32 v[140:141], v[142:143], v[0:1]
	v_div_scale_f64 v[2:3], s[70:71], v[140:141], v[140:141], 1.0
	v_rcp_f64_e32 v[142:143], v[2:3]
	s_nop 0
	v_fma_f64 v[144:145], -v[2:3], v[142:143], 1.0
	v_fmac_f64_e32 v[142:143], v[142:143], v[144:145]
	v_fma_f64 v[144:145], -v[2:3], v[142:143], 1.0
	v_fmac_f64_e32 v[142:143], v[142:143], v[144:145]
	v_div_scale_f64 v[144:145], vcc, 1.0, v[140:141], 1.0
	v_mul_f64 v[146:147], v[144:145], v[142:143]
	v_fma_f64 v[2:3], -v[2:3], v[146:147], v[144:145]
	s_nop 1
	v_div_fmas_f64 v[2:3], v[2:3], v[142:143], v[146:147]
	v_div_fixup_f64 v[144:145], v[2:3], v[140:141], 1.0
	v_mul_f64 v[146:147], v[0:1], -v[144:145]
.LBB121_422:
	s_or_b64 exec, exec, s[2:3]
	ds_write2_b64 v253, v[144:145], v[146:147] offset1:1
.LBB121_423:
	s_or_b64 exec, exec, s[4:5]
	s_waitcnt lgkmcnt(0)
	s_barrier
	ds_read2_b64 v[140:143], v253 offset1:1
	v_cmp_lt_u32_e32 vcc, 35, v252
	s_and_saveexec_b64 s[2:3], vcc
	s_cbranch_execz .LBB121_425
; %bb.424:
	scratch_load_dwordx4 v[144:147], off, off offset:560
	s_waitcnt vmcnt(0) lgkmcnt(0)
	v_mul_f64 v[0:1], v[142:143], v[146:147]
	v_mul_f64 v[150:151], v[140:141], v[146:147]
	v_fma_f64 v[148:149], v[140:141], v[144:145], -v[0:1]
	v_fmac_f64_e32 v[150:151], v[142:143], v[144:145]
	ds_read2_b64 v[144:147], v248 offset0:72 offset1:73
	scratch_store_dwordx4 off, v[148:151], off offset:560
	s_waitcnt lgkmcnt(0)
	v_mul_f64 v[0:1], v[146:147], v[150:151]
	v_mul_f64 v[2:3], v[144:145], v[150:151]
	v_fma_f64 v[0:1], v[144:145], v[148:149], -v[0:1]
	v_fmac_f64_e32 v[2:3], v[146:147], v[148:149]
	scratch_load_dwordx4 v[144:147], off, off offset:576
	s_waitcnt vmcnt(0)
	v_add_f64 v[144:145], v[144:145], -v[0:1]
	v_add_f64 v[146:147], v[146:147], -v[2:3]
	scratch_store_dwordx4 off, v[144:147], off offset:576
	ds_read2_b64 v[144:147], v248 offset0:74 offset1:75
	s_waitcnt lgkmcnt(0)
	v_mul_f64 v[0:1], v[146:147], v[150:151]
	v_mul_f64 v[2:3], v[144:145], v[150:151]
	v_fma_f64 v[0:1], v[144:145], v[148:149], -v[0:1]
	v_fmac_f64_e32 v[2:3], v[146:147], v[148:149]
	scratch_load_dwordx4 v[144:147], off, off offset:592
	s_waitcnt vmcnt(0)
	v_add_f64 v[144:145], v[144:145], -v[0:1]
	v_add_f64 v[146:147], v[146:147], -v[2:3]
	scratch_store_dwordx4 off, v[144:147], off offset:592
	ds_read2_b64 v[144:147], v248 offset0:76 offset1:77
	;; [unrolled: 11-line block ×5, first 2 shown]
	s_waitcnt lgkmcnt(0)
	v_mul_f64 v[0:1], v[146:147], v[150:151]
	v_mul_f64 v[2:3], v[144:145], v[150:151]
	v_fma_f64 v[0:1], v[144:145], v[148:149], -v[0:1]
	v_fmac_f64_e32 v[2:3], v[146:147], v[148:149]
	scratch_load_dwordx4 v[144:147], off, off offset:656
	ds_read2_b64 v[148:151], v248 offset0:84 offset1:85
	s_waitcnt vmcnt(0)
	v_add_f64 v[144:145], v[144:145], -v[0:1]
	v_add_f64 v[146:147], v[146:147], -v[2:3]
	scratch_store_dwordx4 off, v[144:147], off offset:656
	scratch_load_dwordx2 v[0:1], off, off offset:560
	s_nop 0
	scratch_load_dwordx4 v[144:147], off, off offset:560
	s_waitcnt vmcnt(0) lgkmcnt(0)
	v_mul_f64 v[2:3], v[150:151], v[146:147]
	v_mul_f64 v[152:153], v[148:149], v[146:147]
	v_fma_f64 v[2:3], v[148:149], v[0:1], -v[2:3]
	v_fmac_f64_e32 v[152:153], v[150:151], v[0:1]
	scratch_load_dwordx4 v[148:151], off, off offset:672
	s_waitcnt vmcnt(0)
	v_add_f64 v[148:149], v[148:149], -v[2:3]
	v_add_f64 v[150:151], v[150:151], -v[152:153]
	scratch_store_dwordx4 off, v[148:151], off offset:672
	ds_read2_b64 v[148:151], v248 offset0:86 offset1:87
	s_waitcnt lgkmcnt(0)
	v_mul_f64 v[2:3], v[150:151], v[146:147]
	v_mul_f64 v[152:153], v[148:149], v[146:147]
	v_fma_f64 v[2:3], v[148:149], v[0:1], -v[2:3]
	v_fmac_f64_e32 v[152:153], v[150:151], v[0:1]
	scratch_load_dwordx4 v[148:151], off, off offset:688
	s_waitcnt vmcnt(0)
	v_add_f64 v[148:149], v[148:149], -v[2:3]
	v_add_f64 v[150:151], v[150:151], -v[152:153]
	scratch_store_dwordx4 off, v[148:151], off offset:688
	ds_read2_b64 v[148:151], v248 offset0:88 offset1:89
	s_waitcnt lgkmcnt(0)
	;; [unrolled: 11-line block ×5, first 2 shown]
	v_mul_f64 v[2:3], v[150:151], v[146:147]
	v_fma_f64 v[2:3], v[148:149], v[0:1], -v[2:3]
	v_mul_f64 v[152:153], v[148:149], v[146:147]
	scratch_load_dwordx4 v[146:149], off, off offset:752
	v_fmac_f64_e32 v[152:153], v[150:151], v[0:1]
	s_waitcnt vmcnt(0)
	v_add_f64 v[146:147], v[146:147], -v[2:3]
	v_add_f64 v[148:149], v[148:149], -v[152:153]
	scratch_store_dwordx4 off, v[146:149], off offset:752
	ds_read2_b64 v[148:151], v248 offset0:96 offset1:97
	scratch_load_dwordx2 v[146:147], off, off offset:560
	scratch_load_dwordx2 v[0:1], off, off offset:568
	s_waitcnt vmcnt(0) lgkmcnt(0)
	v_mul_f64 v[2:3], v[150:151], v[0:1]
	v_mul_f64 v[152:153], v[148:149], v[0:1]
	v_fma_f64 v[2:3], v[148:149], v[146:147], -v[2:3]
	v_fmac_f64_e32 v[152:153], v[150:151], v[146:147]
	scratch_load_dwordx4 v[148:151], off, off offset:768
	s_waitcnt vmcnt(0)
	v_add_f64 v[148:149], v[148:149], -v[2:3]
	v_add_f64 v[150:151], v[150:151], -v[152:153]
	scratch_store_dwordx4 off, v[148:151], off offset:768
	ds_read2_b64 v[148:151], v248 offset0:98 offset1:99
	s_waitcnt lgkmcnt(0)
	v_mul_f64 v[2:3], v[150:151], v[0:1]
	v_mul_f64 v[152:153], v[148:149], v[0:1]
	v_fma_f64 v[2:3], v[148:149], v[146:147], -v[2:3]
	v_fmac_f64_e32 v[152:153], v[150:151], v[146:147]
	scratch_load_dwordx4 v[148:151], off, off offset:784
	s_waitcnt vmcnt(0)
	v_add_f64 v[148:149], v[148:149], -v[2:3]
	v_add_f64 v[150:151], v[150:151], -v[152:153]
	scratch_store_dwordx4 off, v[148:151], off offset:784
	ds_read2_b64 v[148:151], v248 offset0:100 offset1:101
	s_waitcnt lgkmcnt(0)
	;; [unrolled: 11-line block ×5, first 2 shown]
	v_mul_f64 v[2:3], v[150:151], v[0:1]
	v_mul_f64 v[0:1], v[148:149], v[0:1]
	v_fma_f64 v[2:3], v[148:149], v[146:147], -v[2:3]
	v_fmac_f64_e32 v[0:1], v[150:151], v[146:147]
	scratch_load_dwordx4 v[146:149], off, off offset:848
	s_waitcnt vmcnt(0)
	v_add_f64 v[146:147], v[146:147], -v[2:3]
	v_add_f64 v[148:149], v[148:149], -v[0:1]
	scratch_store_dwordx4 off, v[146:149], off offset:848
	ds_read2_b64 v[146:149], v248 offset0:108 offset1:109
	scratch_load_dwordx2 v[0:1], off, off offset:560
	scratch_load_dwordx2 v[2:3], off, off offset:568
	s_waitcnt vmcnt(0) lgkmcnt(0)
	v_mul_f64 v[150:151], v[148:149], v[2:3]
	v_mul_f64 v[152:153], v[146:147], v[2:3]
	v_fma_f64 v[150:151], v[146:147], v[0:1], -v[150:151]
	v_fmac_f64_e32 v[152:153], v[148:149], v[0:1]
	scratch_load_dwordx4 v[146:149], off, off offset:864
	s_waitcnt vmcnt(0)
	v_add_f64 v[146:147], v[146:147], -v[150:151]
	v_add_f64 v[148:149], v[148:149], -v[152:153]
	scratch_store_dwordx4 off, v[146:149], off offset:864
	ds_read2_b64 v[146:149], v248 offset0:110 offset1:111
	s_waitcnt lgkmcnt(0)
	v_mul_f64 v[150:151], v[148:149], v[2:3]
	v_mul_f64 v[152:153], v[146:147], v[2:3]
	v_fma_f64 v[150:151], v[146:147], v[0:1], -v[150:151]
	v_fmac_f64_e32 v[152:153], v[148:149], v[0:1]
	scratch_load_dwordx4 v[146:149], off, off offset:880
	s_waitcnt vmcnt(0)
	v_add_f64 v[146:147], v[146:147], -v[150:151]
	v_add_f64 v[148:149], v[148:149], -v[152:153]
	scratch_store_dwordx4 off, v[146:149], off offset:880
	ds_read2_b64 v[146:149], v248 offset0:112 offset1:113
	s_waitcnt lgkmcnt(0)
	;; [unrolled: 11-line block ×5, first 2 shown]
	v_mul_f64 v[150:151], v[148:149], v[2:3]
	v_mul_f64 v[2:3], v[146:147], v[2:3]
	v_fma_f64 v[150:151], v[146:147], v[0:1], -v[150:151]
	v_fmac_f64_e32 v[2:3], v[148:149], v[0:1]
	scratch_load_dwordx4 v[146:149], off, off offset:944
	scratch_load_dwordx2 v[0:1], off, off offset:568
	s_waitcnt vmcnt(1)
	v_add_f64 v[146:147], v[146:147], -v[150:151]
	ds_read2_b64 v[150:153], v248 offset0:120 offset1:121
	v_add_f64 v[148:149], v[148:149], -v[2:3]
	scratch_store_dwordx4 off, v[146:149], off offset:944
	s_waitcnt vmcnt(1) lgkmcnt(0)
	v_mul_f64 v[2:3], v[152:153], v[0:1]
	v_fma_f64 v[148:149], v[150:151], v[144:145], -v[2:3]
	v_mul_f64 v[150:151], v[150:151], v[0:1]
	v_fmac_f64_e32 v[150:151], v[152:153], v[144:145]
	scratch_load_dwordx4 v[144:147], off, off offset:960
	s_waitcnt vmcnt(0)
	v_add_f64 v[144:145], v[144:145], -v[148:149]
	v_add_f64 v[146:147], v[146:147], -v[150:151]
	scratch_store_dwordx4 off, v[144:147], off offset:960
.LBB121_425:
	s_or_b64 exec, exec, s[2:3]
	v_cmp_eq_u32_e32 vcc, 36, v252
	s_waitcnt lgkmcnt(0)
	s_barrier
	s_and_saveexec_b64 s[4:5], vcc
	s_cbranch_execz .LBB121_432
; %bb.426:
	scratch_load_dwordx4 v[144:147], off, s34
	s_waitcnt vmcnt(0)
	ds_write2_b64 v253, v[144:145], v[146:147] offset1:1
	scratch_load_dwordx4 v[144:147], off, s33
	s_waitcnt vmcnt(0)
	ds_write2_b64 v248, v[144:145], v[146:147] offset0:74 offset1:75
	scratch_load_dwordx4 v[144:147], off, s31
	s_waitcnt vmcnt(0)
	ds_write2_b64 v248, v[144:145], v[146:147] offset0:76 offset1:77
	scratch_load_dwordx4 v[144:147], off, s30
	s_waitcnt vmcnt(0)
	ds_write2_b64 v248, v[144:145], v[146:147] offset0:78 offset1:79
	scratch_load_dwordx4 v[144:147], off, s29
	s_waitcnt vmcnt(0)
	ds_write2_b64 v248, v[144:145], v[146:147] offset0:80 offset1:81
	scratch_load_dwordx4 v[144:147], off, s28
	s_waitcnt vmcnt(0)
	ds_write2_b64 v248, v[144:145], v[146:147] offset0:82 offset1:83
	scratch_load_dwordx4 v[144:147], off, s27
	s_waitcnt vmcnt(0)
	ds_write2_b64 v248, v[144:145], v[146:147] offset0:84 offset1:85
	scratch_load_dwordx4 v[144:147], off, s26
	s_waitcnt vmcnt(0)
	ds_write2_b64 v248, v[144:145], v[146:147] offset0:86 offset1:87
	scratch_load_dwordx4 v[144:147], off, s25
	s_waitcnt vmcnt(0)
	ds_write2_b64 v248, v[144:145], v[146:147] offset0:88 offset1:89
	scratch_load_dwordx4 v[144:147], off, s24
	s_waitcnt vmcnt(0)
	ds_write2_b64 v248, v[144:145], v[146:147] offset0:90 offset1:91
	scratch_load_dwordx4 v[144:147], off, s23
	s_waitcnt vmcnt(0)
	ds_write2_b64 v248, v[144:145], v[146:147] offset0:92 offset1:93
	scratch_load_dwordx4 v[144:147], off, s22
	s_waitcnt vmcnt(0)
	ds_write2_b64 v248, v[144:145], v[146:147] offset0:94 offset1:95
	scratch_load_dwordx4 v[144:147], off, s21
	s_waitcnt vmcnt(0)
	ds_write2_b64 v248, v[144:145], v[146:147] offset0:96 offset1:97
	scratch_load_dwordx4 v[144:147], off, s20
	s_waitcnt vmcnt(0)
	ds_write2_b64 v248, v[144:145], v[146:147] offset0:98 offset1:99
	scratch_load_dwordx4 v[144:147], off, s19
	s_waitcnt vmcnt(0)
	ds_write2_b64 v248, v[144:145], v[146:147] offset0:100 offset1:101
	scratch_load_dwordx4 v[144:147], off, s18
	s_waitcnt vmcnt(0)
	ds_write2_b64 v248, v[144:145], v[146:147] offset0:102 offset1:103
	scratch_load_dwordx4 v[144:147], off, s17
	s_waitcnt vmcnt(0)
	ds_write2_b64 v248, v[144:145], v[146:147] offset0:104 offset1:105
	scratch_load_dwordx4 v[144:147], off, s16
	s_waitcnt vmcnt(0)
	ds_write2_b64 v248, v[144:145], v[146:147] offset0:106 offset1:107
	scratch_load_dwordx4 v[144:147], off, s15
	s_waitcnt vmcnt(0)
	ds_write2_b64 v248, v[144:145], v[146:147] offset0:108 offset1:109
	scratch_load_dwordx4 v[144:147], off, s14
	s_waitcnt vmcnt(0)
	ds_write2_b64 v248, v[144:145], v[146:147] offset0:110 offset1:111
	scratch_load_dwordx4 v[144:147], off, s13
	s_waitcnt vmcnt(0)
	ds_write2_b64 v248, v[144:145], v[146:147] offset0:112 offset1:113
	scratch_load_dwordx4 v[144:147], off, s12
	s_waitcnt vmcnt(0)
	ds_write2_b64 v248, v[144:145], v[146:147] offset0:114 offset1:115
	scratch_load_dwordx4 v[144:147], off, s11
	s_waitcnt vmcnt(0)
	ds_write2_b64 v248, v[144:145], v[146:147] offset0:116 offset1:117
	scratch_load_dwordx4 v[144:147], off, s10
	s_waitcnt vmcnt(0)
	ds_write2_b64 v248, v[144:145], v[146:147] offset0:118 offset1:119
	scratch_load_dwordx4 v[144:147], off, s8
	s_waitcnt vmcnt(0)
	ds_write2_b64 v248, v[144:145], v[146:147] offset0:120 offset1:121
	ds_read2_b64 v[144:147], v253 offset1:1
	s_waitcnt lgkmcnt(0)
	v_cmp_neq_f64_e32 vcc, 0, v[144:145]
	v_cmp_neq_f64_e64 s[2:3], 0, v[146:147]
	s_or_b64 s[2:3], vcc, s[2:3]
	s_and_b64 exec, exec, s[2:3]
	s_cbranch_execz .LBB121_432
; %bb.427:
	v_cmp_ngt_f64_e64 s[2:3], |v[144:145]|, |v[146:147]|
                                        ; implicit-def: $vgpr148_vgpr149
	s_and_saveexec_b64 s[70:71], s[2:3]
	s_xor_b64 s[2:3], exec, s[70:71]
                                        ; implicit-def: $vgpr150_vgpr151
	s_cbranch_execz .LBB121_429
; %bb.428:
	v_div_scale_f64 v[0:1], s[70:71], v[146:147], v[146:147], v[144:145]
	v_rcp_f64_e32 v[2:3], v[0:1]
	v_div_scale_f64 v[148:149], vcc, v[144:145], v[146:147], v[144:145]
	v_fma_f64 v[150:151], -v[0:1], v[2:3], 1.0
	v_fmac_f64_e32 v[2:3], v[2:3], v[150:151]
	v_fma_f64 v[150:151], -v[0:1], v[2:3], 1.0
	v_fmac_f64_e32 v[2:3], v[2:3], v[150:151]
	v_mul_f64 v[150:151], v[148:149], v[2:3]
	v_fma_f64 v[0:1], -v[0:1], v[150:151], v[148:149]
	v_div_fmas_f64 v[0:1], v[0:1], v[2:3], v[150:151]
	v_div_fixup_f64 v[0:1], v[0:1], v[146:147], v[144:145]
	v_fmac_f64_e32 v[146:147], v[144:145], v[0:1]
	v_div_scale_f64 v[2:3], s[70:71], v[146:147], v[146:147], 1.0
	v_rcp_f64_e32 v[144:145], v[2:3]
	s_nop 0
	v_fma_f64 v[148:149], -v[2:3], v[144:145], 1.0
	v_fmac_f64_e32 v[144:145], v[144:145], v[148:149]
	v_fma_f64 v[148:149], -v[2:3], v[144:145], 1.0
	v_fmac_f64_e32 v[144:145], v[144:145], v[148:149]
	v_div_scale_f64 v[148:149], vcc, 1.0, v[146:147], 1.0
	v_mul_f64 v[150:151], v[148:149], v[144:145]
	v_fma_f64 v[2:3], -v[2:3], v[150:151], v[148:149]
	s_nop 1
	v_div_fmas_f64 v[2:3], v[2:3], v[144:145], v[150:151]
	v_div_fixup_f64 v[150:151], v[2:3], v[146:147], 1.0
	v_mul_f64 v[148:149], v[0:1], v[150:151]
	v_xor_b32_e32 v151, 0x80000000, v151
                                        ; implicit-def: $vgpr144_vgpr145
.LBB121_429:
	s_andn2_saveexec_b64 s[2:3], s[2:3]
	s_cbranch_execz .LBB121_431
; %bb.430:
	v_div_scale_f64 v[0:1], s[70:71], v[144:145], v[144:145], v[146:147]
	v_rcp_f64_e32 v[2:3], v[0:1]
	v_div_scale_f64 v[148:149], vcc, v[146:147], v[144:145], v[146:147]
	v_fma_f64 v[150:151], -v[0:1], v[2:3], 1.0
	v_fmac_f64_e32 v[2:3], v[2:3], v[150:151]
	v_fma_f64 v[150:151], -v[0:1], v[2:3], 1.0
	v_fmac_f64_e32 v[2:3], v[2:3], v[150:151]
	v_mul_f64 v[150:151], v[148:149], v[2:3]
	v_fma_f64 v[0:1], -v[0:1], v[150:151], v[148:149]
	v_div_fmas_f64 v[0:1], v[0:1], v[2:3], v[150:151]
	v_div_fixup_f64 v[0:1], v[0:1], v[144:145], v[146:147]
	v_fmac_f64_e32 v[144:145], v[146:147], v[0:1]
	v_div_scale_f64 v[2:3], s[70:71], v[144:145], v[144:145], 1.0
	v_rcp_f64_e32 v[146:147], v[2:3]
	s_nop 0
	v_fma_f64 v[148:149], -v[2:3], v[146:147], 1.0
	v_fmac_f64_e32 v[146:147], v[146:147], v[148:149]
	v_fma_f64 v[148:149], -v[2:3], v[146:147], 1.0
	v_fmac_f64_e32 v[146:147], v[146:147], v[148:149]
	v_div_scale_f64 v[148:149], vcc, 1.0, v[144:145], 1.0
	v_mul_f64 v[150:151], v[148:149], v[146:147]
	v_fma_f64 v[2:3], -v[2:3], v[150:151], v[148:149]
	s_nop 1
	v_div_fmas_f64 v[2:3], v[2:3], v[146:147], v[150:151]
	v_div_fixup_f64 v[148:149], v[2:3], v[144:145], 1.0
	v_mul_f64 v[150:151], v[0:1], -v[148:149]
.LBB121_431:
	s_or_b64 exec, exec, s[2:3]
	ds_write2_b64 v253, v[148:149], v[150:151] offset1:1
.LBB121_432:
	s_or_b64 exec, exec, s[4:5]
	s_waitcnt lgkmcnt(0)
	s_barrier
	ds_read2_b64 v[144:147], v253 offset1:1
	v_cmp_lt_u32_e32 vcc, 36, v252
	s_and_saveexec_b64 s[2:3], vcc
	s_cbranch_execz .LBB121_434
; %bb.433:
	scratch_load_dwordx4 v[148:151], off, off offset:576
	s_waitcnt vmcnt(0) lgkmcnt(0)
	v_mul_f64 v[0:1], v[146:147], v[150:151]
	v_mul_f64 v[154:155], v[144:145], v[150:151]
	v_fma_f64 v[152:153], v[144:145], v[148:149], -v[0:1]
	v_fmac_f64_e32 v[154:155], v[146:147], v[148:149]
	ds_read2_b64 v[148:151], v248 offset0:74 offset1:75
	scratch_store_dwordx4 off, v[152:155], off offset:576
	s_waitcnt lgkmcnt(0)
	v_mul_f64 v[0:1], v[150:151], v[154:155]
	v_mul_f64 v[2:3], v[148:149], v[154:155]
	v_fma_f64 v[0:1], v[148:149], v[152:153], -v[0:1]
	v_fmac_f64_e32 v[2:3], v[150:151], v[152:153]
	scratch_load_dwordx4 v[148:151], off, off offset:592
	s_waitcnt vmcnt(0)
	v_add_f64 v[148:149], v[148:149], -v[0:1]
	v_add_f64 v[150:151], v[150:151], -v[2:3]
	scratch_store_dwordx4 off, v[148:151], off offset:592
	ds_read2_b64 v[148:151], v248 offset0:76 offset1:77
	s_waitcnt lgkmcnt(0)
	v_mul_f64 v[0:1], v[150:151], v[154:155]
	v_mul_f64 v[2:3], v[148:149], v[154:155]
	v_fma_f64 v[0:1], v[148:149], v[152:153], -v[0:1]
	v_fmac_f64_e32 v[2:3], v[150:151], v[152:153]
	scratch_load_dwordx4 v[148:151], off, off offset:608
	s_waitcnt vmcnt(0)
	v_add_f64 v[148:149], v[148:149], -v[0:1]
	v_add_f64 v[150:151], v[150:151], -v[2:3]
	scratch_store_dwordx4 off, v[148:151], off offset:608
	ds_read2_b64 v[148:151], v248 offset0:78 offset1:79
	;; [unrolled: 11-line block ×5, first 2 shown]
	s_waitcnt lgkmcnt(0)
	v_mul_f64 v[0:1], v[150:151], v[154:155]
	v_mul_f64 v[2:3], v[148:149], v[154:155]
	v_fma_f64 v[0:1], v[148:149], v[152:153], -v[0:1]
	v_fmac_f64_e32 v[2:3], v[150:151], v[152:153]
	scratch_load_dwordx4 v[148:151], off, off offset:672
	ds_read2_b64 v[152:155], v248 offset0:86 offset1:87
	s_waitcnt vmcnt(0)
	v_add_f64 v[148:149], v[148:149], -v[0:1]
	v_add_f64 v[150:151], v[150:151], -v[2:3]
	scratch_store_dwordx4 off, v[148:151], off offset:672
	scratch_load_dwordx2 v[0:1], off, off offset:576
	s_nop 0
	scratch_load_dwordx4 v[148:151], off, off offset:576
	s_waitcnt vmcnt(0) lgkmcnt(0)
	v_mul_f64 v[2:3], v[154:155], v[150:151]
	v_mul_f64 v[156:157], v[152:153], v[150:151]
	v_fma_f64 v[2:3], v[152:153], v[0:1], -v[2:3]
	v_fmac_f64_e32 v[156:157], v[154:155], v[0:1]
	scratch_load_dwordx4 v[152:155], off, off offset:688
	s_waitcnt vmcnt(0)
	v_add_f64 v[152:153], v[152:153], -v[2:3]
	v_add_f64 v[154:155], v[154:155], -v[156:157]
	scratch_store_dwordx4 off, v[152:155], off offset:688
	ds_read2_b64 v[152:155], v248 offset0:88 offset1:89
	s_waitcnt lgkmcnt(0)
	v_mul_f64 v[2:3], v[154:155], v[150:151]
	v_mul_f64 v[156:157], v[152:153], v[150:151]
	v_fma_f64 v[2:3], v[152:153], v[0:1], -v[2:3]
	v_fmac_f64_e32 v[156:157], v[154:155], v[0:1]
	scratch_load_dwordx4 v[152:155], off, off offset:704
	s_waitcnt vmcnt(0)
	v_add_f64 v[152:153], v[152:153], -v[2:3]
	v_add_f64 v[154:155], v[154:155], -v[156:157]
	scratch_store_dwordx4 off, v[152:155], off offset:704
	ds_read2_b64 v[152:155], v248 offset0:90 offset1:91
	s_waitcnt lgkmcnt(0)
	;; [unrolled: 11-line block ×5, first 2 shown]
	v_mul_f64 v[2:3], v[154:155], v[150:151]
	v_fma_f64 v[2:3], v[152:153], v[0:1], -v[2:3]
	v_mul_f64 v[156:157], v[152:153], v[150:151]
	scratch_load_dwordx4 v[150:153], off, off offset:768
	v_fmac_f64_e32 v[156:157], v[154:155], v[0:1]
	s_waitcnt vmcnt(0)
	v_add_f64 v[150:151], v[150:151], -v[2:3]
	v_add_f64 v[152:153], v[152:153], -v[156:157]
	scratch_store_dwordx4 off, v[150:153], off offset:768
	ds_read2_b64 v[152:155], v248 offset0:98 offset1:99
	scratch_load_dwordx2 v[150:151], off, off offset:576
	scratch_load_dwordx2 v[0:1], off, off offset:584
	s_waitcnt vmcnt(0) lgkmcnt(0)
	v_mul_f64 v[2:3], v[154:155], v[0:1]
	v_mul_f64 v[156:157], v[152:153], v[0:1]
	v_fma_f64 v[2:3], v[152:153], v[150:151], -v[2:3]
	v_fmac_f64_e32 v[156:157], v[154:155], v[150:151]
	scratch_load_dwordx4 v[152:155], off, off offset:784
	s_waitcnt vmcnt(0)
	v_add_f64 v[152:153], v[152:153], -v[2:3]
	v_add_f64 v[154:155], v[154:155], -v[156:157]
	scratch_store_dwordx4 off, v[152:155], off offset:784
	ds_read2_b64 v[152:155], v248 offset0:100 offset1:101
	s_waitcnt lgkmcnt(0)
	v_mul_f64 v[2:3], v[154:155], v[0:1]
	v_mul_f64 v[156:157], v[152:153], v[0:1]
	v_fma_f64 v[2:3], v[152:153], v[150:151], -v[2:3]
	v_fmac_f64_e32 v[156:157], v[154:155], v[150:151]
	scratch_load_dwordx4 v[152:155], off, off offset:800
	s_waitcnt vmcnt(0)
	v_add_f64 v[152:153], v[152:153], -v[2:3]
	v_add_f64 v[154:155], v[154:155], -v[156:157]
	scratch_store_dwordx4 off, v[152:155], off offset:800
	ds_read2_b64 v[152:155], v248 offset0:102 offset1:103
	s_waitcnt lgkmcnt(0)
	;; [unrolled: 11-line block ×5, first 2 shown]
	v_mul_f64 v[2:3], v[154:155], v[0:1]
	v_mul_f64 v[0:1], v[152:153], v[0:1]
	v_fma_f64 v[2:3], v[152:153], v[150:151], -v[2:3]
	v_fmac_f64_e32 v[0:1], v[154:155], v[150:151]
	scratch_load_dwordx4 v[150:153], off, off offset:864
	s_waitcnt vmcnt(0)
	v_add_f64 v[152:153], v[152:153], -v[0:1]
	scratch_load_dwordx2 v[0:1], off, off offset:584
	v_add_f64 v[150:151], v[150:151], -v[2:3]
	scratch_store_dwordx4 off, v[150:153], off offset:864
	ds_read2_b64 v[150:153], v248 offset0:110 offset1:111
	s_waitcnt vmcnt(1) lgkmcnt(0)
	v_mul_f64 v[2:3], v[152:153], v[0:1]
	v_mul_f64 v[154:155], v[150:151], v[0:1]
	v_fma_f64 v[2:3], v[150:151], v[148:149], -v[2:3]
	v_fmac_f64_e32 v[154:155], v[152:153], v[148:149]
	scratch_load_dwordx4 v[150:153], off, off offset:880
	s_waitcnt vmcnt(0)
	v_add_f64 v[150:151], v[150:151], -v[2:3]
	v_add_f64 v[152:153], v[152:153], -v[154:155]
	scratch_store_dwordx4 off, v[150:153], off offset:880
	ds_read2_b64 v[150:153], v248 offset0:112 offset1:113
	s_waitcnt lgkmcnt(0)
	v_mul_f64 v[2:3], v[152:153], v[0:1]
	v_mul_f64 v[154:155], v[150:151], v[0:1]
	v_fma_f64 v[2:3], v[150:151], v[148:149], -v[2:3]
	v_fmac_f64_e32 v[154:155], v[152:153], v[148:149]
	scratch_load_dwordx4 v[150:153], off, off offset:896
	s_waitcnt vmcnt(0)
	v_add_f64 v[150:151], v[150:151], -v[2:3]
	v_add_f64 v[152:153], v[152:153], -v[154:155]
	scratch_store_dwordx4 off, v[150:153], off offset:896
	ds_read2_b64 v[150:153], v248 offset0:114 offset1:115
	s_waitcnt lgkmcnt(0)
	;; [unrolled: 11-line block ×4, first 2 shown]
	v_mul_f64 v[2:3], v[152:153], v[0:1]
	v_mul_f64 v[154:155], v[150:151], v[0:1]
	v_fma_f64 v[2:3], v[150:151], v[148:149], -v[2:3]
	v_fmac_f64_e32 v[154:155], v[152:153], v[148:149]
	scratch_load_dwordx4 v[150:153], off, off offset:944
	s_waitcnt vmcnt(0)
	v_add_f64 v[152:153], v[152:153], -v[154:155]
	ds_read2_b64 v[154:157], v248 offset0:120 offset1:121
	v_add_f64 v[150:151], v[150:151], -v[2:3]
	scratch_store_dwordx4 off, v[150:153], off offset:944
	s_waitcnt lgkmcnt(0)
	v_mul_f64 v[2:3], v[156:157], v[0:1]
	v_fma_f64 v[152:153], v[154:155], v[148:149], -v[2:3]
	v_mul_f64 v[154:155], v[154:155], v[0:1]
	v_fmac_f64_e32 v[154:155], v[156:157], v[148:149]
	scratch_load_dwordx4 v[148:151], off, off offset:960
	s_waitcnt vmcnt(0)
	v_add_f64 v[148:149], v[148:149], -v[152:153]
	v_add_f64 v[150:151], v[150:151], -v[154:155]
	scratch_store_dwordx4 off, v[148:151], off offset:960
.LBB121_434:
	s_or_b64 exec, exec, s[2:3]
	v_cmp_eq_u32_e32 vcc, 37, v252
	s_waitcnt lgkmcnt(0)
	s_barrier
	s_and_saveexec_b64 s[4:5], vcc
	s_cbranch_execz .LBB121_441
; %bb.435:
	scratch_load_dwordx4 v[148:151], off, s33
	s_waitcnt vmcnt(0)
	ds_write2_b64 v253, v[148:149], v[150:151] offset1:1
	scratch_load_dwordx4 v[148:151], off, s31
	s_waitcnt vmcnt(0)
	ds_write2_b64 v248, v[148:149], v[150:151] offset0:76 offset1:77
	scratch_load_dwordx4 v[148:151], off, s30
	s_waitcnt vmcnt(0)
	ds_write2_b64 v248, v[148:149], v[150:151] offset0:78 offset1:79
	;; [unrolled: 3-line block ×23, first 2 shown]
	ds_read2_b64 v[148:151], v253 offset1:1
	s_waitcnt lgkmcnt(0)
	v_cmp_neq_f64_e32 vcc, 0, v[148:149]
	v_cmp_neq_f64_e64 s[2:3], 0, v[150:151]
	s_or_b64 s[2:3], vcc, s[2:3]
	s_and_b64 exec, exec, s[2:3]
	s_cbranch_execz .LBB121_441
; %bb.436:
	v_cmp_ngt_f64_e64 s[2:3], |v[148:149]|, |v[150:151]|
                                        ; implicit-def: $vgpr152_vgpr153
	s_and_saveexec_b64 s[70:71], s[2:3]
	s_xor_b64 s[2:3], exec, s[70:71]
                                        ; implicit-def: $vgpr154_vgpr155
	s_cbranch_execz .LBB121_438
; %bb.437:
	v_div_scale_f64 v[0:1], s[70:71], v[150:151], v[150:151], v[148:149]
	v_rcp_f64_e32 v[2:3], v[0:1]
	v_div_scale_f64 v[152:153], vcc, v[148:149], v[150:151], v[148:149]
	v_fma_f64 v[154:155], -v[0:1], v[2:3], 1.0
	v_fmac_f64_e32 v[2:3], v[2:3], v[154:155]
	v_fma_f64 v[154:155], -v[0:1], v[2:3], 1.0
	v_fmac_f64_e32 v[2:3], v[2:3], v[154:155]
	v_mul_f64 v[154:155], v[152:153], v[2:3]
	v_fma_f64 v[0:1], -v[0:1], v[154:155], v[152:153]
	v_div_fmas_f64 v[0:1], v[0:1], v[2:3], v[154:155]
	v_div_fixup_f64 v[0:1], v[0:1], v[150:151], v[148:149]
	v_fmac_f64_e32 v[150:151], v[148:149], v[0:1]
	v_div_scale_f64 v[2:3], s[70:71], v[150:151], v[150:151], 1.0
	v_rcp_f64_e32 v[148:149], v[2:3]
	s_nop 0
	v_fma_f64 v[152:153], -v[2:3], v[148:149], 1.0
	v_fmac_f64_e32 v[148:149], v[148:149], v[152:153]
	v_fma_f64 v[152:153], -v[2:3], v[148:149], 1.0
	v_fmac_f64_e32 v[148:149], v[148:149], v[152:153]
	v_div_scale_f64 v[152:153], vcc, 1.0, v[150:151], 1.0
	v_mul_f64 v[154:155], v[152:153], v[148:149]
	v_fma_f64 v[2:3], -v[2:3], v[154:155], v[152:153]
	s_nop 1
	v_div_fmas_f64 v[2:3], v[2:3], v[148:149], v[154:155]
	v_div_fixup_f64 v[154:155], v[2:3], v[150:151], 1.0
	v_mul_f64 v[152:153], v[0:1], v[154:155]
	v_xor_b32_e32 v155, 0x80000000, v155
                                        ; implicit-def: $vgpr148_vgpr149
.LBB121_438:
	s_andn2_saveexec_b64 s[2:3], s[2:3]
	s_cbranch_execz .LBB121_440
; %bb.439:
	v_div_scale_f64 v[0:1], s[70:71], v[148:149], v[148:149], v[150:151]
	v_rcp_f64_e32 v[2:3], v[0:1]
	v_div_scale_f64 v[152:153], vcc, v[150:151], v[148:149], v[150:151]
	v_fma_f64 v[154:155], -v[0:1], v[2:3], 1.0
	v_fmac_f64_e32 v[2:3], v[2:3], v[154:155]
	v_fma_f64 v[154:155], -v[0:1], v[2:3], 1.0
	v_fmac_f64_e32 v[2:3], v[2:3], v[154:155]
	v_mul_f64 v[154:155], v[152:153], v[2:3]
	v_fma_f64 v[0:1], -v[0:1], v[154:155], v[152:153]
	v_div_fmas_f64 v[0:1], v[0:1], v[2:3], v[154:155]
	v_div_fixup_f64 v[0:1], v[0:1], v[148:149], v[150:151]
	v_fmac_f64_e32 v[148:149], v[150:151], v[0:1]
	v_div_scale_f64 v[2:3], s[70:71], v[148:149], v[148:149], 1.0
	v_rcp_f64_e32 v[150:151], v[2:3]
	s_nop 0
	v_fma_f64 v[152:153], -v[2:3], v[150:151], 1.0
	v_fmac_f64_e32 v[150:151], v[150:151], v[152:153]
	v_fma_f64 v[152:153], -v[2:3], v[150:151], 1.0
	v_fmac_f64_e32 v[150:151], v[150:151], v[152:153]
	v_div_scale_f64 v[152:153], vcc, 1.0, v[148:149], 1.0
	v_mul_f64 v[154:155], v[152:153], v[150:151]
	v_fma_f64 v[2:3], -v[2:3], v[154:155], v[152:153]
	s_nop 1
	v_div_fmas_f64 v[2:3], v[2:3], v[150:151], v[154:155]
	v_div_fixup_f64 v[152:153], v[2:3], v[148:149], 1.0
	v_mul_f64 v[154:155], v[0:1], -v[152:153]
.LBB121_440:
	s_or_b64 exec, exec, s[2:3]
	ds_write2_b64 v253, v[152:153], v[154:155] offset1:1
.LBB121_441:
	s_or_b64 exec, exec, s[4:5]
	s_waitcnt lgkmcnt(0)
	s_barrier
	ds_read2_b64 v[148:151], v253 offset1:1
	v_cmp_lt_u32_e32 vcc, 37, v252
	s_and_saveexec_b64 s[2:3], vcc
	s_cbranch_execz .LBB121_443
; %bb.442:
	scratch_load_dwordx4 v[152:155], off, off offset:592
	s_waitcnt vmcnt(0) lgkmcnt(0)
	v_mul_f64 v[0:1], v[150:151], v[154:155]
	v_mul_f64 v[158:159], v[148:149], v[154:155]
	v_fma_f64 v[156:157], v[148:149], v[152:153], -v[0:1]
	v_fmac_f64_e32 v[158:159], v[150:151], v[152:153]
	ds_read2_b64 v[152:155], v248 offset0:76 offset1:77
	scratch_store_dwordx4 off, v[156:159], off offset:592
	s_waitcnt lgkmcnt(0)
	v_mul_f64 v[0:1], v[154:155], v[158:159]
	v_mul_f64 v[2:3], v[152:153], v[158:159]
	v_fma_f64 v[0:1], v[152:153], v[156:157], -v[0:1]
	v_fmac_f64_e32 v[2:3], v[154:155], v[156:157]
	scratch_load_dwordx4 v[152:155], off, off offset:608
	s_waitcnt vmcnt(0)
	v_add_f64 v[152:153], v[152:153], -v[0:1]
	v_add_f64 v[154:155], v[154:155], -v[2:3]
	scratch_store_dwordx4 off, v[152:155], off offset:608
	ds_read2_b64 v[152:155], v248 offset0:78 offset1:79
	s_waitcnt lgkmcnt(0)
	v_mul_f64 v[0:1], v[154:155], v[158:159]
	v_mul_f64 v[2:3], v[152:153], v[158:159]
	v_fma_f64 v[0:1], v[152:153], v[156:157], -v[0:1]
	v_fmac_f64_e32 v[2:3], v[154:155], v[156:157]
	scratch_load_dwordx4 v[152:155], off, off offset:624
	s_waitcnt vmcnt(0)
	v_add_f64 v[152:153], v[152:153], -v[0:1]
	v_add_f64 v[154:155], v[154:155], -v[2:3]
	scratch_store_dwordx4 off, v[152:155], off offset:624
	ds_read2_b64 v[152:155], v248 offset0:80 offset1:81
	;; [unrolled: 11-line block ×5, first 2 shown]
	s_waitcnt lgkmcnt(0)
	v_mul_f64 v[0:1], v[154:155], v[158:159]
	v_mul_f64 v[2:3], v[152:153], v[158:159]
	v_fma_f64 v[0:1], v[152:153], v[156:157], -v[0:1]
	v_fmac_f64_e32 v[2:3], v[154:155], v[156:157]
	scratch_load_dwordx4 v[152:155], off, off offset:688
	ds_read2_b64 v[156:159], v248 offset0:88 offset1:89
	s_waitcnt vmcnt(0)
	v_add_f64 v[152:153], v[152:153], -v[0:1]
	v_add_f64 v[154:155], v[154:155], -v[2:3]
	scratch_store_dwordx4 off, v[152:155], off offset:688
	scratch_load_dwordx2 v[0:1], off, off offset:592
	s_nop 0
	scratch_load_dwordx4 v[152:155], off, off offset:592
	s_waitcnt vmcnt(0) lgkmcnt(0)
	v_mul_f64 v[2:3], v[158:159], v[154:155]
	v_mul_f64 v[160:161], v[156:157], v[154:155]
	v_fma_f64 v[2:3], v[156:157], v[0:1], -v[2:3]
	v_fmac_f64_e32 v[160:161], v[158:159], v[0:1]
	scratch_load_dwordx4 v[156:159], off, off offset:704
	s_waitcnt vmcnt(0)
	v_add_f64 v[156:157], v[156:157], -v[2:3]
	v_add_f64 v[158:159], v[158:159], -v[160:161]
	scratch_store_dwordx4 off, v[156:159], off offset:704
	ds_read2_b64 v[156:159], v248 offset0:90 offset1:91
	s_waitcnt lgkmcnt(0)
	v_mul_f64 v[2:3], v[158:159], v[154:155]
	v_mul_f64 v[160:161], v[156:157], v[154:155]
	v_fma_f64 v[2:3], v[156:157], v[0:1], -v[2:3]
	v_fmac_f64_e32 v[160:161], v[158:159], v[0:1]
	scratch_load_dwordx4 v[156:159], off, off offset:720
	s_waitcnt vmcnt(0)
	v_add_f64 v[156:157], v[156:157], -v[2:3]
	v_add_f64 v[158:159], v[158:159], -v[160:161]
	scratch_store_dwordx4 off, v[156:159], off offset:720
	ds_read2_b64 v[156:159], v248 offset0:92 offset1:93
	s_waitcnt lgkmcnt(0)
	;; [unrolled: 11-line block ×5, first 2 shown]
	v_mul_f64 v[2:3], v[158:159], v[154:155]
	v_fma_f64 v[2:3], v[156:157], v[0:1], -v[2:3]
	v_mul_f64 v[160:161], v[156:157], v[154:155]
	scratch_load_dwordx4 v[154:157], off, off offset:784
	v_fmac_f64_e32 v[160:161], v[158:159], v[0:1]
	s_waitcnt vmcnt(0)
	v_add_f64 v[154:155], v[154:155], -v[2:3]
	v_add_f64 v[156:157], v[156:157], -v[160:161]
	scratch_store_dwordx4 off, v[154:157], off offset:784
	ds_read2_b64 v[156:159], v248 offset0:100 offset1:101
	scratch_load_dwordx2 v[154:155], off, off offset:592
	scratch_load_dwordx2 v[0:1], off, off offset:600
	s_waitcnt vmcnt(0) lgkmcnt(0)
	v_mul_f64 v[2:3], v[158:159], v[0:1]
	v_mul_f64 v[160:161], v[156:157], v[0:1]
	v_fma_f64 v[2:3], v[156:157], v[154:155], -v[2:3]
	v_fmac_f64_e32 v[160:161], v[158:159], v[154:155]
	scratch_load_dwordx4 v[156:159], off, off offset:800
	s_waitcnt vmcnt(0)
	v_add_f64 v[156:157], v[156:157], -v[2:3]
	v_add_f64 v[158:159], v[158:159], -v[160:161]
	scratch_store_dwordx4 off, v[156:159], off offset:800
	ds_read2_b64 v[156:159], v248 offset0:102 offset1:103
	s_waitcnt lgkmcnt(0)
	v_mul_f64 v[2:3], v[158:159], v[0:1]
	v_mul_f64 v[160:161], v[156:157], v[0:1]
	v_fma_f64 v[2:3], v[156:157], v[154:155], -v[2:3]
	v_fmac_f64_e32 v[160:161], v[158:159], v[154:155]
	scratch_load_dwordx4 v[156:159], off, off offset:816
	s_waitcnt vmcnt(0)
	v_add_f64 v[156:157], v[156:157], -v[2:3]
	v_add_f64 v[158:159], v[158:159], -v[160:161]
	scratch_store_dwordx4 off, v[156:159], off offset:816
	ds_read2_b64 v[156:159], v248 offset0:104 offset1:105
	s_waitcnt lgkmcnt(0)
	;; [unrolled: 11-line block ×5, first 2 shown]
	v_mul_f64 v[2:3], v[158:159], v[0:1]
	v_mul_f64 v[0:1], v[156:157], v[0:1]
	v_fma_f64 v[2:3], v[156:157], v[154:155], -v[2:3]
	v_fmac_f64_e32 v[0:1], v[158:159], v[154:155]
	scratch_load_dwordx4 v[154:157], off, off offset:880
	s_waitcnt vmcnt(0)
	v_add_f64 v[156:157], v[156:157], -v[0:1]
	scratch_load_dwordx2 v[0:1], off, off offset:600
	v_add_f64 v[154:155], v[154:155], -v[2:3]
	scratch_store_dwordx4 off, v[154:157], off offset:880
	ds_read2_b64 v[154:157], v248 offset0:112 offset1:113
	s_waitcnt vmcnt(1) lgkmcnt(0)
	v_mul_f64 v[2:3], v[156:157], v[0:1]
	v_mul_f64 v[158:159], v[154:155], v[0:1]
	v_fma_f64 v[2:3], v[154:155], v[152:153], -v[2:3]
	v_fmac_f64_e32 v[158:159], v[156:157], v[152:153]
	scratch_load_dwordx4 v[154:157], off, off offset:896
	s_waitcnt vmcnt(0)
	v_add_f64 v[154:155], v[154:155], -v[2:3]
	v_add_f64 v[156:157], v[156:157], -v[158:159]
	scratch_store_dwordx4 off, v[154:157], off offset:896
	ds_read2_b64 v[154:157], v248 offset0:114 offset1:115
	s_waitcnt lgkmcnt(0)
	v_mul_f64 v[2:3], v[156:157], v[0:1]
	v_mul_f64 v[158:159], v[154:155], v[0:1]
	v_fma_f64 v[2:3], v[154:155], v[152:153], -v[2:3]
	v_fmac_f64_e32 v[158:159], v[156:157], v[152:153]
	scratch_load_dwordx4 v[154:157], off, off offset:912
	s_waitcnt vmcnt(0)
	v_add_f64 v[154:155], v[154:155], -v[2:3]
	v_add_f64 v[156:157], v[156:157], -v[158:159]
	scratch_store_dwordx4 off, v[154:157], off offset:912
	ds_read2_b64 v[154:157], v248 offset0:116 offset1:117
	s_waitcnt lgkmcnt(0)
	;; [unrolled: 11-line block ×3, first 2 shown]
	v_mul_f64 v[2:3], v[156:157], v[0:1]
	v_mul_f64 v[158:159], v[154:155], v[0:1]
	v_fma_f64 v[2:3], v[154:155], v[152:153], -v[2:3]
	v_fmac_f64_e32 v[158:159], v[156:157], v[152:153]
	scratch_load_dwordx4 v[154:157], off, off offset:944
	s_waitcnt vmcnt(0)
	v_add_f64 v[156:157], v[156:157], -v[158:159]
	ds_read2_b64 v[158:161], v248 offset0:120 offset1:121
	v_add_f64 v[154:155], v[154:155], -v[2:3]
	scratch_store_dwordx4 off, v[154:157], off offset:944
	s_waitcnt lgkmcnt(0)
	v_mul_f64 v[2:3], v[160:161], v[0:1]
	v_fma_f64 v[156:157], v[158:159], v[152:153], -v[2:3]
	v_mul_f64 v[158:159], v[158:159], v[0:1]
	v_fmac_f64_e32 v[158:159], v[160:161], v[152:153]
	scratch_load_dwordx4 v[152:155], off, off offset:960
	s_waitcnt vmcnt(0)
	v_add_f64 v[152:153], v[152:153], -v[156:157]
	v_add_f64 v[154:155], v[154:155], -v[158:159]
	scratch_store_dwordx4 off, v[152:155], off offset:960
.LBB121_443:
	s_or_b64 exec, exec, s[2:3]
	v_cmp_eq_u32_e32 vcc, 38, v252
	s_waitcnt lgkmcnt(0)
	s_barrier
	s_and_saveexec_b64 s[4:5], vcc
	s_cbranch_execz .LBB121_450
; %bb.444:
	scratch_load_dwordx4 v[152:155], off, s31
	s_waitcnt vmcnt(0)
	ds_write2_b64 v253, v[152:153], v[154:155] offset1:1
	scratch_load_dwordx4 v[152:155], off, s30
	s_waitcnt vmcnt(0)
	ds_write2_b64 v248, v[152:153], v[154:155] offset0:78 offset1:79
	scratch_load_dwordx4 v[152:155], off, s29
	s_waitcnt vmcnt(0)
	ds_write2_b64 v248, v[152:153], v[154:155] offset0:80 offset1:81
	;; [unrolled: 3-line block ×22, first 2 shown]
	ds_read2_b64 v[152:155], v253 offset1:1
	s_waitcnt lgkmcnt(0)
	v_cmp_neq_f64_e32 vcc, 0, v[152:153]
	v_cmp_neq_f64_e64 s[2:3], 0, v[154:155]
	s_or_b64 s[2:3], vcc, s[2:3]
	s_and_b64 exec, exec, s[2:3]
	s_cbranch_execz .LBB121_450
; %bb.445:
	v_cmp_ngt_f64_e64 s[2:3], |v[152:153]|, |v[154:155]|
                                        ; implicit-def: $vgpr156_vgpr157
	s_and_saveexec_b64 s[70:71], s[2:3]
	s_xor_b64 s[2:3], exec, s[70:71]
                                        ; implicit-def: $vgpr158_vgpr159
	s_cbranch_execz .LBB121_447
; %bb.446:
	v_div_scale_f64 v[0:1], s[70:71], v[154:155], v[154:155], v[152:153]
	v_rcp_f64_e32 v[2:3], v[0:1]
	v_div_scale_f64 v[156:157], vcc, v[152:153], v[154:155], v[152:153]
	v_fma_f64 v[158:159], -v[0:1], v[2:3], 1.0
	v_fmac_f64_e32 v[2:3], v[2:3], v[158:159]
	v_fma_f64 v[158:159], -v[0:1], v[2:3], 1.0
	v_fmac_f64_e32 v[2:3], v[2:3], v[158:159]
	v_mul_f64 v[158:159], v[156:157], v[2:3]
	v_fma_f64 v[0:1], -v[0:1], v[158:159], v[156:157]
	v_div_fmas_f64 v[0:1], v[0:1], v[2:3], v[158:159]
	v_div_fixup_f64 v[0:1], v[0:1], v[154:155], v[152:153]
	v_fmac_f64_e32 v[154:155], v[152:153], v[0:1]
	v_div_scale_f64 v[2:3], s[70:71], v[154:155], v[154:155], 1.0
	v_rcp_f64_e32 v[152:153], v[2:3]
	s_nop 0
	v_fma_f64 v[156:157], -v[2:3], v[152:153], 1.0
	v_fmac_f64_e32 v[152:153], v[152:153], v[156:157]
	v_fma_f64 v[156:157], -v[2:3], v[152:153], 1.0
	v_fmac_f64_e32 v[152:153], v[152:153], v[156:157]
	v_div_scale_f64 v[156:157], vcc, 1.0, v[154:155], 1.0
	v_mul_f64 v[158:159], v[156:157], v[152:153]
	v_fma_f64 v[2:3], -v[2:3], v[158:159], v[156:157]
	s_nop 1
	v_div_fmas_f64 v[2:3], v[2:3], v[152:153], v[158:159]
	v_div_fixup_f64 v[158:159], v[2:3], v[154:155], 1.0
	v_mul_f64 v[156:157], v[0:1], v[158:159]
	v_xor_b32_e32 v159, 0x80000000, v159
                                        ; implicit-def: $vgpr152_vgpr153
.LBB121_447:
	s_andn2_saveexec_b64 s[2:3], s[2:3]
	s_cbranch_execz .LBB121_449
; %bb.448:
	v_div_scale_f64 v[0:1], s[70:71], v[152:153], v[152:153], v[154:155]
	v_rcp_f64_e32 v[2:3], v[0:1]
	v_div_scale_f64 v[156:157], vcc, v[154:155], v[152:153], v[154:155]
	v_fma_f64 v[158:159], -v[0:1], v[2:3], 1.0
	v_fmac_f64_e32 v[2:3], v[2:3], v[158:159]
	v_fma_f64 v[158:159], -v[0:1], v[2:3], 1.0
	v_fmac_f64_e32 v[2:3], v[2:3], v[158:159]
	v_mul_f64 v[158:159], v[156:157], v[2:3]
	v_fma_f64 v[0:1], -v[0:1], v[158:159], v[156:157]
	v_div_fmas_f64 v[0:1], v[0:1], v[2:3], v[158:159]
	v_div_fixup_f64 v[0:1], v[0:1], v[152:153], v[154:155]
	v_fmac_f64_e32 v[152:153], v[154:155], v[0:1]
	v_div_scale_f64 v[2:3], s[70:71], v[152:153], v[152:153], 1.0
	v_rcp_f64_e32 v[154:155], v[2:3]
	s_nop 0
	v_fma_f64 v[156:157], -v[2:3], v[154:155], 1.0
	v_fmac_f64_e32 v[154:155], v[154:155], v[156:157]
	v_fma_f64 v[156:157], -v[2:3], v[154:155], 1.0
	v_fmac_f64_e32 v[154:155], v[154:155], v[156:157]
	v_div_scale_f64 v[156:157], vcc, 1.0, v[152:153], 1.0
	v_mul_f64 v[158:159], v[156:157], v[154:155]
	v_fma_f64 v[2:3], -v[2:3], v[158:159], v[156:157]
	s_nop 1
	v_div_fmas_f64 v[2:3], v[2:3], v[154:155], v[158:159]
	v_div_fixup_f64 v[156:157], v[2:3], v[152:153], 1.0
	v_mul_f64 v[158:159], v[0:1], -v[156:157]
.LBB121_449:
	s_or_b64 exec, exec, s[2:3]
	ds_write2_b64 v253, v[156:157], v[158:159] offset1:1
.LBB121_450:
	s_or_b64 exec, exec, s[4:5]
	s_waitcnt lgkmcnt(0)
	s_barrier
	ds_read2_b64 v[152:155], v253 offset1:1
	v_cmp_lt_u32_e32 vcc, 38, v252
	s_and_saveexec_b64 s[2:3], vcc
	s_cbranch_execz .LBB121_452
; %bb.451:
	scratch_load_dwordx4 v[156:159], off, off offset:608
	s_waitcnt vmcnt(0) lgkmcnt(0)
	v_mul_f64 v[0:1], v[154:155], v[158:159]
	v_mul_f64 v[162:163], v[152:153], v[158:159]
	v_fma_f64 v[160:161], v[152:153], v[156:157], -v[0:1]
	v_fmac_f64_e32 v[162:163], v[154:155], v[156:157]
	ds_read2_b64 v[156:159], v248 offset0:78 offset1:79
	scratch_store_dwordx4 off, v[160:163], off offset:608
	s_waitcnt lgkmcnt(0)
	v_mul_f64 v[0:1], v[158:159], v[162:163]
	v_mul_f64 v[2:3], v[156:157], v[162:163]
	v_fma_f64 v[0:1], v[156:157], v[160:161], -v[0:1]
	v_fmac_f64_e32 v[2:3], v[158:159], v[160:161]
	scratch_load_dwordx4 v[156:159], off, off offset:624
	s_waitcnt vmcnt(0)
	v_add_f64 v[156:157], v[156:157], -v[0:1]
	v_add_f64 v[158:159], v[158:159], -v[2:3]
	scratch_store_dwordx4 off, v[156:159], off offset:624
	ds_read2_b64 v[156:159], v248 offset0:80 offset1:81
	s_waitcnt lgkmcnt(0)
	v_mul_f64 v[0:1], v[158:159], v[162:163]
	v_mul_f64 v[2:3], v[156:157], v[162:163]
	v_fma_f64 v[0:1], v[156:157], v[160:161], -v[0:1]
	v_fmac_f64_e32 v[2:3], v[158:159], v[160:161]
	scratch_load_dwordx4 v[156:159], off, off offset:640
	s_waitcnt vmcnt(0)
	v_add_f64 v[156:157], v[156:157], -v[0:1]
	v_add_f64 v[158:159], v[158:159], -v[2:3]
	scratch_store_dwordx4 off, v[156:159], off offset:640
	ds_read2_b64 v[156:159], v248 offset0:82 offset1:83
	s_waitcnt lgkmcnt(0)
	v_mul_f64 v[0:1], v[158:159], v[162:163]
	v_mul_f64 v[2:3], v[156:157], v[162:163]
	v_fma_f64 v[0:1], v[156:157], v[160:161], -v[0:1]
	v_fmac_f64_e32 v[2:3], v[158:159], v[160:161]
	scratch_load_dwordx4 v[156:159], off, off offset:656
	s_waitcnt vmcnt(0)
	v_add_f64 v[156:157], v[156:157], -v[0:1]
	v_add_f64 v[158:159], v[158:159], -v[2:3]
	scratch_store_dwordx4 off, v[156:159], off offset:656
	ds_read2_b64 v[156:159], v248 offset0:84 offset1:85
	s_waitcnt lgkmcnt(0)
	v_mul_f64 v[0:1], v[158:159], v[162:163]
	v_mul_f64 v[2:3], v[156:157], v[162:163]
	v_fma_f64 v[0:1], v[156:157], v[160:161], -v[0:1]
	v_fmac_f64_e32 v[2:3], v[158:159], v[160:161]
	scratch_load_dwordx4 v[156:159], off, off offset:672
	s_waitcnt vmcnt(0)
	v_add_f64 v[156:157], v[156:157], -v[0:1]
	v_add_f64 v[158:159], v[158:159], -v[2:3]
	scratch_store_dwordx4 off, v[156:159], off offset:672
	ds_read2_b64 v[156:159], v248 offset0:86 offset1:87
	s_waitcnt lgkmcnt(0)
	v_mul_f64 v[0:1], v[158:159], v[162:163]
	v_mul_f64 v[2:3], v[156:157], v[162:163]
	v_fma_f64 v[0:1], v[156:157], v[160:161], -v[0:1]
	v_fmac_f64_e32 v[2:3], v[158:159], v[160:161]
	scratch_load_dwordx4 v[156:159], off, off offset:688
	s_waitcnt vmcnt(0)
	v_add_f64 v[156:157], v[156:157], -v[0:1]
	v_add_f64 v[158:159], v[158:159], -v[2:3]
	scratch_store_dwordx4 off, v[156:159], off offset:688
	ds_read2_b64 v[156:159], v248 offset0:88 offset1:89
	s_waitcnt lgkmcnt(0)
	v_mul_f64 v[0:1], v[158:159], v[162:163]
	v_mul_f64 v[2:3], v[156:157], v[162:163]
	v_fma_f64 v[0:1], v[156:157], v[160:161], -v[0:1]
	v_fmac_f64_e32 v[2:3], v[158:159], v[160:161]
	scratch_load_dwordx4 v[156:159], off, off offset:704
	ds_read2_b64 v[160:163], v248 offset0:90 offset1:91
	s_waitcnt vmcnt(0)
	v_add_f64 v[156:157], v[156:157], -v[0:1]
	v_add_f64 v[158:159], v[158:159], -v[2:3]
	scratch_store_dwordx4 off, v[156:159], off offset:704
	scratch_load_dwordx2 v[0:1], off, off offset:608
	s_nop 0
	scratch_load_dwordx4 v[156:159], off, off offset:608
	s_waitcnt vmcnt(0) lgkmcnt(0)
	v_mul_f64 v[2:3], v[162:163], v[158:159]
	v_mul_f64 v[164:165], v[160:161], v[158:159]
	v_fma_f64 v[2:3], v[160:161], v[0:1], -v[2:3]
	v_fmac_f64_e32 v[164:165], v[162:163], v[0:1]
	scratch_load_dwordx4 v[160:163], off, off offset:720
	s_waitcnt vmcnt(0)
	v_add_f64 v[160:161], v[160:161], -v[2:3]
	v_add_f64 v[162:163], v[162:163], -v[164:165]
	scratch_store_dwordx4 off, v[160:163], off offset:720
	ds_read2_b64 v[160:163], v248 offset0:92 offset1:93
	s_waitcnt lgkmcnt(0)
	v_mul_f64 v[2:3], v[162:163], v[158:159]
	v_mul_f64 v[164:165], v[160:161], v[158:159]
	v_fma_f64 v[2:3], v[160:161], v[0:1], -v[2:3]
	v_fmac_f64_e32 v[164:165], v[162:163], v[0:1]
	scratch_load_dwordx4 v[160:163], off, off offset:736
	s_waitcnt vmcnt(0)
	v_add_f64 v[160:161], v[160:161], -v[2:3]
	v_add_f64 v[162:163], v[162:163], -v[164:165]
	scratch_store_dwordx4 off, v[160:163], off offset:736
	ds_read2_b64 v[160:163], v248 offset0:94 offset1:95
	s_waitcnt lgkmcnt(0)
	;; [unrolled: 11-line block ×5, first 2 shown]
	v_mul_f64 v[2:3], v[162:163], v[158:159]
	v_fma_f64 v[2:3], v[160:161], v[0:1], -v[2:3]
	v_mul_f64 v[164:165], v[160:161], v[158:159]
	scratch_load_dwordx4 v[158:161], off, off offset:800
	v_fmac_f64_e32 v[164:165], v[162:163], v[0:1]
	s_waitcnt vmcnt(0)
	v_add_f64 v[158:159], v[158:159], -v[2:3]
	v_add_f64 v[160:161], v[160:161], -v[164:165]
	scratch_store_dwordx4 off, v[158:161], off offset:800
	ds_read2_b64 v[160:163], v248 offset0:102 offset1:103
	scratch_load_dwordx2 v[158:159], off, off offset:608
	scratch_load_dwordx2 v[0:1], off, off offset:616
	s_waitcnt vmcnt(0) lgkmcnt(0)
	v_mul_f64 v[2:3], v[162:163], v[0:1]
	v_mul_f64 v[164:165], v[160:161], v[0:1]
	v_fma_f64 v[2:3], v[160:161], v[158:159], -v[2:3]
	v_fmac_f64_e32 v[164:165], v[162:163], v[158:159]
	scratch_load_dwordx4 v[160:163], off, off offset:816
	s_waitcnt vmcnt(0)
	v_add_f64 v[160:161], v[160:161], -v[2:3]
	v_add_f64 v[162:163], v[162:163], -v[164:165]
	scratch_store_dwordx4 off, v[160:163], off offset:816
	ds_read2_b64 v[160:163], v248 offset0:104 offset1:105
	s_waitcnt lgkmcnt(0)
	v_mul_f64 v[2:3], v[162:163], v[0:1]
	v_mul_f64 v[164:165], v[160:161], v[0:1]
	v_fma_f64 v[2:3], v[160:161], v[158:159], -v[2:3]
	v_fmac_f64_e32 v[164:165], v[162:163], v[158:159]
	scratch_load_dwordx4 v[160:163], off, off offset:832
	s_waitcnt vmcnt(0)
	v_add_f64 v[160:161], v[160:161], -v[2:3]
	v_add_f64 v[162:163], v[162:163], -v[164:165]
	scratch_store_dwordx4 off, v[160:163], off offset:832
	ds_read2_b64 v[160:163], v248 offset0:106 offset1:107
	s_waitcnt lgkmcnt(0)
	;; [unrolled: 11-line block ×5, first 2 shown]
	v_mul_f64 v[2:3], v[162:163], v[0:1]
	v_mul_f64 v[0:1], v[160:161], v[0:1]
	v_fma_f64 v[2:3], v[160:161], v[158:159], -v[2:3]
	v_fmac_f64_e32 v[0:1], v[162:163], v[158:159]
	scratch_load_dwordx4 v[158:161], off, off offset:896
	s_waitcnt vmcnt(0)
	v_add_f64 v[160:161], v[160:161], -v[0:1]
	scratch_load_dwordx2 v[0:1], off, off offset:616
	v_add_f64 v[158:159], v[158:159], -v[2:3]
	scratch_store_dwordx4 off, v[158:161], off offset:896
	ds_read2_b64 v[158:161], v248 offset0:114 offset1:115
	s_waitcnt vmcnt(1) lgkmcnt(0)
	v_mul_f64 v[2:3], v[160:161], v[0:1]
	v_mul_f64 v[162:163], v[158:159], v[0:1]
	v_fma_f64 v[2:3], v[158:159], v[156:157], -v[2:3]
	v_fmac_f64_e32 v[162:163], v[160:161], v[156:157]
	scratch_load_dwordx4 v[158:161], off, off offset:912
	s_waitcnt vmcnt(0)
	v_add_f64 v[158:159], v[158:159], -v[2:3]
	v_add_f64 v[160:161], v[160:161], -v[162:163]
	scratch_store_dwordx4 off, v[158:161], off offset:912
	ds_read2_b64 v[158:161], v248 offset0:116 offset1:117
	s_waitcnt lgkmcnt(0)
	v_mul_f64 v[2:3], v[160:161], v[0:1]
	v_mul_f64 v[162:163], v[158:159], v[0:1]
	v_fma_f64 v[2:3], v[158:159], v[156:157], -v[2:3]
	v_fmac_f64_e32 v[162:163], v[160:161], v[156:157]
	scratch_load_dwordx4 v[158:161], off, off offset:928
	s_waitcnt vmcnt(0)
	v_add_f64 v[158:159], v[158:159], -v[2:3]
	v_add_f64 v[160:161], v[160:161], -v[162:163]
	scratch_store_dwordx4 off, v[158:161], off offset:928
	ds_read2_b64 v[158:161], v248 offset0:118 offset1:119
	s_waitcnt lgkmcnt(0)
	v_mul_f64 v[2:3], v[160:161], v[0:1]
	v_mul_f64 v[162:163], v[158:159], v[0:1]
	v_fma_f64 v[2:3], v[158:159], v[156:157], -v[2:3]
	v_fmac_f64_e32 v[162:163], v[160:161], v[156:157]
	scratch_load_dwordx4 v[158:161], off, off offset:944
	s_waitcnt vmcnt(0)
	v_add_f64 v[160:161], v[160:161], -v[162:163]
	ds_read2_b64 v[162:165], v248 offset0:120 offset1:121
	v_add_f64 v[158:159], v[158:159], -v[2:3]
	scratch_store_dwordx4 off, v[158:161], off offset:944
	s_waitcnt lgkmcnt(0)
	v_mul_f64 v[2:3], v[164:165], v[0:1]
	v_fma_f64 v[160:161], v[162:163], v[156:157], -v[2:3]
	v_mul_f64 v[162:163], v[162:163], v[0:1]
	v_fmac_f64_e32 v[162:163], v[164:165], v[156:157]
	scratch_load_dwordx4 v[156:159], off, off offset:960
	s_waitcnt vmcnt(0)
	v_add_f64 v[156:157], v[156:157], -v[160:161]
	v_add_f64 v[158:159], v[158:159], -v[162:163]
	scratch_store_dwordx4 off, v[156:159], off offset:960
.LBB121_452:
	s_or_b64 exec, exec, s[2:3]
	v_cmp_eq_u32_e32 vcc, 39, v252
	s_waitcnt lgkmcnt(0)
	s_barrier
	s_and_saveexec_b64 s[4:5], vcc
	s_cbranch_execz .LBB121_459
; %bb.453:
	scratch_load_dwordx4 v[156:159], off, s30
	s_waitcnt vmcnt(0)
	ds_write2_b64 v253, v[156:157], v[158:159] offset1:1
	scratch_load_dwordx4 v[156:159], off, s29
	s_waitcnt vmcnt(0)
	ds_write2_b64 v248, v[156:157], v[158:159] offset0:80 offset1:81
	scratch_load_dwordx4 v[156:159], off, s28
	s_waitcnt vmcnt(0)
	ds_write2_b64 v248, v[156:157], v[158:159] offset0:82 offset1:83
	;; [unrolled: 3-line block ×21, first 2 shown]
	ds_read2_b64 v[156:159], v253 offset1:1
	s_waitcnt lgkmcnt(0)
	v_cmp_neq_f64_e32 vcc, 0, v[156:157]
	v_cmp_neq_f64_e64 s[2:3], 0, v[158:159]
	s_or_b64 s[2:3], vcc, s[2:3]
	s_and_b64 exec, exec, s[2:3]
	s_cbranch_execz .LBB121_459
; %bb.454:
	v_cmp_ngt_f64_e64 s[2:3], |v[156:157]|, |v[158:159]|
                                        ; implicit-def: $vgpr160_vgpr161
	s_and_saveexec_b64 s[70:71], s[2:3]
	s_xor_b64 s[2:3], exec, s[70:71]
                                        ; implicit-def: $vgpr162_vgpr163
	s_cbranch_execz .LBB121_456
; %bb.455:
	v_div_scale_f64 v[0:1], s[70:71], v[158:159], v[158:159], v[156:157]
	v_rcp_f64_e32 v[2:3], v[0:1]
	v_div_scale_f64 v[160:161], vcc, v[156:157], v[158:159], v[156:157]
	v_fma_f64 v[162:163], -v[0:1], v[2:3], 1.0
	v_fmac_f64_e32 v[2:3], v[2:3], v[162:163]
	v_fma_f64 v[162:163], -v[0:1], v[2:3], 1.0
	v_fmac_f64_e32 v[2:3], v[2:3], v[162:163]
	v_mul_f64 v[162:163], v[160:161], v[2:3]
	v_fma_f64 v[0:1], -v[0:1], v[162:163], v[160:161]
	v_div_fmas_f64 v[0:1], v[0:1], v[2:3], v[162:163]
	v_div_fixup_f64 v[0:1], v[0:1], v[158:159], v[156:157]
	v_fmac_f64_e32 v[158:159], v[156:157], v[0:1]
	v_div_scale_f64 v[2:3], s[70:71], v[158:159], v[158:159], 1.0
	v_rcp_f64_e32 v[156:157], v[2:3]
	s_nop 0
	v_fma_f64 v[160:161], -v[2:3], v[156:157], 1.0
	v_fmac_f64_e32 v[156:157], v[156:157], v[160:161]
	v_fma_f64 v[160:161], -v[2:3], v[156:157], 1.0
	v_fmac_f64_e32 v[156:157], v[156:157], v[160:161]
	v_div_scale_f64 v[160:161], vcc, 1.0, v[158:159], 1.0
	v_mul_f64 v[162:163], v[160:161], v[156:157]
	v_fma_f64 v[2:3], -v[2:3], v[162:163], v[160:161]
	s_nop 1
	v_div_fmas_f64 v[2:3], v[2:3], v[156:157], v[162:163]
	v_div_fixup_f64 v[162:163], v[2:3], v[158:159], 1.0
	v_mul_f64 v[160:161], v[0:1], v[162:163]
	v_xor_b32_e32 v163, 0x80000000, v163
                                        ; implicit-def: $vgpr156_vgpr157
.LBB121_456:
	s_andn2_saveexec_b64 s[2:3], s[2:3]
	s_cbranch_execz .LBB121_458
; %bb.457:
	v_div_scale_f64 v[0:1], s[70:71], v[156:157], v[156:157], v[158:159]
	v_rcp_f64_e32 v[2:3], v[0:1]
	v_div_scale_f64 v[160:161], vcc, v[158:159], v[156:157], v[158:159]
	v_fma_f64 v[162:163], -v[0:1], v[2:3], 1.0
	v_fmac_f64_e32 v[2:3], v[2:3], v[162:163]
	v_fma_f64 v[162:163], -v[0:1], v[2:3], 1.0
	v_fmac_f64_e32 v[2:3], v[2:3], v[162:163]
	v_mul_f64 v[162:163], v[160:161], v[2:3]
	v_fma_f64 v[0:1], -v[0:1], v[162:163], v[160:161]
	v_div_fmas_f64 v[0:1], v[0:1], v[2:3], v[162:163]
	v_div_fixup_f64 v[0:1], v[0:1], v[156:157], v[158:159]
	v_fmac_f64_e32 v[156:157], v[158:159], v[0:1]
	v_div_scale_f64 v[2:3], s[70:71], v[156:157], v[156:157], 1.0
	v_rcp_f64_e32 v[158:159], v[2:3]
	s_nop 0
	v_fma_f64 v[160:161], -v[2:3], v[158:159], 1.0
	v_fmac_f64_e32 v[158:159], v[158:159], v[160:161]
	v_fma_f64 v[160:161], -v[2:3], v[158:159], 1.0
	v_fmac_f64_e32 v[158:159], v[158:159], v[160:161]
	v_div_scale_f64 v[160:161], vcc, 1.0, v[156:157], 1.0
	v_mul_f64 v[162:163], v[160:161], v[158:159]
	v_fma_f64 v[2:3], -v[2:3], v[162:163], v[160:161]
	s_nop 1
	v_div_fmas_f64 v[2:3], v[2:3], v[158:159], v[162:163]
	v_div_fixup_f64 v[160:161], v[2:3], v[156:157], 1.0
	v_mul_f64 v[162:163], v[0:1], -v[160:161]
.LBB121_458:
	s_or_b64 exec, exec, s[2:3]
	ds_write2_b64 v253, v[160:161], v[162:163] offset1:1
.LBB121_459:
	s_or_b64 exec, exec, s[4:5]
	s_waitcnt lgkmcnt(0)
	s_barrier
	ds_read2_b64 v[156:159], v253 offset1:1
	v_cmp_lt_u32_e32 vcc, 39, v252
	s_and_saveexec_b64 s[2:3], vcc
	s_cbranch_execz .LBB121_461
; %bb.460:
	scratch_load_dwordx4 v[160:163], off, off offset:624
	s_waitcnt vmcnt(0) lgkmcnt(0)
	v_mul_f64 v[0:1], v[158:159], v[162:163]
	v_mul_f64 v[166:167], v[156:157], v[162:163]
	v_fma_f64 v[164:165], v[156:157], v[160:161], -v[0:1]
	v_fmac_f64_e32 v[166:167], v[158:159], v[160:161]
	ds_read2_b64 v[160:163], v248 offset0:80 offset1:81
	scratch_store_dwordx4 off, v[164:167], off offset:624
	s_waitcnt lgkmcnt(0)
	v_mul_f64 v[0:1], v[162:163], v[166:167]
	v_mul_f64 v[2:3], v[160:161], v[166:167]
	v_fma_f64 v[0:1], v[160:161], v[164:165], -v[0:1]
	v_fmac_f64_e32 v[2:3], v[162:163], v[164:165]
	scratch_load_dwordx4 v[160:163], off, off offset:640
	s_waitcnt vmcnt(0)
	v_add_f64 v[160:161], v[160:161], -v[0:1]
	v_add_f64 v[162:163], v[162:163], -v[2:3]
	scratch_store_dwordx4 off, v[160:163], off offset:640
	ds_read2_b64 v[160:163], v248 offset0:82 offset1:83
	s_waitcnt lgkmcnt(0)
	v_mul_f64 v[0:1], v[162:163], v[166:167]
	v_mul_f64 v[2:3], v[160:161], v[166:167]
	v_fma_f64 v[0:1], v[160:161], v[164:165], -v[0:1]
	v_fmac_f64_e32 v[2:3], v[162:163], v[164:165]
	scratch_load_dwordx4 v[160:163], off, off offset:656
	s_waitcnt vmcnt(0)
	v_add_f64 v[160:161], v[160:161], -v[0:1]
	v_add_f64 v[162:163], v[162:163], -v[2:3]
	scratch_store_dwordx4 off, v[160:163], off offset:656
	ds_read2_b64 v[160:163], v248 offset0:84 offset1:85
	;; [unrolled: 11-line block ×5, first 2 shown]
	s_waitcnt lgkmcnt(0)
	v_mul_f64 v[0:1], v[162:163], v[166:167]
	v_mul_f64 v[2:3], v[160:161], v[166:167]
	v_fma_f64 v[0:1], v[160:161], v[164:165], -v[0:1]
	v_fmac_f64_e32 v[2:3], v[162:163], v[164:165]
	scratch_load_dwordx4 v[160:163], off, off offset:720
	ds_read2_b64 v[164:167], v248 offset0:92 offset1:93
	s_waitcnt vmcnt(0)
	v_add_f64 v[160:161], v[160:161], -v[0:1]
	v_add_f64 v[162:163], v[162:163], -v[2:3]
	scratch_store_dwordx4 off, v[160:163], off offset:720
	scratch_load_dwordx2 v[0:1], off, off offset:624
	s_nop 0
	scratch_load_dwordx4 v[160:163], off, off offset:624
	s_waitcnt vmcnt(0) lgkmcnt(0)
	v_mul_f64 v[2:3], v[166:167], v[162:163]
	v_mul_f64 v[168:169], v[164:165], v[162:163]
	v_fma_f64 v[2:3], v[164:165], v[0:1], -v[2:3]
	v_fmac_f64_e32 v[168:169], v[166:167], v[0:1]
	scratch_load_dwordx4 v[164:167], off, off offset:736
	s_waitcnt vmcnt(0)
	v_add_f64 v[164:165], v[164:165], -v[2:3]
	v_add_f64 v[166:167], v[166:167], -v[168:169]
	scratch_store_dwordx4 off, v[164:167], off offset:736
	ds_read2_b64 v[164:167], v248 offset0:94 offset1:95
	s_waitcnt lgkmcnt(0)
	v_mul_f64 v[2:3], v[166:167], v[162:163]
	v_mul_f64 v[168:169], v[164:165], v[162:163]
	v_fma_f64 v[2:3], v[164:165], v[0:1], -v[2:3]
	v_fmac_f64_e32 v[168:169], v[166:167], v[0:1]
	scratch_load_dwordx4 v[164:167], off, off offset:752
	s_waitcnt vmcnt(0)
	v_add_f64 v[164:165], v[164:165], -v[2:3]
	v_add_f64 v[166:167], v[166:167], -v[168:169]
	scratch_store_dwordx4 off, v[164:167], off offset:752
	ds_read2_b64 v[164:167], v248 offset0:96 offset1:97
	s_waitcnt lgkmcnt(0)
	;; [unrolled: 11-line block ×5, first 2 shown]
	v_mul_f64 v[2:3], v[166:167], v[162:163]
	v_fma_f64 v[2:3], v[164:165], v[0:1], -v[2:3]
	v_mul_f64 v[168:169], v[164:165], v[162:163]
	scratch_load_dwordx4 v[162:165], off, off offset:816
	v_fmac_f64_e32 v[168:169], v[166:167], v[0:1]
	s_waitcnt vmcnt(0)
	v_add_f64 v[162:163], v[162:163], -v[2:3]
	v_add_f64 v[164:165], v[164:165], -v[168:169]
	scratch_store_dwordx4 off, v[162:165], off offset:816
	ds_read2_b64 v[164:167], v248 offset0:104 offset1:105
	scratch_load_dwordx2 v[162:163], off, off offset:624
	scratch_load_dwordx2 v[0:1], off, off offset:632
	s_waitcnt vmcnt(0) lgkmcnt(0)
	v_mul_f64 v[2:3], v[166:167], v[0:1]
	v_mul_f64 v[168:169], v[164:165], v[0:1]
	v_fma_f64 v[2:3], v[164:165], v[162:163], -v[2:3]
	v_fmac_f64_e32 v[168:169], v[166:167], v[162:163]
	scratch_load_dwordx4 v[164:167], off, off offset:832
	s_waitcnt vmcnt(0)
	v_add_f64 v[164:165], v[164:165], -v[2:3]
	v_add_f64 v[166:167], v[166:167], -v[168:169]
	scratch_store_dwordx4 off, v[164:167], off offset:832
	ds_read2_b64 v[164:167], v248 offset0:106 offset1:107
	s_waitcnt lgkmcnt(0)
	v_mul_f64 v[2:3], v[166:167], v[0:1]
	v_mul_f64 v[168:169], v[164:165], v[0:1]
	v_fma_f64 v[2:3], v[164:165], v[162:163], -v[2:3]
	v_fmac_f64_e32 v[168:169], v[166:167], v[162:163]
	scratch_load_dwordx4 v[164:167], off, off offset:848
	s_waitcnt vmcnt(0)
	v_add_f64 v[164:165], v[164:165], -v[2:3]
	v_add_f64 v[166:167], v[166:167], -v[168:169]
	scratch_store_dwordx4 off, v[164:167], off offset:848
	ds_read2_b64 v[164:167], v248 offset0:108 offset1:109
	s_waitcnt lgkmcnt(0)
	;; [unrolled: 11-line block ×5, first 2 shown]
	v_mul_f64 v[2:3], v[166:167], v[0:1]
	v_mul_f64 v[0:1], v[164:165], v[0:1]
	v_fma_f64 v[2:3], v[164:165], v[162:163], -v[2:3]
	v_fmac_f64_e32 v[0:1], v[166:167], v[162:163]
	scratch_load_dwordx4 v[162:165], off, off offset:912
	s_waitcnt vmcnt(0)
	v_add_f64 v[164:165], v[164:165], -v[0:1]
	scratch_load_dwordx2 v[0:1], off, off offset:632
	v_add_f64 v[162:163], v[162:163], -v[2:3]
	scratch_store_dwordx4 off, v[162:165], off offset:912
	ds_read2_b64 v[162:165], v248 offset0:116 offset1:117
	s_waitcnt vmcnt(1) lgkmcnt(0)
	v_mul_f64 v[2:3], v[164:165], v[0:1]
	v_mul_f64 v[166:167], v[162:163], v[0:1]
	v_fma_f64 v[2:3], v[162:163], v[160:161], -v[2:3]
	v_fmac_f64_e32 v[166:167], v[164:165], v[160:161]
	scratch_load_dwordx4 v[162:165], off, off offset:928
	s_waitcnt vmcnt(0)
	v_add_f64 v[162:163], v[162:163], -v[2:3]
	v_add_f64 v[164:165], v[164:165], -v[166:167]
	scratch_store_dwordx4 off, v[162:165], off offset:928
	ds_read2_b64 v[162:165], v248 offset0:118 offset1:119
	s_waitcnt lgkmcnt(0)
	v_mul_f64 v[2:3], v[164:165], v[0:1]
	v_mul_f64 v[166:167], v[162:163], v[0:1]
	v_fma_f64 v[2:3], v[162:163], v[160:161], -v[2:3]
	v_fmac_f64_e32 v[166:167], v[164:165], v[160:161]
	scratch_load_dwordx4 v[162:165], off, off offset:944
	s_waitcnt vmcnt(0)
	v_add_f64 v[164:165], v[164:165], -v[166:167]
	ds_read2_b64 v[166:169], v248 offset0:120 offset1:121
	v_add_f64 v[162:163], v[162:163], -v[2:3]
	scratch_store_dwordx4 off, v[162:165], off offset:944
	s_waitcnt lgkmcnt(0)
	v_mul_f64 v[2:3], v[168:169], v[0:1]
	v_fma_f64 v[164:165], v[166:167], v[160:161], -v[2:3]
	v_mul_f64 v[166:167], v[166:167], v[0:1]
	v_fmac_f64_e32 v[166:167], v[168:169], v[160:161]
	scratch_load_dwordx4 v[160:163], off, off offset:960
	s_waitcnt vmcnt(0)
	v_add_f64 v[160:161], v[160:161], -v[164:165]
	v_add_f64 v[162:163], v[162:163], -v[166:167]
	scratch_store_dwordx4 off, v[160:163], off offset:960
.LBB121_461:
	s_or_b64 exec, exec, s[2:3]
	v_cmp_eq_u32_e32 vcc, 40, v252
	s_waitcnt lgkmcnt(0)
	s_barrier
	s_and_saveexec_b64 s[4:5], vcc
	s_cbranch_execz .LBB121_468
; %bb.462:
	scratch_load_dwordx4 v[160:163], off, s29
	s_waitcnt vmcnt(0)
	ds_write2_b64 v253, v[160:161], v[162:163] offset1:1
	scratch_load_dwordx4 v[160:163], off, s28
	s_waitcnt vmcnt(0)
	ds_write2_b64 v248, v[160:161], v[162:163] offset0:82 offset1:83
	scratch_load_dwordx4 v[160:163], off, s27
	s_waitcnt vmcnt(0)
	ds_write2_b64 v248, v[160:161], v[162:163] offset0:84 offset1:85
	;; [unrolled: 3-line block ×20, first 2 shown]
	ds_read2_b64 v[160:163], v253 offset1:1
	s_waitcnt lgkmcnt(0)
	v_cmp_neq_f64_e32 vcc, 0, v[160:161]
	v_cmp_neq_f64_e64 s[2:3], 0, v[162:163]
	s_or_b64 s[2:3], vcc, s[2:3]
	s_and_b64 exec, exec, s[2:3]
	s_cbranch_execz .LBB121_468
; %bb.463:
	v_cmp_ngt_f64_e64 s[2:3], |v[160:161]|, |v[162:163]|
                                        ; implicit-def: $vgpr164_vgpr165
	s_and_saveexec_b64 s[70:71], s[2:3]
	s_xor_b64 s[2:3], exec, s[70:71]
                                        ; implicit-def: $vgpr166_vgpr167
	s_cbranch_execz .LBB121_465
; %bb.464:
	v_div_scale_f64 v[0:1], s[70:71], v[162:163], v[162:163], v[160:161]
	v_rcp_f64_e32 v[2:3], v[0:1]
	v_div_scale_f64 v[164:165], vcc, v[160:161], v[162:163], v[160:161]
	v_fma_f64 v[166:167], -v[0:1], v[2:3], 1.0
	v_fmac_f64_e32 v[2:3], v[2:3], v[166:167]
	v_fma_f64 v[166:167], -v[0:1], v[2:3], 1.0
	v_fmac_f64_e32 v[2:3], v[2:3], v[166:167]
	v_mul_f64 v[166:167], v[164:165], v[2:3]
	v_fma_f64 v[0:1], -v[0:1], v[166:167], v[164:165]
	v_div_fmas_f64 v[0:1], v[0:1], v[2:3], v[166:167]
	v_div_fixup_f64 v[0:1], v[0:1], v[162:163], v[160:161]
	v_fmac_f64_e32 v[162:163], v[160:161], v[0:1]
	v_div_scale_f64 v[2:3], s[70:71], v[162:163], v[162:163], 1.0
	v_rcp_f64_e32 v[160:161], v[2:3]
	s_nop 0
	v_fma_f64 v[164:165], -v[2:3], v[160:161], 1.0
	v_fmac_f64_e32 v[160:161], v[160:161], v[164:165]
	v_fma_f64 v[164:165], -v[2:3], v[160:161], 1.0
	v_fmac_f64_e32 v[160:161], v[160:161], v[164:165]
	v_div_scale_f64 v[164:165], vcc, 1.0, v[162:163], 1.0
	v_mul_f64 v[166:167], v[164:165], v[160:161]
	v_fma_f64 v[2:3], -v[2:3], v[166:167], v[164:165]
	s_nop 1
	v_div_fmas_f64 v[2:3], v[2:3], v[160:161], v[166:167]
	v_div_fixup_f64 v[166:167], v[2:3], v[162:163], 1.0
	v_mul_f64 v[164:165], v[0:1], v[166:167]
	v_xor_b32_e32 v167, 0x80000000, v167
                                        ; implicit-def: $vgpr160_vgpr161
.LBB121_465:
	s_andn2_saveexec_b64 s[2:3], s[2:3]
	s_cbranch_execz .LBB121_467
; %bb.466:
	v_div_scale_f64 v[0:1], s[70:71], v[160:161], v[160:161], v[162:163]
	v_rcp_f64_e32 v[2:3], v[0:1]
	v_div_scale_f64 v[164:165], vcc, v[162:163], v[160:161], v[162:163]
	v_fma_f64 v[166:167], -v[0:1], v[2:3], 1.0
	v_fmac_f64_e32 v[2:3], v[2:3], v[166:167]
	v_fma_f64 v[166:167], -v[0:1], v[2:3], 1.0
	v_fmac_f64_e32 v[2:3], v[2:3], v[166:167]
	v_mul_f64 v[166:167], v[164:165], v[2:3]
	v_fma_f64 v[0:1], -v[0:1], v[166:167], v[164:165]
	v_div_fmas_f64 v[0:1], v[0:1], v[2:3], v[166:167]
	v_div_fixup_f64 v[0:1], v[0:1], v[160:161], v[162:163]
	v_fmac_f64_e32 v[160:161], v[162:163], v[0:1]
	v_div_scale_f64 v[2:3], s[70:71], v[160:161], v[160:161], 1.0
	v_rcp_f64_e32 v[162:163], v[2:3]
	s_nop 0
	v_fma_f64 v[164:165], -v[2:3], v[162:163], 1.0
	v_fmac_f64_e32 v[162:163], v[162:163], v[164:165]
	v_fma_f64 v[164:165], -v[2:3], v[162:163], 1.0
	v_fmac_f64_e32 v[162:163], v[162:163], v[164:165]
	v_div_scale_f64 v[164:165], vcc, 1.0, v[160:161], 1.0
	v_mul_f64 v[166:167], v[164:165], v[162:163]
	v_fma_f64 v[2:3], -v[2:3], v[166:167], v[164:165]
	s_nop 1
	v_div_fmas_f64 v[2:3], v[2:3], v[162:163], v[166:167]
	v_div_fixup_f64 v[164:165], v[2:3], v[160:161], 1.0
	v_mul_f64 v[166:167], v[0:1], -v[164:165]
.LBB121_467:
	s_or_b64 exec, exec, s[2:3]
	ds_write2_b64 v253, v[164:165], v[166:167] offset1:1
.LBB121_468:
	s_or_b64 exec, exec, s[4:5]
	s_waitcnt lgkmcnt(0)
	s_barrier
	ds_read2_b64 v[160:163], v253 offset1:1
	v_cmp_lt_u32_e32 vcc, 40, v252
	s_and_saveexec_b64 s[2:3], vcc
	s_cbranch_execz .LBB121_470
; %bb.469:
	scratch_load_dwordx4 v[164:167], off, off offset:640
	s_waitcnt vmcnt(0) lgkmcnt(0)
	v_mul_f64 v[0:1], v[162:163], v[166:167]
	v_mul_f64 v[170:171], v[160:161], v[166:167]
	v_fma_f64 v[168:169], v[160:161], v[164:165], -v[0:1]
	v_fmac_f64_e32 v[170:171], v[162:163], v[164:165]
	ds_read2_b64 v[164:167], v248 offset0:82 offset1:83
	scratch_store_dwordx4 off, v[168:171], off offset:640
	s_waitcnt lgkmcnt(0)
	v_mul_f64 v[0:1], v[166:167], v[170:171]
	v_mul_f64 v[2:3], v[164:165], v[170:171]
	v_fma_f64 v[0:1], v[164:165], v[168:169], -v[0:1]
	v_fmac_f64_e32 v[2:3], v[166:167], v[168:169]
	scratch_load_dwordx4 v[164:167], off, off offset:656
	s_waitcnt vmcnt(0)
	v_add_f64 v[164:165], v[164:165], -v[0:1]
	v_add_f64 v[166:167], v[166:167], -v[2:3]
	scratch_store_dwordx4 off, v[164:167], off offset:656
	ds_read2_b64 v[164:167], v248 offset0:84 offset1:85
	s_waitcnt lgkmcnt(0)
	v_mul_f64 v[0:1], v[166:167], v[170:171]
	v_mul_f64 v[2:3], v[164:165], v[170:171]
	v_fma_f64 v[0:1], v[164:165], v[168:169], -v[0:1]
	v_fmac_f64_e32 v[2:3], v[166:167], v[168:169]
	scratch_load_dwordx4 v[164:167], off, off offset:672
	s_waitcnt vmcnt(0)
	v_add_f64 v[164:165], v[164:165], -v[0:1]
	v_add_f64 v[166:167], v[166:167], -v[2:3]
	scratch_store_dwordx4 off, v[164:167], off offset:672
	ds_read2_b64 v[164:167], v248 offset0:86 offset1:87
	;; [unrolled: 11-line block ×5, first 2 shown]
	s_waitcnt lgkmcnt(0)
	v_mul_f64 v[0:1], v[166:167], v[170:171]
	v_mul_f64 v[2:3], v[164:165], v[170:171]
	v_fma_f64 v[0:1], v[164:165], v[168:169], -v[0:1]
	v_fmac_f64_e32 v[2:3], v[166:167], v[168:169]
	scratch_load_dwordx4 v[164:167], off, off offset:736
	ds_read2_b64 v[168:171], v248 offset0:94 offset1:95
	s_waitcnt vmcnt(0)
	v_add_f64 v[164:165], v[164:165], -v[0:1]
	v_add_f64 v[166:167], v[166:167], -v[2:3]
	scratch_store_dwordx4 off, v[164:167], off offset:736
	scratch_load_dwordx2 v[0:1], off, off offset:640
	s_nop 0
	scratch_load_dwordx4 v[164:167], off, off offset:640
	s_waitcnt vmcnt(0) lgkmcnt(0)
	v_mul_f64 v[2:3], v[170:171], v[166:167]
	v_mul_f64 v[172:173], v[168:169], v[166:167]
	v_fma_f64 v[2:3], v[168:169], v[0:1], -v[2:3]
	v_fmac_f64_e32 v[172:173], v[170:171], v[0:1]
	scratch_load_dwordx4 v[168:171], off, off offset:752
	s_waitcnt vmcnt(0)
	v_add_f64 v[168:169], v[168:169], -v[2:3]
	v_add_f64 v[170:171], v[170:171], -v[172:173]
	scratch_store_dwordx4 off, v[168:171], off offset:752
	ds_read2_b64 v[168:171], v248 offset0:96 offset1:97
	s_waitcnt lgkmcnt(0)
	v_mul_f64 v[2:3], v[170:171], v[166:167]
	v_mul_f64 v[172:173], v[168:169], v[166:167]
	v_fma_f64 v[2:3], v[168:169], v[0:1], -v[2:3]
	v_fmac_f64_e32 v[172:173], v[170:171], v[0:1]
	scratch_load_dwordx4 v[168:171], off, off offset:768
	s_waitcnt vmcnt(0)
	v_add_f64 v[168:169], v[168:169], -v[2:3]
	v_add_f64 v[170:171], v[170:171], -v[172:173]
	scratch_store_dwordx4 off, v[168:171], off offset:768
	ds_read2_b64 v[168:171], v248 offset0:98 offset1:99
	s_waitcnt lgkmcnt(0)
	;; [unrolled: 11-line block ×5, first 2 shown]
	v_mul_f64 v[2:3], v[170:171], v[166:167]
	v_fma_f64 v[2:3], v[168:169], v[0:1], -v[2:3]
	v_mul_f64 v[172:173], v[168:169], v[166:167]
	scratch_load_dwordx4 v[166:169], off, off offset:832
	v_fmac_f64_e32 v[172:173], v[170:171], v[0:1]
	s_waitcnt vmcnt(0)
	v_add_f64 v[166:167], v[166:167], -v[2:3]
	v_add_f64 v[168:169], v[168:169], -v[172:173]
	scratch_store_dwordx4 off, v[166:169], off offset:832
	ds_read2_b64 v[168:171], v248 offset0:106 offset1:107
	scratch_load_dwordx2 v[166:167], off, off offset:640
	scratch_load_dwordx2 v[0:1], off, off offset:648
	s_waitcnt vmcnt(0) lgkmcnt(0)
	v_mul_f64 v[2:3], v[170:171], v[0:1]
	v_mul_f64 v[172:173], v[168:169], v[0:1]
	v_fma_f64 v[2:3], v[168:169], v[166:167], -v[2:3]
	v_fmac_f64_e32 v[172:173], v[170:171], v[166:167]
	scratch_load_dwordx4 v[168:171], off, off offset:848
	s_waitcnt vmcnt(0)
	v_add_f64 v[168:169], v[168:169], -v[2:3]
	v_add_f64 v[170:171], v[170:171], -v[172:173]
	scratch_store_dwordx4 off, v[168:171], off offset:848
	ds_read2_b64 v[168:171], v248 offset0:108 offset1:109
	s_waitcnt lgkmcnt(0)
	v_mul_f64 v[2:3], v[170:171], v[0:1]
	v_mul_f64 v[172:173], v[168:169], v[0:1]
	v_fma_f64 v[2:3], v[168:169], v[166:167], -v[2:3]
	v_fmac_f64_e32 v[172:173], v[170:171], v[166:167]
	scratch_load_dwordx4 v[168:171], off, off offset:864
	s_waitcnt vmcnt(0)
	v_add_f64 v[168:169], v[168:169], -v[2:3]
	v_add_f64 v[170:171], v[170:171], -v[172:173]
	scratch_store_dwordx4 off, v[168:171], off offset:864
	ds_read2_b64 v[168:171], v248 offset0:110 offset1:111
	s_waitcnt lgkmcnt(0)
	;; [unrolled: 11-line block ×5, first 2 shown]
	v_mul_f64 v[2:3], v[170:171], v[0:1]
	v_mul_f64 v[0:1], v[168:169], v[0:1]
	v_fma_f64 v[2:3], v[168:169], v[166:167], -v[2:3]
	v_fmac_f64_e32 v[0:1], v[170:171], v[166:167]
	scratch_load_dwordx4 v[166:169], off, off offset:928
	s_waitcnt vmcnt(0)
	v_add_f64 v[168:169], v[168:169], -v[0:1]
	scratch_load_dwordx2 v[0:1], off, off offset:648
	v_add_f64 v[166:167], v[166:167], -v[2:3]
	scratch_store_dwordx4 off, v[166:169], off offset:928
	ds_read2_b64 v[166:169], v248 offset0:118 offset1:119
	s_waitcnt vmcnt(1) lgkmcnt(0)
	v_mul_f64 v[2:3], v[168:169], v[0:1]
	v_mul_f64 v[170:171], v[166:167], v[0:1]
	v_fma_f64 v[2:3], v[166:167], v[164:165], -v[2:3]
	v_fmac_f64_e32 v[170:171], v[168:169], v[164:165]
	scratch_load_dwordx4 v[166:169], off, off offset:944
	s_waitcnt vmcnt(0)
	v_add_f64 v[168:169], v[168:169], -v[170:171]
	ds_read2_b64 v[170:173], v248 offset0:120 offset1:121
	v_add_f64 v[166:167], v[166:167], -v[2:3]
	scratch_store_dwordx4 off, v[166:169], off offset:944
	s_waitcnt lgkmcnt(0)
	v_mul_f64 v[2:3], v[172:173], v[0:1]
	v_fma_f64 v[168:169], v[170:171], v[164:165], -v[2:3]
	v_mul_f64 v[170:171], v[170:171], v[0:1]
	v_fmac_f64_e32 v[170:171], v[172:173], v[164:165]
	scratch_load_dwordx4 v[164:167], off, off offset:960
	s_waitcnt vmcnt(0)
	v_add_f64 v[164:165], v[164:165], -v[168:169]
	v_add_f64 v[166:167], v[166:167], -v[170:171]
	scratch_store_dwordx4 off, v[164:167], off offset:960
.LBB121_470:
	s_or_b64 exec, exec, s[2:3]
	v_cmp_eq_u32_e32 vcc, 41, v252
	s_waitcnt lgkmcnt(0)
	s_barrier
	s_and_saveexec_b64 s[4:5], vcc
	s_cbranch_execz .LBB121_477
; %bb.471:
	scratch_load_dwordx4 v[164:167], off, s28
	s_waitcnt vmcnt(0)
	ds_write2_b64 v253, v[164:165], v[166:167] offset1:1
	scratch_load_dwordx4 v[164:167], off, s27
	s_waitcnt vmcnt(0)
	ds_write2_b64 v248, v[164:165], v[166:167] offset0:84 offset1:85
	scratch_load_dwordx4 v[164:167], off, s26
	s_waitcnt vmcnt(0)
	ds_write2_b64 v248, v[164:165], v[166:167] offset0:86 offset1:87
	;; [unrolled: 3-line block ×19, first 2 shown]
	ds_read2_b64 v[164:167], v253 offset1:1
	s_waitcnt lgkmcnt(0)
	v_cmp_neq_f64_e32 vcc, 0, v[164:165]
	v_cmp_neq_f64_e64 s[2:3], 0, v[166:167]
	s_or_b64 s[2:3], vcc, s[2:3]
	s_and_b64 exec, exec, s[2:3]
	s_cbranch_execz .LBB121_477
; %bb.472:
	v_cmp_ngt_f64_e64 s[2:3], |v[164:165]|, |v[166:167]|
                                        ; implicit-def: $vgpr168_vgpr169
	s_and_saveexec_b64 s[70:71], s[2:3]
	s_xor_b64 s[2:3], exec, s[70:71]
                                        ; implicit-def: $vgpr170_vgpr171
	s_cbranch_execz .LBB121_474
; %bb.473:
	v_div_scale_f64 v[0:1], s[70:71], v[166:167], v[166:167], v[164:165]
	v_rcp_f64_e32 v[2:3], v[0:1]
	v_div_scale_f64 v[168:169], vcc, v[164:165], v[166:167], v[164:165]
	v_fma_f64 v[170:171], -v[0:1], v[2:3], 1.0
	v_fmac_f64_e32 v[2:3], v[2:3], v[170:171]
	v_fma_f64 v[170:171], -v[0:1], v[2:3], 1.0
	v_fmac_f64_e32 v[2:3], v[2:3], v[170:171]
	v_mul_f64 v[170:171], v[168:169], v[2:3]
	v_fma_f64 v[0:1], -v[0:1], v[170:171], v[168:169]
	v_div_fmas_f64 v[0:1], v[0:1], v[2:3], v[170:171]
	v_div_fixup_f64 v[0:1], v[0:1], v[166:167], v[164:165]
	v_fmac_f64_e32 v[166:167], v[164:165], v[0:1]
	v_div_scale_f64 v[2:3], s[70:71], v[166:167], v[166:167], 1.0
	v_rcp_f64_e32 v[164:165], v[2:3]
	s_nop 0
	v_fma_f64 v[168:169], -v[2:3], v[164:165], 1.0
	v_fmac_f64_e32 v[164:165], v[164:165], v[168:169]
	v_fma_f64 v[168:169], -v[2:3], v[164:165], 1.0
	v_fmac_f64_e32 v[164:165], v[164:165], v[168:169]
	v_div_scale_f64 v[168:169], vcc, 1.0, v[166:167], 1.0
	v_mul_f64 v[170:171], v[168:169], v[164:165]
	v_fma_f64 v[2:3], -v[2:3], v[170:171], v[168:169]
	s_nop 1
	v_div_fmas_f64 v[2:3], v[2:3], v[164:165], v[170:171]
	v_div_fixup_f64 v[170:171], v[2:3], v[166:167], 1.0
	v_mul_f64 v[168:169], v[0:1], v[170:171]
	v_xor_b32_e32 v171, 0x80000000, v171
                                        ; implicit-def: $vgpr164_vgpr165
.LBB121_474:
	s_andn2_saveexec_b64 s[2:3], s[2:3]
	s_cbranch_execz .LBB121_476
; %bb.475:
	v_div_scale_f64 v[0:1], s[70:71], v[164:165], v[164:165], v[166:167]
	v_rcp_f64_e32 v[2:3], v[0:1]
	v_div_scale_f64 v[168:169], vcc, v[166:167], v[164:165], v[166:167]
	v_fma_f64 v[170:171], -v[0:1], v[2:3], 1.0
	v_fmac_f64_e32 v[2:3], v[2:3], v[170:171]
	v_fma_f64 v[170:171], -v[0:1], v[2:3], 1.0
	v_fmac_f64_e32 v[2:3], v[2:3], v[170:171]
	v_mul_f64 v[170:171], v[168:169], v[2:3]
	v_fma_f64 v[0:1], -v[0:1], v[170:171], v[168:169]
	v_div_fmas_f64 v[0:1], v[0:1], v[2:3], v[170:171]
	v_div_fixup_f64 v[0:1], v[0:1], v[164:165], v[166:167]
	v_fmac_f64_e32 v[164:165], v[166:167], v[0:1]
	v_div_scale_f64 v[2:3], s[70:71], v[164:165], v[164:165], 1.0
	v_rcp_f64_e32 v[166:167], v[2:3]
	s_nop 0
	v_fma_f64 v[168:169], -v[2:3], v[166:167], 1.0
	v_fmac_f64_e32 v[166:167], v[166:167], v[168:169]
	v_fma_f64 v[168:169], -v[2:3], v[166:167], 1.0
	v_fmac_f64_e32 v[166:167], v[166:167], v[168:169]
	v_div_scale_f64 v[168:169], vcc, 1.0, v[164:165], 1.0
	v_mul_f64 v[170:171], v[168:169], v[166:167]
	v_fma_f64 v[2:3], -v[2:3], v[170:171], v[168:169]
	s_nop 1
	v_div_fmas_f64 v[2:3], v[2:3], v[166:167], v[170:171]
	v_div_fixup_f64 v[168:169], v[2:3], v[164:165], 1.0
	v_mul_f64 v[170:171], v[0:1], -v[168:169]
.LBB121_476:
	s_or_b64 exec, exec, s[2:3]
	ds_write2_b64 v253, v[168:169], v[170:171] offset1:1
.LBB121_477:
	s_or_b64 exec, exec, s[4:5]
	s_waitcnt lgkmcnt(0)
	s_barrier
	ds_read2_b64 v[164:167], v253 offset1:1
	v_cmp_lt_u32_e32 vcc, 41, v252
	s_and_saveexec_b64 s[2:3], vcc
	s_cbranch_execz .LBB121_479
; %bb.478:
	scratch_load_dwordx4 v[168:171], off, off offset:656
	s_waitcnt vmcnt(0) lgkmcnt(0)
	v_mul_f64 v[0:1], v[166:167], v[170:171]
	v_mul_f64 v[174:175], v[164:165], v[170:171]
	v_fma_f64 v[172:173], v[164:165], v[168:169], -v[0:1]
	v_fmac_f64_e32 v[174:175], v[166:167], v[168:169]
	ds_read2_b64 v[168:171], v248 offset0:84 offset1:85
	scratch_store_dwordx4 off, v[172:175], off offset:656
	s_waitcnt lgkmcnt(0)
	v_mul_f64 v[0:1], v[170:171], v[174:175]
	v_mul_f64 v[2:3], v[168:169], v[174:175]
	v_fma_f64 v[0:1], v[168:169], v[172:173], -v[0:1]
	v_fmac_f64_e32 v[2:3], v[170:171], v[172:173]
	scratch_load_dwordx4 v[168:171], off, off offset:672
	s_waitcnt vmcnt(0)
	v_add_f64 v[168:169], v[168:169], -v[0:1]
	v_add_f64 v[170:171], v[170:171], -v[2:3]
	scratch_store_dwordx4 off, v[168:171], off offset:672
	ds_read2_b64 v[168:171], v248 offset0:86 offset1:87
	s_waitcnt lgkmcnt(0)
	v_mul_f64 v[0:1], v[170:171], v[174:175]
	v_mul_f64 v[2:3], v[168:169], v[174:175]
	v_fma_f64 v[0:1], v[168:169], v[172:173], -v[0:1]
	v_fmac_f64_e32 v[2:3], v[170:171], v[172:173]
	scratch_load_dwordx4 v[168:171], off, off offset:688
	s_waitcnt vmcnt(0)
	v_add_f64 v[168:169], v[168:169], -v[0:1]
	v_add_f64 v[170:171], v[170:171], -v[2:3]
	scratch_store_dwordx4 off, v[168:171], off offset:688
	ds_read2_b64 v[168:171], v248 offset0:88 offset1:89
	;; [unrolled: 11-line block ×5, first 2 shown]
	s_waitcnt lgkmcnt(0)
	v_mul_f64 v[0:1], v[170:171], v[174:175]
	v_mul_f64 v[2:3], v[168:169], v[174:175]
	v_fma_f64 v[0:1], v[168:169], v[172:173], -v[0:1]
	v_fmac_f64_e32 v[2:3], v[170:171], v[172:173]
	scratch_load_dwordx4 v[168:171], off, off offset:752
	ds_read2_b64 v[172:175], v248 offset0:96 offset1:97
	s_waitcnt vmcnt(0)
	v_add_f64 v[168:169], v[168:169], -v[0:1]
	v_add_f64 v[170:171], v[170:171], -v[2:3]
	scratch_store_dwordx4 off, v[168:171], off offset:752
	scratch_load_dwordx2 v[0:1], off, off offset:656
	s_nop 0
	scratch_load_dwordx4 v[168:171], off, off offset:656
	s_waitcnt vmcnt(0) lgkmcnt(0)
	v_mul_f64 v[2:3], v[174:175], v[170:171]
	v_mul_f64 v[176:177], v[172:173], v[170:171]
	v_fma_f64 v[2:3], v[172:173], v[0:1], -v[2:3]
	v_fmac_f64_e32 v[176:177], v[174:175], v[0:1]
	scratch_load_dwordx4 v[172:175], off, off offset:768
	s_waitcnt vmcnt(0)
	v_add_f64 v[172:173], v[172:173], -v[2:3]
	v_add_f64 v[174:175], v[174:175], -v[176:177]
	scratch_store_dwordx4 off, v[172:175], off offset:768
	ds_read2_b64 v[172:175], v248 offset0:98 offset1:99
	s_waitcnt lgkmcnt(0)
	v_mul_f64 v[2:3], v[174:175], v[170:171]
	v_mul_f64 v[176:177], v[172:173], v[170:171]
	v_fma_f64 v[2:3], v[172:173], v[0:1], -v[2:3]
	v_fmac_f64_e32 v[176:177], v[174:175], v[0:1]
	scratch_load_dwordx4 v[172:175], off, off offset:784
	s_waitcnt vmcnt(0)
	v_add_f64 v[172:173], v[172:173], -v[2:3]
	v_add_f64 v[174:175], v[174:175], -v[176:177]
	scratch_store_dwordx4 off, v[172:175], off offset:784
	ds_read2_b64 v[172:175], v248 offset0:100 offset1:101
	s_waitcnt lgkmcnt(0)
	;; [unrolled: 11-line block ×5, first 2 shown]
	v_mul_f64 v[2:3], v[174:175], v[170:171]
	v_fma_f64 v[2:3], v[172:173], v[0:1], -v[2:3]
	v_mul_f64 v[176:177], v[172:173], v[170:171]
	scratch_load_dwordx4 v[170:173], off, off offset:848
	v_fmac_f64_e32 v[176:177], v[174:175], v[0:1]
	s_waitcnt vmcnt(0)
	v_add_f64 v[170:171], v[170:171], -v[2:3]
	v_add_f64 v[172:173], v[172:173], -v[176:177]
	scratch_store_dwordx4 off, v[170:173], off offset:848
	ds_read2_b64 v[174:177], v248 offset0:108 offset1:109
	scratch_load_dwordx2 v[170:171], off, off offset:656
	scratch_load_dwordx2 v[172:173], off, off offset:664
	s_waitcnt vmcnt(0) lgkmcnt(0)
	v_mul_f64 v[0:1], v[176:177], v[172:173]
	v_mul_f64 v[2:3], v[174:175], v[172:173]
	v_fma_f64 v[0:1], v[174:175], v[170:171], -v[0:1]
	v_fmac_f64_e32 v[2:3], v[176:177], v[170:171]
	scratch_load_dwordx4 v[174:177], off, off offset:864
	s_waitcnt vmcnt(0)
	v_add_f64 v[174:175], v[174:175], -v[0:1]
	v_add_f64 v[176:177], v[176:177], -v[2:3]
	scratch_store_dwordx4 off, v[174:177], off offset:864
	ds_read2_b64 v[174:177], v248 offset0:110 offset1:111
	s_waitcnt lgkmcnt(0)
	v_mul_f64 v[0:1], v[176:177], v[172:173]
	v_mul_f64 v[2:3], v[174:175], v[172:173]
	v_fma_f64 v[0:1], v[174:175], v[170:171], -v[0:1]
	v_fmac_f64_e32 v[2:3], v[176:177], v[170:171]
	scratch_load_dwordx4 v[174:177], off, off offset:880
	s_waitcnt vmcnt(0)
	v_add_f64 v[174:175], v[174:175], -v[0:1]
	v_add_f64 v[176:177], v[176:177], -v[2:3]
	scratch_store_dwordx4 off, v[174:177], off offset:880
	ds_read2_b64 v[174:177], v248 offset0:112 offset1:113
	s_waitcnt lgkmcnt(0)
	;; [unrolled: 11-line block ×5, first 2 shown]
	v_mul_f64 v[0:1], v[176:177], v[172:173]
	v_mul_f64 v[2:3], v[174:175], v[172:173]
	v_fma_f64 v[0:1], v[174:175], v[170:171], -v[0:1]
	v_fmac_f64_e32 v[2:3], v[176:177], v[170:171]
	scratch_load_dwordx4 v[170:173], off, off offset:944
	ds_read2_b64 v[174:177], v248 offset0:120 offset1:121
	s_waitcnt vmcnt(0)
	v_add_f64 v[170:171], v[170:171], -v[0:1]
	scratch_load_dwordx2 v[0:1], off, off offset:664
	v_add_f64 v[172:173], v[172:173], -v[2:3]
	scratch_store_dwordx4 off, v[170:173], off offset:944
	s_waitcnt vmcnt(1) lgkmcnt(0)
	v_mul_f64 v[2:3], v[176:177], v[0:1]
	v_fma_f64 v[172:173], v[174:175], v[168:169], -v[2:3]
	v_mul_f64 v[174:175], v[174:175], v[0:1]
	v_fmac_f64_e32 v[174:175], v[176:177], v[168:169]
	scratch_load_dwordx4 v[168:171], off, off offset:960
	s_waitcnt vmcnt(0)
	v_add_f64 v[168:169], v[168:169], -v[172:173]
	v_add_f64 v[170:171], v[170:171], -v[174:175]
	scratch_store_dwordx4 off, v[168:171], off offset:960
.LBB121_479:
	s_or_b64 exec, exec, s[2:3]
	v_cmp_eq_u32_e32 vcc, 42, v252
	s_waitcnt lgkmcnt(0)
	s_barrier
	s_and_saveexec_b64 s[4:5], vcc
	s_cbranch_execz .LBB121_486
; %bb.480:
	scratch_load_dwordx4 v[168:171], off, s27
	s_waitcnt vmcnt(0)
	ds_write2_b64 v253, v[168:169], v[170:171] offset1:1
	scratch_load_dwordx4 v[168:171], off, s26
	s_waitcnt vmcnt(0)
	ds_write2_b64 v248, v[168:169], v[170:171] offset0:86 offset1:87
	scratch_load_dwordx4 v[168:171], off, s25
	s_waitcnt vmcnt(0)
	ds_write2_b64 v248, v[168:169], v[170:171] offset0:88 offset1:89
	;; [unrolled: 3-line block ×18, first 2 shown]
	ds_read2_b64 v[168:171], v253 offset1:1
	s_waitcnt lgkmcnt(0)
	v_cmp_neq_f64_e32 vcc, 0, v[168:169]
	v_cmp_neq_f64_e64 s[2:3], 0, v[170:171]
	s_or_b64 s[2:3], vcc, s[2:3]
	s_and_b64 exec, exec, s[2:3]
	s_cbranch_execz .LBB121_486
; %bb.481:
	v_cmp_ngt_f64_e64 s[2:3], |v[168:169]|, |v[170:171]|
                                        ; implicit-def: $vgpr172_vgpr173
	s_and_saveexec_b64 s[70:71], s[2:3]
	s_xor_b64 s[2:3], exec, s[70:71]
                                        ; implicit-def: $vgpr174_vgpr175
	s_cbranch_execz .LBB121_483
; %bb.482:
	v_div_scale_f64 v[0:1], s[70:71], v[170:171], v[170:171], v[168:169]
	v_rcp_f64_e32 v[2:3], v[0:1]
	v_div_scale_f64 v[172:173], vcc, v[168:169], v[170:171], v[168:169]
	v_fma_f64 v[174:175], -v[0:1], v[2:3], 1.0
	v_fmac_f64_e32 v[2:3], v[2:3], v[174:175]
	v_fma_f64 v[174:175], -v[0:1], v[2:3], 1.0
	v_fmac_f64_e32 v[2:3], v[2:3], v[174:175]
	v_mul_f64 v[174:175], v[172:173], v[2:3]
	v_fma_f64 v[0:1], -v[0:1], v[174:175], v[172:173]
	v_div_fmas_f64 v[0:1], v[0:1], v[2:3], v[174:175]
	v_div_fixup_f64 v[0:1], v[0:1], v[170:171], v[168:169]
	v_fmac_f64_e32 v[170:171], v[168:169], v[0:1]
	v_div_scale_f64 v[2:3], s[70:71], v[170:171], v[170:171], 1.0
	v_rcp_f64_e32 v[168:169], v[2:3]
	s_nop 0
	v_fma_f64 v[172:173], -v[2:3], v[168:169], 1.0
	v_fmac_f64_e32 v[168:169], v[168:169], v[172:173]
	v_fma_f64 v[172:173], -v[2:3], v[168:169], 1.0
	v_fmac_f64_e32 v[168:169], v[168:169], v[172:173]
	v_div_scale_f64 v[172:173], vcc, 1.0, v[170:171], 1.0
	v_mul_f64 v[174:175], v[172:173], v[168:169]
	v_fma_f64 v[2:3], -v[2:3], v[174:175], v[172:173]
	s_nop 1
	v_div_fmas_f64 v[2:3], v[2:3], v[168:169], v[174:175]
	v_div_fixup_f64 v[174:175], v[2:3], v[170:171], 1.0
	v_mul_f64 v[172:173], v[0:1], v[174:175]
	v_xor_b32_e32 v175, 0x80000000, v175
                                        ; implicit-def: $vgpr168_vgpr169
.LBB121_483:
	s_andn2_saveexec_b64 s[2:3], s[2:3]
	s_cbranch_execz .LBB121_485
; %bb.484:
	v_div_scale_f64 v[0:1], s[70:71], v[168:169], v[168:169], v[170:171]
	v_rcp_f64_e32 v[2:3], v[0:1]
	v_div_scale_f64 v[172:173], vcc, v[170:171], v[168:169], v[170:171]
	v_fma_f64 v[174:175], -v[0:1], v[2:3], 1.0
	v_fmac_f64_e32 v[2:3], v[2:3], v[174:175]
	v_fma_f64 v[174:175], -v[0:1], v[2:3], 1.0
	v_fmac_f64_e32 v[2:3], v[2:3], v[174:175]
	v_mul_f64 v[174:175], v[172:173], v[2:3]
	v_fma_f64 v[0:1], -v[0:1], v[174:175], v[172:173]
	v_div_fmas_f64 v[0:1], v[0:1], v[2:3], v[174:175]
	v_div_fixup_f64 v[0:1], v[0:1], v[168:169], v[170:171]
	v_fmac_f64_e32 v[168:169], v[170:171], v[0:1]
	v_div_scale_f64 v[2:3], s[70:71], v[168:169], v[168:169], 1.0
	v_rcp_f64_e32 v[170:171], v[2:3]
	s_nop 0
	v_fma_f64 v[172:173], -v[2:3], v[170:171], 1.0
	v_fmac_f64_e32 v[170:171], v[170:171], v[172:173]
	v_fma_f64 v[172:173], -v[2:3], v[170:171], 1.0
	v_fmac_f64_e32 v[170:171], v[170:171], v[172:173]
	v_div_scale_f64 v[172:173], vcc, 1.0, v[168:169], 1.0
	v_mul_f64 v[174:175], v[172:173], v[170:171]
	v_fma_f64 v[2:3], -v[2:3], v[174:175], v[172:173]
	s_nop 1
	v_div_fmas_f64 v[2:3], v[2:3], v[170:171], v[174:175]
	v_div_fixup_f64 v[172:173], v[2:3], v[168:169], 1.0
	v_mul_f64 v[174:175], v[0:1], -v[172:173]
.LBB121_485:
	s_or_b64 exec, exec, s[2:3]
	ds_write2_b64 v253, v[172:173], v[174:175] offset1:1
.LBB121_486:
	s_or_b64 exec, exec, s[4:5]
	s_waitcnt lgkmcnt(0)
	s_barrier
	ds_read2_b64 v[168:171], v253 offset1:1
	v_cmp_lt_u32_e32 vcc, 42, v252
	s_and_saveexec_b64 s[2:3], vcc
	s_cbranch_execz .LBB121_488
; %bb.487:
	scratch_load_dwordx4 v[172:175], off, off offset:672
	s_waitcnt vmcnt(0) lgkmcnt(0)
	v_mul_f64 v[0:1], v[170:171], v[174:175]
	v_mul_f64 v[178:179], v[168:169], v[174:175]
	v_fma_f64 v[176:177], v[168:169], v[172:173], -v[0:1]
	v_fmac_f64_e32 v[178:179], v[170:171], v[172:173]
	ds_read2_b64 v[172:175], v248 offset0:86 offset1:87
	scratch_store_dwordx4 off, v[176:179], off offset:672
	s_waitcnt lgkmcnt(0)
	v_mul_f64 v[0:1], v[174:175], v[178:179]
	v_mul_f64 v[2:3], v[172:173], v[178:179]
	v_fma_f64 v[0:1], v[172:173], v[176:177], -v[0:1]
	v_fmac_f64_e32 v[2:3], v[174:175], v[176:177]
	scratch_load_dwordx4 v[172:175], off, off offset:688
	s_waitcnt vmcnt(0)
	v_add_f64 v[172:173], v[172:173], -v[0:1]
	v_add_f64 v[174:175], v[174:175], -v[2:3]
	scratch_store_dwordx4 off, v[172:175], off offset:688
	ds_read2_b64 v[172:175], v248 offset0:88 offset1:89
	s_waitcnt lgkmcnt(0)
	v_mul_f64 v[0:1], v[174:175], v[178:179]
	v_mul_f64 v[2:3], v[172:173], v[178:179]
	v_fma_f64 v[0:1], v[172:173], v[176:177], -v[0:1]
	v_fmac_f64_e32 v[2:3], v[174:175], v[176:177]
	scratch_load_dwordx4 v[172:175], off, off offset:704
	s_waitcnt vmcnt(0)
	v_add_f64 v[172:173], v[172:173], -v[0:1]
	v_add_f64 v[174:175], v[174:175], -v[2:3]
	scratch_store_dwordx4 off, v[172:175], off offset:704
	ds_read2_b64 v[172:175], v248 offset0:90 offset1:91
	;; [unrolled: 11-line block ×5, first 2 shown]
	s_waitcnt lgkmcnt(0)
	v_mul_f64 v[0:1], v[174:175], v[178:179]
	v_mul_f64 v[2:3], v[172:173], v[178:179]
	v_fma_f64 v[0:1], v[172:173], v[176:177], -v[0:1]
	v_fmac_f64_e32 v[2:3], v[174:175], v[176:177]
	scratch_load_dwordx4 v[172:175], off, off offset:768
	ds_read2_b64 v[176:179], v248 offset0:98 offset1:99
	s_waitcnt vmcnt(0)
	v_add_f64 v[172:173], v[172:173], -v[0:1]
	v_add_f64 v[174:175], v[174:175], -v[2:3]
	scratch_store_dwordx4 off, v[172:175], off offset:768
	scratch_load_dwordx2 v[0:1], off, off offset:672
	s_nop 0
	scratch_load_dwordx4 v[172:175], off, off offset:672
	s_waitcnt vmcnt(0) lgkmcnt(0)
	v_mul_f64 v[2:3], v[178:179], v[174:175]
	v_mul_f64 v[180:181], v[176:177], v[174:175]
	v_fma_f64 v[2:3], v[176:177], v[0:1], -v[2:3]
	v_fmac_f64_e32 v[180:181], v[178:179], v[0:1]
	scratch_load_dwordx4 v[176:179], off, off offset:784
	s_waitcnt vmcnt(0)
	v_add_f64 v[176:177], v[176:177], -v[2:3]
	v_add_f64 v[178:179], v[178:179], -v[180:181]
	scratch_store_dwordx4 off, v[176:179], off offset:784
	ds_read2_b64 v[176:179], v248 offset0:100 offset1:101
	s_waitcnt lgkmcnt(0)
	v_mul_f64 v[2:3], v[178:179], v[174:175]
	v_mul_f64 v[180:181], v[176:177], v[174:175]
	v_fma_f64 v[2:3], v[176:177], v[0:1], -v[2:3]
	v_fmac_f64_e32 v[180:181], v[178:179], v[0:1]
	scratch_load_dwordx4 v[176:179], off, off offset:800
	s_waitcnt vmcnt(0)
	v_add_f64 v[176:177], v[176:177], -v[2:3]
	v_add_f64 v[178:179], v[178:179], -v[180:181]
	scratch_store_dwordx4 off, v[176:179], off offset:800
	ds_read2_b64 v[176:179], v248 offset0:102 offset1:103
	s_waitcnt lgkmcnt(0)
	;; [unrolled: 11-line block ×5, first 2 shown]
	v_mul_f64 v[2:3], v[178:179], v[174:175]
	v_fma_f64 v[2:3], v[176:177], v[0:1], -v[2:3]
	v_mul_f64 v[180:181], v[176:177], v[174:175]
	scratch_load_dwordx4 v[174:177], off, off offset:864
	v_fmac_f64_e32 v[180:181], v[178:179], v[0:1]
	scratch_load_dwordx2 v[178:179], off, off offset:680
	s_waitcnt vmcnt(1)
	v_add_f64 v[174:175], v[174:175], -v[2:3]
	v_add_f64 v[176:177], v[176:177], -v[180:181]
	scratch_store_dwordx4 off, v[174:177], off offset:864
	ds_read2_b64 v[174:177], v248 offset0:110 offset1:111
	ds_read2_b64 v[180:183], v248 offset0:120 offset1:121
	s_waitcnt vmcnt(1) lgkmcnt(1)
	v_mul_f64 v[0:1], v[176:177], v[178:179]
	v_mul_f64 v[2:3], v[174:175], v[178:179]
	v_fma_f64 v[0:1], v[174:175], v[172:173], -v[0:1]
	v_fmac_f64_e32 v[2:3], v[176:177], v[172:173]
	scratch_load_dwordx4 v[174:177], off, off offset:880
	s_waitcnt vmcnt(0)
	v_add_f64 v[174:175], v[174:175], -v[0:1]
	v_add_f64 v[176:177], v[176:177], -v[2:3]
	scratch_store_dwordx4 off, v[174:177], off offset:880
	ds_read2_b64 v[174:177], v248 offset0:112 offset1:113
	s_waitcnt lgkmcnt(0)
	v_mul_f64 v[0:1], v[176:177], v[178:179]
	v_mul_f64 v[2:3], v[174:175], v[178:179]
	v_fma_f64 v[0:1], v[174:175], v[172:173], -v[0:1]
	v_fmac_f64_e32 v[2:3], v[176:177], v[172:173]
	scratch_load_dwordx4 v[174:177], off, off offset:896
	s_waitcnt vmcnt(0)
	v_add_f64 v[174:175], v[174:175], -v[0:1]
	v_add_f64 v[176:177], v[176:177], -v[2:3]
	scratch_store_dwordx4 off, v[174:177], off offset:896
	ds_read2_b64 v[174:177], v248 offset0:114 offset1:115
	s_waitcnt lgkmcnt(0)
	;; [unrolled: 11-line block ×4, first 2 shown]
	v_mul_f64 v[0:1], v[176:177], v[178:179]
	v_mul_f64 v[2:3], v[174:175], v[178:179]
	v_fma_f64 v[0:1], v[174:175], v[172:173], -v[0:1]
	v_fmac_f64_e32 v[2:3], v[176:177], v[172:173]
	scratch_load_dwordx4 v[174:177], off, off offset:944
	s_waitcnt vmcnt(0)
	v_add_f64 v[174:175], v[174:175], -v[0:1]
	v_add_f64 v[176:177], v[176:177], -v[2:3]
	v_mul_f64 v[0:1], v[182:183], v[178:179]
	v_mul_f64 v[178:179], v[180:181], v[178:179]
	scratch_store_dwordx4 off, v[174:177], off offset:944
	v_fmac_f64_e32 v[178:179], v[182:183], v[172:173]
	s_nop 0
	v_fma_f64 v[176:177], v[180:181], v[172:173], -v[0:1]
	scratch_load_dwordx4 v[172:175], off, off offset:960
	s_waitcnt vmcnt(0)
	v_add_f64 v[172:173], v[172:173], -v[176:177]
	v_add_f64 v[174:175], v[174:175], -v[178:179]
	scratch_store_dwordx4 off, v[172:175], off offset:960
.LBB121_488:
	s_or_b64 exec, exec, s[2:3]
	v_cmp_eq_u32_e32 vcc, 43, v252
	s_waitcnt lgkmcnt(0)
	s_barrier
	s_and_saveexec_b64 s[4:5], vcc
	s_cbranch_execz .LBB121_495
; %bb.489:
	scratch_load_dwordx4 v[172:175], off, s26
	s_waitcnt vmcnt(0)
	ds_write2_b64 v253, v[172:173], v[174:175] offset1:1
	scratch_load_dwordx4 v[172:175], off, s25
	s_waitcnt vmcnt(0)
	ds_write2_b64 v248, v[172:173], v[174:175] offset0:88 offset1:89
	scratch_load_dwordx4 v[172:175], off, s24
	s_waitcnt vmcnt(0)
	ds_write2_b64 v248, v[172:173], v[174:175] offset0:90 offset1:91
	;; [unrolled: 3-line block ×17, first 2 shown]
	ds_read2_b64 v[172:175], v253 offset1:1
	s_waitcnt lgkmcnt(0)
	v_cmp_neq_f64_e32 vcc, 0, v[172:173]
	v_cmp_neq_f64_e64 s[2:3], 0, v[174:175]
	s_or_b64 s[2:3], vcc, s[2:3]
	s_and_b64 exec, exec, s[2:3]
	s_cbranch_execz .LBB121_495
; %bb.490:
	v_cmp_ngt_f64_e64 s[2:3], |v[172:173]|, |v[174:175]|
                                        ; implicit-def: $vgpr176_vgpr177
	s_and_saveexec_b64 s[70:71], s[2:3]
	s_xor_b64 s[2:3], exec, s[70:71]
                                        ; implicit-def: $vgpr178_vgpr179
	s_cbranch_execz .LBB121_492
; %bb.491:
	v_div_scale_f64 v[0:1], s[70:71], v[174:175], v[174:175], v[172:173]
	v_rcp_f64_e32 v[2:3], v[0:1]
	v_div_scale_f64 v[176:177], vcc, v[172:173], v[174:175], v[172:173]
	v_fma_f64 v[178:179], -v[0:1], v[2:3], 1.0
	v_fmac_f64_e32 v[2:3], v[2:3], v[178:179]
	v_fma_f64 v[178:179], -v[0:1], v[2:3], 1.0
	v_fmac_f64_e32 v[2:3], v[2:3], v[178:179]
	v_mul_f64 v[178:179], v[176:177], v[2:3]
	v_fma_f64 v[0:1], -v[0:1], v[178:179], v[176:177]
	v_div_fmas_f64 v[0:1], v[0:1], v[2:3], v[178:179]
	v_div_fixup_f64 v[0:1], v[0:1], v[174:175], v[172:173]
	v_fmac_f64_e32 v[174:175], v[172:173], v[0:1]
	v_div_scale_f64 v[2:3], s[70:71], v[174:175], v[174:175], 1.0
	v_rcp_f64_e32 v[172:173], v[2:3]
	s_nop 0
	v_fma_f64 v[176:177], -v[2:3], v[172:173], 1.0
	v_fmac_f64_e32 v[172:173], v[172:173], v[176:177]
	v_fma_f64 v[176:177], -v[2:3], v[172:173], 1.0
	v_fmac_f64_e32 v[172:173], v[172:173], v[176:177]
	v_div_scale_f64 v[176:177], vcc, 1.0, v[174:175], 1.0
	v_mul_f64 v[178:179], v[176:177], v[172:173]
	v_fma_f64 v[2:3], -v[2:3], v[178:179], v[176:177]
	s_nop 1
	v_div_fmas_f64 v[2:3], v[2:3], v[172:173], v[178:179]
	v_div_fixup_f64 v[178:179], v[2:3], v[174:175], 1.0
	v_mul_f64 v[176:177], v[0:1], v[178:179]
	v_xor_b32_e32 v179, 0x80000000, v179
                                        ; implicit-def: $vgpr172_vgpr173
.LBB121_492:
	s_andn2_saveexec_b64 s[2:3], s[2:3]
	s_cbranch_execz .LBB121_494
; %bb.493:
	v_div_scale_f64 v[0:1], s[70:71], v[172:173], v[172:173], v[174:175]
	v_rcp_f64_e32 v[2:3], v[0:1]
	v_div_scale_f64 v[176:177], vcc, v[174:175], v[172:173], v[174:175]
	v_fma_f64 v[178:179], -v[0:1], v[2:3], 1.0
	v_fmac_f64_e32 v[2:3], v[2:3], v[178:179]
	v_fma_f64 v[178:179], -v[0:1], v[2:3], 1.0
	v_fmac_f64_e32 v[2:3], v[2:3], v[178:179]
	v_mul_f64 v[178:179], v[176:177], v[2:3]
	v_fma_f64 v[0:1], -v[0:1], v[178:179], v[176:177]
	v_div_fmas_f64 v[0:1], v[0:1], v[2:3], v[178:179]
	v_div_fixup_f64 v[0:1], v[0:1], v[172:173], v[174:175]
	v_fmac_f64_e32 v[172:173], v[174:175], v[0:1]
	v_div_scale_f64 v[2:3], s[70:71], v[172:173], v[172:173], 1.0
	v_rcp_f64_e32 v[174:175], v[2:3]
	s_nop 0
	v_fma_f64 v[176:177], -v[2:3], v[174:175], 1.0
	v_fmac_f64_e32 v[174:175], v[174:175], v[176:177]
	v_fma_f64 v[176:177], -v[2:3], v[174:175], 1.0
	v_fmac_f64_e32 v[174:175], v[174:175], v[176:177]
	v_div_scale_f64 v[176:177], vcc, 1.0, v[172:173], 1.0
	v_mul_f64 v[178:179], v[176:177], v[174:175]
	v_fma_f64 v[2:3], -v[2:3], v[178:179], v[176:177]
	s_nop 1
	v_div_fmas_f64 v[2:3], v[2:3], v[174:175], v[178:179]
	v_div_fixup_f64 v[176:177], v[2:3], v[172:173], 1.0
	v_mul_f64 v[178:179], v[0:1], -v[176:177]
.LBB121_494:
	s_or_b64 exec, exec, s[2:3]
	ds_write2_b64 v253, v[176:177], v[178:179] offset1:1
.LBB121_495:
	s_or_b64 exec, exec, s[4:5]
	s_waitcnt lgkmcnt(0)
	s_barrier
	ds_read2_b64 v[172:175], v253 offset1:1
	v_cmp_lt_u32_e32 vcc, 43, v252
	s_and_saveexec_b64 s[2:3], vcc
	s_cbranch_execz .LBB121_497
; %bb.496:
	scratch_load_dwordx4 v[176:179], off, off offset:688
	s_waitcnt vmcnt(0) lgkmcnt(0)
	v_mul_f64 v[0:1], v[174:175], v[178:179]
	v_mul_f64 v[182:183], v[172:173], v[178:179]
	v_fma_f64 v[180:181], v[172:173], v[176:177], -v[0:1]
	v_fmac_f64_e32 v[182:183], v[174:175], v[176:177]
	ds_read2_b64 v[176:179], v248 offset0:88 offset1:89
	scratch_store_dwordx4 off, v[180:183], off offset:688
	s_waitcnt lgkmcnt(0)
	v_mul_f64 v[0:1], v[178:179], v[182:183]
	v_mul_f64 v[2:3], v[176:177], v[182:183]
	v_fma_f64 v[0:1], v[176:177], v[180:181], -v[0:1]
	v_fmac_f64_e32 v[2:3], v[178:179], v[180:181]
	scratch_load_dwordx4 v[176:179], off, off offset:704
	s_waitcnt vmcnt(0)
	v_add_f64 v[176:177], v[176:177], -v[0:1]
	v_add_f64 v[178:179], v[178:179], -v[2:3]
	scratch_store_dwordx4 off, v[176:179], off offset:704
	ds_read2_b64 v[176:179], v248 offset0:90 offset1:91
	s_waitcnt lgkmcnt(0)
	v_mul_f64 v[0:1], v[178:179], v[182:183]
	v_mul_f64 v[2:3], v[176:177], v[182:183]
	v_fma_f64 v[0:1], v[176:177], v[180:181], -v[0:1]
	v_fmac_f64_e32 v[2:3], v[178:179], v[180:181]
	scratch_load_dwordx4 v[176:179], off, off offset:720
	s_waitcnt vmcnt(0)
	v_add_f64 v[176:177], v[176:177], -v[0:1]
	v_add_f64 v[178:179], v[178:179], -v[2:3]
	scratch_store_dwordx4 off, v[176:179], off offset:720
	ds_read2_b64 v[176:179], v248 offset0:92 offset1:93
	;; [unrolled: 11-line block ×5, first 2 shown]
	s_waitcnt lgkmcnt(0)
	v_mul_f64 v[0:1], v[178:179], v[182:183]
	v_mul_f64 v[2:3], v[176:177], v[182:183]
	v_fma_f64 v[0:1], v[176:177], v[180:181], -v[0:1]
	v_fmac_f64_e32 v[2:3], v[178:179], v[180:181]
	scratch_load_dwordx4 v[176:179], off, off offset:784
	ds_read2_b64 v[180:183], v248 offset0:100 offset1:101
	s_waitcnt vmcnt(0)
	v_add_f64 v[176:177], v[176:177], -v[0:1]
	v_add_f64 v[178:179], v[178:179], -v[2:3]
	scratch_store_dwordx4 off, v[176:179], off offset:784
	scratch_load_dwordx2 v[0:1], off, off offset:688
	s_nop 0
	scratch_load_dwordx4 v[176:179], off, off offset:688
	s_waitcnt vmcnt(0) lgkmcnt(0)
	v_mul_f64 v[2:3], v[182:183], v[178:179]
	v_mul_f64 v[184:185], v[180:181], v[178:179]
	v_fma_f64 v[2:3], v[180:181], v[0:1], -v[2:3]
	v_fmac_f64_e32 v[184:185], v[182:183], v[0:1]
	scratch_load_dwordx4 v[180:183], off, off offset:800
	s_waitcnt vmcnt(0)
	v_add_f64 v[180:181], v[180:181], -v[2:3]
	v_add_f64 v[182:183], v[182:183], -v[184:185]
	scratch_store_dwordx4 off, v[180:183], off offset:800
	ds_read2_b64 v[180:183], v248 offset0:102 offset1:103
	s_waitcnt lgkmcnt(0)
	v_mul_f64 v[2:3], v[182:183], v[178:179]
	v_mul_f64 v[184:185], v[180:181], v[178:179]
	v_fma_f64 v[2:3], v[180:181], v[0:1], -v[2:3]
	v_fmac_f64_e32 v[184:185], v[182:183], v[0:1]
	scratch_load_dwordx4 v[180:183], off, off offset:816
	s_waitcnt vmcnt(0)
	v_add_f64 v[180:181], v[180:181], -v[2:3]
	v_add_f64 v[182:183], v[182:183], -v[184:185]
	scratch_store_dwordx4 off, v[180:183], off offset:816
	ds_read2_b64 v[180:183], v248 offset0:104 offset1:105
	s_waitcnt lgkmcnt(0)
	;; [unrolled: 11-line block ×5, first 2 shown]
	v_mul_f64 v[2:3], v[182:183], v[178:179]
	v_fma_f64 v[2:3], v[180:181], v[0:1], -v[2:3]
	v_mul_f64 v[184:185], v[180:181], v[178:179]
	scratch_load_dwordx4 v[178:181], off, off offset:880
	v_fmac_f64_e32 v[184:185], v[182:183], v[0:1]
	scratch_load_dwordx2 v[0:1], off, off offset:696
	s_waitcnt vmcnt(1)
	v_add_f64 v[178:179], v[178:179], -v[2:3]
	v_add_f64 v[180:181], v[180:181], -v[184:185]
	scratch_store_dwordx4 off, v[178:181], off offset:880
	ds_read2_b64 v[178:181], v248 offset0:112 offset1:113
	s_waitcnt vmcnt(1) lgkmcnt(0)
	v_mul_f64 v[2:3], v[180:181], v[0:1]
	v_mul_f64 v[182:183], v[178:179], v[0:1]
	v_fma_f64 v[2:3], v[178:179], v[176:177], -v[2:3]
	v_fmac_f64_e32 v[182:183], v[180:181], v[176:177]
	scratch_load_dwordx4 v[178:181], off, off offset:896
	s_waitcnt vmcnt(0)
	v_add_f64 v[178:179], v[178:179], -v[2:3]
	v_add_f64 v[180:181], v[180:181], -v[182:183]
	scratch_store_dwordx4 off, v[178:181], off offset:896
	ds_read2_b64 v[178:181], v248 offset0:114 offset1:115
	s_waitcnt lgkmcnt(0)
	v_mul_f64 v[2:3], v[180:181], v[0:1]
	v_mul_f64 v[182:183], v[178:179], v[0:1]
	v_fma_f64 v[2:3], v[178:179], v[176:177], -v[2:3]
	v_fmac_f64_e32 v[182:183], v[180:181], v[176:177]
	scratch_load_dwordx4 v[178:181], off, off offset:912
	s_waitcnt vmcnt(0)
	v_add_f64 v[178:179], v[178:179], -v[2:3]
	v_add_f64 v[180:181], v[180:181], -v[182:183]
	scratch_store_dwordx4 off, v[178:181], off offset:912
	ds_read2_b64 v[178:181], v248 offset0:116 offset1:117
	s_waitcnt lgkmcnt(0)
	;; [unrolled: 11-line block ×3, first 2 shown]
	v_mul_f64 v[2:3], v[180:181], v[0:1]
	v_mul_f64 v[182:183], v[178:179], v[0:1]
	v_fma_f64 v[2:3], v[178:179], v[176:177], -v[2:3]
	v_fmac_f64_e32 v[182:183], v[180:181], v[176:177]
	scratch_load_dwordx4 v[178:181], off, off offset:944
	s_waitcnt vmcnt(0)
	v_add_f64 v[180:181], v[180:181], -v[182:183]
	ds_read2_b64 v[182:185], v248 offset0:120 offset1:121
	v_add_f64 v[178:179], v[178:179], -v[2:3]
	scratch_store_dwordx4 off, v[178:181], off offset:944
	s_waitcnt lgkmcnt(0)
	v_mul_f64 v[2:3], v[184:185], v[0:1]
	v_fma_f64 v[180:181], v[182:183], v[176:177], -v[2:3]
	v_mul_f64 v[182:183], v[182:183], v[0:1]
	v_fmac_f64_e32 v[182:183], v[184:185], v[176:177]
	scratch_load_dwordx4 v[176:179], off, off offset:960
	s_waitcnt vmcnt(0)
	v_add_f64 v[176:177], v[176:177], -v[180:181]
	v_add_f64 v[178:179], v[178:179], -v[182:183]
	scratch_store_dwordx4 off, v[176:179], off offset:960
.LBB121_497:
	s_or_b64 exec, exec, s[2:3]
	v_cmp_eq_u32_e32 vcc, 44, v252
	s_waitcnt lgkmcnt(0)
	s_barrier
	s_and_saveexec_b64 s[4:5], vcc
	s_cbranch_execz .LBB121_504
; %bb.498:
	scratch_load_dwordx4 v[176:179], off, s25
	s_waitcnt vmcnt(0)
	ds_write2_b64 v253, v[176:177], v[178:179] offset1:1
	scratch_load_dwordx4 v[176:179], off, s24
	s_waitcnt vmcnt(0)
	ds_write2_b64 v248, v[176:177], v[178:179] offset0:90 offset1:91
	scratch_load_dwordx4 v[176:179], off, s23
	s_waitcnt vmcnt(0)
	ds_write2_b64 v248, v[176:177], v[178:179] offset0:92 offset1:93
	;; [unrolled: 3-line block ×16, first 2 shown]
	ds_read2_b64 v[176:179], v253 offset1:1
	s_waitcnt lgkmcnt(0)
	v_cmp_neq_f64_e32 vcc, 0, v[176:177]
	v_cmp_neq_f64_e64 s[2:3], 0, v[178:179]
	s_or_b64 s[2:3], vcc, s[2:3]
	s_and_b64 exec, exec, s[2:3]
	s_cbranch_execz .LBB121_504
; %bb.499:
	v_cmp_ngt_f64_e64 s[2:3], |v[176:177]|, |v[178:179]|
                                        ; implicit-def: $vgpr180_vgpr181
	s_and_saveexec_b64 s[70:71], s[2:3]
	s_xor_b64 s[2:3], exec, s[70:71]
                                        ; implicit-def: $vgpr182_vgpr183
	s_cbranch_execz .LBB121_501
; %bb.500:
	v_div_scale_f64 v[0:1], s[70:71], v[178:179], v[178:179], v[176:177]
	v_rcp_f64_e32 v[2:3], v[0:1]
	v_div_scale_f64 v[180:181], vcc, v[176:177], v[178:179], v[176:177]
	v_fma_f64 v[182:183], -v[0:1], v[2:3], 1.0
	v_fmac_f64_e32 v[2:3], v[2:3], v[182:183]
	v_fma_f64 v[182:183], -v[0:1], v[2:3], 1.0
	v_fmac_f64_e32 v[2:3], v[2:3], v[182:183]
	v_mul_f64 v[182:183], v[180:181], v[2:3]
	v_fma_f64 v[0:1], -v[0:1], v[182:183], v[180:181]
	v_div_fmas_f64 v[0:1], v[0:1], v[2:3], v[182:183]
	v_div_fixup_f64 v[0:1], v[0:1], v[178:179], v[176:177]
	v_fmac_f64_e32 v[178:179], v[176:177], v[0:1]
	v_div_scale_f64 v[2:3], s[70:71], v[178:179], v[178:179], 1.0
	v_rcp_f64_e32 v[176:177], v[2:3]
	s_nop 0
	v_fma_f64 v[180:181], -v[2:3], v[176:177], 1.0
	v_fmac_f64_e32 v[176:177], v[176:177], v[180:181]
	v_fma_f64 v[180:181], -v[2:3], v[176:177], 1.0
	v_fmac_f64_e32 v[176:177], v[176:177], v[180:181]
	v_div_scale_f64 v[180:181], vcc, 1.0, v[178:179], 1.0
	v_mul_f64 v[182:183], v[180:181], v[176:177]
	v_fma_f64 v[2:3], -v[2:3], v[182:183], v[180:181]
	s_nop 1
	v_div_fmas_f64 v[2:3], v[2:3], v[176:177], v[182:183]
	v_div_fixup_f64 v[182:183], v[2:3], v[178:179], 1.0
	v_mul_f64 v[180:181], v[0:1], v[182:183]
	v_xor_b32_e32 v183, 0x80000000, v183
                                        ; implicit-def: $vgpr176_vgpr177
.LBB121_501:
	s_andn2_saveexec_b64 s[2:3], s[2:3]
	s_cbranch_execz .LBB121_503
; %bb.502:
	v_div_scale_f64 v[0:1], s[70:71], v[176:177], v[176:177], v[178:179]
	v_rcp_f64_e32 v[2:3], v[0:1]
	v_div_scale_f64 v[180:181], vcc, v[178:179], v[176:177], v[178:179]
	v_fma_f64 v[182:183], -v[0:1], v[2:3], 1.0
	v_fmac_f64_e32 v[2:3], v[2:3], v[182:183]
	v_fma_f64 v[182:183], -v[0:1], v[2:3], 1.0
	v_fmac_f64_e32 v[2:3], v[2:3], v[182:183]
	v_mul_f64 v[182:183], v[180:181], v[2:3]
	v_fma_f64 v[0:1], -v[0:1], v[182:183], v[180:181]
	v_div_fmas_f64 v[0:1], v[0:1], v[2:3], v[182:183]
	v_div_fixup_f64 v[0:1], v[0:1], v[176:177], v[178:179]
	v_fmac_f64_e32 v[176:177], v[178:179], v[0:1]
	v_div_scale_f64 v[2:3], s[70:71], v[176:177], v[176:177], 1.0
	v_rcp_f64_e32 v[178:179], v[2:3]
	s_nop 0
	v_fma_f64 v[180:181], -v[2:3], v[178:179], 1.0
	v_fmac_f64_e32 v[178:179], v[178:179], v[180:181]
	v_fma_f64 v[180:181], -v[2:3], v[178:179], 1.0
	v_fmac_f64_e32 v[178:179], v[178:179], v[180:181]
	v_div_scale_f64 v[180:181], vcc, 1.0, v[176:177], 1.0
	v_mul_f64 v[182:183], v[180:181], v[178:179]
	v_fma_f64 v[2:3], -v[2:3], v[182:183], v[180:181]
	s_nop 1
	v_div_fmas_f64 v[2:3], v[2:3], v[178:179], v[182:183]
	v_div_fixup_f64 v[180:181], v[2:3], v[176:177], 1.0
	v_mul_f64 v[182:183], v[0:1], -v[180:181]
.LBB121_503:
	s_or_b64 exec, exec, s[2:3]
	ds_write2_b64 v253, v[180:181], v[182:183] offset1:1
.LBB121_504:
	s_or_b64 exec, exec, s[4:5]
	s_waitcnt lgkmcnt(0)
	s_barrier
	ds_read2_b64 v[176:179], v253 offset1:1
	v_cmp_lt_u32_e32 vcc, 44, v252
	s_and_saveexec_b64 s[2:3], vcc
	s_cbranch_execz .LBB121_506
; %bb.505:
	scratch_load_dwordx4 v[180:183], off, off offset:704
	s_waitcnt vmcnt(0) lgkmcnt(0)
	v_mul_f64 v[0:1], v[178:179], v[182:183]
	v_mul_f64 v[186:187], v[176:177], v[182:183]
	v_fma_f64 v[184:185], v[176:177], v[180:181], -v[0:1]
	v_fmac_f64_e32 v[186:187], v[178:179], v[180:181]
	ds_read2_b64 v[180:183], v248 offset0:90 offset1:91
	scratch_store_dwordx4 off, v[184:187], off offset:704
	s_waitcnt lgkmcnt(0)
	v_mul_f64 v[0:1], v[182:183], v[186:187]
	v_mul_f64 v[2:3], v[180:181], v[186:187]
	v_fma_f64 v[0:1], v[180:181], v[184:185], -v[0:1]
	v_fmac_f64_e32 v[2:3], v[182:183], v[184:185]
	scratch_load_dwordx4 v[180:183], off, off offset:720
	s_waitcnt vmcnt(0)
	v_add_f64 v[180:181], v[180:181], -v[0:1]
	v_add_f64 v[182:183], v[182:183], -v[2:3]
	scratch_store_dwordx4 off, v[180:183], off offset:720
	ds_read2_b64 v[180:183], v248 offset0:92 offset1:93
	s_waitcnt lgkmcnt(0)
	v_mul_f64 v[0:1], v[182:183], v[186:187]
	v_mul_f64 v[2:3], v[180:181], v[186:187]
	v_fma_f64 v[0:1], v[180:181], v[184:185], -v[0:1]
	v_fmac_f64_e32 v[2:3], v[182:183], v[184:185]
	scratch_load_dwordx4 v[180:183], off, off offset:736
	s_waitcnt vmcnt(0)
	v_add_f64 v[180:181], v[180:181], -v[0:1]
	v_add_f64 v[182:183], v[182:183], -v[2:3]
	scratch_store_dwordx4 off, v[180:183], off offset:736
	ds_read2_b64 v[180:183], v248 offset0:94 offset1:95
	;; [unrolled: 11-line block ×5, first 2 shown]
	s_waitcnt lgkmcnt(0)
	v_mul_f64 v[0:1], v[182:183], v[186:187]
	v_mul_f64 v[2:3], v[180:181], v[186:187]
	v_fma_f64 v[0:1], v[180:181], v[184:185], -v[0:1]
	v_fmac_f64_e32 v[2:3], v[182:183], v[184:185]
	scratch_load_dwordx4 v[180:183], off, off offset:800
	ds_read2_b64 v[184:187], v248 offset0:102 offset1:103
	s_waitcnt vmcnt(0)
	v_add_f64 v[180:181], v[180:181], -v[0:1]
	v_add_f64 v[182:183], v[182:183], -v[2:3]
	scratch_store_dwordx4 off, v[180:183], off offset:800
	scratch_load_dwordx2 v[0:1], off, off offset:704
	s_nop 0
	scratch_load_dwordx4 v[180:183], off, off offset:704
	s_waitcnt vmcnt(0) lgkmcnt(0)
	v_mul_f64 v[2:3], v[186:187], v[182:183]
	v_mul_f64 v[188:189], v[184:185], v[182:183]
	v_fma_f64 v[2:3], v[184:185], v[0:1], -v[2:3]
	v_fmac_f64_e32 v[188:189], v[186:187], v[0:1]
	scratch_load_dwordx4 v[184:187], off, off offset:816
	s_waitcnt vmcnt(0)
	v_add_f64 v[184:185], v[184:185], -v[2:3]
	v_add_f64 v[186:187], v[186:187], -v[188:189]
	scratch_store_dwordx4 off, v[184:187], off offset:816
	ds_read2_b64 v[184:187], v248 offset0:104 offset1:105
	s_waitcnt lgkmcnt(0)
	v_mul_f64 v[2:3], v[186:187], v[182:183]
	v_mul_f64 v[188:189], v[184:185], v[182:183]
	v_fma_f64 v[2:3], v[184:185], v[0:1], -v[2:3]
	v_fmac_f64_e32 v[188:189], v[186:187], v[0:1]
	scratch_load_dwordx4 v[184:187], off, off offset:832
	s_waitcnt vmcnt(0)
	v_add_f64 v[184:185], v[184:185], -v[2:3]
	v_add_f64 v[186:187], v[186:187], -v[188:189]
	scratch_store_dwordx4 off, v[184:187], off offset:832
	ds_read2_b64 v[184:187], v248 offset0:106 offset1:107
	s_waitcnt lgkmcnt(0)
	;; [unrolled: 11-line block ×5, first 2 shown]
	v_mul_f64 v[2:3], v[186:187], v[182:183]
	v_fma_f64 v[2:3], v[184:185], v[0:1], -v[2:3]
	v_mul_f64 v[188:189], v[184:185], v[182:183]
	scratch_load_dwordx4 v[182:185], off, off offset:896
	v_fmac_f64_e32 v[188:189], v[186:187], v[0:1]
	scratch_load_dwordx2 v[0:1], off, off offset:712
	s_waitcnt vmcnt(1)
	v_add_f64 v[182:183], v[182:183], -v[2:3]
	v_add_f64 v[184:185], v[184:185], -v[188:189]
	scratch_store_dwordx4 off, v[182:185], off offset:896
	ds_read2_b64 v[182:185], v248 offset0:114 offset1:115
	s_waitcnt vmcnt(1) lgkmcnt(0)
	v_mul_f64 v[2:3], v[184:185], v[0:1]
	v_mul_f64 v[186:187], v[182:183], v[0:1]
	v_fma_f64 v[2:3], v[182:183], v[180:181], -v[2:3]
	v_fmac_f64_e32 v[186:187], v[184:185], v[180:181]
	scratch_load_dwordx4 v[182:185], off, off offset:912
	s_waitcnt vmcnt(0)
	v_add_f64 v[182:183], v[182:183], -v[2:3]
	v_add_f64 v[184:185], v[184:185], -v[186:187]
	scratch_store_dwordx4 off, v[182:185], off offset:912
	ds_read2_b64 v[182:185], v248 offset0:116 offset1:117
	s_waitcnt lgkmcnt(0)
	v_mul_f64 v[2:3], v[184:185], v[0:1]
	v_mul_f64 v[186:187], v[182:183], v[0:1]
	v_fma_f64 v[2:3], v[182:183], v[180:181], -v[2:3]
	v_fmac_f64_e32 v[186:187], v[184:185], v[180:181]
	scratch_load_dwordx4 v[182:185], off, off offset:928
	s_waitcnt vmcnt(0)
	v_add_f64 v[182:183], v[182:183], -v[2:3]
	v_add_f64 v[184:185], v[184:185], -v[186:187]
	scratch_store_dwordx4 off, v[182:185], off offset:928
	ds_read2_b64 v[182:185], v248 offset0:118 offset1:119
	s_waitcnt lgkmcnt(0)
	v_mul_f64 v[2:3], v[184:185], v[0:1]
	v_mul_f64 v[186:187], v[182:183], v[0:1]
	v_fma_f64 v[2:3], v[182:183], v[180:181], -v[2:3]
	v_fmac_f64_e32 v[186:187], v[184:185], v[180:181]
	scratch_load_dwordx4 v[182:185], off, off offset:944
	s_waitcnt vmcnt(0)
	v_add_f64 v[184:185], v[184:185], -v[186:187]
	ds_read2_b64 v[186:189], v248 offset0:120 offset1:121
	v_add_f64 v[182:183], v[182:183], -v[2:3]
	scratch_store_dwordx4 off, v[182:185], off offset:944
	s_waitcnt lgkmcnt(0)
	v_mul_f64 v[2:3], v[188:189], v[0:1]
	v_fma_f64 v[184:185], v[186:187], v[180:181], -v[2:3]
	v_mul_f64 v[186:187], v[186:187], v[0:1]
	v_fmac_f64_e32 v[186:187], v[188:189], v[180:181]
	scratch_load_dwordx4 v[180:183], off, off offset:960
	s_waitcnt vmcnt(0)
	v_add_f64 v[180:181], v[180:181], -v[184:185]
	v_add_f64 v[182:183], v[182:183], -v[186:187]
	scratch_store_dwordx4 off, v[180:183], off offset:960
.LBB121_506:
	s_or_b64 exec, exec, s[2:3]
	v_cmp_eq_u32_e32 vcc, 45, v252
	s_waitcnt lgkmcnt(0)
	s_barrier
	s_and_saveexec_b64 s[4:5], vcc
	s_cbranch_execz .LBB121_513
; %bb.507:
	scratch_load_dwordx4 v[180:183], off, s24
	s_waitcnt vmcnt(0)
	ds_write2_b64 v253, v[180:181], v[182:183] offset1:1
	scratch_load_dwordx4 v[180:183], off, s23
	s_waitcnt vmcnt(0)
	ds_write2_b64 v248, v[180:181], v[182:183] offset0:92 offset1:93
	scratch_load_dwordx4 v[180:183], off, s22
	s_waitcnt vmcnt(0)
	ds_write2_b64 v248, v[180:181], v[182:183] offset0:94 offset1:95
	;; [unrolled: 3-line block ×15, first 2 shown]
	ds_read2_b64 v[180:183], v253 offset1:1
	s_waitcnt lgkmcnt(0)
	v_cmp_neq_f64_e32 vcc, 0, v[180:181]
	v_cmp_neq_f64_e64 s[2:3], 0, v[182:183]
	s_or_b64 s[2:3], vcc, s[2:3]
	s_and_b64 exec, exec, s[2:3]
	s_cbranch_execz .LBB121_513
; %bb.508:
	v_cmp_ngt_f64_e64 s[2:3], |v[180:181]|, |v[182:183]|
                                        ; implicit-def: $vgpr184_vgpr185
	s_and_saveexec_b64 s[70:71], s[2:3]
	s_xor_b64 s[2:3], exec, s[70:71]
                                        ; implicit-def: $vgpr186_vgpr187
	s_cbranch_execz .LBB121_510
; %bb.509:
	v_div_scale_f64 v[0:1], s[70:71], v[182:183], v[182:183], v[180:181]
	v_rcp_f64_e32 v[2:3], v[0:1]
	v_div_scale_f64 v[184:185], vcc, v[180:181], v[182:183], v[180:181]
	v_fma_f64 v[186:187], -v[0:1], v[2:3], 1.0
	v_fmac_f64_e32 v[2:3], v[2:3], v[186:187]
	v_fma_f64 v[186:187], -v[0:1], v[2:3], 1.0
	v_fmac_f64_e32 v[2:3], v[2:3], v[186:187]
	v_mul_f64 v[186:187], v[184:185], v[2:3]
	v_fma_f64 v[0:1], -v[0:1], v[186:187], v[184:185]
	v_div_fmas_f64 v[0:1], v[0:1], v[2:3], v[186:187]
	v_div_fixup_f64 v[0:1], v[0:1], v[182:183], v[180:181]
	v_fmac_f64_e32 v[182:183], v[180:181], v[0:1]
	v_div_scale_f64 v[2:3], s[70:71], v[182:183], v[182:183], 1.0
	v_rcp_f64_e32 v[180:181], v[2:3]
	s_nop 0
	v_fma_f64 v[184:185], -v[2:3], v[180:181], 1.0
	v_fmac_f64_e32 v[180:181], v[180:181], v[184:185]
	v_fma_f64 v[184:185], -v[2:3], v[180:181], 1.0
	v_fmac_f64_e32 v[180:181], v[180:181], v[184:185]
	v_div_scale_f64 v[184:185], vcc, 1.0, v[182:183], 1.0
	v_mul_f64 v[186:187], v[184:185], v[180:181]
	v_fma_f64 v[2:3], -v[2:3], v[186:187], v[184:185]
	s_nop 1
	v_div_fmas_f64 v[2:3], v[2:3], v[180:181], v[186:187]
	v_div_fixup_f64 v[186:187], v[2:3], v[182:183], 1.0
	v_mul_f64 v[184:185], v[0:1], v[186:187]
	v_xor_b32_e32 v187, 0x80000000, v187
                                        ; implicit-def: $vgpr180_vgpr181
.LBB121_510:
	s_andn2_saveexec_b64 s[2:3], s[2:3]
	s_cbranch_execz .LBB121_512
; %bb.511:
	v_div_scale_f64 v[0:1], s[70:71], v[180:181], v[180:181], v[182:183]
	v_rcp_f64_e32 v[2:3], v[0:1]
	v_div_scale_f64 v[184:185], vcc, v[182:183], v[180:181], v[182:183]
	v_fma_f64 v[186:187], -v[0:1], v[2:3], 1.0
	v_fmac_f64_e32 v[2:3], v[2:3], v[186:187]
	v_fma_f64 v[186:187], -v[0:1], v[2:3], 1.0
	v_fmac_f64_e32 v[2:3], v[2:3], v[186:187]
	v_mul_f64 v[186:187], v[184:185], v[2:3]
	v_fma_f64 v[0:1], -v[0:1], v[186:187], v[184:185]
	v_div_fmas_f64 v[0:1], v[0:1], v[2:3], v[186:187]
	v_div_fixup_f64 v[0:1], v[0:1], v[180:181], v[182:183]
	v_fmac_f64_e32 v[180:181], v[182:183], v[0:1]
	v_div_scale_f64 v[2:3], s[70:71], v[180:181], v[180:181], 1.0
	v_rcp_f64_e32 v[182:183], v[2:3]
	s_nop 0
	v_fma_f64 v[184:185], -v[2:3], v[182:183], 1.0
	v_fmac_f64_e32 v[182:183], v[182:183], v[184:185]
	v_fma_f64 v[184:185], -v[2:3], v[182:183], 1.0
	v_fmac_f64_e32 v[182:183], v[182:183], v[184:185]
	v_div_scale_f64 v[184:185], vcc, 1.0, v[180:181], 1.0
	v_mul_f64 v[186:187], v[184:185], v[182:183]
	v_fma_f64 v[2:3], -v[2:3], v[186:187], v[184:185]
	s_nop 1
	v_div_fmas_f64 v[2:3], v[2:3], v[182:183], v[186:187]
	v_div_fixup_f64 v[184:185], v[2:3], v[180:181], 1.0
	v_mul_f64 v[186:187], v[0:1], -v[184:185]
.LBB121_512:
	s_or_b64 exec, exec, s[2:3]
	ds_write2_b64 v253, v[184:185], v[186:187] offset1:1
.LBB121_513:
	s_or_b64 exec, exec, s[4:5]
	s_waitcnt lgkmcnt(0)
	s_barrier
	ds_read2_b64 v[180:183], v253 offset1:1
	v_cmp_lt_u32_e32 vcc, 45, v252
	s_and_saveexec_b64 s[2:3], vcc
	s_cbranch_execz .LBB121_515
; %bb.514:
	scratch_load_dwordx4 v[184:187], off, off offset:720
	s_waitcnt vmcnt(0) lgkmcnt(0)
	v_mul_f64 v[0:1], v[182:183], v[186:187]
	v_mul_f64 v[190:191], v[180:181], v[186:187]
	v_fma_f64 v[188:189], v[180:181], v[184:185], -v[0:1]
	v_fmac_f64_e32 v[190:191], v[182:183], v[184:185]
	ds_read2_b64 v[184:187], v248 offset0:92 offset1:93
	scratch_store_dwordx4 off, v[188:191], off offset:720
	s_waitcnt lgkmcnt(0)
	v_mul_f64 v[0:1], v[186:187], v[190:191]
	v_mul_f64 v[2:3], v[184:185], v[190:191]
	v_fma_f64 v[0:1], v[184:185], v[188:189], -v[0:1]
	v_fmac_f64_e32 v[2:3], v[186:187], v[188:189]
	scratch_load_dwordx4 v[184:187], off, off offset:736
	s_waitcnt vmcnt(0)
	v_add_f64 v[184:185], v[184:185], -v[0:1]
	v_add_f64 v[186:187], v[186:187], -v[2:3]
	scratch_store_dwordx4 off, v[184:187], off offset:736
	ds_read2_b64 v[184:187], v248 offset0:94 offset1:95
	s_waitcnt lgkmcnt(0)
	v_mul_f64 v[0:1], v[186:187], v[190:191]
	v_mul_f64 v[2:3], v[184:185], v[190:191]
	v_fma_f64 v[0:1], v[184:185], v[188:189], -v[0:1]
	v_fmac_f64_e32 v[2:3], v[186:187], v[188:189]
	scratch_load_dwordx4 v[184:187], off, off offset:752
	s_waitcnt vmcnt(0)
	v_add_f64 v[184:185], v[184:185], -v[0:1]
	v_add_f64 v[186:187], v[186:187], -v[2:3]
	scratch_store_dwordx4 off, v[184:187], off offset:752
	ds_read2_b64 v[184:187], v248 offset0:96 offset1:97
	;; [unrolled: 11-line block ×5, first 2 shown]
	s_waitcnt lgkmcnt(0)
	v_mul_f64 v[0:1], v[186:187], v[190:191]
	v_mul_f64 v[2:3], v[184:185], v[190:191]
	v_fma_f64 v[0:1], v[184:185], v[188:189], -v[0:1]
	v_fmac_f64_e32 v[2:3], v[186:187], v[188:189]
	scratch_load_dwordx4 v[184:187], off, off offset:816
	ds_read2_b64 v[188:191], v248 offset0:104 offset1:105
	s_waitcnt vmcnt(0)
	v_add_f64 v[184:185], v[184:185], -v[0:1]
	v_add_f64 v[186:187], v[186:187], -v[2:3]
	scratch_store_dwordx4 off, v[184:187], off offset:816
	scratch_load_dwordx2 v[0:1], off, off offset:720
	s_nop 0
	scratch_load_dwordx4 v[184:187], off, off offset:720
	s_waitcnt vmcnt(0) lgkmcnt(0)
	v_mul_f64 v[2:3], v[190:191], v[186:187]
	v_mul_f64 v[192:193], v[188:189], v[186:187]
	v_fma_f64 v[2:3], v[188:189], v[0:1], -v[2:3]
	v_fmac_f64_e32 v[192:193], v[190:191], v[0:1]
	scratch_load_dwordx4 v[188:191], off, off offset:832
	s_waitcnt vmcnt(0)
	v_add_f64 v[188:189], v[188:189], -v[2:3]
	v_add_f64 v[190:191], v[190:191], -v[192:193]
	scratch_store_dwordx4 off, v[188:191], off offset:832
	ds_read2_b64 v[188:191], v248 offset0:106 offset1:107
	s_waitcnt lgkmcnt(0)
	v_mul_f64 v[2:3], v[190:191], v[186:187]
	v_mul_f64 v[192:193], v[188:189], v[186:187]
	v_fma_f64 v[2:3], v[188:189], v[0:1], -v[2:3]
	v_fmac_f64_e32 v[192:193], v[190:191], v[0:1]
	scratch_load_dwordx4 v[188:191], off, off offset:848
	s_waitcnt vmcnt(0)
	v_add_f64 v[188:189], v[188:189], -v[2:3]
	v_add_f64 v[190:191], v[190:191], -v[192:193]
	scratch_store_dwordx4 off, v[188:191], off offset:848
	ds_read2_b64 v[188:191], v248 offset0:108 offset1:109
	s_waitcnt lgkmcnt(0)
	;; [unrolled: 11-line block ×5, first 2 shown]
	v_mul_f64 v[2:3], v[190:191], v[186:187]
	v_fma_f64 v[2:3], v[188:189], v[0:1], -v[2:3]
	v_mul_f64 v[192:193], v[188:189], v[186:187]
	scratch_load_dwordx4 v[186:189], off, off offset:912
	v_fmac_f64_e32 v[192:193], v[190:191], v[0:1]
	scratch_load_dwordx2 v[0:1], off, off offset:728
	s_waitcnt vmcnt(1)
	v_add_f64 v[186:187], v[186:187], -v[2:3]
	v_add_f64 v[188:189], v[188:189], -v[192:193]
	scratch_store_dwordx4 off, v[186:189], off offset:912
	ds_read2_b64 v[186:189], v248 offset0:116 offset1:117
	s_waitcnt vmcnt(1) lgkmcnt(0)
	v_mul_f64 v[2:3], v[188:189], v[0:1]
	v_mul_f64 v[190:191], v[186:187], v[0:1]
	v_fma_f64 v[2:3], v[186:187], v[184:185], -v[2:3]
	v_fmac_f64_e32 v[190:191], v[188:189], v[184:185]
	scratch_load_dwordx4 v[186:189], off, off offset:928
	s_waitcnt vmcnt(0)
	v_add_f64 v[186:187], v[186:187], -v[2:3]
	v_add_f64 v[188:189], v[188:189], -v[190:191]
	scratch_store_dwordx4 off, v[186:189], off offset:928
	ds_read2_b64 v[186:189], v248 offset0:118 offset1:119
	s_waitcnt lgkmcnt(0)
	v_mul_f64 v[2:3], v[188:189], v[0:1]
	v_mul_f64 v[190:191], v[186:187], v[0:1]
	v_fma_f64 v[2:3], v[186:187], v[184:185], -v[2:3]
	v_fmac_f64_e32 v[190:191], v[188:189], v[184:185]
	scratch_load_dwordx4 v[186:189], off, off offset:944
	s_waitcnt vmcnt(0)
	v_add_f64 v[188:189], v[188:189], -v[190:191]
	ds_read2_b64 v[190:193], v248 offset0:120 offset1:121
	v_add_f64 v[186:187], v[186:187], -v[2:3]
	scratch_store_dwordx4 off, v[186:189], off offset:944
	s_waitcnt lgkmcnt(0)
	v_mul_f64 v[2:3], v[192:193], v[0:1]
	v_fma_f64 v[188:189], v[190:191], v[184:185], -v[2:3]
	v_mul_f64 v[190:191], v[190:191], v[0:1]
	v_fmac_f64_e32 v[190:191], v[192:193], v[184:185]
	scratch_load_dwordx4 v[184:187], off, off offset:960
	s_waitcnt vmcnt(0)
	v_add_f64 v[184:185], v[184:185], -v[188:189]
	v_add_f64 v[186:187], v[186:187], -v[190:191]
	scratch_store_dwordx4 off, v[184:187], off offset:960
.LBB121_515:
	s_or_b64 exec, exec, s[2:3]
	v_cmp_eq_u32_e32 vcc, 46, v252
	s_waitcnt lgkmcnt(0)
	s_barrier
	s_and_saveexec_b64 s[4:5], vcc
	s_cbranch_execz .LBB121_522
; %bb.516:
	scratch_load_dwordx4 v[184:187], off, s23
	s_waitcnt vmcnt(0)
	ds_write2_b64 v253, v[184:185], v[186:187] offset1:1
	scratch_load_dwordx4 v[184:187], off, s22
	s_waitcnt vmcnt(0)
	ds_write2_b64 v248, v[184:185], v[186:187] offset0:94 offset1:95
	scratch_load_dwordx4 v[184:187], off, s21
	s_waitcnt vmcnt(0)
	ds_write2_b64 v248, v[184:185], v[186:187] offset0:96 offset1:97
	;; [unrolled: 3-line block ×14, first 2 shown]
	ds_read2_b64 v[184:187], v253 offset1:1
	s_waitcnt lgkmcnt(0)
	v_cmp_neq_f64_e32 vcc, 0, v[184:185]
	v_cmp_neq_f64_e64 s[2:3], 0, v[186:187]
	s_or_b64 s[2:3], vcc, s[2:3]
	s_and_b64 exec, exec, s[2:3]
	s_cbranch_execz .LBB121_522
; %bb.517:
	v_cmp_ngt_f64_e64 s[2:3], |v[184:185]|, |v[186:187]|
                                        ; implicit-def: $vgpr188_vgpr189
	s_and_saveexec_b64 s[70:71], s[2:3]
	s_xor_b64 s[2:3], exec, s[70:71]
                                        ; implicit-def: $vgpr190_vgpr191
	s_cbranch_execz .LBB121_519
; %bb.518:
	v_div_scale_f64 v[0:1], s[70:71], v[186:187], v[186:187], v[184:185]
	v_rcp_f64_e32 v[2:3], v[0:1]
	v_div_scale_f64 v[188:189], vcc, v[184:185], v[186:187], v[184:185]
	v_fma_f64 v[190:191], -v[0:1], v[2:3], 1.0
	v_fmac_f64_e32 v[2:3], v[2:3], v[190:191]
	v_fma_f64 v[190:191], -v[0:1], v[2:3], 1.0
	v_fmac_f64_e32 v[2:3], v[2:3], v[190:191]
	v_mul_f64 v[190:191], v[188:189], v[2:3]
	v_fma_f64 v[0:1], -v[0:1], v[190:191], v[188:189]
	v_div_fmas_f64 v[0:1], v[0:1], v[2:3], v[190:191]
	v_div_fixup_f64 v[0:1], v[0:1], v[186:187], v[184:185]
	v_fmac_f64_e32 v[186:187], v[184:185], v[0:1]
	v_div_scale_f64 v[2:3], s[70:71], v[186:187], v[186:187], 1.0
	v_rcp_f64_e32 v[184:185], v[2:3]
	s_nop 0
	v_fma_f64 v[188:189], -v[2:3], v[184:185], 1.0
	v_fmac_f64_e32 v[184:185], v[184:185], v[188:189]
	v_fma_f64 v[188:189], -v[2:3], v[184:185], 1.0
	v_fmac_f64_e32 v[184:185], v[184:185], v[188:189]
	v_div_scale_f64 v[188:189], vcc, 1.0, v[186:187], 1.0
	v_mul_f64 v[190:191], v[188:189], v[184:185]
	v_fma_f64 v[2:3], -v[2:3], v[190:191], v[188:189]
	s_nop 1
	v_div_fmas_f64 v[2:3], v[2:3], v[184:185], v[190:191]
	v_div_fixup_f64 v[190:191], v[2:3], v[186:187], 1.0
	v_mul_f64 v[188:189], v[0:1], v[190:191]
	v_xor_b32_e32 v191, 0x80000000, v191
                                        ; implicit-def: $vgpr184_vgpr185
.LBB121_519:
	s_andn2_saveexec_b64 s[2:3], s[2:3]
	s_cbranch_execz .LBB121_521
; %bb.520:
	v_div_scale_f64 v[0:1], s[70:71], v[184:185], v[184:185], v[186:187]
	v_rcp_f64_e32 v[2:3], v[0:1]
	v_div_scale_f64 v[188:189], vcc, v[186:187], v[184:185], v[186:187]
	v_fma_f64 v[190:191], -v[0:1], v[2:3], 1.0
	v_fmac_f64_e32 v[2:3], v[2:3], v[190:191]
	v_fma_f64 v[190:191], -v[0:1], v[2:3], 1.0
	v_fmac_f64_e32 v[2:3], v[2:3], v[190:191]
	v_mul_f64 v[190:191], v[188:189], v[2:3]
	v_fma_f64 v[0:1], -v[0:1], v[190:191], v[188:189]
	v_div_fmas_f64 v[0:1], v[0:1], v[2:3], v[190:191]
	v_div_fixup_f64 v[0:1], v[0:1], v[184:185], v[186:187]
	v_fmac_f64_e32 v[184:185], v[186:187], v[0:1]
	v_div_scale_f64 v[2:3], s[70:71], v[184:185], v[184:185], 1.0
	v_rcp_f64_e32 v[186:187], v[2:3]
	s_nop 0
	v_fma_f64 v[188:189], -v[2:3], v[186:187], 1.0
	v_fmac_f64_e32 v[186:187], v[186:187], v[188:189]
	v_fma_f64 v[188:189], -v[2:3], v[186:187], 1.0
	v_fmac_f64_e32 v[186:187], v[186:187], v[188:189]
	v_div_scale_f64 v[188:189], vcc, 1.0, v[184:185], 1.0
	v_mul_f64 v[190:191], v[188:189], v[186:187]
	v_fma_f64 v[2:3], -v[2:3], v[190:191], v[188:189]
	s_nop 1
	v_div_fmas_f64 v[2:3], v[2:3], v[186:187], v[190:191]
	v_div_fixup_f64 v[188:189], v[2:3], v[184:185], 1.0
	v_mul_f64 v[190:191], v[0:1], -v[188:189]
.LBB121_521:
	s_or_b64 exec, exec, s[2:3]
	ds_write2_b64 v253, v[188:189], v[190:191] offset1:1
.LBB121_522:
	s_or_b64 exec, exec, s[4:5]
	s_waitcnt lgkmcnt(0)
	s_barrier
	ds_read2_b64 v[184:187], v253 offset1:1
	v_cmp_lt_u32_e32 vcc, 46, v252
	s_and_saveexec_b64 s[2:3], vcc
	s_cbranch_execz .LBB121_524
; %bb.523:
	scratch_load_dwordx4 v[188:191], off, off offset:736
	s_waitcnt vmcnt(0) lgkmcnt(0)
	v_mul_f64 v[0:1], v[186:187], v[190:191]
	v_mul_f64 v[194:195], v[184:185], v[190:191]
	v_fma_f64 v[192:193], v[184:185], v[188:189], -v[0:1]
	v_fmac_f64_e32 v[194:195], v[186:187], v[188:189]
	ds_read2_b64 v[188:191], v248 offset0:94 offset1:95
	scratch_store_dwordx4 off, v[192:195], off offset:736
	s_waitcnt lgkmcnt(0)
	v_mul_f64 v[0:1], v[190:191], v[194:195]
	v_mul_f64 v[2:3], v[188:189], v[194:195]
	v_fma_f64 v[0:1], v[188:189], v[192:193], -v[0:1]
	v_fmac_f64_e32 v[2:3], v[190:191], v[192:193]
	scratch_load_dwordx4 v[188:191], off, off offset:752
	s_waitcnt vmcnt(0)
	v_add_f64 v[188:189], v[188:189], -v[0:1]
	v_add_f64 v[190:191], v[190:191], -v[2:3]
	scratch_store_dwordx4 off, v[188:191], off offset:752
	ds_read2_b64 v[188:191], v248 offset0:96 offset1:97
	s_waitcnt lgkmcnt(0)
	v_mul_f64 v[0:1], v[190:191], v[194:195]
	v_mul_f64 v[2:3], v[188:189], v[194:195]
	v_fma_f64 v[0:1], v[188:189], v[192:193], -v[0:1]
	v_fmac_f64_e32 v[2:3], v[190:191], v[192:193]
	scratch_load_dwordx4 v[188:191], off, off offset:768
	s_waitcnt vmcnt(0)
	v_add_f64 v[188:189], v[188:189], -v[0:1]
	v_add_f64 v[190:191], v[190:191], -v[2:3]
	scratch_store_dwordx4 off, v[188:191], off offset:768
	ds_read2_b64 v[188:191], v248 offset0:98 offset1:99
	;; [unrolled: 11-line block ×5, first 2 shown]
	s_waitcnt lgkmcnt(0)
	v_mul_f64 v[0:1], v[190:191], v[194:195]
	v_mul_f64 v[2:3], v[188:189], v[194:195]
	v_fma_f64 v[0:1], v[188:189], v[192:193], -v[0:1]
	v_fmac_f64_e32 v[2:3], v[190:191], v[192:193]
	scratch_load_dwordx4 v[188:191], off, off offset:832
	ds_read2_b64 v[192:195], v248 offset0:106 offset1:107
	s_waitcnt vmcnt(0)
	v_add_f64 v[188:189], v[188:189], -v[0:1]
	v_add_f64 v[190:191], v[190:191], -v[2:3]
	scratch_store_dwordx4 off, v[188:191], off offset:832
	scratch_load_dwordx2 v[0:1], off, off offset:736
	s_nop 0
	scratch_load_dwordx4 v[188:191], off, off offset:736
	s_waitcnt vmcnt(0) lgkmcnt(0)
	v_mul_f64 v[2:3], v[194:195], v[190:191]
	v_mul_f64 v[196:197], v[192:193], v[190:191]
	v_fma_f64 v[2:3], v[192:193], v[0:1], -v[2:3]
	v_fmac_f64_e32 v[196:197], v[194:195], v[0:1]
	scratch_load_dwordx4 v[192:195], off, off offset:848
	s_waitcnt vmcnt(0)
	v_add_f64 v[192:193], v[192:193], -v[2:3]
	v_add_f64 v[194:195], v[194:195], -v[196:197]
	scratch_store_dwordx4 off, v[192:195], off offset:848
	ds_read2_b64 v[192:195], v248 offset0:108 offset1:109
	s_waitcnt lgkmcnt(0)
	v_mul_f64 v[2:3], v[194:195], v[190:191]
	v_mul_f64 v[196:197], v[192:193], v[190:191]
	v_fma_f64 v[2:3], v[192:193], v[0:1], -v[2:3]
	v_fmac_f64_e32 v[196:197], v[194:195], v[0:1]
	scratch_load_dwordx4 v[192:195], off, off offset:864
	s_waitcnt vmcnt(0)
	v_add_f64 v[192:193], v[192:193], -v[2:3]
	v_add_f64 v[194:195], v[194:195], -v[196:197]
	scratch_store_dwordx4 off, v[192:195], off offset:864
	ds_read2_b64 v[192:195], v248 offset0:110 offset1:111
	s_waitcnt lgkmcnt(0)
	;; [unrolled: 11-line block ×5, first 2 shown]
	v_mul_f64 v[2:3], v[194:195], v[190:191]
	v_fma_f64 v[2:3], v[192:193], v[0:1], -v[2:3]
	v_mul_f64 v[196:197], v[192:193], v[190:191]
	scratch_load_dwordx4 v[190:193], off, off offset:928
	v_fmac_f64_e32 v[196:197], v[194:195], v[0:1]
	scratch_load_dwordx2 v[0:1], off, off offset:744
	s_waitcnt vmcnt(1)
	v_add_f64 v[190:191], v[190:191], -v[2:3]
	v_add_f64 v[192:193], v[192:193], -v[196:197]
	scratch_store_dwordx4 off, v[190:193], off offset:928
	ds_read2_b64 v[190:193], v248 offset0:118 offset1:119
	s_waitcnt vmcnt(1) lgkmcnt(0)
	v_mul_f64 v[2:3], v[192:193], v[0:1]
	v_mul_f64 v[194:195], v[190:191], v[0:1]
	v_fma_f64 v[2:3], v[190:191], v[188:189], -v[2:3]
	v_fmac_f64_e32 v[194:195], v[192:193], v[188:189]
	scratch_load_dwordx4 v[190:193], off, off offset:944
	s_waitcnt vmcnt(0)
	v_add_f64 v[192:193], v[192:193], -v[194:195]
	ds_read2_b64 v[194:197], v248 offset0:120 offset1:121
	v_add_f64 v[190:191], v[190:191], -v[2:3]
	scratch_store_dwordx4 off, v[190:193], off offset:944
	s_waitcnt lgkmcnt(0)
	v_mul_f64 v[2:3], v[196:197], v[0:1]
	v_fma_f64 v[192:193], v[194:195], v[188:189], -v[2:3]
	v_mul_f64 v[194:195], v[194:195], v[0:1]
	v_fmac_f64_e32 v[194:195], v[196:197], v[188:189]
	scratch_load_dwordx4 v[188:191], off, off offset:960
	s_waitcnt vmcnt(0)
	v_add_f64 v[188:189], v[188:189], -v[192:193]
	v_add_f64 v[190:191], v[190:191], -v[194:195]
	scratch_store_dwordx4 off, v[188:191], off offset:960
.LBB121_524:
	s_or_b64 exec, exec, s[2:3]
	v_cmp_eq_u32_e32 vcc, 47, v252
	s_waitcnt lgkmcnt(0)
	s_barrier
	s_and_saveexec_b64 s[4:5], vcc
	s_cbranch_execz .LBB121_531
; %bb.525:
	scratch_load_dwordx4 v[188:191], off, s22
	s_waitcnt vmcnt(0)
	ds_write2_b64 v253, v[188:189], v[190:191] offset1:1
	scratch_load_dwordx4 v[188:191], off, s21
	s_waitcnt vmcnt(0)
	ds_write2_b64 v248, v[188:189], v[190:191] offset0:96 offset1:97
	scratch_load_dwordx4 v[188:191], off, s20
	s_waitcnt vmcnt(0)
	ds_write2_b64 v248, v[188:189], v[190:191] offset0:98 offset1:99
	scratch_load_dwordx4 v[188:191], off, s19
	s_waitcnt vmcnt(0)
	ds_write2_b64 v248, v[188:189], v[190:191] offset0:100 offset1:101
	scratch_load_dwordx4 v[188:191], off, s18
	s_waitcnt vmcnt(0)
	ds_write2_b64 v248, v[188:189], v[190:191] offset0:102 offset1:103
	scratch_load_dwordx4 v[188:191], off, s17
	s_waitcnt vmcnt(0)
	ds_write2_b64 v248, v[188:189], v[190:191] offset0:104 offset1:105
	scratch_load_dwordx4 v[188:191], off, s16
	s_waitcnt vmcnt(0)
	ds_write2_b64 v248, v[188:189], v[190:191] offset0:106 offset1:107
	scratch_load_dwordx4 v[188:191], off, s15
	s_waitcnt vmcnt(0)
	ds_write2_b64 v248, v[188:189], v[190:191] offset0:108 offset1:109
	scratch_load_dwordx4 v[188:191], off, s14
	s_waitcnt vmcnt(0)
	ds_write2_b64 v248, v[188:189], v[190:191] offset0:110 offset1:111
	scratch_load_dwordx4 v[188:191], off, s13
	s_waitcnt vmcnt(0)
	ds_write2_b64 v248, v[188:189], v[190:191] offset0:112 offset1:113
	scratch_load_dwordx4 v[188:191], off, s12
	s_waitcnt vmcnt(0)
	ds_write2_b64 v248, v[188:189], v[190:191] offset0:114 offset1:115
	scratch_load_dwordx4 v[188:191], off, s11
	s_waitcnt vmcnt(0)
	ds_write2_b64 v248, v[188:189], v[190:191] offset0:116 offset1:117
	scratch_load_dwordx4 v[188:191], off, s10
	s_waitcnt vmcnt(0)
	ds_write2_b64 v248, v[188:189], v[190:191] offset0:118 offset1:119
	scratch_load_dwordx4 v[188:191], off, s8
	s_waitcnt vmcnt(0)
	ds_write2_b64 v248, v[188:189], v[190:191] offset0:120 offset1:121
	ds_read2_b64 v[188:191], v253 offset1:1
	s_waitcnt lgkmcnt(0)
	v_cmp_neq_f64_e32 vcc, 0, v[188:189]
	v_cmp_neq_f64_e64 s[2:3], 0, v[190:191]
	s_or_b64 s[2:3], vcc, s[2:3]
	s_and_b64 exec, exec, s[2:3]
	s_cbranch_execz .LBB121_531
; %bb.526:
	v_cmp_ngt_f64_e64 s[2:3], |v[188:189]|, |v[190:191]|
                                        ; implicit-def: $vgpr192_vgpr193
	s_and_saveexec_b64 s[70:71], s[2:3]
	s_xor_b64 s[2:3], exec, s[70:71]
                                        ; implicit-def: $vgpr194_vgpr195
	s_cbranch_execz .LBB121_528
; %bb.527:
	v_div_scale_f64 v[0:1], s[70:71], v[190:191], v[190:191], v[188:189]
	v_rcp_f64_e32 v[2:3], v[0:1]
	v_div_scale_f64 v[192:193], vcc, v[188:189], v[190:191], v[188:189]
	v_fma_f64 v[194:195], -v[0:1], v[2:3], 1.0
	v_fmac_f64_e32 v[2:3], v[2:3], v[194:195]
	v_fma_f64 v[194:195], -v[0:1], v[2:3], 1.0
	v_fmac_f64_e32 v[2:3], v[2:3], v[194:195]
	v_mul_f64 v[194:195], v[192:193], v[2:3]
	v_fma_f64 v[0:1], -v[0:1], v[194:195], v[192:193]
	v_div_fmas_f64 v[0:1], v[0:1], v[2:3], v[194:195]
	v_div_fixup_f64 v[0:1], v[0:1], v[190:191], v[188:189]
	v_fmac_f64_e32 v[190:191], v[188:189], v[0:1]
	v_div_scale_f64 v[2:3], s[70:71], v[190:191], v[190:191], 1.0
	v_rcp_f64_e32 v[188:189], v[2:3]
	s_nop 0
	v_fma_f64 v[192:193], -v[2:3], v[188:189], 1.0
	v_fmac_f64_e32 v[188:189], v[188:189], v[192:193]
	v_fma_f64 v[192:193], -v[2:3], v[188:189], 1.0
	v_fmac_f64_e32 v[188:189], v[188:189], v[192:193]
	v_div_scale_f64 v[192:193], vcc, 1.0, v[190:191], 1.0
	v_mul_f64 v[194:195], v[192:193], v[188:189]
	v_fma_f64 v[2:3], -v[2:3], v[194:195], v[192:193]
	s_nop 1
	v_div_fmas_f64 v[2:3], v[2:3], v[188:189], v[194:195]
	v_div_fixup_f64 v[194:195], v[2:3], v[190:191], 1.0
	v_mul_f64 v[192:193], v[0:1], v[194:195]
	v_xor_b32_e32 v195, 0x80000000, v195
                                        ; implicit-def: $vgpr188_vgpr189
.LBB121_528:
	s_andn2_saveexec_b64 s[2:3], s[2:3]
	s_cbranch_execz .LBB121_530
; %bb.529:
	v_div_scale_f64 v[0:1], s[70:71], v[188:189], v[188:189], v[190:191]
	v_rcp_f64_e32 v[2:3], v[0:1]
	v_div_scale_f64 v[192:193], vcc, v[190:191], v[188:189], v[190:191]
	v_fma_f64 v[194:195], -v[0:1], v[2:3], 1.0
	v_fmac_f64_e32 v[2:3], v[2:3], v[194:195]
	v_fma_f64 v[194:195], -v[0:1], v[2:3], 1.0
	v_fmac_f64_e32 v[2:3], v[2:3], v[194:195]
	v_mul_f64 v[194:195], v[192:193], v[2:3]
	v_fma_f64 v[0:1], -v[0:1], v[194:195], v[192:193]
	v_div_fmas_f64 v[0:1], v[0:1], v[2:3], v[194:195]
	v_div_fixup_f64 v[0:1], v[0:1], v[188:189], v[190:191]
	v_fmac_f64_e32 v[188:189], v[190:191], v[0:1]
	v_div_scale_f64 v[2:3], s[70:71], v[188:189], v[188:189], 1.0
	v_rcp_f64_e32 v[190:191], v[2:3]
	s_nop 0
	v_fma_f64 v[192:193], -v[2:3], v[190:191], 1.0
	v_fmac_f64_e32 v[190:191], v[190:191], v[192:193]
	v_fma_f64 v[192:193], -v[2:3], v[190:191], 1.0
	v_fmac_f64_e32 v[190:191], v[190:191], v[192:193]
	v_div_scale_f64 v[192:193], vcc, 1.0, v[188:189], 1.0
	v_mul_f64 v[194:195], v[192:193], v[190:191]
	v_fma_f64 v[2:3], -v[2:3], v[194:195], v[192:193]
	s_nop 1
	v_div_fmas_f64 v[2:3], v[2:3], v[190:191], v[194:195]
	v_div_fixup_f64 v[192:193], v[2:3], v[188:189], 1.0
	v_mul_f64 v[194:195], v[0:1], -v[192:193]
.LBB121_530:
	s_or_b64 exec, exec, s[2:3]
	ds_write2_b64 v253, v[192:193], v[194:195] offset1:1
.LBB121_531:
	s_or_b64 exec, exec, s[4:5]
	s_waitcnt lgkmcnt(0)
	s_barrier
	ds_read2_b64 v[188:191], v253 offset1:1
	v_cmp_lt_u32_e32 vcc, 47, v252
	s_and_saveexec_b64 s[2:3], vcc
	s_cbranch_execz .LBB121_533
; %bb.532:
	scratch_load_dwordx4 v[192:195], off, off offset:752
	s_waitcnt vmcnt(0) lgkmcnt(0)
	v_mul_f64 v[0:1], v[190:191], v[194:195]
	v_mul_f64 v[198:199], v[188:189], v[194:195]
	v_fma_f64 v[196:197], v[188:189], v[192:193], -v[0:1]
	v_fmac_f64_e32 v[198:199], v[190:191], v[192:193]
	ds_read2_b64 v[192:195], v248 offset0:96 offset1:97
	scratch_store_dwordx4 off, v[196:199], off offset:752
	s_waitcnt lgkmcnt(0)
	v_mul_f64 v[0:1], v[194:195], v[198:199]
	v_mul_f64 v[2:3], v[192:193], v[198:199]
	v_fma_f64 v[0:1], v[192:193], v[196:197], -v[0:1]
	v_fmac_f64_e32 v[2:3], v[194:195], v[196:197]
	scratch_load_dwordx4 v[192:195], off, off offset:768
	s_waitcnt vmcnt(0)
	v_add_f64 v[192:193], v[192:193], -v[0:1]
	v_add_f64 v[194:195], v[194:195], -v[2:3]
	scratch_store_dwordx4 off, v[192:195], off offset:768
	ds_read2_b64 v[192:195], v248 offset0:98 offset1:99
	s_waitcnt lgkmcnt(0)
	v_mul_f64 v[0:1], v[194:195], v[198:199]
	v_mul_f64 v[2:3], v[192:193], v[198:199]
	v_fma_f64 v[0:1], v[192:193], v[196:197], -v[0:1]
	v_fmac_f64_e32 v[2:3], v[194:195], v[196:197]
	scratch_load_dwordx4 v[192:195], off, off offset:784
	s_waitcnt vmcnt(0)
	v_add_f64 v[192:193], v[192:193], -v[0:1]
	v_add_f64 v[194:195], v[194:195], -v[2:3]
	scratch_store_dwordx4 off, v[192:195], off offset:784
	ds_read2_b64 v[192:195], v248 offset0:100 offset1:101
	;; [unrolled: 11-line block ×5, first 2 shown]
	s_waitcnt lgkmcnt(0)
	v_mul_f64 v[0:1], v[194:195], v[198:199]
	v_mul_f64 v[2:3], v[192:193], v[198:199]
	v_fma_f64 v[0:1], v[192:193], v[196:197], -v[0:1]
	v_fmac_f64_e32 v[2:3], v[194:195], v[196:197]
	scratch_load_dwordx4 v[192:195], off, off offset:848
	ds_read2_b64 v[196:199], v248 offset0:108 offset1:109
	s_waitcnt vmcnt(0)
	v_add_f64 v[192:193], v[192:193], -v[0:1]
	v_add_f64 v[194:195], v[194:195], -v[2:3]
	scratch_store_dwordx4 off, v[192:195], off offset:848
	scratch_load_dwordx2 v[0:1], off, off offset:752
	s_nop 0
	scratch_load_dwordx4 v[192:195], off, off offset:752
	s_waitcnt vmcnt(0) lgkmcnt(0)
	v_mul_f64 v[2:3], v[198:199], v[194:195]
	v_mul_f64 v[200:201], v[196:197], v[194:195]
	v_fma_f64 v[2:3], v[196:197], v[0:1], -v[2:3]
	v_fmac_f64_e32 v[200:201], v[198:199], v[0:1]
	scratch_load_dwordx4 v[196:199], off, off offset:864
	s_waitcnt vmcnt(0)
	v_add_f64 v[196:197], v[196:197], -v[2:3]
	v_add_f64 v[198:199], v[198:199], -v[200:201]
	scratch_store_dwordx4 off, v[196:199], off offset:864
	ds_read2_b64 v[196:199], v248 offset0:110 offset1:111
	s_waitcnt lgkmcnt(0)
	v_mul_f64 v[2:3], v[198:199], v[194:195]
	v_mul_f64 v[200:201], v[196:197], v[194:195]
	v_fma_f64 v[2:3], v[196:197], v[0:1], -v[2:3]
	v_fmac_f64_e32 v[200:201], v[198:199], v[0:1]
	scratch_load_dwordx4 v[196:199], off, off offset:880
	s_waitcnt vmcnt(0)
	v_add_f64 v[196:197], v[196:197], -v[2:3]
	v_add_f64 v[198:199], v[198:199], -v[200:201]
	scratch_store_dwordx4 off, v[196:199], off offset:880
	ds_read2_b64 v[196:199], v248 offset0:112 offset1:113
	s_waitcnt lgkmcnt(0)
	;; [unrolled: 11-line block ×5, first 2 shown]
	v_mul_f64 v[2:3], v[198:199], v[194:195]
	v_fma_f64 v[2:3], v[196:197], v[0:1], -v[2:3]
	v_mul_f64 v[200:201], v[196:197], v[194:195]
	scratch_load_dwordx4 v[194:197], off, off offset:944
	v_fmac_f64_e32 v[200:201], v[198:199], v[0:1]
	scratch_load_dwordx2 v[0:1], off, off offset:760
	s_waitcnt vmcnt(1)
	v_add_f64 v[194:195], v[194:195], -v[2:3]
	v_add_f64 v[196:197], v[196:197], -v[200:201]
	scratch_store_dwordx4 off, v[194:197], off offset:944
	ds_read2_b64 v[196:199], v248 offset0:120 offset1:121
	s_waitcnt vmcnt(1) lgkmcnt(0)
	v_mul_f64 v[2:3], v[198:199], v[0:1]
	v_fma_f64 v[194:195], v[196:197], v[192:193], -v[2:3]
	v_mul_f64 v[196:197], v[196:197], v[0:1]
	v_fmac_f64_e32 v[196:197], v[198:199], v[192:193]
	scratch_load_dwordx4 v[198:201], off, off offset:960
	s_waitcnt vmcnt(0)
	v_add_f64 v[192:193], v[198:199], -v[194:195]
	v_add_f64 v[194:195], v[200:201], -v[196:197]
	scratch_store_dwordx4 off, v[192:195], off offset:960
.LBB121_533:
	s_or_b64 exec, exec, s[2:3]
	v_cmp_eq_u32_e32 vcc, 48, v252
	s_waitcnt lgkmcnt(0)
	s_barrier
	s_and_saveexec_b64 s[4:5], vcc
	s_cbranch_execz .LBB121_540
; %bb.534:
	scratch_load_dwordx4 v[192:195], off, s21
	s_waitcnt vmcnt(0)
	ds_write2_b64 v253, v[192:193], v[194:195] offset1:1
	scratch_load_dwordx4 v[192:195], off, s20
	s_waitcnt vmcnt(0)
	ds_write2_b64 v248, v[192:193], v[194:195] offset0:98 offset1:99
	scratch_load_dwordx4 v[192:195], off, s19
	s_waitcnt vmcnt(0)
	ds_write2_b64 v248, v[192:193], v[194:195] offset0:100 offset1:101
	;; [unrolled: 3-line block ×12, first 2 shown]
	ds_read2_b64 v[192:195], v253 offset1:1
	s_waitcnt lgkmcnt(0)
	v_cmp_neq_f64_e32 vcc, 0, v[192:193]
	v_cmp_neq_f64_e64 s[2:3], 0, v[194:195]
	s_or_b64 s[2:3], vcc, s[2:3]
	s_and_b64 exec, exec, s[2:3]
	s_cbranch_execz .LBB121_540
; %bb.535:
	v_cmp_ngt_f64_e64 s[2:3], |v[192:193]|, |v[194:195]|
                                        ; implicit-def: $vgpr196_vgpr197
	s_and_saveexec_b64 s[70:71], s[2:3]
	s_xor_b64 s[2:3], exec, s[70:71]
                                        ; implicit-def: $vgpr198_vgpr199
	s_cbranch_execz .LBB121_537
; %bb.536:
	v_div_scale_f64 v[0:1], s[70:71], v[194:195], v[194:195], v[192:193]
	v_rcp_f64_e32 v[2:3], v[0:1]
	v_div_scale_f64 v[196:197], vcc, v[192:193], v[194:195], v[192:193]
	v_fma_f64 v[198:199], -v[0:1], v[2:3], 1.0
	v_fmac_f64_e32 v[2:3], v[2:3], v[198:199]
	v_fma_f64 v[198:199], -v[0:1], v[2:3], 1.0
	v_fmac_f64_e32 v[2:3], v[2:3], v[198:199]
	v_mul_f64 v[198:199], v[196:197], v[2:3]
	v_fma_f64 v[0:1], -v[0:1], v[198:199], v[196:197]
	v_div_fmas_f64 v[0:1], v[0:1], v[2:3], v[198:199]
	v_div_fixup_f64 v[0:1], v[0:1], v[194:195], v[192:193]
	v_fmac_f64_e32 v[194:195], v[192:193], v[0:1]
	v_div_scale_f64 v[2:3], s[70:71], v[194:195], v[194:195], 1.0
	v_rcp_f64_e32 v[192:193], v[2:3]
	s_nop 0
	v_fma_f64 v[196:197], -v[2:3], v[192:193], 1.0
	v_fmac_f64_e32 v[192:193], v[192:193], v[196:197]
	v_fma_f64 v[196:197], -v[2:3], v[192:193], 1.0
	v_fmac_f64_e32 v[192:193], v[192:193], v[196:197]
	v_div_scale_f64 v[196:197], vcc, 1.0, v[194:195], 1.0
	v_mul_f64 v[198:199], v[196:197], v[192:193]
	v_fma_f64 v[2:3], -v[2:3], v[198:199], v[196:197]
	s_nop 1
	v_div_fmas_f64 v[2:3], v[2:3], v[192:193], v[198:199]
	v_div_fixup_f64 v[198:199], v[2:3], v[194:195], 1.0
	v_mul_f64 v[196:197], v[0:1], v[198:199]
	v_xor_b32_e32 v199, 0x80000000, v199
                                        ; implicit-def: $vgpr192_vgpr193
.LBB121_537:
	s_andn2_saveexec_b64 s[2:3], s[2:3]
	s_cbranch_execz .LBB121_539
; %bb.538:
	v_div_scale_f64 v[0:1], s[70:71], v[192:193], v[192:193], v[194:195]
	v_rcp_f64_e32 v[2:3], v[0:1]
	v_div_scale_f64 v[196:197], vcc, v[194:195], v[192:193], v[194:195]
	v_fma_f64 v[198:199], -v[0:1], v[2:3], 1.0
	v_fmac_f64_e32 v[2:3], v[2:3], v[198:199]
	v_fma_f64 v[198:199], -v[0:1], v[2:3], 1.0
	v_fmac_f64_e32 v[2:3], v[2:3], v[198:199]
	v_mul_f64 v[198:199], v[196:197], v[2:3]
	v_fma_f64 v[0:1], -v[0:1], v[198:199], v[196:197]
	v_div_fmas_f64 v[0:1], v[0:1], v[2:3], v[198:199]
	v_div_fixup_f64 v[0:1], v[0:1], v[192:193], v[194:195]
	v_fmac_f64_e32 v[192:193], v[194:195], v[0:1]
	v_div_scale_f64 v[2:3], s[70:71], v[192:193], v[192:193], 1.0
	v_rcp_f64_e32 v[194:195], v[2:3]
	s_nop 0
	v_fma_f64 v[196:197], -v[2:3], v[194:195], 1.0
	v_fmac_f64_e32 v[194:195], v[194:195], v[196:197]
	v_fma_f64 v[196:197], -v[2:3], v[194:195], 1.0
	v_fmac_f64_e32 v[194:195], v[194:195], v[196:197]
	v_div_scale_f64 v[196:197], vcc, 1.0, v[192:193], 1.0
	v_mul_f64 v[198:199], v[196:197], v[194:195]
	v_fma_f64 v[2:3], -v[2:3], v[198:199], v[196:197]
	s_nop 1
	v_div_fmas_f64 v[2:3], v[2:3], v[194:195], v[198:199]
	v_div_fixup_f64 v[196:197], v[2:3], v[192:193], 1.0
	v_mul_f64 v[198:199], v[0:1], -v[196:197]
.LBB121_539:
	s_or_b64 exec, exec, s[2:3]
	ds_write2_b64 v253, v[196:197], v[198:199] offset1:1
.LBB121_540:
	s_or_b64 exec, exec, s[4:5]
	s_waitcnt lgkmcnt(0)
	s_barrier
	ds_read2_b64 v[192:195], v253 offset1:1
	v_cmp_lt_u32_e32 vcc, 48, v252
	s_and_saveexec_b64 s[2:3], vcc
	s_cbranch_execz .LBB121_542
; %bb.541:
	scratch_load_dwordx4 v[196:199], off, off offset:768
	ds_read2_b64 v[204:207], v248 offset0:120 offset1:121
	s_waitcnt vmcnt(0) lgkmcnt(1)
	v_mul_f64 v[0:1], v[194:195], v[198:199]
	v_mul_f64 v[202:203], v[192:193], v[198:199]
	v_fma_f64 v[200:201], v[192:193], v[196:197], -v[0:1]
	v_fmac_f64_e32 v[202:203], v[194:195], v[196:197]
	ds_read2_b64 v[196:199], v248 offset0:98 offset1:99
	scratch_store_dwordx4 off, v[200:203], off offset:768
	s_waitcnt lgkmcnt(0)
	v_mul_f64 v[0:1], v[198:199], v[202:203]
	v_mul_f64 v[2:3], v[196:197], v[202:203]
	v_fma_f64 v[0:1], v[196:197], v[200:201], -v[0:1]
	v_fmac_f64_e32 v[2:3], v[198:199], v[200:201]
	scratch_load_dwordx4 v[196:199], off, off offset:784
	s_waitcnt vmcnt(0)
	v_add_f64 v[196:197], v[196:197], -v[0:1]
	v_add_f64 v[198:199], v[198:199], -v[2:3]
	scratch_store_dwordx4 off, v[196:199], off offset:784
	ds_read2_b64 v[196:199], v248 offset0:100 offset1:101
	s_waitcnt lgkmcnt(0)
	v_mul_f64 v[0:1], v[198:199], v[202:203]
	v_mul_f64 v[2:3], v[196:197], v[202:203]
	v_fma_f64 v[0:1], v[196:197], v[200:201], -v[0:1]
	v_fmac_f64_e32 v[2:3], v[198:199], v[200:201]
	scratch_load_dwordx4 v[196:199], off, off offset:800
	s_waitcnt vmcnt(0)
	v_add_f64 v[196:197], v[196:197], -v[0:1]
	v_add_f64 v[198:199], v[198:199], -v[2:3]
	scratch_store_dwordx4 off, v[196:199], off offset:800
	ds_read2_b64 v[196:199], v248 offset0:102 offset1:103
	;; [unrolled: 11-line block ×5, first 2 shown]
	s_waitcnt lgkmcnt(0)
	v_mul_f64 v[0:1], v[198:199], v[202:203]
	v_mul_f64 v[2:3], v[196:197], v[202:203]
	v_fma_f64 v[0:1], v[196:197], v[200:201], -v[0:1]
	v_fmac_f64_e32 v[2:3], v[198:199], v[200:201]
	scratch_load_dwordx4 v[196:199], off, off offset:864
	scratch_load_dwordx4 v[200:203], off, off offset:768
	s_waitcnt vmcnt(1)
	v_add_f64 v[196:197], v[196:197], -v[0:1]
	v_add_f64 v[198:199], v[198:199], -v[2:3]
	scratch_store_dwordx4 off, v[196:199], off offset:864
	ds_read2_b64 v[196:199], v248 offset0:110 offset1:111
	s_waitcnt vmcnt(1) lgkmcnt(0)
	v_mul_f64 v[0:1], v[198:199], v[202:203]
	v_mul_f64 v[2:3], v[196:197], v[202:203]
	v_fma_f64 v[0:1], v[196:197], v[200:201], -v[0:1]
	v_fmac_f64_e32 v[2:3], v[198:199], v[200:201]
	scratch_load_dwordx4 v[196:199], off, off offset:880
	s_waitcnt vmcnt(0)
	v_add_f64 v[196:197], v[196:197], -v[0:1]
	v_add_f64 v[198:199], v[198:199], -v[2:3]
	scratch_store_dwordx4 off, v[196:199], off offset:880
	ds_read2_b64 v[196:199], v248 offset0:112 offset1:113
	s_waitcnt lgkmcnt(0)
	v_mul_f64 v[0:1], v[198:199], v[202:203]
	v_mul_f64 v[2:3], v[196:197], v[202:203]
	v_fma_f64 v[0:1], v[196:197], v[200:201], -v[0:1]
	v_fmac_f64_e32 v[2:3], v[198:199], v[200:201]
	scratch_load_dwordx4 v[196:199], off, off offset:896
	s_waitcnt vmcnt(0)
	v_add_f64 v[196:197], v[196:197], -v[0:1]
	v_add_f64 v[198:199], v[198:199], -v[2:3]
	scratch_store_dwordx4 off, v[196:199], off offset:896
	ds_read2_b64 v[196:199], v248 offset0:114 offset1:115
	s_waitcnt lgkmcnt(0)
	;; [unrolled: 11-line block ×4, first 2 shown]
	v_mul_f64 v[0:1], v[198:199], v[202:203]
	v_mul_f64 v[2:3], v[196:197], v[202:203]
	v_fma_f64 v[0:1], v[196:197], v[200:201], -v[0:1]
	v_fmac_f64_e32 v[2:3], v[198:199], v[200:201]
	scratch_load_dwordx4 v[196:199], off, off offset:944
	s_waitcnt vmcnt(0)
	v_add_f64 v[196:197], v[196:197], -v[0:1]
	v_add_f64 v[198:199], v[198:199], -v[2:3]
	scratch_store_dwordx4 off, v[196:199], off offset:944
	v_mul_f64 v[0:1], v[206:207], v[202:203]
	s_nop 0
	v_mul_f64 v[198:199], v[204:205], v[202:203]
	v_fma_f64 v[196:197], v[204:205], v[200:201], -v[0:1]
	v_fmac_f64_e32 v[198:199], v[206:207], v[200:201]
	scratch_load_dwordx4 v[200:203], off, off offset:960
	s_waitcnt vmcnt(0)
	v_add_f64 v[196:197], v[200:201], -v[196:197]
	v_add_f64 v[198:199], v[202:203], -v[198:199]
	scratch_store_dwordx4 off, v[196:199], off offset:960
.LBB121_542:
	s_or_b64 exec, exec, s[2:3]
	v_cmp_eq_u32_e32 vcc, 49, v252
	s_waitcnt lgkmcnt(0)
	s_barrier
	s_and_saveexec_b64 s[4:5], vcc
	s_cbranch_execz .LBB121_549
; %bb.543:
	scratch_load_dwordx4 v[196:199], off, s20
	s_waitcnt vmcnt(0)
	ds_write2_b64 v253, v[196:197], v[198:199] offset1:1
	scratch_load_dwordx4 v[196:199], off, s19
	s_waitcnt vmcnt(0)
	ds_write2_b64 v248, v[196:197], v[198:199] offset0:100 offset1:101
	scratch_load_dwordx4 v[196:199], off, s18
	s_waitcnt vmcnt(0)
	ds_write2_b64 v248, v[196:197], v[198:199] offset0:102 offset1:103
	;; [unrolled: 3-line block ×11, first 2 shown]
	ds_read2_b64 v[196:199], v253 offset1:1
	s_waitcnt lgkmcnt(0)
	v_cmp_neq_f64_e32 vcc, 0, v[196:197]
	v_cmp_neq_f64_e64 s[2:3], 0, v[198:199]
	s_or_b64 s[2:3], vcc, s[2:3]
	s_and_b64 exec, exec, s[2:3]
	s_cbranch_execz .LBB121_549
; %bb.544:
	v_cmp_ngt_f64_e64 s[2:3], |v[196:197]|, |v[198:199]|
                                        ; implicit-def: $vgpr200_vgpr201
	s_and_saveexec_b64 s[70:71], s[2:3]
	s_xor_b64 s[2:3], exec, s[70:71]
                                        ; implicit-def: $vgpr202_vgpr203
	s_cbranch_execz .LBB121_546
; %bb.545:
	v_div_scale_f64 v[0:1], s[70:71], v[198:199], v[198:199], v[196:197]
	v_rcp_f64_e32 v[2:3], v[0:1]
	v_div_scale_f64 v[200:201], vcc, v[196:197], v[198:199], v[196:197]
	v_fma_f64 v[202:203], -v[0:1], v[2:3], 1.0
	v_fmac_f64_e32 v[2:3], v[2:3], v[202:203]
	v_fma_f64 v[202:203], -v[0:1], v[2:3], 1.0
	v_fmac_f64_e32 v[2:3], v[2:3], v[202:203]
	v_mul_f64 v[202:203], v[200:201], v[2:3]
	v_fma_f64 v[0:1], -v[0:1], v[202:203], v[200:201]
	v_div_fmas_f64 v[0:1], v[0:1], v[2:3], v[202:203]
	v_div_fixup_f64 v[0:1], v[0:1], v[198:199], v[196:197]
	v_fmac_f64_e32 v[198:199], v[196:197], v[0:1]
	v_div_scale_f64 v[2:3], s[70:71], v[198:199], v[198:199], 1.0
	v_rcp_f64_e32 v[196:197], v[2:3]
	s_nop 0
	v_fma_f64 v[200:201], -v[2:3], v[196:197], 1.0
	v_fmac_f64_e32 v[196:197], v[196:197], v[200:201]
	v_fma_f64 v[200:201], -v[2:3], v[196:197], 1.0
	v_fmac_f64_e32 v[196:197], v[196:197], v[200:201]
	v_div_scale_f64 v[200:201], vcc, 1.0, v[198:199], 1.0
	v_mul_f64 v[202:203], v[200:201], v[196:197]
	v_fma_f64 v[2:3], -v[2:3], v[202:203], v[200:201]
	s_nop 1
	v_div_fmas_f64 v[2:3], v[2:3], v[196:197], v[202:203]
	v_div_fixup_f64 v[202:203], v[2:3], v[198:199], 1.0
	v_mul_f64 v[200:201], v[0:1], v[202:203]
	v_xor_b32_e32 v203, 0x80000000, v203
                                        ; implicit-def: $vgpr196_vgpr197
.LBB121_546:
	s_andn2_saveexec_b64 s[2:3], s[2:3]
	s_cbranch_execz .LBB121_548
; %bb.547:
	v_div_scale_f64 v[0:1], s[70:71], v[196:197], v[196:197], v[198:199]
	v_rcp_f64_e32 v[2:3], v[0:1]
	v_div_scale_f64 v[200:201], vcc, v[198:199], v[196:197], v[198:199]
	v_fma_f64 v[202:203], -v[0:1], v[2:3], 1.0
	v_fmac_f64_e32 v[2:3], v[2:3], v[202:203]
	v_fma_f64 v[202:203], -v[0:1], v[2:3], 1.0
	v_fmac_f64_e32 v[2:3], v[2:3], v[202:203]
	v_mul_f64 v[202:203], v[200:201], v[2:3]
	v_fma_f64 v[0:1], -v[0:1], v[202:203], v[200:201]
	v_div_fmas_f64 v[0:1], v[0:1], v[2:3], v[202:203]
	v_div_fixup_f64 v[0:1], v[0:1], v[196:197], v[198:199]
	v_fmac_f64_e32 v[196:197], v[198:199], v[0:1]
	v_div_scale_f64 v[2:3], s[70:71], v[196:197], v[196:197], 1.0
	v_rcp_f64_e32 v[198:199], v[2:3]
	s_nop 0
	v_fma_f64 v[200:201], -v[2:3], v[198:199], 1.0
	v_fmac_f64_e32 v[198:199], v[198:199], v[200:201]
	v_fma_f64 v[200:201], -v[2:3], v[198:199], 1.0
	v_fmac_f64_e32 v[198:199], v[198:199], v[200:201]
	v_div_scale_f64 v[200:201], vcc, 1.0, v[196:197], 1.0
	v_mul_f64 v[202:203], v[200:201], v[198:199]
	v_fma_f64 v[2:3], -v[2:3], v[202:203], v[200:201]
	s_nop 1
	v_div_fmas_f64 v[2:3], v[2:3], v[198:199], v[202:203]
	v_div_fixup_f64 v[200:201], v[2:3], v[196:197], 1.0
	v_mul_f64 v[202:203], v[0:1], -v[200:201]
.LBB121_548:
	s_or_b64 exec, exec, s[2:3]
	ds_write2_b64 v253, v[200:201], v[202:203] offset1:1
.LBB121_549:
	s_or_b64 exec, exec, s[4:5]
	s_waitcnt lgkmcnt(0)
	s_barrier
	ds_read2_b64 v[196:199], v253 offset1:1
	v_cmp_lt_u32_e32 vcc, 49, v252
	s_and_saveexec_b64 s[2:3], vcc
	s_cbranch_execz .LBB121_551
; %bb.550:
	scratch_load_dwordx4 v[200:203], off, off offset:784
	ds_read2_b64 v[208:211], v248 offset0:120 offset1:121
	s_waitcnt vmcnt(0) lgkmcnt(1)
	v_mul_f64 v[0:1], v[198:199], v[202:203]
	v_mul_f64 v[206:207], v[196:197], v[202:203]
	v_fma_f64 v[204:205], v[196:197], v[200:201], -v[0:1]
	v_fmac_f64_e32 v[206:207], v[198:199], v[200:201]
	ds_read2_b64 v[200:203], v248 offset0:100 offset1:101
	scratch_store_dwordx4 off, v[204:207], off offset:784
	s_waitcnt lgkmcnt(0)
	v_mul_f64 v[0:1], v[202:203], v[206:207]
	v_mul_f64 v[2:3], v[200:201], v[206:207]
	v_fma_f64 v[0:1], v[200:201], v[204:205], -v[0:1]
	v_fmac_f64_e32 v[2:3], v[202:203], v[204:205]
	scratch_load_dwordx4 v[200:203], off, off offset:800
	s_waitcnt vmcnt(0)
	v_add_f64 v[200:201], v[200:201], -v[0:1]
	v_add_f64 v[202:203], v[202:203], -v[2:3]
	scratch_store_dwordx4 off, v[200:203], off offset:800
	ds_read2_b64 v[200:203], v248 offset0:102 offset1:103
	s_waitcnt lgkmcnt(0)
	v_mul_f64 v[0:1], v[202:203], v[206:207]
	v_mul_f64 v[2:3], v[200:201], v[206:207]
	v_fma_f64 v[0:1], v[200:201], v[204:205], -v[0:1]
	v_fmac_f64_e32 v[2:3], v[202:203], v[204:205]
	scratch_load_dwordx4 v[200:203], off, off offset:816
	s_waitcnt vmcnt(0)
	v_add_f64 v[200:201], v[200:201], -v[0:1]
	v_add_f64 v[202:203], v[202:203], -v[2:3]
	scratch_store_dwordx4 off, v[200:203], off offset:816
	ds_read2_b64 v[200:203], v248 offset0:104 offset1:105
	;; [unrolled: 11-line block ×5, first 2 shown]
	s_waitcnt lgkmcnt(0)
	v_mul_f64 v[0:1], v[202:203], v[206:207]
	v_mul_f64 v[2:3], v[200:201], v[206:207]
	v_fma_f64 v[0:1], v[200:201], v[204:205], -v[0:1]
	v_fmac_f64_e32 v[2:3], v[202:203], v[204:205]
	scratch_load_dwordx4 v[200:203], off, off offset:880
	scratch_load_dwordx4 v[204:207], off, off offset:784
	s_waitcnt vmcnt(1)
	v_add_f64 v[200:201], v[200:201], -v[0:1]
	v_add_f64 v[202:203], v[202:203], -v[2:3]
	scratch_store_dwordx4 off, v[200:203], off offset:880
	ds_read2_b64 v[200:203], v248 offset0:112 offset1:113
	s_waitcnt vmcnt(1) lgkmcnt(0)
	v_mul_f64 v[0:1], v[202:203], v[206:207]
	v_mul_f64 v[2:3], v[200:201], v[206:207]
	v_fma_f64 v[0:1], v[200:201], v[204:205], -v[0:1]
	v_fmac_f64_e32 v[2:3], v[202:203], v[204:205]
	scratch_load_dwordx4 v[200:203], off, off offset:896
	s_waitcnt vmcnt(0)
	v_add_f64 v[200:201], v[200:201], -v[0:1]
	v_add_f64 v[202:203], v[202:203], -v[2:3]
	scratch_store_dwordx4 off, v[200:203], off offset:896
	ds_read2_b64 v[200:203], v248 offset0:114 offset1:115
	s_waitcnt lgkmcnt(0)
	v_mul_f64 v[0:1], v[202:203], v[206:207]
	v_mul_f64 v[2:3], v[200:201], v[206:207]
	v_fma_f64 v[0:1], v[200:201], v[204:205], -v[0:1]
	v_fmac_f64_e32 v[2:3], v[202:203], v[204:205]
	scratch_load_dwordx4 v[200:203], off, off offset:912
	s_waitcnt vmcnt(0)
	v_add_f64 v[200:201], v[200:201], -v[0:1]
	v_add_f64 v[202:203], v[202:203], -v[2:3]
	scratch_store_dwordx4 off, v[200:203], off offset:912
	ds_read2_b64 v[200:203], v248 offset0:116 offset1:117
	s_waitcnt lgkmcnt(0)
	;; [unrolled: 11-line block ×3, first 2 shown]
	v_mul_f64 v[0:1], v[202:203], v[206:207]
	v_mul_f64 v[2:3], v[200:201], v[206:207]
	v_fma_f64 v[0:1], v[200:201], v[204:205], -v[0:1]
	v_fmac_f64_e32 v[2:3], v[202:203], v[204:205]
	scratch_load_dwordx4 v[200:203], off, off offset:944
	s_waitcnt vmcnt(0)
	v_add_f64 v[200:201], v[200:201], -v[0:1]
	v_add_f64 v[202:203], v[202:203], -v[2:3]
	scratch_store_dwordx4 off, v[200:203], off offset:944
	v_mul_f64 v[0:1], v[210:211], v[206:207]
	s_nop 0
	v_mul_f64 v[202:203], v[208:209], v[206:207]
	v_fma_f64 v[200:201], v[208:209], v[204:205], -v[0:1]
	v_fmac_f64_e32 v[202:203], v[210:211], v[204:205]
	scratch_load_dwordx4 v[204:207], off, off offset:960
	s_waitcnt vmcnt(0)
	v_add_f64 v[200:201], v[204:205], -v[200:201]
	v_add_f64 v[202:203], v[206:207], -v[202:203]
	scratch_store_dwordx4 off, v[200:203], off offset:960
.LBB121_551:
	s_or_b64 exec, exec, s[2:3]
	v_cmp_eq_u32_e32 vcc, 50, v252
	s_waitcnt lgkmcnt(0)
	s_barrier
	s_and_saveexec_b64 s[4:5], vcc
	s_cbranch_execz .LBB121_558
; %bb.552:
	scratch_load_dwordx4 v[200:203], off, s19
	s_waitcnt vmcnt(0)
	ds_write2_b64 v253, v[200:201], v[202:203] offset1:1
	scratch_load_dwordx4 v[200:203], off, s18
	s_waitcnt vmcnt(0)
	ds_write2_b64 v248, v[200:201], v[202:203] offset0:102 offset1:103
	scratch_load_dwordx4 v[200:203], off, s17
	s_waitcnt vmcnt(0)
	ds_write2_b64 v248, v[200:201], v[202:203] offset0:104 offset1:105
	;; [unrolled: 3-line block ×10, first 2 shown]
	ds_read2_b64 v[200:203], v253 offset1:1
	s_waitcnt lgkmcnt(0)
	v_cmp_neq_f64_e32 vcc, 0, v[200:201]
	v_cmp_neq_f64_e64 s[2:3], 0, v[202:203]
	s_or_b64 s[2:3], vcc, s[2:3]
	s_and_b64 exec, exec, s[2:3]
	s_cbranch_execz .LBB121_558
; %bb.553:
	v_cmp_ngt_f64_e64 s[2:3], |v[200:201]|, |v[202:203]|
                                        ; implicit-def: $vgpr204_vgpr205
	s_and_saveexec_b64 s[70:71], s[2:3]
	s_xor_b64 s[2:3], exec, s[70:71]
                                        ; implicit-def: $vgpr206_vgpr207
	s_cbranch_execz .LBB121_555
; %bb.554:
	v_div_scale_f64 v[0:1], s[70:71], v[202:203], v[202:203], v[200:201]
	v_rcp_f64_e32 v[2:3], v[0:1]
	v_div_scale_f64 v[204:205], vcc, v[200:201], v[202:203], v[200:201]
	v_fma_f64 v[206:207], -v[0:1], v[2:3], 1.0
	v_fmac_f64_e32 v[2:3], v[2:3], v[206:207]
	v_fma_f64 v[206:207], -v[0:1], v[2:3], 1.0
	v_fmac_f64_e32 v[2:3], v[2:3], v[206:207]
	v_mul_f64 v[206:207], v[204:205], v[2:3]
	v_fma_f64 v[0:1], -v[0:1], v[206:207], v[204:205]
	v_div_fmas_f64 v[0:1], v[0:1], v[2:3], v[206:207]
	v_div_fixup_f64 v[0:1], v[0:1], v[202:203], v[200:201]
	v_fmac_f64_e32 v[202:203], v[200:201], v[0:1]
	v_div_scale_f64 v[2:3], s[70:71], v[202:203], v[202:203], 1.0
	v_rcp_f64_e32 v[200:201], v[2:3]
	s_nop 0
	v_fma_f64 v[204:205], -v[2:3], v[200:201], 1.0
	v_fmac_f64_e32 v[200:201], v[200:201], v[204:205]
	v_fma_f64 v[204:205], -v[2:3], v[200:201], 1.0
	v_fmac_f64_e32 v[200:201], v[200:201], v[204:205]
	v_div_scale_f64 v[204:205], vcc, 1.0, v[202:203], 1.0
	v_mul_f64 v[206:207], v[204:205], v[200:201]
	v_fma_f64 v[2:3], -v[2:3], v[206:207], v[204:205]
	s_nop 1
	v_div_fmas_f64 v[2:3], v[2:3], v[200:201], v[206:207]
	v_div_fixup_f64 v[206:207], v[2:3], v[202:203], 1.0
	v_mul_f64 v[204:205], v[0:1], v[206:207]
	v_xor_b32_e32 v207, 0x80000000, v207
                                        ; implicit-def: $vgpr200_vgpr201
.LBB121_555:
	s_andn2_saveexec_b64 s[2:3], s[2:3]
	s_cbranch_execz .LBB121_557
; %bb.556:
	v_div_scale_f64 v[0:1], s[70:71], v[200:201], v[200:201], v[202:203]
	v_rcp_f64_e32 v[2:3], v[0:1]
	v_div_scale_f64 v[204:205], vcc, v[202:203], v[200:201], v[202:203]
	v_fma_f64 v[206:207], -v[0:1], v[2:3], 1.0
	v_fmac_f64_e32 v[2:3], v[2:3], v[206:207]
	v_fma_f64 v[206:207], -v[0:1], v[2:3], 1.0
	v_fmac_f64_e32 v[2:3], v[2:3], v[206:207]
	v_mul_f64 v[206:207], v[204:205], v[2:3]
	v_fma_f64 v[0:1], -v[0:1], v[206:207], v[204:205]
	v_div_fmas_f64 v[0:1], v[0:1], v[2:3], v[206:207]
	v_div_fixup_f64 v[0:1], v[0:1], v[200:201], v[202:203]
	v_fmac_f64_e32 v[200:201], v[202:203], v[0:1]
	v_div_scale_f64 v[2:3], s[70:71], v[200:201], v[200:201], 1.0
	v_rcp_f64_e32 v[202:203], v[2:3]
	s_nop 0
	v_fma_f64 v[204:205], -v[2:3], v[202:203], 1.0
	v_fmac_f64_e32 v[202:203], v[202:203], v[204:205]
	v_fma_f64 v[204:205], -v[2:3], v[202:203], 1.0
	v_fmac_f64_e32 v[202:203], v[202:203], v[204:205]
	v_div_scale_f64 v[204:205], vcc, 1.0, v[200:201], 1.0
	v_mul_f64 v[206:207], v[204:205], v[202:203]
	v_fma_f64 v[2:3], -v[2:3], v[206:207], v[204:205]
	s_nop 1
	v_div_fmas_f64 v[2:3], v[2:3], v[202:203], v[206:207]
	v_div_fixup_f64 v[204:205], v[2:3], v[200:201], 1.0
	v_mul_f64 v[206:207], v[0:1], -v[204:205]
.LBB121_557:
	s_or_b64 exec, exec, s[2:3]
	ds_write2_b64 v253, v[204:205], v[206:207] offset1:1
.LBB121_558:
	s_or_b64 exec, exec, s[4:5]
	s_waitcnt lgkmcnt(0)
	s_barrier
	ds_read2_b64 v[200:203], v253 offset1:1
	v_cmp_lt_u32_e32 vcc, 50, v252
	s_and_saveexec_b64 s[2:3], vcc
	s_cbranch_execz .LBB121_560
; %bb.559:
	scratch_load_dwordx4 v[204:207], off, off offset:800
	ds_read2_b64 v[212:215], v248 offset0:120 offset1:121
	s_waitcnt vmcnt(0) lgkmcnt(1)
	v_mul_f64 v[0:1], v[202:203], v[206:207]
	v_mul_f64 v[210:211], v[200:201], v[206:207]
	v_fma_f64 v[208:209], v[200:201], v[204:205], -v[0:1]
	v_fmac_f64_e32 v[210:211], v[202:203], v[204:205]
	ds_read2_b64 v[204:207], v248 offset0:102 offset1:103
	scratch_store_dwordx4 off, v[208:211], off offset:800
	s_waitcnt lgkmcnt(0)
	v_mul_f64 v[0:1], v[206:207], v[210:211]
	v_mul_f64 v[2:3], v[204:205], v[210:211]
	v_fma_f64 v[0:1], v[204:205], v[208:209], -v[0:1]
	v_fmac_f64_e32 v[2:3], v[206:207], v[208:209]
	scratch_load_dwordx4 v[204:207], off, off offset:816
	s_waitcnt vmcnt(0)
	v_add_f64 v[204:205], v[204:205], -v[0:1]
	v_add_f64 v[206:207], v[206:207], -v[2:3]
	scratch_store_dwordx4 off, v[204:207], off offset:816
	ds_read2_b64 v[204:207], v248 offset0:104 offset1:105
	s_waitcnt lgkmcnt(0)
	v_mul_f64 v[0:1], v[206:207], v[210:211]
	v_mul_f64 v[2:3], v[204:205], v[210:211]
	v_fma_f64 v[0:1], v[204:205], v[208:209], -v[0:1]
	v_fmac_f64_e32 v[2:3], v[206:207], v[208:209]
	scratch_load_dwordx4 v[204:207], off, off offset:832
	s_waitcnt vmcnt(0)
	v_add_f64 v[204:205], v[204:205], -v[0:1]
	v_add_f64 v[206:207], v[206:207], -v[2:3]
	scratch_store_dwordx4 off, v[204:207], off offset:832
	ds_read2_b64 v[204:207], v248 offset0:106 offset1:107
	;; [unrolled: 11-line block ×5, first 2 shown]
	s_waitcnt lgkmcnt(0)
	v_mul_f64 v[0:1], v[206:207], v[210:211]
	v_mul_f64 v[2:3], v[204:205], v[210:211]
	v_fma_f64 v[0:1], v[204:205], v[208:209], -v[0:1]
	v_fmac_f64_e32 v[2:3], v[206:207], v[208:209]
	scratch_load_dwordx4 v[204:207], off, off offset:896
	scratch_load_dwordx4 v[208:211], off, off offset:800
	s_waitcnt vmcnt(1)
	v_add_f64 v[204:205], v[204:205], -v[0:1]
	v_add_f64 v[206:207], v[206:207], -v[2:3]
	scratch_store_dwordx4 off, v[204:207], off offset:896
	ds_read2_b64 v[204:207], v248 offset0:114 offset1:115
	s_waitcnt vmcnt(1) lgkmcnt(0)
	v_mul_f64 v[0:1], v[206:207], v[210:211]
	v_mul_f64 v[2:3], v[204:205], v[210:211]
	v_fma_f64 v[0:1], v[204:205], v[208:209], -v[0:1]
	v_fmac_f64_e32 v[2:3], v[206:207], v[208:209]
	scratch_load_dwordx4 v[204:207], off, off offset:912
	s_waitcnt vmcnt(0)
	v_add_f64 v[204:205], v[204:205], -v[0:1]
	v_add_f64 v[206:207], v[206:207], -v[2:3]
	scratch_store_dwordx4 off, v[204:207], off offset:912
	ds_read2_b64 v[204:207], v248 offset0:116 offset1:117
	s_waitcnt lgkmcnt(0)
	v_mul_f64 v[0:1], v[206:207], v[210:211]
	v_mul_f64 v[2:3], v[204:205], v[210:211]
	v_fma_f64 v[0:1], v[204:205], v[208:209], -v[0:1]
	v_fmac_f64_e32 v[2:3], v[206:207], v[208:209]
	scratch_load_dwordx4 v[204:207], off, off offset:928
	s_waitcnt vmcnt(0)
	v_add_f64 v[204:205], v[204:205], -v[0:1]
	v_add_f64 v[206:207], v[206:207], -v[2:3]
	scratch_store_dwordx4 off, v[204:207], off offset:928
	ds_read2_b64 v[204:207], v248 offset0:118 offset1:119
	s_waitcnt lgkmcnt(0)
	v_mul_f64 v[0:1], v[206:207], v[210:211]
	v_mul_f64 v[2:3], v[204:205], v[210:211]
	v_fma_f64 v[0:1], v[204:205], v[208:209], -v[0:1]
	v_fmac_f64_e32 v[2:3], v[206:207], v[208:209]
	scratch_load_dwordx4 v[204:207], off, off offset:944
	s_waitcnt vmcnt(0)
	v_add_f64 v[204:205], v[204:205], -v[0:1]
	v_add_f64 v[206:207], v[206:207], -v[2:3]
	scratch_store_dwordx4 off, v[204:207], off offset:944
	v_mul_f64 v[0:1], v[214:215], v[210:211]
	s_nop 0
	v_mul_f64 v[206:207], v[212:213], v[210:211]
	v_fma_f64 v[204:205], v[212:213], v[208:209], -v[0:1]
	v_fmac_f64_e32 v[206:207], v[214:215], v[208:209]
	scratch_load_dwordx4 v[208:211], off, off offset:960
	s_waitcnt vmcnt(0)
	v_add_f64 v[204:205], v[208:209], -v[204:205]
	v_add_f64 v[206:207], v[210:211], -v[206:207]
	scratch_store_dwordx4 off, v[204:207], off offset:960
.LBB121_560:
	s_or_b64 exec, exec, s[2:3]
	v_cmp_eq_u32_e32 vcc, 51, v252
	s_waitcnt lgkmcnt(0)
	s_barrier
	s_and_saveexec_b64 s[4:5], vcc
	s_cbranch_execz .LBB121_567
; %bb.561:
	scratch_load_dwordx4 v[204:207], off, s18
	s_waitcnt vmcnt(0)
	ds_write2_b64 v253, v[204:205], v[206:207] offset1:1
	scratch_load_dwordx4 v[204:207], off, s17
	s_waitcnt vmcnt(0)
	ds_write2_b64 v248, v[204:205], v[206:207] offset0:104 offset1:105
	scratch_load_dwordx4 v[204:207], off, s16
	s_waitcnt vmcnt(0)
	ds_write2_b64 v248, v[204:205], v[206:207] offset0:106 offset1:107
	scratch_load_dwordx4 v[204:207], off, s15
	s_waitcnt vmcnt(0)
	ds_write2_b64 v248, v[204:205], v[206:207] offset0:108 offset1:109
	scratch_load_dwordx4 v[204:207], off, s14
	s_waitcnt vmcnt(0)
	ds_write2_b64 v248, v[204:205], v[206:207] offset0:110 offset1:111
	scratch_load_dwordx4 v[204:207], off, s13
	s_waitcnt vmcnt(0)
	ds_write2_b64 v248, v[204:205], v[206:207] offset0:112 offset1:113
	scratch_load_dwordx4 v[204:207], off, s12
	s_waitcnt vmcnt(0)
	ds_write2_b64 v248, v[204:205], v[206:207] offset0:114 offset1:115
	scratch_load_dwordx4 v[204:207], off, s11
	s_waitcnt vmcnt(0)
	ds_write2_b64 v248, v[204:205], v[206:207] offset0:116 offset1:117
	scratch_load_dwordx4 v[204:207], off, s10
	s_waitcnt vmcnt(0)
	ds_write2_b64 v248, v[204:205], v[206:207] offset0:118 offset1:119
	scratch_load_dwordx4 v[204:207], off, s8
	s_waitcnt vmcnt(0)
	ds_write2_b64 v248, v[204:205], v[206:207] offset0:120 offset1:121
	ds_read2_b64 v[204:207], v253 offset1:1
	s_waitcnt lgkmcnt(0)
	v_cmp_neq_f64_e32 vcc, 0, v[204:205]
	v_cmp_neq_f64_e64 s[2:3], 0, v[206:207]
	s_or_b64 s[2:3], vcc, s[2:3]
	s_and_b64 exec, exec, s[2:3]
	s_cbranch_execz .LBB121_567
; %bb.562:
	v_cmp_ngt_f64_e64 s[2:3], |v[204:205]|, |v[206:207]|
                                        ; implicit-def: $vgpr208_vgpr209
	s_and_saveexec_b64 s[70:71], s[2:3]
	s_xor_b64 s[2:3], exec, s[70:71]
                                        ; implicit-def: $vgpr210_vgpr211
	s_cbranch_execz .LBB121_564
; %bb.563:
	v_div_scale_f64 v[0:1], s[70:71], v[206:207], v[206:207], v[204:205]
	v_rcp_f64_e32 v[2:3], v[0:1]
	v_div_scale_f64 v[208:209], vcc, v[204:205], v[206:207], v[204:205]
	v_fma_f64 v[210:211], -v[0:1], v[2:3], 1.0
	v_fmac_f64_e32 v[2:3], v[2:3], v[210:211]
	v_fma_f64 v[210:211], -v[0:1], v[2:3], 1.0
	v_fmac_f64_e32 v[2:3], v[2:3], v[210:211]
	v_mul_f64 v[210:211], v[208:209], v[2:3]
	v_fma_f64 v[0:1], -v[0:1], v[210:211], v[208:209]
	v_div_fmas_f64 v[0:1], v[0:1], v[2:3], v[210:211]
	v_div_fixup_f64 v[0:1], v[0:1], v[206:207], v[204:205]
	v_fmac_f64_e32 v[206:207], v[204:205], v[0:1]
	v_div_scale_f64 v[2:3], s[70:71], v[206:207], v[206:207], 1.0
	v_rcp_f64_e32 v[204:205], v[2:3]
	s_nop 0
	v_fma_f64 v[208:209], -v[2:3], v[204:205], 1.0
	v_fmac_f64_e32 v[204:205], v[204:205], v[208:209]
	v_fma_f64 v[208:209], -v[2:3], v[204:205], 1.0
	v_fmac_f64_e32 v[204:205], v[204:205], v[208:209]
	v_div_scale_f64 v[208:209], vcc, 1.0, v[206:207], 1.0
	v_mul_f64 v[210:211], v[208:209], v[204:205]
	v_fma_f64 v[2:3], -v[2:3], v[210:211], v[208:209]
	s_nop 1
	v_div_fmas_f64 v[2:3], v[2:3], v[204:205], v[210:211]
	v_div_fixup_f64 v[210:211], v[2:3], v[206:207], 1.0
	v_mul_f64 v[208:209], v[0:1], v[210:211]
	v_xor_b32_e32 v211, 0x80000000, v211
                                        ; implicit-def: $vgpr204_vgpr205
.LBB121_564:
	s_andn2_saveexec_b64 s[2:3], s[2:3]
	s_cbranch_execz .LBB121_566
; %bb.565:
	v_div_scale_f64 v[0:1], s[70:71], v[204:205], v[204:205], v[206:207]
	v_rcp_f64_e32 v[2:3], v[0:1]
	v_div_scale_f64 v[208:209], vcc, v[206:207], v[204:205], v[206:207]
	v_fma_f64 v[210:211], -v[0:1], v[2:3], 1.0
	v_fmac_f64_e32 v[2:3], v[2:3], v[210:211]
	v_fma_f64 v[210:211], -v[0:1], v[2:3], 1.0
	v_fmac_f64_e32 v[2:3], v[2:3], v[210:211]
	v_mul_f64 v[210:211], v[208:209], v[2:3]
	v_fma_f64 v[0:1], -v[0:1], v[210:211], v[208:209]
	v_div_fmas_f64 v[0:1], v[0:1], v[2:3], v[210:211]
	v_div_fixup_f64 v[0:1], v[0:1], v[204:205], v[206:207]
	v_fmac_f64_e32 v[204:205], v[206:207], v[0:1]
	v_div_scale_f64 v[2:3], s[70:71], v[204:205], v[204:205], 1.0
	v_rcp_f64_e32 v[206:207], v[2:3]
	s_nop 0
	v_fma_f64 v[208:209], -v[2:3], v[206:207], 1.0
	v_fmac_f64_e32 v[206:207], v[206:207], v[208:209]
	v_fma_f64 v[208:209], -v[2:3], v[206:207], 1.0
	v_fmac_f64_e32 v[206:207], v[206:207], v[208:209]
	v_div_scale_f64 v[208:209], vcc, 1.0, v[204:205], 1.0
	v_mul_f64 v[210:211], v[208:209], v[206:207]
	v_fma_f64 v[2:3], -v[2:3], v[210:211], v[208:209]
	s_nop 1
	v_div_fmas_f64 v[2:3], v[2:3], v[206:207], v[210:211]
	v_div_fixup_f64 v[208:209], v[2:3], v[204:205], 1.0
	v_mul_f64 v[210:211], v[0:1], -v[208:209]
.LBB121_566:
	s_or_b64 exec, exec, s[2:3]
	ds_write2_b64 v253, v[208:209], v[210:211] offset1:1
.LBB121_567:
	s_or_b64 exec, exec, s[4:5]
	s_waitcnt lgkmcnt(0)
	s_barrier
	ds_read2_b64 v[204:207], v253 offset1:1
	v_cmp_lt_u32_e32 vcc, 51, v252
	s_and_saveexec_b64 s[2:3], vcc
	s_cbranch_execz .LBB121_569
; %bb.568:
	scratch_load_dwordx4 v[208:211], off, off offset:816
	s_waitcnt vmcnt(0) lgkmcnt(0)
	v_mul_f64 v[0:1], v[206:207], v[210:211]
	v_mul_f64 v[214:215], v[204:205], v[210:211]
	v_fma_f64 v[212:213], v[204:205], v[208:209], -v[0:1]
	v_fmac_f64_e32 v[214:215], v[206:207], v[208:209]
	ds_read2_b64 v[208:211], v248 offset0:104 offset1:105
	scratch_store_dwordx4 off, v[212:215], off offset:816
	s_waitcnt lgkmcnt(0)
	v_mul_f64 v[0:1], v[210:211], v[214:215]
	v_mul_f64 v[2:3], v[208:209], v[214:215]
	v_fma_f64 v[0:1], v[208:209], v[212:213], -v[0:1]
	v_fmac_f64_e32 v[2:3], v[210:211], v[212:213]
	scratch_load_dwordx4 v[208:211], off, off offset:832
	s_waitcnt vmcnt(0)
	v_add_f64 v[208:209], v[208:209], -v[0:1]
	v_add_f64 v[210:211], v[210:211], -v[2:3]
	scratch_store_dwordx4 off, v[208:211], off offset:832
	ds_read2_b64 v[208:211], v248 offset0:106 offset1:107
	s_waitcnt lgkmcnt(0)
	v_mul_f64 v[0:1], v[210:211], v[214:215]
	v_mul_f64 v[2:3], v[208:209], v[214:215]
	v_fma_f64 v[0:1], v[208:209], v[212:213], -v[0:1]
	v_fmac_f64_e32 v[2:3], v[210:211], v[212:213]
	scratch_load_dwordx4 v[208:211], off, off offset:848
	s_waitcnt vmcnt(0)
	v_add_f64 v[208:209], v[208:209], -v[0:1]
	v_add_f64 v[210:211], v[210:211], -v[2:3]
	scratch_store_dwordx4 off, v[208:211], off offset:848
	ds_read2_b64 v[208:211], v248 offset0:108 offset1:109
	;; [unrolled: 11-line block ×5, first 2 shown]
	s_waitcnt lgkmcnt(0)
	v_mul_f64 v[0:1], v[210:211], v[214:215]
	v_mul_f64 v[2:3], v[208:209], v[214:215]
	v_fma_f64 v[0:1], v[208:209], v[212:213], -v[0:1]
	v_fmac_f64_e32 v[2:3], v[210:211], v[212:213]
	scratch_load_dwordx4 v[208:211], off, off offset:912
	scratch_load_dwordx4 v[212:215], off, off offset:816
	s_waitcnt vmcnt(1)
	v_add_f64 v[208:209], v[208:209], -v[0:1]
	v_add_f64 v[210:211], v[210:211], -v[2:3]
	scratch_store_dwordx4 off, v[208:211], off offset:912
	ds_read2_b64 v[208:211], v248 offset0:116 offset1:117
	s_waitcnt vmcnt(1) lgkmcnt(0)
	v_mul_f64 v[0:1], v[210:211], v[214:215]
	v_mul_f64 v[2:3], v[208:209], v[214:215]
	v_fma_f64 v[0:1], v[208:209], v[212:213], -v[0:1]
	v_fmac_f64_e32 v[2:3], v[210:211], v[212:213]
	scratch_load_dwordx4 v[208:211], off, off offset:928
	s_waitcnt vmcnt(0)
	v_add_f64 v[208:209], v[208:209], -v[0:1]
	v_add_f64 v[210:211], v[210:211], -v[2:3]
	scratch_store_dwordx4 off, v[208:211], off offset:928
	ds_read2_b64 v[208:211], v248 offset0:118 offset1:119
	s_waitcnt lgkmcnt(0)
	v_mul_f64 v[0:1], v[210:211], v[214:215]
	v_mul_f64 v[2:3], v[208:209], v[214:215]
	v_fma_f64 v[0:1], v[208:209], v[212:213], -v[0:1]
	v_fmac_f64_e32 v[2:3], v[210:211], v[212:213]
	scratch_load_dwordx4 v[208:211], off, off offset:944
	s_waitcnt vmcnt(0)
	v_add_f64 v[208:209], v[208:209], -v[0:1]
	v_add_f64 v[210:211], v[210:211], -v[2:3]
	scratch_store_dwordx4 off, v[208:211], off offset:944
	ds_read2_b64 v[208:211], v248 offset0:120 offset1:121
	s_waitcnt lgkmcnt(0)
	v_mul_f64 v[0:1], v[210:211], v[214:215]
	v_mul_f64 v[2:3], v[208:209], v[214:215]
	v_fma_f64 v[0:1], v[208:209], v[212:213], -v[0:1]
	v_fmac_f64_e32 v[2:3], v[210:211], v[212:213]
	scratch_load_dwordx4 v[208:211], off, off offset:960
	s_waitcnt vmcnt(0)
	v_add_f64 v[208:209], v[208:209], -v[0:1]
	v_add_f64 v[210:211], v[210:211], -v[2:3]
	scratch_store_dwordx4 off, v[208:211], off offset:960
.LBB121_569:
	s_or_b64 exec, exec, s[2:3]
	v_cmp_eq_u32_e32 vcc, 52, v252
	s_waitcnt lgkmcnt(0)
	s_barrier
	s_and_saveexec_b64 s[4:5], vcc
	s_cbranch_execz .LBB121_576
; %bb.570:
	scratch_load_dwordx4 v[208:211], off, s17
	s_waitcnt vmcnt(0)
	ds_write2_b64 v253, v[208:209], v[210:211] offset1:1
	scratch_load_dwordx4 v[208:211], off, s16
	s_waitcnt vmcnt(0)
	ds_write2_b64 v248, v[208:209], v[210:211] offset0:106 offset1:107
	scratch_load_dwordx4 v[208:211], off, s15
	s_waitcnt vmcnt(0)
	ds_write2_b64 v248, v[208:209], v[210:211] offset0:108 offset1:109
	;; [unrolled: 3-line block ×8, first 2 shown]
	ds_read2_b64 v[208:211], v253 offset1:1
	s_waitcnt lgkmcnt(0)
	v_cmp_neq_f64_e32 vcc, 0, v[208:209]
	v_cmp_neq_f64_e64 s[2:3], 0, v[210:211]
	s_or_b64 s[2:3], vcc, s[2:3]
	s_and_b64 exec, exec, s[2:3]
	s_cbranch_execz .LBB121_576
; %bb.571:
	v_cmp_ngt_f64_e64 s[2:3], |v[208:209]|, |v[210:211]|
                                        ; implicit-def: $vgpr212_vgpr213
	s_and_saveexec_b64 s[70:71], s[2:3]
	s_xor_b64 s[2:3], exec, s[70:71]
                                        ; implicit-def: $vgpr214_vgpr215
	s_cbranch_execz .LBB121_573
; %bb.572:
	v_div_scale_f64 v[0:1], s[70:71], v[210:211], v[210:211], v[208:209]
	v_rcp_f64_e32 v[2:3], v[0:1]
	v_div_scale_f64 v[212:213], vcc, v[208:209], v[210:211], v[208:209]
	v_fma_f64 v[214:215], -v[0:1], v[2:3], 1.0
	v_fmac_f64_e32 v[2:3], v[2:3], v[214:215]
	v_fma_f64 v[214:215], -v[0:1], v[2:3], 1.0
	v_fmac_f64_e32 v[2:3], v[2:3], v[214:215]
	v_mul_f64 v[214:215], v[212:213], v[2:3]
	v_fma_f64 v[0:1], -v[0:1], v[214:215], v[212:213]
	v_div_fmas_f64 v[0:1], v[0:1], v[2:3], v[214:215]
	v_div_fixup_f64 v[0:1], v[0:1], v[210:211], v[208:209]
	v_fmac_f64_e32 v[210:211], v[208:209], v[0:1]
	v_div_scale_f64 v[2:3], s[70:71], v[210:211], v[210:211], 1.0
	v_rcp_f64_e32 v[208:209], v[2:3]
	s_nop 0
	v_fma_f64 v[212:213], -v[2:3], v[208:209], 1.0
	v_fmac_f64_e32 v[208:209], v[208:209], v[212:213]
	v_fma_f64 v[212:213], -v[2:3], v[208:209], 1.0
	v_fmac_f64_e32 v[208:209], v[208:209], v[212:213]
	v_div_scale_f64 v[212:213], vcc, 1.0, v[210:211], 1.0
	v_mul_f64 v[214:215], v[212:213], v[208:209]
	v_fma_f64 v[2:3], -v[2:3], v[214:215], v[212:213]
	s_nop 1
	v_div_fmas_f64 v[2:3], v[2:3], v[208:209], v[214:215]
	v_div_fixup_f64 v[214:215], v[2:3], v[210:211], 1.0
	v_mul_f64 v[212:213], v[0:1], v[214:215]
	v_xor_b32_e32 v215, 0x80000000, v215
                                        ; implicit-def: $vgpr208_vgpr209
.LBB121_573:
	s_andn2_saveexec_b64 s[2:3], s[2:3]
	s_cbranch_execz .LBB121_575
; %bb.574:
	v_div_scale_f64 v[0:1], s[70:71], v[208:209], v[208:209], v[210:211]
	v_rcp_f64_e32 v[2:3], v[0:1]
	v_div_scale_f64 v[212:213], vcc, v[210:211], v[208:209], v[210:211]
	v_fma_f64 v[214:215], -v[0:1], v[2:3], 1.0
	v_fmac_f64_e32 v[2:3], v[2:3], v[214:215]
	v_fma_f64 v[214:215], -v[0:1], v[2:3], 1.0
	v_fmac_f64_e32 v[2:3], v[2:3], v[214:215]
	v_mul_f64 v[214:215], v[212:213], v[2:3]
	v_fma_f64 v[0:1], -v[0:1], v[214:215], v[212:213]
	v_div_fmas_f64 v[0:1], v[0:1], v[2:3], v[214:215]
	v_div_fixup_f64 v[0:1], v[0:1], v[208:209], v[210:211]
	v_fmac_f64_e32 v[208:209], v[210:211], v[0:1]
	v_div_scale_f64 v[2:3], s[70:71], v[208:209], v[208:209], 1.0
	v_rcp_f64_e32 v[210:211], v[2:3]
	s_nop 0
	v_fma_f64 v[212:213], -v[2:3], v[210:211], 1.0
	v_fmac_f64_e32 v[210:211], v[210:211], v[212:213]
	v_fma_f64 v[212:213], -v[2:3], v[210:211], 1.0
	v_fmac_f64_e32 v[210:211], v[210:211], v[212:213]
	v_div_scale_f64 v[212:213], vcc, 1.0, v[208:209], 1.0
	v_mul_f64 v[214:215], v[212:213], v[210:211]
	v_fma_f64 v[2:3], -v[2:3], v[214:215], v[212:213]
	s_nop 1
	v_div_fmas_f64 v[2:3], v[2:3], v[210:211], v[214:215]
	v_div_fixup_f64 v[212:213], v[2:3], v[208:209], 1.0
	v_mul_f64 v[214:215], v[0:1], -v[212:213]
.LBB121_575:
	s_or_b64 exec, exec, s[2:3]
	ds_write2_b64 v253, v[212:213], v[214:215] offset1:1
.LBB121_576:
	s_or_b64 exec, exec, s[4:5]
	s_waitcnt lgkmcnt(0)
	s_barrier
	ds_read2_b64 v[208:211], v253 offset1:1
	v_cmp_lt_u32_e32 vcc, 52, v252
	s_and_saveexec_b64 s[2:3], vcc
	s_cbranch_execz .LBB121_578
; %bb.577:
	scratch_load_dwordx4 v[212:215], off, off offset:832
	s_waitcnt vmcnt(0) lgkmcnt(0)
	v_mul_f64 v[0:1], v[210:211], v[214:215]
	v_mul_f64 v[218:219], v[208:209], v[214:215]
	v_fma_f64 v[216:217], v[208:209], v[212:213], -v[0:1]
	v_fmac_f64_e32 v[218:219], v[210:211], v[212:213]
	ds_read2_b64 v[212:215], v248 offset0:106 offset1:107
	scratch_store_dwordx4 off, v[216:219], off offset:832
	s_waitcnt lgkmcnt(0)
	v_mul_f64 v[0:1], v[214:215], v[218:219]
	v_mul_f64 v[2:3], v[212:213], v[218:219]
	v_fma_f64 v[0:1], v[212:213], v[216:217], -v[0:1]
	v_fmac_f64_e32 v[2:3], v[214:215], v[216:217]
	scratch_load_dwordx4 v[212:215], off, off offset:848
	s_waitcnt vmcnt(0)
	v_add_f64 v[212:213], v[212:213], -v[0:1]
	v_add_f64 v[214:215], v[214:215], -v[2:3]
	scratch_store_dwordx4 off, v[212:215], off offset:848
	ds_read2_b64 v[212:215], v248 offset0:108 offset1:109
	s_waitcnt lgkmcnt(0)
	v_mul_f64 v[0:1], v[214:215], v[218:219]
	v_mul_f64 v[2:3], v[212:213], v[218:219]
	v_fma_f64 v[0:1], v[212:213], v[216:217], -v[0:1]
	v_fmac_f64_e32 v[2:3], v[214:215], v[216:217]
	scratch_load_dwordx4 v[212:215], off, off offset:864
	s_waitcnt vmcnt(0)
	v_add_f64 v[212:213], v[212:213], -v[0:1]
	v_add_f64 v[214:215], v[214:215], -v[2:3]
	scratch_store_dwordx4 off, v[212:215], off offset:864
	ds_read2_b64 v[212:215], v248 offset0:110 offset1:111
	;; [unrolled: 11-line block ×5, first 2 shown]
	s_waitcnt lgkmcnt(0)
	v_mul_f64 v[0:1], v[214:215], v[218:219]
	v_mul_f64 v[2:3], v[212:213], v[218:219]
	v_fma_f64 v[0:1], v[212:213], v[216:217], -v[0:1]
	v_fmac_f64_e32 v[2:3], v[214:215], v[216:217]
	scratch_load_dwordx4 v[212:215], off, off offset:928
	scratch_load_dwordx4 v[216:219], off, off offset:832
	s_waitcnt vmcnt(1)
	v_add_f64 v[212:213], v[212:213], -v[0:1]
	v_add_f64 v[214:215], v[214:215], -v[2:3]
	scratch_store_dwordx4 off, v[212:215], off offset:928
	ds_read2_b64 v[212:215], v248 offset0:118 offset1:119
	s_waitcnt vmcnt(1) lgkmcnt(0)
	v_mul_f64 v[0:1], v[214:215], v[218:219]
	v_mul_f64 v[2:3], v[212:213], v[218:219]
	v_fma_f64 v[0:1], v[212:213], v[216:217], -v[0:1]
	v_fmac_f64_e32 v[2:3], v[214:215], v[216:217]
	scratch_load_dwordx4 v[212:215], off, off offset:944
	s_waitcnt vmcnt(0)
	v_add_f64 v[212:213], v[212:213], -v[0:1]
	v_add_f64 v[214:215], v[214:215], -v[2:3]
	scratch_store_dwordx4 off, v[212:215], off offset:944
	ds_read2_b64 v[212:215], v248 offset0:120 offset1:121
	s_waitcnt lgkmcnt(0)
	v_mul_f64 v[0:1], v[214:215], v[218:219]
	v_mul_f64 v[2:3], v[212:213], v[218:219]
	v_fma_f64 v[0:1], v[212:213], v[216:217], -v[0:1]
	v_fmac_f64_e32 v[2:3], v[214:215], v[216:217]
	scratch_load_dwordx4 v[212:215], off, off offset:960
	s_waitcnt vmcnt(0)
	v_add_f64 v[212:213], v[212:213], -v[0:1]
	v_add_f64 v[214:215], v[214:215], -v[2:3]
	scratch_store_dwordx4 off, v[212:215], off offset:960
.LBB121_578:
	s_or_b64 exec, exec, s[2:3]
	v_cmp_eq_u32_e32 vcc, 53, v252
	s_waitcnt lgkmcnt(0)
	s_barrier
	s_and_saveexec_b64 s[4:5], vcc
	s_cbranch_execz .LBB121_585
; %bb.579:
	scratch_load_dwordx4 v[212:215], off, s16
	s_waitcnt vmcnt(0)
	ds_write2_b64 v253, v[212:213], v[214:215] offset1:1
	scratch_load_dwordx4 v[212:215], off, s15
	s_waitcnt vmcnt(0)
	ds_write2_b64 v248, v[212:213], v[214:215] offset0:108 offset1:109
	scratch_load_dwordx4 v[212:215], off, s14
	s_waitcnt vmcnt(0)
	ds_write2_b64 v248, v[212:213], v[214:215] offset0:110 offset1:111
	;; [unrolled: 3-line block ×7, first 2 shown]
	ds_read2_b64 v[212:215], v253 offset1:1
	s_waitcnt lgkmcnt(0)
	v_cmp_neq_f64_e32 vcc, 0, v[212:213]
	v_cmp_neq_f64_e64 s[2:3], 0, v[214:215]
	s_or_b64 s[2:3], vcc, s[2:3]
	s_and_b64 exec, exec, s[2:3]
	s_cbranch_execz .LBB121_585
; %bb.580:
	v_cmp_ngt_f64_e64 s[2:3], |v[212:213]|, |v[214:215]|
                                        ; implicit-def: $vgpr216_vgpr217
	s_and_saveexec_b64 s[70:71], s[2:3]
	s_xor_b64 s[2:3], exec, s[70:71]
                                        ; implicit-def: $vgpr218_vgpr219
	s_cbranch_execz .LBB121_582
; %bb.581:
	v_div_scale_f64 v[0:1], s[70:71], v[214:215], v[214:215], v[212:213]
	v_rcp_f64_e32 v[2:3], v[0:1]
	v_div_scale_f64 v[216:217], vcc, v[212:213], v[214:215], v[212:213]
	v_fma_f64 v[218:219], -v[0:1], v[2:3], 1.0
	v_fmac_f64_e32 v[2:3], v[2:3], v[218:219]
	v_fma_f64 v[218:219], -v[0:1], v[2:3], 1.0
	v_fmac_f64_e32 v[2:3], v[2:3], v[218:219]
	v_mul_f64 v[218:219], v[216:217], v[2:3]
	v_fma_f64 v[0:1], -v[0:1], v[218:219], v[216:217]
	v_div_fmas_f64 v[0:1], v[0:1], v[2:3], v[218:219]
	v_div_fixup_f64 v[0:1], v[0:1], v[214:215], v[212:213]
	v_fmac_f64_e32 v[214:215], v[212:213], v[0:1]
	v_div_scale_f64 v[2:3], s[70:71], v[214:215], v[214:215], 1.0
	v_rcp_f64_e32 v[212:213], v[2:3]
	s_nop 0
	v_fma_f64 v[216:217], -v[2:3], v[212:213], 1.0
	v_fmac_f64_e32 v[212:213], v[212:213], v[216:217]
	v_fma_f64 v[216:217], -v[2:3], v[212:213], 1.0
	v_fmac_f64_e32 v[212:213], v[212:213], v[216:217]
	v_div_scale_f64 v[216:217], vcc, 1.0, v[214:215], 1.0
	v_mul_f64 v[218:219], v[216:217], v[212:213]
	v_fma_f64 v[2:3], -v[2:3], v[218:219], v[216:217]
	s_nop 1
	v_div_fmas_f64 v[2:3], v[2:3], v[212:213], v[218:219]
	v_div_fixup_f64 v[218:219], v[2:3], v[214:215], 1.0
	v_mul_f64 v[216:217], v[0:1], v[218:219]
	v_xor_b32_e32 v219, 0x80000000, v219
                                        ; implicit-def: $vgpr212_vgpr213
.LBB121_582:
	s_andn2_saveexec_b64 s[2:3], s[2:3]
	s_cbranch_execz .LBB121_584
; %bb.583:
	v_div_scale_f64 v[0:1], s[70:71], v[212:213], v[212:213], v[214:215]
	v_rcp_f64_e32 v[2:3], v[0:1]
	v_div_scale_f64 v[216:217], vcc, v[214:215], v[212:213], v[214:215]
	v_fma_f64 v[218:219], -v[0:1], v[2:3], 1.0
	v_fmac_f64_e32 v[2:3], v[2:3], v[218:219]
	v_fma_f64 v[218:219], -v[0:1], v[2:3], 1.0
	v_fmac_f64_e32 v[2:3], v[2:3], v[218:219]
	v_mul_f64 v[218:219], v[216:217], v[2:3]
	v_fma_f64 v[0:1], -v[0:1], v[218:219], v[216:217]
	v_div_fmas_f64 v[0:1], v[0:1], v[2:3], v[218:219]
	v_div_fixup_f64 v[0:1], v[0:1], v[212:213], v[214:215]
	v_fmac_f64_e32 v[212:213], v[214:215], v[0:1]
	v_div_scale_f64 v[2:3], s[70:71], v[212:213], v[212:213], 1.0
	v_rcp_f64_e32 v[214:215], v[2:3]
	s_nop 0
	v_fma_f64 v[216:217], -v[2:3], v[214:215], 1.0
	v_fmac_f64_e32 v[214:215], v[214:215], v[216:217]
	v_fma_f64 v[216:217], -v[2:3], v[214:215], 1.0
	v_fmac_f64_e32 v[214:215], v[214:215], v[216:217]
	v_div_scale_f64 v[216:217], vcc, 1.0, v[212:213], 1.0
	v_mul_f64 v[218:219], v[216:217], v[214:215]
	v_fma_f64 v[2:3], -v[2:3], v[218:219], v[216:217]
	s_nop 1
	v_div_fmas_f64 v[2:3], v[2:3], v[214:215], v[218:219]
	v_div_fixup_f64 v[216:217], v[2:3], v[212:213], 1.0
	v_mul_f64 v[218:219], v[0:1], -v[216:217]
.LBB121_584:
	s_or_b64 exec, exec, s[2:3]
	ds_write2_b64 v253, v[216:217], v[218:219] offset1:1
.LBB121_585:
	s_or_b64 exec, exec, s[4:5]
	s_waitcnt lgkmcnt(0)
	s_barrier
	ds_read2_b64 v[212:215], v253 offset1:1
	v_cmp_lt_u32_e32 vcc, 53, v252
	s_and_saveexec_b64 s[2:3], vcc
	s_cbranch_execz .LBB121_587
; %bb.586:
	scratch_load_dwordx4 v[216:219], off, off offset:848
	s_waitcnt vmcnt(0) lgkmcnt(0)
	v_mul_f64 v[0:1], v[214:215], v[218:219]
	v_mul_f64 v[222:223], v[212:213], v[218:219]
	v_fma_f64 v[220:221], v[212:213], v[216:217], -v[0:1]
	v_fmac_f64_e32 v[222:223], v[214:215], v[216:217]
	ds_read2_b64 v[216:219], v248 offset0:108 offset1:109
	scratch_store_dwordx4 off, v[220:223], off offset:848
	s_waitcnt lgkmcnt(0)
	v_mul_f64 v[0:1], v[218:219], v[222:223]
	v_mul_f64 v[2:3], v[216:217], v[222:223]
	v_fma_f64 v[0:1], v[216:217], v[220:221], -v[0:1]
	v_fmac_f64_e32 v[2:3], v[218:219], v[220:221]
	scratch_load_dwordx4 v[216:219], off, off offset:864
	s_waitcnt vmcnt(0)
	v_add_f64 v[216:217], v[216:217], -v[0:1]
	v_add_f64 v[218:219], v[218:219], -v[2:3]
	scratch_store_dwordx4 off, v[216:219], off offset:864
	ds_read2_b64 v[216:219], v248 offset0:110 offset1:111
	s_waitcnt lgkmcnt(0)
	v_mul_f64 v[0:1], v[218:219], v[222:223]
	v_mul_f64 v[2:3], v[216:217], v[222:223]
	v_fma_f64 v[0:1], v[216:217], v[220:221], -v[0:1]
	v_fmac_f64_e32 v[2:3], v[218:219], v[220:221]
	scratch_load_dwordx4 v[216:219], off, off offset:880
	s_waitcnt vmcnt(0)
	v_add_f64 v[216:217], v[216:217], -v[0:1]
	v_add_f64 v[218:219], v[218:219], -v[2:3]
	scratch_store_dwordx4 off, v[216:219], off offset:880
	ds_read2_b64 v[216:219], v248 offset0:112 offset1:113
	;; [unrolled: 11-line block ×5, first 2 shown]
	s_waitcnt lgkmcnt(0)
	v_mul_f64 v[0:1], v[218:219], v[222:223]
	v_mul_f64 v[2:3], v[216:217], v[222:223]
	v_fma_f64 v[0:1], v[216:217], v[220:221], -v[0:1]
	v_fmac_f64_e32 v[2:3], v[218:219], v[220:221]
	scratch_load_dwordx4 v[216:219], off, off offset:944
	scratch_load_dwordx4 v[220:223], off, off offset:848
	s_waitcnt vmcnt(1)
	v_add_f64 v[216:217], v[216:217], -v[0:1]
	v_add_f64 v[218:219], v[218:219], -v[2:3]
	scratch_store_dwordx4 off, v[216:219], off offset:944
	ds_read2_b64 v[216:219], v248 offset0:120 offset1:121
	s_waitcnt vmcnt(1) lgkmcnt(0)
	v_mul_f64 v[0:1], v[218:219], v[222:223]
	v_mul_f64 v[2:3], v[216:217], v[222:223]
	v_fma_f64 v[0:1], v[216:217], v[220:221], -v[0:1]
	v_fmac_f64_e32 v[2:3], v[218:219], v[220:221]
	scratch_load_dwordx4 v[216:219], off, off offset:960
	s_waitcnt vmcnt(0)
	v_add_f64 v[216:217], v[216:217], -v[0:1]
	v_add_f64 v[218:219], v[218:219], -v[2:3]
	scratch_store_dwordx4 off, v[216:219], off offset:960
.LBB121_587:
	s_or_b64 exec, exec, s[2:3]
	v_cmp_eq_u32_e32 vcc, 54, v252
	s_waitcnt lgkmcnt(0)
	s_barrier
	s_and_saveexec_b64 s[4:5], vcc
	s_cbranch_execz .LBB121_594
; %bb.588:
	scratch_load_dwordx4 v[216:219], off, s15
	s_waitcnt vmcnt(0)
	ds_write2_b64 v253, v[216:217], v[218:219] offset1:1
	scratch_load_dwordx4 v[216:219], off, s14
	s_waitcnt vmcnt(0)
	ds_write2_b64 v248, v[216:217], v[218:219] offset0:110 offset1:111
	scratch_load_dwordx4 v[216:219], off, s13
	s_waitcnt vmcnt(0)
	ds_write2_b64 v248, v[216:217], v[218:219] offset0:112 offset1:113
	;; [unrolled: 3-line block ×6, first 2 shown]
	ds_read2_b64 v[216:219], v253 offset1:1
	s_waitcnt lgkmcnt(0)
	v_cmp_neq_f64_e32 vcc, 0, v[216:217]
	v_cmp_neq_f64_e64 s[2:3], 0, v[218:219]
	s_or_b64 s[2:3], vcc, s[2:3]
	s_and_b64 exec, exec, s[2:3]
	s_cbranch_execz .LBB121_594
; %bb.589:
	v_cmp_ngt_f64_e64 s[2:3], |v[216:217]|, |v[218:219]|
                                        ; implicit-def: $vgpr220_vgpr221
	s_and_saveexec_b64 s[70:71], s[2:3]
	s_xor_b64 s[2:3], exec, s[70:71]
                                        ; implicit-def: $vgpr222_vgpr223
	s_cbranch_execz .LBB121_591
; %bb.590:
	v_div_scale_f64 v[0:1], s[70:71], v[218:219], v[218:219], v[216:217]
	v_rcp_f64_e32 v[2:3], v[0:1]
	v_div_scale_f64 v[220:221], vcc, v[216:217], v[218:219], v[216:217]
	v_fma_f64 v[222:223], -v[0:1], v[2:3], 1.0
	v_fmac_f64_e32 v[2:3], v[2:3], v[222:223]
	v_fma_f64 v[222:223], -v[0:1], v[2:3], 1.0
	v_fmac_f64_e32 v[2:3], v[2:3], v[222:223]
	v_mul_f64 v[222:223], v[220:221], v[2:3]
	v_fma_f64 v[0:1], -v[0:1], v[222:223], v[220:221]
	v_div_fmas_f64 v[0:1], v[0:1], v[2:3], v[222:223]
	v_div_fixup_f64 v[0:1], v[0:1], v[218:219], v[216:217]
	v_fmac_f64_e32 v[218:219], v[216:217], v[0:1]
	v_div_scale_f64 v[2:3], s[70:71], v[218:219], v[218:219], 1.0
	v_rcp_f64_e32 v[216:217], v[2:3]
	s_nop 0
	v_fma_f64 v[220:221], -v[2:3], v[216:217], 1.0
	v_fmac_f64_e32 v[216:217], v[216:217], v[220:221]
	v_fma_f64 v[220:221], -v[2:3], v[216:217], 1.0
	v_fmac_f64_e32 v[216:217], v[216:217], v[220:221]
	v_div_scale_f64 v[220:221], vcc, 1.0, v[218:219], 1.0
	v_mul_f64 v[222:223], v[220:221], v[216:217]
	v_fma_f64 v[2:3], -v[2:3], v[222:223], v[220:221]
	s_nop 1
	v_div_fmas_f64 v[2:3], v[2:3], v[216:217], v[222:223]
	v_div_fixup_f64 v[222:223], v[2:3], v[218:219], 1.0
	v_mul_f64 v[220:221], v[0:1], v[222:223]
	v_xor_b32_e32 v223, 0x80000000, v223
                                        ; implicit-def: $vgpr216_vgpr217
.LBB121_591:
	s_andn2_saveexec_b64 s[2:3], s[2:3]
	s_cbranch_execz .LBB121_593
; %bb.592:
	v_div_scale_f64 v[0:1], s[70:71], v[216:217], v[216:217], v[218:219]
	v_rcp_f64_e32 v[2:3], v[0:1]
	v_div_scale_f64 v[220:221], vcc, v[218:219], v[216:217], v[218:219]
	v_fma_f64 v[222:223], -v[0:1], v[2:3], 1.0
	v_fmac_f64_e32 v[2:3], v[2:3], v[222:223]
	v_fma_f64 v[222:223], -v[0:1], v[2:3], 1.0
	v_fmac_f64_e32 v[2:3], v[2:3], v[222:223]
	v_mul_f64 v[222:223], v[220:221], v[2:3]
	v_fma_f64 v[0:1], -v[0:1], v[222:223], v[220:221]
	v_div_fmas_f64 v[0:1], v[0:1], v[2:3], v[222:223]
	v_div_fixup_f64 v[0:1], v[0:1], v[216:217], v[218:219]
	v_fmac_f64_e32 v[216:217], v[218:219], v[0:1]
	v_div_scale_f64 v[2:3], s[70:71], v[216:217], v[216:217], 1.0
	v_rcp_f64_e32 v[218:219], v[2:3]
	s_nop 0
	v_fma_f64 v[220:221], -v[2:3], v[218:219], 1.0
	v_fmac_f64_e32 v[218:219], v[218:219], v[220:221]
	v_fma_f64 v[220:221], -v[2:3], v[218:219], 1.0
	v_fmac_f64_e32 v[218:219], v[218:219], v[220:221]
	v_div_scale_f64 v[220:221], vcc, 1.0, v[216:217], 1.0
	v_mul_f64 v[222:223], v[220:221], v[218:219]
	v_fma_f64 v[2:3], -v[2:3], v[222:223], v[220:221]
	s_nop 1
	v_div_fmas_f64 v[2:3], v[2:3], v[218:219], v[222:223]
	v_div_fixup_f64 v[220:221], v[2:3], v[216:217], 1.0
	v_mul_f64 v[222:223], v[0:1], -v[220:221]
.LBB121_593:
	s_or_b64 exec, exec, s[2:3]
	ds_write2_b64 v253, v[220:221], v[222:223] offset1:1
.LBB121_594:
	s_or_b64 exec, exec, s[4:5]
	s_waitcnt lgkmcnt(0)
	s_barrier
	ds_read2_b64 v[216:219], v253 offset1:1
	v_cmp_lt_u32_e32 vcc, 54, v252
	s_and_saveexec_b64 s[2:3], vcc
	s_cbranch_execz .LBB121_596
; %bb.595:
	scratch_load_dwordx4 v[220:223], off, off offset:864
	s_waitcnt vmcnt(0) lgkmcnt(0)
	v_mul_f64 v[0:1], v[218:219], v[222:223]
	v_mul_f64 v[226:227], v[216:217], v[222:223]
	v_fma_f64 v[224:225], v[216:217], v[220:221], -v[0:1]
	v_fmac_f64_e32 v[226:227], v[218:219], v[220:221]
	ds_read2_b64 v[220:223], v248 offset0:110 offset1:111
	scratch_store_dwordx4 off, v[224:227], off offset:864
	s_waitcnt lgkmcnt(0)
	v_mul_f64 v[0:1], v[222:223], v[226:227]
	v_mul_f64 v[2:3], v[220:221], v[226:227]
	v_fma_f64 v[0:1], v[220:221], v[224:225], -v[0:1]
	v_fmac_f64_e32 v[2:3], v[222:223], v[224:225]
	scratch_load_dwordx4 v[220:223], off, off offset:880
	s_waitcnt vmcnt(0)
	v_add_f64 v[220:221], v[220:221], -v[0:1]
	v_add_f64 v[222:223], v[222:223], -v[2:3]
	scratch_store_dwordx4 off, v[220:223], off offset:880
	ds_read2_b64 v[220:223], v248 offset0:112 offset1:113
	s_waitcnt lgkmcnt(0)
	v_mul_f64 v[0:1], v[222:223], v[226:227]
	v_mul_f64 v[2:3], v[220:221], v[226:227]
	v_fma_f64 v[0:1], v[220:221], v[224:225], -v[0:1]
	v_fmac_f64_e32 v[2:3], v[222:223], v[224:225]
	scratch_load_dwordx4 v[220:223], off, off offset:896
	s_waitcnt vmcnt(0)
	v_add_f64 v[220:221], v[220:221], -v[0:1]
	v_add_f64 v[222:223], v[222:223], -v[2:3]
	scratch_store_dwordx4 off, v[220:223], off offset:896
	ds_read2_b64 v[220:223], v248 offset0:114 offset1:115
	;; [unrolled: 11-line block ×5, first 2 shown]
	s_waitcnt lgkmcnt(0)
	v_mul_f64 v[0:1], v[222:223], v[226:227]
	v_mul_f64 v[2:3], v[220:221], v[226:227]
	v_fma_f64 v[0:1], v[220:221], v[224:225], -v[0:1]
	v_fmac_f64_e32 v[2:3], v[222:223], v[224:225]
	scratch_load_dwordx4 v[220:223], off, off offset:960
	s_waitcnt vmcnt(0)
	v_add_f64 v[220:221], v[220:221], -v[0:1]
	v_add_f64 v[222:223], v[222:223], -v[2:3]
	scratch_store_dwordx4 off, v[220:223], off offset:960
.LBB121_596:
	s_or_b64 exec, exec, s[2:3]
	v_cmp_eq_u32_e32 vcc, 55, v252
	s_waitcnt lgkmcnt(0)
	s_barrier
	s_and_saveexec_b64 s[4:5], vcc
	s_cbranch_execz .LBB121_603
; %bb.597:
	scratch_load_dwordx4 v[220:223], off, s14
	s_waitcnt vmcnt(0)
	ds_write2_b64 v253, v[220:221], v[222:223] offset1:1
	scratch_load_dwordx4 v[220:223], off, s13
	s_waitcnt vmcnt(0)
	ds_write2_b64 v248, v[220:221], v[222:223] offset0:112 offset1:113
	scratch_load_dwordx4 v[220:223], off, s12
	s_waitcnt vmcnt(0)
	ds_write2_b64 v248, v[220:221], v[222:223] offset0:114 offset1:115
	;; [unrolled: 3-line block ×5, first 2 shown]
	ds_read2_b64 v[220:223], v253 offset1:1
	s_waitcnt lgkmcnt(0)
	v_cmp_neq_f64_e32 vcc, 0, v[220:221]
	v_cmp_neq_f64_e64 s[2:3], 0, v[222:223]
	s_or_b64 s[2:3], vcc, s[2:3]
	s_and_b64 exec, exec, s[2:3]
	s_cbranch_execz .LBB121_603
; %bb.598:
	v_cmp_ngt_f64_e64 s[2:3], |v[220:221]|, |v[222:223]|
                                        ; implicit-def: $vgpr224_vgpr225
	s_and_saveexec_b64 s[70:71], s[2:3]
	s_xor_b64 s[2:3], exec, s[70:71]
                                        ; implicit-def: $vgpr226_vgpr227
	s_cbranch_execz .LBB121_600
; %bb.599:
	v_div_scale_f64 v[0:1], s[70:71], v[222:223], v[222:223], v[220:221]
	v_rcp_f64_e32 v[2:3], v[0:1]
	v_div_scale_f64 v[224:225], vcc, v[220:221], v[222:223], v[220:221]
	v_fma_f64 v[226:227], -v[0:1], v[2:3], 1.0
	v_fmac_f64_e32 v[2:3], v[2:3], v[226:227]
	v_fma_f64 v[226:227], -v[0:1], v[2:3], 1.0
	v_fmac_f64_e32 v[2:3], v[2:3], v[226:227]
	v_mul_f64 v[226:227], v[224:225], v[2:3]
	v_fma_f64 v[0:1], -v[0:1], v[226:227], v[224:225]
	v_div_fmas_f64 v[0:1], v[0:1], v[2:3], v[226:227]
	v_div_fixup_f64 v[0:1], v[0:1], v[222:223], v[220:221]
	v_fmac_f64_e32 v[222:223], v[220:221], v[0:1]
	v_div_scale_f64 v[2:3], s[70:71], v[222:223], v[222:223], 1.0
	v_rcp_f64_e32 v[220:221], v[2:3]
	s_nop 0
	v_fma_f64 v[224:225], -v[2:3], v[220:221], 1.0
	v_fmac_f64_e32 v[220:221], v[220:221], v[224:225]
	v_fma_f64 v[224:225], -v[2:3], v[220:221], 1.0
	v_fmac_f64_e32 v[220:221], v[220:221], v[224:225]
	v_div_scale_f64 v[224:225], vcc, 1.0, v[222:223], 1.0
	v_mul_f64 v[226:227], v[224:225], v[220:221]
	v_fma_f64 v[2:3], -v[2:3], v[226:227], v[224:225]
	s_nop 1
	v_div_fmas_f64 v[2:3], v[2:3], v[220:221], v[226:227]
	v_div_fixup_f64 v[226:227], v[2:3], v[222:223], 1.0
	v_mul_f64 v[224:225], v[0:1], v[226:227]
	v_xor_b32_e32 v227, 0x80000000, v227
                                        ; implicit-def: $vgpr220_vgpr221
.LBB121_600:
	s_andn2_saveexec_b64 s[2:3], s[2:3]
	s_cbranch_execz .LBB121_602
; %bb.601:
	v_div_scale_f64 v[0:1], s[70:71], v[220:221], v[220:221], v[222:223]
	v_rcp_f64_e32 v[2:3], v[0:1]
	v_div_scale_f64 v[224:225], vcc, v[222:223], v[220:221], v[222:223]
	v_fma_f64 v[226:227], -v[0:1], v[2:3], 1.0
	v_fmac_f64_e32 v[2:3], v[2:3], v[226:227]
	v_fma_f64 v[226:227], -v[0:1], v[2:3], 1.0
	v_fmac_f64_e32 v[2:3], v[2:3], v[226:227]
	v_mul_f64 v[226:227], v[224:225], v[2:3]
	v_fma_f64 v[0:1], -v[0:1], v[226:227], v[224:225]
	v_div_fmas_f64 v[0:1], v[0:1], v[2:3], v[226:227]
	v_div_fixup_f64 v[0:1], v[0:1], v[220:221], v[222:223]
	v_fmac_f64_e32 v[220:221], v[222:223], v[0:1]
	v_div_scale_f64 v[2:3], s[70:71], v[220:221], v[220:221], 1.0
	v_rcp_f64_e32 v[222:223], v[2:3]
	s_nop 0
	v_fma_f64 v[224:225], -v[2:3], v[222:223], 1.0
	v_fmac_f64_e32 v[222:223], v[222:223], v[224:225]
	v_fma_f64 v[224:225], -v[2:3], v[222:223], 1.0
	v_fmac_f64_e32 v[222:223], v[222:223], v[224:225]
	v_div_scale_f64 v[224:225], vcc, 1.0, v[220:221], 1.0
	v_mul_f64 v[226:227], v[224:225], v[222:223]
	v_fma_f64 v[2:3], -v[2:3], v[226:227], v[224:225]
	s_nop 1
	v_div_fmas_f64 v[2:3], v[2:3], v[222:223], v[226:227]
	v_div_fixup_f64 v[224:225], v[2:3], v[220:221], 1.0
	v_mul_f64 v[226:227], v[0:1], -v[224:225]
.LBB121_602:
	s_or_b64 exec, exec, s[2:3]
	ds_write2_b64 v253, v[224:225], v[226:227] offset1:1
.LBB121_603:
	s_or_b64 exec, exec, s[4:5]
	s_waitcnt lgkmcnt(0)
	s_barrier
	ds_read2_b64 v[220:223], v253 offset1:1
	v_cmp_lt_u32_e32 vcc, 55, v252
	s_and_saveexec_b64 s[2:3], vcc
	s_cbranch_execz .LBB121_605
; %bb.604:
	scratch_load_dwordx4 v[224:227], off, off offset:880
	s_waitcnt vmcnt(0) lgkmcnt(0)
	v_mul_f64 v[0:1], v[222:223], v[226:227]
	v_mul_f64 v[230:231], v[220:221], v[226:227]
	v_fma_f64 v[228:229], v[220:221], v[224:225], -v[0:1]
	v_fmac_f64_e32 v[230:231], v[222:223], v[224:225]
	ds_read2_b64 v[224:227], v248 offset0:112 offset1:113
	scratch_store_dwordx4 off, v[228:231], off offset:880
	s_waitcnt lgkmcnt(0)
	v_mul_f64 v[0:1], v[226:227], v[230:231]
	v_mul_f64 v[2:3], v[224:225], v[230:231]
	v_fma_f64 v[0:1], v[224:225], v[228:229], -v[0:1]
	v_fmac_f64_e32 v[2:3], v[226:227], v[228:229]
	scratch_load_dwordx4 v[224:227], off, off offset:896
	s_waitcnt vmcnt(0)
	v_add_f64 v[224:225], v[224:225], -v[0:1]
	v_add_f64 v[226:227], v[226:227], -v[2:3]
	scratch_store_dwordx4 off, v[224:227], off offset:896
	ds_read2_b64 v[224:227], v248 offset0:114 offset1:115
	s_waitcnt lgkmcnt(0)
	v_mul_f64 v[0:1], v[226:227], v[230:231]
	v_mul_f64 v[2:3], v[224:225], v[230:231]
	v_fma_f64 v[0:1], v[224:225], v[228:229], -v[0:1]
	v_fmac_f64_e32 v[2:3], v[226:227], v[228:229]
	scratch_load_dwordx4 v[224:227], off, off offset:912
	s_waitcnt vmcnt(0)
	v_add_f64 v[224:225], v[224:225], -v[0:1]
	v_add_f64 v[226:227], v[226:227], -v[2:3]
	scratch_store_dwordx4 off, v[224:227], off offset:912
	ds_read2_b64 v[224:227], v248 offset0:116 offset1:117
	s_waitcnt lgkmcnt(0)
	v_mul_f64 v[0:1], v[226:227], v[230:231]
	v_mul_f64 v[2:3], v[224:225], v[230:231]
	v_fma_f64 v[0:1], v[224:225], v[228:229], -v[0:1]
	v_fmac_f64_e32 v[2:3], v[226:227], v[228:229]
	scratch_load_dwordx4 v[224:227], off, off offset:928
	s_waitcnt vmcnt(0)
	v_add_f64 v[224:225], v[224:225], -v[0:1]
	v_add_f64 v[226:227], v[226:227], -v[2:3]
	scratch_store_dwordx4 off, v[224:227], off offset:928
	ds_read2_b64 v[224:227], v248 offset0:118 offset1:119
	s_waitcnt lgkmcnt(0)
	v_mul_f64 v[0:1], v[226:227], v[230:231]
	v_mul_f64 v[2:3], v[224:225], v[230:231]
	v_fma_f64 v[0:1], v[224:225], v[228:229], -v[0:1]
	v_fmac_f64_e32 v[2:3], v[226:227], v[228:229]
	scratch_load_dwordx4 v[224:227], off, off offset:944
	s_waitcnt vmcnt(0)
	v_add_f64 v[224:225], v[224:225], -v[0:1]
	v_add_f64 v[226:227], v[226:227], -v[2:3]
	scratch_store_dwordx4 off, v[224:227], off offset:944
	ds_read2_b64 v[224:227], v248 offset0:120 offset1:121
	s_waitcnt lgkmcnt(0)
	v_mul_f64 v[0:1], v[226:227], v[230:231]
	v_mul_f64 v[2:3], v[224:225], v[230:231]
	v_fma_f64 v[0:1], v[224:225], v[228:229], -v[0:1]
	v_fmac_f64_e32 v[2:3], v[226:227], v[228:229]
	scratch_load_dwordx4 v[224:227], off, off offset:960
	s_waitcnt vmcnt(0)
	v_add_f64 v[224:225], v[224:225], -v[0:1]
	v_add_f64 v[226:227], v[226:227], -v[2:3]
	scratch_store_dwordx4 off, v[224:227], off offset:960
.LBB121_605:
	s_or_b64 exec, exec, s[2:3]
	v_cmp_eq_u32_e32 vcc, 56, v252
	s_waitcnt lgkmcnt(0)
	s_barrier
	s_and_saveexec_b64 s[4:5], vcc
	s_cbranch_execz .LBB121_612
; %bb.606:
	scratch_load_dwordx4 v[224:227], off, s13
	s_waitcnt vmcnt(0)
	ds_write2_b64 v253, v[224:225], v[226:227] offset1:1
	scratch_load_dwordx4 v[224:227], off, s12
	s_waitcnt vmcnt(0)
	ds_write2_b64 v248, v[224:225], v[226:227] offset0:114 offset1:115
	scratch_load_dwordx4 v[224:227], off, s11
	s_waitcnt vmcnt(0)
	ds_write2_b64 v248, v[224:225], v[226:227] offset0:116 offset1:117
	;; [unrolled: 3-line block ×4, first 2 shown]
	ds_read2_b64 v[224:227], v253 offset1:1
	s_waitcnt lgkmcnt(0)
	v_cmp_neq_f64_e32 vcc, 0, v[224:225]
	v_cmp_neq_f64_e64 s[2:3], 0, v[226:227]
	s_or_b64 s[2:3], vcc, s[2:3]
	s_and_b64 exec, exec, s[2:3]
	s_cbranch_execz .LBB121_612
; %bb.607:
	v_cmp_ngt_f64_e64 s[2:3], |v[224:225]|, |v[226:227]|
                                        ; implicit-def: $vgpr228_vgpr229
	s_and_saveexec_b64 s[70:71], s[2:3]
	s_xor_b64 s[2:3], exec, s[70:71]
                                        ; implicit-def: $vgpr230_vgpr231
	s_cbranch_execz .LBB121_609
; %bb.608:
	v_div_scale_f64 v[0:1], s[70:71], v[226:227], v[226:227], v[224:225]
	v_rcp_f64_e32 v[2:3], v[0:1]
	v_div_scale_f64 v[228:229], vcc, v[224:225], v[226:227], v[224:225]
	v_fma_f64 v[230:231], -v[0:1], v[2:3], 1.0
	v_fmac_f64_e32 v[2:3], v[2:3], v[230:231]
	v_fma_f64 v[230:231], -v[0:1], v[2:3], 1.0
	v_fmac_f64_e32 v[2:3], v[2:3], v[230:231]
	v_mul_f64 v[230:231], v[228:229], v[2:3]
	v_fma_f64 v[0:1], -v[0:1], v[230:231], v[228:229]
	v_div_fmas_f64 v[0:1], v[0:1], v[2:3], v[230:231]
	v_div_fixup_f64 v[0:1], v[0:1], v[226:227], v[224:225]
	v_fmac_f64_e32 v[226:227], v[224:225], v[0:1]
	v_div_scale_f64 v[2:3], s[70:71], v[226:227], v[226:227], 1.0
	v_rcp_f64_e32 v[224:225], v[2:3]
	s_nop 0
	v_fma_f64 v[228:229], -v[2:3], v[224:225], 1.0
	v_fmac_f64_e32 v[224:225], v[224:225], v[228:229]
	v_fma_f64 v[228:229], -v[2:3], v[224:225], 1.0
	v_fmac_f64_e32 v[224:225], v[224:225], v[228:229]
	v_div_scale_f64 v[228:229], vcc, 1.0, v[226:227], 1.0
	v_mul_f64 v[230:231], v[228:229], v[224:225]
	v_fma_f64 v[2:3], -v[2:3], v[230:231], v[228:229]
	s_nop 1
	v_div_fmas_f64 v[2:3], v[2:3], v[224:225], v[230:231]
	v_div_fixup_f64 v[230:231], v[2:3], v[226:227], 1.0
	v_mul_f64 v[228:229], v[0:1], v[230:231]
	v_xor_b32_e32 v231, 0x80000000, v231
                                        ; implicit-def: $vgpr224_vgpr225
.LBB121_609:
	s_andn2_saveexec_b64 s[2:3], s[2:3]
	s_cbranch_execz .LBB121_611
; %bb.610:
	v_div_scale_f64 v[0:1], s[70:71], v[224:225], v[224:225], v[226:227]
	v_rcp_f64_e32 v[2:3], v[0:1]
	v_div_scale_f64 v[228:229], vcc, v[226:227], v[224:225], v[226:227]
	v_fma_f64 v[230:231], -v[0:1], v[2:3], 1.0
	v_fmac_f64_e32 v[2:3], v[2:3], v[230:231]
	v_fma_f64 v[230:231], -v[0:1], v[2:3], 1.0
	v_fmac_f64_e32 v[2:3], v[2:3], v[230:231]
	v_mul_f64 v[230:231], v[228:229], v[2:3]
	v_fma_f64 v[0:1], -v[0:1], v[230:231], v[228:229]
	v_div_fmas_f64 v[0:1], v[0:1], v[2:3], v[230:231]
	v_div_fixup_f64 v[0:1], v[0:1], v[224:225], v[226:227]
	v_fmac_f64_e32 v[224:225], v[226:227], v[0:1]
	v_div_scale_f64 v[2:3], s[70:71], v[224:225], v[224:225], 1.0
	v_rcp_f64_e32 v[226:227], v[2:3]
	s_nop 0
	v_fma_f64 v[228:229], -v[2:3], v[226:227], 1.0
	v_fmac_f64_e32 v[226:227], v[226:227], v[228:229]
	v_fma_f64 v[228:229], -v[2:3], v[226:227], 1.0
	v_fmac_f64_e32 v[226:227], v[226:227], v[228:229]
	v_div_scale_f64 v[228:229], vcc, 1.0, v[224:225], 1.0
	v_mul_f64 v[230:231], v[228:229], v[226:227]
	v_fma_f64 v[2:3], -v[2:3], v[230:231], v[228:229]
	s_nop 1
	v_div_fmas_f64 v[2:3], v[2:3], v[226:227], v[230:231]
	v_div_fixup_f64 v[228:229], v[2:3], v[224:225], 1.0
	v_mul_f64 v[230:231], v[0:1], -v[228:229]
.LBB121_611:
	s_or_b64 exec, exec, s[2:3]
	ds_write2_b64 v253, v[228:229], v[230:231] offset1:1
.LBB121_612:
	s_or_b64 exec, exec, s[4:5]
	s_waitcnt lgkmcnt(0)
	s_barrier
	ds_read2_b64 v[224:227], v253 offset1:1
	v_cmp_lt_u32_e32 vcc, 56, v252
	s_and_saveexec_b64 s[2:3], vcc
	s_cbranch_execz .LBB121_614
; %bb.613:
	scratch_load_dwordx4 v[228:231], off, off offset:896
	s_waitcnt vmcnt(0) lgkmcnt(0)
	v_mul_f64 v[0:1], v[226:227], v[230:231]
	v_mul_f64 v[234:235], v[224:225], v[230:231]
	v_fma_f64 v[232:233], v[224:225], v[228:229], -v[0:1]
	v_fmac_f64_e32 v[234:235], v[226:227], v[228:229]
	ds_read2_b64 v[228:231], v248 offset0:114 offset1:115
	scratch_store_dwordx4 off, v[232:235], off offset:896
	s_waitcnt lgkmcnt(0)
	v_mul_f64 v[0:1], v[230:231], v[234:235]
	v_mul_f64 v[2:3], v[228:229], v[234:235]
	v_fma_f64 v[0:1], v[228:229], v[232:233], -v[0:1]
	v_fmac_f64_e32 v[2:3], v[230:231], v[232:233]
	scratch_load_dwordx4 v[228:231], off, off offset:912
	s_waitcnt vmcnt(0)
	v_add_f64 v[228:229], v[228:229], -v[0:1]
	v_add_f64 v[230:231], v[230:231], -v[2:3]
	scratch_store_dwordx4 off, v[228:231], off offset:912
	ds_read2_b64 v[228:231], v248 offset0:116 offset1:117
	s_waitcnt lgkmcnt(0)
	v_mul_f64 v[0:1], v[230:231], v[234:235]
	v_mul_f64 v[2:3], v[228:229], v[234:235]
	v_fma_f64 v[0:1], v[228:229], v[232:233], -v[0:1]
	v_fmac_f64_e32 v[2:3], v[230:231], v[232:233]
	scratch_load_dwordx4 v[228:231], off, off offset:928
	s_waitcnt vmcnt(0)
	v_add_f64 v[228:229], v[228:229], -v[0:1]
	v_add_f64 v[230:231], v[230:231], -v[2:3]
	scratch_store_dwordx4 off, v[228:231], off offset:928
	ds_read2_b64 v[228:231], v248 offset0:118 offset1:119
	;; [unrolled: 11-line block ×3, first 2 shown]
	s_waitcnt lgkmcnt(0)
	v_mul_f64 v[0:1], v[230:231], v[234:235]
	v_mul_f64 v[2:3], v[228:229], v[234:235]
	v_fma_f64 v[0:1], v[228:229], v[232:233], -v[0:1]
	v_fmac_f64_e32 v[2:3], v[230:231], v[232:233]
	scratch_load_dwordx4 v[228:231], off, off offset:960
	s_waitcnt vmcnt(0)
	v_add_f64 v[228:229], v[228:229], -v[0:1]
	v_add_f64 v[230:231], v[230:231], -v[2:3]
	scratch_store_dwordx4 off, v[228:231], off offset:960
.LBB121_614:
	s_or_b64 exec, exec, s[2:3]
	v_cmp_eq_u32_e32 vcc, 57, v252
	s_waitcnt lgkmcnt(0)
	s_barrier
	s_and_saveexec_b64 s[4:5], vcc
	s_cbranch_execz .LBB121_621
; %bb.615:
	scratch_load_dwordx4 v[228:231], off, s12
	s_waitcnt vmcnt(0)
	ds_write2_b64 v253, v[228:229], v[230:231] offset1:1
	scratch_load_dwordx4 v[228:231], off, s11
	s_waitcnt vmcnt(0)
	ds_write2_b64 v248, v[228:229], v[230:231] offset0:116 offset1:117
	scratch_load_dwordx4 v[228:231], off, s10
	s_waitcnt vmcnt(0)
	ds_write2_b64 v248, v[228:229], v[230:231] offset0:118 offset1:119
	scratch_load_dwordx4 v[228:231], off, s8
	s_waitcnt vmcnt(0)
	ds_write2_b64 v248, v[228:229], v[230:231] offset0:120 offset1:121
	ds_read2_b64 v[228:231], v253 offset1:1
	s_waitcnt lgkmcnt(0)
	v_cmp_neq_f64_e32 vcc, 0, v[228:229]
	v_cmp_neq_f64_e64 s[2:3], 0, v[230:231]
	s_or_b64 s[2:3], vcc, s[2:3]
	s_and_b64 exec, exec, s[2:3]
	s_cbranch_execz .LBB121_621
; %bb.616:
	v_cmp_ngt_f64_e64 s[2:3], |v[228:229]|, |v[230:231]|
                                        ; implicit-def: $vgpr232_vgpr233
	s_and_saveexec_b64 s[70:71], s[2:3]
	s_xor_b64 s[2:3], exec, s[70:71]
                                        ; implicit-def: $vgpr234_vgpr235
	s_cbranch_execz .LBB121_618
; %bb.617:
	v_div_scale_f64 v[0:1], s[70:71], v[230:231], v[230:231], v[228:229]
	v_rcp_f64_e32 v[2:3], v[0:1]
	v_div_scale_f64 v[232:233], vcc, v[228:229], v[230:231], v[228:229]
	v_fma_f64 v[234:235], -v[0:1], v[2:3], 1.0
	v_fmac_f64_e32 v[2:3], v[2:3], v[234:235]
	v_fma_f64 v[234:235], -v[0:1], v[2:3], 1.0
	v_fmac_f64_e32 v[2:3], v[2:3], v[234:235]
	v_mul_f64 v[234:235], v[232:233], v[2:3]
	v_fma_f64 v[0:1], -v[0:1], v[234:235], v[232:233]
	v_div_fmas_f64 v[0:1], v[0:1], v[2:3], v[234:235]
	v_div_fixup_f64 v[0:1], v[0:1], v[230:231], v[228:229]
	v_fmac_f64_e32 v[230:231], v[228:229], v[0:1]
	v_div_scale_f64 v[2:3], s[70:71], v[230:231], v[230:231], 1.0
	v_rcp_f64_e32 v[228:229], v[2:3]
	s_nop 0
	v_fma_f64 v[232:233], -v[2:3], v[228:229], 1.0
	v_fmac_f64_e32 v[228:229], v[228:229], v[232:233]
	v_fma_f64 v[232:233], -v[2:3], v[228:229], 1.0
	v_fmac_f64_e32 v[228:229], v[228:229], v[232:233]
	v_div_scale_f64 v[232:233], vcc, 1.0, v[230:231], 1.0
	v_mul_f64 v[234:235], v[232:233], v[228:229]
	v_fma_f64 v[2:3], -v[2:3], v[234:235], v[232:233]
	s_nop 1
	v_div_fmas_f64 v[2:3], v[2:3], v[228:229], v[234:235]
	v_div_fixup_f64 v[234:235], v[2:3], v[230:231], 1.0
	v_mul_f64 v[232:233], v[0:1], v[234:235]
	v_xor_b32_e32 v235, 0x80000000, v235
                                        ; implicit-def: $vgpr228_vgpr229
.LBB121_618:
	s_andn2_saveexec_b64 s[2:3], s[2:3]
	s_cbranch_execz .LBB121_620
; %bb.619:
	v_div_scale_f64 v[0:1], s[70:71], v[228:229], v[228:229], v[230:231]
	v_rcp_f64_e32 v[2:3], v[0:1]
	v_div_scale_f64 v[232:233], vcc, v[230:231], v[228:229], v[230:231]
	v_fma_f64 v[234:235], -v[0:1], v[2:3], 1.0
	v_fmac_f64_e32 v[2:3], v[2:3], v[234:235]
	v_fma_f64 v[234:235], -v[0:1], v[2:3], 1.0
	v_fmac_f64_e32 v[2:3], v[2:3], v[234:235]
	v_mul_f64 v[234:235], v[232:233], v[2:3]
	v_fma_f64 v[0:1], -v[0:1], v[234:235], v[232:233]
	v_div_fmas_f64 v[0:1], v[0:1], v[2:3], v[234:235]
	v_div_fixup_f64 v[0:1], v[0:1], v[228:229], v[230:231]
	v_fmac_f64_e32 v[228:229], v[230:231], v[0:1]
	v_div_scale_f64 v[2:3], s[70:71], v[228:229], v[228:229], 1.0
	v_rcp_f64_e32 v[230:231], v[2:3]
	s_nop 0
	v_fma_f64 v[232:233], -v[2:3], v[230:231], 1.0
	v_fmac_f64_e32 v[230:231], v[230:231], v[232:233]
	v_fma_f64 v[232:233], -v[2:3], v[230:231], 1.0
	v_fmac_f64_e32 v[230:231], v[230:231], v[232:233]
	v_div_scale_f64 v[232:233], vcc, 1.0, v[228:229], 1.0
	v_mul_f64 v[234:235], v[232:233], v[230:231]
	v_fma_f64 v[2:3], -v[2:3], v[234:235], v[232:233]
	s_nop 1
	v_div_fmas_f64 v[2:3], v[2:3], v[230:231], v[234:235]
	v_div_fixup_f64 v[232:233], v[2:3], v[228:229], 1.0
	v_mul_f64 v[234:235], v[0:1], -v[232:233]
.LBB121_620:
	s_or_b64 exec, exec, s[2:3]
	ds_write2_b64 v253, v[232:233], v[234:235] offset1:1
.LBB121_621:
	s_or_b64 exec, exec, s[4:5]
	s_waitcnt lgkmcnt(0)
	s_barrier
	ds_read2_b64 v[228:231], v253 offset1:1
	v_cmp_lt_u32_e32 vcc, 57, v252
	s_and_saveexec_b64 s[2:3], vcc
	s_cbranch_execz .LBB121_623
; %bb.622:
	scratch_load_dwordx4 v[232:235], off, off offset:912
	s_waitcnt vmcnt(0) lgkmcnt(0)
	v_mul_f64 v[0:1], v[230:231], v[234:235]
	v_mul_f64 v[238:239], v[228:229], v[234:235]
	v_fma_f64 v[236:237], v[228:229], v[232:233], -v[0:1]
	v_fmac_f64_e32 v[238:239], v[230:231], v[232:233]
	ds_read2_b64 v[232:235], v248 offset0:116 offset1:117
	scratch_store_dwordx4 off, v[236:239], off offset:912
	s_waitcnt lgkmcnt(0)
	v_mul_f64 v[0:1], v[234:235], v[238:239]
	v_mul_f64 v[2:3], v[232:233], v[238:239]
	v_fma_f64 v[0:1], v[232:233], v[236:237], -v[0:1]
	v_fmac_f64_e32 v[2:3], v[234:235], v[236:237]
	scratch_load_dwordx4 v[232:235], off, off offset:928
	s_waitcnt vmcnt(0)
	v_add_f64 v[232:233], v[232:233], -v[0:1]
	v_add_f64 v[234:235], v[234:235], -v[2:3]
	scratch_store_dwordx4 off, v[232:235], off offset:928
	ds_read2_b64 v[232:235], v248 offset0:118 offset1:119
	s_waitcnt lgkmcnt(0)
	v_mul_f64 v[0:1], v[234:235], v[238:239]
	v_mul_f64 v[2:3], v[232:233], v[238:239]
	v_fma_f64 v[0:1], v[232:233], v[236:237], -v[0:1]
	v_fmac_f64_e32 v[2:3], v[234:235], v[236:237]
	scratch_load_dwordx4 v[232:235], off, off offset:944
	s_waitcnt vmcnt(0)
	v_add_f64 v[232:233], v[232:233], -v[0:1]
	v_add_f64 v[234:235], v[234:235], -v[2:3]
	scratch_store_dwordx4 off, v[232:235], off offset:944
	ds_read2_b64 v[232:235], v248 offset0:120 offset1:121
	s_waitcnt lgkmcnt(0)
	v_mul_f64 v[0:1], v[234:235], v[238:239]
	v_mul_f64 v[2:3], v[232:233], v[238:239]
	v_fma_f64 v[0:1], v[232:233], v[236:237], -v[0:1]
	v_fmac_f64_e32 v[2:3], v[234:235], v[236:237]
	scratch_load_dwordx4 v[232:235], off, off offset:960
	s_waitcnt vmcnt(0)
	v_add_f64 v[232:233], v[232:233], -v[0:1]
	v_add_f64 v[234:235], v[234:235], -v[2:3]
	scratch_store_dwordx4 off, v[232:235], off offset:960
.LBB121_623:
	s_or_b64 exec, exec, s[2:3]
	v_cmp_eq_u32_e32 vcc, 58, v252
	s_waitcnt lgkmcnt(0)
	s_barrier
	s_and_saveexec_b64 s[4:5], vcc
	s_cbranch_execz .LBB121_630
; %bb.624:
	scratch_load_dwordx4 v[232:235], off, s11
	s_waitcnt vmcnt(0)
	ds_write2_b64 v253, v[232:233], v[234:235] offset1:1
	scratch_load_dwordx4 v[232:235], off, s10
	s_waitcnt vmcnt(0)
	ds_write2_b64 v248, v[232:233], v[234:235] offset0:118 offset1:119
	scratch_load_dwordx4 v[232:235], off, s8
	s_waitcnt vmcnt(0)
	ds_write2_b64 v248, v[232:233], v[234:235] offset0:120 offset1:121
	ds_read2_b64 v[232:235], v253 offset1:1
	s_waitcnt lgkmcnt(0)
	v_cmp_neq_f64_e32 vcc, 0, v[232:233]
	v_cmp_neq_f64_e64 s[2:3], 0, v[234:235]
	s_or_b64 s[2:3], vcc, s[2:3]
	s_and_b64 exec, exec, s[2:3]
	s_cbranch_execz .LBB121_630
; %bb.625:
	v_cmp_ngt_f64_e64 s[2:3], |v[232:233]|, |v[234:235]|
                                        ; implicit-def: $vgpr236_vgpr237
	s_and_saveexec_b64 s[70:71], s[2:3]
	s_xor_b64 s[2:3], exec, s[70:71]
                                        ; implicit-def: $vgpr238_vgpr239
	s_cbranch_execz .LBB121_627
; %bb.626:
	v_div_scale_f64 v[0:1], s[70:71], v[234:235], v[234:235], v[232:233]
	v_rcp_f64_e32 v[2:3], v[0:1]
	v_div_scale_f64 v[236:237], vcc, v[232:233], v[234:235], v[232:233]
	v_fma_f64 v[238:239], -v[0:1], v[2:3], 1.0
	v_fmac_f64_e32 v[2:3], v[2:3], v[238:239]
	v_fma_f64 v[238:239], -v[0:1], v[2:3], 1.0
	v_fmac_f64_e32 v[2:3], v[2:3], v[238:239]
	v_mul_f64 v[238:239], v[236:237], v[2:3]
	v_fma_f64 v[0:1], -v[0:1], v[238:239], v[236:237]
	v_div_fmas_f64 v[0:1], v[0:1], v[2:3], v[238:239]
	v_div_fixup_f64 v[0:1], v[0:1], v[234:235], v[232:233]
	v_fmac_f64_e32 v[234:235], v[232:233], v[0:1]
	v_div_scale_f64 v[2:3], s[70:71], v[234:235], v[234:235], 1.0
	v_rcp_f64_e32 v[232:233], v[2:3]
	s_nop 0
	v_fma_f64 v[236:237], -v[2:3], v[232:233], 1.0
	v_fmac_f64_e32 v[232:233], v[232:233], v[236:237]
	v_fma_f64 v[236:237], -v[2:3], v[232:233], 1.0
	v_fmac_f64_e32 v[232:233], v[232:233], v[236:237]
	v_div_scale_f64 v[236:237], vcc, 1.0, v[234:235], 1.0
	v_mul_f64 v[238:239], v[236:237], v[232:233]
	v_fma_f64 v[2:3], -v[2:3], v[238:239], v[236:237]
	s_nop 1
	v_div_fmas_f64 v[2:3], v[2:3], v[232:233], v[238:239]
	v_div_fixup_f64 v[238:239], v[2:3], v[234:235], 1.0
	v_mul_f64 v[236:237], v[0:1], v[238:239]
	v_xor_b32_e32 v239, 0x80000000, v239
                                        ; implicit-def: $vgpr232_vgpr233
.LBB121_627:
	s_andn2_saveexec_b64 s[2:3], s[2:3]
	s_cbranch_execz .LBB121_629
; %bb.628:
	v_div_scale_f64 v[0:1], s[70:71], v[232:233], v[232:233], v[234:235]
	v_rcp_f64_e32 v[2:3], v[0:1]
	v_div_scale_f64 v[236:237], vcc, v[234:235], v[232:233], v[234:235]
	v_fma_f64 v[238:239], -v[0:1], v[2:3], 1.0
	v_fmac_f64_e32 v[2:3], v[2:3], v[238:239]
	v_fma_f64 v[238:239], -v[0:1], v[2:3], 1.0
	v_fmac_f64_e32 v[2:3], v[2:3], v[238:239]
	v_mul_f64 v[238:239], v[236:237], v[2:3]
	v_fma_f64 v[0:1], -v[0:1], v[238:239], v[236:237]
	v_div_fmas_f64 v[0:1], v[0:1], v[2:3], v[238:239]
	v_div_fixup_f64 v[0:1], v[0:1], v[232:233], v[234:235]
	v_fmac_f64_e32 v[232:233], v[234:235], v[0:1]
	v_div_scale_f64 v[2:3], s[70:71], v[232:233], v[232:233], 1.0
	v_rcp_f64_e32 v[234:235], v[2:3]
	s_nop 0
	v_fma_f64 v[236:237], -v[2:3], v[234:235], 1.0
	v_fmac_f64_e32 v[234:235], v[234:235], v[236:237]
	v_fma_f64 v[236:237], -v[2:3], v[234:235], 1.0
	v_fmac_f64_e32 v[234:235], v[234:235], v[236:237]
	v_div_scale_f64 v[236:237], vcc, 1.0, v[232:233], 1.0
	v_mul_f64 v[238:239], v[236:237], v[234:235]
	v_fma_f64 v[2:3], -v[2:3], v[238:239], v[236:237]
	s_nop 1
	v_div_fmas_f64 v[2:3], v[2:3], v[234:235], v[238:239]
	v_div_fixup_f64 v[236:237], v[2:3], v[232:233], 1.0
	v_mul_f64 v[238:239], v[0:1], -v[236:237]
.LBB121_629:
	s_or_b64 exec, exec, s[2:3]
	ds_write2_b64 v253, v[236:237], v[238:239] offset1:1
.LBB121_630:
	s_or_b64 exec, exec, s[4:5]
	s_waitcnt lgkmcnt(0)
	s_barrier
	ds_read2_b64 v[232:235], v253 offset1:1
	v_cmp_lt_u32_e32 vcc, 58, v252
	s_and_saveexec_b64 s[2:3], vcc
	s_cbranch_execz .LBB121_632
; %bb.631:
	scratch_load_dwordx4 v[236:239], off, off offset:928
	s_waitcnt vmcnt(0) lgkmcnt(0)
	v_mul_f64 v[0:1], v[234:235], v[238:239]
	v_mul_f64 v[242:243], v[232:233], v[238:239]
	v_fma_f64 v[240:241], v[232:233], v[236:237], -v[0:1]
	v_fmac_f64_e32 v[242:243], v[234:235], v[236:237]
	ds_read2_b64 v[236:239], v248 offset0:118 offset1:119
	scratch_store_dwordx4 off, v[240:243], off offset:928
	s_waitcnt lgkmcnt(0)
	v_mul_f64 v[0:1], v[238:239], v[242:243]
	v_mul_f64 v[2:3], v[236:237], v[242:243]
	v_fma_f64 v[0:1], v[236:237], v[240:241], -v[0:1]
	v_fmac_f64_e32 v[2:3], v[238:239], v[240:241]
	scratch_load_dwordx4 v[236:239], off, off offset:944
	s_waitcnt vmcnt(0)
	v_add_f64 v[236:237], v[236:237], -v[0:1]
	v_add_f64 v[238:239], v[238:239], -v[2:3]
	scratch_store_dwordx4 off, v[236:239], off offset:944
	ds_read2_b64 v[236:239], v248 offset0:120 offset1:121
	s_waitcnt lgkmcnt(0)
	v_mul_f64 v[0:1], v[238:239], v[242:243]
	v_mul_f64 v[2:3], v[236:237], v[242:243]
	v_fma_f64 v[0:1], v[236:237], v[240:241], -v[0:1]
	v_fmac_f64_e32 v[2:3], v[238:239], v[240:241]
	scratch_load_dwordx4 v[236:239], off, off offset:960
	s_waitcnt vmcnt(0)
	v_add_f64 v[236:237], v[236:237], -v[0:1]
	v_add_f64 v[238:239], v[238:239], -v[2:3]
	scratch_store_dwordx4 off, v[236:239], off offset:960
.LBB121_632:
	s_or_b64 exec, exec, s[2:3]
	v_cmp_eq_u32_e32 vcc, 59, v252
	s_waitcnt lgkmcnt(0)
	s_barrier
	s_and_saveexec_b64 s[4:5], vcc
	s_cbranch_execz .LBB121_639
; %bb.633:
	scratch_load_dwordx4 v[236:239], off, s10
	s_waitcnt vmcnt(0)
	ds_write2_b64 v253, v[236:237], v[238:239] offset1:1
	scratch_load_dwordx4 v[236:239], off, s8
	s_waitcnt vmcnt(0)
	ds_write2_b64 v248, v[236:237], v[238:239] offset0:120 offset1:121
	ds_read2_b64 v[236:239], v253 offset1:1
	s_waitcnt lgkmcnt(0)
	v_cmp_neq_f64_e32 vcc, 0, v[236:237]
	v_cmp_neq_f64_e64 s[2:3], 0, v[238:239]
	s_or_b64 s[2:3], vcc, s[2:3]
	s_and_b64 exec, exec, s[2:3]
	s_cbranch_execz .LBB121_639
; %bb.634:
	v_cmp_ngt_f64_e64 s[2:3], |v[236:237]|, |v[238:239]|
                                        ; implicit-def: $vgpr240_vgpr241
	s_and_saveexec_b64 s[70:71], s[2:3]
	s_xor_b64 s[2:3], exec, s[70:71]
                                        ; implicit-def: $vgpr242_vgpr243
	s_cbranch_execz .LBB121_636
; %bb.635:
	v_div_scale_f64 v[0:1], s[70:71], v[238:239], v[238:239], v[236:237]
	v_rcp_f64_e32 v[2:3], v[0:1]
	v_div_scale_f64 v[240:241], vcc, v[236:237], v[238:239], v[236:237]
	v_fma_f64 v[242:243], -v[0:1], v[2:3], 1.0
	v_fmac_f64_e32 v[2:3], v[2:3], v[242:243]
	v_fma_f64 v[242:243], -v[0:1], v[2:3], 1.0
	v_fmac_f64_e32 v[2:3], v[2:3], v[242:243]
	v_mul_f64 v[242:243], v[240:241], v[2:3]
	v_fma_f64 v[0:1], -v[0:1], v[242:243], v[240:241]
	v_div_fmas_f64 v[0:1], v[0:1], v[2:3], v[242:243]
	v_div_fixup_f64 v[0:1], v[0:1], v[238:239], v[236:237]
	v_fmac_f64_e32 v[238:239], v[236:237], v[0:1]
	v_div_scale_f64 v[2:3], s[70:71], v[238:239], v[238:239], 1.0
	v_rcp_f64_e32 v[236:237], v[2:3]
	s_nop 0
	v_fma_f64 v[240:241], -v[2:3], v[236:237], 1.0
	v_fmac_f64_e32 v[236:237], v[236:237], v[240:241]
	v_fma_f64 v[240:241], -v[2:3], v[236:237], 1.0
	v_fmac_f64_e32 v[236:237], v[236:237], v[240:241]
	v_div_scale_f64 v[240:241], vcc, 1.0, v[238:239], 1.0
	v_mul_f64 v[242:243], v[240:241], v[236:237]
	v_fma_f64 v[2:3], -v[2:3], v[242:243], v[240:241]
	s_nop 1
	v_div_fmas_f64 v[2:3], v[2:3], v[236:237], v[242:243]
	v_div_fixup_f64 v[242:243], v[2:3], v[238:239], 1.0
	v_mul_f64 v[240:241], v[0:1], v[242:243]
	v_xor_b32_e32 v243, 0x80000000, v243
                                        ; implicit-def: $vgpr236_vgpr237
.LBB121_636:
	s_andn2_saveexec_b64 s[2:3], s[2:3]
	s_cbranch_execz .LBB121_638
; %bb.637:
	v_div_scale_f64 v[0:1], s[70:71], v[236:237], v[236:237], v[238:239]
	v_rcp_f64_e32 v[2:3], v[0:1]
	v_div_scale_f64 v[240:241], vcc, v[238:239], v[236:237], v[238:239]
	v_fma_f64 v[242:243], -v[0:1], v[2:3], 1.0
	v_fmac_f64_e32 v[2:3], v[2:3], v[242:243]
	v_fma_f64 v[242:243], -v[0:1], v[2:3], 1.0
	v_fmac_f64_e32 v[2:3], v[2:3], v[242:243]
	v_mul_f64 v[242:243], v[240:241], v[2:3]
	v_fma_f64 v[0:1], -v[0:1], v[242:243], v[240:241]
	v_div_fmas_f64 v[0:1], v[0:1], v[2:3], v[242:243]
	v_div_fixup_f64 v[0:1], v[0:1], v[236:237], v[238:239]
	v_fmac_f64_e32 v[236:237], v[238:239], v[0:1]
	v_div_scale_f64 v[2:3], s[70:71], v[236:237], v[236:237], 1.0
	v_rcp_f64_e32 v[238:239], v[2:3]
	s_nop 0
	v_fma_f64 v[240:241], -v[2:3], v[238:239], 1.0
	v_fmac_f64_e32 v[238:239], v[238:239], v[240:241]
	v_fma_f64 v[240:241], -v[2:3], v[238:239], 1.0
	v_fmac_f64_e32 v[238:239], v[238:239], v[240:241]
	v_div_scale_f64 v[240:241], vcc, 1.0, v[236:237], 1.0
	v_mul_f64 v[242:243], v[240:241], v[238:239]
	v_fma_f64 v[2:3], -v[2:3], v[242:243], v[240:241]
	s_nop 1
	v_div_fmas_f64 v[2:3], v[2:3], v[238:239], v[242:243]
	v_div_fixup_f64 v[240:241], v[2:3], v[236:237], 1.0
	v_mul_f64 v[242:243], v[0:1], -v[240:241]
.LBB121_638:
	s_or_b64 exec, exec, s[2:3]
	ds_write2_b64 v253, v[240:241], v[242:243] offset1:1
.LBB121_639:
	s_or_b64 exec, exec, s[4:5]
	s_waitcnt lgkmcnt(0)
	s_barrier
	ds_read2_b64 v[236:239], v253 offset1:1
	v_cmp_lt_u32_e32 vcc, 59, v252
	s_and_saveexec_b64 s[2:3], vcc
	s_cbranch_execz .LBB121_641
; %bb.640:
	scratch_load_dwordx4 v[240:243], off, off offset:944
	s_waitcnt vmcnt(0) lgkmcnt(0)
	v_mul_f64 v[0:1], v[238:239], v[242:243]
	v_mul_f64 v[2:3], v[236:237], v[242:243]
	v_fma_f64 v[0:1], v[236:237], v[240:241], -v[0:1]
	v_fmac_f64_e32 v[2:3], v[238:239], v[240:241]
	ds_read2_b64 v[240:243], v248 offset0:120 offset1:121
	scratch_store_dwordx4 off, v[0:3], off offset:944
	s_waitcnt lgkmcnt(0)
	v_mul_f64 v[248:249], v[242:243], v[2:3]
	v_fma_f64 v[248:249], v[240:241], v[0:1], -v[248:249]
	v_mul_f64 v[240:241], v[240:241], v[2:3]
	v_fmac_f64_e32 v[240:241], v[242:243], v[0:1]
	scratch_load_dwordx4 v[0:3], off, off offset:960
	s_waitcnt vmcnt(0)
	v_add_f64 v[0:1], v[0:1], -v[248:249]
	v_add_f64 v[2:3], v[2:3], -v[240:241]
	scratch_store_dwordx4 off, v[0:3], off offset:960
.LBB121_641:
	s_or_b64 exec, exec, s[2:3]
	v_cmp_eq_u32_e32 vcc, 60, v252
	s_waitcnt lgkmcnt(0)
	s_barrier
	s_and_saveexec_b64 s[4:5], vcc
	s_cbranch_execz .LBB121_648
; %bb.642:
	scratch_load_dwordx4 v[240:243], off, s8
	s_waitcnt vmcnt(0)
	v_cmp_neq_f64_e32 vcc, 0, v[240:241]
	v_cmp_neq_f64_e64 s[2:3], 0, v[242:243]
	s_or_b64 s[2:3], vcc, s[2:3]
	ds_write2_b64 v253, v[240:241], v[242:243] offset1:1
	s_and_b64 exec, exec, s[2:3]
	s_cbranch_execz .LBB121_648
; %bb.643:
	v_cmp_ngt_f64_e64 s[2:3], |v[240:241]|, |v[242:243]|
                                        ; implicit-def: $vgpr248_vgpr249
	s_and_saveexec_b64 s[70:71], s[2:3]
	s_xor_b64 s[2:3], exec, s[70:71]
                                        ; implicit-def: $vgpr250_vgpr251
	s_cbranch_execz .LBB121_645
; %bb.644:
	v_div_scale_f64 v[0:1], s[70:71], v[242:243], v[242:243], v[240:241]
	v_rcp_f64_e32 v[2:3], v[0:1]
	v_div_scale_f64 v[248:249], vcc, v[240:241], v[242:243], v[240:241]
	v_fma_f64 v[250:251], -v[0:1], v[2:3], 1.0
	v_fmac_f64_e32 v[2:3], v[2:3], v[250:251]
	v_fma_f64 v[250:251], -v[0:1], v[2:3], 1.0
	v_fmac_f64_e32 v[2:3], v[2:3], v[250:251]
	v_mul_f64 v[250:251], v[248:249], v[2:3]
	v_fma_f64 v[0:1], -v[0:1], v[250:251], v[248:249]
	v_div_fmas_f64 v[0:1], v[0:1], v[2:3], v[250:251]
	v_div_fixup_f64 v[0:1], v[0:1], v[242:243], v[240:241]
	v_fmac_f64_e32 v[242:243], v[240:241], v[0:1]
	v_div_scale_f64 v[2:3], s[70:71], v[242:243], v[242:243], 1.0
	v_rcp_f64_e32 v[240:241], v[2:3]
	s_nop 0
	v_fma_f64 v[248:249], -v[2:3], v[240:241], 1.0
	v_fmac_f64_e32 v[240:241], v[240:241], v[248:249]
	v_fma_f64 v[248:249], -v[2:3], v[240:241], 1.0
	v_fmac_f64_e32 v[240:241], v[240:241], v[248:249]
	v_div_scale_f64 v[248:249], vcc, 1.0, v[242:243], 1.0
	v_mul_f64 v[250:251], v[248:249], v[240:241]
	v_fma_f64 v[2:3], -v[2:3], v[250:251], v[248:249]
	s_nop 1
	v_div_fmas_f64 v[2:3], v[2:3], v[240:241], v[250:251]
	v_div_fixup_f64 v[250:251], v[2:3], v[242:243], 1.0
	v_mul_f64 v[248:249], v[0:1], v[250:251]
	v_xor_b32_e32 v251, 0x80000000, v251
                                        ; implicit-def: $vgpr240_vgpr241
.LBB121_645:
	s_andn2_saveexec_b64 s[2:3], s[2:3]
	s_cbranch_execz .LBB121_647
; %bb.646:
	v_div_scale_f64 v[0:1], s[70:71], v[240:241], v[240:241], v[242:243]
	v_rcp_f64_e32 v[2:3], v[0:1]
	v_div_scale_f64 v[248:249], vcc, v[242:243], v[240:241], v[242:243]
	v_fma_f64 v[250:251], -v[0:1], v[2:3], 1.0
	v_fmac_f64_e32 v[2:3], v[2:3], v[250:251]
	v_fma_f64 v[250:251], -v[0:1], v[2:3], 1.0
	v_fmac_f64_e32 v[2:3], v[2:3], v[250:251]
	v_mul_f64 v[250:251], v[248:249], v[2:3]
	v_fma_f64 v[0:1], -v[0:1], v[250:251], v[248:249]
	v_div_fmas_f64 v[0:1], v[0:1], v[2:3], v[250:251]
	v_div_fixup_f64 v[0:1], v[0:1], v[240:241], v[242:243]
	v_fmac_f64_e32 v[240:241], v[242:243], v[0:1]
	v_div_scale_f64 v[2:3], s[70:71], v[240:241], v[240:241], 1.0
	v_rcp_f64_e32 v[242:243], v[2:3]
	s_nop 0
	v_fma_f64 v[248:249], -v[2:3], v[242:243], 1.0
	v_fmac_f64_e32 v[242:243], v[242:243], v[248:249]
	v_fma_f64 v[248:249], -v[2:3], v[242:243], 1.0
	v_fmac_f64_e32 v[242:243], v[242:243], v[248:249]
	v_div_scale_f64 v[248:249], vcc, 1.0, v[240:241], 1.0
	v_mul_f64 v[250:251], v[248:249], v[242:243]
	v_fma_f64 v[2:3], -v[2:3], v[250:251], v[248:249]
	s_nop 1
	v_div_fmas_f64 v[2:3], v[2:3], v[242:243], v[250:251]
	v_div_fixup_f64 v[248:249], v[2:3], v[240:241], 1.0
	v_mul_f64 v[250:251], v[0:1], -v[248:249]
.LBB121_647:
	s_or_b64 exec, exec, s[2:3]
	ds_write2_b64 v253, v[248:249], v[250:251] offset1:1
.LBB121_648:
	s_or_b64 exec, exec, s[4:5]
	s_waitcnt lgkmcnt(0)
	s_barrier
	ds_read2_b64 v[240:243], v253 offset1:1
	v_cmp_lt_u32_e32 vcc, 60, v252
	s_and_saveexec_b64 s[2:3], vcc
	s_cbranch_execz .LBB121_650
; %bb.649:
	scratch_load_dwordx4 v[0:3], off, off offset:960
	s_waitcnt vmcnt(0) lgkmcnt(0)
	v_mul_f64 v[248:249], v[242:243], v[2:3]
	v_mul_f64 v[250:251], v[240:241], v[2:3]
	v_fma_f64 v[248:249], v[240:241], v[0:1], -v[248:249]
	v_fmac_f64_e32 v[250:251], v[242:243], v[0:1]
	scratch_store_dwordx4 off, v[248:251], off offset:960
.LBB121_650:
	s_or_b64 exec, exec, s[2:3]
	s_waitcnt lgkmcnt(0)
	s_barrier
	s_and_saveexec_b64 s[2:3], s[0:1]
	s_cbranch_execz .LBB121_653
; %bb.651:
	scratch_load_dwordx4 v[0:3], off, off offset:1448 ; 16-byte Folded Reload
	s_waitcnt vmcnt(0)
	v_cmp_eq_f64_e32 vcc, 0, v[0:1]
	v_cmp_eq_f64_e64 s[0:1], 0, v[2:3]
	s_and_b64 s[4:5], vcc, s[0:1]
	v_cmp_neq_f64_e32 vcc, 0, v[4:5]
	v_cmp_neq_f64_e64 s[0:1], 0, v[6:7]
	s_or_b64 s[0:1], vcc, s[0:1]
	v_cndmask_b32_e64 v2, 0, 1, s[4:5]
	s_or_b64 vcc, s[0:1], s[4:5]
	v_cndmask_b32_e32 v2, 2, v2, vcc
	v_cmp_eq_f64_e32 vcc, 0, v[8:9]
	v_cmp_eq_f64_e64 s[0:1], 0, v[10:11]
	s_and_b64 s[0:1], vcc, s[0:1]
	v_cmp_eq_u32_e32 vcc, 0, v2
	s_and_b64 s[0:1], s[0:1], vcc
	v_cndmask_b32_e64 v2, v2, 3, s[0:1]
	v_cmp_eq_f64_e32 vcc, 0, v[12:13]
	v_cmp_eq_f64_e64 s[0:1], 0, v[14:15]
	s_and_b64 s[0:1], vcc, s[0:1]
	v_cmp_eq_u32_e32 vcc, 0, v2
	s_and_b64 s[0:1], s[0:1], vcc
	v_cndmask_b32_e64 v2, v2, 4, s[0:1]
	v_cmp_eq_f64_e32 vcc, 0, v[16:17]
	v_cmp_eq_f64_e64 s[0:1], 0, v[18:19]
	s_and_b64 s[0:1], vcc, s[0:1]
	v_cmp_eq_u32_e32 vcc, 0, v2
	s_and_b64 s[0:1], s[0:1], vcc
	v_cndmask_b32_e64 v2, v2, 5, s[0:1]
	v_cmp_eq_f64_e32 vcc, 0, v[20:21]
	v_cmp_eq_f64_e64 s[0:1], 0, v[22:23]
	s_and_b64 s[0:1], vcc, s[0:1]
	v_cmp_eq_u32_e32 vcc, 0, v2
	s_and_b64 s[0:1], s[0:1], vcc
	v_cndmask_b32_e64 v2, v2, 6, s[0:1]
	v_cmp_eq_f64_e32 vcc, 0, v[24:25]
	v_cmp_eq_f64_e64 s[0:1], 0, v[26:27]
	s_and_b64 s[0:1], vcc, s[0:1]
	v_cmp_eq_u32_e32 vcc, 0, v2
	s_and_b64 s[0:1], s[0:1], vcc
	v_cndmask_b32_e64 v2, v2, 7, s[0:1]
	v_cmp_eq_f64_e32 vcc, 0, v[28:29]
	v_cmp_eq_f64_e64 s[0:1], 0, v[30:31]
	s_and_b64 s[0:1], vcc, s[0:1]
	v_cmp_eq_u32_e32 vcc, 0, v2
	s_and_b64 s[0:1], s[0:1], vcc
	v_cndmask_b32_e64 v2, v2, 8, s[0:1]
	v_cmp_eq_f64_e32 vcc, 0, v[32:33]
	v_cmp_eq_f64_e64 s[0:1], 0, v[34:35]
	s_and_b64 s[0:1], vcc, s[0:1]
	v_cmp_eq_u32_e32 vcc, 0, v2
	s_and_b64 s[0:1], s[0:1], vcc
	v_cndmask_b32_e64 v2, v2, 9, s[0:1]
	v_cmp_eq_f64_e32 vcc, 0, v[36:37]
	v_cmp_eq_f64_e64 s[0:1], 0, v[38:39]
	s_and_b64 s[0:1], vcc, s[0:1]
	v_cmp_eq_u32_e32 vcc, 0, v2
	s_and_b64 s[0:1], s[0:1], vcc
	v_cndmask_b32_e64 v2, v2, 10, s[0:1]
	v_cmp_eq_f64_e32 vcc, 0, v[40:41]
	v_cmp_eq_f64_e64 s[0:1], 0, v[42:43]
	s_and_b64 s[0:1], vcc, s[0:1]
	v_cmp_eq_u32_e32 vcc, 0, v2
	s_and_b64 s[0:1], s[0:1], vcc
	v_cndmask_b32_e64 v2, v2, 11, s[0:1]
	v_cmp_eq_f64_e32 vcc, 0, v[44:45]
	v_cmp_eq_f64_e64 s[0:1], 0, v[46:47]
	s_and_b64 s[0:1], vcc, s[0:1]
	v_cmp_eq_u32_e32 vcc, 0, v2
	s_and_b64 s[0:1], s[0:1], vcc
	v_cndmask_b32_e64 v2, v2, 12, s[0:1]
	v_cmp_eq_f64_e32 vcc, 0, v[48:49]
	v_cmp_eq_f64_e64 s[0:1], 0, v[50:51]
	s_and_b64 s[0:1], vcc, s[0:1]
	v_cmp_eq_u32_e32 vcc, 0, v2
	s_and_b64 s[0:1], s[0:1], vcc
	v_cndmask_b32_e64 v2, v2, 13, s[0:1]
	v_cmp_eq_f64_e32 vcc, 0, v[52:53]
	v_cmp_eq_f64_e64 s[0:1], 0, v[54:55]
	s_and_b64 s[0:1], vcc, s[0:1]
	v_cmp_eq_u32_e32 vcc, 0, v2
	s_and_b64 s[0:1], s[0:1], vcc
	v_cndmask_b32_e64 v2, v2, 14, s[0:1]
	v_cmp_eq_f64_e32 vcc, 0, v[56:57]
	v_cmp_eq_f64_e64 s[0:1], 0, v[58:59]
	s_and_b64 s[0:1], vcc, s[0:1]
	v_cmp_eq_u32_e32 vcc, 0, v2
	s_and_b64 s[0:1], s[0:1], vcc
	v_cndmask_b32_e64 v2, v2, 15, s[0:1]
	v_cmp_eq_f64_e32 vcc, 0, v[60:61]
	v_cmp_eq_f64_e64 s[0:1], 0, v[62:63]
	s_and_b64 s[0:1], vcc, s[0:1]
	v_cmp_eq_u32_e32 vcc, 0, v2
	s_and_b64 s[0:1], s[0:1], vcc
	v_cndmask_b32_e64 v2, v2, 16, s[0:1]
	v_cmp_eq_f64_e32 vcc, 0, v[64:65]
	v_cmp_eq_f64_e64 s[0:1], 0, v[66:67]
	s_and_b64 s[0:1], vcc, s[0:1]
	v_cmp_eq_u32_e32 vcc, 0, v2
	s_and_b64 s[0:1], s[0:1], vcc
	v_cndmask_b32_e64 v2, v2, 17, s[0:1]
	v_cmp_eq_f64_e32 vcc, 0, v[68:69]
	v_cmp_eq_f64_e64 s[0:1], 0, v[70:71]
	s_and_b64 s[0:1], vcc, s[0:1]
	v_cmp_eq_u32_e32 vcc, 0, v2
	s_and_b64 s[0:1], s[0:1], vcc
	v_cndmask_b32_e64 v2, v2, 18, s[0:1]
	v_cmp_eq_f64_e32 vcc, 0, v[72:73]
	v_cmp_eq_f64_e64 s[0:1], 0, v[74:75]
	s_and_b64 s[0:1], vcc, s[0:1]
	v_cmp_eq_u32_e32 vcc, 0, v2
	s_and_b64 s[0:1], s[0:1], vcc
	v_cndmask_b32_e64 v2, v2, 19, s[0:1]
	v_cmp_eq_f64_e32 vcc, 0, v[76:77]
	v_cmp_eq_f64_e64 s[0:1], 0, v[78:79]
	s_and_b64 s[0:1], vcc, s[0:1]
	v_cmp_eq_u32_e32 vcc, 0, v2
	s_and_b64 s[0:1], s[0:1], vcc
	v_cndmask_b32_e64 v2, v2, 20, s[0:1]
	v_cmp_eq_f64_e32 vcc, 0, v[80:81]
	v_cmp_eq_f64_e64 s[0:1], 0, v[82:83]
	s_and_b64 s[0:1], vcc, s[0:1]
	v_cmp_eq_u32_e32 vcc, 0, v2
	s_and_b64 s[0:1], s[0:1], vcc
	v_cndmask_b32_e64 v2, v2, 21, s[0:1]
	v_cmp_eq_f64_e32 vcc, 0, v[84:85]
	v_cmp_eq_f64_e64 s[0:1], 0, v[86:87]
	s_and_b64 s[0:1], vcc, s[0:1]
	v_cmp_eq_u32_e32 vcc, 0, v2
	s_and_b64 s[0:1], s[0:1], vcc
	v_cndmask_b32_e64 v2, v2, 22, s[0:1]
	v_cmp_eq_f64_e32 vcc, 0, v[88:89]
	v_cmp_eq_f64_e64 s[0:1], 0, v[90:91]
	s_and_b64 s[0:1], vcc, s[0:1]
	v_cmp_eq_u32_e32 vcc, 0, v2
	s_and_b64 s[0:1], s[0:1], vcc
	v_cndmask_b32_e64 v2, v2, 23, s[0:1]
	v_cmp_eq_f64_e32 vcc, 0, v[92:93]
	v_cmp_eq_f64_e64 s[0:1], 0, v[94:95]
	s_and_b64 s[0:1], vcc, s[0:1]
	v_cmp_eq_u32_e32 vcc, 0, v2
	s_and_b64 s[0:1], s[0:1], vcc
	v_cndmask_b32_e64 v2, v2, 24, s[0:1]
	v_cmp_eq_f64_e32 vcc, 0, v[96:97]
	v_cmp_eq_f64_e64 s[0:1], 0, v[98:99]
	s_and_b64 s[0:1], vcc, s[0:1]
	v_cmp_eq_u32_e32 vcc, 0, v2
	s_and_b64 s[0:1], s[0:1], vcc
	v_cndmask_b32_e64 v2, v2, 25, s[0:1]
	v_cmp_eq_f64_e32 vcc, 0, v[100:101]
	v_cmp_eq_f64_e64 s[0:1], 0, v[102:103]
	s_and_b64 s[0:1], vcc, s[0:1]
	v_cmp_eq_u32_e32 vcc, 0, v2
	s_and_b64 s[0:1], s[0:1], vcc
	v_cndmask_b32_e64 v2, v2, 26, s[0:1]
	v_cmp_eq_f64_e32 vcc, 0, v[104:105]
	v_cmp_eq_f64_e64 s[0:1], 0, v[106:107]
	s_and_b64 s[0:1], vcc, s[0:1]
	v_cmp_eq_u32_e32 vcc, 0, v2
	s_and_b64 s[0:1], s[0:1], vcc
	v_cndmask_b32_e64 v2, v2, 27, s[0:1]
	v_cmp_eq_f64_e32 vcc, 0, v[108:109]
	v_cmp_eq_f64_e64 s[0:1], 0, v[110:111]
	s_and_b64 s[0:1], vcc, s[0:1]
	v_cmp_eq_u32_e32 vcc, 0, v2
	s_and_b64 s[0:1], s[0:1], vcc
	v_cndmask_b32_e64 v2, v2, 28, s[0:1]
	v_cmp_eq_f64_e32 vcc, 0, v[112:113]
	v_cmp_eq_f64_e64 s[0:1], 0, v[114:115]
	s_and_b64 s[0:1], vcc, s[0:1]
	v_cmp_eq_u32_e32 vcc, 0, v2
	s_and_b64 s[0:1], s[0:1], vcc
	v_cndmask_b32_e64 v2, v2, 29, s[0:1]
	v_cmp_eq_f64_e32 vcc, 0, v[116:117]
	v_cmp_eq_f64_e64 s[0:1], 0, v[118:119]
	s_and_b64 s[0:1], vcc, s[0:1]
	v_cmp_eq_u32_e32 vcc, 0, v2
	s_and_b64 s[0:1], s[0:1], vcc
	v_cndmask_b32_e64 v2, v2, 30, s[0:1]
	v_cmp_eq_f64_e32 vcc, 0, v[120:121]
	v_cmp_eq_f64_e64 s[0:1], 0, v[122:123]
	s_and_b64 s[0:1], vcc, s[0:1]
	v_cmp_eq_u32_e32 vcc, 0, v2
	s_and_b64 s[0:1], s[0:1], vcc
	v_cndmask_b32_e64 v2, v2, 31, s[0:1]
	v_cmp_eq_f64_e32 vcc, 0, v[124:125]
	v_cmp_eq_f64_e64 s[0:1], 0, v[126:127]
	s_and_b64 s[0:1], vcc, s[0:1]
	v_cmp_eq_u32_e32 vcc, 0, v2
	s_and_b64 s[0:1], s[0:1], vcc
	v_cndmask_b32_e64 v2, v2, 32, s[0:1]
	v_cmp_eq_f64_e32 vcc, 0, v[128:129]
	v_cmp_eq_f64_e64 s[0:1], 0, v[130:131]
	s_and_b64 s[0:1], vcc, s[0:1]
	v_cmp_eq_u32_e32 vcc, 0, v2
	s_and_b64 s[0:1], s[0:1], vcc
	v_cndmask_b32_e64 v2, v2, 33, s[0:1]
	v_cmp_eq_f64_e32 vcc, 0, v[132:133]
	v_cmp_eq_f64_e64 s[0:1], 0, v[134:135]
	s_and_b64 s[0:1], vcc, s[0:1]
	v_cmp_eq_u32_e32 vcc, 0, v2
	s_and_b64 s[0:1], s[0:1], vcc
	v_mov_b32_e32 v0, s6
	v_mov_b32_e32 v1, s7
	v_cndmask_b32_e64 v2, v2, 34, s[0:1]
	v_cmp_eq_f64_e32 vcc, 0, v[136:137]
	v_cmp_eq_f64_e64 s[0:1], 0, v[138:139]
	v_lshl_add_u64 v[0:1], v[246:247], 2, v[0:1]
	s_and_b64 s[0:1], vcc, s[0:1]
	v_cmp_eq_u32_e32 vcc, 0, v2
	s_and_b64 s[0:1], s[0:1], vcc
	global_load_dword v3, v[0:1], off
	v_cndmask_b32_e64 v2, v2, 35, s[0:1]
	v_cmp_eq_f64_e32 vcc, 0, v[140:141]
	v_cmp_eq_f64_e64 s[0:1], 0, v[142:143]
	s_and_b64 s[0:1], vcc, s[0:1]
	v_cmp_eq_u32_e32 vcc, 0, v2
	s_and_b64 s[0:1], s[0:1], vcc
	v_cndmask_b32_e64 v2, v2, 36, s[0:1]
	v_cmp_eq_f64_e32 vcc, 0, v[144:145]
	v_cmp_eq_f64_e64 s[0:1], 0, v[146:147]
	s_and_b64 s[0:1], vcc, s[0:1]
	v_cmp_eq_u32_e32 vcc, 0, v2
	s_and_b64 s[0:1], s[0:1], vcc
	;; [unrolled: 6-line block ×26, first 2 shown]
	v_cndmask_b32_e64 v2, v2, 61, s[0:1]
	s_waitcnt vmcnt(0)
	v_cmp_eq_u32_e32 vcc, 0, v3
	v_cmp_ne_u32_e64 s[0:1], 0, v2
	s_and_b64 s[0:1], vcc, s[0:1]
	s_and_b64 exec, exec, s[0:1]
	s_cbranch_execz .LBB121_653
; %bb.652:
	v_add_u32_e32 v2, s9, v2
	global_store_dword v[0:1], v2, off
.LBB121_653:
	s_or_b64 exec, exec, s[2:3]
	scratch_load_dwordx4 v[0:3], off, off
	scratch_load_dwordx4 v[4:7], off, s69
	scratch_load_dwordx4 v[8:11], off, s68
	;; [unrolled: 1-line block ×30, first 2 shown]
	s_waitcnt vmcnt(30)
	global_store_dwordx4 v[244:245], v[0:3], off
	scratch_load_dwordx4 v[0:3], off, s39
	s_nop 0
	scratch_load_dwordx4 v[124:127], off, s38
	scratch_load_dwordx2 v[128:129], off, off offset:1008 ; 8-byte Folded Reload
	s_waitcnt vmcnt(0)
	global_store_dwordx4 v[128:129], v[4:7], off
	scratch_load_dwordx4 v[4:7], off, s37
	s_nop 0
	scratch_load_dwordx4 v[128:131], off, s36
	scratch_load_dwordx2 v[132:133], off, off offset:976 ; 8-byte Folded Reload
	s_waitcnt vmcnt(0)
	global_store_dwordx4 v[132:133], v[8:11], off
	scratch_load_dwordx4 v[8:11], off, s35
	s_nop 0
	scratch_load_dwordx4 v[132:135], off, s34
	scratch_load_dwordx2 v[136:137], off, off offset:984 ; 8-byte Folded Reload
	s_waitcnt vmcnt(0)
	global_store_dwordx4 v[136:137], v[12:15], off
	scratch_load_dwordx2 v[12:13], off, off offset:992 ; 8-byte Folded Reload
	s_waitcnt vmcnt(0)
	global_store_dwordx4 v[12:13], v[16:19], off
	scratch_load_dwordx4 v[12:15], off, s33
	s_nop 0
	scratch_load_dwordx4 v[16:19], off, s31
	scratch_load_dwordx2 v[136:137], off, off offset:1000 ; 8-byte Folded Reload
	s_waitcnt vmcnt(0)
	global_store_dwordx4 v[136:137], v[20:23], off
	scratch_load_dwordx4 v[20:23], off, s30
	s_nop 0
	scratch_load_dwordx4 v[136:139], off, s29
	scratch_load_dwordx2 v[140:141], off, off offset:1016 ; 8-byte Folded Reload
	s_waitcnt vmcnt(0)
	global_store_dwordx4 v[140:141], v[24:27], off
	scratch_load_dwordx4 v[24:27], off, s28
	s_nop 0
	scratch_load_dwordx4 v[140:143], off, s27
	scratch_load_dwordx2 v[144:145], off, off offset:1024 ; 8-byte Folded Reload
	s_waitcnt vmcnt(0)
	global_store_dwordx4 v[144:145], v[28:31], off
	scratch_load_dwordx2 v[28:29], off, off offset:1032 ; 8-byte Folded Reload
	;; [unrolled: 21-line block ×5, first 2 shown]
	s_waitcnt vmcnt(0)
	global_store_dwordx4 v[76:77], v[80:83], off
	scratch_load_dwordx2 v[76:77], off, off offset:1136 ; 8-byte Folded Reload
	s_waitcnt vmcnt(0)
	global_store_dwordx4 v[76:77], v[84:87], off
	scratch_load_dwordx2 v[76:77], off, off offset:1144 ; 8-byte Folded Reload
	s_waitcnt vmcnt(0)
	global_store_dwordx4 v[76:77], v[88:91], off
	scratch_load_dwordx2 v[76:77], off, off offset:1152 ; 8-byte Folded Reload
	s_waitcnt vmcnt(0)
	global_store_dwordx4 v[76:77], v[92:95], off
	scratch_load_dwordx2 v[76:77], off, off offset:1160 ; 8-byte Folded Reload
	s_waitcnt vmcnt(0)
	global_store_dwordx4 v[76:77], v[96:99], off
	scratch_load_dwordx2 v[76:77], off, off offset:1168 ; 8-byte Folded Reload
	s_waitcnt vmcnt(0)
	global_store_dwordx4 v[76:77], v[100:103], off
	scratch_load_dwordx2 v[76:77], off, off offset:1176 ; 8-byte Folded Reload
	s_waitcnt vmcnt(0)
	global_store_dwordx4 v[76:77], v[104:107], off
	scratch_load_dwordx2 v[76:77], off, off offset:1184 ; 8-byte Folded Reload
	s_waitcnt vmcnt(0)
	global_store_dwordx4 v[76:77], v[108:111], off
	scratch_load_dwordx2 v[76:77], off, off offset:1192 ; 8-byte Folded Reload
	s_waitcnt vmcnt(0)
	global_store_dwordx4 v[76:77], v[112:115], off
	scratch_load_dwordx2 v[76:77], off, off offset:1200 ; 8-byte Folded Reload
	s_waitcnt vmcnt(0)
	global_store_dwordx4 v[76:77], v[116:119], off
	scratch_load_dwordx2 v[76:77], off, off offset:1208 ; 8-byte Folded Reload
	s_waitcnt vmcnt(0)
	global_store_dwordx4 v[76:77], v[120:123], off
	scratch_load_dwordx2 v[76:77], off, off offset:1216 ; 8-byte Folded Reload
	s_waitcnt vmcnt(0)
	global_store_dwordx4 v[76:77], v[0:3], off
	scratch_load_dwordx2 v[0:1], off, off offset:1224 ; 8-byte Folded Reload
	s_waitcnt vmcnt(0)
	global_store_dwordx4 v[0:1], v[124:127], off
	scratch_load_dwordx2 v[0:1], off, off offset:1232 ; 8-byte Folded Reload
	s_waitcnt vmcnt(0)
	global_store_dwordx4 v[0:1], v[4:7], off
	scratch_load_dwordx2 v[0:1], off, off offset:1240 ; 8-byte Folded Reload
	s_waitcnt vmcnt(0)
	global_store_dwordx4 v[0:1], v[128:131], off
	scratch_load_dwordx2 v[0:1], off, off offset:1248 ; 8-byte Folded Reload
	s_waitcnt vmcnt(0)
	global_store_dwordx4 v[0:1], v[8:11], off
	scratch_load_dwordx2 v[0:1], off, off offset:1256 ; 8-byte Folded Reload
	s_waitcnt vmcnt(0)
	global_store_dwordx4 v[0:1], v[132:135], off
	scratch_load_dwordx2 v[0:1], off, off offset:1264 ; 8-byte Folded Reload
	s_waitcnt vmcnt(0)
	global_store_dwordx4 v[0:1], v[12:15], off
	scratch_load_dwordx2 v[0:1], off, off offset:1272 ; 8-byte Folded Reload
	s_waitcnt vmcnt(0)
	global_store_dwordx4 v[0:1], v[16:19], off
	scratch_load_dwordx2 v[0:1], off, off offset:1280 ; 8-byte Folded Reload
	s_waitcnt vmcnt(0)
	global_store_dwordx4 v[0:1], v[20:23], off
	scratch_load_dwordx2 v[0:1], off, off offset:1288 ; 8-byte Folded Reload
	s_waitcnt vmcnt(0)
	global_store_dwordx4 v[0:1], v[136:139], off
	scratch_load_dwordx2 v[0:1], off, off offset:1296 ; 8-byte Folded Reload
	s_waitcnt vmcnt(0)
	global_store_dwordx4 v[0:1], v[24:27], off
	scratch_load_dwordx2 v[0:1], off, off offset:1304 ; 8-byte Folded Reload
	s_waitcnt vmcnt(0)
	global_store_dwordx4 v[0:1], v[140:143], off
	scratch_load_dwordx2 v[0:1], off, off offset:1312 ; 8-byte Folded Reload
	s_waitcnt vmcnt(0)
	global_store_dwordx4 v[0:1], v[28:31], off
	scratch_load_dwordx2 v[0:1], off, off offset:1320 ; 8-byte Folded Reload
	s_waitcnt vmcnt(0)
	global_store_dwordx4 v[0:1], v[32:35], off
	scratch_load_dwordx2 v[0:1], off, off offset:1328 ; 8-byte Folded Reload
	s_waitcnt vmcnt(0)
	global_store_dwordx4 v[0:1], v[36:39], off
	scratch_load_dwordx2 v[0:1], off, off offset:1336 ; 8-byte Folded Reload
	s_waitcnt vmcnt(0)
	global_store_dwordx4 v[0:1], v[144:147], off
	scratch_load_dwordx2 v[0:1], off, off offset:1344 ; 8-byte Folded Reload
	s_waitcnt vmcnt(0)
	global_store_dwordx4 v[0:1], v[40:43], off
	scratch_load_dwordx2 v[0:1], off, off offset:1352 ; 8-byte Folded Reload
	s_waitcnt vmcnt(0)
	global_store_dwordx4 v[0:1], v[148:151], off
	scratch_load_dwordx2 v[0:1], off, off offset:1360 ; 8-byte Folded Reload
	s_waitcnt vmcnt(0)
	global_store_dwordx4 v[0:1], v[44:47], off
	scratch_load_dwordx2 v[0:1], off, off offset:1368 ; 8-byte Folded Reload
	s_waitcnt vmcnt(0)
	global_store_dwordx4 v[0:1], v[48:51], off
	scratch_load_dwordx2 v[0:1], off, off offset:1376 ; 8-byte Folded Reload
	s_waitcnt vmcnt(0)
	global_store_dwordx4 v[0:1], v[52:55], off
	scratch_load_dwordx2 v[0:1], off, off offset:1384 ; 8-byte Folded Reload
	s_waitcnt vmcnt(0)
	global_store_dwordx4 v[0:1], v[152:155], off
	scratch_load_dwordx2 v[0:1], off, off offset:1392 ; 8-byte Folded Reload
	s_waitcnt vmcnt(0)
	global_store_dwordx4 v[0:1], v[56:59], off
	scratch_load_dwordx2 v[0:1], off, off offset:1400 ; 8-byte Folded Reload
	s_waitcnt vmcnt(0)
	global_store_dwordx4 v[0:1], v[156:159], off
	scratch_load_dwordx2 v[0:1], off, off offset:1408 ; 8-byte Folded Reload
	s_waitcnt vmcnt(0)
	global_store_dwordx4 v[0:1], v[60:63], off
	scratch_load_dwordx2 v[0:1], off, off offset:1416 ; 8-byte Folded Reload
	s_waitcnt vmcnt(0)
	global_store_dwordx4 v[0:1], v[64:67], off
	scratch_load_dwordx2 v[0:1], off, off offset:1424 ; 8-byte Folded Reload
	s_waitcnt vmcnt(0)
	global_store_dwordx4 v[0:1], v[68:71], off
	scratch_load_dwordx2 v[0:1], off, off offset:1432 ; 8-byte Folded Reload
	s_waitcnt vmcnt(0)
	global_store_dwordx4 v[0:1], v[160:163], off
	scratch_load_dwordx2 v[0:1], off, off offset:1440 ; 8-byte Folded Reload
	s_waitcnt vmcnt(0)
	global_store_dwordx4 v[0:1], v[72:75], off
	global_store_dwordx4 v[254:255], v[164:167], off
.LBB121_654:
	s_endpgm
	.section	.rodata,"a",@progbits
	.p2align	6, 0x0
	.amdhsa_kernel _ZN9rocsolver6v33100L23getf2_npvt_small_kernelILi61E19rocblas_complex_numIdEiiPS3_EEvT1_T3_lS5_lPT2_S5_S5_
		.amdhsa_group_segment_fixed_size 0
		.amdhsa_private_segment_fixed_size 1472
		.amdhsa_kernarg_size 312
		.amdhsa_user_sgpr_count 2
		.amdhsa_user_sgpr_dispatch_ptr 0
		.amdhsa_user_sgpr_queue_ptr 0
		.amdhsa_user_sgpr_kernarg_segment_ptr 1
		.amdhsa_user_sgpr_dispatch_id 0
		.amdhsa_user_sgpr_kernarg_preload_length 0
		.amdhsa_user_sgpr_kernarg_preload_offset 0
		.amdhsa_user_sgpr_private_segment_size 0
		.amdhsa_uses_dynamic_stack 0
		.amdhsa_enable_private_segment 1
		.amdhsa_system_sgpr_workgroup_id_x 1
		.amdhsa_system_sgpr_workgroup_id_y 1
		.amdhsa_system_sgpr_workgroup_id_z 0
		.amdhsa_system_sgpr_workgroup_info 0
		.amdhsa_system_vgpr_workitem_id 1
		.amdhsa_next_free_vgpr 256
		.amdhsa_next_free_sgpr 98
		.amdhsa_accum_offset 256
		.amdhsa_reserve_vcc 1
		.amdhsa_float_round_mode_32 0
		.amdhsa_float_round_mode_16_64 0
		.amdhsa_float_denorm_mode_32 3
		.amdhsa_float_denorm_mode_16_64 3
		.amdhsa_dx10_clamp 1
		.amdhsa_ieee_mode 1
		.amdhsa_fp16_overflow 0
		.amdhsa_tg_split 0
		.amdhsa_exception_fp_ieee_invalid_op 0
		.amdhsa_exception_fp_denorm_src 0
		.amdhsa_exception_fp_ieee_div_zero 0
		.amdhsa_exception_fp_ieee_overflow 0
		.amdhsa_exception_fp_ieee_underflow 0
		.amdhsa_exception_fp_ieee_inexact 0
		.amdhsa_exception_int_div_zero 0
	.end_amdhsa_kernel
	.section	.text._ZN9rocsolver6v33100L23getf2_npvt_small_kernelILi61E19rocblas_complex_numIdEiiPS3_EEvT1_T3_lS5_lPT2_S5_S5_,"axG",@progbits,_ZN9rocsolver6v33100L23getf2_npvt_small_kernelILi61E19rocblas_complex_numIdEiiPS3_EEvT1_T3_lS5_lPT2_S5_S5_,comdat
.Lfunc_end121:
	.size	_ZN9rocsolver6v33100L23getf2_npvt_small_kernelILi61E19rocblas_complex_numIdEiiPS3_EEvT1_T3_lS5_lPT2_S5_S5_, .Lfunc_end121-_ZN9rocsolver6v33100L23getf2_npvt_small_kernelILi61E19rocblas_complex_numIdEiiPS3_EEvT1_T3_lS5_lPT2_S5_S5_
                                        ; -- End function
	.set _ZN9rocsolver6v33100L23getf2_npvt_small_kernelILi61E19rocblas_complex_numIdEiiPS3_EEvT1_T3_lS5_lPT2_S5_S5_.num_vgpr, 256
	.set _ZN9rocsolver6v33100L23getf2_npvt_small_kernelILi61E19rocblas_complex_numIdEiiPS3_EEvT1_T3_lS5_lPT2_S5_S5_.num_agpr, 0
	.set _ZN9rocsolver6v33100L23getf2_npvt_small_kernelILi61E19rocblas_complex_numIdEiiPS3_EEvT1_T3_lS5_lPT2_S5_S5_.numbered_sgpr, 98
	.set _ZN9rocsolver6v33100L23getf2_npvt_small_kernelILi61E19rocblas_complex_numIdEiiPS3_EEvT1_T3_lS5_lPT2_S5_S5_.num_named_barrier, 0
	.set _ZN9rocsolver6v33100L23getf2_npvt_small_kernelILi61E19rocblas_complex_numIdEiiPS3_EEvT1_T3_lS5_lPT2_S5_S5_.private_seg_size, 1472
	.set _ZN9rocsolver6v33100L23getf2_npvt_small_kernelILi61E19rocblas_complex_numIdEiiPS3_EEvT1_T3_lS5_lPT2_S5_S5_.uses_vcc, 1
	.set _ZN9rocsolver6v33100L23getf2_npvt_small_kernelILi61E19rocblas_complex_numIdEiiPS3_EEvT1_T3_lS5_lPT2_S5_S5_.uses_flat_scratch, 0
	.set _ZN9rocsolver6v33100L23getf2_npvt_small_kernelILi61E19rocblas_complex_numIdEiiPS3_EEvT1_T3_lS5_lPT2_S5_S5_.has_dyn_sized_stack, 0
	.set _ZN9rocsolver6v33100L23getf2_npvt_small_kernelILi61E19rocblas_complex_numIdEiiPS3_EEvT1_T3_lS5_lPT2_S5_S5_.has_recursion, 0
	.set _ZN9rocsolver6v33100L23getf2_npvt_small_kernelILi61E19rocblas_complex_numIdEiiPS3_EEvT1_T3_lS5_lPT2_S5_S5_.has_indirect_call, 0
	.section	.AMDGPU.csdata,"",@progbits
; Kernel info:
; codeLenInByte = 118404
; TotalNumSgprs: 104
; NumVgprs: 256
; NumAgprs: 0
; TotalNumVgprs: 256
; ScratchSize: 1472
; MemoryBound: 0
; FloatMode: 240
; IeeeMode: 1
; LDSByteSize: 0 bytes/workgroup (compile time only)
; SGPRBlocks: 12
; VGPRBlocks: 31
; NumSGPRsForWavesPerEU: 104
; NumVGPRsForWavesPerEU: 256
; AccumOffset: 256
; Occupancy: 2
; WaveLimiterHint : 1
; COMPUTE_PGM_RSRC2:SCRATCH_EN: 1
; COMPUTE_PGM_RSRC2:USER_SGPR: 2
; COMPUTE_PGM_RSRC2:TRAP_HANDLER: 0
; COMPUTE_PGM_RSRC2:TGID_X_EN: 1
; COMPUTE_PGM_RSRC2:TGID_Y_EN: 1
; COMPUTE_PGM_RSRC2:TGID_Z_EN: 0
; COMPUTE_PGM_RSRC2:TIDIG_COMP_CNT: 1
; COMPUTE_PGM_RSRC3_GFX90A:ACCUM_OFFSET: 63
; COMPUTE_PGM_RSRC3_GFX90A:TG_SPLIT: 0
	.section	.text._ZN9rocsolver6v33100L18getf2_small_kernelILi62E19rocblas_complex_numIdEiiPS3_EEvT1_T3_lS5_lPS5_llPT2_S5_S5_S7_l,"axG",@progbits,_ZN9rocsolver6v33100L18getf2_small_kernelILi62E19rocblas_complex_numIdEiiPS3_EEvT1_T3_lS5_lPS5_llPT2_S5_S5_S7_l,comdat
	.globl	_ZN9rocsolver6v33100L18getf2_small_kernelILi62E19rocblas_complex_numIdEiiPS3_EEvT1_T3_lS5_lPS5_llPT2_S5_S5_S7_l ; -- Begin function _ZN9rocsolver6v33100L18getf2_small_kernelILi62E19rocblas_complex_numIdEiiPS3_EEvT1_T3_lS5_lPS5_llPT2_S5_S5_S7_l
	.p2align	8
	.type	_ZN9rocsolver6v33100L18getf2_small_kernelILi62E19rocblas_complex_numIdEiiPS3_EEvT1_T3_lS5_lPS5_llPT2_S5_S5_S7_l,@function
_ZN9rocsolver6v33100L18getf2_small_kernelILi62E19rocblas_complex_numIdEiiPS3_EEvT1_T3_lS5_lPS5_llPT2_S5_S5_S7_l: ; @_ZN9rocsolver6v33100L18getf2_small_kernelILi62E19rocblas_complex_numIdEiiPS3_EEvT1_T3_lS5_lPS5_llPT2_S5_S5_S7_l
; %bb.0:
	s_load_dword s2, s[0:1], 0x6c
	s_load_dwordx2 s[56:57], s[0:1], 0x48
	v_bfe_u32 v6, v0, 10, 10
	s_waitcnt lgkmcnt(0)
	s_lshr_b32 s2, s2, 16
	s_mul_i32 s3, s3, s2
	v_add_u32_e32 v8, s3, v6
	v_cmp_gt_i32_e32 vcc, s56, v8
	s_and_saveexec_b64 s[2:3], vcc
	s_cbranch_execnz .LBB122_1
; %bb.1413:
	s_getpc_b64 s[98:99]
.Lpost_getpc18:
	s_add_u32 s98, s98, (.LBB122_1412-.Lpost_getpc18)&4294967295
	s_addc_u32 s99, s99, (.LBB122_1412-.Lpost_getpc18)>>32
	s_setpc_b64 s[98:99]
.LBB122_1:
	s_load_dwordx4 s[4:7], s[0:1], 0x50
                                        ; implicit-def: $vgpr128 : SGPR spill to VGPR lane
	v_ashrrev_i32_e32 v9, 31, v8
	v_writelane_b32 v128, s56, 0
	v_mov_b64_e32 v[10:11], 0
	s_waitcnt lgkmcnt(0)
	s_cmp_eq_u64 s[4:5], 0
	s_cselect_b64 s[18:19], -1, 0
	s_and_b64 vcc, exec, s[18:19]
	v_writelane_b32 v128, s57, 1
	s_cbranch_vccnz .LBB122_3
; %bb.2:
	v_mul_lo_u32 v1, s7, v8
	v_mul_lo_u32 v4, s6, v9
	v_mad_u64_u32 v[2:3], s[2:3], s6, v8, 0
	v_add3_u32 v3, v3, v4, v1
	v_lshl_add_u64 v[10:11], v[2:3], 2, s[4:5]
.LBB122_3:
	s_load_dwordx4 s[12:15], s[0:1], 0x8
	s_load_dwordx8 s[4:11], s[0:1], 0x20
	s_load_dword s2, s[0:1], 0x18
	s_load_dword s66, s[0:1], 0x0
	s_movk_i32 s20, 0x90
	s_waitcnt lgkmcnt(0)
	v_mov_b32_e32 v2, s12
	v_mul_lo_u32 v1, s5, v8
	v_mul_lo_u32 v7, s4, v9
	v_writelane_b32 v128, s4, 2
	v_mov_b32_e32 v3, s13
	s_add_i32 s3, s2, s2
	v_writelane_b32 v128, s5, 3
	v_writelane_b32 v128, s6, 4
	;; [unrolled: 1-line block ×7, first 2 shown]
	v_mad_u64_u32 v[4:5], s[4:5], s4, v8, 0
	v_add3_u32 v5, v5, v7, v1
	v_lshl_add_u64 v[2:3], v[4:5], 4, v[2:3]
	v_and_b32_e32 v7, 0x3ff, v0
	v_lshl_add_u64 v[112:113], s[14:15], 4, v[2:3]
	v_lshlrev_b32_e32 v4, 4, v7
	v_mov_b32_e32 v5, 0
	v_add_u32_e32 v0, s3, v7
	v_lshl_add_u64 v[68:69], v[112:113], 0, v[4:5]
	v_writelane_b32 v128, s3, 10
	s_ashr_i32 s3, s2, 31
	v_ashrrev_i32_e32 v1, 31, v0
	v_add_u32_e32 v2, s2, v0
	v_lshl_add_u64 v[24:25], s[2:3], 4, v[68:69]
	v_lshl_add_u64 v[0:1], v[0:1], 4, v[112:113]
	global_load_dwordx4 v[12:15], v[68:69], off
	global_load_dwordx4 v[16:19], v[24:25], off
	global_load_dwordx4 v[20:23], v[0:1], off
	v_add_u32_e32 v0, s2, v2
	v_ashrrev_i32_e32 v3, 31, v2
	v_ashrrev_i32_e32 v1, 31, v0
	v_lshl_add_u64 v[32:33], v[2:3], 4, v[112:113]
	v_lshl_add_u64 v[2:3], v[0:1], 4, v[112:113]
	v_add_u32_e32 v0, s2, v0
	global_load_dwordx4 v[24:27], v[32:33], off
	global_load_dwordx4 v[28:31], v[2:3], off
	v_add_u32_e32 v2, s2, v0
	v_ashrrev_i32_e32 v1, 31, v0
	v_ashrrev_i32_e32 v3, 31, v2
	v_add_u32_e32 v40, s2, v2
	v_lshl_add_u64 v[0:1], v[0:1], 4, v[112:113]
	v_lshl_add_u64 v[2:3], v[2:3], 4, v[112:113]
	v_add_u32_e32 v42, s2, v40
	v_ashrrev_i32_e32 v41, 31, v40
	global_load_dwordx4 v[32:35], v[0:1], off
	global_load_dwordx4 v[36:39], v[2:3], off
	v_add_u32_e32 v2, s2, v42
	v_lshl_add_u64 v[0:1], v[40:41], 4, v[112:113]
	v_ashrrev_i32_e32 v43, 31, v42
	v_ashrrev_i32_e32 v3, 31, v2
	v_add_u32_e32 v50, s2, v2
	v_lshl_add_u64 v[48:49], v[42:43], 4, v[112:113]
	global_load_dwordx4 v[40:43], v[0:1], off
	global_load_dwordx4 v[44:47], v[48:49], off
	v_lshl_add_u64 v[0:1], v[2:3], 4, v[112:113]
	v_add_u32_e32 v2, s2, v50
	v_add_u32_e32 v58, s2, v2
	v_ashrrev_i32_e32 v51, 31, v50
	v_ashrrev_i32_e32 v3, 31, v2
	v_add_u32_e32 v70, s2, v58
	v_lshl_add_u64 v[56:57], v[50:51], 4, v[112:113]
	global_load_dwordx4 v[48:51], v[0:1], off
	global_load_dwordx4 v[52:55], v[56:57], off
	v_lshl_add_u64 v[0:1], v[2:3], 4, v[112:113]
	v_ashrrev_i32_e32 v59, 31, v58
	v_ashrrev_i32_e32 v71, 31, v70
	v_lshl_add_u64 v[2:3], v[58:59], 4, v[112:113]
	global_load_dwordx4 v[56:59], v[0:1], off
	global_load_dwordx4 v[60:63], v[2:3], off
	v_lshl_add_u64 v[72:73], v[70:71], 4, v[112:113]
	global_load_dwordx4 v[64:67], v[72:73], off
	global_load_dwordx4 v[0:3], v[68:69], off
	v_add_u32_e32 v68, s2, v70
	v_add_u32_e32 v72, s2, v68
	v_add_u32_e32 v74, s2, v72
	v_add_u32_e32 v82, s2, v74
	v_ashrrev_i32_e32 v69, 31, v68
	v_ashrrev_i32_e32 v73, 31, v72
	v_add_u32_e32 v86, s2, v82
	v_lshl_add_u64 v[68:69], v[68:69], 4, v[112:113]
	v_lshl_add_u64 v[80:81], v[72:73], 4, v[112:113]
	v_ashrrev_i32_e32 v75, 31, v74
	v_ashrrev_i32_e32 v83, 31, v82
	;; [unrolled: 1-line block ×3, first 2 shown]
	global_load_dwordx4 v[68:71], v[68:69], off
	v_lshl_add_u64 v[84:85], v[74:75], 4, v[112:113]
	global_load_dwordx4 v[72:75], v[80:81], off
	global_load_dwordx4 v[76:79], v[84:85], off
	v_lshl_add_u64 v[80:81], v[82:83], 4, v[112:113]
	s_load_dwordx2 s[0:1], s[0:1], 0x40
	s_movk_i32 s12, 0x50
	s_movk_i32 s13, 0x60
	;; [unrolled: 1-line block ×4, first 2 shown]
	s_waitcnt lgkmcnt(0)
	v_writelane_b32 v128, s0, 11
	s_movk_i32 s21, 0xa0
	s_movk_i32 s22, 0xb0
	v_writelane_b32 v128, s1, 12
	s_max_i32 s0, s66, 62
	v_mul_lo_u32 v6, s0, v6
	s_movk_i32 s23, 0xc0
	s_movk_i32 s24, 0xd0
	s_waitcnt vmcnt(17)
	scratch_store_dwordx4 off, v[12:15], off
	s_waitcnt vmcnt(15)
	scratch_store_dwordx4 off, v[24:27], off offset:48
	scratch_store_dwordx4 off, v[16:19], off offset:16
	;; [unrolled: 1-line block ×3, first 2 shown]
	s_waitcnt vmcnt(17)
	scratch_store_dwordx4 off, v[28:31], off offset:64
	s_waitcnt vmcnt(17)
	scratch_store_dwordx4 off, v[32:35], off offset:80
	;; [unrolled: 2-line block ×10, first 2 shown]
	v_lshl_add_u64 v[20:21], v[86:87], 4, v[112:113]
	global_load_dwordx4 v[12:15], v[80:81], off
	global_load_dwordx4 v[16:19], v[20:21], off
	v_add_u32_e32 v20, s2, v86
	v_ashrrev_i32_e32 v21, 31, v20
	v_add_u32_e32 v30, s2, v20
	v_lshl_add_u64 v[28:29], v[20:21], 4, v[112:113]
	v_ashrrev_i32_e32 v31, 31, v30
	v_lshl_add_u64 v[32:33], v[30:31], 4, v[112:113]
	global_load_dwordx4 v[20:23], v[28:29], off
	global_load_dwordx4 v[24:27], v[32:33], off
	v_add_u32_e32 v28, s2, v30
	v_ashrrev_i32_e32 v29, 31, v28
	v_add_u32_e32 v38, s2, v28
	v_lshl_add_u64 v[36:37], v[28:29], 4, v[112:113]
	v_ashrrev_i32_e32 v39, 31, v38
	;; [unrolled: 8-line block ×11, first 2 shown]
	v_lshl_add_u64 v[126:127], v[124:125], 4, v[112:113]
	global_load_dwordx4 v[114:117], v[122:123], off
	global_load_dwordx4 v[118:121], v[126:127], off
	s_waitcnt vmcnt(40)
	scratch_store_dwordx4 off, v[68:71], off offset:224
	s_waitcnt vmcnt(40)
	scratch_store_dwordx4 off, v[72:75], off offset:240
	;; [unrolled: 2-line block ×10, first 2 shown]
	v_add_u32_e32 v12, s2, v124
	v_ashrrev_i32_e32 v13, 31, v12
	v_add_u32_e32 v22, s2, v12
	v_lshl_add_u64 v[20:21], v[12:13], 4, v[112:113]
	v_ashrrev_i32_e32 v23, 31, v22
	v_lshl_add_u64 v[24:25], v[22:23], 4, v[112:113]
	global_load_dwordx4 v[12:15], v[20:21], off
	global_load_dwordx4 v[16:19], v[24:25], off
	v_add_u32_e32 v20, s2, v22
	v_ashrrev_i32_e32 v21, 31, v20
	v_add_u32_e32 v30, s2, v20
	v_lshl_add_u64 v[28:29], v[20:21], 4, v[112:113]
	v_ashrrev_i32_e32 v31, 31, v30
	v_lshl_add_u64 v[32:33], v[30:31], 4, v[112:113]
	global_load_dwordx4 v[20:23], v[28:29], off
	global_load_dwordx4 v[24:27], v[32:33], off
	;; [unrolled: 8-line block ×3, first 2 shown]
	v_add_u32_e32 v36, s2, v38
	v_add_u32_e32 v74, s2, v36
	v_ashrrev_i32_e32 v37, 31, v36
	v_ashrrev_i32_e32 v75, 31, v74
	v_lshl_add_u64 v[72:73], v[36:37], 4, v[112:113]
	v_lshl_add_u64 v[76:77], v[74:75], 4, v[112:113]
	global_load_dwordx4 v[36:39], v[72:73], off
	global_load_dwordx4 v[68:71], v[76:77], off
	v_add_u32_e32 v76, s2, v74
	v_add_u32_e32 v122, s2, v76
	v_ashrrev_i32_e32 v77, 31, v76
	v_ashrrev_i32_e32 v123, 31, v122
	v_lshl_add_u64 v[72:73], v[76:77], 4, v[112:113]
	v_lshl_add_u64 v[76:77], v[122:123], 4, v[112:113]
	global_load_dwordx4 v[72:75], v[72:73], off
	s_movk_i32 s25, 0xe0
	global_load_dwordx4 v[76:79], v[76:77], off
	s_waitcnt vmcnt(36)
	scratch_store_dwordx4 off, v[40:43], off offset:384
	s_waitcnt vmcnt(36)
	scratch_store_dwordx4 off, v[44:47], off offset:400
	;; [unrolled: 2-line block ×17, first 2 shown]
	v_add_u32_e32 v40, s2, v122
	v_ashrrev_i32_e32 v41, 31, v40
	v_add_u32_e32 v50, s2, v40
	v_lshl_add_u64 v[48:49], v[40:41], 4, v[112:113]
	v_ashrrev_i32_e32 v51, 31, v50
	v_lshl_add_u64 v[52:53], v[50:51], 4, v[112:113]
	global_load_dwordx4 v[40:43], v[48:49], off
	global_load_dwordx4 v[44:47], v[52:53], off
	v_add_u32_e32 v48, s2, v50
	v_ashrrev_i32_e32 v49, 31, v48
	v_add_u32_e32 v58, s2, v48
	v_lshl_add_u64 v[56:57], v[48:49], 4, v[112:113]
	v_ashrrev_i32_e32 v59, 31, v58
	v_lshl_add_u64 v[60:61], v[58:59], 4, v[112:113]
	global_load_dwordx4 v[48:51], v[56:57], off
	global_load_dwordx4 v[52:55], v[60:61], off
	;; [unrolled: 8-line block ×5, first 2 shown]
	v_add_u32_e32 v92, s2, v94
	v_ashrrev_i32_e32 v93, 31, v92
	v_lshl_add_u64 v[92:93], v[92:93], 4, v[112:113]
	global_load_dwordx4 v[92:95], v[92:93], off
	s_waitcnt vmcnt(37)
	scratch_store_dwordx4 off, v[12:15], off offset:656
	s_waitcnt vmcnt(37)
	scratch_store_dwordx4 off, v[16:19], off offset:672
	s_waitcnt vmcnt(37)
	scratch_store_dwordx4 off, v[20:23], off offset:688
	s_waitcnt vmcnt(37)
	scratch_store_dwordx4 off, v[24:27], off offset:704
	s_waitcnt vmcnt(37)
	scratch_store_dwordx4 off, v[28:31], off offset:720
	s_waitcnt vmcnt(37)
	scratch_store_dwordx4 off, v[32:35], off offset:736
	s_waitcnt vmcnt(37)
	scratch_store_dwordx4 off, v[36:39], off offset:752
	s_waitcnt vmcnt(37)
	scratch_store_dwordx4 off, v[68:71], off offset:768
	s_waitcnt vmcnt(37)
	scratch_store_dwordx4 off, v[72:75], off offset:784
	v_lshl_add_u32 v12, v6, 4, 0
	v_add_u32_e32 v4, v12, v4
	s_movk_i32 s26, 0xf0
	s_movk_i32 s27, 0x100
	s_movk_i32 s28, 0x110
	s_movk_i32 s29, 0x120
	s_movk_i32 s30, 0x130
	s_movk_i32 s31, 0x140
	s_waitcnt vmcnt(37)
	scratch_store_dwordx4 off, v[76:79], off offset:800
	s_movk_i32 s33, 0x150
	s_movk_i32 s34, 0x160
	;; [unrolled: 1-line block ×25, first 2 shown]
	s_waitcnt vmcnt(20)
	scratch_store_dwordx4 off, v[40:43], off offset:816
	s_waitcnt vmcnt(20)
	scratch_store_dwordx4 off, v[44:47], off offset:832
	s_movk_i32 s93, 0x2e0
	s_movk_i32 s94, 0x2f0
	s_movk_i32 s95, 0x300
	s_movk_i32 s96, 0x310
	s_movk_i32 s97, 0x320
	s_waitcnt vmcnt(20)
	scratch_store_dwordx4 off, v[48:51], off offset:848
	s_waitcnt vmcnt(20)
	scratch_store_dwordx4 off, v[52:55], off offset:864
	s_movk_i32 s4, 0x330
	s_movk_i32 s5, 0x340
	s_movk_i32 s16, 0x350
	s_movk_i32 s67, 0x360
	s_movk_i32 s68, 0x370
	;; [unrolled: 9-line block ×3, first 2 shown]
	s_waitcnt vmcnt(20)
	scratch_store_dwordx4 off, v[64:67], off offset:912
	s_waitcnt vmcnt(20)
	scratch_store_dwordx4 off, v[80:83], off offset:928
	;; [unrolled: 2-line block ×5, first 2 shown]
	ds_write2_b64 v4, v[0:1], v[2:3] offset1:1
	s_waitcnt lgkmcnt(0)
	s_barrier
	ds_read2_b64 v[0:3], v12 offset1:1
	s_movk_i32 s74, 0x3d0
	s_cmp_lt_i32 s66, 2
	v_lshlrev_b32_e32 v16, 4, v6
	s_cbranch_scc1 .LBB122_6
; %bb.4:
	v_add3_u32 v4, v16, 0, 16
	s_mov_b32 s47, 1
	v_mov_b32_e32 v5, 0
.LBB122_5:                              ; =>This Inner Loop Header: Depth=1
	ds_read2_b64 v[18:21], v4 offset1:1
	s_waitcnt lgkmcnt(1)
	v_xor_b32_e32 v6, 0x80000000, v1
	v_xor_b32_e32 v13, 0x80000000, v3
	v_cmp_gt_f64_e32 vcc, 0, v[2:3]
	v_cmp_gt_f64_e64 s[0:1], 0, v[0:1]
	v_mov_b32_e32 v14, v0
	v_mov_b32_e32 v22, v2
	v_cndmask_b32_e64 v15, v1, v6, s[0:1]
	v_cndmask_b32_e32 v23, v3, v13, vcc
	s_waitcnt lgkmcnt(0)
	v_xor_b32_e32 v6, 0x80000000, v19
	v_xor_b32_e32 v13, 0x80000000, v21
	v_cmp_gt_f64_e32 vcc, 0, v[20:21]
	v_cmp_gt_f64_e64 s[0:1], 0, v[18:19]
	v_add_f64 v[14:15], v[14:15], v[22:23]
	v_mov_b32_e32 v22, v18
	v_mov_b32_e32 v24, v20
	v_cndmask_b32_e64 v23, v19, v6, s[0:1]
	v_cndmask_b32_e32 v25, v21, v13, vcc
	v_add_f64 v[22:23], v[22:23], v[24:25]
	v_mov_b32_e32 v17, s47
	s_add_i32 s47, s47, 1
	v_cmp_lt_f64_e32 vcc, v[14:15], v[22:23]
	v_add_u32_e32 v4, 16, v4
	s_cmp_eq_u32 s66, s47
	v_cndmask_b32_e32 v1, v1, v19, vcc
	v_cndmask_b32_e32 v0, v0, v18, vcc
	;; [unrolled: 1-line block ×5, first 2 shown]
	s_cbranch_scc0 .LBB122_5
.LBB122_6:
	s_waitcnt lgkmcnt(0)
	v_cmp_neq_f64_e32 vcc, 0, v[0:1]
	v_cmp_neq_f64_e64 s[0:1], 0, v[2:3]
	s_mov_b32 s49, 48
	s_mov_b32 s82, 64
	;; [unrolled: 1-line block ×59, first 2 shown]
	s_or_b64 s[4:5], vcc, s[0:1]
	v_mov_b32_e32 v13, 1
	v_mov_b32_e32 v17, 1
	s_mov_b32 s8, 16
	s_mov_b32 s7, 32
	s_and_saveexec_b64 s[0:1], s[4:5]
	s_mov_b32 s87, s12
	s_mov_b32 s88, s13
	;; [unrolled: 1-line block ×6, first 2 shown]
	s_cbranch_execz .LBB122_12
; %bb.7:
	v_cmp_ngt_f64_e64 s[4:5], |v[0:1]|, |v[2:3]|
	s_and_saveexec_b64 s[12:13], s[4:5]
	s_xor_b64 s[12:13], exec, s[12:13]
	s_cbranch_execz .LBB122_9
; %bb.8:
	v_div_scale_f64 v[14:15], s[4:5], v[2:3], v[2:3], v[0:1]
	v_rcp_f64_e32 v[18:19], v[14:15]
	v_div_scale_f64 v[20:21], vcc, v[0:1], v[2:3], v[0:1]
	v_fma_f64 v[22:23], -v[14:15], v[18:19], 1.0
	v_fmac_f64_e32 v[18:19], v[18:19], v[22:23]
	v_fma_f64 v[22:23], -v[14:15], v[18:19], 1.0
	v_fmac_f64_e32 v[18:19], v[18:19], v[22:23]
	v_mul_f64 v[22:23], v[20:21], v[18:19]
	v_fma_f64 v[14:15], -v[14:15], v[22:23], v[20:21]
	v_div_fmas_f64 v[14:15], v[14:15], v[18:19], v[22:23]
	v_div_fixup_f64 v[14:15], v[14:15], v[2:3], v[0:1]
	v_fmac_f64_e32 v[2:3], v[0:1], v[14:15]
	v_div_scale_f64 v[0:1], s[4:5], v[2:3], v[2:3], 1.0
	v_rcp_f64_e32 v[18:19], v[0:1]
	s_nop 0
	v_fma_f64 v[20:21], -v[0:1], v[18:19], 1.0
	v_fmac_f64_e32 v[18:19], v[18:19], v[20:21]
	v_fma_f64 v[20:21], -v[0:1], v[18:19], 1.0
	v_fmac_f64_e32 v[18:19], v[18:19], v[20:21]
	v_div_scale_f64 v[20:21], vcc, 1.0, v[2:3], 1.0
	v_mul_f64 v[22:23], v[20:21], v[18:19]
	v_fma_f64 v[0:1], -v[0:1], v[22:23], v[20:21]
	s_nop 1
	v_div_fmas_f64 v[0:1], v[0:1], v[18:19], v[22:23]
	v_div_fixup_f64 v[2:3], v[0:1], v[2:3], 1.0
	v_mul_f64 v[0:1], v[14:15], v[2:3]
	v_xor_b32_e32 v3, 0x80000000, v3
.LBB122_9:
	s_andn2_saveexec_b64 s[12:13], s[12:13]
	s_cbranch_execz .LBB122_11
; %bb.10:
	v_div_scale_f64 v[14:15], s[4:5], v[0:1], v[0:1], v[2:3]
	v_rcp_f64_e32 v[18:19], v[14:15]
	v_div_scale_f64 v[20:21], vcc, v[2:3], v[0:1], v[2:3]
	v_fma_f64 v[22:23], -v[14:15], v[18:19], 1.0
	v_fmac_f64_e32 v[18:19], v[18:19], v[22:23]
	v_fma_f64 v[22:23], -v[14:15], v[18:19], 1.0
	v_fmac_f64_e32 v[18:19], v[18:19], v[22:23]
	v_mul_f64 v[22:23], v[20:21], v[18:19]
	v_fma_f64 v[14:15], -v[14:15], v[22:23], v[20:21]
	v_div_fmas_f64 v[14:15], v[14:15], v[18:19], v[22:23]
	v_div_fixup_f64 v[14:15], v[14:15], v[0:1], v[2:3]
	v_fmac_f64_e32 v[0:1], v[2:3], v[14:15]
	v_div_scale_f64 v[2:3], s[4:5], v[0:1], v[0:1], 1.0
	v_rcp_f64_e32 v[18:19], v[2:3]
	s_nop 0
	v_fma_f64 v[20:21], -v[2:3], v[18:19], 1.0
	v_fmac_f64_e32 v[18:19], v[18:19], v[20:21]
	v_fma_f64 v[20:21], -v[2:3], v[18:19], 1.0
	v_fmac_f64_e32 v[18:19], v[18:19], v[20:21]
	v_div_scale_f64 v[20:21], vcc, 1.0, v[0:1], 1.0
	v_mul_f64 v[22:23], v[20:21], v[18:19]
	v_fma_f64 v[2:3], -v[2:3], v[22:23], v[20:21]
	s_nop 1
	v_div_fmas_f64 v[2:3], v[2:3], v[18:19], v[22:23]
	v_div_fixup_f64 v[0:1], v[2:3], v[0:1], 1.0
	v_mul_f64 v[2:3], v[14:15], -v[0:1]
.LBB122_11:
	s_or_b64 exec, exec, s[12:13]
	v_mov_b32_e32 v17, 0
	v_mov_b32_e32 v13, 2
.LBB122_12:
	s_or_b64 exec, exec, s[0:1]
	v_cmp_ne_u32_e32 vcc, v7, v5
                                        ; implicit-def: $vgpr15
	s_and_saveexec_b64 s[0:1], vcc
	s_xor_b64 s[0:1], exec, s[0:1]
	s_cbranch_execz .LBB122_18
; %bb.13:
	v_cmp_eq_u32_e32 vcc, 0, v7
	s_and_saveexec_b64 s[12:13], vcc
	s_cbranch_execz .LBB122_17
; %bb.14:
	v_cmp_ne_u32_e32 vcc, 0, v5
	s_xor_b64 s[4:5], s[18:19], -1
	s_and_b64 s[4:5], s[4:5], vcc
	s_and_saveexec_b64 s[14:15], s[4:5]
	s_cbranch_execz .LBB122_16
; %bb.15:
	v_ashrrev_i32_e32 v7, 31, v5
	v_mov_b32_e32 v6, v5
	v_lshl_add_u64 v[6:7], v[6:7], 2, v[10:11]
	global_load_dword v4, v[6:7], off
	global_load_dword v14, v[10:11], off
	s_waitcnt vmcnt(1)
	global_store_dword v[10:11], v4, off
	s_waitcnt vmcnt(1)
	global_store_dword v[6:7], v14, off
.LBB122_16:
	s_or_b64 exec, exec, s[14:15]
	v_mov_b32_e32 v7, v5
.LBB122_17:
	s_or_b64 exec, exec, s[12:13]
	v_mov_b32_e32 v15, v7
                                        ; implicit-def: $vgpr7
.LBB122_18:
	s_or_saveexec_b64 s[0:1], s[0:1]
	v_mov_b32_e32 v14, v15
	s_xor_b64 exec, exec, s[0:1]
	s_cbranch_execz .LBB122_24
; %bb.19:
	s_mov_b32 s4, 0
	v_add3_u32 v4, v16, 0, 16
	s_branch .LBB122_21
.LBB122_20:                             ;   in Loop: Header=BB122_21 Depth=1
	s_andn2_b64 vcc, exec, s[12:13]
	s_cbranch_vccz .LBB122_23
.LBB122_21:                             ; =>This Inner Loop Header: Depth=1
	s_add_i32 s12, s4, 16
	s_add_i32 s13, s4, 32
	scratch_load_dwordx4 v[18:21], off, s12
	scratch_load_dwordx4 v[22:25], off, s13
	s_add_i32 s12, s4, 48
	s_add_i32 s13, s4, 64
	scratch_load_dwordx4 v[26:29], off, s12
	scratch_load_dwordx4 v[30:33], off, s13
	s_add_i32 s12, s4, 0x50
	scratch_load_dwordx4 v[34:37], off, s12
	s_mov_b32 s5, s4
	v_add_u32_e32 v5, s4, v4
	s_cmpk_eq_i32 s4, 0x380
	s_mov_b64 s[12:13], -1
	s_waitcnt vmcnt(4)
	ds_write2_b64 v5, v[18:19], v[20:21] offset1:1
	s_waitcnt vmcnt(3)
	ds_write2_b64 v5, v[22:23], v[24:25] offset0:2 offset1:3
	s_waitcnt vmcnt(2)
	ds_write2_b64 v5, v[26:27], v[28:29] offset0:4 offset1:5
	;; [unrolled: 2-line block ×4, first 2 shown]
	s_cbranch_scc1 .LBB122_20
; %bb.22:                               ;   in Loop: Header=BB122_21 Depth=1
	s_add_i32 s12, s5, 0x60
	s_add_i32 s13, s5, 0x70
	scratch_load_dwordx4 v[18:21], off, s12
	scratch_load_dwordx4 v[22:25], off, s13
	s_addk_i32 s5, 0x80
	scratch_load_dwordx4 v[26:29], off, s5
	s_addk_i32 s4, 0x80
	s_mov_b64 s[12:13], 0
	s_waitcnt vmcnt(2)
	ds_write2_b64 v5, v[18:19], v[20:21] offset0:10 offset1:11
	s_waitcnt vmcnt(1)
	ds_write2_b64 v5, v[22:23], v[24:25] offset0:12 offset1:13
	;; [unrolled: 2-line block ×3, first 2 shown]
	s_branch .LBB122_20
.LBB122_23:
	v_mov_b32_e32 v15, 0
	v_mov_b32_e32 v14, v7
.LBB122_24:
	s_or_b64 exec, exec, s[0:1]
	s_mov_b32 s14, 0
	v_cmp_lt_i32_e32 vcc, 0, v15
	s_waitcnt lgkmcnt(0)
	s_barrier
	s_and_saveexec_b64 s[0:1], vcc
	s_cbranch_execz .LBB122_29
; %bb.25:
	scratch_load_dwordx4 v[18:21], off, off
	s_waitcnt vmcnt(0)
	v_mul_f64 v[4:5], v[2:3], v[20:21]
	v_mul_f64 v[6:7], v[0:1], v[20:21]
	v_fma_f64 v[4:5], v[0:1], v[18:19], -v[4:5]
	v_fmac_f64_e32 v[6:7], v[2:3], v[18:19]
	v_add3_u32 v0, v16, 0, 16
	scratch_store_dwordx4 off, v[4:7], off
	s_branch .LBB122_27
.LBB122_26:                             ;   in Loop: Header=BB122_27 Depth=1
	s_andn2_b64 vcc, exec, s[12:13]
	s_cbranch_vccz .LBB122_29
.LBB122_27:                             ; =>This Inner Loop Header: Depth=1
	s_add_i32 s4, s14, 16
	scratch_load_dwordx4 v[18:21], off, s4
	s_add_i32 s5, s14, 32
	s_add_i32 s12, s14, 48
	;; [unrolled: 1-line block ×4, first 2 shown]
	scratch_load_dwordx4 v[22:25], off, s5
	scratch_load_dwordx4 v[26:29], off, s12
	scratch_load_dwordx4 v[30:33], off, s13
	scratch_load_dwordx4 v[34:37], off, s16
	v_add_u32_e32 v1, s14, v0
	ds_read2_b64 v[38:41], v1 offset1:1
	ds_read2_b64 v[42:45], v1 offset0:2 offset1:3
	ds_read2_b64 v[46:49], v1 offset0:4 offset1:5
	;; [unrolled: 1-line block ×4, first 2 shown]
	s_waitcnt lgkmcnt(4)
	v_mul_f64 v[2:3], v[40:41], v[6:7]
	v_mul_f64 v[58:59], v[38:39], v[6:7]
	s_waitcnt lgkmcnt(3)
	v_mul_f64 v[60:61], v[44:45], v[6:7]
	v_mul_f64 v[62:63], v[42:43], v[6:7]
	;; [unrolled: 3-line block ×5, first 2 shown]
	v_fma_f64 v[2:3], v[38:39], v[4:5], -v[2:3]
	v_fmac_f64_e32 v[58:59], v[40:41], v[4:5]
	v_fma_f64 v[38:39], v[42:43], v[4:5], -v[60:61]
	v_fmac_f64_e32 v[62:63], v[44:45], v[4:5]
	;; [unrolled: 2-line block ×5, first 2 shown]
	s_mov_b32 s15, s14
	s_cmpk_eq_i32 s14, 0x380
	s_waitcnt vmcnt(4)
	v_add_f64 v[18:19], v[18:19], -v[2:3]
	v_add_f64 v[20:21], v[20:21], -v[58:59]
	s_waitcnt vmcnt(3)
	v_add_f64 v[22:23], v[22:23], -v[38:39]
	v_add_f64 v[24:25], v[24:25], -v[62:63]
	;; [unrolled: 3-line block ×5, first 2 shown]
	scratch_store_dwordx4 off, v[18:21], s4
	scratch_store_dwordx4 off, v[22:25], s5
	;; [unrolled: 1-line block ×5, first 2 shown]
	s_mov_b64 s[12:13], -1
	s_cbranch_scc1 .LBB122_26
; %bb.28:                               ;   in Loop: Header=BB122_27 Depth=1
	s_add_i32 s4, s15, 0x60
	scratch_load_dwordx4 v[18:21], off, s4
	s_add_i32 s5, s15, 0x70
	s_addk_i32 s15, 0x80
	scratch_load_dwordx4 v[22:25], off, s5
	scratch_load_dwordx4 v[26:29], off, s15
	ds_read2_b64 v[30:33], v1 offset0:10 offset1:11
	ds_read2_b64 v[34:37], v1 offset0:12 offset1:13
	;; [unrolled: 1-line block ×3, first 2 shown]
	s_addk_i32 s14, 0x80
	s_mov_b64 s[12:13], 0
	s_waitcnt lgkmcnt(2)
	v_mul_f64 v[2:3], v[32:33], v[6:7]
	v_mul_f64 v[42:43], v[30:31], v[6:7]
	s_waitcnt lgkmcnt(1)
	v_mul_f64 v[44:45], v[36:37], v[6:7]
	v_mul_f64 v[46:47], v[34:35], v[6:7]
	;; [unrolled: 3-line block ×3, first 2 shown]
	v_fma_f64 v[2:3], v[30:31], v[4:5], -v[2:3]
	v_fmac_f64_e32 v[42:43], v[32:33], v[4:5]
	v_fma_f64 v[30:31], v[34:35], v[4:5], -v[44:45]
	v_fmac_f64_e32 v[46:47], v[36:37], v[4:5]
	;; [unrolled: 2-line block ×3, first 2 shown]
	s_waitcnt vmcnt(2)
	v_add_f64 v[18:19], v[18:19], -v[2:3]
	v_add_f64 v[20:21], v[20:21], -v[42:43]
	s_waitcnt vmcnt(1)
	v_add_f64 v[22:23], v[22:23], -v[30:31]
	v_add_f64 v[24:25], v[24:25], -v[46:47]
	;; [unrolled: 3-line block ×3, first 2 shown]
	scratch_store_dwordx4 off, v[18:21], s4
	scratch_store_dwordx4 off, v[22:25], s5
	;; [unrolled: 1-line block ×3, first 2 shown]
	s_branch .LBB122_26
.LBB122_29:
	s_or_b64 exec, exec, s[0:1]
	s_barrier
	scratch_load_dwordx4 v[0:3], off, s94
	v_lshl_add_u32 v4, v15, 4, v12
	s_cmp_lt_i32 s66, 3
	s_waitcnt vmcnt(0)
	ds_write2_b64 v4, v[0:1], v[2:3] offset1:1
	s_waitcnt lgkmcnt(0)
	s_barrier
	ds_read2_b64 v[0:3], v12 offset0:2 offset1:3
	v_mov_b32_e32 v4, 1
	s_cbranch_scc1 .LBB122_32
; %bb.30:
	v_add3_u32 v5, v16, 0, 32
	s_mov_b32 s4, 2
	v_mov_b32_e32 v4, 1
.LBB122_31:                             ; =>This Inner Loop Header: Depth=1
	ds_read2_b64 v[18:21], v5 offset1:1
	s_waitcnt lgkmcnt(1)
	v_xor_b32_e32 v7, 0x80000000, v1
	v_xor_b32_e32 v23, 0x80000000, v3
	v_cmp_gt_f64_e32 vcc, 0, v[2:3]
	v_cmp_gt_f64_e64 s[0:1], 0, v[0:1]
	v_mov_b32_e32 v6, v0
	v_mov_b32_e32 v22, v2
	v_cndmask_b32_e64 v7, v1, v7, s[0:1]
	v_cndmask_b32_e32 v23, v3, v23, vcc
	v_add_f64 v[6:7], v[6:7], v[22:23]
	s_waitcnt lgkmcnt(0)
	v_xor_b32_e32 v23, 0x80000000, v19
	v_xor_b32_e32 v25, 0x80000000, v21
	v_cmp_gt_f64_e32 vcc, 0, v[20:21]
	v_cmp_gt_f64_e64 s[0:1], 0, v[18:19]
	v_mov_b32_e32 v22, v18
	v_mov_b32_e32 v24, v20
	v_cndmask_b32_e64 v23, v19, v23, s[0:1]
	v_cndmask_b32_e32 v25, v21, v25, vcc
	v_add_f64 v[22:23], v[22:23], v[24:25]
	v_mov_b32_e32 v26, s4
	s_add_i32 s4, s4, 1
	v_cmp_lt_f64_e32 vcc, v[6:7], v[22:23]
	v_add_u32_e32 v5, 16, v5
	s_cmp_lg_u32 s66, s4
	v_cndmask_b32_e32 v1, v1, v19, vcc
	v_cndmask_b32_e32 v0, v0, v18, vcc
	;; [unrolled: 1-line block ×5, first 2 shown]
	s_cbranch_scc1 .LBB122_31
.LBB122_32:
	s_waitcnt lgkmcnt(0)
	v_cmp_neq_f64_e32 vcc, 0, v[0:1]
	v_cmp_neq_f64_e64 s[0:1], 0, v[2:3]
	s_or_b64 s[4:5], vcc, s[0:1]
	s_and_saveexec_b64 s[0:1], s[4:5]
	s_cbranch_execz .LBB122_38
; %bb.33:
	v_cmp_ngt_f64_e64 s[4:5], |v[0:1]|, |v[2:3]|
	s_and_saveexec_b64 s[12:13], s[4:5]
	s_xor_b64 s[12:13], exec, s[12:13]
	s_cbranch_execz .LBB122_35
; %bb.34:
	v_div_scale_f64 v[6:7], s[4:5], v[2:3], v[2:3], v[0:1]
	v_rcp_f64_e32 v[18:19], v[6:7]
	v_div_scale_f64 v[20:21], vcc, v[0:1], v[2:3], v[0:1]
	v_fma_f64 v[22:23], -v[6:7], v[18:19], 1.0
	v_fmac_f64_e32 v[18:19], v[18:19], v[22:23]
	v_fma_f64 v[22:23], -v[6:7], v[18:19], 1.0
	v_fmac_f64_e32 v[18:19], v[18:19], v[22:23]
	v_mul_f64 v[22:23], v[20:21], v[18:19]
	v_fma_f64 v[6:7], -v[6:7], v[22:23], v[20:21]
	v_div_fmas_f64 v[6:7], v[6:7], v[18:19], v[22:23]
	v_div_fixup_f64 v[6:7], v[6:7], v[2:3], v[0:1]
	v_fmac_f64_e32 v[2:3], v[0:1], v[6:7]
	v_div_scale_f64 v[0:1], s[4:5], v[2:3], v[2:3], 1.0
	v_rcp_f64_e32 v[18:19], v[0:1]
	s_nop 0
	v_fma_f64 v[20:21], -v[0:1], v[18:19], 1.0
	v_fmac_f64_e32 v[18:19], v[18:19], v[20:21]
	v_fma_f64 v[20:21], -v[0:1], v[18:19], 1.0
	v_fmac_f64_e32 v[18:19], v[18:19], v[20:21]
	v_div_scale_f64 v[20:21], vcc, 1.0, v[2:3], 1.0
	v_mul_f64 v[22:23], v[20:21], v[18:19]
	v_fma_f64 v[0:1], -v[0:1], v[22:23], v[20:21]
	s_nop 1
	v_div_fmas_f64 v[0:1], v[0:1], v[18:19], v[22:23]
	v_div_fixup_f64 v[2:3], v[0:1], v[2:3], 1.0
	v_mul_f64 v[0:1], v[6:7], v[2:3]
	v_xor_b32_e32 v3, 0x80000000, v3
.LBB122_35:
	s_andn2_saveexec_b64 s[12:13], s[12:13]
	s_cbranch_execz .LBB122_37
; %bb.36:
	v_div_scale_f64 v[6:7], s[4:5], v[0:1], v[0:1], v[2:3]
	v_rcp_f64_e32 v[18:19], v[6:7]
	v_div_scale_f64 v[20:21], vcc, v[2:3], v[0:1], v[2:3]
	v_fma_f64 v[22:23], -v[6:7], v[18:19], 1.0
	v_fmac_f64_e32 v[18:19], v[18:19], v[22:23]
	v_fma_f64 v[22:23], -v[6:7], v[18:19], 1.0
	v_fmac_f64_e32 v[18:19], v[18:19], v[22:23]
	v_mul_f64 v[22:23], v[20:21], v[18:19]
	v_fma_f64 v[6:7], -v[6:7], v[22:23], v[20:21]
	v_div_fmas_f64 v[6:7], v[6:7], v[18:19], v[22:23]
	v_div_fixup_f64 v[6:7], v[6:7], v[0:1], v[2:3]
	v_fmac_f64_e32 v[0:1], v[2:3], v[6:7]
	v_div_scale_f64 v[2:3], s[4:5], v[0:1], v[0:1], 1.0
	v_rcp_f64_e32 v[18:19], v[2:3]
	s_nop 0
	v_fma_f64 v[20:21], -v[2:3], v[18:19], 1.0
	v_fmac_f64_e32 v[18:19], v[18:19], v[20:21]
	v_fma_f64 v[20:21], -v[2:3], v[18:19], 1.0
	v_fmac_f64_e32 v[18:19], v[18:19], v[20:21]
	v_div_scale_f64 v[20:21], vcc, 1.0, v[0:1], 1.0
	v_mul_f64 v[22:23], v[20:21], v[18:19]
	v_fma_f64 v[2:3], -v[2:3], v[22:23], v[20:21]
	s_nop 1
	v_div_fmas_f64 v[2:3], v[2:3], v[18:19], v[22:23]
	v_div_fixup_f64 v[0:1], v[2:3], v[0:1], 1.0
	v_mul_f64 v[2:3], v[6:7], -v[0:1]
.LBB122_37:
	s_or_b64 exec, exec, s[12:13]
	v_mov_b32_e32 v13, v17
.LBB122_38:
	s_or_b64 exec, exec, s[0:1]
	v_cmp_ne_u32_e32 vcc, v15, v4
	s_and_saveexec_b64 s[0:1], vcc
	s_xor_b64 s[0:1], exec, s[0:1]
	s_cbranch_execz .LBB122_44
; %bb.39:
	v_cmp_eq_u32_e32 vcc, 1, v15
	s_and_saveexec_b64 s[12:13], vcc
	s_cbranch_execz .LBB122_43
; %bb.40:
	v_cmp_ne_u32_e32 vcc, 1, v4
	s_xor_b64 s[4:5], s[18:19], -1
	s_and_b64 s[4:5], s[4:5], vcc
	s_and_saveexec_b64 s[14:15], s[4:5]
	s_cbranch_execz .LBB122_42
; %bb.41:
	v_ashrrev_i32_e32 v5, 31, v4
	v_lshl_add_u64 v[6:7], v[4:5], 2, v[10:11]
	global_load_dword v5, v[6:7], off
	global_load_dword v14, v[10:11], off offset:4
	s_waitcnt vmcnt(1)
	global_store_dword v[10:11], v5, off offset:4
	s_waitcnt vmcnt(1)
	global_store_dword v[6:7], v14, off
.LBB122_42:
	s_or_b64 exec, exec, s[14:15]
	v_mov_b32_e32 v15, v4
	v_mov_b32_e32 v14, v4
.LBB122_43:
	s_or_b64 exec, exec, s[12:13]
.LBB122_44:
	s_andn2_saveexec_b64 s[0:1], s[0:1]
	s_cbranch_execz .LBB122_48
; %bb.45:
	s_mov_b32 s4, 0
	v_add3_u32 v4, v16, 0, 32
.LBB122_46:                             ; =>This Inner Loop Header: Depth=1
	s_add_i32 s12, s4, 32
	s_add_i32 s13, s4, 48
	;; [unrolled: 1-line block ×15, first 2 shown]
	scratch_load_dwordx4 v[18:21], off, s12
	scratch_load_dwordx4 v[22:25], off, s13
	;; [unrolled: 1-line block ×15, first 2 shown]
	v_add_u32_e32 v5, s4, v4
	s_addk_i32 s4, 0xf0
	s_cmpk_eq_i32 s4, 0x3c0
	s_waitcnt vmcnt(14)
	ds_write2_b64 v5, v[18:19], v[20:21] offset1:1
	s_waitcnt vmcnt(13)
	ds_write2_b64 v5, v[22:23], v[24:25] offset0:2 offset1:3
	s_waitcnt vmcnt(12)
	ds_write2_b64 v5, v[26:27], v[28:29] offset0:4 offset1:5
	;; [unrolled: 2-line block ×14, first 2 shown]
	s_cbranch_scc0 .LBB122_46
; %bb.47:
	v_mov_b32_e32 v15, 1
.LBB122_48:
	s_or_b64 exec, exec, s[0:1]
	v_cmp_lt_i32_e32 vcc, 1, v15
	s_waitcnt lgkmcnt(0)
	s_barrier
	s_and_saveexec_b64 s[0:1], vcc
	s_cbranch_execz .LBB122_51
; %bb.49:
	scratch_load_dwordx4 v[18:21], off, off offset:16
	s_mov_b32 s12, 0
	s_waitcnt vmcnt(0)
	v_mul_f64 v[4:5], v[2:3], v[20:21]
	v_mul_f64 v[6:7], v[0:1], v[20:21]
	v_fma_f64 v[4:5], v[0:1], v[18:19], -v[4:5]
	v_fmac_f64_e32 v[6:7], v[2:3], v[18:19]
	v_add3_u32 v0, v16, 0, 32
	scratch_store_dwordx4 off, v[4:7], off offset:16
.LBB122_50:                             ; =>This Inner Loop Header: Depth=1
	v_add_u32_e32 v1, s12, v0
	ds_read2_b64 v[18:21], v1 offset1:1
	ds_read2_b64 v[22:25], v1 offset0:2 offset1:3
	s_add_i32 s5, s12, 32
	s_add_i32 s13, s12, 48
	;; [unrolled: 1-line block ×3, first 2 shown]
	s_waitcnt lgkmcnt(1)
	v_mul_f64 v[2:3], v[20:21], v[6:7]
	v_mul_f64 v[62:63], v[18:19], v[6:7]
	s_add_i32 s15, s12, 0x50
	s_add_i32 s16, s12, 0x60
	;; [unrolled: 1-line block ×3, first 2 shown]
	scratch_load_dwordx4 v[26:29], off, s5
	scratch_load_dwordx4 v[30:33], off, s13
	;; [unrolled: 1-line block ×5, first 2 shown]
	v_fma_f64 v[2:3], v[18:19], v[4:5], -v[2:3]
	v_fmac_f64_e32 v[62:63], v[20:21], v[4:5]
	scratch_load_dwordx4 v[4:7], off, off offset:16
	scratch_load_dwordx4 v[18:21], off, s4
	ds_read2_b64 v[46:49], v1 offset0:4 offset1:5
	ds_read2_b64 v[50:53], v1 offset0:6 offset1:7
	;; [unrolled: 1-line block ×4, first 2 shown]
	s_addk_i32 s12, 0x60
	s_cmpk_lg_i32 s12, 0x3c0
	s_waitcnt vmcnt(6)
	v_add_f64 v[26:27], v[26:27], -v[2:3]
	v_add_f64 v[28:29], v[28:29], -v[62:63]
	scratch_store_dwordx4 off, v[26:29], s5
	s_waitcnt vmcnt(2) lgkmcnt(4)
	v_mul_f64 v[2:3], v[24:25], v[6:7]
	v_mul_f64 v[26:27], v[22:23], v[6:7]
	s_waitcnt lgkmcnt(3)
	v_mul_f64 v[28:29], v[48:49], v[6:7]
	v_mul_f64 v[62:63], v[46:47], v[6:7]
	s_waitcnt lgkmcnt(2)
	;; [unrolled: 3-line block ×4, first 2 shown]
	v_mul_f64 v[72:73], v[60:61], v[6:7]
	v_mul_f64 v[74:75], v[58:59], v[6:7]
	v_fma_f64 v[2:3], v[22:23], v[4:5], -v[2:3]
	v_fmac_f64_e32 v[26:27], v[24:25], v[4:5]
	v_fma_f64 v[28:29], v[46:47], v[4:5], -v[28:29]
	v_fmac_f64_e32 v[62:63], v[48:49], v[4:5]
	v_fma_f64 v[46:47], v[50:51], v[4:5], -v[64:65]
	v_fmac_f64_e32 v[66:67], v[52:53], v[4:5]
	v_fma_f64 v[48:49], v[54:55], v[4:5], -v[68:69]
	v_fmac_f64_e32 v[70:71], v[56:57], v[4:5]
	v_fma_f64 v[50:51], v[58:59], v[4:5], -v[72:73]
	v_fmac_f64_e32 v[74:75], v[60:61], v[4:5]
	v_add_f64 v[22:23], v[30:31], -v[2:3]
	v_add_f64 v[24:25], v[32:33], -v[26:27]
	;; [unrolled: 1-line block ×8, first 2 shown]
	s_waitcnt vmcnt(1)
	v_add_f64 v[18:19], v[18:19], -v[50:51]
	v_add_f64 v[20:21], v[20:21], -v[74:75]
	scratch_store_dwordx4 off, v[22:25], s13
	scratch_store_dwordx4 off, v[26:29], s14
	;; [unrolled: 1-line block ×5, first 2 shown]
	s_cbranch_scc1 .LBB122_50
.LBB122_51:
	s_or_b64 exec, exec, s[0:1]
	s_barrier
	scratch_load_dwordx4 v[0:3], off, s93
	v_lshl_add_u32 v4, v15, 4, v12
	s_cmp_lt_i32 s66, 4
	s_waitcnt vmcnt(0)
	ds_write2_b64 v4, v[0:1], v[2:3] offset1:1
	s_waitcnt lgkmcnt(0)
	s_barrier
	ds_read2_b64 v[0:3], v12 offset0:4 offset1:5
	v_mov_b32_e32 v4, 2
	s_cbranch_scc1 .LBB122_54
; %bb.52:
	v_add3_u32 v5, v16, 0, 48
	s_mov_b32 s4, 3
	v_mov_b32_e32 v4, 2
.LBB122_53:                             ; =>This Inner Loop Header: Depth=1
	ds_read2_b64 v[18:21], v5 offset1:1
	s_waitcnt lgkmcnt(1)
	v_xor_b32_e32 v7, 0x80000000, v1
	v_xor_b32_e32 v17, 0x80000000, v3
	v_cmp_gt_f64_e32 vcc, 0, v[2:3]
	v_cmp_gt_f64_e64 s[0:1], 0, v[0:1]
	v_mov_b32_e32 v6, v0
	v_mov_b32_e32 v22, v2
	v_cndmask_b32_e64 v7, v1, v7, s[0:1]
	v_cndmask_b32_e32 v23, v3, v17, vcc
	s_waitcnt lgkmcnt(0)
	v_xor_b32_e32 v17, 0x80000000, v19
	v_xor_b32_e32 v25, 0x80000000, v21
	v_cmp_gt_f64_e32 vcc, 0, v[20:21]
	v_cmp_gt_f64_e64 s[0:1], 0, v[18:19]
	v_add_f64 v[6:7], v[6:7], v[22:23]
	v_mov_b32_e32 v22, v18
	v_mov_b32_e32 v24, v20
	v_cndmask_b32_e64 v23, v19, v17, s[0:1]
	v_cndmask_b32_e32 v25, v21, v25, vcc
	v_add_f64 v[22:23], v[22:23], v[24:25]
	v_mov_b32_e32 v26, s4
	s_add_i32 s4, s4, 1
	v_cmp_lt_f64_e32 vcc, v[6:7], v[22:23]
	v_add_u32_e32 v5, 16, v5
	s_cmp_lg_u32 s66, s4
	v_cndmask_b32_e32 v1, v1, v19, vcc
	v_cndmask_b32_e32 v0, v0, v18, vcc
	;; [unrolled: 1-line block ×5, first 2 shown]
	s_cbranch_scc1 .LBB122_53
.LBB122_54:
	s_waitcnt lgkmcnt(0)
	v_cmp_eq_f64_e32 vcc, 0, v[0:1]
	v_cmp_eq_f64_e64 s[0:1], 0, v[2:3]
	s_and_b64 s[0:1], vcc, s[0:1]
	s_and_saveexec_b64 s[4:5], s[0:1]
	s_xor_b64 s[0:1], exec, s[4:5]
; %bb.55:
	v_cmp_ne_u32_e32 vcc, 0, v13
	s_nop 1
	v_cndmask_b32_e32 v13, 3, v13, vcc
; %bb.56:
	s_andn2_saveexec_b64 s[0:1], s[0:1]
	s_cbranch_execz .LBB122_62
; %bb.57:
	v_cmp_ngt_f64_e64 s[4:5], |v[0:1]|, |v[2:3]|
	s_and_saveexec_b64 s[12:13], s[4:5]
	s_xor_b64 s[12:13], exec, s[12:13]
	s_cbranch_execz .LBB122_59
; %bb.58:
	v_div_scale_f64 v[6:7], s[4:5], v[2:3], v[2:3], v[0:1]
	v_rcp_f64_e32 v[18:19], v[6:7]
	v_div_scale_f64 v[20:21], vcc, v[0:1], v[2:3], v[0:1]
	v_fma_f64 v[22:23], -v[6:7], v[18:19], 1.0
	v_fmac_f64_e32 v[18:19], v[18:19], v[22:23]
	v_fma_f64 v[22:23], -v[6:7], v[18:19], 1.0
	v_fmac_f64_e32 v[18:19], v[18:19], v[22:23]
	v_mul_f64 v[22:23], v[20:21], v[18:19]
	v_fma_f64 v[6:7], -v[6:7], v[22:23], v[20:21]
	v_div_fmas_f64 v[6:7], v[6:7], v[18:19], v[22:23]
	v_div_fixup_f64 v[6:7], v[6:7], v[2:3], v[0:1]
	v_fmac_f64_e32 v[2:3], v[0:1], v[6:7]
	v_div_scale_f64 v[0:1], s[4:5], v[2:3], v[2:3], 1.0
	v_rcp_f64_e32 v[18:19], v[0:1]
	s_nop 0
	v_fma_f64 v[20:21], -v[0:1], v[18:19], 1.0
	v_fmac_f64_e32 v[18:19], v[18:19], v[20:21]
	v_fma_f64 v[20:21], -v[0:1], v[18:19], 1.0
	v_fmac_f64_e32 v[18:19], v[18:19], v[20:21]
	v_div_scale_f64 v[20:21], vcc, 1.0, v[2:3], 1.0
	v_mul_f64 v[22:23], v[20:21], v[18:19]
	v_fma_f64 v[0:1], -v[0:1], v[22:23], v[20:21]
	s_nop 1
	v_div_fmas_f64 v[0:1], v[0:1], v[18:19], v[22:23]
	v_div_fixup_f64 v[2:3], v[0:1], v[2:3], 1.0
	v_mul_f64 v[0:1], v[6:7], v[2:3]
	v_xor_b32_e32 v3, 0x80000000, v3
.LBB122_59:
	s_andn2_saveexec_b64 s[12:13], s[12:13]
	s_cbranch_execz .LBB122_61
; %bb.60:
	v_div_scale_f64 v[6:7], s[4:5], v[0:1], v[0:1], v[2:3]
	v_rcp_f64_e32 v[18:19], v[6:7]
	v_div_scale_f64 v[20:21], vcc, v[2:3], v[0:1], v[2:3]
	v_fma_f64 v[22:23], -v[6:7], v[18:19], 1.0
	v_fmac_f64_e32 v[18:19], v[18:19], v[22:23]
	v_fma_f64 v[22:23], -v[6:7], v[18:19], 1.0
	v_fmac_f64_e32 v[18:19], v[18:19], v[22:23]
	v_mul_f64 v[22:23], v[20:21], v[18:19]
	v_fma_f64 v[6:7], -v[6:7], v[22:23], v[20:21]
	v_div_fmas_f64 v[6:7], v[6:7], v[18:19], v[22:23]
	v_div_fixup_f64 v[6:7], v[6:7], v[0:1], v[2:3]
	v_fmac_f64_e32 v[0:1], v[2:3], v[6:7]
	v_div_scale_f64 v[2:3], s[4:5], v[0:1], v[0:1], 1.0
	v_rcp_f64_e32 v[18:19], v[2:3]
	s_nop 0
	v_fma_f64 v[20:21], -v[2:3], v[18:19], 1.0
	v_fmac_f64_e32 v[18:19], v[18:19], v[20:21]
	v_fma_f64 v[20:21], -v[2:3], v[18:19], 1.0
	v_fmac_f64_e32 v[18:19], v[18:19], v[20:21]
	v_div_scale_f64 v[20:21], vcc, 1.0, v[0:1], 1.0
	v_mul_f64 v[22:23], v[20:21], v[18:19]
	v_fma_f64 v[2:3], -v[2:3], v[22:23], v[20:21]
	s_nop 1
	v_div_fmas_f64 v[2:3], v[2:3], v[18:19], v[22:23]
	v_div_fixup_f64 v[0:1], v[2:3], v[0:1], 1.0
	v_mul_f64 v[2:3], v[6:7], -v[0:1]
.LBB122_61:
	s_or_b64 exec, exec, s[12:13]
.LBB122_62:
	s_or_b64 exec, exec, s[0:1]
	v_cmp_ne_u32_e32 vcc, v15, v4
	s_and_saveexec_b64 s[0:1], vcc
	s_xor_b64 s[0:1], exec, s[0:1]
	s_cbranch_execz .LBB122_68
; %bb.63:
	v_cmp_eq_u32_e32 vcc, 2, v15
	s_and_saveexec_b64 s[12:13], vcc
	s_cbranch_execz .LBB122_67
; %bb.64:
	v_cmp_ne_u32_e32 vcc, 2, v4
	s_xor_b64 s[4:5], s[18:19], -1
	s_and_b64 s[4:5], s[4:5], vcc
	s_and_saveexec_b64 s[14:15], s[4:5]
	s_cbranch_execz .LBB122_66
; %bb.65:
	v_ashrrev_i32_e32 v5, 31, v4
	v_lshl_add_u64 v[6:7], v[4:5], 2, v[10:11]
	global_load_dword v5, v[6:7], off
	global_load_dword v14, v[10:11], off offset:8
	s_waitcnt vmcnt(1)
	global_store_dword v[10:11], v5, off offset:8
	s_waitcnt vmcnt(1)
	global_store_dword v[6:7], v14, off
.LBB122_66:
	s_or_b64 exec, exec, s[14:15]
	v_mov_b32_e32 v15, v4
	v_mov_b32_e32 v14, v4
.LBB122_67:
	s_or_b64 exec, exec, s[12:13]
.LBB122_68:
	s_andn2_saveexec_b64 s[0:1], s[0:1]
	s_cbranch_execz .LBB122_74
; %bb.69:
	s_mov_b32 s4, 0
	v_add3_u32 v4, v16, 0, 48
	s_branch .LBB122_71
.LBB122_70:                             ;   in Loop: Header=BB122_71 Depth=1
	s_andn2_b64 vcc, exec, s[12:13]
	s_cbranch_vccz .LBB122_73
.LBB122_71:                             ; =>This Inner Loop Header: Depth=1
	s_add_i32 s12, s4, 48
	s_add_i32 s13, s4, 64
	scratch_load_dwordx4 v[18:21], off, s12
	scratch_load_dwordx4 v[22:25], off, s13
	s_add_i32 s12, s4, 0x50
	scratch_load_dwordx4 v[26:29], off, s12
	s_mov_b32 s5, s4
	v_add_u32_e32 v5, s4, v4
	s_cmpk_eq_i32 s4, 0x380
	s_mov_b64 s[12:13], -1
	s_waitcnt vmcnt(2)
	ds_write2_b64 v5, v[18:19], v[20:21] offset1:1
	s_waitcnt vmcnt(1)
	ds_write2_b64 v5, v[22:23], v[24:25] offset0:2 offset1:3
	s_waitcnt vmcnt(0)
	ds_write2_b64 v5, v[26:27], v[28:29] offset0:4 offset1:5
	s_cbranch_scc1 .LBB122_70
; %bb.72:                               ;   in Loop: Header=BB122_71 Depth=1
	s_add_i32 s12, s5, 0x60
	s_add_i32 s13, s5, 0x70
	scratch_load_dwordx4 v[18:21], off, s12
	scratch_load_dwordx4 v[22:25], off, s13
	s_add_i32 s12, s5, 0x80
	s_add_i32 s13, s5, 0x90
	scratch_load_dwordx4 v[26:29], off, s12
	scratch_load_dwordx4 v[30:33], off, s13
	s_addk_i32 s5, 0xa0
	scratch_load_dwordx4 v[34:37], off, s5
	s_addk_i32 s4, 0x80
	s_mov_b64 s[12:13], 0
	s_waitcnt vmcnt(4)
	ds_write2_b64 v5, v[18:19], v[20:21] offset0:6 offset1:7
	s_waitcnt vmcnt(3)
	ds_write2_b64 v5, v[22:23], v[24:25] offset0:8 offset1:9
	;; [unrolled: 2-line block ×5, first 2 shown]
	s_branch .LBB122_70
.LBB122_73:
	v_mov_b32_e32 v15, 2
.LBB122_74:
	s_or_b64 exec, exec, s[0:1]
	v_cmp_lt_i32_e32 vcc, 2, v15
	s_waitcnt lgkmcnt(0)
	s_barrier
	s_and_saveexec_b64 s[0:1], vcc
	s_cbranch_execz .LBB122_79
; %bb.75:
	scratch_load_dwordx4 v[18:21], off, off offset:32
	s_mov_b32 s14, 0
	s_waitcnt vmcnt(0)
	v_mul_f64 v[4:5], v[2:3], v[20:21]
	v_mul_f64 v[6:7], v[0:1], v[20:21]
	v_fma_f64 v[4:5], v[0:1], v[18:19], -v[4:5]
	v_fmac_f64_e32 v[6:7], v[2:3], v[18:19]
	v_add3_u32 v0, v16, 0, 48
	scratch_store_dwordx4 off, v[4:7], off offset:32
	s_branch .LBB122_77
.LBB122_76:                             ;   in Loop: Header=BB122_77 Depth=1
	s_andn2_b64 vcc, exec, s[12:13]
	s_cbranch_vccz .LBB122_79
.LBB122_77:                             ; =>This Inner Loop Header: Depth=1
	s_add_i32 s4, s14, 48
	scratch_load_dwordx4 v[18:21], off, s4
	s_add_i32 s5, s14, 64
	s_add_i32 s12, s14, 0x50
	scratch_load_dwordx4 v[22:25], off, s5
	scratch_load_dwordx4 v[26:29], off, s12
	v_add_u32_e32 v1, s14, v0
	ds_read2_b64 v[30:33], v1 offset1:1
	ds_read2_b64 v[34:37], v1 offset0:2 offset1:3
	ds_read2_b64 v[38:41], v1 offset0:4 offset1:5
	s_mov_b32 s15, s14
	s_cmpk_eq_i32 s14, 0x380
	s_waitcnt lgkmcnt(2)
	v_mul_f64 v[2:3], v[32:33], v[6:7]
	v_mul_f64 v[42:43], v[30:31], v[6:7]
	s_waitcnt lgkmcnt(1)
	v_mul_f64 v[44:45], v[36:37], v[6:7]
	v_mul_f64 v[46:47], v[34:35], v[6:7]
	;; [unrolled: 3-line block ×3, first 2 shown]
	v_fma_f64 v[2:3], v[30:31], v[4:5], -v[2:3]
	v_fmac_f64_e32 v[42:43], v[32:33], v[4:5]
	v_fma_f64 v[30:31], v[34:35], v[4:5], -v[44:45]
	v_fmac_f64_e32 v[46:47], v[36:37], v[4:5]
	;; [unrolled: 2-line block ×3, first 2 shown]
	s_waitcnt vmcnt(2)
	v_add_f64 v[18:19], v[18:19], -v[2:3]
	v_add_f64 v[20:21], v[20:21], -v[42:43]
	s_waitcnt vmcnt(1)
	v_add_f64 v[22:23], v[22:23], -v[30:31]
	v_add_f64 v[24:25], v[24:25], -v[46:47]
	s_waitcnt vmcnt(0)
	v_add_f64 v[26:27], v[26:27], -v[32:33]
	v_add_f64 v[28:29], v[28:29], -v[50:51]
	scratch_store_dwordx4 off, v[18:21], s4
	scratch_store_dwordx4 off, v[22:25], s5
	;; [unrolled: 1-line block ×3, first 2 shown]
	s_mov_b64 s[12:13], -1
	s_cbranch_scc1 .LBB122_76
; %bb.78:                               ;   in Loop: Header=BB122_77 Depth=1
	s_add_i32 s4, s15, 0x60
	scratch_load_dwordx4 v[18:21], off, s4
	s_add_i32 s5, s15, 0x70
	s_add_i32 s12, s15, 0x80
	;; [unrolled: 1-line block ×3, first 2 shown]
	s_addk_i32 s15, 0xa0
	scratch_load_dwordx4 v[22:25], off, s5
	scratch_load_dwordx4 v[26:29], off, s12
	;; [unrolled: 1-line block ×4, first 2 shown]
	ds_read2_b64 v[38:41], v1 offset0:6 offset1:7
	ds_read2_b64 v[42:45], v1 offset0:8 offset1:9
	;; [unrolled: 1-line block ×5, first 2 shown]
	s_waitcnt lgkmcnt(4)
	v_mul_f64 v[2:3], v[40:41], v[6:7]
	v_mul_f64 v[58:59], v[38:39], v[6:7]
	s_waitcnt lgkmcnt(3)
	v_mul_f64 v[60:61], v[44:45], v[6:7]
	v_mul_f64 v[62:63], v[42:43], v[6:7]
	;; [unrolled: 3-line block ×5, first 2 shown]
	v_fma_f64 v[2:3], v[38:39], v[4:5], -v[2:3]
	v_fmac_f64_e32 v[58:59], v[40:41], v[4:5]
	v_fma_f64 v[38:39], v[42:43], v[4:5], -v[60:61]
	v_fmac_f64_e32 v[62:63], v[44:45], v[4:5]
	;; [unrolled: 2-line block ×5, first 2 shown]
	s_addk_i32 s14, 0x80
	s_waitcnt vmcnt(4)
	v_add_f64 v[18:19], v[18:19], -v[2:3]
	v_add_f64 v[20:21], v[20:21], -v[58:59]
	s_waitcnt vmcnt(3)
	v_add_f64 v[22:23], v[22:23], -v[38:39]
	v_add_f64 v[24:25], v[24:25], -v[62:63]
	;; [unrolled: 3-line block ×5, first 2 shown]
	scratch_store_dwordx4 off, v[18:21], s4
	scratch_store_dwordx4 off, v[22:25], s5
	;; [unrolled: 1-line block ×5, first 2 shown]
	s_mov_b64 s[12:13], 0
	s_branch .LBB122_76
.LBB122_79:
	s_or_b64 exec, exec, s[0:1]
	s_barrier
	scratch_load_dwordx4 v[0:3], off, s49
	v_lshl_add_u32 v4, v15, 4, v12
	s_mov_b32 s4, 4
	s_cmp_lt_i32 s66, 5
	s_waitcnt vmcnt(0)
	ds_write2_b64 v4, v[0:1], v[2:3] offset1:1
	s_waitcnt lgkmcnt(0)
	s_barrier
	ds_read2_b64 v[0:3], v12 offset0:6 offset1:7
	v_mov_b32_e32 v4, 3
	s_cbranch_scc1 .LBB122_82
; %bb.80:
	v_add3_u32 v5, v16, 0, 64
	v_mov_b32_e32 v4, 3
.LBB122_81:                             ; =>This Inner Loop Header: Depth=1
	ds_read2_b64 v[18:21], v5 offset1:1
	s_waitcnt lgkmcnt(1)
	v_xor_b32_e32 v7, 0x80000000, v1
	v_xor_b32_e32 v17, 0x80000000, v3
	v_cmp_gt_f64_e32 vcc, 0, v[2:3]
	v_cmp_gt_f64_e64 s[0:1], 0, v[0:1]
	v_mov_b32_e32 v6, v0
	v_mov_b32_e32 v22, v2
	v_cndmask_b32_e64 v7, v1, v7, s[0:1]
	v_cndmask_b32_e32 v23, v3, v17, vcc
	s_waitcnt lgkmcnt(0)
	v_xor_b32_e32 v17, 0x80000000, v19
	v_xor_b32_e32 v25, 0x80000000, v21
	v_cmp_gt_f64_e32 vcc, 0, v[20:21]
	v_cmp_gt_f64_e64 s[0:1], 0, v[18:19]
	v_add_f64 v[6:7], v[6:7], v[22:23]
	v_mov_b32_e32 v22, v18
	v_mov_b32_e32 v24, v20
	v_cndmask_b32_e64 v23, v19, v17, s[0:1]
	v_cndmask_b32_e32 v25, v21, v25, vcc
	v_add_f64 v[22:23], v[22:23], v[24:25]
	v_mov_b32_e32 v26, s4
	s_add_i32 s4, s4, 1
	v_cmp_lt_f64_e32 vcc, v[6:7], v[22:23]
	v_add_u32_e32 v5, 16, v5
	s_cmp_lg_u32 s66, s4
	v_cndmask_b32_e32 v1, v1, v19, vcc
	v_cndmask_b32_e32 v0, v0, v18, vcc
	;; [unrolled: 1-line block ×5, first 2 shown]
	s_cbranch_scc1 .LBB122_81
.LBB122_82:
	s_waitcnt lgkmcnt(0)
	v_cmp_eq_f64_e32 vcc, 0, v[0:1]
	v_cmp_eq_f64_e64 s[0:1], 0, v[2:3]
	s_and_b64 s[0:1], vcc, s[0:1]
	s_and_saveexec_b64 s[4:5], s[0:1]
	s_xor_b64 s[0:1], exec, s[4:5]
; %bb.83:
	v_cmp_ne_u32_e32 vcc, 0, v13
	s_nop 1
	v_cndmask_b32_e32 v13, 4, v13, vcc
; %bb.84:
	s_andn2_saveexec_b64 s[0:1], s[0:1]
	s_cbranch_execz .LBB122_90
; %bb.85:
	v_cmp_ngt_f64_e64 s[4:5], |v[0:1]|, |v[2:3]|
	s_and_saveexec_b64 s[12:13], s[4:5]
	s_xor_b64 s[12:13], exec, s[12:13]
	s_cbranch_execz .LBB122_87
; %bb.86:
	v_div_scale_f64 v[6:7], s[4:5], v[2:3], v[2:3], v[0:1]
	v_rcp_f64_e32 v[18:19], v[6:7]
	v_div_scale_f64 v[20:21], vcc, v[0:1], v[2:3], v[0:1]
	v_fma_f64 v[22:23], -v[6:7], v[18:19], 1.0
	v_fmac_f64_e32 v[18:19], v[18:19], v[22:23]
	v_fma_f64 v[22:23], -v[6:7], v[18:19], 1.0
	v_fmac_f64_e32 v[18:19], v[18:19], v[22:23]
	v_mul_f64 v[22:23], v[20:21], v[18:19]
	v_fma_f64 v[6:7], -v[6:7], v[22:23], v[20:21]
	v_div_fmas_f64 v[6:7], v[6:7], v[18:19], v[22:23]
	v_div_fixup_f64 v[6:7], v[6:7], v[2:3], v[0:1]
	v_fmac_f64_e32 v[2:3], v[0:1], v[6:7]
	v_div_scale_f64 v[0:1], s[4:5], v[2:3], v[2:3], 1.0
	v_rcp_f64_e32 v[18:19], v[0:1]
	s_nop 0
	v_fma_f64 v[20:21], -v[0:1], v[18:19], 1.0
	v_fmac_f64_e32 v[18:19], v[18:19], v[20:21]
	v_fma_f64 v[20:21], -v[0:1], v[18:19], 1.0
	v_fmac_f64_e32 v[18:19], v[18:19], v[20:21]
	v_div_scale_f64 v[20:21], vcc, 1.0, v[2:3], 1.0
	v_mul_f64 v[22:23], v[20:21], v[18:19]
	v_fma_f64 v[0:1], -v[0:1], v[22:23], v[20:21]
	s_nop 1
	v_div_fmas_f64 v[0:1], v[0:1], v[18:19], v[22:23]
	v_div_fixup_f64 v[2:3], v[0:1], v[2:3], 1.0
	v_mul_f64 v[0:1], v[6:7], v[2:3]
	v_xor_b32_e32 v3, 0x80000000, v3
.LBB122_87:
	s_andn2_saveexec_b64 s[12:13], s[12:13]
	s_cbranch_execz .LBB122_89
; %bb.88:
	v_div_scale_f64 v[6:7], s[4:5], v[0:1], v[0:1], v[2:3]
	v_rcp_f64_e32 v[18:19], v[6:7]
	v_div_scale_f64 v[20:21], vcc, v[2:3], v[0:1], v[2:3]
	v_fma_f64 v[22:23], -v[6:7], v[18:19], 1.0
	v_fmac_f64_e32 v[18:19], v[18:19], v[22:23]
	v_fma_f64 v[22:23], -v[6:7], v[18:19], 1.0
	v_fmac_f64_e32 v[18:19], v[18:19], v[22:23]
	v_mul_f64 v[22:23], v[20:21], v[18:19]
	v_fma_f64 v[6:7], -v[6:7], v[22:23], v[20:21]
	v_div_fmas_f64 v[6:7], v[6:7], v[18:19], v[22:23]
	v_div_fixup_f64 v[6:7], v[6:7], v[0:1], v[2:3]
	v_fmac_f64_e32 v[0:1], v[2:3], v[6:7]
	v_div_scale_f64 v[2:3], s[4:5], v[0:1], v[0:1], 1.0
	v_rcp_f64_e32 v[18:19], v[2:3]
	s_nop 0
	v_fma_f64 v[20:21], -v[2:3], v[18:19], 1.0
	v_fmac_f64_e32 v[18:19], v[18:19], v[20:21]
	v_fma_f64 v[20:21], -v[2:3], v[18:19], 1.0
	v_fmac_f64_e32 v[18:19], v[18:19], v[20:21]
	v_div_scale_f64 v[20:21], vcc, 1.0, v[0:1], 1.0
	v_mul_f64 v[22:23], v[20:21], v[18:19]
	v_fma_f64 v[2:3], -v[2:3], v[22:23], v[20:21]
	s_nop 1
	v_div_fmas_f64 v[2:3], v[2:3], v[18:19], v[22:23]
	v_div_fixup_f64 v[0:1], v[2:3], v[0:1], 1.0
	v_mul_f64 v[2:3], v[6:7], -v[0:1]
.LBB122_89:
	s_or_b64 exec, exec, s[12:13]
.LBB122_90:
	s_or_b64 exec, exec, s[0:1]
	v_cmp_ne_u32_e32 vcc, v15, v4
	s_and_saveexec_b64 s[0:1], vcc
	s_xor_b64 s[0:1], exec, s[0:1]
	s_cbranch_execz .LBB122_96
; %bb.91:
	v_cmp_eq_u32_e32 vcc, 3, v15
	s_and_saveexec_b64 s[12:13], vcc
	s_cbranch_execz .LBB122_95
; %bb.92:
	v_cmp_ne_u32_e32 vcc, 3, v4
	s_xor_b64 s[4:5], s[18:19], -1
	s_and_b64 s[4:5], s[4:5], vcc
	s_and_saveexec_b64 s[14:15], s[4:5]
	s_cbranch_execz .LBB122_94
; %bb.93:
	v_ashrrev_i32_e32 v5, 31, v4
	v_lshl_add_u64 v[6:7], v[4:5], 2, v[10:11]
	global_load_dword v5, v[6:7], off
	global_load_dword v14, v[10:11], off offset:12
	s_waitcnt vmcnt(1)
	global_store_dword v[10:11], v5, off offset:12
	s_waitcnt vmcnt(1)
	global_store_dword v[6:7], v14, off
.LBB122_94:
	s_or_b64 exec, exec, s[14:15]
	v_mov_b32_e32 v15, v4
	v_mov_b32_e32 v14, v4
.LBB122_95:
	s_or_b64 exec, exec, s[12:13]
.LBB122_96:
	s_andn2_saveexec_b64 s[0:1], s[0:1]
	s_cbranch_execz .LBB122_100
; %bb.97:
	s_mov_b32 s4, 0
	v_add3_u32 v4, v16, 0, 64
.LBB122_98:                             ; =>This Inner Loop Header: Depth=1
	s_add_i32 s12, s4, 64
	s_add_i32 s5, s4, 0x50
	scratch_load_dwordx4 v[18:21], off, s12
	scratch_load_dwordx4 v[22:25], off, s5
	v_add_u32_e32 v5, s4, v4
	s_add_i32 s4, s4, 32
	s_cmpk_eq_i32 s4, 0x3a0
	s_waitcnt vmcnt(1)
	ds_write2_b64 v5, v[18:19], v[20:21] offset1:1
	s_waitcnt vmcnt(0)
	ds_write2_b64 v5, v[22:23], v[24:25] offset0:2 offset1:3
	s_cbranch_scc0 .LBB122_98
; %bb.99:
	v_mov_b32_e32 v15, 3
.LBB122_100:
	s_or_b64 exec, exec, s[0:1]
	v_cmp_lt_i32_e32 vcc, 3, v15
	s_waitcnt lgkmcnt(0)
	s_barrier
	s_and_saveexec_b64 s[0:1], vcc
	s_cbranch_execz .LBB122_103
; %bb.101:
	scratch_load_dwordx4 v[18:21], off, off offset:48
	s_mov_b32 s4, 0
	s_waitcnt vmcnt(0)
	v_mul_f64 v[4:5], v[2:3], v[20:21]
	v_mul_f64 v[6:7], v[0:1], v[20:21]
	v_fma_f64 v[4:5], v[0:1], v[18:19], -v[4:5]
	v_fmac_f64_e32 v[6:7], v[2:3], v[18:19]
	v_add3_u32 v0, v16, 0, 64
	scratch_store_dwordx4 off, v[4:7], off offset:48
.LBB122_102:                            ; =>This Inner Loop Header: Depth=1
	s_add_i32 s12, s4, 64
	s_add_i32 s5, s4, 0x50
	scratch_load_dwordx4 v[16:19], off, s12
	scratch_load_dwordx4 v[20:23], off, s5
	v_add_u32_e32 v1, s4, v0
	ds_read2_b64 v[24:27], v1 offset1:1
	ds_read2_b64 v[28:31], v1 offset0:2 offset1:3
	s_add_i32 s4, s4, 32
	s_cmpk_lg_i32 s4, 0x3a0
	s_waitcnt lgkmcnt(1)
	v_mul_f64 v[2:3], v[26:27], v[6:7]
	v_mul_f64 v[32:33], v[24:25], v[6:7]
	s_waitcnt lgkmcnt(0)
	v_mul_f64 v[34:35], v[30:31], v[6:7]
	v_mul_f64 v[36:37], v[28:29], v[6:7]
	v_fma_f64 v[2:3], v[24:25], v[4:5], -v[2:3]
	v_fmac_f64_e32 v[32:33], v[26:27], v[4:5]
	v_fma_f64 v[24:25], v[28:29], v[4:5], -v[34:35]
	v_fmac_f64_e32 v[36:37], v[30:31], v[4:5]
	s_waitcnt vmcnt(1)
	v_add_f64 v[16:17], v[16:17], -v[2:3]
	v_add_f64 v[18:19], v[18:19], -v[32:33]
	s_waitcnt vmcnt(0)
	v_add_f64 v[20:21], v[20:21], -v[24:25]
	v_add_f64 v[22:23], v[22:23], -v[36:37]
	scratch_store_dwordx4 off, v[16:19], s12
	scratch_store_dwordx4 off, v[20:23], s5
	s_cbranch_scc1 .LBB122_102
.LBB122_103:
	s_or_b64 exec, exec, s[0:1]
	s_barrier
	scratch_load_dwordx4 v[0:3], off, s82
	v_lshl_add_u32 v4, v15, 4, v12
	s_cmp_lt_i32 s66, 6
	s_waitcnt vmcnt(0)
	ds_write2_b64 v4, v[0:1], v[2:3] offset1:1
	s_waitcnt lgkmcnt(0)
	s_barrier
	ds_read2_b64 v[0:3], v12 offset0:8 offset1:9
	v_mov_b32_e32 v4, 4
	s_cbranch_scc1 .LBB122_106
; %bb.104:
	v_mov_b32_e32 v4, 4
	v_add_u32_e32 v5, 0x50, v12
	s_mov_b32 s4, 5
.LBB122_105:                            ; =>This Inner Loop Header: Depth=1
	ds_read2_b64 v[16:19], v5 offset1:1
	s_waitcnt lgkmcnt(1)
	v_xor_b32_e32 v7, 0x80000000, v1
	v_xor_b32_e32 v21, 0x80000000, v3
	v_cmp_gt_f64_e32 vcc, 0, v[2:3]
	v_cmp_gt_f64_e64 s[0:1], 0, v[0:1]
	v_mov_b32_e32 v6, v0
	v_mov_b32_e32 v20, v2
	v_cndmask_b32_e64 v7, v1, v7, s[0:1]
	v_cndmask_b32_e32 v21, v3, v21, vcc
	v_add_f64 v[6:7], v[6:7], v[20:21]
	s_waitcnt lgkmcnt(0)
	v_xor_b32_e32 v21, 0x80000000, v17
	v_xor_b32_e32 v23, 0x80000000, v19
	v_cmp_gt_f64_e32 vcc, 0, v[18:19]
	v_cmp_gt_f64_e64 s[0:1], 0, v[16:17]
	v_mov_b32_e32 v20, v16
	v_mov_b32_e32 v22, v18
	v_cndmask_b32_e64 v21, v17, v21, s[0:1]
	v_cndmask_b32_e32 v23, v19, v23, vcc
	v_add_f64 v[20:21], v[20:21], v[22:23]
	v_mov_b32_e32 v24, s4
	s_add_i32 s4, s4, 1
	v_cmp_lt_f64_e32 vcc, v[6:7], v[20:21]
	v_add_u32_e32 v5, 16, v5
	s_cmp_lg_u32 s66, s4
	v_cndmask_b32_e32 v1, v1, v17, vcc
	v_cndmask_b32_e32 v0, v0, v16, vcc
	;; [unrolled: 1-line block ×5, first 2 shown]
	s_cbranch_scc1 .LBB122_105
.LBB122_106:
	s_waitcnt lgkmcnt(0)
	v_cmp_eq_f64_e32 vcc, 0, v[0:1]
	v_cmp_eq_f64_e64 s[0:1], 0, v[2:3]
	s_and_b64 s[0:1], vcc, s[0:1]
	s_and_saveexec_b64 s[4:5], s[0:1]
	s_xor_b64 s[0:1], exec, s[4:5]
; %bb.107:
	v_cmp_ne_u32_e32 vcc, 0, v13
	s_nop 1
	v_cndmask_b32_e32 v13, 5, v13, vcc
; %bb.108:
	s_andn2_saveexec_b64 s[0:1], s[0:1]
	s_cbranch_execz .LBB122_114
; %bb.109:
	v_cmp_ngt_f64_e64 s[4:5], |v[0:1]|, |v[2:3]|
	s_and_saveexec_b64 s[12:13], s[4:5]
	s_xor_b64 s[12:13], exec, s[12:13]
	s_cbranch_execz .LBB122_111
; %bb.110:
	v_div_scale_f64 v[6:7], s[4:5], v[2:3], v[2:3], v[0:1]
	v_rcp_f64_e32 v[16:17], v[6:7]
	v_div_scale_f64 v[18:19], vcc, v[0:1], v[2:3], v[0:1]
	v_fma_f64 v[20:21], -v[6:7], v[16:17], 1.0
	v_fmac_f64_e32 v[16:17], v[16:17], v[20:21]
	v_fma_f64 v[20:21], -v[6:7], v[16:17], 1.0
	v_fmac_f64_e32 v[16:17], v[16:17], v[20:21]
	v_mul_f64 v[20:21], v[18:19], v[16:17]
	v_fma_f64 v[6:7], -v[6:7], v[20:21], v[18:19]
	v_div_fmas_f64 v[6:7], v[6:7], v[16:17], v[20:21]
	v_div_fixup_f64 v[6:7], v[6:7], v[2:3], v[0:1]
	v_fmac_f64_e32 v[2:3], v[0:1], v[6:7]
	v_div_scale_f64 v[0:1], s[4:5], v[2:3], v[2:3], 1.0
	v_rcp_f64_e32 v[16:17], v[0:1]
	s_nop 0
	v_fma_f64 v[18:19], -v[0:1], v[16:17], 1.0
	v_fmac_f64_e32 v[16:17], v[16:17], v[18:19]
	v_fma_f64 v[18:19], -v[0:1], v[16:17], 1.0
	v_fmac_f64_e32 v[16:17], v[16:17], v[18:19]
	v_div_scale_f64 v[18:19], vcc, 1.0, v[2:3], 1.0
	v_mul_f64 v[20:21], v[18:19], v[16:17]
	v_fma_f64 v[0:1], -v[0:1], v[20:21], v[18:19]
	s_nop 1
	v_div_fmas_f64 v[0:1], v[0:1], v[16:17], v[20:21]
	v_div_fixup_f64 v[2:3], v[0:1], v[2:3], 1.0
	v_mul_f64 v[0:1], v[6:7], v[2:3]
	v_xor_b32_e32 v3, 0x80000000, v3
.LBB122_111:
	s_andn2_saveexec_b64 s[12:13], s[12:13]
	s_cbranch_execz .LBB122_113
; %bb.112:
	v_div_scale_f64 v[6:7], s[4:5], v[0:1], v[0:1], v[2:3]
	v_rcp_f64_e32 v[16:17], v[6:7]
	v_div_scale_f64 v[18:19], vcc, v[2:3], v[0:1], v[2:3]
	v_fma_f64 v[20:21], -v[6:7], v[16:17], 1.0
	v_fmac_f64_e32 v[16:17], v[16:17], v[20:21]
	v_fma_f64 v[20:21], -v[6:7], v[16:17], 1.0
	v_fmac_f64_e32 v[16:17], v[16:17], v[20:21]
	v_mul_f64 v[20:21], v[18:19], v[16:17]
	v_fma_f64 v[6:7], -v[6:7], v[20:21], v[18:19]
	v_div_fmas_f64 v[6:7], v[6:7], v[16:17], v[20:21]
	v_div_fixup_f64 v[6:7], v[6:7], v[0:1], v[2:3]
	v_fmac_f64_e32 v[0:1], v[2:3], v[6:7]
	v_div_scale_f64 v[2:3], s[4:5], v[0:1], v[0:1], 1.0
	v_rcp_f64_e32 v[16:17], v[2:3]
	s_nop 0
	v_fma_f64 v[18:19], -v[2:3], v[16:17], 1.0
	v_fmac_f64_e32 v[16:17], v[16:17], v[18:19]
	v_fma_f64 v[18:19], -v[2:3], v[16:17], 1.0
	v_fmac_f64_e32 v[16:17], v[16:17], v[18:19]
	v_div_scale_f64 v[18:19], vcc, 1.0, v[0:1], 1.0
	v_mul_f64 v[20:21], v[18:19], v[16:17]
	v_fma_f64 v[2:3], -v[2:3], v[20:21], v[18:19]
	s_nop 1
	v_div_fmas_f64 v[2:3], v[2:3], v[16:17], v[20:21]
	v_div_fixup_f64 v[0:1], v[2:3], v[0:1], 1.0
	v_mul_f64 v[2:3], v[6:7], -v[0:1]
.LBB122_113:
	s_or_b64 exec, exec, s[12:13]
.LBB122_114:
	s_or_b64 exec, exec, s[0:1]
	v_cmp_ne_u32_e32 vcc, v15, v4
	s_and_saveexec_b64 s[0:1], vcc
	s_xor_b64 s[0:1], exec, s[0:1]
	s_cbranch_execz .LBB122_120
; %bb.115:
	v_cmp_eq_u32_e32 vcc, 4, v15
	s_and_saveexec_b64 s[12:13], vcc
	s_cbranch_execz .LBB122_119
; %bb.116:
	v_cmp_ne_u32_e32 vcc, 4, v4
	s_xor_b64 s[4:5], s[18:19], -1
	s_and_b64 s[4:5], s[4:5], vcc
	s_and_saveexec_b64 s[14:15], s[4:5]
	s_cbranch_execz .LBB122_118
; %bb.117:
	v_ashrrev_i32_e32 v5, 31, v4
	v_lshl_add_u64 v[6:7], v[4:5], 2, v[10:11]
	global_load_dword v5, v[6:7], off
	global_load_dword v14, v[10:11], off offset:16
	s_waitcnt vmcnt(1)
	global_store_dword v[10:11], v5, off offset:16
	s_waitcnt vmcnt(1)
	global_store_dword v[6:7], v14, off
.LBB122_118:
	s_or_b64 exec, exec, s[14:15]
	v_mov_b32_e32 v15, v4
	v_mov_b32_e32 v14, v4
.LBB122_119:
	s_or_b64 exec, exec, s[12:13]
.LBB122_120:
	s_andn2_saveexec_b64 s[0:1], s[0:1]
	s_cbranch_execz .LBB122_124
; %bb.121:
	s_mov_b32 s4, 0
	v_add_u32_e32 v4, 0x50, v12
.LBB122_122:                            ; =>This Inner Loop Header: Depth=1
	s_add_i32 s12, s4, 0x50
	s_add_i32 s13, s4, 0x60
	;; [unrolled: 1-line block ×3, first 2 shown]
	scratch_load_dwordx4 v[16:19], off, s12
	scratch_load_dwordx4 v[20:23], off, s13
	;; [unrolled: 1-line block ×3, first 2 shown]
	v_add_u32_e32 v5, s4, v4
	s_add_i32 s4, s4, 48
	s_cmpk_eq_i32 s4, 0x390
	s_waitcnt vmcnt(2)
	ds_write2_b64 v5, v[16:17], v[18:19] offset1:1
	s_waitcnt vmcnt(1)
	ds_write2_b64 v5, v[20:21], v[22:23] offset0:2 offset1:3
	s_waitcnt vmcnt(0)
	ds_write2_b64 v5, v[24:25], v[26:27] offset0:4 offset1:5
	s_cbranch_scc0 .LBB122_122
; %bb.123:
	v_mov_b32_e32 v15, 4
.LBB122_124:
	s_or_b64 exec, exec, s[0:1]
	v_cmp_lt_i32_e32 vcc, 4, v15
	s_waitcnt lgkmcnt(0)
	s_barrier
	s_and_saveexec_b64 s[0:1], vcc
	s_cbranch_execz .LBB122_127
; %bb.125:
	scratch_load_dwordx4 v[16:19], off, off offset:64
	s_mov_b32 s4, 0
	s_waitcnt vmcnt(0)
	v_mul_f64 v[4:5], v[2:3], v[18:19]
	v_mul_f64 v[6:7], v[0:1], v[18:19]
	v_fma_f64 v[4:5], v[0:1], v[16:17], -v[4:5]
	v_fmac_f64_e32 v[6:7], v[2:3], v[16:17]
	v_add_u32_e32 v0, 0x50, v12
	scratch_store_dwordx4 off, v[4:7], off offset:64
.LBB122_126:                            ; =>This Inner Loop Header: Depth=1
	s_add_i32 s12, s4, 0x50
	s_add_i32 s13, s4, 0x60
	;; [unrolled: 1-line block ×3, first 2 shown]
	scratch_load_dwordx4 v[16:19], off, s12
	scratch_load_dwordx4 v[20:23], off, s13
	scratch_load_dwordx4 v[24:27], off, s5
	v_add_u32_e32 v1, s4, v0
	ds_read2_b64 v[28:31], v1 offset1:1
	ds_read2_b64 v[32:35], v1 offset0:2 offset1:3
	ds_read2_b64 v[36:39], v1 offset0:4 offset1:5
	s_add_i32 s4, s4, 48
	s_cmpk_lg_i32 s4, 0x390
	s_waitcnt lgkmcnt(2)
	v_mul_f64 v[2:3], v[30:31], v[6:7]
	v_mul_f64 v[40:41], v[28:29], v[6:7]
	s_waitcnt lgkmcnt(1)
	v_mul_f64 v[42:43], v[34:35], v[6:7]
	v_mul_f64 v[44:45], v[32:33], v[6:7]
	s_waitcnt lgkmcnt(0)
	v_mul_f64 v[46:47], v[38:39], v[6:7]
	v_mul_f64 v[48:49], v[36:37], v[6:7]
	v_fma_f64 v[2:3], v[28:29], v[4:5], -v[2:3]
	v_fmac_f64_e32 v[40:41], v[30:31], v[4:5]
	v_fma_f64 v[28:29], v[32:33], v[4:5], -v[42:43]
	v_fmac_f64_e32 v[44:45], v[34:35], v[4:5]
	;; [unrolled: 2-line block ×3, first 2 shown]
	s_waitcnt vmcnt(2)
	v_add_f64 v[16:17], v[16:17], -v[2:3]
	v_add_f64 v[18:19], v[18:19], -v[40:41]
	s_waitcnt vmcnt(1)
	v_add_f64 v[20:21], v[20:21], -v[28:29]
	v_add_f64 v[22:23], v[22:23], -v[44:45]
	;; [unrolled: 3-line block ×3, first 2 shown]
	scratch_store_dwordx4 off, v[16:19], s12
	scratch_store_dwordx4 off, v[20:23], s13
	;; [unrolled: 1-line block ×3, first 2 shown]
	s_cbranch_scc1 .LBB122_126
.LBB122_127:
	s_or_b64 exec, exec, s[0:1]
	s_barrier
	scratch_load_dwordx4 v[0:3], off, s81
	v_lshl_add_u32 v4, v15, 4, v12
	s_cmp_lt_i32 s66, 7
	s_waitcnt vmcnt(0)
	ds_write2_b64 v4, v[0:1], v[2:3] offset1:1
	s_waitcnt lgkmcnt(0)
	s_barrier
	ds_read2_b64 v[0:3], v12 offset0:10 offset1:11
	v_mov_b32_e32 v4, 5
	s_cbranch_scc1 .LBB122_130
; %bb.128:
	v_add_u32_e32 v5, 0x60, v12
	s_mov_b32 s4, 6
	v_mov_b32_e32 v4, 5
.LBB122_129:                            ; =>This Inner Loop Header: Depth=1
	ds_read2_b64 v[16:19], v5 offset1:1
	s_waitcnt lgkmcnt(1)
	v_xor_b32_e32 v7, 0x80000000, v1
	v_xor_b32_e32 v21, 0x80000000, v3
	v_cmp_gt_f64_e32 vcc, 0, v[2:3]
	v_cmp_gt_f64_e64 s[0:1], 0, v[0:1]
	v_mov_b32_e32 v6, v0
	v_mov_b32_e32 v20, v2
	v_cndmask_b32_e64 v7, v1, v7, s[0:1]
	v_cndmask_b32_e32 v21, v3, v21, vcc
	v_add_f64 v[6:7], v[6:7], v[20:21]
	s_waitcnt lgkmcnt(0)
	v_xor_b32_e32 v21, 0x80000000, v17
	v_xor_b32_e32 v23, 0x80000000, v19
	v_cmp_gt_f64_e32 vcc, 0, v[18:19]
	v_cmp_gt_f64_e64 s[0:1], 0, v[16:17]
	v_mov_b32_e32 v20, v16
	v_mov_b32_e32 v22, v18
	v_cndmask_b32_e64 v21, v17, v21, s[0:1]
	v_cndmask_b32_e32 v23, v19, v23, vcc
	v_add_f64 v[20:21], v[20:21], v[22:23]
	v_mov_b32_e32 v24, s4
	s_add_i32 s4, s4, 1
	v_cmp_lt_f64_e32 vcc, v[6:7], v[20:21]
	v_add_u32_e32 v5, 16, v5
	s_cmp_lg_u32 s66, s4
	v_cndmask_b32_e32 v1, v1, v17, vcc
	v_cndmask_b32_e32 v0, v0, v16, vcc
	;; [unrolled: 1-line block ×5, first 2 shown]
	s_cbranch_scc1 .LBB122_129
.LBB122_130:
	s_waitcnt lgkmcnt(0)
	v_cmp_eq_f64_e32 vcc, 0, v[0:1]
	v_cmp_eq_f64_e64 s[0:1], 0, v[2:3]
	s_and_b64 s[0:1], vcc, s[0:1]
	s_and_saveexec_b64 s[4:5], s[0:1]
	s_xor_b64 s[0:1], exec, s[4:5]
; %bb.131:
	v_cmp_ne_u32_e32 vcc, 0, v13
	s_nop 1
	v_cndmask_b32_e32 v13, 6, v13, vcc
; %bb.132:
	s_andn2_saveexec_b64 s[0:1], s[0:1]
	s_cbranch_execz .LBB122_138
; %bb.133:
	v_cmp_ngt_f64_e64 s[4:5], |v[0:1]|, |v[2:3]|
	s_and_saveexec_b64 s[12:13], s[4:5]
	s_xor_b64 s[12:13], exec, s[12:13]
	s_cbranch_execz .LBB122_135
; %bb.134:
	v_div_scale_f64 v[6:7], s[4:5], v[2:3], v[2:3], v[0:1]
	v_rcp_f64_e32 v[16:17], v[6:7]
	v_div_scale_f64 v[18:19], vcc, v[0:1], v[2:3], v[0:1]
	v_fma_f64 v[20:21], -v[6:7], v[16:17], 1.0
	v_fmac_f64_e32 v[16:17], v[16:17], v[20:21]
	v_fma_f64 v[20:21], -v[6:7], v[16:17], 1.0
	v_fmac_f64_e32 v[16:17], v[16:17], v[20:21]
	v_mul_f64 v[20:21], v[18:19], v[16:17]
	v_fma_f64 v[6:7], -v[6:7], v[20:21], v[18:19]
	v_div_fmas_f64 v[6:7], v[6:7], v[16:17], v[20:21]
	v_div_fixup_f64 v[6:7], v[6:7], v[2:3], v[0:1]
	v_fmac_f64_e32 v[2:3], v[0:1], v[6:7]
	v_div_scale_f64 v[0:1], s[4:5], v[2:3], v[2:3], 1.0
	v_rcp_f64_e32 v[16:17], v[0:1]
	s_nop 0
	v_fma_f64 v[18:19], -v[0:1], v[16:17], 1.0
	v_fmac_f64_e32 v[16:17], v[16:17], v[18:19]
	v_fma_f64 v[18:19], -v[0:1], v[16:17], 1.0
	v_fmac_f64_e32 v[16:17], v[16:17], v[18:19]
	v_div_scale_f64 v[18:19], vcc, 1.0, v[2:3], 1.0
	v_mul_f64 v[20:21], v[18:19], v[16:17]
	v_fma_f64 v[0:1], -v[0:1], v[20:21], v[18:19]
	s_nop 1
	v_div_fmas_f64 v[0:1], v[0:1], v[16:17], v[20:21]
	v_div_fixup_f64 v[2:3], v[0:1], v[2:3], 1.0
	v_mul_f64 v[0:1], v[6:7], v[2:3]
	v_xor_b32_e32 v3, 0x80000000, v3
.LBB122_135:
	s_andn2_saveexec_b64 s[12:13], s[12:13]
	s_cbranch_execz .LBB122_137
; %bb.136:
	v_div_scale_f64 v[6:7], s[4:5], v[0:1], v[0:1], v[2:3]
	v_rcp_f64_e32 v[16:17], v[6:7]
	v_div_scale_f64 v[18:19], vcc, v[2:3], v[0:1], v[2:3]
	v_fma_f64 v[20:21], -v[6:7], v[16:17], 1.0
	v_fmac_f64_e32 v[16:17], v[16:17], v[20:21]
	v_fma_f64 v[20:21], -v[6:7], v[16:17], 1.0
	v_fmac_f64_e32 v[16:17], v[16:17], v[20:21]
	v_mul_f64 v[20:21], v[18:19], v[16:17]
	v_fma_f64 v[6:7], -v[6:7], v[20:21], v[18:19]
	v_div_fmas_f64 v[6:7], v[6:7], v[16:17], v[20:21]
	v_div_fixup_f64 v[6:7], v[6:7], v[0:1], v[2:3]
	v_fmac_f64_e32 v[0:1], v[2:3], v[6:7]
	v_div_scale_f64 v[2:3], s[4:5], v[0:1], v[0:1], 1.0
	v_rcp_f64_e32 v[16:17], v[2:3]
	s_nop 0
	v_fma_f64 v[18:19], -v[2:3], v[16:17], 1.0
	v_fmac_f64_e32 v[16:17], v[16:17], v[18:19]
	v_fma_f64 v[18:19], -v[2:3], v[16:17], 1.0
	v_fmac_f64_e32 v[16:17], v[16:17], v[18:19]
	v_div_scale_f64 v[18:19], vcc, 1.0, v[0:1], 1.0
	v_mul_f64 v[20:21], v[18:19], v[16:17]
	v_fma_f64 v[2:3], -v[2:3], v[20:21], v[18:19]
	s_nop 1
	v_div_fmas_f64 v[2:3], v[2:3], v[16:17], v[20:21]
	v_div_fixup_f64 v[0:1], v[2:3], v[0:1], 1.0
	v_mul_f64 v[2:3], v[6:7], -v[0:1]
.LBB122_137:
	s_or_b64 exec, exec, s[12:13]
.LBB122_138:
	s_or_b64 exec, exec, s[0:1]
	v_cmp_ne_u32_e32 vcc, v15, v4
	s_and_saveexec_b64 s[0:1], vcc
	s_xor_b64 s[0:1], exec, s[0:1]
	s_cbranch_execz .LBB122_144
; %bb.139:
	v_cmp_eq_u32_e32 vcc, 5, v15
	s_and_saveexec_b64 s[12:13], vcc
	s_cbranch_execz .LBB122_143
; %bb.140:
	v_cmp_ne_u32_e32 vcc, 5, v4
	s_xor_b64 s[4:5], s[18:19], -1
	s_and_b64 s[4:5], s[4:5], vcc
	s_and_saveexec_b64 s[14:15], s[4:5]
	s_cbranch_execz .LBB122_142
; %bb.141:
	v_ashrrev_i32_e32 v5, 31, v4
	v_lshl_add_u64 v[6:7], v[4:5], 2, v[10:11]
	global_load_dword v5, v[6:7], off
	global_load_dword v14, v[10:11], off offset:20
	s_waitcnt vmcnt(1)
	global_store_dword v[10:11], v5, off offset:20
	s_waitcnt vmcnt(1)
	global_store_dword v[6:7], v14, off
.LBB122_142:
	s_or_b64 exec, exec, s[14:15]
	v_mov_b32_e32 v15, v4
	v_mov_b32_e32 v14, v4
.LBB122_143:
	s_or_b64 exec, exec, s[12:13]
.LBB122_144:
	s_andn2_saveexec_b64 s[0:1], s[0:1]
	s_cbranch_execz .LBB122_148
; %bb.145:
	s_mov_b32 s4, 0
	v_add_u32_e32 v4, 0x60, v12
.LBB122_146:                            ; =>This Inner Loop Header: Depth=1
	s_add_i32 s12, s4, 0x60
	s_add_i32 s13, s4, 0x70
	;; [unrolled: 1-line block ×14, first 2 shown]
	scratch_load_dwordx4 v[16:19], off, s12
	scratch_load_dwordx4 v[20:23], off, s13
	;; [unrolled: 1-line block ×14, first 2 shown]
	v_add_u32_e32 v5, s4, v4
	s_addk_i32 s4, 0xe0
	s_cmpk_eq_i32 s4, 0x380
	s_waitcnt vmcnt(13)
	ds_write2_b64 v5, v[16:17], v[18:19] offset1:1
	s_waitcnt vmcnt(12)
	ds_write2_b64 v5, v[20:21], v[22:23] offset0:2 offset1:3
	s_waitcnt vmcnt(11)
	ds_write2_b64 v5, v[24:25], v[26:27] offset0:4 offset1:5
	;; [unrolled: 2-line block ×13, first 2 shown]
	s_cbranch_scc0 .LBB122_146
; %bb.147:
	v_mov_b32_e32 v15, 5
.LBB122_148:
	s_or_b64 exec, exec, s[0:1]
	v_cmp_lt_i32_e32 vcc, 5, v15
	s_waitcnt lgkmcnt(0)
	s_barrier
	s_and_saveexec_b64 s[0:1], vcc
	s_cbranch_execz .LBB122_151
; %bb.149:
	scratch_load_dwordx4 v[16:19], off, off offset:80
	s_mov_b32 s12, 0
	s_waitcnt vmcnt(0)
	v_mul_f64 v[4:5], v[2:3], v[18:19]
	v_mul_f64 v[6:7], v[0:1], v[18:19]
	v_fma_f64 v[4:5], v[0:1], v[16:17], -v[4:5]
	v_fmac_f64_e32 v[6:7], v[2:3], v[16:17]
	v_add_u32_e32 v0, 0x60, v12
	scratch_store_dwordx4 off, v[4:7], off offset:80
.LBB122_150:                            ; =>This Inner Loop Header: Depth=1
	s_add_i32 s13, s12, 0x60
	s_add_i32 s14, s12, 0x70
	;; [unrolled: 1-line block ×8, first 2 shown]
	scratch_load_dwordx4 v[16:19], off, s13
	scratch_load_dwordx4 v[20:23], off, s14
	;; [unrolled: 1-line block ×8, first 2 shown]
	v_add_u32_e32 v1, s12, v0
	ds_read2_b64 v[48:51], v1 offset1:1
	ds_read2_b64 v[52:55], v1 offset0:2 offset1:3
	ds_read2_b64 v[56:59], v1 offset0:4 offset1:5
	;; [unrolled: 1-line block ×7, first 2 shown]
	s_waitcnt lgkmcnt(7)
	v_mul_f64 v[2:3], v[50:51], v[6:7]
	v_mul_f64 v[80:81], v[48:49], v[6:7]
	s_addk_i32 s12, 0x80
	s_waitcnt lgkmcnt(6)
	v_mul_f64 v[82:83], v[54:55], v[6:7]
	v_mul_f64 v[84:85], v[52:53], v[6:7]
	s_waitcnt lgkmcnt(5)
	v_mul_f64 v[86:87], v[58:59], v[6:7]
	v_mul_f64 v[88:89], v[56:57], v[6:7]
	;; [unrolled: 3-line block ×7, first 2 shown]
	v_fma_f64 v[2:3], v[48:49], v[4:5], -v[2:3]
	v_fmac_f64_e32 v[80:81], v[50:51], v[4:5]
	s_cmpk_lg_i32 s12, 0x380
	v_fma_f64 v[48:49], v[52:53], v[4:5], -v[82:83]
	v_fmac_f64_e32 v[84:85], v[54:55], v[4:5]
	v_fma_f64 v[50:51], v[56:57], v[4:5], -v[86:87]
	v_fmac_f64_e32 v[88:89], v[58:59], v[4:5]
	;; [unrolled: 2-line block ×7, first 2 shown]
	s_waitcnt vmcnt(7)
	v_add_f64 v[16:17], v[16:17], -v[2:3]
	v_add_f64 v[18:19], v[18:19], -v[80:81]
	s_waitcnt vmcnt(6)
	v_add_f64 v[20:21], v[20:21], -v[48:49]
	v_add_f64 v[22:23], v[22:23], -v[84:85]
	;; [unrolled: 3-line block ×8, first 2 shown]
	scratch_store_dwordx4 off, v[16:19], s13
	scratch_store_dwordx4 off, v[20:23], s14
	;; [unrolled: 1-line block ×8, first 2 shown]
	s_cbranch_scc1 .LBB122_150
.LBB122_151:
	s_or_b64 exec, exec, s[0:1]
	s_barrier
	scratch_load_dwordx4 v[0:3], off, s80
	v_lshl_add_u32 v4, v15, 4, v12
	s_cmp_lt_i32 s66, 8
	s_waitcnt vmcnt(0)
	ds_write2_b64 v4, v[0:1], v[2:3] offset1:1
	s_waitcnt lgkmcnt(0)
	s_barrier
	ds_read2_b64 v[0:3], v12 offset0:12 offset1:13
	v_mov_b32_e32 v4, 6
	s_cbranch_scc1 .LBB122_154
; %bb.152:
	v_add_u32_e32 v5, 0x70, v12
	s_mov_b32 s4, 7
	v_mov_b32_e32 v4, 6
.LBB122_153:                            ; =>This Inner Loop Header: Depth=1
	ds_read2_b64 v[16:19], v5 offset1:1
	s_waitcnt lgkmcnt(1)
	v_xor_b32_e32 v7, 0x80000000, v1
	v_xor_b32_e32 v21, 0x80000000, v3
	v_cmp_gt_f64_e32 vcc, 0, v[2:3]
	v_cmp_gt_f64_e64 s[0:1], 0, v[0:1]
	v_mov_b32_e32 v6, v0
	v_mov_b32_e32 v20, v2
	v_cndmask_b32_e64 v7, v1, v7, s[0:1]
	v_cndmask_b32_e32 v21, v3, v21, vcc
	v_add_f64 v[6:7], v[6:7], v[20:21]
	s_waitcnt lgkmcnt(0)
	v_xor_b32_e32 v21, 0x80000000, v17
	v_xor_b32_e32 v23, 0x80000000, v19
	v_cmp_gt_f64_e32 vcc, 0, v[18:19]
	v_cmp_gt_f64_e64 s[0:1], 0, v[16:17]
	v_mov_b32_e32 v20, v16
	v_mov_b32_e32 v22, v18
	v_cndmask_b32_e64 v21, v17, v21, s[0:1]
	v_cndmask_b32_e32 v23, v19, v23, vcc
	v_add_f64 v[20:21], v[20:21], v[22:23]
	v_mov_b32_e32 v24, s4
	s_add_i32 s4, s4, 1
	v_cmp_lt_f64_e32 vcc, v[6:7], v[20:21]
	v_add_u32_e32 v5, 16, v5
	s_cmp_lg_u32 s66, s4
	v_cndmask_b32_e32 v1, v1, v17, vcc
	v_cndmask_b32_e32 v0, v0, v16, vcc
	;; [unrolled: 1-line block ×5, first 2 shown]
	s_cbranch_scc1 .LBB122_153
.LBB122_154:
	s_waitcnt lgkmcnt(0)
	v_cmp_eq_f64_e32 vcc, 0, v[0:1]
	v_cmp_eq_f64_e64 s[0:1], 0, v[2:3]
	s_and_b64 s[0:1], vcc, s[0:1]
	s_and_saveexec_b64 s[4:5], s[0:1]
	s_xor_b64 s[0:1], exec, s[4:5]
; %bb.155:
	v_cmp_ne_u32_e32 vcc, 0, v13
	s_nop 1
	v_cndmask_b32_e32 v13, 7, v13, vcc
; %bb.156:
	s_andn2_saveexec_b64 s[0:1], s[0:1]
	s_cbranch_execz .LBB122_162
; %bb.157:
	v_cmp_ngt_f64_e64 s[4:5], |v[0:1]|, |v[2:3]|
	s_and_saveexec_b64 s[12:13], s[4:5]
	s_xor_b64 s[12:13], exec, s[12:13]
	s_cbranch_execz .LBB122_159
; %bb.158:
	v_div_scale_f64 v[6:7], s[4:5], v[2:3], v[2:3], v[0:1]
	v_rcp_f64_e32 v[16:17], v[6:7]
	v_div_scale_f64 v[18:19], vcc, v[0:1], v[2:3], v[0:1]
	v_fma_f64 v[20:21], -v[6:7], v[16:17], 1.0
	v_fmac_f64_e32 v[16:17], v[16:17], v[20:21]
	v_fma_f64 v[20:21], -v[6:7], v[16:17], 1.0
	v_fmac_f64_e32 v[16:17], v[16:17], v[20:21]
	v_mul_f64 v[20:21], v[18:19], v[16:17]
	v_fma_f64 v[6:7], -v[6:7], v[20:21], v[18:19]
	v_div_fmas_f64 v[6:7], v[6:7], v[16:17], v[20:21]
	v_div_fixup_f64 v[6:7], v[6:7], v[2:3], v[0:1]
	v_fmac_f64_e32 v[2:3], v[0:1], v[6:7]
	v_div_scale_f64 v[0:1], s[4:5], v[2:3], v[2:3], 1.0
	v_rcp_f64_e32 v[16:17], v[0:1]
	s_nop 0
	v_fma_f64 v[18:19], -v[0:1], v[16:17], 1.0
	v_fmac_f64_e32 v[16:17], v[16:17], v[18:19]
	v_fma_f64 v[18:19], -v[0:1], v[16:17], 1.0
	v_fmac_f64_e32 v[16:17], v[16:17], v[18:19]
	v_div_scale_f64 v[18:19], vcc, 1.0, v[2:3], 1.0
	v_mul_f64 v[20:21], v[18:19], v[16:17]
	v_fma_f64 v[0:1], -v[0:1], v[20:21], v[18:19]
	s_nop 1
	v_div_fmas_f64 v[0:1], v[0:1], v[16:17], v[20:21]
	v_div_fixup_f64 v[2:3], v[0:1], v[2:3], 1.0
	v_mul_f64 v[0:1], v[6:7], v[2:3]
	v_xor_b32_e32 v3, 0x80000000, v3
.LBB122_159:
	s_andn2_saveexec_b64 s[12:13], s[12:13]
	s_cbranch_execz .LBB122_161
; %bb.160:
	v_div_scale_f64 v[6:7], s[4:5], v[0:1], v[0:1], v[2:3]
	v_rcp_f64_e32 v[16:17], v[6:7]
	v_div_scale_f64 v[18:19], vcc, v[2:3], v[0:1], v[2:3]
	v_fma_f64 v[20:21], -v[6:7], v[16:17], 1.0
	v_fmac_f64_e32 v[16:17], v[16:17], v[20:21]
	v_fma_f64 v[20:21], -v[6:7], v[16:17], 1.0
	v_fmac_f64_e32 v[16:17], v[16:17], v[20:21]
	v_mul_f64 v[20:21], v[18:19], v[16:17]
	v_fma_f64 v[6:7], -v[6:7], v[20:21], v[18:19]
	v_div_fmas_f64 v[6:7], v[6:7], v[16:17], v[20:21]
	v_div_fixup_f64 v[6:7], v[6:7], v[0:1], v[2:3]
	v_fmac_f64_e32 v[0:1], v[2:3], v[6:7]
	v_div_scale_f64 v[2:3], s[4:5], v[0:1], v[0:1], 1.0
	v_rcp_f64_e32 v[16:17], v[2:3]
	s_nop 0
	v_fma_f64 v[18:19], -v[2:3], v[16:17], 1.0
	v_fmac_f64_e32 v[16:17], v[16:17], v[18:19]
	v_fma_f64 v[18:19], -v[2:3], v[16:17], 1.0
	v_fmac_f64_e32 v[16:17], v[16:17], v[18:19]
	v_div_scale_f64 v[18:19], vcc, 1.0, v[0:1], 1.0
	v_mul_f64 v[20:21], v[18:19], v[16:17]
	v_fma_f64 v[2:3], -v[2:3], v[20:21], v[18:19]
	s_nop 1
	v_div_fmas_f64 v[2:3], v[2:3], v[16:17], v[20:21]
	v_div_fixup_f64 v[0:1], v[2:3], v[0:1], 1.0
	v_mul_f64 v[2:3], v[6:7], -v[0:1]
.LBB122_161:
	s_or_b64 exec, exec, s[12:13]
.LBB122_162:
	s_or_b64 exec, exec, s[0:1]
	v_cmp_ne_u32_e32 vcc, v15, v4
	s_and_saveexec_b64 s[0:1], vcc
	s_xor_b64 s[0:1], exec, s[0:1]
	s_cbranch_execz .LBB122_168
; %bb.163:
	v_cmp_eq_u32_e32 vcc, 6, v15
	s_and_saveexec_b64 s[12:13], vcc
	s_cbranch_execz .LBB122_167
; %bb.164:
	v_cmp_ne_u32_e32 vcc, 6, v4
	s_xor_b64 s[4:5], s[18:19], -1
	s_and_b64 s[4:5], s[4:5], vcc
	s_and_saveexec_b64 s[14:15], s[4:5]
	s_cbranch_execz .LBB122_166
; %bb.165:
	v_ashrrev_i32_e32 v5, 31, v4
	v_lshl_add_u64 v[6:7], v[4:5], 2, v[10:11]
	global_load_dword v5, v[6:7], off
	global_load_dword v14, v[10:11], off offset:24
	s_waitcnt vmcnt(1)
	global_store_dword v[10:11], v5, off offset:24
	s_waitcnt vmcnt(1)
	global_store_dword v[6:7], v14, off
.LBB122_166:
	s_or_b64 exec, exec, s[14:15]
	v_mov_b32_e32 v15, v4
	v_mov_b32_e32 v14, v4
.LBB122_167:
	s_or_b64 exec, exec, s[12:13]
.LBB122_168:
	s_andn2_saveexec_b64 s[0:1], s[0:1]
	s_cbranch_execz .LBB122_172
; %bb.169:
	s_mov_b32 s4, 0
	v_add_u32_e32 v4, 0x70, v12
.LBB122_170:                            ; =>This Inner Loop Header: Depth=1
	s_add_i32 s12, s4, 0x70
	s_add_i32 s13, s4, 0x80
	;; [unrolled: 1-line block ×11, first 2 shown]
	scratch_load_dwordx4 v[16:19], off, s12
	scratch_load_dwordx4 v[20:23], off, s13
	;; [unrolled: 1-line block ×11, first 2 shown]
	v_add_u32_e32 v5, s4, v4
	s_addk_i32 s4, 0xb0
	s_cmpk_eq_i32 s4, 0x370
	s_waitcnt vmcnt(10)
	ds_write2_b64 v5, v[16:17], v[18:19] offset1:1
	s_waitcnt vmcnt(9)
	ds_write2_b64 v5, v[20:21], v[22:23] offset0:2 offset1:3
	s_waitcnt vmcnt(8)
	ds_write2_b64 v5, v[24:25], v[26:27] offset0:4 offset1:5
	;; [unrolled: 2-line block ×10, first 2 shown]
	s_cbranch_scc0 .LBB122_170
; %bb.171:
	v_mov_b32_e32 v15, 6
.LBB122_172:
	s_or_b64 exec, exec, s[0:1]
	v_cmp_lt_i32_e32 vcc, 6, v15
	s_waitcnt lgkmcnt(0)
	s_barrier
	s_and_saveexec_b64 s[0:1], vcc
	s_cbranch_execz .LBB122_175
; %bb.173:
	scratch_load_dwordx4 v[16:19], off, off offset:96
	s_mov_b32 s4, 0
	s_waitcnt vmcnt(0)
	v_mul_f64 v[4:5], v[2:3], v[18:19]
	v_mul_f64 v[6:7], v[0:1], v[18:19]
	v_fma_f64 v[4:5], v[0:1], v[16:17], -v[4:5]
	v_fmac_f64_e32 v[6:7], v[2:3], v[16:17]
	v_add_u32_e32 v0, 0x70, v12
	scratch_store_dwordx4 off, v[4:7], off offset:96
.LBB122_174:                            ; =>This Inner Loop Header: Depth=1
	s_add_i32 s12, s4, 0x70
	s_add_i32 s13, s4, 0x80
	;; [unrolled: 1-line block ×5, first 2 shown]
	scratch_load_dwordx4 v[16:19], off, s12
	scratch_load_dwordx4 v[20:23], off, s13
	;; [unrolled: 1-line block ×5, first 2 shown]
	v_add_u32_e32 v1, s4, v0
	ds_read2_b64 v[36:39], v1 offset1:1
	ds_read2_b64 v[40:43], v1 offset0:2 offset1:3
	ds_read2_b64 v[44:47], v1 offset0:4 offset1:5
	;; [unrolled: 1-line block ×4, first 2 shown]
	s_waitcnt lgkmcnt(4)
	v_mul_f64 v[2:3], v[38:39], v[6:7]
	v_mul_f64 v[56:57], v[36:37], v[6:7]
	s_addk_i32 s4, 0x50
	s_waitcnt lgkmcnt(3)
	v_mul_f64 v[58:59], v[42:43], v[6:7]
	v_mul_f64 v[60:61], v[40:41], v[6:7]
	s_waitcnt lgkmcnt(2)
	v_mul_f64 v[62:63], v[46:47], v[6:7]
	v_mul_f64 v[64:65], v[44:45], v[6:7]
	s_waitcnt lgkmcnt(1)
	v_mul_f64 v[66:67], v[50:51], v[6:7]
	v_mul_f64 v[68:69], v[48:49], v[6:7]
	s_waitcnt lgkmcnt(0)
	v_mul_f64 v[70:71], v[54:55], v[6:7]
	v_mul_f64 v[72:73], v[52:53], v[6:7]
	v_fma_f64 v[2:3], v[36:37], v[4:5], -v[2:3]
	v_fmac_f64_e32 v[56:57], v[38:39], v[4:5]
	s_cmpk_lg_i32 s4, 0x370
	v_fma_f64 v[36:37], v[40:41], v[4:5], -v[58:59]
	v_fmac_f64_e32 v[60:61], v[42:43], v[4:5]
	v_fma_f64 v[38:39], v[44:45], v[4:5], -v[62:63]
	v_fmac_f64_e32 v[64:65], v[46:47], v[4:5]
	v_fma_f64 v[40:41], v[48:49], v[4:5], -v[66:67]
	v_fmac_f64_e32 v[68:69], v[50:51], v[4:5]
	v_fma_f64 v[42:43], v[52:53], v[4:5], -v[70:71]
	v_fmac_f64_e32 v[72:73], v[54:55], v[4:5]
	s_waitcnt vmcnt(4)
	v_add_f64 v[16:17], v[16:17], -v[2:3]
	v_add_f64 v[18:19], v[18:19], -v[56:57]
	s_waitcnt vmcnt(3)
	v_add_f64 v[20:21], v[20:21], -v[36:37]
	v_add_f64 v[22:23], v[22:23], -v[60:61]
	;; [unrolled: 3-line block ×5, first 2 shown]
	scratch_store_dwordx4 off, v[16:19], s12
	scratch_store_dwordx4 off, v[20:23], s13
	;; [unrolled: 1-line block ×5, first 2 shown]
	s_cbranch_scc1 .LBB122_174
.LBB122_175:
	s_or_b64 exec, exec, s[0:1]
	s_barrier
	scratch_load_dwordx4 v[0:3], off, s79
	v_lshl_add_u32 v4, v15, 4, v12
	s_cmp_lt_i32 s66, 9
	s_waitcnt vmcnt(0)
	ds_write2_b64 v4, v[0:1], v[2:3] offset1:1
	s_waitcnt lgkmcnt(0)
	s_barrier
	ds_read2_b64 v[0:3], v12 offset0:14 offset1:15
	v_mov_b32_e32 v4, 7
	s_cbranch_scc1 .LBB122_178
; %bb.176:
	v_add_u32_e32 v5, 0x80, v12
	s_mov_b32 s4, 8
	v_mov_b32_e32 v4, 7
.LBB122_177:                            ; =>This Inner Loop Header: Depth=1
	ds_read2_b64 v[16:19], v5 offset1:1
	s_waitcnt lgkmcnt(1)
	v_xor_b32_e32 v7, 0x80000000, v1
	v_xor_b32_e32 v21, 0x80000000, v3
	v_cmp_gt_f64_e32 vcc, 0, v[2:3]
	v_cmp_gt_f64_e64 s[0:1], 0, v[0:1]
	v_mov_b32_e32 v6, v0
	v_mov_b32_e32 v20, v2
	v_cndmask_b32_e64 v7, v1, v7, s[0:1]
	v_cndmask_b32_e32 v21, v3, v21, vcc
	v_add_f64 v[6:7], v[6:7], v[20:21]
	s_waitcnt lgkmcnt(0)
	v_xor_b32_e32 v21, 0x80000000, v17
	v_xor_b32_e32 v23, 0x80000000, v19
	v_cmp_gt_f64_e32 vcc, 0, v[18:19]
	v_cmp_gt_f64_e64 s[0:1], 0, v[16:17]
	v_mov_b32_e32 v20, v16
	v_mov_b32_e32 v22, v18
	v_cndmask_b32_e64 v21, v17, v21, s[0:1]
	v_cndmask_b32_e32 v23, v19, v23, vcc
	v_add_f64 v[20:21], v[20:21], v[22:23]
	v_mov_b32_e32 v24, s4
	s_add_i32 s4, s4, 1
	v_cmp_lt_f64_e32 vcc, v[6:7], v[20:21]
	v_add_u32_e32 v5, 16, v5
	s_cmp_lg_u32 s66, s4
	v_cndmask_b32_e32 v1, v1, v17, vcc
	v_cndmask_b32_e32 v0, v0, v16, vcc
	;; [unrolled: 1-line block ×5, first 2 shown]
	s_cbranch_scc1 .LBB122_177
.LBB122_178:
	s_waitcnt lgkmcnt(0)
	v_cmp_eq_f64_e32 vcc, 0, v[0:1]
	v_cmp_eq_f64_e64 s[0:1], 0, v[2:3]
	s_and_b64 s[0:1], vcc, s[0:1]
	s_and_saveexec_b64 s[4:5], s[0:1]
	s_xor_b64 s[0:1], exec, s[4:5]
; %bb.179:
	v_cmp_ne_u32_e32 vcc, 0, v13
	s_nop 1
	v_cndmask_b32_e32 v13, 8, v13, vcc
; %bb.180:
	s_andn2_saveexec_b64 s[0:1], s[0:1]
	s_cbranch_execz .LBB122_186
; %bb.181:
	v_cmp_ngt_f64_e64 s[4:5], |v[0:1]|, |v[2:3]|
	s_and_saveexec_b64 s[12:13], s[4:5]
	s_xor_b64 s[12:13], exec, s[12:13]
	s_cbranch_execz .LBB122_183
; %bb.182:
	v_div_scale_f64 v[6:7], s[4:5], v[2:3], v[2:3], v[0:1]
	v_rcp_f64_e32 v[16:17], v[6:7]
	v_div_scale_f64 v[18:19], vcc, v[0:1], v[2:3], v[0:1]
	v_fma_f64 v[20:21], -v[6:7], v[16:17], 1.0
	v_fmac_f64_e32 v[16:17], v[16:17], v[20:21]
	v_fma_f64 v[20:21], -v[6:7], v[16:17], 1.0
	v_fmac_f64_e32 v[16:17], v[16:17], v[20:21]
	v_mul_f64 v[20:21], v[18:19], v[16:17]
	v_fma_f64 v[6:7], -v[6:7], v[20:21], v[18:19]
	v_div_fmas_f64 v[6:7], v[6:7], v[16:17], v[20:21]
	v_div_fixup_f64 v[6:7], v[6:7], v[2:3], v[0:1]
	v_fmac_f64_e32 v[2:3], v[0:1], v[6:7]
	v_div_scale_f64 v[0:1], s[4:5], v[2:3], v[2:3], 1.0
	v_rcp_f64_e32 v[16:17], v[0:1]
	s_nop 0
	v_fma_f64 v[18:19], -v[0:1], v[16:17], 1.0
	v_fmac_f64_e32 v[16:17], v[16:17], v[18:19]
	v_fma_f64 v[18:19], -v[0:1], v[16:17], 1.0
	v_fmac_f64_e32 v[16:17], v[16:17], v[18:19]
	v_div_scale_f64 v[18:19], vcc, 1.0, v[2:3], 1.0
	v_mul_f64 v[20:21], v[18:19], v[16:17]
	v_fma_f64 v[0:1], -v[0:1], v[20:21], v[18:19]
	s_nop 1
	v_div_fmas_f64 v[0:1], v[0:1], v[16:17], v[20:21]
	v_div_fixup_f64 v[2:3], v[0:1], v[2:3], 1.0
	v_mul_f64 v[0:1], v[6:7], v[2:3]
	v_xor_b32_e32 v3, 0x80000000, v3
.LBB122_183:
	s_andn2_saveexec_b64 s[12:13], s[12:13]
	s_cbranch_execz .LBB122_185
; %bb.184:
	v_div_scale_f64 v[6:7], s[4:5], v[0:1], v[0:1], v[2:3]
	v_rcp_f64_e32 v[16:17], v[6:7]
	v_div_scale_f64 v[18:19], vcc, v[2:3], v[0:1], v[2:3]
	v_fma_f64 v[20:21], -v[6:7], v[16:17], 1.0
	v_fmac_f64_e32 v[16:17], v[16:17], v[20:21]
	v_fma_f64 v[20:21], -v[6:7], v[16:17], 1.0
	v_fmac_f64_e32 v[16:17], v[16:17], v[20:21]
	v_mul_f64 v[20:21], v[18:19], v[16:17]
	v_fma_f64 v[6:7], -v[6:7], v[20:21], v[18:19]
	v_div_fmas_f64 v[6:7], v[6:7], v[16:17], v[20:21]
	v_div_fixup_f64 v[6:7], v[6:7], v[0:1], v[2:3]
	v_fmac_f64_e32 v[0:1], v[2:3], v[6:7]
	v_div_scale_f64 v[2:3], s[4:5], v[0:1], v[0:1], 1.0
	v_rcp_f64_e32 v[16:17], v[2:3]
	s_nop 0
	v_fma_f64 v[18:19], -v[2:3], v[16:17], 1.0
	v_fmac_f64_e32 v[16:17], v[16:17], v[18:19]
	v_fma_f64 v[18:19], -v[2:3], v[16:17], 1.0
	v_fmac_f64_e32 v[16:17], v[16:17], v[18:19]
	v_div_scale_f64 v[18:19], vcc, 1.0, v[0:1], 1.0
	v_mul_f64 v[20:21], v[18:19], v[16:17]
	v_fma_f64 v[2:3], -v[2:3], v[20:21], v[18:19]
	s_nop 1
	v_div_fmas_f64 v[2:3], v[2:3], v[16:17], v[20:21]
	v_div_fixup_f64 v[0:1], v[2:3], v[0:1], 1.0
	v_mul_f64 v[2:3], v[6:7], -v[0:1]
.LBB122_185:
	s_or_b64 exec, exec, s[12:13]
.LBB122_186:
	s_or_b64 exec, exec, s[0:1]
	v_cmp_ne_u32_e32 vcc, v15, v4
	s_and_saveexec_b64 s[0:1], vcc
	s_xor_b64 s[0:1], exec, s[0:1]
	s_cbranch_execz .LBB122_192
; %bb.187:
	v_cmp_eq_u32_e32 vcc, 7, v15
	s_and_saveexec_b64 s[12:13], vcc
	s_cbranch_execz .LBB122_191
; %bb.188:
	v_cmp_ne_u32_e32 vcc, 7, v4
	s_xor_b64 s[4:5], s[18:19], -1
	s_and_b64 s[4:5], s[4:5], vcc
	s_and_saveexec_b64 s[14:15], s[4:5]
	s_cbranch_execz .LBB122_190
; %bb.189:
	v_ashrrev_i32_e32 v5, 31, v4
	v_lshl_add_u64 v[6:7], v[4:5], 2, v[10:11]
	global_load_dword v5, v[6:7], off
	global_load_dword v14, v[10:11], off offset:28
	s_waitcnt vmcnt(1)
	global_store_dword v[10:11], v5, off offset:28
	s_waitcnt vmcnt(1)
	global_store_dword v[6:7], v14, off
.LBB122_190:
	s_or_b64 exec, exec, s[14:15]
	v_mov_b32_e32 v15, v4
	v_mov_b32_e32 v14, v4
.LBB122_191:
	s_or_b64 exec, exec, s[12:13]
.LBB122_192:
	s_andn2_saveexec_b64 s[0:1], s[0:1]
	s_cbranch_execz .LBB122_196
; %bb.193:
	s_mov_b32 s4, 0
	v_add_u32_e32 v4, 0x80, v12
.LBB122_194:                            ; =>This Inner Loop Header: Depth=1
	s_add_i32 s12, s4, 0x80
	s_add_i32 s13, s4, 0x90
	;; [unrolled: 1-line block ×18, first 2 shown]
	scratch_load_dwordx4 v[16:19], off, s12
	scratch_load_dwordx4 v[20:23], off, s13
	;; [unrolled: 1-line block ×18, first 2 shown]
	v_add_u32_e32 v5, s4, v4
	s_addk_i32 s4, 0x120
	s_cmpk_eq_i32 s4, 0x360
	s_waitcnt vmcnt(17)
	ds_write2_b64 v5, v[16:17], v[18:19] offset1:1
	s_waitcnt vmcnt(16)
	ds_write2_b64 v5, v[20:21], v[22:23] offset0:2 offset1:3
	s_waitcnt vmcnt(15)
	ds_write2_b64 v5, v[24:25], v[26:27] offset0:4 offset1:5
	;; [unrolled: 2-line block ×17, first 2 shown]
	s_cbranch_scc0 .LBB122_194
; %bb.195:
	v_mov_b32_e32 v15, 7
.LBB122_196:
	s_or_b64 exec, exec, s[0:1]
	v_cmp_lt_i32_e32 vcc, 7, v15
	s_waitcnt lgkmcnt(0)
	s_barrier
	s_and_saveexec_b64 s[0:1], vcc
	s_cbranch_execz .LBB122_199
; %bb.197:
	scratch_load_dwordx4 v[16:19], off, off offset:112
	s_mov_b32 s12, 0
	s_waitcnt vmcnt(0)
	v_mul_f64 v[4:5], v[2:3], v[18:19]
	v_mul_f64 v[6:7], v[0:1], v[18:19]
	v_fma_f64 v[4:5], v[0:1], v[16:17], -v[4:5]
	v_fmac_f64_e32 v[6:7], v[2:3], v[16:17]
	v_add_u32_e32 v0, 0x80, v12
	scratch_store_dwordx4 off, v[4:7], off offset:112
.LBB122_198:                            ; =>This Inner Loop Header: Depth=1
	v_add_u32_e32 v1, s12, v0
	ds_read2_b64 v[16:19], v1 offset1:1
	ds_read2_b64 v[20:23], v1 offset0:2 offset1:3
	ds_read2_b64 v[24:27], v1 offset0:4 offset1:5
	;; [unrolled: 1-line block ×5, first 2 shown]
	s_add_i32 s13, s12, 0x80
	s_waitcnt lgkmcnt(5)
	v_mul_f64 v[2:3], v[18:19], v[6:7]
	v_mul_f64 v[72:73], v[16:17], v[6:7]
	s_waitcnt lgkmcnt(4)
	v_mul_f64 v[74:75], v[22:23], v[6:7]
	v_mul_f64 v[76:77], v[20:21], v[6:7]
	;; [unrolled: 3-line block ×6, first 2 shown]
	s_add_i32 s14, s12, 0x90
	s_add_i32 s15, s12, 0xa0
	;; [unrolled: 1-line block ×8, first 2 shown]
	scratch_load_dwordx4 v[40:43], off, s13
	scratch_load_dwordx4 v[44:47], off, s14
	;; [unrolled: 1-line block ×8, first 2 shown]
	v_fma_f64 v[2:3], v[16:17], v[4:5], -v[2:3]
	v_fmac_f64_e32 v[72:73], v[18:19], v[4:5]
	v_fma_f64 v[74:75], v[20:21], v[4:5], -v[74:75]
	v_fmac_f64_e32 v[76:77], v[22:23], v[4:5]
	;; [unrolled: 2-line block ×6, first 2 shown]
	scratch_load_dwordx4 v[4:7], off, off offset:112
	scratch_load_dwordx4 v[16:19], off, s4
	ds_read2_b64 v[20:23], v1 offset0:12 offset1:13
	ds_read2_b64 v[24:27], v1 offset0:14 offset1:15
	;; [unrolled: 1-line block ×3, first 2 shown]
	s_addk_i32 s12, 0x90
	s_cmpk_lg_i32 s12, 0x360
	s_waitcnt vmcnt(9)
	v_add_f64 v[32:33], v[40:41], -v[2:3]
	v_add_f64 v[34:35], v[42:43], -v[72:73]
	s_waitcnt vmcnt(8)
	v_add_f64 v[36:37], v[44:45], -v[74:75]
	v_add_f64 v[38:39], v[46:47], -v[76:77]
	s_waitcnt vmcnt(7)
	v_add_f64 v[40:41], v[48:49], -v[78:79]
	v_add_f64 v[42:43], v[50:51], -v[80:81]
	s_waitcnt vmcnt(6)
	v_add_f64 v[44:45], v[52:53], -v[82:83]
	v_add_f64 v[46:47], v[54:55], -v[84:85]
	s_waitcnt vmcnt(5)
	v_add_f64 v[48:49], v[56:57], -v[86:87]
	v_add_f64 v[50:51], v[58:59], -v[88:89]
	s_waitcnt vmcnt(4)
	v_add_f64 v[52:53], v[60:61], -v[90:91]
	v_add_f64 v[54:55], v[62:63], -v[92:93]
	scratch_store_dwordx4 off, v[32:35], s13
	scratch_store_dwordx4 off, v[36:39], s14
	;; [unrolled: 1-line block ×6, first 2 shown]
	s_waitcnt vmcnt(7) lgkmcnt(2)
	v_mul_f64 v[2:3], v[22:23], v[6:7]
	v_mul_f64 v[32:33], v[20:21], v[6:7]
	s_waitcnt lgkmcnt(1)
	v_mul_f64 v[34:35], v[26:27], v[6:7]
	v_mul_f64 v[36:37], v[24:25], v[6:7]
	s_waitcnt lgkmcnt(0)
	v_mul_f64 v[38:39], v[30:31], v[6:7]
	v_mul_f64 v[40:41], v[28:29], v[6:7]
	v_fma_f64 v[2:3], v[20:21], v[4:5], -v[2:3]
	v_fmac_f64_e32 v[32:33], v[22:23], v[4:5]
	v_fma_f64 v[24:25], v[24:25], v[4:5], -v[34:35]
	v_fmac_f64_e32 v[36:37], v[26:27], v[4:5]
	;; [unrolled: 2-line block ×3, first 2 shown]
	v_add_f64 v[20:21], v[64:65], -v[2:3]
	v_add_f64 v[22:23], v[66:67], -v[32:33]
	v_add_f64 v[24:25], v[68:69], -v[24:25]
	v_add_f64 v[26:27], v[70:71], -v[36:37]
	s_waitcnt vmcnt(6)
	v_add_f64 v[16:17], v[16:17], -v[28:29]
	v_add_f64 v[18:19], v[18:19], -v[40:41]
	scratch_store_dwordx4 off, v[20:23], s68
	scratch_store_dwordx4 off, v[24:27], s69
	;; [unrolled: 1-line block ×3, first 2 shown]
	s_cbranch_scc1 .LBB122_198
.LBB122_199:
	s_or_b64 exec, exec, s[0:1]
	s_barrier
	scratch_load_dwordx4 v[0:3], off, s78
	v_lshl_add_u32 v4, v15, 4, v12
	s_cmp_lt_i32 s66, 10
	s_waitcnt vmcnt(0)
	ds_write2_b64 v4, v[0:1], v[2:3] offset1:1
	s_waitcnt lgkmcnt(0)
	s_barrier
	ds_read2_b64 v[0:3], v12 offset0:16 offset1:17
	v_mov_b32_e32 v4, 8
	s_cbranch_scc1 .LBB122_202
; %bb.200:
	v_add_u32_e32 v5, 0x90, v12
	s_mov_b32 s4, 9
	v_mov_b32_e32 v4, 8
.LBB122_201:                            ; =>This Inner Loop Header: Depth=1
	ds_read2_b64 v[16:19], v5 offset1:1
	s_waitcnt lgkmcnt(1)
	v_xor_b32_e32 v7, 0x80000000, v1
	v_xor_b32_e32 v21, 0x80000000, v3
	v_cmp_gt_f64_e32 vcc, 0, v[2:3]
	v_cmp_gt_f64_e64 s[0:1], 0, v[0:1]
	v_mov_b32_e32 v6, v0
	v_mov_b32_e32 v20, v2
	v_cndmask_b32_e64 v7, v1, v7, s[0:1]
	v_cndmask_b32_e32 v21, v3, v21, vcc
	v_add_f64 v[6:7], v[6:7], v[20:21]
	s_waitcnt lgkmcnt(0)
	v_xor_b32_e32 v21, 0x80000000, v17
	v_xor_b32_e32 v23, 0x80000000, v19
	v_cmp_gt_f64_e32 vcc, 0, v[18:19]
	v_cmp_gt_f64_e64 s[0:1], 0, v[16:17]
	v_mov_b32_e32 v20, v16
	v_mov_b32_e32 v22, v18
	v_cndmask_b32_e64 v21, v17, v21, s[0:1]
	v_cndmask_b32_e32 v23, v19, v23, vcc
	v_add_f64 v[20:21], v[20:21], v[22:23]
	v_mov_b32_e32 v24, s4
	s_add_i32 s4, s4, 1
	v_cmp_lt_f64_e32 vcc, v[6:7], v[20:21]
	v_add_u32_e32 v5, 16, v5
	s_cmp_lg_u32 s66, s4
	v_cndmask_b32_e32 v1, v1, v17, vcc
	v_cndmask_b32_e32 v0, v0, v16, vcc
	;; [unrolled: 1-line block ×5, first 2 shown]
	s_cbranch_scc1 .LBB122_201
.LBB122_202:
	s_waitcnt lgkmcnt(0)
	v_cmp_eq_f64_e32 vcc, 0, v[0:1]
	v_cmp_eq_f64_e64 s[0:1], 0, v[2:3]
	s_and_b64 s[0:1], vcc, s[0:1]
	s_and_saveexec_b64 s[4:5], s[0:1]
	s_xor_b64 s[0:1], exec, s[4:5]
; %bb.203:
	v_cmp_ne_u32_e32 vcc, 0, v13
	s_nop 1
	v_cndmask_b32_e32 v13, 9, v13, vcc
; %bb.204:
	s_andn2_saveexec_b64 s[0:1], s[0:1]
	s_cbranch_execz .LBB122_210
; %bb.205:
	v_cmp_ngt_f64_e64 s[4:5], |v[0:1]|, |v[2:3]|
	s_and_saveexec_b64 s[12:13], s[4:5]
	s_xor_b64 s[12:13], exec, s[12:13]
	s_cbranch_execz .LBB122_207
; %bb.206:
	v_div_scale_f64 v[6:7], s[4:5], v[2:3], v[2:3], v[0:1]
	v_rcp_f64_e32 v[16:17], v[6:7]
	v_div_scale_f64 v[18:19], vcc, v[0:1], v[2:3], v[0:1]
	v_fma_f64 v[20:21], -v[6:7], v[16:17], 1.0
	v_fmac_f64_e32 v[16:17], v[16:17], v[20:21]
	v_fma_f64 v[20:21], -v[6:7], v[16:17], 1.0
	v_fmac_f64_e32 v[16:17], v[16:17], v[20:21]
	v_mul_f64 v[20:21], v[18:19], v[16:17]
	v_fma_f64 v[6:7], -v[6:7], v[20:21], v[18:19]
	v_div_fmas_f64 v[6:7], v[6:7], v[16:17], v[20:21]
	v_div_fixup_f64 v[6:7], v[6:7], v[2:3], v[0:1]
	v_fmac_f64_e32 v[2:3], v[0:1], v[6:7]
	v_div_scale_f64 v[0:1], s[4:5], v[2:3], v[2:3], 1.0
	v_rcp_f64_e32 v[16:17], v[0:1]
	s_nop 0
	v_fma_f64 v[18:19], -v[0:1], v[16:17], 1.0
	v_fmac_f64_e32 v[16:17], v[16:17], v[18:19]
	v_fma_f64 v[18:19], -v[0:1], v[16:17], 1.0
	v_fmac_f64_e32 v[16:17], v[16:17], v[18:19]
	v_div_scale_f64 v[18:19], vcc, 1.0, v[2:3], 1.0
	v_mul_f64 v[20:21], v[18:19], v[16:17]
	v_fma_f64 v[0:1], -v[0:1], v[20:21], v[18:19]
	s_nop 1
	v_div_fmas_f64 v[0:1], v[0:1], v[16:17], v[20:21]
	v_div_fixup_f64 v[2:3], v[0:1], v[2:3], 1.0
	v_mul_f64 v[0:1], v[6:7], v[2:3]
	v_xor_b32_e32 v3, 0x80000000, v3
.LBB122_207:
	s_andn2_saveexec_b64 s[12:13], s[12:13]
	s_cbranch_execz .LBB122_209
; %bb.208:
	v_div_scale_f64 v[6:7], s[4:5], v[0:1], v[0:1], v[2:3]
	v_rcp_f64_e32 v[16:17], v[6:7]
	v_div_scale_f64 v[18:19], vcc, v[2:3], v[0:1], v[2:3]
	v_fma_f64 v[20:21], -v[6:7], v[16:17], 1.0
	v_fmac_f64_e32 v[16:17], v[16:17], v[20:21]
	v_fma_f64 v[20:21], -v[6:7], v[16:17], 1.0
	v_fmac_f64_e32 v[16:17], v[16:17], v[20:21]
	v_mul_f64 v[20:21], v[18:19], v[16:17]
	v_fma_f64 v[6:7], -v[6:7], v[20:21], v[18:19]
	v_div_fmas_f64 v[6:7], v[6:7], v[16:17], v[20:21]
	v_div_fixup_f64 v[6:7], v[6:7], v[0:1], v[2:3]
	v_fmac_f64_e32 v[0:1], v[2:3], v[6:7]
	v_div_scale_f64 v[2:3], s[4:5], v[0:1], v[0:1], 1.0
	v_rcp_f64_e32 v[16:17], v[2:3]
	s_nop 0
	v_fma_f64 v[18:19], -v[2:3], v[16:17], 1.0
	v_fmac_f64_e32 v[16:17], v[16:17], v[18:19]
	v_fma_f64 v[18:19], -v[2:3], v[16:17], 1.0
	v_fmac_f64_e32 v[16:17], v[16:17], v[18:19]
	v_div_scale_f64 v[18:19], vcc, 1.0, v[0:1], 1.0
	v_mul_f64 v[20:21], v[18:19], v[16:17]
	v_fma_f64 v[2:3], -v[2:3], v[20:21], v[18:19]
	s_nop 1
	v_div_fmas_f64 v[2:3], v[2:3], v[16:17], v[20:21]
	v_div_fixup_f64 v[0:1], v[2:3], v[0:1], 1.0
	v_mul_f64 v[2:3], v[6:7], -v[0:1]
.LBB122_209:
	s_or_b64 exec, exec, s[12:13]
.LBB122_210:
	s_or_b64 exec, exec, s[0:1]
	v_cmp_ne_u32_e32 vcc, v15, v4
	s_and_saveexec_b64 s[0:1], vcc
	s_xor_b64 s[0:1], exec, s[0:1]
	s_cbranch_execz .LBB122_216
; %bb.211:
	v_cmp_eq_u32_e32 vcc, 8, v15
	s_and_saveexec_b64 s[12:13], vcc
	s_cbranch_execz .LBB122_215
; %bb.212:
	v_cmp_ne_u32_e32 vcc, 8, v4
	s_xor_b64 s[4:5], s[18:19], -1
	s_and_b64 s[4:5], s[4:5], vcc
	s_and_saveexec_b64 s[14:15], s[4:5]
	s_cbranch_execz .LBB122_214
; %bb.213:
	v_ashrrev_i32_e32 v5, 31, v4
	v_lshl_add_u64 v[6:7], v[4:5], 2, v[10:11]
	global_load_dword v5, v[6:7], off
	global_load_dword v14, v[10:11], off offset:32
	s_waitcnt vmcnt(1)
	global_store_dword v[10:11], v5, off offset:32
	s_waitcnt vmcnt(1)
	global_store_dword v[6:7], v14, off
.LBB122_214:
	s_or_b64 exec, exec, s[14:15]
	v_mov_b32_e32 v15, v4
	v_mov_b32_e32 v14, v4
.LBB122_215:
	s_or_b64 exec, exec, s[12:13]
.LBB122_216:
	s_andn2_saveexec_b64 s[0:1], s[0:1]
	s_cbranch_execz .LBB122_222
; %bb.217:
	s_mov_b32 s4, 0
	v_add_u32_e32 v4, 0x90, v12
	s_branch .LBB122_219
.LBB122_218:                            ;   in Loop: Header=BB122_219 Depth=1
	s_andn2_b64 vcc, exec, s[12:13]
	s_cbranch_vccz .LBB122_221
.LBB122_219:                            ; =>This Inner Loop Header: Depth=1
	s_add_i32 s12, s4, 0x90
	s_add_i32 s13, s4, 0xa0
	scratch_load_dwordx4 v[16:19], off, s12
	scratch_load_dwordx4 v[20:23], off, s13
	s_add_i32 s12, s4, 0xb0
	s_add_i32 s13, s4, 0xc0
	scratch_load_dwordx4 v[24:27], off, s12
	scratch_load_dwordx4 v[28:31], off, s13
	s_add_i32 s12, s4, 0xd0
	scratch_load_dwordx4 v[32:35], off, s12
	s_mov_b32 s5, s4
	v_add_u32_e32 v5, s4, v4
	s_cmpk_eq_i32 s4, 0x300
	s_mov_b64 s[12:13], -1
	s_waitcnt vmcnt(4)
	ds_write2_b64 v5, v[16:17], v[18:19] offset1:1
	s_waitcnt vmcnt(3)
	ds_write2_b64 v5, v[20:21], v[22:23] offset0:2 offset1:3
	s_waitcnt vmcnt(2)
	ds_write2_b64 v5, v[24:25], v[26:27] offset0:4 offset1:5
	;; [unrolled: 2-line block ×4, first 2 shown]
	s_cbranch_scc1 .LBB122_218
; %bb.220:                              ;   in Loop: Header=BB122_219 Depth=1
	s_add_i32 s12, s5, 0xe0
	s_add_i32 s13, s5, 0xf0
	scratch_load_dwordx4 v[16:19], off, s12
	scratch_load_dwordx4 v[20:23], off, s13
	s_addk_i32 s5, 0x100
	scratch_load_dwordx4 v[24:27], off, s5
	s_addk_i32 s4, 0x80
	s_mov_b64 s[12:13], 0
	s_waitcnt vmcnt(2)
	ds_write2_b64 v5, v[16:17], v[18:19] offset0:10 offset1:11
	s_waitcnt vmcnt(1)
	ds_write2_b64 v5, v[20:21], v[22:23] offset0:12 offset1:13
	;; [unrolled: 2-line block ×3, first 2 shown]
	s_branch .LBB122_218
.LBB122_221:
	v_mov_b32_e32 v15, 8
.LBB122_222:
	s_or_b64 exec, exec, s[0:1]
	v_cmp_lt_i32_e32 vcc, 8, v15
	s_waitcnt lgkmcnt(0)
	s_barrier
	s_and_saveexec_b64 s[0:1], vcc
	s_cbranch_execz .LBB122_227
; %bb.223:
	scratch_load_dwordx4 v[16:19], off, off offset:128
	s_mov_b32 s14, 0
	s_waitcnt vmcnt(0)
	v_mul_f64 v[4:5], v[2:3], v[18:19]
	v_mul_f64 v[6:7], v[0:1], v[18:19]
	v_fma_f64 v[4:5], v[0:1], v[16:17], -v[4:5]
	v_fmac_f64_e32 v[6:7], v[2:3], v[16:17]
	v_add_u32_e32 v0, 0x90, v12
	scratch_store_dwordx4 off, v[4:7], off offset:128
	s_branch .LBB122_225
.LBB122_224:                            ;   in Loop: Header=BB122_225 Depth=1
	s_andn2_b64 vcc, exec, s[12:13]
	s_cbranch_vccz .LBB122_227
.LBB122_225:                            ; =>This Inner Loop Header: Depth=1
	s_add_i32 s4, s14, 0x90
	scratch_load_dwordx4 v[16:19], off, s4
	s_add_i32 s5, s14, 0xa0
	s_add_i32 s12, s14, 0xb0
	;; [unrolled: 1-line block ×4, first 2 shown]
	scratch_load_dwordx4 v[20:23], off, s5
	scratch_load_dwordx4 v[24:27], off, s12
	;; [unrolled: 1-line block ×4, first 2 shown]
	v_add_u32_e32 v1, s14, v0
	ds_read2_b64 v[36:39], v1 offset1:1
	ds_read2_b64 v[40:43], v1 offset0:2 offset1:3
	ds_read2_b64 v[44:47], v1 offset0:4 offset1:5
	;; [unrolled: 1-line block ×4, first 2 shown]
	s_waitcnt lgkmcnt(4)
	v_mul_f64 v[2:3], v[38:39], v[6:7]
	v_mul_f64 v[56:57], v[36:37], v[6:7]
	s_waitcnt lgkmcnt(3)
	v_mul_f64 v[58:59], v[42:43], v[6:7]
	v_mul_f64 v[60:61], v[40:41], v[6:7]
	;; [unrolled: 3-line block ×5, first 2 shown]
	v_fma_f64 v[2:3], v[36:37], v[4:5], -v[2:3]
	v_fmac_f64_e32 v[56:57], v[38:39], v[4:5]
	v_fma_f64 v[36:37], v[40:41], v[4:5], -v[58:59]
	v_fmac_f64_e32 v[60:61], v[42:43], v[4:5]
	v_fma_f64 v[38:39], v[44:45], v[4:5], -v[62:63]
	v_fmac_f64_e32 v[64:65], v[46:47], v[4:5]
	v_fma_f64 v[40:41], v[48:49], v[4:5], -v[66:67]
	v_fmac_f64_e32 v[68:69], v[50:51], v[4:5]
	v_fma_f64 v[42:43], v[52:53], v[4:5], -v[70:71]
	v_fmac_f64_e32 v[72:73], v[54:55], v[4:5]
	s_mov_b32 s15, s14
	s_cmpk_eq_i32 s14, 0x300
	s_waitcnt vmcnt(4)
	v_add_f64 v[16:17], v[16:17], -v[2:3]
	v_add_f64 v[18:19], v[18:19], -v[56:57]
	s_waitcnt vmcnt(3)
	v_add_f64 v[20:21], v[20:21], -v[36:37]
	v_add_f64 v[22:23], v[22:23], -v[60:61]
	;; [unrolled: 3-line block ×5, first 2 shown]
	scratch_store_dwordx4 off, v[16:19], s4
	scratch_store_dwordx4 off, v[20:23], s5
	scratch_store_dwordx4 off, v[24:27], s12
	scratch_store_dwordx4 off, v[28:31], s13
	scratch_store_dwordx4 off, v[32:35], s16
	s_mov_b64 s[12:13], -1
	s_cbranch_scc1 .LBB122_224
; %bb.226:                              ;   in Loop: Header=BB122_225 Depth=1
	s_add_i32 s4, s15, 0xe0
	scratch_load_dwordx4 v[16:19], off, s4
	s_add_i32 s5, s15, 0xf0
	s_addk_i32 s15, 0x100
	scratch_load_dwordx4 v[20:23], off, s5
	scratch_load_dwordx4 v[24:27], off, s15
	ds_read2_b64 v[28:31], v1 offset0:10 offset1:11
	ds_read2_b64 v[32:35], v1 offset0:12 offset1:13
	;; [unrolled: 1-line block ×3, first 2 shown]
	s_addk_i32 s14, 0x80
	s_mov_b64 s[12:13], 0
	s_waitcnt lgkmcnt(2)
	v_mul_f64 v[2:3], v[30:31], v[6:7]
	v_mul_f64 v[40:41], v[28:29], v[6:7]
	s_waitcnt lgkmcnt(1)
	v_mul_f64 v[42:43], v[34:35], v[6:7]
	v_mul_f64 v[44:45], v[32:33], v[6:7]
	;; [unrolled: 3-line block ×3, first 2 shown]
	v_fma_f64 v[2:3], v[28:29], v[4:5], -v[2:3]
	v_fmac_f64_e32 v[40:41], v[30:31], v[4:5]
	v_fma_f64 v[28:29], v[32:33], v[4:5], -v[42:43]
	v_fmac_f64_e32 v[44:45], v[34:35], v[4:5]
	;; [unrolled: 2-line block ×3, first 2 shown]
	s_waitcnt vmcnt(2)
	v_add_f64 v[16:17], v[16:17], -v[2:3]
	v_add_f64 v[18:19], v[18:19], -v[40:41]
	s_waitcnt vmcnt(1)
	v_add_f64 v[20:21], v[20:21], -v[28:29]
	v_add_f64 v[22:23], v[22:23], -v[44:45]
	;; [unrolled: 3-line block ×3, first 2 shown]
	scratch_store_dwordx4 off, v[16:19], s4
	scratch_store_dwordx4 off, v[20:23], s5
	;; [unrolled: 1-line block ×3, first 2 shown]
	s_branch .LBB122_224
.LBB122_227:
	s_or_b64 exec, exec, s[0:1]
	s_barrier
	scratch_load_dwordx4 v[0:3], off, s77
	v_lshl_add_u32 v4, v15, 4, v12
	s_cmp_lt_i32 s66, 11
	s_waitcnt vmcnt(0)
	ds_write2_b64 v4, v[0:1], v[2:3] offset1:1
	s_waitcnt lgkmcnt(0)
	s_barrier
	ds_read2_b64 v[0:3], v12 offset0:18 offset1:19
	v_mov_b32_e32 v4, 9
	s_cbranch_scc1 .LBB122_230
; %bb.228:
	v_add_u32_e32 v5, 0xa0, v12
	s_mov_b32 s4, 10
	v_mov_b32_e32 v4, 9
.LBB122_229:                            ; =>This Inner Loop Header: Depth=1
	ds_read2_b64 v[16:19], v5 offset1:1
	s_waitcnt lgkmcnt(1)
	v_xor_b32_e32 v7, 0x80000000, v1
	v_xor_b32_e32 v21, 0x80000000, v3
	v_cmp_gt_f64_e32 vcc, 0, v[2:3]
	v_cmp_gt_f64_e64 s[0:1], 0, v[0:1]
	v_mov_b32_e32 v6, v0
	v_mov_b32_e32 v20, v2
	v_cndmask_b32_e64 v7, v1, v7, s[0:1]
	v_cndmask_b32_e32 v21, v3, v21, vcc
	v_add_f64 v[6:7], v[6:7], v[20:21]
	s_waitcnt lgkmcnt(0)
	v_xor_b32_e32 v21, 0x80000000, v17
	v_xor_b32_e32 v23, 0x80000000, v19
	v_cmp_gt_f64_e32 vcc, 0, v[18:19]
	v_cmp_gt_f64_e64 s[0:1], 0, v[16:17]
	v_mov_b32_e32 v20, v16
	v_mov_b32_e32 v22, v18
	v_cndmask_b32_e64 v21, v17, v21, s[0:1]
	v_cndmask_b32_e32 v23, v19, v23, vcc
	v_add_f64 v[20:21], v[20:21], v[22:23]
	v_mov_b32_e32 v24, s4
	s_add_i32 s4, s4, 1
	v_cmp_lt_f64_e32 vcc, v[6:7], v[20:21]
	v_add_u32_e32 v5, 16, v5
	s_cmp_lg_u32 s66, s4
	v_cndmask_b32_e32 v1, v1, v17, vcc
	v_cndmask_b32_e32 v0, v0, v16, vcc
	;; [unrolled: 1-line block ×5, first 2 shown]
	s_cbranch_scc1 .LBB122_229
.LBB122_230:
	s_waitcnt lgkmcnt(0)
	v_cmp_eq_f64_e32 vcc, 0, v[0:1]
	v_cmp_eq_f64_e64 s[0:1], 0, v[2:3]
	s_and_b64 s[0:1], vcc, s[0:1]
	s_and_saveexec_b64 s[4:5], s[0:1]
	s_xor_b64 s[0:1], exec, s[4:5]
; %bb.231:
	v_cmp_ne_u32_e32 vcc, 0, v13
	s_nop 1
	v_cndmask_b32_e32 v13, 10, v13, vcc
; %bb.232:
	s_andn2_saveexec_b64 s[0:1], s[0:1]
	s_cbranch_execz .LBB122_238
; %bb.233:
	v_cmp_ngt_f64_e64 s[4:5], |v[0:1]|, |v[2:3]|
	s_and_saveexec_b64 s[12:13], s[4:5]
	s_xor_b64 s[12:13], exec, s[12:13]
	s_cbranch_execz .LBB122_235
; %bb.234:
	v_div_scale_f64 v[6:7], s[4:5], v[2:3], v[2:3], v[0:1]
	v_rcp_f64_e32 v[16:17], v[6:7]
	v_div_scale_f64 v[18:19], vcc, v[0:1], v[2:3], v[0:1]
	v_fma_f64 v[20:21], -v[6:7], v[16:17], 1.0
	v_fmac_f64_e32 v[16:17], v[16:17], v[20:21]
	v_fma_f64 v[20:21], -v[6:7], v[16:17], 1.0
	v_fmac_f64_e32 v[16:17], v[16:17], v[20:21]
	v_mul_f64 v[20:21], v[18:19], v[16:17]
	v_fma_f64 v[6:7], -v[6:7], v[20:21], v[18:19]
	v_div_fmas_f64 v[6:7], v[6:7], v[16:17], v[20:21]
	v_div_fixup_f64 v[6:7], v[6:7], v[2:3], v[0:1]
	v_fmac_f64_e32 v[2:3], v[0:1], v[6:7]
	v_div_scale_f64 v[0:1], s[4:5], v[2:3], v[2:3], 1.0
	v_rcp_f64_e32 v[16:17], v[0:1]
	s_nop 0
	v_fma_f64 v[18:19], -v[0:1], v[16:17], 1.0
	v_fmac_f64_e32 v[16:17], v[16:17], v[18:19]
	v_fma_f64 v[18:19], -v[0:1], v[16:17], 1.0
	v_fmac_f64_e32 v[16:17], v[16:17], v[18:19]
	v_div_scale_f64 v[18:19], vcc, 1.0, v[2:3], 1.0
	v_mul_f64 v[20:21], v[18:19], v[16:17]
	v_fma_f64 v[0:1], -v[0:1], v[20:21], v[18:19]
	s_nop 1
	v_div_fmas_f64 v[0:1], v[0:1], v[16:17], v[20:21]
	v_div_fixup_f64 v[2:3], v[0:1], v[2:3], 1.0
	v_mul_f64 v[0:1], v[6:7], v[2:3]
	v_xor_b32_e32 v3, 0x80000000, v3
.LBB122_235:
	s_andn2_saveexec_b64 s[12:13], s[12:13]
	s_cbranch_execz .LBB122_237
; %bb.236:
	v_div_scale_f64 v[6:7], s[4:5], v[0:1], v[0:1], v[2:3]
	v_rcp_f64_e32 v[16:17], v[6:7]
	v_div_scale_f64 v[18:19], vcc, v[2:3], v[0:1], v[2:3]
	v_fma_f64 v[20:21], -v[6:7], v[16:17], 1.0
	v_fmac_f64_e32 v[16:17], v[16:17], v[20:21]
	v_fma_f64 v[20:21], -v[6:7], v[16:17], 1.0
	v_fmac_f64_e32 v[16:17], v[16:17], v[20:21]
	v_mul_f64 v[20:21], v[18:19], v[16:17]
	v_fma_f64 v[6:7], -v[6:7], v[20:21], v[18:19]
	v_div_fmas_f64 v[6:7], v[6:7], v[16:17], v[20:21]
	v_div_fixup_f64 v[6:7], v[6:7], v[0:1], v[2:3]
	v_fmac_f64_e32 v[0:1], v[2:3], v[6:7]
	v_div_scale_f64 v[2:3], s[4:5], v[0:1], v[0:1], 1.0
	v_rcp_f64_e32 v[16:17], v[2:3]
	s_nop 0
	v_fma_f64 v[18:19], -v[2:3], v[16:17], 1.0
	v_fmac_f64_e32 v[16:17], v[16:17], v[18:19]
	v_fma_f64 v[18:19], -v[2:3], v[16:17], 1.0
	v_fmac_f64_e32 v[16:17], v[16:17], v[18:19]
	v_div_scale_f64 v[18:19], vcc, 1.0, v[0:1], 1.0
	v_mul_f64 v[20:21], v[18:19], v[16:17]
	v_fma_f64 v[2:3], -v[2:3], v[20:21], v[18:19]
	s_nop 1
	v_div_fmas_f64 v[2:3], v[2:3], v[16:17], v[20:21]
	v_div_fixup_f64 v[0:1], v[2:3], v[0:1], 1.0
	v_mul_f64 v[2:3], v[6:7], -v[0:1]
.LBB122_237:
	s_or_b64 exec, exec, s[12:13]
.LBB122_238:
	s_or_b64 exec, exec, s[0:1]
	v_cmp_ne_u32_e32 vcc, v15, v4
	s_and_saveexec_b64 s[0:1], vcc
	s_xor_b64 s[0:1], exec, s[0:1]
	s_cbranch_execz .LBB122_244
; %bb.239:
	v_cmp_eq_u32_e32 vcc, 9, v15
	s_and_saveexec_b64 s[12:13], vcc
	s_cbranch_execz .LBB122_243
; %bb.240:
	v_cmp_ne_u32_e32 vcc, 9, v4
	s_xor_b64 s[4:5], s[18:19], -1
	s_and_b64 s[4:5], s[4:5], vcc
	s_and_saveexec_b64 s[14:15], s[4:5]
	s_cbranch_execz .LBB122_242
; %bb.241:
	v_ashrrev_i32_e32 v5, 31, v4
	v_lshl_add_u64 v[6:7], v[4:5], 2, v[10:11]
	global_load_dword v5, v[6:7], off
	global_load_dword v14, v[10:11], off offset:36
	s_waitcnt vmcnt(1)
	global_store_dword v[10:11], v5, off offset:36
	s_waitcnt vmcnt(1)
	global_store_dword v[6:7], v14, off
.LBB122_242:
	s_or_b64 exec, exec, s[14:15]
	v_mov_b32_e32 v15, v4
	v_mov_b32_e32 v14, v4
.LBB122_243:
	s_or_b64 exec, exec, s[12:13]
.LBB122_244:
	s_andn2_saveexec_b64 s[0:1], s[0:1]
	s_cbranch_execz .LBB122_248
; %bb.245:
	s_mov_b32 s4, 0
	v_add_u32_e32 v4, 0xa0, v12
.LBB122_246:                            ; =>This Inner Loop Header: Depth=1
	s_add_i32 s12, s4, 0xa0
	s_add_i32 s13, s4, 0xb0
	;; [unrolled: 1-line block ×13, first 2 shown]
	scratch_load_dwordx4 v[16:19], off, s12
	scratch_load_dwordx4 v[20:23], off, s13
	;; [unrolled: 1-line block ×13, first 2 shown]
	v_add_u32_e32 v5, s4, v4
	s_addk_i32 s4, 0xd0
	s_cmpk_eq_i32 s4, 0x340
	s_waitcnt vmcnt(12)
	ds_write2_b64 v5, v[16:17], v[18:19] offset1:1
	s_waitcnt vmcnt(11)
	ds_write2_b64 v5, v[20:21], v[22:23] offset0:2 offset1:3
	s_waitcnt vmcnt(10)
	ds_write2_b64 v5, v[24:25], v[26:27] offset0:4 offset1:5
	s_waitcnt vmcnt(9)
	ds_write2_b64 v5, v[28:29], v[30:31] offset0:6 offset1:7
	s_waitcnt vmcnt(8)
	ds_write2_b64 v5, v[32:33], v[34:35] offset0:8 offset1:9
	s_waitcnt vmcnt(7)
	ds_write2_b64 v5, v[36:37], v[38:39] offset0:10 offset1:11
	s_waitcnt vmcnt(6)
	ds_write2_b64 v5, v[40:41], v[42:43] offset0:12 offset1:13
	s_waitcnt vmcnt(5)
	ds_write2_b64 v5, v[44:45], v[46:47] offset0:14 offset1:15
	s_waitcnt vmcnt(4)
	ds_write2_b64 v5, v[48:49], v[50:51] offset0:16 offset1:17
	s_waitcnt vmcnt(3)
	ds_write2_b64 v5, v[52:53], v[54:55] offset0:18 offset1:19
	s_waitcnt vmcnt(2)
	ds_write2_b64 v5, v[56:57], v[58:59] offset0:20 offset1:21
	s_waitcnt vmcnt(1)
	ds_write2_b64 v5, v[60:61], v[62:63] offset0:22 offset1:23
	s_waitcnt vmcnt(0)
	ds_write2_b64 v5, v[64:65], v[66:67] offset0:24 offset1:25
	s_cbranch_scc0 .LBB122_246
; %bb.247:
	v_mov_b32_e32 v15, 9
.LBB122_248:
	s_or_b64 exec, exec, s[0:1]
	v_cmp_lt_i32_e32 vcc, 9, v15
	s_waitcnt lgkmcnt(0)
	s_barrier
	s_and_saveexec_b64 s[0:1], vcc
	s_cbranch_execz .LBB122_251
; %bb.249:
	scratch_load_dwordx4 v[16:19], off, off offset:144
	s_mov_b32 s4, 0
	s_waitcnt vmcnt(0)
	v_mul_f64 v[4:5], v[2:3], v[18:19]
	v_mul_f64 v[6:7], v[0:1], v[18:19]
	v_fma_f64 v[4:5], v[0:1], v[16:17], -v[4:5]
	v_fmac_f64_e32 v[6:7], v[2:3], v[16:17]
	v_add_u32_e32 v0, 0xa0, v12
	scratch_store_dwordx4 off, v[4:7], off offset:144
.LBB122_250:                            ; =>This Inner Loop Header: Depth=1
	s_add_i32 s12, s4, 0xa0
	s_add_i32 s13, s4, 0xb0
	;; [unrolled: 1-line block ×4, first 2 shown]
	scratch_load_dwordx4 v[16:19], off, s12
	scratch_load_dwordx4 v[20:23], off, s13
	;; [unrolled: 1-line block ×4, first 2 shown]
	v_add_u32_e32 v1, s4, v0
	ds_read2_b64 v[32:35], v1 offset1:1
	ds_read2_b64 v[36:39], v1 offset0:2 offset1:3
	ds_read2_b64 v[40:43], v1 offset0:4 offset1:5
	ds_read2_b64 v[44:47], v1 offset0:6 offset1:7
	s_add_i32 s4, s4, 64
	s_waitcnt lgkmcnt(3)
	v_mul_f64 v[2:3], v[34:35], v[6:7]
	v_mul_f64 v[48:49], v[32:33], v[6:7]
	s_waitcnt lgkmcnt(2)
	v_mul_f64 v[50:51], v[38:39], v[6:7]
	v_mul_f64 v[52:53], v[36:37], v[6:7]
	;; [unrolled: 3-line block ×4, first 2 shown]
	v_fma_f64 v[2:3], v[32:33], v[4:5], -v[2:3]
	v_fmac_f64_e32 v[48:49], v[34:35], v[4:5]
	s_cmpk_lg_i32 s4, 0x340
	v_fma_f64 v[32:33], v[36:37], v[4:5], -v[50:51]
	v_fmac_f64_e32 v[52:53], v[38:39], v[4:5]
	v_fma_f64 v[34:35], v[40:41], v[4:5], -v[54:55]
	v_fmac_f64_e32 v[56:57], v[42:43], v[4:5]
	;; [unrolled: 2-line block ×3, first 2 shown]
	s_waitcnt vmcnt(3)
	v_add_f64 v[16:17], v[16:17], -v[2:3]
	v_add_f64 v[18:19], v[18:19], -v[48:49]
	s_waitcnt vmcnt(2)
	v_add_f64 v[20:21], v[20:21], -v[32:33]
	v_add_f64 v[22:23], v[22:23], -v[52:53]
	;; [unrolled: 3-line block ×4, first 2 shown]
	scratch_store_dwordx4 off, v[16:19], s12
	scratch_store_dwordx4 off, v[20:23], s13
	;; [unrolled: 1-line block ×4, first 2 shown]
	s_cbranch_scc1 .LBB122_250
.LBB122_251:
	s_or_b64 exec, exec, s[0:1]
	s_barrier
	scratch_load_dwordx4 v[0:3], off, s76
	v_lshl_add_u32 v4, v15, 4, v12
	s_cmp_lt_i32 s66, 12
	s_waitcnt vmcnt(0)
	ds_write2_b64 v4, v[0:1], v[2:3] offset1:1
	s_waitcnt lgkmcnt(0)
	s_barrier
	ds_read2_b64 v[0:3], v12 offset0:20 offset1:21
	v_mov_b32_e32 v4, 10
	s_cbranch_scc1 .LBB122_254
; %bb.252:
	v_add_u32_e32 v5, 0xb0, v12
	s_mov_b32 s4, 11
	v_mov_b32_e32 v4, 10
.LBB122_253:                            ; =>This Inner Loop Header: Depth=1
	ds_read2_b64 v[16:19], v5 offset1:1
	s_waitcnt lgkmcnt(1)
	v_xor_b32_e32 v7, 0x80000000, v1
	v_xor_b32_e32 v21, 0x80000000, v3
	v_cmp_gt_f64_e32 vcc, 0, v[2:3]
	v_cmp_gt_f64_e64 s[0:1], 0, v[0:1]
	v_mov_b32_e32 v6, v0
	v_mov_b32_e32 v20, v2
	v_cndmask_b32_e64 v7, v1, v7, s[0:1]
	v_cndmask_b32_e32 v21, v3, v21, vcc
	v_add_f64 v[6:7], v[6:7], v[20:21]
	s_waitcnt lgkmcnt(0)
	v_xor_b32_e32 v21, 0x80000000, v17
	v_xor_b32_e32 v23, 0x80000000, v19
	v_cmp_gt_f64_e32 vcc, 0, v[18:19]
	v_cmp_gt_f64_e64 s[0:1], 0, v[16:17]
	v_mov_b32_e32 v20, v16
	v_mov_b32_e32 v22, v18
	v_cndmask_b32_e64 v21, v17, v21, s[0:1]
	v_cndmask_b32_e32 v23, v19, v23, vcc
	v_add_f64 v[20:21], v[20:21], v[22:23]
	v_mov_b32_e32 v24, s4
	s_add_i32 s4, s4, 1
	v_cmp_lt_f64_e32 vcc, v[6:7], v[20:21]
	v_add_u32_e32 v5, 16, v5
	s_cmp_lg_u32 s66, s4
	v_cndmask_b32_e32 v1, v1, v17, vcc
	v_cndmask_b32_e32 v0, v0, v16, vcc
	;; [unrolled: 1-line block ×5, first 2 shown]
	s_cbranch_scc1 .LBB122_253
.LBB122_254:
	s_waitcnt lgkmcnt(0)
	v_cmp_eq_f64_e32 vcc, 0, v[0:1]
	v_cmp_eq_f64_e64 s[0:1], 0, v[2:3]
	s_and_b64 s[0:1], vcc, s[0:1]
	s_and_saveexec_b64 s[4:5], s[0:1]
	s_xor_b64 s[0:1], exec, s[4:5]
; %bb.255:
	v_cmp_ne_u32_e32 vcc, 0, v13
	s_nop 1
	v_cndmask_b32_e32 v13, 11, v13, vcc
; %bb.256:
	s_andn2_saveexec_b64 s[0:1], s[0:1]
	s_cbranch_execz .LBB122_262
; %bb.257:
	v_cmp_ngt_f64_e64 s[4:5], |v[0:1]|, |v[2:3]|
	s_and_saveexec_b64 s[12:13], s[4:5]
	s_xor_b64 s[12:13], exec, s[12:13]
	s_cbranch_execz .LBB122_259
; %bb.258:
	v_div_scale_f64 v[6:7], s[4:5], v[2:3], v[2:3], v[0:1]
	v_rcp_f64_e32 v[16:17], v[6:7]
	v_div_scale_f64 v[18:19], vcc, v[0:1], v[2:3], v[0:1]
	v_fma_f64 v[20:21], -v[6:7], v[16:17], 1.0
	v_fmac_f64_e32 v[16:17], v[16:17], v[20:21]
	v_fma_f64 v[20:21], -v[6:7], v[16:17], 1.0
	v_fmac_f64_e32 v[16:17], v[16:17], v[20:21]
	v_mul_f64 v[20:21], v[18:19], v[16:17]
	v_fma_f64 v[6:7], -v[6:7], v[20:21], v[18:19]
	v_div_fmas_f64 v[6:7], v[6:7], v[16:17], v[20:21]
	v_div_fixup_f64 v[6:7], v[6:7], v[2:3], v[0:1]
	v_fmac_f64_e32 v[2:3], v[0:1], v[6:7]
	v_div_scale_f64 v[0:1], s[4:5], v[2:3], v[2:3], 1.0
	v_rcp_f64_e32 v[16:17], v[0:1]
	s_nop 0
	v_fma_f64 v[18:19], -v[0:1], v[16:17], 1.0
	v_fmac_f64_e32 v[16:17], v[16:17], v[18:19]
	v_fma_f64 v[18:19], -v[0:1], v[16:17], 1.0
	v_fmac_f64_e32 v[16:17], v[16:17], v[18:19]
	v_div_scale_f64 v[18:19], vcc, 1.0, v[2:3], 1.0
	v_mul_f64 v[20:21], v[18:19], v[16:17]
	v_fma_f64 v[0:1], -v[0:1], v[20:21], v[18:19]
	s_nop 1
	v_div_fmas_f64 v[0:1], v[0:1], v[16:17], v[20:21]
	v_div_fixup_f64 v[2:3], v[0:1], v[2:3], 1.0
	v_mul_f64 v[0:1], v[6:7], v[2:3]
	v_xor_b32_e32 v3, 0x80000000, v3
.LBB122_259:
	s_andn2_saveexec_b64 s[12:13], s[12:13]
	s_cbranch_execz .LBB122_261
; %bb.260:
	v_div_scale_f64 v[6:7], s[4:5], v[0:1], v[0:1], v[2:3]
	v_rcp_f64_e32 v[16:17], v[6:7]
	v_div_scale_f64 v[18:19], vcc, v[2:3], v[0:1], v[2:3]
	v_fma_f64 v[20:21], -v[6:7], v[16:17], 1.0
	v_fmac_f64_e32 v[16:17], v[16:17], v[20:21]
	v_fma_f64 v[20:21], -v[6:7], v[16:17], 1.0
	v_fmac_f64_e32 v[16:17], v[16:17], v[20:21]
	v_mul_f64 v[20:21], v[18:19], v[16:17]
	v_fma_f64 v[6:7], -v[6:7], v[20:21], v[18:19]
	v_div_fmas_f64 v[6:7], v[6:7], v[16:17], v[20:21]
	v_div_fixup_f64 v[6:7], v[6:7], v[0:1], v[2:3]
	v_fmac_f64_e32 v[0:1], v[2:3], v[6:7]
	v_div_scale_f64 v[2:3], s[4:5], v[0:1], v[0:1], 1.0
	v_rcp_f64_e32 v[16:17], v[2:3]
	s_nop 0
	v_fma_f64 v[18:19], -v[2:3], v[16:17], 1.0
	v_fmac_f64_e32 v[16:17], v[16:17], v[18:19]
	v_fma_f64 v[18:19], -v[2:3], v[16:17], 1.0
	v_fmac_f64_e32 v[16:17], v[16:17], v[18:19]
	v_div_scale_f64 v[18:19], vcc, 1.0, v[0:1], 1.0
	v_mul_f64 v[20:21], v[18:19], v[16:17]
	v_fma_f64 v[2:3], -v[2:3], v[20:21], v[18:19]
	s_nop 1
	v_div_fmas_f64 v[2:3], v[2:3], v[16:17], v[20:21]
	v_div_fixup_f64 v[0:1], v[2:3], v[0:1], 1.0
	v_mul_f64 v[2:3], v[6:7], -v[0:1]
.LBB122_261:
	s_or_b64 exec, exec, s[12:13]
.LBB122_262:
	s_or_b64 exec, exec, s[0:1]
	v_cmp_ne_u32_e32 vcc, v15, v4
	s_and_saveexec_b64 s[0:1], vcc
	s_xor_b64 s[0:1], exec, s[0:1]
	s_cbranch_execz .LBB122_268
; %bb.263:
	v_cmp_eq_u32_e32 vcc, 10, v15
	s_and_saveexec_b64 s[12:13], vcc
	s_cbranch_execz .LBB122_267
; %bb.264:
	v_cmp_ne_u32_e32 vcc, 10, v4
	s_xor_b64 s[4:5], s[18:19], -1
	s_and_b64 s[4:5], s[4:5], vcc
	s_and_saveexec_b64 s[14:15], s[4:5]
	s_cbranch_execz .LBB122_266
; %bb.265:
	v_ashrrev_i32_e32 v5, 31, v4
	v_lshl_add_u64 v[6:7], v[4:5], 2, v[10:11]
	global_load_dword v5, v[6:7], off
	global_load_dword v14, v[10:11], off offset:40
	s_waitcnt vmcnt(1)
	global_store_dword v[10:11], v5, off offset:40
	s_waitcnt vmcnt(1)
	global_store_dword v[6:7], v14, off
.LBB122_266:
	s_or_b64 exec, exec, s[14:15]
	v_mov_b32_e32 v15, v4
	v_mov_b32_e32 v14, v4
.LBB122_267:
	s_or_b64 exec, exec, s[12:13]
.LBB122_268:
	s_andn2_saveexec_b64 s[0:1], s[0:1]
	s_cbranch_execz .LBB122_272
; %bb.269:
	s_mov_b32 s4, 0
	v_add_u32_e32 v4, 0xb0, v12
.LBB122_270:                            ; =>This Inner Loop Header: Depth=1
	s_add_i32 s12, s4, 0xb0
	s_add_i32 s13, s4, 0xc0
	;; [unrolled: 1-line block ×17, first 2 shown]
	scratch_load_dwordx4 v[16:19], off, s12
	scratch_load_dwordx4 v[20:23], off, s13
	;; [unrolled: 1-line block ×17, first 2 shown]
	v_add_u32_e32 v5, s4, v4
	s_addk_i32 s4, 0x110
	s_cmpk_eq_i32 s4, 0x330
	s_waitcnt vmcnt(16)
	ds_write2_b64 v5, v[16:17], v[18:19] offset1:1
	s_waitcnt vmcnt(15)
	ds_write2_b64 v5, v[20:21], v[22:23] offset0:2 offset1:3
	s_waitcnt vmcnt(14)
	ds_write2_b64 v5, v[24:25], v[26:27] offset0:4 offset1:5
	s_waitcnt vmcnt(13)
	ds_write2_b64 v5, v[28:29], v[30:31] offset0:6 offset1:7
	s_waitcnt vmcnt(12)
	ds_write2_b64 v5, v[32:33], v[34:35] offset0:8 offset1:9
	s_waitcnt vmcnt(11)
	ds_write2_b64 v5, v[36:37], v[38:39] offset0:10 offset1:11
	s_waitcnt vmcnt(10)
	ds_write2_b64 v5, v[40:41], v[42:43] offset0:12 offset1:13
	s_waitcnt vmcnt(9)
	ds_write2_b64 v5, v[44:45], v[46:47] offset0:14 offset1:15
	s_waitcnt vmcnt(8)
	ds_write2_b64 v5, v[48:49], v[50:51] offset0:16 offset1:17
	s_waitcnt vmcnt(7)
	ds_write2_b64 v5, v[52:53], v[54:55] offset0:18 offset1:19
	s_waitcnt vmcnt(6)
	ds_write2_b64 v5, v[56:57], v[58:59] offset0:20 offset1:21
	s_waitcnt vmcnt(5)
	ds_write2_b64 v5, v[60:61], v[62:63] offset0:22 offset1:23
	s_waitcnt vmcnt(4)
	ds_write2_b64 v5, v[64:65], v[66:67] offset0:24 offset1:25
	s_waitcnt vmcnt(3)
	ds_write2_b64 v5, v[68:69], v[70:71] offset0:26 offset1:27
	s_waitcnt vmcnt(2)
	ds_write2_b64 v5, v[72:73], v[74:75] offset0:28 offset1:29
	s_waitcnt vmcnt(1)
	ds_write2_b64 v5, v[76:77], v[78:79] offset0:30 offset1:31
	s_waitcnt vmcnt(0)
	ds_write2_b64 v5, v[80:81], v[82:83] offset0:32 offset1:33
	s_cbranch_scc0 .LBB122_270
; %bb.271:
	v_mov_b32_e32 v15, 10
.LBB122_272:
	s_or_b64 exec, exec, s[0:1]
	v_cmp_lt_i32_e32 vcc, 10, v15
	s_waitcnt lgkmcnt(0)
	s_barrier
	s_and_saveexec_b64 s[0:1], vcc
	s_cbranch_execz .LBB122_275
; %bb.273:
	scratch_load_dwordx4 v[16:19], off, off offset:160
	s_mov_b32 s4, 0
	s_waitcnt vmcnt(0)
	v_mul_f64 v[4:5], v[2:3], v[18:19]
	v_mul_f64 v[6:7], v[0:1], v[18:19]
	v_fma_f64 v[4:5], v[0:1], v[16:17], -v[4:5]
	v_fmac_f64_e32 v[6:7], v[2:3], v[16:17]
	v_add_u32_e32 v0, 0xb0, v12
	scratch_store_dwordx4 off, v[4:7], off offset:160
.LBB122_274:                            ; =>This Inner Loop Header: Depth=1
	s_add_i32 s12, s4, 0xb0
	s_add_i32 s13, s4, 0xc0
	;; [unrolled: 1-line block ×3, first 2 shown]
	scratch_load_dwordx4 v[16:19], off, s12
	scratch_load_dwordx4 v[20:23], off, s13
	;; [unrolled: 1-line block ×3, first 2 shown]
	v_add_u32_e32 v1, s4, v0
	ds_read2_b64 v[28:31], v1 offset1:1
	ds_read2_b64 v[32:35], v1 offset0:2 offset1:3
	ds_read2_b64 v[36:39], v1 offset0:4 offset1:5
	s_add_i32 s4, s4, 48
	s_cmpk_lg_i32 s4, 0x330
	s_waitcnt lgkmcnt(2)
	v_mul_f64 v[2:3], v[30:31], v[6:7]
	v_mul_f64 v[40:41], v[28:29], v[6:7]
	s_waitcnt lgkmcnt(1)
	v_mul_f64 v[42:43], v[34:35], v[6:7]
	v_mul_f64 v[44:45], v[32:33], v[6:7]
	;; [unrolled: 3-line block ×3, first 2 shown]
	v_fma_f64 v[2:3], v[28:29], v[4:5], -v[2:3]
	v_fmac_f64_e32 v[40:41], v[30:31], v[4:5]
	v_fma_f64 v[28:29], v[32:33], v[4:5], -v[42:43]
	v_fmac_f64_e32 v[44:45], v[34:35], v[4:5]
	;; [unrolled: 2-line block ×3, first 2 shown]
	s_waitcnt vmcnt(2)
	v_add_f64 v[16:17], v[16:17], -v[2:3]
	v_add_f64 v[18:19], v[18:19], -v[40:41]
	s_waitcnt vmcnt(1)
	v_add_f64 v[20:21], v[20:21], -v[28:29]
	v_add_f64 v[22:23], v[22:23], -v[44:45]
	;; [unrolled: 3-line block ×3, first 2 shown]
	scratch_store_dwordx4 off, v[16:19], s12
	scratch_store_dwordx4 off, v[20:23], s13
	;; [unrolled: 1-line block ×3, first 2 shown]
	s_cbranch_scc1 .LBB122_274
.LBB122_275:
	s_or_b64 exec, exec, s[0:1]
	s_barrier
	scratch_load_dwordx4 v[0:3], off, s75
	v_lshl_add_u32 v4, v15, 4, v12
	s_cmp_lt_i32 s66, 13
	s_waitcnt vmcnt(0)
	ds_write2_b64 v4, v[0:1], v[2:3] offset1:1
	s_waitcnt lgkmcnt(0)
	s_barrier
	ds_read2_b64 v[0:3], v12 offset0:22 offset1:23
	v_mov_b32_e32 v4, 11
	s_cbranch_scc1 .LBB122_278
; %bb.276:
	v_add_u32_e32 v5, 0xc0, v12
	s_mov_b32 s4, 12
	v_mov_b32_e32 v4, 11
.LBB122_277:                            ; =>This Inner Loop Header: Depth=1
	ds_read2_b64 v[16:19], v5 offset1:1
	s_waitcnt lgkmcnt(1)
	v_xor_b32_e32 v7, 0x80000000, v1
	v_xor_b32_e32 v21, 0x80000000, v3
	v_cmp_gt_f64_e32 vcc, 0, v[2:3]
	v_cmp_gt_f64_e64 s[0:1], 0, v[0:1]
	v_mov_b32_e32 v6, v0
	v_mov_b32_e32 v20, v2
	v_cndmask_b32_e64 v7, v1, v7, s[0:1]
	v_cndmask_b32_e32 v21, v3, v21, vcc
	v_add_f64 v[6:7], v[6:7], v[20:21]
	s_waitcnt lgkmcnt(0)
	v_xor_b32_e32 v21, 0x80000000, v17
	v_xor_b32_e32 v23, 0x80000000, v19
	v_cmp_gt_f64_e32 vcc, 0, v[18:19]
	v_cmp_gt_f64_e64 s[0:1], 0, v[16:17]
	v_mov_b32_e32 v20, v16
	v_mov_b32_e32 v22, v18
	v_cndmask_b32_e64 v21, v17, v21, s[0:1]
	v_cndmask_b32_e32 v23, v19, v23, vcc
	v_add_f64 v[20:21], v[20:21], v[22:23]
	v_mov_b32_e32 v24, s4
	s_add_i32 s4, s4, 1
	v_cmp_lt_f64_e32 vcc, v[6:7], v[20:21]
	v_add_u32_e32 v5, 16, v5
	s_cmp_lg_u32 s66, s4
	v_cndmask_b32_e32 v1, v1, v17, vcc
	v_cndmask_b32_e32 v0, v0, v16, vcc
	;; [unrolled: 1-line block ×5, first 2 shown]
	s_cbranch_scc1 .LBB122_277
.LBB122_278:
	s_waitcnt lgkmcnt(0)
	v_cmp_eq_f64_e32 vcc, 0, v[0:1]
	v_cmp_eq_f64_e64 s[0:1], 0, v[2:3]
	s_and_b64 s[0:1], vcc, s[0:1]
	s_and_saveexec_b64 s[4:5], s[0:1]
	s_xor_b64 s[0:1], exec, s[4:5]
; %bb.279:
	v_cmp_ne_u32_e32 vcc, 0, v13
	s_nop 1
	v_cndmask_b32_e32 v13, 12, v13, vcc
; %bb.280:
	s_andn2_saveexec_b64 s[0:1], s[0:1]
	s_cbranch_execz .LBB122_286
; %bb.281:
	v_cmp_ngt_f64_e64 s[4:5], |v[0:1]|, |v[2:3]|
	s_and_saveexec_b64 s[12:13], s[4:5]
	s_xor_b64 s[12:13], exec, s[12:13]
	s_cbranch_execz .LBB122_283
; %bb.282:
	v_div_scale_f64 v[6:7], s[4:5], v[2:3], v[2:3], v[0:1]
	v_rcp_f64_e32 v[16:17], v[6:7]
	v_div_scale_f64 v[18:19], vcc, v[0:1], v[2:3], v[0:1]
	v_fma_f64 v[20:21], -v[6:7], v[16:17], 1.0
	v_fmac_f64_e32 v[16:17], v[16:17], v[20:21]
	v_fma_f64 v[20:21], -v[6:7], v[16:17], 1.0
	v_fmac_f64_e32 v[16:17], v[16:17], v[20:21]
	v_mul_f64 v[20:21], v[18:19], v[16:17]
	v_fma_f64 v[6:7], -v[6:7], v[20:21], v[18:19]
	v_div_fmas_f64 v[6:7], v[6:7], v[16:17], v[20:21]
	v_div_fixup_f64 v[6:7], v[6:7], v[2:3], v[0:1]
	v_fmac_f64_e32 v[2:3], v[0:1], v[6:7]
	v_div_scale_f64 v[0:1], s[4:5], v[2:3], v[2:3], 1.0
	v_rcp_f64_e32 v[16:17], v[0:1]
	s_nop 0
	v_fma_f64 v[18:19], -v[0:1], v[16:17], 1.0
	v_fmac_f64_e32 v[16:17], v[16:17], v[18:19]
	v_fma_f64 v[18:19], -v[0:1], v[16:17], 1.0
	v_fmac_f64_e32 v[16:17], v[16:17], v[18:19]
	v_div_scale_f64 v[18:19], vcc, 1.0, v[2:3], 1.0
	v_mul_f64 v[20:21], v[18:19], v[16:17]
	v_fma_f64 v[0:1], -v[0:1], v[20:21], v[18:19]
	s_nop 1
	v_div_fmas_f64 v[0:1], v[0:1], v[16:17], v[20:21]
	v_div_fixup_f64 v[2:3], v[0:1], v[2:3], 1.0
	v_mul_f64 v[0:1], v[6:7], v[2:3]
	v_xor_b32_e32 v3, 0x80000000, v3
.LBB122_283:
	s_andn2_saveexec_b64 s[12:13], s[12:13]
	s_cbranch_execz .LBB122_285
; %bb.284:
	v_div_scale_f64 v[6:7], s[4:5], v[0:1], v[0:1], v[2:3]
	v_rcp_f64_e32 v[16:17], v[6:7]
	v_div_scale_f64 v[18:19], vcc, v[2:3], v[0:1], v[2:3]
	v_fma_f64 v[20:21], -v[6:7], v[16:17], 1.0
	v_fmac_f64_e32 v[16:17], v[16:17], v[20:21]
	v_fma_f64 v[20:21], -v[6:7], v[16:17], 1.0
	v_fmac_f64_e32 v[16:17], v[16:17], v[20:21]
	v_mul_f64 v[20:21], v[18:19], v[16:17]
	v_fma_f64 v[6:7], -v[6:7], v[20:21], v[18:19]
	v_div_fmas_f64 v[6:7], v[6:7], v[16:17], v[20:21]
	v_div_fixup_f64 v[6:7], v[6:7], v[0:1], v[2:3]
	v_fmac_f64_e32 v[0:1], v[2:3], v[6:7]
	v_div_scale_f64 v[2:3], s[4:5], v[0:1], v[0:1], 1.0
	v_rcp_f64_e32 v[16:17], v[2:3]
	s_nop 0
	v_fma_f64 v[18:19], -v[2:3], v[16:17], 1.0
	v_fmac_f64_e32 v[16:17], v[16:17], v[18:19]
	v_fma_f64 v[18:19], -v[2:3], v[16:17], 1.0
	v_fmac_f64_e32 v[16:17], v[16:17], v[18:19]
	v_div_scale_f64 v[18:19], vcc, 1.0, v[0:1], 1.0
	v_mul_f64 v[20:21], v[18:19], v[16:17]
	v_fma_f64 v[2:3], -v[2:3], v[20:21], v[18:19]
	s_nop 1
	v_div_fmas_f64 v[2:3], v[2:3], v[16:17], v[20:21]
	v_div_fixup_f64 v[0:1], v[2:3], v[0:1], 1.0
	v_mul_f64 v[2:3], v[6:7], -v[0:1]
.LBB122_285:
	s_or_b64 exec, exec, s[12:13]
.LBB122_286:
	s_or_b64 exec, exec, s[0:1]
	v_cmp_ne_u32_e32 vcc, v15, v4
	s_and_saveexec_b64 s[0:1], vcc
	s_xor_b64 s[0:1], exec, s[0:1]
	s_cbranch_execz .LBB122_292
; %bb.287:
	v_cmp_eq_u32_e32 vcc, 11, v15
	s_and_saveexec_b64 s[12:13], vcc
	s_cbranch_execz .LBB122_291
; %bb.288:
	v_cmp_ne_u32_e32 vcc, 11, v4
	s_xor_b64 s[4:5], s[18:19], -1
	s_and_b64 s[4:5], s[4:5], vcc
	s_and_saveexec_b64 s[14:15], s[4:5]
	s_cbranch_execz .LBB122_290
; %bb.289:
	v_ashrrev_i32_e32 v5, 31, v4
	v_lshl_add_u64 v[6:7], v[4:5], 2, v[10:11]
	global_load_dword v5, v[6:7], off
	global_load_dword v14, v[10:11], off offset:44
	s_waitcnt vmcnt(1)
	global_store_dword v[10:11], v5, off offset:44
	s_waitcnt vmcnt(1)
	global_store_dword v[6:7], v14, off
.LBB122_290:
	s_or_b64 exec, exec, s[14:15]
	v_mov_b32_e32 v15, v4
	v_mov_b32_e32 v14, v4
.LBB122_291:
	s_or_b64 exec, exec, s[12:13]
.LBB122_292:
	s_andn2_saveexec_b64 s[0:1], s[0:1]
	s_cbranch_execz .LBB122_296
; %bb.293:
	s_mov_b32 s4, 0
	v_add_u32_e32 v4, 0xc0, v12
.LBB122_294:                            ; =>This Inner Loop Header: Depth=1
	s_add_i32 s12, s4, 0xc0
	s_add_i32 s13, s4, 0xd0
	s_add_i32 s14, s4, 0xe0
	s_add_i32 s15, s4, 0xf0
	s_add_i32 s16, s4, 0x100
	s_add_i32 s67, s4, 0x110
	s_add_i32 s68, s4, 0x120
	s_add_i32 s69, s4, 0x130
	s_add_i32 s70, s4, 0x140
	s_add_i32 s5, s4, 0x150
	scratch_load_dwordx4 v[16:19], off, s12
	scratch_load_dwordx4 v[20:23], off, s13
	;; [unrolled: 1-line block ×10, first 2 shown]
	v_add_u32_e32 v5, s4, v4
	s_addk_i32 s4, 0xa0
	s_cmpk_eq_i32 s4, 0x320
	s_waitcnt vmcnt(9)
	ds_write2_b64 v5, v[16:17], v[18:19] offset1:1
	s_waitcnt vmcnt(8)
	ds_write2_b64 v5, v[20:21], v[22:23] offset0:2 offset1:3
	s_waitcnt vmcnt(7)
	ds_write2_b64 v5, v[24:25], v[26:27] offset0:4 offset1:5
	;; [unrolled: 2-line block ×9, first 2 shown]
	s_cbranch_scc0 .LBB122_294
; %bb.295:
	v_mov_b32_e32 v15, 11
.LBB122_296:
	s_or_b64 exec, exec, s[0:1]
	v_cmp_lt_i32_e32 vcc, 11, v15
	s_waitcnt lgkmcnt(0)
	s_barrier
	s_and_saveexec_b64 s[0:1], vcc
	s_cbranch_execz .LBB122_299
; %bb.297:
	scratch_load_dwordx4 v[16:19], off, off offset:176
	s_mov_b32 s4, 0
	s_waitcnt vmcnt(0)
	v_mul_f64 v[4:5], v[2:3], v[18:19]
	v_mul_f64 v[6:7], v[0:1], v[18:19]
	v_fma_f64 v[4:5], v[0:1], v[16:17], -v[4:5]
	v_fmac_f64_e32 v[6:7], v[2:3], v[16:17]
	v_add_u32_e32 v0, 0xc0, v12
	scratch_store_dwordx4 off, v[4:7], off offset:176
.LBB122_298:                            ; =>This Inner Loop Header: Depth=1
	s_add_i32 s12, s4, 0xc0
	s_add_i32 s13, s4, 0xd0
	;; [unrolled: 1-line block ×5, first 2 shown]
	scratch_load_dwordx4 v[16:19], off, s12
	scratch_load_dwordx4 v[20:23], off, s13
	;; [unrolled: 1-line block ×5, first 2 shown]
	v_add_u32_e32 v1, s4, v0
	ds_read2_b64 v[36:39], v1 offset1:1
	ds_read2_b64 v[40:43], v1 offset0:2 offset1:3
	ds_read2_b64 v[44:47], v1 offset0:4 offset1:5
	;; [unrolled: 1-line block ×4, first 2 shown]
	s_waitcnt lgkmcnt(4)
	v_mul_f64 v[2:3], v[38:39], v[6:7]
	v_mul_f64 v[56:57], v[36:37], v[6:7]
	s_addk_i32 s4, 0x50
	s_waitcnt lgkmcnt(3)
	v_mul_f64 v[58:59], v[42:43], v[6:7]
	v_mul_f64 v[60:61], v[40:41], v[6:7]
	s_waitcnt lgkmcnt(2)
	v_mul_f64 v[62:63], v[46:47], v[6:7]
	v_mul_f64 v[64:65], v[44:45], v[6:7]
	;; [unrolled: 3-line block ×4, first 2 shown]
	v_fma_f64 v[2:3], v[36:37], v[4:5], -v[2:3]
	v_fmac_f64_e32 v[56:57], v[38:39], v[4:5]
	s_cmpk_lg_i32 s4, 0x320
	v_fma_f64 v[36:37], v[40:41], v[4:5], -v[58:59]
	v_fmac_f64_e32 v[60:61], v[42:43], v[4:5]
	v_fma_f64 v[38:39], v[44:45], v[4:5], -v[62:63]
	v_fmac_f64_e32 v[64:65], v[46:47], v[4:5]
	;; [unrolled: 2-line block ×4, first 2 shown]
	s_waitcnt vmcnt(4)
	v_add_f64 v[16:17], v[16:17], -v[2:3]
	v_add_f64 v[18:19], v[18:19], -v[56:57]
	s_waitcnt vmcnt(3)
	v_add_f64 v[20:21], v[20:21], -v[36:37]
	v_add_f64 v[22:23], v[22:23], -v[60:61]
	;; [unrolled: 3-line block ×5, first 2 shown]
	scratch_store_dwordx4 off, v[16:19], s12
	scratch_store_dwordx4 off, v[20:23], s13
	;; [unrolled: 1-line block ×5, first 2 shown]
	s_cbranch_scc1 .LBB122_298
.LBB122_299:
	s_or_b64 exec, exec, s[0:1]
	s_barrier
	scratch_load_dwordx4 v[0:3], off, s91
	v_lshl_add_u32 v4, v15, 4, v12
	s_cmp_lt_i32 s66, 14
	s_waitcnt vmcnt(0)
	ds_write2_b64 v4, v[0:1], v[2:3] offset1:1
	s_waitcnt lgkmcnt(0)
	s_barrier
	ds_read2_b64 v[0:3], v12 offset0:24 offset1:25
	v_mov_b32_e32 v4, 12
	s_cbranch_scc1 .LBB122_302
; %bb.300:
	v_add_u32_e32 v5, 0xd0, v12
	s_mov_b32 s4, 13
	v_mov_b32_e32 v4, 12
.LBB122_301:                            ; =>This Inner Loop Header: Depth=1
	ds_read2_b64 v[16:19], v5 offset1:1
	s_waitcnt lgkmcnt(1)
	v_xor_b32_e32 v7, 0x80000000, v1
	v_xor_b32_e32 v21, 0x80000000, v3
	v_cmp_gt_f64_e32 vcc, 0, v[2:3]
	v_cmp_gt_f64_e64 s[0:1], 0, v[0:1]
	v_mov_b32_e32 v6, v0
	v_mov_b32_e32 v20, v2
	v_cndmask_b32_e64 v7, v1, v7, s[0:1]
	v_cndmask_b32_e32 v21, v3, v21, vcc
	v_add_f64 v[6:7], v[6:7], v[20:21]
	s_waitcnt lgkmcnt(0)
	v_xor_b32_e32 v21, 0x80000000, v17
	v_xor_b32_e32 v23, 0x80000000, v19
	v_cmp_gt_f64_e32 vcc, 0, v[18:19]
	v_cmp_gt_f64_e64 s[0:1], 0, v[16:17]
	v_mov_b32_e32 v20, v16
	v_mov_b32_e32 v22, v18
	v_cndmask_b32_e64 v21, v17, v21, s[0:1]
	v_cndmask_b32_e32 v23, v19, v23, vcc
	v_add_f64 v[20:21], v[20:21], v[22:23]
	v_mov_b32_e32 v24, s4
	s_add_i32 s4, s4, 1
	v_cmp_lt_f64_e32 vcc, v[6:7], v[20:21]
	v_add_u32_e32 v5, 16, v5
	s_cmp_lg_u32 s66, s4
	v_cndmask_b32_e32 v1, v1, v17, vcc
	v_cndmask_b32_e32 v0, v0, v16, vcc
	;; [unrolled: 1-line block ×5, first 2 shown]
	s_cbranch_scc1 .LBB122_301
.LBB122_302:
	s_waitcnt lgkmcnt(0)
	v_cmp_eq_f64_e32 vcc, 0, v[0:1]
	v_cmp_eq_f64_e64 s[0:1], 0, v[2:3]
	s_and_b64 s[0:1], vcc, s[0:1]
	s_and_saveexec_b64 s[4:5], s[0:1]
	s_xor_b64 s[0:1], exec, s[4:5]
; %bb.303:
	v_cmp_ne_u32_e32 vcc, 0, v13
	s_nop 1
	v_cndmask_b32_e32 v13, 13, v13, vcc
; %bb.304:
	s_andn2_saveexec_b64 s[0:1], s[0:1]
	s_cbranch_execz .LBB122_310
; %bb.305:
	v_cmp_ngt_f64_e64 s[4:5], |v[0:1]|, |v[2:3]|
	s_and_saveexec_b64 s[12:13], s[4:5]
	s_xor_b64 s[12:13], exec, s[12:13]
	s_cbranch_execz .LBB122_307
; %bb.306:
	v_div_scale_f64 v[6:7], s[4:5], v[2:3], v[2:3], v[0:1]
	v_rcp_f64_e32 v[16:17], v[6:7]
	v_div_scale_f64 v[18:19], vcc, v[0:1], v[2:3], v[0:1]
	v_fma_f64 v[20:21], -v[6:7], v[16:17], 1.0
	v_fmac_f64_e32 v[16:17], v[16:17], v[20:21]
	v_fma_f64 v[20:21], -v[6:7], v[16:17], 1.0
	v_fmac_f64_e32 v[16:17], v[16:17], v[20:21]
	v_mul_f64 v[20:21], v[18:19], v[16:17]
	v_fma_f64 v[6:7], -v[6:7], v[20:21], v[18:19]
	v_div_fmas_f64 v[6:7], v[6:7], v[16:17], v[20:21]
	v_div_fixup_f64 v[6:7], v[6:7], v[2:3], v[0:1]
	v_fmac_f64_e32 v[2:3], v[0:1], v[6:7]
	v_div_scale_f64 v[0:1], s[4:5], v[2:3], v[2:3], 1.0
	v_rcp_f64_e32 v[16:17], v[0:1]
	s_nop 0
	v_fma_f64 v[18:19], -v[0:1], v[16:17], 1.0
	v_fmac_f64_e32 v[16:17], v[16:17], v[18:19]
	v_fma_f64 v[18:19], -v[0:1], v[16:17], 1.0
	v_fmac_f64_e32 v[16:17], v[16:17], v[18:19]
	v_div_scale_f64 v[18:19], vcc, 1.0, v[2:3], 1.0
	v_mul_f64 v[20:21], v[18:19], v[16:17]
	v_fma_f64 v[0:1], -v[0:1], v[20:21], v[18:19]
	s_nop 1
	v_div_fmas_f64 v[0:1], v[0:1], v[16:17], v[20:21]
	v_div_fixup_f64 v[2:3], v[0:1], v[2:3], 1.0
	v_mul_f64 v[0:1], v[6:7], v[2:3]
	v_xor_b32_e32 v3, 0x80000000, v3
.LBB122_307:
	s_andn2_saveexec_b64 s[12:13], s[12:13]
	s_cbranch_execz .LBB122_309
; %bb.308:
	v_div_scale_f64 v[6:7], s[4:5], v[0:1], v[0:1], v[2:3]
	v_rcp_f64_e32 v[16:17], v[6:7]
	v_div_scale_f64 v[18:19], vcc, v[2:3], v[0:1], v[2:3]
	v_fma_f64 v[20:21], -v[6:7], v[16:17], 1.0
	v_fmac_f64_e32 v[16:17], v[16:17], v[20:21]
	v_fma_f64 v[20:21], -v[6:7], v[16:17], 1.0
	v_fmac_f64_e32 v[16:17], v[16:17], v[20:21]
	v_mul_f64 v[20:21], v[18:19], v[16:17]
	v_fma_f64 v[6:7], -v[6:7], v[20:21], v[18:19]
	v_div_fmas_f64 v[6:7], v[6:7], v[16:17], v[20:21]
	v_div_fixup_f64 v[6:7], v[6:7], v[0:1], v[2:3]
	v_fmac_f64_e32 v[0:1], v[2:3], v[6:7]
	v_div_scale_f64 v[2:3], s[4:5], v[0:1], v[0:1], 1.0
	v_rcp_f64_e32 v[16:17], v[2:3]
	s_nop 0
	v_fma_f64 v[18:19], -v[2:3], v[16:17], 1.0
	v_fmac_f64_e32 v[16:17], v[16:17], v[18:19]
	v_fma_f64 v[18:19], -v[2:3], v[16:17], 1.0
	v_fmac_f64_e32 v[16:17], v[16:17], v[18:19]
	v_div_scale_f64 v[18:19], vcc, 1.0, v[0:1], 1.0
	v_mul_f64 v[20:21], v[18:19], v[16:17]
	v_fma_f64 v[2:3], -v[2:3], v[20:21], v[18:19]
	s_nop 1
	v_div_fmas_f64 v[2:3], v[2:3], v[16:17], v[20:21]
	v_div_fixup_f64 v[0:1], v[2:3], v[0:1], 1.0
	v_mul_f64 v[2:3], v[6:7], -v[0:1]
.LBB122_309:
	s_or_b64 exec, exec, s[12:13]
.LBB122_310:
	s_or_b64 exec, exec, s[0:1]
	v_cmp_ne_u32_e32 vcc, v15, v4
	s_and_saveexec_b64 s[0:1], vcc
	s_xor_b64 s[0:1], exec, s[0:1]
	s_cbranch_execz .LBB122_316
; %bb.311:
	v_cmp_eq_u32_e32 vcc, 12, v15
	s_and_saveexec_b64 s[12:13], vcc
	s_cbranch_execz .LBB122_315
; %bb.312:
	v_cmp_ne_u32_e32 vcc, 12, v4
	s_xor_b64 s[4:5], s[18:19], -1
	s_and_b64 s[4:5], s[4:5], vcc
	s_and_saveexec_b64 s[14:15], s[4:5]
	s_cbranch_execz .LBB122_314
; %bb.313:
	v_ashrrev_i32_e32 v5, 31, v4
	v_lshl_add_u64 v[6:7], v[4:5], 2, v[10:11]
	global_load_dword v5, v[6:7], off
	global_load_dword v14, v[10:11], off offset:48
	s_waitcnt vmcnt(1)
	global_store_dword v[10:11], v5, off offset:48
	s_waitcnt vmcnt(1)
	global_store_dword v[6:7], v14, off
.LBB122_314:
	s_or_b64 exec, exec, s[14:15]
	v_mov_b32_e32 v15, v4
	v_mov_b32_e32 v14, v4
.LBB122_315:
	s_or_b64 exec, exec, s[12:13]
.LBB122_316:
	s_andn2_saveexec_b64 s[0:1], s[0:1]
	s_cbranch_execz .LBB122_320
; %bb.317:
	s_mov_b32 s4, 0
	v_add_u32_e32 v4, 0xd0, v12
.LBB122_318:                            ; =>This Inner Loop Header: Depth=1
	s_add_i32 s12, s4, 0xd0
	s_add_i32 s13, s4, 0xe0
	;; [unrolled: 1-line block ×7, first 2 shown]
	scratch_load_dwordx4 v[16:19], off, s12
	scratch_load_dwordx4 v[20:23], off, s13
	;; [unrolled: 1-line block ×7, first 2 shown]
	v_add_u32_e32 v5, s4, v4
	s_addk_i32 s4, 0x70
	s_cmpk_eq_i32 s4, 0x310
	s_waitcnt vmcnt(6)
	ds_write2_b64 v5, v[16:17], v[18:19] offset1:1
	s_waitcnt vmcnt(5)
	ds_write2_b64 v5, v[20:21], v[22:23] offset0:2 offset1:3
	s_waitcnt vmcnt(4)
	ds_write2_b64 v5, v[24:25], v[26:27] offset0:4 offset1:5
	;; [unrolled: 2-line block ×6, first 2 shown]
	s_cbranch_scc0 .LBB122_318
; %bb.319:
	v_mov_b32_e32 v15, 12
.LBB122_320:
	s_or_b64 exec, exec, s[0:1]
	v_cmp_lt_i32_e32 vcc, 12, v15
	s_waitcnt lgkmcnt(0)
	s_barrier
	s_and_saveexec_b64 s[0:1], vcc
	s_cbranch_execz .LBB122_323
; %bb.321:
	scratch_load_dwordx4 v[16:19], off, off offset:192
	s_mov_b32 s12, 0
	s_waitcnt vmcnt(0)
	v_mul_f64 v[4:5], v[2:3], v[18:19]
	v_mul_f64 v[6:7], v[0:1], v[18:19]
	v_fma_f64 v[4:5], v[0:1], v[16:17], -v[4:5]
	v_fmac_f64_e32 v[6:7], v[2:3], v[16:17]
	v_add_u32_e32 v0, 0xd0, v12
	scratch_store_dwordx4 off, v[4:7], off offset:192
.LBB122_322:                            ; =>This Inner Loop Header: Depth=1
	v_add_u32_e32 v1, s12, v0
	ds_read2_b64 v[16:19], v1 offset1:1
	ds_read2_b64 v[20:23], v1 offset0:2 offset1:3
	ds_read2_b64 v[24:27], v1 offset0:4 offset1:5
	;; [unrolled: 1-line block ×5, first 2 shown]
	s_add_i32 s13, s12, 0xd0
	s_add_i32 s5, s12, 0xe0
	;; [unrolled: 1-line block ×6, first 2 shown]
	scratch_load_dwordx4 v[40:43], off, s13
	scratch_load_dwordx4 v[44:47], off, s5
	;; [unrolled: 1-line block ×6, first 2 shown]
	s_waitcnt lgkmcnt(5)
	v_mul_f64 v[2:3], v[18:19], v[6:7]
	v_mul_f64 v[64:65], v[16:17], v[6:7]
	s_waitcnt lgkmcnt(4)
	v_mul_f64 v[66:67], v[22:23], v[6:7]
	v_mul_f64 v[68:69], v[20:21], v[6:7]
	;; [unrolled: 3-line block ×6, first 2 shown]
	s_add_i32 s4, s12, 0x130
	v_fma_f64 v[2:3], v[16:17], v[4:5], -v[2:3]
	v_fmac_f64_e32 v[64:65], v[18:19], v[4:5]
	v_fma_f64 v[66:67], v[20:21], v[4:5], -v[66:67]
	v_fmac_f64_e32 v[68:69], v[22:23], v[4:5]
	;; [unrolled: 2-line block ×6, first 2 shown]
	scratch_load_dwordx4 v[4:7], off, off offset:192
	scratch_load_dwordx4 v[16:19], off, s4
	ds_read2_b64 v[20:23], v1 offset0:12 offset1:13
	s_addk_i32 s12, 0x70
	s_cmpk_lg_i32 s12, 0x310
	s_waitcnt vmcnt(7)
	v_add_f64 v[24:25], v[40:41], -v[2:3]
	v_add_f64 v[26:27], v[42:43], -v[64:65]
	s_waitcnt vmcnt(6)
	v_add_f64 v[28:29], v[44:45], -v[66:67]
	v_add_f64 v[30:31], v[46:47], -v[68:69]
	;; [unrolled: 3-line block ×6, first 2 shown]
	scratch_store_dwordx4 off, v[24:27], s13
	scratch_store_dwordx4 off, v[28:31], s5
	;; [unrolled: 1-line block ×6, first 2 shown]
	s_waitcnt vmcnt(7) lgkmcnt(0)
	v_mul_f64 v[2:3], v[22:23], v[6:7]
	v_mul_f64 v[24:25], v[20:21], v[6:7]
	v_fma_f64 v[2:3], v[20:21], v[4:5], -v[2:3]
	v_fmac_f64_e32 v[24:25], v[22:23], v[4:5]
	s_waitcnt vmcnt(6)
	v_add_f64 v[16:17], v[16:17], -v[2:3]
	v_add_f64 v[18:19], v[18:19], -v[24:25]
	scratch_store_dwordx4 off, v[16:19], s4
	s_cbranch_scc1 .LBB122_322
.LBB122_323:
	s_or_b64 exec, exec, s[0:1]
	s_barrier
	scratch_load_dwordx4 v[0:3], off, s90
	v_lshl_add_u32 v4, v15, 4, v12
	s_cmp_lt_i32 s66, 15
	s_waitcnt vmcnt(0)
	ds_write2_b64 v4, v[0:1], v[2:3] offset1:1
	s_waitcnt lgkmcnt(0)
	s_barrier
	ds_read2_b64 v[0:3], v12 offset0:26 offset1:27
	v_mov_b32_e32 v4, 13
	s_cbranch_scc1 .LBB122_326
; %bb.324:
	v_add_u32_e32 v5, 0xe0, v12
	s_mov_b32 s4, 14
	v_mov_b32_e32 v4, 13
.LBB122_325:                            ; =>This Inner Loop Header: Depth=1
	ds_read2_b64 v[16:19], v5 offset1:1
	s_waitcnt lgkmcnt(1)
	v_xor_b32_e32 v7, 0x80000000, v1
	v_xor_b32_e32 v21, 0x80000000, v3
	v_cmp_gt_f64_e32 vcc, 0, v[2:3]
	v_cmp_gt_f64_e64 s[0:1], 0, v[0:1]
	v_mov_b32_e32 v6, v0
	v_mov_b32_e32 v20, v2
	v_cndmask_b32_e64 v7, v1, v7, s[0:1]
	v_cndmask_b32_e32 v21, v3, v21, vcc
	v_add_f64 v[6:7], v[6:7], v[20:21]
	s_waitcnt lgkmcnt(0)
	v_xor_b32_e32 v21, 0x80000000, v17
	v_xor_b32_e32 v23, 0x80000000, v19
	v_cmp_gt_f64_e32 vcc, 0, v[18:19]
	v_cmp_gt_f64_e64 s[0:1], 0, v[16:17]
	v_mov_b32_e32 v20, v16
	v_mov_b32_e32 v22, v18
	v_cndmask_b32_e64 v21, v17, v21, s[0:1]
	v_cndmask_b32_e32 v23, v19, v23, vcc
	v_add_f64 v[20:21], v[20:21], v[22:23]
	v_mov_b32_e32 v24, s4
	s_add_i32 s4, s4, 1
	v_cmp_lt_f64_e32 vcc, v[6:7], v[20:21]
	v_add_u32_e32 v5, 16, v5
	s_cmp_lg_u32 s66, s4
	v_cndmask_b32_e32 v1, v1, v17, vcc
	v_cndmask_b32_e32 v0, v0, v16, vcc
	;; [unrolled: 1-line block ×5, first 2 shown]
	s_cbranch_scc1 .LBB122_325
.LBB122_326:
	s_waitcnt lgkmcnt(0)
	v_cmp_eq_f64_e32 vcc, 0, v[0:1]
	v_cmp_eq_f64_e64 s[0:1], 0, v[2:3]
	s_and_b64 s[0:1], vcc, s[0:1]
	s_and_saveexec_b64 s[4:5], s[0:1]
	s_xor_b64 s[0:1], exec, s[4:5]
; %bb.327:
	v_cmp_ne_u32_e32 vcc, 0, v13
	s_nop 1
	v_cndmask_b32_e32 v13, 14, v13, vcc
; %bb.328:
	s_andn2_saveexec_b64 s[0:1], s[0:1]
	s_cbranch_execz .LBB122_334
; %bb.329:
	v_cmp_ngt_f64_e64 s[4:5], |v[0:1]|, |v[2:3]|
	s_and_saveexec_b64 s[12:13], s[4:5]
	s_xor_b64 s[12:13], exec, s[12:13]
	s_cbranch_execz .LBB122_331
; %bb.330:
	v_div_scale_f64 v[6:7], s[4:5], v[2:3], v[2:3], v[0:1]
	v_rcp_f64_e32 v[16:17], v[6:7]
	v_div_scale_f64 v[18:19], vcc, v[0:1], v[2:3], v[0:1]
	v_fma_f64 v[20:21], -v[6:7], v[16:17], 1.0
	v_fmac_f64_e32 v[16:17], v[16:17], v[20:21]
	v_fma_f64 v[20:21], -v[6:7], v[16:17], 1.0
	v_fmac_f64_e32 v[16:17], v[16:17], v[20:21]
	v_mul_f64 v[20:21], v[18:19], v[16:17]
	v_fma_f64 v[6:7], -v[6:7], v[20:21], v[18:19]
	v_div_fmas_f64 v[6:7], v[6:7], v[16:17], v[20:21]
	v_div_fixup_f64 v[6:7], v[6:7], v[2:3], v[0:1]
	v_fmac_f64_e32 v[2:3], v[0:1], v[6:7]
	v_div_scale_f64 v[0:1], s[4:5], v[2:3], v[2:3], 1.0
	v_rcp_f64_e32 v[16:17], v[0:1]
	s_nop 0
	v_fma_f64 v[18:19], -v[0:1], v[16:17], 1.0
	v_fmac_f64_e32 v[16:17], v[16:17], v[18:19]
	v_fma_f64 v[18:19], -v[0:1], v[16:17], 1.0
	v_fmac_f64_e32 v[16:17], v[16:17], v[18:19]
	v_div_scale_f64 v[18:19], vcc, 1.0, v[2:3], 1.0
	v_mul_f64 v[20:21], v[18:19], v[16:17]
	v_fma_f64 v[0:1], -v[0:1], v[20:21], v[18:19]
	s_nop 1
	v_div_fmas_f64 v[0:1], v[0:1], v[16:17], v[20:21]
	v_div_fixup_f64 v[2:3], v[0:1], v[2:3], 1.0
	v_mul_f64 v[0:1], v[6:7], v[2:3]
	v_xor_b32_e32 v3, 0x80000000, v3
.LBB122_331:
	s_andn2_saveexec_b64 s[12:13], s[12:13]
	s_cbranch_execz .LBB122_333
; %bb.332:
	v_div_scale_f64 v[6:7], s[4:5], v[0:1], v[0:1], v[2:3]
	v_rcp_f64_e32 v[16:17], v[6:7]
	v_div_scale_f64 v[18:19], vcc, v[2:3], v[0:1], v[2:3]
	v_fma_f64 v[20:21], -v[6:7], v[16:17], 1.0
	v_fmac_f64_e32 v[16:17], v[16:17], v[20:21]
	v_fma_f64 v[20:21], -v[6:7], v[16:17], 1.0
	v_fmac_f64_e32 v[16:17], v[16:17], v[20:21]
	v_mul_f64 v[20:21], v[18:19], v[16:17]
	v_fma_f64 v[6:7], -v[6:7], v[20:21], v[18:19]
	v_div_fmas_f64 v[6:7], v[6:7], v[16:17], v[20:21]
	v_div_fixup_f64 v[6:7], v[6:7], v[0:1], v[2:3]
	v_fmac_f64_e32 v[0:1], v[2:3], v[6:7]
	v_div_scale_f64 v[2:3], s[4:5], v[0:1], v[0:1], 1.0
	v_rcp_f64_e32 v[16:17], v[2:3]
	s_nop 0
	v_fma_f64 v[18:19], -v[2:3], v[16:17], 1.0
	v_fmac_f64_e32 v[16:17], v[16:17], v[18:19]
	v_fma_f64 v[18:19], -v[2:3], v[16:17], 1.0
	v_fmac_f64_e32 v[16:17], v[16:17], v[18:19]
	v_div_scale_f64 v[18:19], vcc, 1.0, v[0:1], 1.0
	v_mul_f64 v[20:21], v[18:19], v[16:17]
	v_fma_f64 v[2:3], -v[2:3], v[20:21], v[18:19]
	s_nop 1
	v_div_fmas_f64 v[2:3], v[2:3], v[16:17], v[20:21]
	v_div_fixup_f64 v[0:1], v[2:3], v[0:1], 1.0
	v_mul_f64 v[2:3], v[6:7], -v[0:1]
.LBB122_333:
	s_or_b64 exec, exec, s[12:13]
.LBB122_334:
	s_or_b64 exec, exec, s[0:1]
	v_cmp_ne_u32_e32 vcc, v15, v4
	s_and_saveexec_b64 s[0:1], vcc
	s_xor_b64 s[0:1], exec, s[0:1]
	s_cbranch_execz .LBB122_340
; %bb.335:
	v_cmp_eq_u32_e32 vcc, 13, v15
	s_and_saveexec_b64 s[12:13], vcc
	s_cbranch_execz .LBB122_339
; %bb.336:
	v_cmp_ne_u32_e32 vcc, 13, v4
	s_xor_b64 s[4:5], s[18:19], -1
	s_and_b64 s[4:5], s[4:5], vcc
	s_and_saveexec_b64 s[14:15], s[4:5]
	s_cbranch_execz .LBB122_338
; %bb.337:
	v_ashrrev_i32_e32 v5, 31, v4
	v_lshl_add_u64 v[6:7], v[4:5], 2, v[10:11]
	global_load_dword v5, v[6:7], off
	global_load_dword v14, v[10:11], off offset:52
	s_waitcnt vmcnt(1)
	global_store_dword v[10:11], v5, off offset:52
	s_waitcnt vmcnt(1)
	global_store_dword v[6:7], v14, off
.LBB122_338:
	s_or_b64 exec, exec, s[14:15]
	v_mov_b32_e32 v15, v4
	v_mov_b32_e32 v14, v4
.LBB122_339:
	s_or_b64 exec, exec, s[12:13]
.LBB122_340:
	s_andn2_saveexec_b64 s[0:1], s[0:1]
	s_cbranch_execz .LBB122_344
; %bb.341:
	s_mov_b32 s4, 0
	v_add_u32_e32 v4, 0xe0, v12
.LBB122_342:                            ; =>This Inner Loop Header: Depth=1
	s_add_i32 s12, s4, 0xe0
	s_add_i32 s13, s4, 0xf0
	;; [unrolled: 1-line block ×16, first 2 shown]
	scratch_load_dwordx4 v[16:19], off, s12
	scratch_load_dwordx4 v[20:23], off, s13
	;; [unrolled: 1-line block ×16, first 2 shown]
	v_add_u32_e32 v5, s4, v4
	s_addk_i32 s4, 0x100
	s_cmpk_eq_i32 s4, 0x300
	s_waitcnt vmcnt(15)
	ds_write2_b64 v5, v[16:17], v[18:19] offset1:1
	s_waitcnt vmcnt(14)
	ds_write2_b64 v5, v[20:21], v[22:23] offset0:2 offset1:3
	s_waitcnt vmcnt(13)
	ds_write2_b64 v5, v[24:25], v[26:27] offset0:4 offset1:5
	;; [unrolled: 2-line block ×15, first 2 shown]
	s_cbranch_scc0 .LBB122_342
; %bb.343:
	v_mov_b32_e32 v15, 13
.LBB122_344:
	s_or_b64 exec, exec, s[0:1]
	v_cmp_lt_i32_e32 vcc, 13, v15
	s_waitcnt lgkmcnt(0)
	s_barrier
	s_and_saveexec_b64 s[0:1], vcc
	s_cbranch_execz .LBB122_347
; %bb.345:
	scratch_load_dwordx4 v[16:19], off, off offset:208
	s_mov_b32 s12, 0
	s_waitcnt vmcnt(0)
	v_mul_f64 v[4:5], v[2:3], v[18:19]
	v_mul_f64 v[6:7], v[0:1], v[18:19]
	v_fma_f64 v[4:5], v[0:1], v[16:17], -v[4:5]
	v_fmac_f64_e32 v[6:7], v[2:3], v[16:17]
	v_add_u32_e32 v0, 0xe0, v12
	scratch_store_dwordx4 off, v[4:7], off offset:208
.LBB122_346:                            ; =>This Inner Loop Header: Depth=1
	v_add_u32_e32 v1, s12, v0
	ds_read2_b64 v[16:19], v1 offset1:1
	ds_read2_b64 v[20:23], v1 offset0:2 offset1:3
	ds_read2_b64 v[24:27], v1 offset0:4 offset1:5
	;; [unrolled: 1-line block ×5, first 2 shown]
	s_add_i32 s13, s12, 0xe0
	s_waitcnt lgkmcnt(5)
	v_mul_f64 v[2:3], v[18:19], v[6:7]
	v_mul_f64 v[68:69], v[16:17], v[6:7]
	s_waitcnt lgkmcnt(4)
	v_mul_f64 v[70:71], v[22:23], v[6:7]
	v_mul_f64 v[72:73], v[20:21], v[6:7]
	;; [unrolled: 3-line block ×6, first 2 shown]
	s_add_i32 s14, s12, 0xf0
	s_add_i32 s5, s12, 0x100
	;; [unrolled: 1-line block ×7, first 2 shown]
	scratch_load_dwordx4 v[40:43], off, s13
	scratch_load_dwordx4 v[44:47], off, s14
	;; [unrolled: 1-line block ×7, first 2 shown]
	v_fma_f64 v[2:3], v[16:17], v[4:5], -v[2:3]
	v_fmac_f64_e32 v[68:69], v[18:19], v[4:5]
	v_fma_f64 v[70:71], v[20:21], v[4:5], -v[70:71]
	v_fmac_f64_e32 v[72:73], v[22:23], v[4:5]
	;; [unrolled: 2-line block ×6, first 2 shown]
	scratch_load_dwordx4 v[4:7], off, off offset:208
	scratch_load_dwordx4 v[16:19], off, s4
	ds_read2_b64 v[20:23], v1 offset0:12 offset1:13
	ds_read2_b64 v[24:27], v1 offset0:14 offset1:15
	s_addk_i32 s12, 0x80
	s_cmpk_lg_i32 s12, 0x300
	s_waitcnt vmcnt(8)
	v_add_f64 v[28:29], v[40:41], -v[2:3]
	v_add_f64 v[30:31], v[42:43], -v[68:69]
	s_waitcnt vmcnt(7)
	v_add_f64 v[32:33], v[44:45], -v[70:71]
	v_add_f64 v[34:35], v[46:47], -v[72:73]
	;; [unrolled: 3-line block ×6, first 2 shown]
	scratch_store_dwordx4 off, v[28:31], s13
	scratch_store_dwordx4 off, v[32:35], s14
	;; [unrolled: 1-line block ×6, first 2 shown]
	s_waitcnt vmcnt(7) lgkmcnt(1)
	v_mul_f64 v[2:3], v[22:23], v[6:7]
	v_mul_f64 v[28:29], v[20:21], v[6:7]
	s_waitcnt lgkmcnt(0)
	v_mul_f64 v[30:31], v[26:27], v[6:7]
	v_mul_f64 v[32:33], v[24:25], v[6:7]
	v_fma_f64 v[2:3], v[20:21], v[4:5], -v[2:3]
	v_fmac_f64_e32 v[28:29], v[22:23], v[4:5]
	v_fma_f64 v[24:25], v[24:25], v[4:5], -v[30:31]
	v_fmac_f64_e32 v[32:33], v[26:27], v[4:5]
	v_add_f64 v[20:21], v[64:65], -v[2:3]
	v_add_f64 v[22:23], v[66:67], -v[28:29]
	s_waitcnt vmcnt(6)
	v_add_f64 v[16:17], v[16:17], -v[24:25]
	v_add_f64 v[18:19], v[18:19], -v[32:33]
	scratch_store_dwordx4 off, v[20:23], s68
	scratch_store_dwordx4 off, v[16:19], s4
	s_cbranch_scc1 .LBB122_346
.LBB122_347:
	s_or_b64 exec, exec, s[0:1]
	s_barrier
	scratch_load_dwordx4 v[0:3], off, s89
	v_lshl_add_u32 v4, v15, 4, v12
	s_cmp_lt_i32 s66, 16
	s_waitcnt vmcnt(0)
	ds_write2_b64 v4, v[0:1], v[2:3] offset1:1
	s_waitcnt lgkmcnt(0)
	s_barrier
	ds_read2_b64 v[0:3], v12 offset0:28 offset1:29
	v_mov_b32_e32 v4, 14
	s_cbranch_scc1 .LBB122_350
; %bb.348:
	v_add_u32_e32 v5, 0xf0, v12
	s_mov_b32 s4, 15
	v_mov_b32_e32 v4, 14
.LBB122_349:                            ; =>This Inner Loop Header: Depth=1
	ds_read2_b64 v[16:19], v5 offset1:1
	s_waitcnt lgkmcnt(1)
	v_xor_b32_e32 v7, 0x80000000, v1
	v_xor_b32_e32 v21, 0x80000000, v3
	v_cmp_gt_f64_e32 vcc, 0, v[2:3]
	v_cmp_gt_f64_e64 s[0:1], 0, v[0:1]
	v_mov_b32_e32 v6, v0
	v_mov_b32_e32 v20, v2
	v_cndmask_b32_e64 v7, v1, v7, s[0:1]
	v_cndmask_b32_e32 v21, v3, v21, vcc
	v_add_f64 v[6:7], v[6:7], v[20:21]
	s_waitcnt lgkmcnt(0)
	v_xor_b32_e32 v21, 0x80000000, v17
	v_xor_b32_e32 v23, 0x80000000, v19
	v_cmp_gt_f64_e32 vcc, 0, v[18:19]
	v_cmp_gt_f64_e64 s[0:1], 0, v[16:17]
	v_mov_b32_e32 v20, v16
	v_mov_b32_e32 v22, v18
	v_cndmask_b32_e64 v21, v17, v21, s[0:1]
	v_cndmask_b32_e32 v23, v19, v23, vcc
	v_add_f64 v[20:21], v[20:21], v[22:23]
	v_mov_b32_e32 v24, s4
	s_add_i32 s4, s4, 1
	v_cmp_lt_f64_e32 vcc, v[6:7], v[20:21]
	v_add_u32_e32 v5, 16, v5
	s_cmp_lg_u32 s66, s4
	v_cndmask_b32_e32 v1, v1, v17, vcc
	v_cndmask_b32_e32 v0, v0, v16, vcc
	;; [unrolled: 1-line block ×5, first 2 shown]
	s_cbranch_scc1 .LBB122_349
.LBB122_350:
	s_waitcnt lgkmcnt(0)
	v_cmp_eq_f64_e32 vcc, 0, v[0:1]
	v_cmp_eq_f64_e64 s[0:1], 0, v[2:3]
	s_and_b64 s[0:1], vcc, s[0:1]
	s_and_saveexec_b64 s[4:5], s[0:1]
	s_xor_b64 s[0:1], exec, s[4:5]
; %bb.351:
	v_cmp_ne_u32_e32 vcc, 0, v13
	s_nop 1
	v_cndmask_b32_e32 v13, 15, v13, vcc
; %bb.352:
	s_andn2_saveexec_b64 s[0:1], s[0:1]
	s_cbranch_execz .LBB122_358
; %bb.353:
	v_cmp_ngt_f64_e64 s[4:5], |v[0:1]|, |v[2:3]|
	s_and_saveexec_b64 s[12:13], s[4:5]
	s_xor_b64 s[12:13], exec, s[12:13]
	s_cbranch_execz .LBB122_355
; %bb.354:
	v_div_scale_f64 v[6:7], s[4:5], v[2:3], v[2:3], v[0:1]
	v_rcp_f64_e32 v[16:17], v[6:7]
	v_div_scale_f64 v[18:19], vcc, v[0:1], v[2:3], v[0:1]
	v_fma_f64 v[20:21], -v[6:7], v[16:17], 1.0
	v_fmac_f64_e32 v[16:17], v[16:17], v[20:21]
	v_fma_f64 v[20:21], -v[6:7], v[16:17], 1.0
	v_fmac_f64_e32 v[16:17], v[16:17], v[20:21]
	v_mul_f64 v[20:21], v[18:19], v[16:17]
	v_fma_f64 v[6:7], -v[6:7], v[20:21], v[18:19]
	v_div_fmas_f64 v[6:7], v[6:7], v[16:17], v[20:21]
	v_div_fixup_f64 v[6:7], v[6:7], v[2:3], v[0:1]
	v_fmac_f64_e32 v[2:3], v[0:1], v[6:7]
	v_div_scale_f64 v[0:1], s[4:5], v[2:3], v[2:3], 1.0
	v_rcp_f64_e32 v[16:17], v[0:1]
	s_nop 0
	v_fma_f64 v[18:19], -v[0:1], v[16:17], 1.0
	v_fmac_f64_e32 v[16:17], v[16:17], v[18:19]
	v_fma_f64 v[18:19], -v[0:1], v[16:17], 1.0
	v_fmac_f64_e32 v[16:17], v[16:17], v[18:19]
	v_div_scale_f64 v[18:19], vcc, 1.0, v[2:3], 1.0
	v_mul_f64 v[20:21], v[18:19], v[16:17]
	v_fma_f64 v[0:1], -v[0:1], v[20:21], v[18:19]
	s_nop 1
	v_div_fmas_f64 v[0:1], v[0:1], v[16:17], v[20:21]
	v_div_fixup_f64 v[2:3], v[0:1], v[2:3], 1.0
	v_mul_f64 v[0:1], v[6:7], v[2:3]
	v_xor_b32_e32 v3, 0x80000000, v3
.LBB122_355:
	s_andn2_saveexec_b64 s[12:13], s[12:13]
	s_cbranch_execz .LBB122_357
; %bb.356:
	v_div_scale_f64 v[6:7], s[4:5], v[0:1], v[0:1], v[2:3]
	v_rcp_f64_e32 v[16:17], v[6:7]
	v_div_scale_f64 v[18:19], vcc, v[2:3], v[0:1], v[2:3]
	v_fma_f64 v[20:21], -v[6:7], v[16:17], 1.0
	v_fmac_f64_e32 v[16:17], v[16:17], v[20:21]
	v_fma_f64 v[20:21], -v[6:7], v[16:17], 1.0
	v_fmac_f64_e32 v[16:17], v[16:17], v[20:21]
	v_mul_f64 v[20:21], v[18:19], v[16:17]
	v_fma_f64 v[6:7], -v[6:7], v[20:21], v[18:19]
	v_div_fmas_f64 v[6:7], v[6:7], v[16:17], v[20:21]
	v_div_fixup_f64 v[6:7], v[6:7], v[0:1], v[2:3]
	v_fmac_f64_e32 v[0:1], v[2:3], v[6:7]
	v_div_scale_f64 v[2:3], s[4:5], v[0:1], v[0:1], 1.0
	v_rcp_f64_e32 v[16:17], v[2:3]
	s_nop 0
	v_fma_f64 v[18:19], -v[2:3], v[16:17], 1.0
	v_fmac_f64_e32 v[16:17], v[16:17], v[18:19]
	v_fma_f64 v[18:19], -v[2:3], v[16:17], 1.0
	v_fmac_f64_e32 v[16:17], v[16:17], v[18:19]
	v_div_scale_f64 v[18:19], vcc, 1.0, v[0:1], 1.0
	v_mul_f64 v[20:21], v[18:19], v[16:17]
	v_fma_f64 v[2:3], -v[2:3], v[20:21], v[18:19]
	s_nop 1
	v_div_fmas_f64 v[2:3], v[2:3], v[16:17], v[20:21]
	v_div_fixup_f64 v[0:1], v[2:3], v[0:1], 1.0
	v_mul_f64 v[2:3], v[6:7], -v[0:1]
.LBB122_357:
	s_or_b64 exec, exec, s[12:13]
.LBB122_358:
	s_or_b64 exec, exec, s[0:1]
	v_cmp_ne_u32_e32 vcc, v15, v4
	s_and_saveexec_b64 s[0:1], vcc
	s_xor_b64 s[0:1], exec, s[0:1]
	s_cbranch_execz .LBB122_364
; %bb.359:
	v_cmp_eq_u32_e32 vcc, 14, v15
	s_and_saveexec_b64 s[12:13], vcc
	s_cbranch_execz .LBB122_363
; %bb.360:
	v_cmp_ne_u32_e32 vcc, 14, v4
	s_xor_b64 s[4:5], s[18:19], -1
	s_and_b64 s[4:5], s[4:5], vcc
	s_and_saveexec_b64 s[14:15], s[4:5]
	s_cbranch_execz .LBB122_362
; %bb.361:
	v_ashrrev_i32_e32 v5, 31, v4
	v_lshl_add_u64 v[6:7], v[4:5], 2, v[10:11]
	global_load_dword v5, v[6:7], off
	global_load_dword v14, v[10:11], off offset:56
	s_waitcnt vmcnt(1)
	global_store_dword v[10:11], v5, off offset:56
	s_waitcnt vmcnt(1)
	global_store_dword v[6:7], v14, off
.LBB122_362:
	s_or_b64 exec, exec, s[14:15]
	v_mov_b32_e32 v15, v4
	v_mov_b32_e32 v14, v4
.LBB122_363:
	s_or_b64 exec, exec, s[12:13]
.LBB122_364:
	s_andn2_saveexec_b64 s[0:1], s[0:1]
	s_cbranch_execz .LBB122_370
; %bb.365:
	s_mov_b32 s4, 0
	v_add_u32_e32 v4, 0xf0, v12
	s_branch .LBB122_367
.LBB122_366:                            ;   in Loop: Header=BB122_367 Depth=1
	s_andn2_b64 vcc, exec, s[12:13]
	s_cbranch_vccz .LBB122_369
.LBB122_367:                            ; =>This Inner Loop Header: Depth=1
	s_add_i32 s12, s4, 0xf0
	s_add_i32 s13, s4, 0x100
	scratch_load_dwordx4 v[16:19], off, s12
	scratch_load_dwordx4 v[20:23], off, s13
	s_add_i32 s12, s4, 0x110
	s_add_i32 s13, s4, 0x120
	scratch_load_dwordx4 v[24:27], off, s12
	scratch_load_dwordx4 v[28:31], off, s13
	;; [unrolled: 4-line block ×3, first 2 shown]
	s_add_i32 s12, s4, 0x150
	scratch_load_dwordx4 v[40:43], off, s12
	s_mov_b32 s5, s4
	v_add_u32_e32 v5, s4, v4
	s_cmpk_eq_i32 s4, 0x280
	s_mov_b64 s[12:13], -1
	s_waitcnt vmcnt(6)
	ds_write2_b64 v5, v[16:17], v[18:19] offset1:1
	s_waitcnt vmcnt(5)
	ds_write2_b64 v5, v[20:21], v[22:23] offset0:2 offset1:3
	s_waitcnt vmcnt(4)
	ds_write2_b64 v5, v[24:25], v[26:27] offset0:4 offset1:5
	;; [unrolled: 2-line block ×6, first 2 shown]
	s_cbranch_scc1 .LBB122_366
; %bb.368:                              ;   in Loop: Header=BB122_367 Depth=1
	s_addk_i32 s5, 0x160
	scratch_load_dwordx4 v[16:19], off, s5
	s_addk_i32 s4, 0x80
	s_mov_b64 s[12:13], 0
	s_waitcnt vmcnt(0)
	ds_write2_b64 v5, v[16:17], v[18:19] offset0:14 offset1:15
	s_branch .LBB122_366
.LBB122_369:
	v_mov_b32_e32 v15, 14
.LBB122_370:
	s_or_b64 exec, exec, s[0:1]
	v_cmp_lt_i32_e32 vcc, 14, v15
	s_waitcnt lgkmcnt(0)
	s_barrier
	s_and_saveexec_b64 s[0:1], vcc
	s_cbranch_execz .LBB122_375
; %bb.371:
	scratch_load_dwordx4 v[16:19], off, off offset:224
	s_mov_b32 s14, 0
	s_waitcnt vmcnt(0)
	v_mul_f64 v[4:5], v[2:3], v[18:19]
	v_mul_f64 v[6:7], v[0:1], v[18:19]
	v_fma_f64 v[4:5], v[0:1], v[16:17], -v[4:5]
	v_fmac_f64_e32 v[6:7], v[2:3], v[16:17]
	v_add_u32_e32 v0, 0xf0, v12
	scratch_store_dwordx4 off, v[4:7], off offset:224
	s_branch .LBB122_373
.LBB122_372:                            ;   in Loop: Header=BB122_373 Depth=1
	s_andn2_b64 vcc, exec, s[12:13]
	s_cbranch_vccz .LBB122_375
.LBB122_373:                            ; =>This Inner Loop Header: Depth=1
	s_add_i32 s4, s14, 0xf0
	scratch_load_dwordx4 v[16:19], off, s4
	s_add_i32 s5, s14, 0x100
	s_add_i32 s12, s14, 0x110
	;; [unrolled: 1-line block ×5, first 2 shown]
	scratch_load_dwordx4 v[20:23], off, s5
	scratch_load_dwordx4 v[24:27], off, s12
	scratch_load_dwordx4 v[28:31], off, s13
	scratch_load_dwordx4 v[32:35], off, s16
	scratch_load_dwordx4 v[36:39], off, s67
	v_add_u32_e32 v1, s14, v0
	ds_read2_b64 v[40:43], v1 offset1:1
	ds_read2_b64 v[44:47], v1 offset0:2 offset1:3
	ds_read2_b64 v[48:51], v1 offset0:4 offset1:5
	;; [unrolled: 1-line block ×5, first 2 shown]
	s_waitcnt lgkmcnt(5)
	v_mul_f64 v[2:3], v[42:43], v[6:7]
	v_mul_f64 v[64:65], v[40:41], v[6:7]
	s_waitcnt lgkmcnt(4)
	v_mul_f64 v[66:67], v[46:47], v[6:7]
	v_mul_f64 v[68:69], v[44:45], v[6:7]
	;; [unrolled: 3-line block ×6, first 2 shown]
	v_fma_f64 v[2:3], v[40:41], v[4:5], -v[2:3]
	v_fmac_f64_e32 v[64:65], v[42:43], v[4:5]
	v_fma_f64 v[40:41], v[44:45], v[4:5], -v[66:67]
	v_fmac_f64_e32 v[68:69], v[46:47], v[4:5]
	;; [unrolled: 2-line block ×6, first 2 shown]
	s_mov_b32 s15, s14
	s_waitcnt vmcnt(5)
	v_add_f64 v[2:3], v[16:17], -v[2:3]
	v_add_f64 v[4:5], v[18:19], -v[64:65]
	s_waitcnt vmcnt(4)
	v_add_f64 v[16:17], v[20:21], -v[40:41]
	v_add_f64 v[18:19], v[22:23], -v[68:69]
	;; [unrolled: 3-line block ×6, first 2 shown]
	scratch_store_dwordx4 off, v[2:5], s4
	scratch_store_dwordx4 off, v[16:19], s5
	;; [unrolled: 1-line block ×6, first 2 shown]
	scratch_load_dwordx4 v[4:7], off, off offset:224
	s_add_i32 s4, s14, 0x150
	scratch_load_dwordx4 v[16:19], off, s4
	ds_read2_b64 v[20:23], v1 offset0:12 offset1:13
	s_cmpk_eq_i32 s14, 0x280
	s_mov_b64 s[12:13], -1
	s_waitcnt vmcnt(1) lgkmcnt(0)
	v_mul_f64 v[2:3], v[22:23], v[6:7]
	v_mul_f64 v[24:25], v[20:21], v[6:7]
	v_fma_f64 v[2:3], v[20:21], v[4:5], -v[2:3]
	v_fmac_f64_e32 v[24:25], v[22:23], v[4:5]
	s_waitcnt vmcnt(0)
	v_add_f64 v[16:17], v[16:17], -v[2:3]
	v_add_f64 v[18:19], v[18:19], -v[24:25]
	scratch_store_dwordx4 off, v[16:19], s4
	s_cbranch_scc1 .LBB122_372
; %bb.374:                              ;   in Loop: Header=BB122_373 Depth=1
	s_addk_i32 s15, 0x160
	scratch_load_dwordx4 v[16:19], off, s15
	ds_read2_b64 v[20:23], v1 offset0:14 offset1:15
	s_addk_i32 s14, 0x80
	s_mov_b64 s[12:13], 0
	s_waitcnt lgkmcnt(0)
	v_mul_f64 v[2:3], v[22:23], v[6:7]
	v_mul_f64 v[24:25], v[20:21], v[6:7]
	v_fma_f64 v[2:3], v[20:21], v[4:5], -v[2:3]
	v_fmac_f64_e32 v[24:25], v[22:23], v[4:5]
	s_waitcnt vmcnt(0)
	v_add_f64 v[16:17], v[16:17], -v[2:3]
	v_add_f64 v[18:19], v[18:19], -v[24:25]
	scratch_store_dwordx4 off, v[16:19], s15
	s_branch .LBB122_372
.LBB122_375:
	s_or_b64 exec, exec, s[0:1]
	s_barrier
	scratch_load_dwordx4 v[0:3], off, s88
	v_lshl_add_u32 v4, v15, 4, v12
	s_cmp_lt_i32 s66, 17
	s_waitcnt vmcnt(0)
	ds_write2_b64 v4, v[0:1], v[2:3] offset1:1
	s_waitcnt lgkmcnt(0)
	s_barrier
	ds_read2_b64 v[0:3], v12 offset0:30 offset1:31
	v_mov_b32_e32 v4, 15
	s_cbranch_scc1 .LBB122_378
; %bb.376:
	v_add_u32_e32 v5, 0x100, v12
	s_mov_b32 s4, 16
	v_mov_b32_e32 v4, 15
.LBB122_377:                            ; =>This Inner Loop Header: Depth=1
	ds_read2_b64 v[16:19], v5 offset1:1
	s_waitcnt lgkmcnt(1)
	v_xor_b32_e32 v7, 0x80000000, v1
	v_xor_b32_e32 v21, 0x80000000, v3
	v_cmp_gt_f64_e32 vcc, 0, v[2:3]
	v_cmp_gt_f64_e64 s[0:1], 0, v[0:1]
	v_mov_b32_e32 v6, v0
	v_mov_b32_e32 v20, v2
	v_cndmask_b32_e64 v7, v1, v7, s[0:1]
	v_cndmask_b32_e32 v21, v3, v21, vcc
	v_add_f64 v[6:7], v[6:7], v[20:21]
	s_waitcnt lgkmcnt(0)
	v_xor_b32_e32 v21, 0x80000000, v17
	v_xor_b32_e32 v23, 0x80000000, v19
	v_cmp_gt_f64_e32 vcc, 0, v[18:19]
	v_cmp_gt_f64_e64 s[0:1], 0, v[16:17]
	v_mov_b32_e32 v20, v16
	v_mov_b32_e32 v22, v18
	v_cndmask_b32_e64 v21, v17, v21, s[0:1]
	v_cndmask_b32_e32 v23, v19, v23, vcc
	v_add_f64 v[20:21], v[20:21], v[22:23]
	v_mov_b32_e32 v24, s4
	s_add_i32 s4, s4, 1
	v_cmp_lt_f64_e32 vcc, v[6:7], v[20:21]
	v_add_u32_e32 v5, 16, v5
	s_cmp_lg_u32 s66, s4
	v_cndmask_b32_e32 v1, v1, v17, vcc
	v_cndmask_b32_e32 v0, v0, v16, vcc
	;; [unrolled: 1-line block ×5, first 2 shown]
	s_cbranch_scc1 .LBB122_377
.LBB122_378:
	s_waitcnt lgkmcnt(0)
	v_cmp_eq_f64_e32 vcc, 0, v[0:1]
	v_cmp_eq_f64_e64 s[0:1], 0, v[2:3]
	s_and_b64 s[0:1], vcc, s[0:1]
	s_and_saveexec_b64 s[4:5], s[0:1]
	s_xor_b64 s[0:1], exec, s[4:5]
; %bb.379:
	v_cmp_ne_u32_e32 vcc, 0, v13
	s_nop 1
	v_cndmask_b32_e32 v13, 16, v13, vcc
; %bb.380:
	s_andn2_saveexec_b64 s[0:1], s[0:1]
	s_cbranch_execz .LBB122_386
; %bb.381:
	v_cmp_ngt_f64_e64 s[4:5], |v[0:1]|, |v[2:3]|
	s_and_saveexec_b64 s[12:13], s[4:5]
	s_xor_b64 s[12:13], exec, s[12:13]
	s_cbranch_execz .LBB122_383
; %bb.382:
	v_div_scale_f64 v[6:7], s[4:5], v[2:3], v[2:3], v[0:1]
	v_rcp_f64_e32 v[16:17], v[6:7]
	v_div_scale_f64 v[18:19], vcc, v[0:1], v[2:3], v[0:1]
	v_fma_f64 v[20:21], -v[6:7], v[16:17], 1.0
	v_fmac_f64_e32 v[16:17], v[16:17], v[20:21]
	v_fma_f64 v[20:21], -v[6:7], v[16:17], 1.0
	v_fmac_f64_e32 v[16:17], v[16:17], v[20:21]
	v_mul_f64 v[20:21], v[18:19], v[16:17]
	v_fma_f64 v[6:7], -v[6:7], v[20:21], v[18:19]
	v_div_fmas_f64 v[6:7], v[6:7], v[16:17], v[20:21]
	v_div_fixup_f64 v[6:7], v[6:7], v[2:3], v[0:1]
	v_fmac_f64_e32 v[2:3], v[0:1], v[6:7]
	v_div_scale_f64 v[0:1], s[4:5], v[2:3], v[2:3], 1.0
	v_rcp_f64_e32 v[16:17], v[0:1]
	s_nop 0
	v_fma_f64 v[18:19], -v[0:1], v[16:17], 1.0
	v_fmac_f64_e32 v[16:17], v[16:17], v[18:19]
	v_fma_f64 v[18:19], -v[0:1], v[16:17], 1.0
	v_fmac_f64_e32 v[16:17], v[16:17], v[18:19]
	v_div_scale_f64 v[18:19], vcc, 1.0, v[2:3], 1.0
	v_mul_f64 v[20:21], v[18:19], v[16:17]
	v_fma_f64 v[0:1], -v[0:1], v[20:21], v[18:19]
	s_nop 1
	v_div_fmas_f64 v[0:1], v[0:1], v[16:17], v[20:21]
	v_div_fixup_f64 v[2:3], v[0:1], v[2:3], 1.0
	v_mul_f64 v[0:1], v[6:7], v[2:3]
	v_xor_b32_e32 v3, 0x80000000, v3
.LBB122_383:
	s_andn2_saveexec_b64 s[12:13], s[12:13]
	s_cbranch_execz .LBB122_385
; %bb.384:
	v_div_scale_f64 v[6:7], s[4:5], v[0:1], v[0:1], v[2:3]
	v_rcp_f64_e32 v[16:17], v[6:7]
	v_div_scale_f64 v[18:19], vcc, v[2:3], v[0:1], v[2:3]
	v_fma_f64 v[20:21], -v[6:7], v[16:17], 1.0
	v_fmac_f64_e32 v[16:17], v[16:17], v[20:21]
	v_fma_f64 v[20:21], -v[6:7], v[16:17], 1.0
	v_fmac_f64_e32 v[16:17], v[16:17], v[20:21]
	v_mul_f64 v[20:21], v[18:19], v[16:17]
	v_fma_f64 v[6:7], -v[6:7], v[20:21], v[18:19]
	v_div_fmas_f64 v[6:7], v[6:7], v[16:17], v[20:21]
	v_div_fixup_f64 v[6:7], v[6:7], v[0:1], v[2:3]
	v_fmac_f64_e32 v[0:1], v[2:3], v[6:7]
	v_div_scale_f64 v[2:3], s[4:5], v[0:1], v[0:1], 1.0
	v_rcp_f64_e32 v[16:17], v[2:3]
	s_nop 0
	v_fma_f64 v[18:19], -v[2:3], v[16:17], 1.0
	v_fmac_f64_e32 v[16:17], v[16:17], v[18:19]
	v_fma_f64 v[18:19], -v[2:3], v[16:17], 1.0
	v_fmac_f64_e32 v[16:17], v[16:17], v[18:19]
	v_div_scale_f64 v[18:19], vcc, 1.0, v[0:1], 1.0
	v_mul_f64 v[20:21], v[18:19], v[16:17]
	v_fma_f64 v[2:3], -v[2:3], v[20:21], v[18:19]
	s_nop 1
	v_div_fmas_f64 v[2:3], v[2:3], v[16:17], v[20:21]
	v_div_fixup_f64 v[0:1], v[2:3], v[0:1], 1.0
	v_mul_f64 v[2:3], v[6:7], -v[0:1]
.LBB122_385:
	s_or_b64 exec, exec, s[12:13]
.LBB122_386:
	s_or_b64 exec, exec, s[0:1]
	v_cmp_ne_u32_e32 vcc, v15, v4
	s_and_saveexec_b64 s[0:1], vcc
	s_xor_b64 s[0:1], exec, s[0:1]
	s_cbranch_execz .LBB122_392
; %bb.387:
	v_cmp_eq_u32_e32 vcc, 15, v15
	s_and_saveexec_b64 s[12:13], vcc
	s_cbranch_execz .LBB122_391
; %bb.388:
	v_cmp_ne_u32_e32 vcc, 15, v4
	s_xor_b64 s[4:5], s[18:19], -1
	s_and_b64 s[4:5], s[4:5], vcc
	s_and_saveexec_b64 s[14:15], s[4:5]
	s_cbranch_execz .LBB122_390
; %bb.389:
	v_ashrrev_i32_e32 v5, 31, v4
	v_lshl_add_u64 v[6:7], v[4:5], 2, v[10:11]
	global_load_dword v5, v[6:7], off
	global_load_dword v14, v[10:11], off offset:60
	s_waitcnt vmcnt(1)
	global_store_dword v[10:11], v5, off offset:60
	s_waitcnt vmcnt(1)
	global_store_dword v[6:7], v14, off
.LBB122_390:
	s_or_b64 exec, exec, s[14:15]
	v_mov_b32_e32 v15, v4
	v_mov_b32_e32 v14, v4
.LBB122_391:
	s_or_b64 exec, exec, s[12:13]
.LBB122_392:
	s_andn2_saveexec_b64 s[0:1], s[0:1]
	s_cbranch_execz .LBB122_396
; %bb.393:
	s_mov_b32 s4, 0
	v_add_u32_e32 v4, 0x100, v12
.LBB122_394:                            ; =>This Inner Loop Header: Depth=1
	s_add_i32 s12, s4, 0x100
	s_add_i32 s5, s4, 0x110
	scratch_load_dwordx4 v[16:19], off, s12
	scratch_load_dwordx4 v[20:23], off, s5
	v_add_u32_e32 v5, s4, v4
	s_add_i32 s4, s4, 32
	s_cmpk_eq_i32 s4, 0x2e0
	s_waitcnt vmcnt(1)
	ds_write2_b64 v5, v[16:17], v[18:19] offset1:1
	s_waitcnt vmcnt(0)
	ds_write2_b64 v5, v[20:21], v[22:23] offset0:2 offset1:3
	s_cbranch_scc0 .LBB122_394
; %bb.395:
	v_mov_b32_e32 v15, 15
.LBB122_396:
	s_or_b64 exec, exec, s[0:1]
	v_cmp_lt_i32_e32 vcc, 15, v15
	s_waitcnt lgkmcnt(0)
	s_barrier
	s_and_saveexec_b64 s[0:1], vcc
	s_cbranch_execz .LBB122_399
; %bb.397:
	scratch_load_dwordx4 v[16:19], off, off offset:240
	s_mov_b32 s4, 0
	s_waitcnt vmcnt(0)
	v_mul_f64 v[4:5], v[2:3], v[18:19]
	v_mul_f64 v[6:7], v[0:1], v[18:19]
	v_fma_f64 v[4:5], v[0:1], v[16:17], -v[4:5]
	v_fmac_f64_e32 v[6:7], v[2:3], v[16:17]
	v_add_u32_e32 v0, 0x100, v12
	scratch_store_dwordx4 off, v[4:7], off offset:240
.LBB122_398:                            ; =>This Inner Loop Header: Depth=1
	s_add_i32 s12, s4, 0x100
	s_add_i32 s5, s4, 0x110
	scratch_load_dwordx4 v[16:19], off, s12
	scratch_load_dwordx4 v[20:23], off, s5
	v_add_u32_e32 v1, s4, v0
	ds_read2_b64 v[24:27], v1 offset1:1
	ds_read2_b64 v[28:31], v1 offset0:2 offset1:3
	s_add_i32 s4, s4, 32
	s_cmpk_lg_i32 s4, 0x2e0
	s_waitcnt lgkmcnt(1)
	v_mul_f64 v[2:3], v[26:27], v[6:7]
	v_mul_f64 v[32:33], v[24:25], v[6:7]
	s_waitcnt lgkmcnt(0)
	v_mul_f64 v[34:35], v[30:31], v[6:7]
	v_mul_f64 v[36:37], v[28:29], v[6:7]
	v_fma_f64 v[2:3], v[24:25], v[4:5], -v[2:3]
	v_fmac_f64_e32 v[32:33], v[26:27], v[4:5]
	v_fma_f64 v[24:25], v[28:29], v[4:5], -v[34:35]
	v_fmac_f64_e32 v[36:37], v[30:31], v[4:5]
	s_waitcnt vmcnt(1)
	v_add_f64 v[16:17], v[16:17], -v[2:3]
	v_add_f64 v[18:19], v[18:19], -v[32:33]
	s_waitcnt vmcnt(0)
	v_add_f64 v[20:21], v[20:21], -v[24:25]
	v_add_f64 v[22:23], v[22:23], -v[36:37]
	scratch_store_dwordx4 off, v[16:19], s12
	scratch_store_dwordx4 off, v[20:23], s5
	s_cbranch_scc1 .LBB122_398
.LBB122_399:
	s_or_b64 exec, exec, s[0:1]
	s_barrier
	scratch_load_dwordx4 v[0:3], off, s87
	v_lshl_add_u32 v4, v15, 4, v12
	s_cmp_lt_i32 s66, 18
	s_waitcnt vmcnt(0)
	ds_write2_b64 v4, v[0:1], v[2:3] offset1:1
	s_waitcnt lgkmcnt(0)
	s_barrier
	ds_read2_b64 v[0:3], v12 offset0:32 offset1:33
	v_mov_b32_e32 v4, 16
	s_cbranch_scc1 .LBB122_402
; %bb.400:
	v_add_u32_e32 v5, 0x110, v12
	s_mov_b32 s4, 17
	v_mov_b32_e32 v4, 16
.LBB122_401:                            ; =>This Inner Loop Header: Depth=1
	ds_read2_b64 v[16:19], v5 offset1:1
	s_waitcnt lgkmcnt(1)
	v_xor_b32_e32 v7, 0x80000000, v1
	v_xor_b32_e32 v21, 0x80000000, v3
	v_cmp_gt_f64_e32 vcc, 0, v[2:3]
	v_cmp_gt_f64_e64 s[0:1], 0, v[0:1]
	v_mov_b32_e32 v6, v0
	v_mov_b32_e32 v20, v2
	v_cndmask_b32_e64 v7, v1, v7, s[0:1]
	v_cndmask_b32_e32 v21, v3, v21, vcc
	v_add_f64 v[6:7], v[6:7], v[20:21]
	s_waitcnt lgkmcnt(0)
	v_xor_b32_e32 v21, 0x80000000, v17
	v_xor_b32_e32 v23, 0x80000000, v19
	v_cmp_gt_f64_e32 vcc, 0, v[18:19]
	v_cmp_gt_f64_e64 s[0:1], 0, v[16:17]
	v_mov_b32_e32 v20, v16
	v_mov_b32_e32 v22, v18
	v_cndmask_b32_e64 v21, v17, v21, s[0:1]
	v_cndmask_b32_e32 v23, v19, v23, vcc
	v_add_f64 v[20:21], v[20:21], v[22:23]
	v_mov_b32_e32 v24, s4
	s_add_i32 s4, s4, 1
	v_cmp_lt_f64_e32 vcc, v[6:7], v[20:21]
	v_add_u32_e32 v5, 16, v5
	s_cmp_lg_u32 s66, s4
	v_cndmask_b32_e32 v1, v1, v17, vcc
	v_cndmask_b32_e32 v0, v0, v16, vcc
	;; [unrolled: 1-line block ×5, first 2 shown]
	s_cbranch_scc1 .LBB122_401
.LBB122_402:
	s_waitcnt lgkmcnt(0)
	v_cmp_eq_f64_e32 vcc, 0, v[0:1]
	v_cmp_eq_f64_e64 s[0:1], 0, v[2:3]
	s_and_b64 s[0:1], vcc, s[0:1]
	s_and_saveexec_b64 s[4:5], s[0:1]
	s_xor_b64 s[0:1], exec, s[4:5]
; %bb.403:
	v_cmp_ne_u32_e32 vcc, 0, v13
	s_nop 1
	v_cndmask_b32_e32 v13, 17, v13, vcc
; %bb.404:
	s_andn2_saveexec_b64 s[0:1], s[0:1]
	s_cbranch_execz .LBB122_410
; %bb.405:
	v_cmp_ngt_f64_e64 s[4:5], |v[0:1]|, |v[2:3]|
	s_and_saveexec_b64 s[12:13], s[4:5]
	s_xor_b64 s[12:13], exec, s[12:13]
	s_cbranch_execz .LBB122_407
; %bb.406:
	v_div_scale_f64 v[6:7], s[4:5], v[2:3], v[2:3], v[0:1]
	v_rcp_f64_e32 v[16:17], v[6:7]
	v_div_scale_f64 v[18:19], vcc, v[0:1], v[2:3], v[0:1]
	v_fma_f64 v[20:21], -v[6:7], v[16:17], 1.0
	v_fmac_f64_e32 v[16:17], v[16:17], v[20:21]
	v_fma_f64 v[20:21], -v[6:7], v[16:17], 1.0
	v_fmac_f64_e32 v[16:17], v[16:17], v[20:21]
	v_mul_f64 v[20:21], v[18:19], v[16:17]
	v_fma_f64 v[6:7], -v[6:7], v[20:21], v[18:19]
	v_div_fmas_f64 v[6:7], v[6:7], v[16:17], v[20:21]
	v_div_fixup_f64 v[6:7], v[6:7], v[2:3], v[0:1]
	v_fmac_f64_e32 v[2:3], v[0:1], v[6:7]
	v_div_scale_f64 v[0:1], s[4:5], v[2:3], v[2:3], 1.0
	v_rcp_f64_e32 v[16:17], v[0:1]
	s_nop 0
	v_fma_f64 v[18:19], -v[0:1], v[16:17], 1.0
	v_fmac_f64_e32 v[16:17], v[16:17], v[18:19]
	v_fma_f64 v[18:19], -v[0:1], v[16:17], 1.0
	v_fmac_f64_e32 v[16:17], v[16:17], v[18:19]
	v_div_scale_f64 v[18:19], vcc, 1.0, v[2:3], 1.0
	v_mul_f64 v[20:21], v[18:19], v[16:17]
	v_fma_f64 v[0:1], -v[0:1], v[20:21], v[18:19]
	s_nop 1
	v_div_fmas_f64 v[0:1], v[0:1], v[16:17], v[20:21]
	v_div_fixup_f64 v[2:3], v[0:1], v[2:3], 1.0
	v_mul_f64 v[0:1], v[6:7], v[2:3]
	v_xor_b32_e32 v3, 0x80000000, v3
.LBB122_407:
	s_andn2_saveexec_b64 s[12:13], s[12:13]
	s_cbranch_execz .LBB122_409
; %bb.408:
	v_div_scale_f64 v[6:7], s[4:5], v[0:1], v[0:1], v[2:3]
	v_rcp_f64_e32 v[16:17], v[6:7]
	v_div_scale_f64 v[18:19], vcc, v[2:3], v[0:1], v[2:3]
	v_fma_f64 v[20:21], -v[6:7], v[16:17], 1.0
	v_fmac_f64_e32 v[16:17], v[16:17], v[20:21]
	v_fma_f64 v[20:21], -v[6:7], v[16:17], 1.0
	v_fmac_f64_e32 v[16:17], v[16:17], v[20:21]
	v_mul_f64 v[20:21], v[18:19], v[16:17]
	v_fma_f64 v[6:7], -v[6:7], v[20:21], v[18:19]
	v_div_fmas_f64 v[6:7], v[6:7], v[16:17], v[20:21]
	v_div_fixup_f64 v[6:7], v[6:7], v[0:1], v[2:3]
	v_fmac_f64_e32 v[0:1], v[2:3], v[6:7]
	v_div_scale_f64 v[2:3], s[4:5], v[0:1], v[0:1], 1.0
	v_rcp_f64_e32 v[16:17], v[2:3]
	s_nop 0
	v_fma_f64 v[18:19], -v[2:3], v[16:17], 1.0
	v_fmac_f64_e32 v[16:17], v[16:17], v[18:19]
	v_fma_f64 v[18:19], -v[2:3], v[16:17], 1.0
	v_fmac_f64_e32 v[16:17], v[16:17], v[18:19]
	v_div_scale_f64 v[18:19], vcc, 1.0, v[0:1], 1.0
	v_mul_f64 v[20:21], v[18:19], v[16:17]
	v_fma_f64 v[2:3], -v[2:3], v[20:21], v[18:19]
	s_nop 1
	v_div_fmas_f64 v[2:3], v[2:3], v[16:17], v[20:21]
	v_div_fixup_f64 v[0:1], v[2:3], v[0:1], 1.0
	v_mul_f64 v[2:3], v[6:7], -v[0:1]
.LBB122_409:
	s_or_b64 exec, exec, s[12:13]
.LBB122_410:
	s_or_b64 exec, exec, s[0:1]
	v_cmp_ne_u32_e32 vcc, v15, v4
	s_and_saveexec_b64 s[0:1], vcc
	s_xor_b64 s[0:1], exec, s[0:1]
	s_cbranch_execz .LBB122_416
; %bb.411:
	v_cmp_eq_u32_e32 vcc, 16, v15
	s_and_saveexec_b64 s[12:13], vcc
	s_cbranch_execz .LBB122_415
; %bb.412:
	v_cmp_ne_u32_e32 vcc, 16, v4
	s_xor_b64 s[4:5], s[18:19], -1
	s_and_b64 s[4:5], s[4:5], vcc
	s_and_saveexec_b64 s[14:15], s[4:5]
	s_cbranch_execz .LBB122_414
; %bb.413:
	v_ashrrev_i32_e32 v5, 31, v4
	v_lshl_add_u64 v[6:7], v[4:5], 2, v[10:11]
	global_load_dword v5, v[6:7], off
	global_load_dword v14, v[10:11], off offset:64
	s_waitcnt vmcnt(1)
	global_store_dword v[10:11], v5, off offset:64
	s_waitcnt vmcnt(1)
	global_store_dword v[6:7], v14, off
.LBB122_414:
	s_or_b64 exec, exec, s[14:15]
	v_mov_b32_e32 v15, v4
	v_mov_b32_e32 v14, v4
.LBB122_415:
	s_or_b64 exec, exec, s[12:13]
.LBB122_416:
	s_andn2_saveexec_b64 s[0:1], s[0:1]
	s_cbranch_execz .LBB122_420
; %bb.417:
	s_mov_b32 s4, 0
	v_add_u32_e32 v4, 0x110, v12
.LBB122_418:                            ; =>This Inner Loop Header: Depth=1
	s_add_i32 s12, s4, 0x110
	s_add_i32 s13, s4, 0x120
	;; [unrolled: 1-line block ×15, first 2 shown]
	scratch_load_dwordx4 v[16:19], off, s12
	scratch_load_dwordx4 v[20:23], off, s13
	;; [unrolled: 1-line block ×15, first 2 shown]
	v_add_u32_e32 v5, s4, v4
	s_addk_i32 s4, 0xf0
	s_cmpk_eq_i32 s4, 0x2d0
	s_waitcnt vmcnt(14)
	ds_write2_b64 v5, v[16:17], v[18:19] offset1:1
	s_waitcnt vmcnt(13)
	ds_write2_b64 v5, v[20:21], v[22:23] offset0:2 offset1:3
	s_waitcnt vmcnt(12)
	ds_write2_b64 v5, v[24:25], v[26:27] offset0:4 offset1:5
	;; [unrolled: 2-line block ×14, first 2 shown]
	s_cbranch_scc0 .LBB122_418
; %bb.419:
	v_mov_b32_e32 v15, 16
.LBB122_420:
	s_or_b64 exec, exec, s[0:1]
	v_cmp_lt_i32_e32 vcc, 16, v15
	s_waitcnt lgkmcnt(0)
	s_barrier
	s_and_saveexec_b64 s[0:1], vcc
	s_cbranch_execz .LBB122_423
; %bb.421:
	scratch_load_dwordx4 v[16:19], off, off offset:256
	s_mov_b32 s12, 0
	s_waitcnt vmcnt(0)
	v_mul_f64 v[4:5], v[2:3], v[18:19]
	v_mul_f64 v[6:7], v[0:1], v[18:19]
	v_fma_f64 v[4:5], v[0:1], v[16:17], -v[4:5]
	v_fmac_f64_e32 v[6:7], v[2:3], v[16:17]
	v_add_u32_e32 v0, 0x110, v12
	scratch_store_dwordx4 off, v[4:7], off offset:256
.LBB122_422:                            ; =>This Inner Loop Header: Depth=1
	v_add_u32_e32 v1, s12, v0
	ds_read2_b64 v[16:19], v1 offset1:1
	ds_read2_b64 v[20:23], v1 offset0:2 offset1:3
	ds_read2_b64 v[24:27], v1 offset0:4 offset1:5
	;; [unrolled: 1-line block ×5, first 2 shown]
	s_add_i32 s13, s12, 0x110
	s_waitcnt lgkmcnt(5)
	v_mul_f64 v[2:3], v[18:19], v[6:7]
	v_mul_f64 v[72:73], v[16:17], v[6:7]
	s_waitcnt lgkmcnt(4)
	v_mul_f64 v[74:75], v[22:23], v[6:7]
	v_mul_f64 v[76:77], v[20:21], v[6:7]
	;; [unrolled: 3-line block ×6, first 2 shown]
	s_add_i32 s14, s12, 0x120
	s_add_i32 s15, s12, 0x130
	;; [unrolled: 1-line block ×8, first 2 shown]
	scratch_load_dwordx4 v[40:43], off, s13
	scratch_load_dwordx4 v[44:47], off, s14
	;; [unrolled: 1-line block ×8, first 2 shown]
	v_fma_f64 v[2:3], v[16:17], v[4:5], -v[2:3]
	v_fmac_f64_e32 v[72:73], v[18:19], v[4:5]
	v_fma_f64 v[74:75], v[20:21], v[4:5], -v[74:75]
	v_fmac_f64_e32 v[76:77], v[22:23], v[4:5]
	;; [unrolled: 2-line block ×6, first 2 shown]
	scratch_load_dwordx4 v[4:7], off, off offset:256
	scratch_load_dwordx4 v[16:19], off, s4
	ds_read2_b64 v[20:23], v1 offset0:12 offset1:13
	ds_read2_b64 v[24:27], v1 offset0:14 offset1:15
	ds_read2_b64 v[28:31], v1 offset0:16 offset1:17
	s_addk_i32 s12, 0x90
	s_cmpk_lg_i32 s12, 0x2d0
	s_waitcnt vmcnt(9)
	v_add_f64 v[32:33], v[40:41], -v[2:3]
	v_add_f64 v[34:35], v[42:43], -v[72:73]
	s_waitcnt vmcnt(8)
	v_add_f64 v[36:37], v[44:45], -v[74:75]
	v_add_f64 v[38:39], v[46:47], -v[76:77]
	;; [unrolled: 3-line block ×6, first 2 shown]
	scratch_store_dwordx4 off, v[32:35], s13
	scratch_store_dwordx4 off, v[36:39], s14
	;; [unrolled: 1-line block ×6, first 2 shown]
	s_waitcnt vmcnt(7) lgkmcnt(2)
	v_mul_f64 v[2:3], v[22:23], v[6:7]
	v_mul_f64 v[32:33], v[20:21], v[6:7]
	s_waitcnt lgkmcnt(1)
	v_mul_f64 v[34:35], v[26:27], v[6:7]
	v_mul_f64 v[36:37], v[24:25], v[6:7]
	s_waitcnt lgkmcnt(0)
	v_mul_f64 v[38:39], v[30:31], v[6:7]
	v_mul_f64 v[40:41], v[28:29], v[6:7]
	v_fma_f64 v[2:3], v[20:21], v[4:5], -v[2:3]
	v_fmac_f64_e32 v[32:33], v[22:23], v[4:5]
	v_fma_f64 v[24:25], v[24:25], v[4:5], -v[34:35]
	v_fmac_f64_e32 v[36:37], v[26:27], v[4:5]
	;; [unrolled: 2-line block ×3, first 2 shown]
	v_add_f64 v[20:21], v[64:65], -v[2:3]
	v_add_f64 v[22:23], v[66:67], -v[32:33]
	;; [unrolled: 1-line block ×4, first 2 shown]
	s_waitcnt vmcnt(6)
	v_add_f64 v[16:17], v[16:17], -v[28:29]
	v_add_f64 v[18:19], v[18:19], -v[40:41]
	scratch_store_dwordx4 off, v[20:23], s68
	scratch_store_dwordx4 off, v[24:27], s69
	;; [unrolled: 1-line block ×3, first 2 shown]
	s_cbranch_scc1 .LBB122_422
.LBB122_423:
	s_or_b64 exec, exec, s[0:1]
	s_barrier
	scratch_load_dwordx4 v[0:3], off, s53
	v_lshl_add_u32 v4, v15, 4, v12
	s_cmp_lt_i32 s66, 19
	s_waitcnt vmcnt(0)
	ds_write2_b64 v4, v[0:1], v[2:3] offset1:1
	s_waitcnt lgkmcnt(0)
	s_barrier
	ds_read2_b64 v[0:3], v12 offset0:34 offset1:35
	v_mov_b32_e32 v4, 17
	s_cbranch_scc1 .LBB122_426
; %bb.424:
	v_add_u32_e32 v5, 0x120, v12
	s_mov_b32 s4, 18
	v_mov_b32_e32 v4, 17
.LBB122_425:                            ; =>This Inner Loop Header: Depth=1
	ds_read2_b64 v[16:19], v5 offset1:1
	s_waitcnt lgkmcnt(1)
	v_xor_b32_e32 v7, 0x80000000, v1
	v_xor_b32_e32 v21, 0x80000000, v3
	v_cmp_gt_f64_e32 vcc, 0, v[2:3]
	v_cmp_gt_f64_e64 s[0:1], 0, v[0:1]
	v_mov_b32_e32 v6, v0
	v_mov_b32_e32 v20, v2
	v_cndmask_b32_e64 v7, v1, v7, s[0:1]
	v_cndmask_b32_e32 v21, v3, v21, vcc
	v_add_f64 v[6:7], v[6:7], v[20:21]
	s_waitcnt lgkmcnt(0)
	v_xor_b32_e32 v21, 0x80000000, v17
	v_xor_b32_e32 v23, 0x80000000, v19
	v_cmp_gt_f64_e32 vcc, 0, v[18:19]
	v_cmp_gt_f64_e64 s[0:1], 0, v[16:17]
	v_mov_b32_e32 v20, v16
	v_mov_b32_e32 v22, v18
	v_cndmask_b32_e64 v21, v17, v21, s[0:1]
	v_cndmask_b32_e32 v23, v19, v23, vcc
	v_add_f64 v[20:21], v[20:21], v[22:23]
	v_mov_b32_e32 v24, s4
	s_add_i32 s4, s4, 1
	v_cmp_lt_f64_e32 vcc, v[6:7], v[20:21]
	v_add_u32_e32 v5, 16, v5
	s_cmp_lg_u32 s66, s4
	v_cndmask_b32_e32 v1, v1, v17, vcc
	v_cndmask_b32_e32 v0, v0, v16, vcc
	;; [unrolled: 1-line block ×5, first 2 shown]
	s_cbranch_scc1 .LBB122_425
.LBB122_426:
	s_waitcnt lgkmcnt(0)
	v_cmp_eq_f64_e32 vcc, 0, v[0:1]
	v_cmp_eq_f64_e64 s[0:1], 0, v[2:3]
	s_and_b64 s[0:1], vcc, s[0:1]
	s_and_saveexec_b64 s[4:5], s[0:1]
	s_xor_b64 s[0:1], exec, s[4:5]
; %bb.427:
	v_cmp_ne_u32_e32 vcc, 0, v13
	s_nop 1
	v_cndmask_b32_e32 v13, 18, v13, vcc
; %bb.428:
	s_andn2_saveexec_b64 s[0:1], s[0:1]
	s_cbranch_execz .LBB122_434
; %bb.429:
	v_cmp_ngt_f64_e64 s[4:5], |v[0:1]|, |v[2:3]|
	s_and_saveexec_b64 s[12:13], s[4:5]
	s_xor_b64 s[12:13], exec, s[12:13]
	s_cbranch_execz .LBB122_431
; %bb.430:
	v_div_scale_f64 v[6:7], s[4:5], v[2:3], v[2:3], v[0:1]
	v_rcp_f64_e32 v[16:17], v[6:7]
	v_div_scale_f64 v[18:19], vcc, v[0:1], v[2:3], v[0:1]
	v_fma_f64 v[20:21], -v[6:7], v[16:17], 1.0
	v_fmac_f64_e32 v[16:17], v[16:17], v[20:21]
	v_fma_f64 v[20:21], -v[6:7], v[16:17], 1.0
	v_fmac_f64_e32 v[16:17], v[16:17], v[20:21]
	v_mul_f64 v[20:21], v[18:19], v[16:17]
	v_fma_f64 v[6:7], -v[6:7], v[20:21], v[18:19]
	v_div_fmas_f64 v[6:7], v[6:7], v[16:17], v[20:21]
	v_div_fixup_f64 v[6:7], v[6:7], v[2:3], v[0:1]
	v_fmac_f64_e32 v[2:3], v[0:1], v[6:7]
	v_div_scale_f64 v[0:1], s[4:5], v[2:3], v[2:3], 1.0
	v_rcp_f64_e32 v[16:17], v[0:1]
	s_nop 0
	v_fma_f64 v[18:19], -v[0:1], v[16:17], 1.0
	v_fmac_f64_e32 v[16:17], v[16:17], v[18:19]
	v_fma_f64 v[18:19], -v[0:1], v[16:17], 1.0
	v_fmac_f64_e32 v[16:17], v[16:17], v[18:19]
	v_div_scale_f64 v[18:19], vcc, 1.0, v[2:3], 1.0
	v_mul_f64 v[20:21], v[18:19], v[16:17]
	v_fma_f64 v[0:1], -v[0:1], v[20:21], v[18:19]
	s_nop 1
	v_div_fmas_f64 v[0:1], v[0:1], v[16:17], v[20:21]
	v_div_fixup_f64 v[2:3], v[0:1], v[2:3], 1.0
	v_mul_f64 v[0:1], v[6:7], v[2:3]
	v_xor_b32_e32 v3, 0x80000000, v3
.LBB122_431:
	s_andn2_saveexec_b64 s[12:13], s[12:13]
	s_cbranch_execz .LBB122_433
; %bb.432:
	v_div_scale_f64 v[6:7], s[4:5], v[0:1], v[0:1], v[2:3]
	v_rcp_f64_e32 v[16:17], v[6:7]
	v_div_scale_f64 v[18:19], vcc, v[2:3], v[0:1], v[2:3]
	v_fma_f64 v[20:21], -v[6:7], v[16:17], 1.0
	v_fmac_f64_e32 v[16:17], v[16:17], v[20:21]
	v_fma_f64 v[20:21], -v[6:7], v[16:17], 1.0
	v_fmac_f64_e32 v[16:17], v[16:17], v[20:21]
	v_mul_f64 v[20:21], v[18:19], v[16:17]
	v_fma_f64 v[6:7], -v[6:7], v[20:21], v[18:19]
	v_div_fmas_f64 v[6:7], v[6:7], v[16:17], v[20:21]
	v_div_fixup_f64 v[6:7], v[6:7], v[0:1], v[2:3]
	v_fmac_f64_e32 v[0:1], v[2:3], v[6:7]
	v_div_scale_f64 v[2:3], s[4:5], v[0:1], v[0:1], 1.0
	v_rcp_f64_e32 v[16:17], v[2:3]
	s_nop 0
	v_fma_f64 v[18:19], -v[2:3], v[16:17], 1.0
	v_fmac_f64_e32 v[16:17], v[16:17], v[18:19]
	v_fma_f64 v[18:19], -v[2:3], v[16:17], 1.0
	v_fmac_f64_e32 v[16:17], v[16:17], v[18:19]
	v_div_scale_f64 v[18:19], vcc, 1.0, v[0:1], 1.0
	v_mul_f64 v[20:21], v[18:19], v[16:17]
	v_fma_f64 v[2:3], -v[2:3], v[20:21], v[18:19]
	s_nop 1
	v_div_fmas_f64 v[2:3], v[2:3], v[16:17], v[20:21]
	v_div_fixup_f64 v[0:1], v[2:3], v[0:1], 1.0
	v_mul_f64 v[2:3], v[6:7], -v[0:1]
.LBB122_433:
	s_or_b64 exec, exec, s[12:13]
.LBB122_434:
	s_or_b64 exec, exec, s[0:1]
	v_cmp_ne_u32_e32 vcc, v15, v4
	s_and_saveexec_b64 s[0:1], vcc
	s_xor_b64 s[0:1], exec, s[0:1]
	s_cbranch_execz .LBB122_440
; %bb.435:
	v_cmp_eq_u32_e32 vcc, 17, v15
	s_and_saveexec_b64 s[12:13], vcc
	s_cbranch_execz .LBB122_439
; %bb.436:
	v_cmp_ne_u32_e32 vcc, 17, v4
	s_xor_b64 s[4:5], s[18:19], -1
	s_and_b64 s[4:5], s[4:5], vcc
	s_and_saveexec_b64 s[14:15], s[4:5]
	s_cbranch_execz .LBB122_438
; %bb.437:
	v_ashrrev_i32_e32 v5, 31, v4
	v_lshl_add_u64 v[6:7], v[4:5], 2, v[10:11]
	global_load_dword v5, v[6:7], off
	global_load_dword v14, v[10:11], off offset:68
	s_waitcnt vmcnt(1)
	global_store_dword v[10:11], v5, off offset:68
	s_waitcnt vmcnt(1)
	global_store_dword v[6:7], v14, off
.LBB122_438:
	s_or_b64 exec, exec, s[14:15]
	v_mov_b32_e32 v15, v4
	v_mov_b32_e32 v14, v4
.LBB122_439:
	s_or_b64 exec, exec, s[12:13]
.LBB122_440:
	s_andn2_saveexec_b64 s[0:1], s[0:1]
	s_cbranch_execz .LBB122_444
; %bb.441:
	s_mov_b32 s4, 0
	v_add_u32_e32 v4, 0x120, v12
.LBB122_442:                            ; =>This Inner Loop Header: Depth=1
	s_add_i32 s12, s4, 0x120
	s_add_i32 s13, s4, 0x130
	;; [unrolled: 1-line block ×11, first 2 shown]
	scratch_load_dwordx4 v[16:19], off, s12
	scratch_load_dwordx4 v[20:23], off, s13
	scratch_load_dwordx4 v[24:27], off, s14
	scratch_load_dwordx4 v[28:31], off, s15
	scratch_load_dwordx4 v[32:35], off, s16
	scratch_load_dwordx4 v[36:39], off, s67
	scratch_load_dwordx4 v[40:43], off, s68
	scratch_load_dwordx4 v[44:47], off, s69
	scratch_load_dwordx4 v[48:51], off, s70
	scratch_load_dwordx4 v[52:55], off, s71
	scratch_load_dwordx4 v[56:59], off, s5
	v_add_u32_e32 v5, s4, v4
	s_addk_i32 s4, 0xb0
	s_cmpk_eq_i32 s4, 0x2c0
	s_waitcnt vmcnt(10)
	ds_write2_b64 v5, v[16:17], v[18:19] offset1:1
	s_waitcnt vmcnt(9)
	ds_write2_b64 v5, v[20:21], v[22:23] offset0:2 offset1:3
	s_waitcnt vmcnt(8)
	ds_write2_b64 v5, v[24:25], v[26:27] offset0:4 offset1:5
	;; [unrolled: 2-line block ×10, first 2 shown]
	s_cbranch_scc0 .LBB122_442
; %bb.443:
	v_mov_b32_e32 v15, 17
.LBB122_444:
	s_or_b64 exec, exec, s[0:1]
	v_cmp_lt_i32_e32 vcc, 17, v15
	s_waitcnt lgkmcnt(0)
	s_barrier
	s_and_saveexec_b64 s[0:1], vcc
	s_cbranch_execz .LBB122_447
; %bb.445:
	scratch_load_dwordx4 v[16:19], off, off offset:272
	s_mov_b32 s4, 0
	s_waitcnt vmcnt(0)
	v_mul_f64 v[4:5], v[2:3], v[18:19]
	v_mul_f64 v[6:7], v[0:1], v[18:19]
	v_fma_f64 v[4:5], v[0:1], v[16:17], -v[4:5]
	v_fmac_f64_e32 v[6:7], v[2:3], v[16:17]
	v_add_u32_e32 v0, 0x120, v12
	scratch_store_dwordx4 off, v[4:7], off offset:272
.LBB122_446:                            ; =>This Inner Loop Header: Depth=1
	s_add_i32 s12, s4, 0x120
	s_add_i32 s13, s4, 0x130
	;; [unrolled: 1-line block ×4, first 2 shown]
	scratch_load_dwordx4 v[16:19], off, s12
	scratch_load_dwordx4 v[20:23], off, s13
	;; [unrolled: 1-line block ×4, first 2 shown]
	v_add_u32_e32 v1, s4, v0
	ds_read2_b64 v[32:35], v1 offset1:1
	ds_read2_b64 v[36:39], v1 offset0:2 offset1:3
	ds_read2_b64 v[40:43], v1 offset0:4 offset1:5
	;; [unrolled: 1-line block ×3, first 2 shown]
	s_add_i32 s4, s4, 64
	s_waitcnt lgkmcnt(3)
	v_mul_f64 v[2:3], v[34:35], v[6:7]
	v_mul_f64 v[48:49], v[32:33], v[6:7]
	s_waitcnt lgkmcnt(2)
	v_mul_f64 v[50:51], v[38:39], v[6:7]
	v_mul_f64 v[52:53], v[36:37], v[6:7]
	;; [unrolled: 3-line block ×4, first 2 shown]
	v_fma_f64 v[2:3], v[32:33], v[4:5], -v[2:3]
	v_fmac_f64_e32 v[48:49], v[34:35], v[4:5]
	s_cmpk_lg_i32 s4, 0x2c0
	v_fma_f64 v[32:33], v[36:37], v[4:5], -v[50:51]
	v_fmac_f64_e32 v[52:53], v[38:39], v[4:5]
	v_fma_f64 v[34:35], v[40:41], v[4:5], -v[54:55]
	v_fmac_f64_e32 v[56:57], v[42:43], v[4:5]
	;; [unrolled: 2-line block ×3, first 2 shown]
	s_waitcnt vmcnt(3)
	v_add_f64 v[16:17], v[16:17], -v[2:3]
	v_add_f64 v[18:19], v[18:19], -v[48:49]
	s_waitcnt vmcnt(2)
	v_add_f64 v[20:21], v[20:21], -v[32:33]
	v_add_f64 v[22:23], v[22:23], -v[52:53]
	;; [unrolled: 3-line block ×4, first 2 shown]
	scratch_store_dwordx4 off, v[16:19], s12
	scratch_store_dwordx4 off, v[20:23], s13
	;; [unrolled: 1-line block ×4, first 2 shown]
	s_cbranch_scc1 .LBB122_446
.LBB122_447:
	s_or_b64 exec, exec, s[0:1]
	s_barrier
	scratch_load_dwordx4 v[0:3], off, s58
	v_lshl_add_u32 v4, v15, 4, v12
	s_cmp_lt_i32 s66, 20
	s_waitcnt vmcnt(0)
	ds_write2_b64 v4, v[0:1], v[2:3] offset1:1
	s_waitcnt lgkmcnt(0)
	s_barrier
	ds_read2_b64 v[0:3], v12 offset0:36 offset1:37
	v_mov_b32_e32 v4, 18
	s_cbranch_scc1 .LBB122_450
; %bb.448:
	v_add_u32_e32 v5, 0x130, v12
	s_mov_b32 s4, 19
	v_mov_b32_e32 v4, 18
.LBB122_449:                            ; =>This Inner Loop Header: Depth=1
	ds_read2_b64 v[16:19], v5 offset1:1
	s_waitcnt lgkmcnt(1)
	v_xor_b32_e32 v7, 0x80000000, v1
	v_xor_b32_e32 v21, 0x80000000, v3
	v_cmp_gt_f64_e32 vcc, 0, v[2:3]
	v_cmp_gt_f64_e64 s[0:1], 0, v[0:1]
	v_mov_b32_e32 v6, v0
	v_mov_b32_e32 v20, v2
	v_cndmask_b32_e64 v7, v1, v7, s[0:1]
	v_cndmask_b32_e32 v21, v3, v21, vcc
	v_add_f64 v[6:7], v[6:7], v[20:21]
	s_waitcnt lgkmcnt(0)
	v_xor_b32_e32 v21, 0x80000000, v17
	v_xor_b32_e32 v23, 0x80000000, v19
	v_cmp_gt_f64_e32 vcc, 0, v[18:19]
	v_cmp_gt_f64_e64 s[0:1], 0, v[16:17]
	v_mov_b32_e32 v20, v16
	v_mov_b32_e32 v22, v18
	v_cndmask_b32_e64 v21, v17, v21, s[0:1]
	v_cndmask_b32_e32 v23, v19, v23, vcc
	v_add_f64 v[20:21], v[20:21], v[22:23]
	v_mov_b32_e32 v24, s4
	s_add_i32 s4, s4, 1
	v_cmp_lt_f64_e32 vcc, v[6:7], v[20:21]
	v_add_u32_e32 v5, 16, v5
	s_cmp_lg_u32 s66, s4
	v_cndmask_b32_e32 v1, v1, v17, vcc
	v_cndmask_b32_e32 v0, v0, v16, vcc
	;; [unrolled: 1-line block ×5, first 2 shown]
	s_cbranch_scc1 .LBB122_449
.LBB122_450:
	s_waitcnt lgkmcnt(0)
	v_cmp_eq_f64_e32 vcc, 0, v[0:1]
	v_cmp_eq_f64_e64 s[0:1], 0, v[2:3]
	s_and_b64 s[0:1], vcc, s[0:1]
	s_and_saveexec_b64 s[4:5], s[0:1]
	s_xor_b64 s[0:1], exec, s[4:5]
; %bb.451:
	v_cmp_ne_u32_e32 vcc, 0, v13
	s_nop 1
	v_cndmask_b32_e32 v13, 19, v13, vcc
; %bb.452:
	s_andn2_saveexec_b64 s[0:1], s[0:1]
	s_cbranch_execz .LBB122_458
; %bb.453:
	v_cmp_ngt_f64_e64 s[4:5], |v[0:1]|, |v[2:3]|
	s_and_saveexec_b64 s[12:13], s[4:5]
	s_xor_b64 s[12:13], exec, s[12:13]
	s_cbranch_execz .LBB122_455
; %bb.454:
	v_div_scale_f64 v[6:7], s[4:5], v[2:3], v[2:3], v[0:1]
	v_rcp_f64_e32 v[16:17], v[6:7]
	v_div_scale_f64 v[18:19], vcc, v[0:1], v[2:3], v[0:1]
	v_fma_f64 v[20:21], -v[6:7], v[16:17], 1.0
	v_fmac_f64_e32 v[16:17], v[16:17], v[20:21]
	v_fma_f64 v[20:21], -v[6:7], v[16:17], 1.0
	v_fmac_f64_e32 v[16:17], v[16:17], v[20:21]
	v_mul_f64 v[20:21], v[18:19], v[16:17]
	v_fma_f64 v[6:7], -v[6:7], v[20:21], v[18:19]
	v_div_fmas_f64 v[6:7], v[6:7], v[16:17], v[20:21]
	v_div_fixup_f64 v[6:7], v[6:7], v[2:3], v[0:1]
	v_fmac_f64_e32 v[2:3], v[0:1], v[6:7]
	v_div_scale_f64 v[0:1], s[4:5], v[2:3], v[2:3], 1.0
	v_rcp_f64_e32 v[16:17], v[0:1]
	s_nop 0
	v_fma_f64 v[18:19], -v[0:1], v[16:17], 1.0
	v_fmac_f64_e32 v[16:17], v[16:17], v[18:19]
	v_fma_f64 v[18:19], -v[0:1], v[16:17], 1.0
	v_fmac_f64_e32 v[16:17], v[16:17], v[18:19]
	v_div_scale_f64 v[18:19], vcc, 1.0, v[2:3], 1.0
	v_mul_f64 v[20:21], v[18:19], v[16:17]
	v_fma_f64 v[0:1], -v[0:1], v[20:21], v[18:19]
	s_nop 1
	v_div_fmas_f64 v[0:1], v[0:1], v[16:17], v[20:21]
	v_div_fixup_f64 v[2:3], v[0:1], v[2:3], 1.0
	v_mul_f64 v[0:1], v[6:7], v[2:3]
	v_xor_b32_e32 v3, 0x80000000, v3
.LBB122_455:
	s_andn2_saveexec_b64 s[12:13], s[12:13]
	s_cbranch_execz .LBB122_457
; %bb.456:
	v_div_scale_f64 v[6:7], s[4:5], v[0:1], v[0:1], v[2:3]
	v_rcp_f64_e32 v[16:17], v[6:7]
	v_div_scale_f64 v[18:19], vcc, v[2:3], v[0:1], v[2:3]
	v_fma_f64 v[20:21], -v[6:7], v[16:17], 1.0
	v_fmac_f64_e32 v[16:17], v[16:17], v[20:21]
	v_fma_f64 v[20:21], -v[6:7], v[16:17], 1.0
	v_fmac_f64_e32 v[16:17], v[16:17], v[20:21]
	v_mul_f64 v[20:21], v[18:19], v[16:17]
	v_fma_f64 v[6:7], -v[6:7], v[20:21], v[18:19]
	v_div_fmas_f64 v[6:7], v[6:7], v[16:17], v[20:21]
	v_div_fixup_f64 v[6:7], v[6:7], v[0:1], v[2:3]
	v_fmac_f64_e32 v[0:1], v[2:3], v[6:7]
	v_div_scale_f64 v[2:3], s[4:5], v[0:1], v[0:1], 1.0
	v_rcp_f64_e32 v[16:17], v[2:3]
	s_nop 0
	v_fma_f64 v[18:19], -v[2:3], v[16:17], 1.0
	v_fmac_f64_e32 v[16:17], v[16:17], v[18:19]
	v_fma_f64 v[18:19], -v[2:3], v[16:17], 1.0
	v_fmac_f64_e32 v[16:17], v[16:17], v[18:19]
	v_div_scale_f64 v[18:19], vcc, 1.0, v[0:1], 1.0
	v_mul_f64 v[20:21], v[18:19], v[16:17]
	v_fma_f64 v[2:3], -v[2:3], v[20:21], v[18:19]
	s_nop 1
	v_div_fmas_f64 v[2:3], v[2:3], v[16:17], v[20:21]
	v_div_fixup_f64 v[0:1], v[2:3], v[0:1], 1.0
	v_mul_f64 v[2:3], v[6:7], -v[0:1]
.LBB122_457:
	s_or_b64 exec, exec, s[12:13]
.LBB122_458:
	s_or_b64 exec, exec, s[0:1]
	v_cmp_ne_u32_e32 vcc, v15, v4
	s_and_saveexec_b64 s[0:1], vcc
	s_xor_b64 s[0:1], exec, s[0:1]
	s_cbranch_execz .LBB122_464
; %bb.459:
	v_cmp_eq_u32_e32 vcc, 18, v15
	s_and_saveexec_b64 s[12:13], vcc
	s_cbranch_execz .LBB122_463
; %bb.460:
	v_cmp_ne_u32_e32 vcc, 18, v4
	s_xor_b64 s[4:5], s[18:19], -1
	s_and_b64 s[4:5], s[4:5], vcc
	s_and_saveexec_b64 s[14:15], s[4:5]
	s_cbranch_execz .LBB122_462
; %bb.461:
	v_ashrrev_i32_e32 v5, 31, v4
	v_lshl_add_u64 v[6:7], v[4:5], 2, v[10:11]
	global_load_dword v5, v[6:7], off
	global_load_dword v14, v[10:11], off offset:72
	s_waitcnt vmcnt(1)
	global_store_dword v[10:11], v5, off offset:72
	s_waitcnt vmcnt(1)
	global_store_dword v[6:7], v14, off
.LBB122_462:
	s_or_b64 exec, exec, s[14:15]
	v_mov_b32_e32 v15, v4
	v_mov_b32_e32 v14, v4
.LBB122_463:
	s_or_b64 exec, exec, s[12:13]
.LBB122_464:
	s_andn2_saveexec_b64 s[0:1], s[0:1]
	s_cbranch_execz .LBB122_470
; %bb.465:
	s_mov_b32 s4, 0
	v_add_u32_e32 v4, 0x130, v12
	s_branch .LBB122_467
.LBB122_466:                            ;   in Loop: Header=BB122_467 Depth=1
	s_andn2_b64 vcc, exec, s[12:13]
	s_cbranch_vccz .LBB122_469
.LBB122_467:                            ; =>This Inner Loop Header: Depth=1
	s_add_i32 s12, s4, 0x130
	s_add_i32 s13, s4, 0x140
	scratch_load_dwordx4 v[16:19], off, s12
	scratch_load_dwordx4 v[20:23], off, s13
	s_add_i32 s12, s4, 0x150
	scratch_load_dwordx4 v[24:27], off, s12
	s_mov_b32 s5, s4
	v_add_u32_e32 v5, s4, v4
	s_cmpk_eq_i32 s4, 0x280
	s_mov_b64 s[12:13], -1
	s_waitcnt vmcnt(2)
	ds_write2_b64 v5, v[16:17], v[18:19] offset1:1
	s_waitcnt vmcnt(1)
	ds_write2_b64 v5, v[20:21], v[22:23] offset0:2 offset1:3
	s_waitcnt vmcnt(0)
	ds_write2_b64 v5, v[24:25], v[26:27] offset0:4 offset1:5
	s_cbranch_scc1 .LBB122_466
; %bb.468:                              ;   in Loop: Header=BB122_467 Depth=1
	s_add_i32 s12, s5, 0x160
	s_add_i32 s13, s5, 0x170
	scratch_load_dwordx4 v[16:19], off, s12
	scratch_load_dwordx4 v[20:23], off, s13
	s_add_i32 s12, s5, 0x180
	s_add_i32 s13, s5, 0x190
	scratch_load_dwordx4 v[24:27], off, s12
	scratch_load_dwordx4 v[28:31], off, s13
	s_addk_i32 s5, 0x1a0
	scratch_load_dwordx4 v[32:35], off, s5
	s_addk_i32 s4, 0x80
	s_mov_b64 s[12:13], 0
	s_waitcnt vmcnt(4)
	ds_write2_b64 v5, v[16:17], v[18:19] offset0:6 offset1:7
	s_waitcnt vmcnt(3)
	ds_write2_b64 v5, v[20:21], v[22:23] offset0:8 offset1:9
	;; [unrolled: 2-line block ×5, first 2 shown]
	s_branch .LBB122_466
.LBB122_469:
	v_mov_b32_e32 v15, 18
.LBB122_470:
	s_or_b64 exec, exec, s[0:1]
	v_cmp_lt_i32_e32 vcc, 18, v15
	s_waitcnt lgkmcnt(0)
	s_barrier
	s_and_saveexec_b64 s[0:1], vcc
	s_cbranch_execz .LBB122_475
; %bb.471:
	scratch_load_dwordx4 v[16:19], off, off offset:288
	s_mov_b32 s14, 0
	s_waitcnt vmcnt(0)
	v_mul_f64 v[4:5], v[2:3], v[18:19]
	v_mul_f64 v[6:7], v[0:1], v[18:19]
	v_fma_f64 v[4:5], v[0:1], v[16:17], -v[4:5]
	v_fmac_f64_e32 v[6:7], v[2:3], v[16:17]
	v_add_u32_e32 v0, 0x130, v12
	scratch_store_dwordx4 off, v[4:7], off offset:288
	s_branch .LBB122_473
.LBB122_472:                            ;   in Loop: Header=BB122_473 Depth=1
	s_andn2_b64 vcc, exec, s[12:13]
	s_cbranch_vccz .LBB122_475
.LBB122_473:                            ; =>This Inner Loop Header: Depth=1
	s_add_i32 s4, s14, 0x130
	scratch_load_dwordx4 v[16:19], off, s4
	s_add_i32 s5, s14, 0x140
	s_add_i32 s12, s14, 0x150
	scratch_load_dwordx4 v[20:23], off, s5
	scratch_load_dwordx4 v[24:27], off, s12
	v_add_u32_e32 v1, s14, v0
	ds_read2_b64 v[28:31], v1 offset1:1
	ds_read2_b64 v[32:35], v1 offset0:2 offset1:3
	ds_read2_b64 v[36:39], v1 offset0:4 offset1:5
	s_mov_b32 s15, s14
	s_cmpk_eq_i32 s14, 0x280
	s_waitcnt lgkmcnt(2)
	v_mul_f64 v[2:3], v[30:31], v[6:7]
	v_mul_f64 v[40:41], v[28:29], v[6:7]
	s_waitcnt lgkmcnt(1)
	v_mul_f64 v[42:43], v[34:35], v[6:7]
	v_mul_f64 v[44:45], v[32:33], v[6:7]
	;; [unrolled: 3-line block ×3, first 2 shown]
	v_fma_f64 v[2:3], v[28:29], v[4:5], -v[2:3]
	v_fmac_f64_e32 v[40:41], v[30:31], v[4:5]
	v_fma_f64 v[28:29], v[32:33], v[4:5], -v[42:43]
	v_fmac_f64_e32 v[44:45], v[34:35], v[4:5]
	;; [unrolled: 2-line block ×3, first 2 shown]
	s_waitcnt vmcnt(2)
	v_add_f64 v[16:17], v[16:17], -v[2:3]
	v_add_f64 v[18:19], v[18:19], -v[40:41]
	s_waitcnt vmcnt(1)
	v_add_f64 v[20:21], v[20:21], -v[28:29]
	v_add_f64 v[22:23], v[22:23], -v[44:45]
	s_waitcnt vmcnt(0)
	v_add_f64 v[24:25], v[24:25], -v[30:31]
	v_add_f64 v[26:27], v[26:27], -v[48:49]
	scratch_store_dwordx4 off, v[16:19], s4
	scratch_store_dwordx4 off, v[20:23], s5
	;; [unrolled: 1-line block ×3, first 2 shown]
	s_mov_b64 s[12:13], -1
	s_cbranch_scc1 .LBB122_472
; %bb.474:                              ;   in Loop: Header=BB122_473 Depth=1
	s_add_i32 s4, s15, 0x160
	scratch_load_dwordx4 v[16:19], off, s4
	s_add_i32 s5, s15, 0x170
	s_add_i32 s12, s15, 0x180
	;; [unrolled: 1-line block ×3, first 2 shown]
	s_addk_i32 s15, 0x1a0
	scratch_load_dwordx4 v[20:23], off, s5
	scratch_load_dwordx4 v[24:27], off, s12
	;; [unrolled: 1-line block ×4, first 2 shown]
	ds_read2_b64 v[36:39], v1 offset0:6 offset1:7
	ds_read2_b64 v[40:43], v1 offset0:8 offset1:9
	;; [unrolled: 1-line block ×5, first 2 shown]
	s_waitcnt lgkmcnt(4)
	v_mul_f64 v[2:3], v[38:39], v[6:7]
	v_mul_f64 v[56:57], v[36:37], v[6:7]
	s_waitcnt lgkmcnt(3)
	v_mul_f64 v[58:59], v[42:43], v[6:7]
	v_mul_f64 v[60:61], v[40:41], v[6:7]
	;; [unrolled: 3-line block ×5, first 2 shown]
	v_fma_f64 v[2:3], v[36:37], v[4:5], -v[2:3]
	v_fmac_f64_e32 v[56:57], v[38:39], v[4:5]
	v_fma_f64 v[36:37], v[40:41], v[4:5], -v[58:59]
	v_fmac_f64_e32 v[60:61], v[42:43], v[4:5]
	;; [unrolled: 2-line block ×5, first 2 shown]
	s_addk_i32 s14, 0x80
	s_waitcnt vmcnt(4)
	v_add_f64 v[16:17], v[16:17], -v[2:3]
	v_add_f64 v[18:19], v[18:19], -v[56:57]
	s_waitcnt vmcnt(3)
	v_add_f64 v[20:21], v[20:21], -v[36:37]
	v_add_f64 v[22:23], v[22:23], -v[60:61]
	;; [unrolled: 3-line block ×5, first 2 shown]
	scratch_store_dwordx4 off, v[16:19], s4
	scratch_store_dwordx4 off, v[20:23], s5
	;; [unrolled: 1-line block ×5, first 2 shown]
	s_mov_b64 s[12:13], 0
	s_branch .LBB122_472
.LBB122_475:
	s_or_b64 exec, exec, s[0:1]
	s_barrier
	scratch_load_dwordx4 v[0:3], off, s54
	v_lshl_add_u32 v4, v15, 4, v12
	s_cmp_lt_i32 s66, 21
	s_waitcnt vmcnt(0)
	ds_write2_b64 v4, v[0:1], v[2:3] offset1:1
	s_waitcnt lgkmcnt(0)
	s_barrier
	ds_read2_b64 v[0:3], v12 offset0:38 offset1:39
	v_mov_b32_e32 v4, 19
	s_cbranch_scc1 .LBB122_478
; %bb.476:
	v_add_u32_e32 v5, 0x140, v12
	s_mov_b32 s4, 20
	v_mov_b32_e32 v4, 19
.LBB122_477:                            ; =>This Inner Loop Header: Depth=1
	ds_read2_b64 v[16:19], v5 offset1:1
	s_waitcnt lgkmcnt(1)
	v_xor_b32_e32 v7, 0x80000000, v1
	v_xor_b32_e32 v21, 0x80000000, v3
	v_cmp_gt_f64_e32 vcc, 0, v[2:3]
	v_cmp_gt_f64_e64 s[0:1], 0, v[0:1]
	v_mov_b32_e32 v6, v0
	v_mov_b32_e32 v20, v2
	v_cndmask_b32_e64 v7, v1, v7, s[0:1]
	v_cndmask_b32_e32 v21, v3, v21, vcc
	v_add_f64 v[6:7], v[6:7], v[20:21]
	s_waitcnt lgkmcnt(0)
	v_xor_b32_e32 v21, 0x80000000, v17
	v_xor_b32_e32 v23, 0x80000000, v19
	v_cmp_gt_f64_e32 vcc, 0, v[18:19]
	v_cmp_gt_f64_e64 s[0:1], 0, v[16:17]
	v_mov_b32_e32 v20, v16
	v_mov_b32_e32 v22, v18
	v_cndmask_b32_e64 v21, v17, v21, s[0:1]
	v_cndmask_b32_e32 v23, v19, v23, vcc
	v_add_f64 v[20:21], v[20:21], v[22:23]
	v_mov_b32_e32 v24, s4
	s_add_i32 s4, s4, 1
	v_cmp_lt_f64_e32 vcc, v[6:7], v[20:21]
	v_add_u32_e32 v5, 16, v5
	s_cmp_lg_u32 s66, s4
	v_cndmask_b32_e32 v1, v1, v17, vcc
	v_cndmask_b32_e32 v0, v0, v16, vcc
	;; [unrolled: 1-line block ×5, first 2 shown]
	s_cbranch_scc1 .LBB122_477
.LBB122_478:
	s_waitcnt lgkmcnt(0)
	v_cmp_eq_f64_e32 vcc, 0, v[0:1]
	v_cmp_eq_f64_e64 s[0:1], 0, v[2:3]
	s_and_b64 s[0:1], vcc, s[0:1]
	s_and_saveexec_b64 s[4:5], s[0:1]
	s_xor_b64 s[0:1], exec, s[4:5]
; %bb.479:
	v_cmp_ne_u32_e32 vcc, 0, v13
	s_nop 1
	v_cndmask_b32_e32 v13, 20, v13, vcc
; %bb.480:
	s_andn2_saveexec_b64 s[0:1], s[0:1]
	s_cbranch_execz .LBB122_486
; %bb.481:
	v_cmp_ngt_f64_e64 s[4:5], |v[0:1]|, |v[2:3]|
	s_and_saveexec_b64 s[12:13], s[4:5]
	s_xor_b64 s[12:13], exec, s[12:13]
	s_cbranch_execz .LBB122_483
; %bb.482:
	v_div_scale_f64 v[6:7], s[4:5], v[2:3], v[2:3], v[0:1]
	v_rcp_f64_e32 v[16:17], v[6:7]
	v_div_scale_f64 v[18:19], vcc, v[0:1], v[2:3], v[0:1]
	v_fma_f64 v[20:21], -v[6:7], v[16:17], 1.0
	v_fmac_f64_e32 v[16:17], v[16:17], v[20:21]
	v_fma_f64 v[20:21], -v[6:7], v[16:17], 1.0
	v_fmac_f64_e32 v[16:17], v[16:17], v[20:21]
	v_mul_f64 v[20:21], v[18:19], v[16:17]
	v_fma_f64 v[6:7], -v[6:7], v[20:21], v[18:19]
	v_div_fmas_f64 v[6:7], v[6:7], v[16:17], v[20:21]
	v_div_fixup_f64 v[6:7], v[6:7], v[2:3], v[0:1]
	v_fmac_f64_e32 v[2:3], v[0:1], v[6:7]
	v_div_scale_f64 v[0:1], s[4:5], v[2:3], v[2:3], 1.0
	v_rcp_f64_e32 v[16:17], v[0:1]
	s_nop 0
	v_fma_f64 v[18:19], -v[0:1], v[16:17], 1.0
	v_fmac_f64_e32 v[16:17], v[16:17], v[18:19]
	v_fma_f64 v[18:19], -v[0:1], v[16:17], 1.0
	v_fmac_f64_e32 v[16:17], v[16:17], v[18:19]
	v_div_scale_f64 v[18:19], vcc, 1.0, v[2:3], 1.0
	v_mul_f64 v[20:21], v[18:19], v[16:17]
	v_fma_f64 v[0:1], -v[0:1], v[20:21], v[18:19]
	s_nop 1
	v_div_fmas_f64 v[0:1], v[0:1], v[16:17], v[20:21]
	v_div_fixup_f64 v[2:3], v[0:1], v[2:3], 1.0
	v_mul_f64 v[0:1], v[6:7], v[2:3]
	v_xor_b32_e32 v3, 0x80000000, v3
.LBB122_483:
	s_andn2_saveexec_b64 s[12:13], s[12:13]
	s_cbranch_execz .LBB122_485
; %bb.484:
	v_div_scale_f64 v[6:7], s[4:5], v[0:1], v[0:1], v[2:3]
	v_rcp_f64_e32 v[16:17], v[6:7]
	v_div_scale_f64 v[18:19], vcc, v[2:3], v[0:1], v[2:3]
	v_fma_f64 v[20:21], -v[6:7], v[16:17], 1.0
	v_fmac_f64_e32 v[16:17], v[16:17], v[20:21]
	v_fma_f64 v[20:21], -v[6:7], v[16:17], 1.0
	v_fmac_f64_e32 v[16:17], v[16:17], v[20:21]
	v_mul_f64 v[20:21], v[18:19], v[16:17]
	v_fma_f64 v[6:7], -v[6:7], v[20:21], v[18:19]
	v_div_fmas_f64 v[6:7], v[6:7], v[16:17], v[20:21]
	v_div_fixup_f64 v[6:7], v[6:7], v[0:1], v[2:3]
	v_fmac_f64_e32 v[0:1], v[2:3], v[6:7]
	v_div_scale_f64 v[2:3], s[4:5], v[0:1], v[0:1], 1.0
	v_rcp_f64_e32 v[16:17], v[2:3]
	s_nop 0
	v_fma_f64 v[18:19], -v[2:3], v[16:17], 1.0
	v_fmac_f64_e32 v[16:17], v[16:17], v[18:19]
	v_fma_f64 v[18:19], -v[2:3], v[16:17], 1.0
	v_fmac_f64_e32 v[16:17], v[16:17], v[18:19]
	v_div_scale_f64 v[18:19], vcc, 1.0, v[0:1], 1.0
	v_mul_f64 v[20:21], v[18:19], v[16:17]
	v_fma_f64 v[2:3], -v[2:3], v[20:21], v[18:19]
	s_nop 1
	v_div_fmas_f64 v[2:3], v[2:3], v[16:17], v[20:21]
	v_div_fixup_f64 v[0:1], v[2:3], v[0:1], 1.0
	v_mul_f64 v[2:3], v[6:7], -v[0:1]
.LBB122_485:
	s_or_b64 exec, exec, s[12:13]
.LBB122_486:
	s_or_b64 exec, exec, s[0:1]
	v_cmp_ne_u32_e32 vcc, v15, v4
	s_and_saveexec_b64 s[0:1], vcc
	s_xor_b64 s[0:1], exec, s[0:1]
	s_cbranch_execz .LBB122_492
; %bb.487:
	v_cmp_eq_u32_e32 vcc, 19, v15
	s_and_saveexec_b64 s[12:13], vcc
	s_cbranch_execz .LBB122_491
; %bb.488:
	v_cmp_ne_u32_e32 vcc, 19, v4
	s_xor_b64 s[4:5], s[18:19], -1
	s_and_b64 s[4:5], s[4:5], vcc
	s_and_saveexec_b64 s[14:15], s[4:5]
	s_cbranch_execz .LBB122_490
; %bb.489:
	v_ashrrev_i32_e32 v5, 31, v4
	v_lshl_add_u64 v[6:7], v[4:5], 2, v[10:11]
	global_load_dword v5, v[6:7], off
	global_load_dword v14, v[10:11], off offset:76
	s_waitcnt vmcnt(1)
	global_store_dword v[10:11], v5, off offset:76
	s_waitcnt vmcnt(1)
	global_store_dword v[6:7], v14, off
.LBB122_490:
	s_or_b64 exec, exec, s[14:15]
	v_mov_b32_e32 v15, v4
	v_mov_b32_e32 v14, v4
.LBB122_491:
	s_or_b64 exec, exec, s[12:13]
.LBB122_492:
	s_andn2_saveexec_b64 s[0:1], s[0:1]
	s_cbranch_execz .LBB122_496
; %bb.493:
	s_mov_b32 s4, 0
	v_add_u32_e32 v4, 0x140, v12
.LBB122_494:                            ; =>This Inner Loop Header: Depth=1
	s_add_i32 s12, s4, 0x140
	s_add_i32 s13, s4, 0x150
	;; [unrolled: 1-line block ×14, first 2 shown]
	scratch_load_dwordx4 v[16:19], off, s12
	scratch_load_dwordx4 v[20:23], off, s13
	;; [unrolled: 1-line block ×14, first 2 shown]
	v_add_u32_e32 v5, s4, v4
	s_addk_i32 s4, 0xe0
	s_cmpk_eq_i32 s4, 0x2a0
	s_waitcnt vmcnt(13)
	ds_write2_b64 v5, v[16:17], v[18:19] offset1:1
	s_waitcnt vmcnt(12)
	ds_write2_b64 v5, v[20:21], v[22:23] offset0:2 offset1:3
	s_waitcnt vmcnt(11)
	ds_write2_b64 v5, v[24:25], v[26:27] offset0:4 offset1:5
	;; [unrolled: 2-line block ×13, first 2 shown]
	s_cbranch_scc0 .LBB122_494
; %bb.495:
	v_mov_b32_e32 v15, 19
.LBB122_496:
	s_or_b64 exec, exec, s[0:1]
	v_cmp_lt_i32_e32 vcc, 19, v15
	s_waitcnt lgkmcnt(0)
	s_barrier
	s_and_saveexec_b64 s[0:1], vcc
	s_cbranch_execz .LBB122_499
; %bb.497:
	scratch_load_dwordx4 v[16:19], off, off offset:304
	s_mov_b32 s12, 0
	s_waitcnt vmcnt(0)
	v_mul_f64 v[4:5], v[2:3], v[18:19]
	v_mul_f64 v[6:7], v[0:1], v[18:19]
	v_fma_f64 v[4:5], v[0:1], v[16:17], -v[4:5]
	v_fmac_f64_e32 v[6:7], v[2:3], v[16:17]
	v_add_u32_e32 v0, 0x140, v12
	scratch_store_dwordx4 off, v[4:7], off offset:304
.LBB122_498:                            ; =>This Inner Loop Header: Depth=1
	v_add_u32_e32 v1, s12, v0
	ds_read2_b64 v[16:19], v1 offset1:1
	ds_read2_b64 v[20:23], v1 offset0:2 offset1:3
	ds_read2_b64 v[24:27], v1 offset0:4 offset1:5
	;; [unrolled: 1-line block ×5, first 2 shown]
	s_add_i32 s13, s12, 0x140
	s_add_i32 s5, s12, 0x150
	;; [unrolled: 1-line block ×6, first 2 shown]
	scratch_load_dwordx4 v[40:43], off, s13
	scratch_load_dwordx4 v[44:47], off, s5
	;; [unrolled: 1-line block ×6, first 2 shown]
	s_waitcnt lgkmcnt(5)
	v_mul_f64 v[2:3], v[18:19], v[6:7]
	v_mul_f64 v[64:65], v[16:17], v[6:7]
	s_waitcnt lgkmcnt(4)
	v_mul_f64 v[66:67], v[22:23], v[6:7]
	v_mul_f64 v[68:69], v[20:21], v[6:7]
	;; [unrolled: 3-line block ×6, first 2 shown]
	s_add_i32 s4, s12, 0x1a0
	v_fma_f64 v[2:3], v[16:17], v[4:5], -v[2:3]
	v_fmac_f64_e32 v[64:65], v[18:19], v[4:5]
	v_fma_f64 v[66:67], v[20:21], v[4:5], -v[66:67]
	v_fmac_f64_e32 v[68:69], v[22:23], v[4:5]
	;; [unrolled: 2-line block ×6, first 2 shown]
	scratch_load_dwordx4 v[4:7], off, off offset:304
	scratch_load_dwordx4 v[16:19], off, s4
	ds_read2_b64 v[20:23], v1 offset0:12 offset1:13
	s_addk_i32 s12, 0x70
	s_cmpk_lg_i32 s12, 0x2a0
	s_waitcnt vmcnt(7)
	v_add_f64 v[24:25], v[40:41], -v[2:3]
	v_add_f64 v[26:27], v[42:43], -v[64:65]
	s_waitcnt vmcnt(6)
	v_add_f64 v[28:29], v[44:45], -v[66:67]
	v_add_f64 v[30:31], v[46:47], -v[68:69]
	s_waitcnt vmcnt(5)
	v_add_f64 v[32:33], v[48:49], -v[70:71]
	v_add_f64 v[34:35], v[50:51], -v[72:73]
	s_waitcnt vmcnt(4)
	v_add_f64 v[36:37], v[52:53], -v[74:75]
	v_add_f64 v[38:39], v[54:55], -v[76:77]
	s_waitcnt vmcnt(3)
	v_add_f64 v[40:41], v[56:57], -v[78:79]
	v_add_f64 v[42:43], v[58:59], -v[80:81]
	s_waitcnt vmcnt(2)
	v_add_f64 v[44:45], v[60:61], -v[82:83]
	v_add_f64 v[46:47], v[62:63], -v[84:85]
	scratch_store_dwordx4 off, v[24:27], s13
	scratch_store_dwordx4 off, v[28:31], s5
	;; [unrolled: 1-line block ×6, first 2 shown]
	s_waitcnt vmcnt(7) lgkmcnt(0)
	v_mul_f64 v[2:3], v[22:23], v[6:7]
	v_mul_f64 v[24:25], v[20:21], v[6:7]
	v_fma_f64 v[2:3], v[20:21], v[4:5], -v[2:3]
	v_fmac_f64_e32 v[24:25], v[22:23], v[4:5]
	s_waitcnt vmcnt(6)
	v_add_f64 v[16:17], v[16:17], -v[2:3]
	v_add_f64 v[18:19], v[18:19], -v[24:25]
	scratch_store_dwordx4 off, v[16:19], s4
	s_cbranch_scc1 .LBB122_498
.LBB122_499:
	s_or_b64 exec, exec, s[0:1]
	s_barrier
	scratch_load_dwordx4 v[0:3], off, s61
	v_lshl_add_u32 v4, v15, 4, v12
	s_cmp_lt_i32 s66, 22
	s_waitcnt vmcnt(0)
	ds_write2_b64 v4, v[0:1], v[2:3] offset1:1
	s_waitcnt lgkmcnt(0)
	s_barrier
	ds_read2_b64 v[0:3], v12 offset0:40 offset1:41
	v_mov_b32_e32 v4, 20
	s_cbranch_scc1 .LBB122_502
; %bb.500:
	v_add_u32_e32 v5, 0x150, v12
	s_mov_b32 s4, 21
	v_mov_b32_e32 v4, 20
.LBB122_501:                            ; =>This Inner Loop Header: Depth=1
	ds_read2_b64 v[16:19], v5 offset1:1
	s_waitcnt lgkmcnt(1)
	v_xor_b32_e32 v7, 0x80000000, v1
	v_xor_b32_e32 v21, 0x80000000, v3
	v_cmp_gt_f64_e32 vcc, 0, v[2:3]
	v_cmp_gt_f64_e64 s[0:1], 0, v[0:1]
	v_mov_b32_e32 v6, v0
	v_mov_b32_e32 v20, v2
	v_cndmask_b32_e64 v7, v1, v7, s[0:1]
	v_cndmask_b32_e32 v21, v3, v21, vcc
	v_add_f64 v[6:7], v[6:7], v[20:21]
	s_waitcnt lgkmcnt(0)
	v_xor_b32_e32 v21, 0x80000000, v17
	v_xor_b32_e32 v23, 0x80000000, v19
	v_cmp_gt_f64_e32 vcc, 0, v[18:19]
	v_cmp_gt_f64_e64 s[0:1], 0, v[16:17]
	v_mov_b32_e32 v20, v16
	v_mov_b32_e32 v22, v18
	v_cndmask_b32_e64 v21, v17, v21, s[0:1]
	v_cndmask_b32_e32 v23, v19, v23, vcc
	v_add_f64 v[20:21], v[20:21], v[22:23]
	v_mov_b32_e32 v24, s4
	s_add_i32 s4, s4, 1
	v_cmp_lt_f64_e32 vcc, v[6:7], v[20:21]
	v_add_u32_e32 v5, 16, v5
	s_cmp_lg_u32 s66, s4
	v_cndmask_b32_e32 v1, v1, v17, vcc
	v_cndmask_b32_e32 v0, v0, v16, vcc
	v_cndmask_b32_e32 v3, v3, v19, vcc
	v_cndmask_b32_e32 v2, v2, v18, vcc
	v_cndmask_b32_e32 v4, v4, v24, vcc
	s_cbranch_scc1 .LBB122_501
.LBB122_502:
	s_waitcnt lgkmcnt(0)
	v_cmp_eq_f64_e32 vcc, 0, v[0:1]
	v_cmp_eq_f64_e64 s[0:1], 0, v[2:3]
	s_and_b64 s[0:1], vcc, s[0:1]
	s_and_saveexec_b64 s[4:5], s[0:1]
	s_xor_b64 s[0:1], exec, s[4:5]
; %bb.503:
	v_cmp_ne_u32_e32 vcc, 0, v13
	s_nop 1
	v_cndmask_b32_e32 v13, 21, v13, vcc
; %bb.504:
	s_andn2_saveexec_b64 s[0:1], s[0:1]
	s_cbranch_execz .LBB122_510
; %bb.505:
	v_cmp_ngt_f64_e64 s[4:5], |v[0:1]|, |v[2:3]|
	s_and_saveexec_b64 s[12:13], s[4:5]
	s_xor_b64 s[12:13], exec, s[12:13]
	s_cbranch_execz .LBB122_507
; %bb.506:
	v_div_scale_f64 v[6:7], s[4:5], v[2:3], v[2:3], v[0:1]
	v_rcp_f64_e32 v[16:17], v[6:7]
	v_div_scale_f64 v[18:19], vcc, v[0:1], v[2:3], v[0:1]
	v_fma_f64 v[20:21], -v[6:7], v[16:17], 1.0
	v_fmac_f64_e32 v[16:17], v[16:17], v[20:21]
	v_fma_f64 v[20:21], -v[6:7], v[16:17], 1.0
	v_fmac_f64_e32 v[16:17], v[16:17], v[20:21]
	v_mul_f64 v[20:21], v[18:19], v[16:17]
	v_fma_f64 v[6:7], -v[6:7], v[20:21], v[18:19]
	v_div_fmas_f64 v[6:7], v[6:7], v[16:17], v[20:21]
	v_div_fixup_f64 v[6:7], v[6:7], v[2:3], v[0:1]
	v_fmac_f64_e32 v[2:3], v[0:1], v[6:7]
	v_div_scale_f64 v[0:1], s[4:5], v[2:3], v[2:3], 1.0
	v_rcp_f64_e32 v[16:17], v[0:1]
	s_nop 0
	v_fma_f64 v[18:19], -v[0:1], v[16:17], 1.0
	v_fmac_f64_e32 v[16:17], v[16:17], v[18:19]
	v_fma_f64 v[18:19], -v[0:1], v[16:17], 1.0
	v_fmac_f64_e32 v[16:17], v[16:17], v[18:19]
	v_div_scale_f64 v[18:19], vcc, 1.0, v[2:3], 1.0
	v_mul_f64 v[20:21], v[18:19], v[16:17]
	v_fma_f64 v[0:1], -v[0:1], v[20:21], v[18:19]
	s_nop 1
	v_div_fmas_f64 v[0:1], v[0:1], v[16:17], v[20:21]
	v_div_fixup_f64 v[2:3], v[0:1], v[2:3], 1.0
	v_mul_f64 v[0:1], v[6:7], v[2:3]
	v_xor_b32_e32 v3, 0x80000000, v3
.LBB122_507:
	s_andn2_saveexec_b64 s[12:13], s[12:13]
	s_cbranch_execz .LBB122_509
; %bb.508:
	v_div_scale_f64 v[6:7], s[4:5], v[0:1], v[0:1], v[2:3]
	v_rcp_f64_e32 v[16:17], v[6:7]
	v_div_scale_f64 v[18:19], vcc, v[2:3], v[0:1], v[2:3]
	v_fma_f64 v[20:21], -v[6:7], v[16:17], 1.0
	v_fmac_f64_e32 v[16:17], v[16:17], v[20:21]
	v_fma_f64 v[20:21], -v[6:7], v[16:17], 1.0
	v_fmac_f64_e32 v[16:17], v[16:17], v[20:21]
	v_mul_f64 v[20:21], v[18:19], v[16:17]
	v_fma_f64 v[6:7], -v[6:7], v[20:21], v[18:19]
	v_div_fmas_f64 v[6:7], v[6:7], v[16:17], v[20:21]
	v_div_fixup_f64 v[6:7], v[6:7], v[0:1], v[2:3]
	v_fmac_f64_e32 v[0:1], v[2:3], v[6:7]
	v_div_scale_f64 v[2:3], s[4:5], v[0:1], v[0:1], 1.0
	v_rcp_f64_e32 v[16:17], v[2:3]
	s_nop 0
	v_fma_f64 v[18:19], -v[2:3], v[16:17], 1.0
	v_fmac_f64_e32 v[16:17], v[16:17], v[18:19]
	v_fma_f64 v[18:19], -v[2:3], v[16:17], 1.0
	v_fmac_f64_e32 v[16:17], v[16:17], v[18:19]
	v_div_scale_f64 v[18:19], vcc, 1.0, v[0:1], 1.0
	v_mul_f64 v[20:21], v[18:19], v[16:17]
	v_fma_f64 v[2:3], -v[2:3], v[20:21], v[18:19]
	s_nop 1
	v_div_fmas_f64 v[2:3], v[2:3], v[16:17], v[20:21]
	v_div_fixup_f64 v[0:1], v[2:3], v[0:1], 1.0
	v_mul_f64 v[2:3], v[6:7], -v[0:1]
.LBB122_509:
	s_or_b64 exec, exec, s[12:13]
.LBB122_510:
	s_or_b64 exec, exec, s[0:1]
	v_cmp_ne_u32_e32 vcc, v15, v4
	s_and_saveexec_b64 s[0:1], vcc
	s_xor_b64 s[0:1], exec, s[0:1]
	s_cbranch_execz .LBB122_516
; %bb.511:
	v_cmp_eq_u32_e32 vcc, 20, v15
	s_and_saveexec_b64 s[12:13], vcc
	s_cbranch_execz .LBB122_515
; %bb.512:
	v_cmp_ne_u32_e32 vcc, 20, v4
	s_xor_b64 s[4:5], s[18:19], -1
	s_and_b64 s[4:5], s[4:5], vcc
	s_and_saveexec_b64 s[14:15], s[4:5]
	s_cbranch_execz .LBB122_514
; %bb.513:
	v_ashrrev_i32_e32 v5, 31, v4
	v_lshl_add_u64 v[6:7], v[4:5], 2, v[10:11]
	global_load_dword v5, v[6:7], off
	global_load_dword v14, v[10:11], off offset:80
	s_waitcnt vmcnt(1)
	global_store_dword v[10:11], v5, off offset:80
	s_waitcnt vmcnt(1)
	global_store_dword v[6:7], v14, off
.LBB122_514:
	s_or_b64 exec, exec, s[14:15]
	v_mov_b32_e32 v15, v4
	v_mov_b32_e32 v14, v4
.LBB122_515:
	s_or_b64 exec, exec, s[12:13]
.LBB122_516:
	s_andn2_saveexec_b64 s[0:1], s[0:1]
	s_cbranch_execz .LBB122_522
; %bb.517:
	s_mov_b32 s4, 0
	v_add_u32_e32 v4, 0x150, v12
	s_branch .LBB122_519
.LBB122_518:                            ;   in Loop: Header=BB122_519 Depth=1
	s_andn2_b64 vcc, exec, s[12:13]
	s_cbranch_vccz .LBB122_521
.LBB122_519:                            ; =>This Inner Loop Header: Depth=1
	s_add_i32 s12, s4, 0x150
	scratch_load_dwordx4 v[16:19], off, s12
	s_mov_b32 s5, s4
	v_add_u32_e32 v5, s4, v4
	s_cmpk_eq_i32 s4, 0x280
	s_mov_b64 s[12:13], -1
	s_waitcnt vmcnt(0)
	ds_write2_b64 v5, v[16:17], v[18:19] offset1:1
	s_cbranch_scc1 .LBB122_518
; %bb.520:                              ;   in Loop: Header=BB122_519 Depth=1
	s_add_i32 s12, s5, 0x160
	s_add_i32 s13, s5, 0x170
	scratch_load_dwordx4 v[16:19], off, s12
	scratch_load_dwordx4 v[20:23], off, s13
	s_add_i32 s12, s5, 0x180
	s_add_i32 s13, s5, 0x190
	scratch_load_dwordx4 v[24:27], off, s12
	scratch_load_dwordx4 v[28:31], off, s13
	;; [unrolled: 4-line block ×3, first 2 shown]
	s_addk_i32 s5, 0x1c0
	scratch_load_dwordx4 v[40:43], off, s5
	s_addk_i32 s4, 0x80
	s_mov_b64 s[12:13], 0
	s_waitcnt vmcnt(6)
	ds_write2_b64 v5, v[16:17], v[18:19] offset0:2 offset1:3
	s_waitcnt vmcnt(5)
	ds_write2_b64 v5, v[20:21], v[22:23] offset0:4 offset1:5
	s_waitcnt vmcnt(4)
	ds_write2_b64 v5, v[24:25], v[26:27] offset0:6 offset1:7
	s_waitcnt vmcnt(3)
	ds_write2_b64 v5, v[28:29], v[30:31] offset0:8 offset1:9
	s_waitcnt vmcnt(2)
	ds_write2_b64 v5, v[32:33], v[34:35] offset0:10 offset1:11
	s_waitcnt vmcnt(1)
	ds_write2_b64 v5, v[36:37], v[38:39] offset0:12 offset1:13
	s_waitcnt vmcnt(0)
	ds_write2_b64 v5, v[40:41], v[42:43] offset0:14 offset1:15
	s_branch .LBB122_518
.LBB122_521:
	v_mov_b32_e32 v15, 20
.LBB122_522:
	s_or_b64 exec, exec, s[0:1]
	v_cmp_lt_i32_e32 vcc, 20, v15
	s_waitcnt lgkmcnt(0)
	s_barrier
	s_and_saveexec_b64 s[0:1], vcc
	s_cbranch_execz .LBB122_527
; %bb.523:
	scratch_load_dwordx4 v[16:19], off, off offset:320
	s_mov_b32 s14, 0
	s_waitcnt vmcnt(0)
	v_mul_f64 v[4:5], v[2:3], v[18:19]
	v_mul_f64 v[6:7], v[0:1], v[18:19]
	v_fma_f64 v[4:5], v[0:1], v[16:17], -v[4:5]
	v_fmac_f64_e32 v[6:7], v[2:3], v[16:17]
	v_add_u32_e32 v0, 0x150, v12
	scratch_store_dwordx4 off, v[4:7], off offset:320
	s_branch .LBB122_525
.LBB122_524:                            ;   in Loop: Header=BB122_525 Depth=1
	s_andn2_b64 vcc, exec, s[12:13]
	s_cbranch_vccz .LBB122_527
.LBB122_525:                            ; =>This Inner Loop Header: Depth=1
	s_add_i32 s4, s14, 0x150
	scratch_load_dwordx4 v[16:19], off, s4
	v_add_u32_e32 v1, s14, v0
	ds_read2_b64 v[20:23], v1 offset1:1
	s_mov_b32 s15, s14
	s_cmpk_eq_i32 s14, 0x280
	s_mov_b64 s[12:13], -1
	s_waitcnt lgkmcnt(0)
	v_mul_f64 v[2:3], v[22:23], v[6:7]
	v_mul_f64 v[24:25], v[20:21], v[6:7]
	v_fma_f64 v[2:3], v[20:21], v[4:5], -v[2:3]
	v_fmac_f64_e32 v[24:25], v[22:23], v[4:5]
	s_waitcnt vmcnt(0)
	v_add_f64 v[16:17], v[16:17], -v[2:3]
	v_add_f64 v[18:19], v[18:19], -v[24:25]
	scratch_store_dwordx4 off, v[16:19], s4
	s_cbranch_scc1 .LBB122_524
; %bb.526:                              ;   in Loop: Header=BB122_525 Depth=1
	s_add_i32 s4, s15, 0x160
	scratch_load_dwordx4 v[16:19], off, s4
	s_add_i32 s5, s15, 0x170
	s_add_i32 s12, s15, 0x180
	;; [unrolled: 1-line block ×5, first 2 shown]
	scratch_load_dwordx4 v[20:23], off, s5
	scratch_load_dwordx4 v[24:27], off, s12
	;; [unrolled: 1-line block ×5, first 2 shown]
	ds_read2_b64 v[40:43], v1 offset0:2 offset1:3
	ds_read2_b64 v[44:47], v1 offset0:4 offset1:5
	;; [unrolled: 1-line block ×6, first 2 shown]
	s_waitcnt lgkmcnt(5)
	v_mul_f64 v[2:3], v[42:43], v[6:7]
	v_mul_f64 v[64:65], v[40:41], v[6:7]
	s_waitcnt lgkmcnt(4)
	v_mul_f64 v[66:67], v[46:47], v[6:7]
	v_mul_f64 v[68:69], v[44:45], v[6:7]
	;; [unrolled: 3-line block ×6, first 2 shown]
	v_fma_f64 v[2:3], v[40:41], v[4:5], -v[2:3]
	v_fmac_f64_e32 v[64:65], v[42:43], v[4:5]
	v_fma_f64 v[40:41], v[44:45], v[4:5], -v[66:67]
	v_fmac_f64_e32 v[68:69], v[46:47], v[4:5]
	;; [unrolled: 2-line block ×6, first 2 shown]
	s_addk_i32 s15, 0x1c0
	s_addk_i32 s14, 0x80
	s_waitcnt vmcnt(5)
	v_add_f64 v[2:3], v[16:17], -v[2:3]
	v_add_f64 v[4:5], v[18:19], -v[64:65]
	s_waitcnt vmcnt(4)
	v_add_f64 v[16:17], v[20:21], -v[40:41]
	v_add_f64 v[18:19], v[22:23], -v[68:69]
	s_waitcnt vmcnt(3)
	v_add_f64 v[20:21], v[24:25], -v[42:43]
	v_add_f64 v[22:23], v[26:27], -v[72:73]
	s_waitcnt vmcnt(2)
	v_add_f64 v[24:25], v[28:29], -v[44:45]
	v_add_f64 v[26:27], v[30:31], -v[76:77]
	s_waitcnt vmcnt(1)
	v_add_f64 v[28:29], v[32:33], -v[46:47]
	v_add_f64 v[30:31], v[34:35], -v[80:81]
	s_waitcnt vmcnt(0)
	v_add_f64 v[32:33], v[36:37], -v[48:49]
	v_add_f64 v[34:35], v[38:39], -v[6:7]
	scratch_store_dwordx4 off, v[2:5], s4
	scratch_store_dwordx4 off, v[16:19], s5
	;; [unrolled: 1-line block ×6, first 2 shown]
	scratch_load_dwordx4 v[4:7], off, off offset:320
	scratch_load_dwordx4 v[16:19], off, s15
	ds_read2_b64 v[20:23], v1 offset0:14 offset1:15
	s_mov_b64 s[12:13], 0
	s_waitcnt vmcnt(1) lgkmcnt(0)
	v_mul_f64 v[2:3], v[22:23], v[6:7]
	v_mul_f64 v[24:25], v[20:21], v[6:7]
	v_fma_f64 v[2:3], v[20:21], v[4:5], -v[2:3]
	v_fmac_f64_e32 v[24:25], v[22:23], v[4:5]
	s_waitcnt vmcnt(0)
	v_add_f64 v[16:17], v[16:17], -v[2:3]
	v_add_f64 v[18:19], v[18:19], -v[24:25]
	scratch_store_dwordx4 off, v[16:19], s15
	s_branch .LBB122_524
.LBB122_527:
	s_or_b64 exec, exec, s[0:1]
	s_barrier
	scratch_load_dwordx4 v[0:3], off, s59
	v_lshl_add_u32 v4, v15, 4, v12
	s_cmp_lt_i32 s66, 23
	s_waitcnt vmcnt(0)
	ds_write2_b64 v4, v[0:1], v[2:3] offset1:1
	s_waitcnt lgkmcnt(0)
	s_barrier
	ds_read2_b64 v[0:3], v12 offset0:42 offset1:43
	v_mov_b32_e32 v4, 21
	s_cbranch_scc1 .LBB122_530
; %bb.528:
	v_add_u32_e32 v5, 0x160, v12
	s_mov_b32 s4, 22
	v_mov_b32_e32 v4, 21
.LBB122_529:                            ; =>This Inner Loop Header: Depth=1
	ds_read2_b64 v[16:19], v5 offset1:1
	s_waitcnt lgkmcnt(1)
	v_xor_b32_e32 v7, 0x80000000, v1
	v_xor_b32_e32 v21, 0x80000000, v3
	v_cmp_gt_f64_e32 vcc, 0, v[2:3]
	v_cmp_gt_f64_e64 s[0:1], 0, v[0:1]
	v_mov_b32_e32 v6, v0
	v_mov_b32_e32 v20, v2
	v_cndmask_b32_e64 v7, v1, v7, s[0:1]
	v_cndmask_b32_e32 v21, v3, v21, vcc
	v_add_f64 v[6:7], v[6:7], v[20:21]
	s_waitcnt lgkmcnt(0)
	v_xor_b32_e32 v21, 0x80000000, v17
	v_xor_b32_e32 v23, 0x80000000, v19
	v_cmp_gt_f64_e32 vcc, 0, v[18:19]
	v_cmp_gt_f64_e64 s[0:1], 0, v[16:17]
	v_mov_b32_e32 v20, v16
	v_mov_b32_e32 v22, v18
	v_cndmask_b32_e64 v21, v17, v21, s[0:1]
	v_cndmask_b32_e32 v23, v19, v23, vcc
	v_add_f64 v[20:21], v[20:21], v[22:23]
	v_mov_b32_e32 v24, s4
	s_add_i32 s4, s4, 1
	v_cmp_lt_f64_e32 vcc, v[6:7], v[20:21]
	v_add_u32_e32 v5, 16, v5
	s_cmp_lg_u32 s66, s4
	v_cndmask_b32_e32 v1, v1, v17, vcc
	v_cndmask_b32_e32 v0, v0, v16, vcc
	v_cndmask_b32_e32 v3, v3, v19, vcc
	v_cndmask_b32_e32 v2, v2, v18, vcc
	v_cndmask_b32_e32 v4, v4, v24, vcc
	s_cbranch_scc1 .LBB122_529
.LBB122_530:
	s_waitcnt lgkmcnt(0)
	v_cmp_eq_f64_e32 vcc, 0, v[0:1]
	v_cmp_eq_f64_e64 s[0:1], 0, v[2:3]
	s_and_b64 s[0:1], vcc, s[0:1]
	s_and_saveexec_b64 s[4:5], s[0:1]
	s_xor_b64 s[0:1], exec, s[4:5]
; %bb.531:
	v_cmp_ne_u32_e32 vcc, 0, v13
	s_nop 1
	v_cndmask_b32_e32 v13, 22, v13, vcc
; %bb.532:
	s_andn2_saveexec_b64 s[0:1], s[0:1]
	s_cbranch_execz .LBB122_538
; %bb.533:
	v_cmp_ngt_f64_e64 s[4:5], |v[0:1]|, |v[2:3]|
	s_and_saveexec_b64 s[12:13], s[4:5]
	s_xor_b64 s[12:13], exec, s[12:13]
	s_cbranch_execz .LBB122_535
; %bb.534:
	v_div_scale_f64 v[6:7], s[4:5], v[2:3], v[2:3], v[0:1]
	v_rcp_f64_e32 v[16:17], v[6:7]
	v_div_scale_f64 v[18:19], vcc, v[0:1], v[2:3], v[0:1]
	v_fma_f64 v[20:21], -v[6:7], v[16:17], 1.0
	v_fmac_f64_e32 v[16:17], v[16:17], v[20:21]
	v_fma_f64 v[20:21], -v[6:7], v[16:17], 1.0
	v_fmac_f64_e32 v[16:17], v[16:17], v[20:21]
	v_mul_f64 v[20:21], v[18:19], v[16:17]
	v_fma_f64 v[6:7], -v[6:7], v[20:21], v[18:19]
	v_div_fmas_f64 v[6:7], v[6:7], v[16:17], v[20:21]
	v_div_fixup_f64 v[6:7], v[6:7], v[2:3], v[0:1]
	v_fmac_f64_e32 v[2:3], v[0:1], v[6:7]
	v_div_scale_f64 v[0:1], s[4:5], v[2:3], v[2:3], 1.0
	v_rcp_f64_e32 v[16:17], v[0:1]
	s_nop 0
	v_fma_f64 v[18:19], -v[0:1], v[16:17], 1.0
	v_fmac_f64_e32 v[16:17], v[16:17], v[18:19]
	v_fma_f64 v[18:19], -v[0:1], v[16:17], 1.0
	v_fmac_f64_e32 v[16:17], v[16:17], v[18:19]
	v_div_scale_f64 v[18:19], vcc, 1.0, v[2:3], 1.0
	v_mul_f64 v[20:21], v[18:19], v[16:17]
	v_fma_f64 v[0:1], -v[0:1], v[20:21], v[18:19]
	s_nop 1
	v_div_fmas_f64 v[0:1], v[0:1], v[16:17], v[20:21]
	v_div_fixup_f64 v[2:3], v[0:1], v[2:3], 1.0
	v_mul_f64 v[0:1], v[6:7], v[2:3]
	v_xor_b32_e32 v3, 0x80000000, v3
.LBB122_535:
	s_andn2_saveexec_b64 s[12:13], s[12:13]
	s_cbranch_execz .LBB122_537
; %bb.536:
	v_div_scale_f64 v[6:7], s[4:5], v[0:1], v[0:1], v[2:3]
	v_rcp_f64_e32 v[16:17], v[6:7]
	v_div_scale_f64 v[18:19], vcc, v[2:3], v[0:1], v[2:3]
	v_fma_f64 v[20:21], -v[6:7], v[16:17], 1.0
	v_fmac_f64_e32 v[16:17], v[16:17], v[20:21]
	v_fma_f64 v[20:21], -v[6:7], v[16:17], 1.0
	v_fmac_f64_e32 v[16:17], v[16:17], v[20:21]
	v_mul_f64 v[20:21], v[18:19], v[16:17]
	v_fma_f64 v[6:7], -v[6:7], v[20:21], v[18:19]
	v_div_fmas_f64 v[6:7], v[6:7], v[16:17], v[20:21]
	v_div_fixup_f64 v[6:7], v[6:7], v[0:1], v[2:3]
	v_fmac_f64_e32 v[0:1], v[2:3], v[6:7]
	v_div_scale_f64 v[2:3], s[4:5], v[0:1], v[0:1], 1.0
	v_rcp_f64_e32 v[16:17], v[2:3]
	s_nop 0
	v_fma_f64 v[18:19], -v[2:3], v[16:17], 1.0
	v_fmac_f64_e32 v[16:17], v[16:17], v[18:19]
	v_fma_f64 v[18:19], -v[2:3], v[16:17], 1.0
	v_fmac_f64_e32 v[16:17], v[16:17], v[18:19]
	v_div_scale_f64 v[18:19], vcc, 1.0, v[0:1], 1.0
	v_mul_f64 v[20:21], v[18:19], v[16:17]
	v_fma_f64 v[2:3], -v[2:3], v[20:21], v[18:19]
	s_nop 1
	v_div_fmas_f64 v[2:3], v[2:3], v[16:17], v[20:21]
	v_div_fixup_f64 v[0:1], v[2:3], v[0:1], 1.0
	v_mul_f64 v[2:3], v[6:7], -v[0:1]
.LBB122_537:
	s_or_b64 exec, exec, s[12:13]
.LBB122_538:
	s_or_b64 exec, exec, s[0:1]
	v_cmp_ne_u32_e32 vcc, v15, v4
	s_and_saveexec_b64 s[0:1], vcc
	s_xor_b64 s[0:1], exec, s[0:1]
	s_cbranch_execz .LBB122_544
; %bb.539:
	v_cmp_eq_u32_e32 vcc, 21, v15
	s_and_saveexec_b64 s[12:13], vcc
	s_cbranch_execz .LBB122_543
; %bb.540:
	v_cmp_ne_u32_e32 vcc, 21, v4
	s_xor_b64 s[4:5], s[18:19], -1
	s_and_b64 s[4:5], s[4:5], vcc
	s_and_saveexec_b64 s[14:15], s[4:5]
	s_cbranch_execz .LBB122_542
; %bb.541:
	v_ashrrev_i32_e32 v5, 31, v4
	v_lshl_add_u64 v[6:7], v[4:5], 2, v[10:11]
	global_load_dword v5, v[6:7], off
	global_load_dword v14, v[10:11], off offset:84
	s_waitcnt vmcnt(1)
	global_store_dword v[10:11], v5, off offset:84
	s_waitcnt vmcnt(1)
	global_store_dword v[6:7], v14, off
.LBB122_542:
	s_or_b64 exec, exec, s[14:15]
	v_mov_b32_e32 v15, v4
	v_mov_b32_e32 v14, v4
.LBB122_543:
	s_or_b64 exec, exec, s[12:13]
.LBB122_544:
	s_andn2_saveexec_b64 s[0:1], s[0:1]
	s_cbranch_execz .LBB122_548
; %bb.545:
	s_mov_b32 s4, 0
	v_add_u32_e32 v4, 0x160, v12
.LBB122_546:                            ; =>This Inner Loop Header: Depth=1
	s_add_i32 s12, s4, 0x160
	s_add_i32 s13, s4, 0x170
	;; [unrolled: 1-line block ×10, first 2 shown]
	scratch_load_dwordx4 v[16:19], off, s12
	scratch_load_dwordx4 v[20:23], off, s13
	scratch_load_dwordx4 v[24:27], off, s14
	scratch_load_dwordx4 v[28:31], off, s15
	scratch_load_dwordx4 v[32:35], off, s16
	scratch_load_dwordx4 v[36:39], off, s67
	scratch_load_dwordx4 v[40:43], off, s68
	scratch_load_dwordx4 v[44:47], off, s69
	scratch_load_dwordx4 v[48:51], off, s70
	scratch_load_dwordx4 v[52:55], off, s5
	v_add_u32_e32 v5, s4, v4
	s_addk_i32 s4, 0xa0
	s_cmpk_eq_i32 s4, 0x280
	s_waitcnt vmcnt(9)
	ds_write2_b64 v5, v[16:17], v[18:19] offset1:1
	s_waitcnt vmcnt(8)
	ds_write2_b64 v5, v[20:21], v[22:23] offset0:2 offset1:3
	s_waitcnt vmcnt(7)
	ds_write2_b64 v5, v[24:25], v[26:27] offset0:4 offset1:5
	;; [unrolled: 2-line block ×9, first 2 shown]
	s_cbranch_scc0 .LBB122_546
; %bb.547:
	v_mov_b32_e32 v15, 21
.LBB122_548:
	s_or_b64 exec, exec, s[0:1]
	v_cmp_lt_i32_e32 vcc, 21, v15
	s_waitcnt lgkmcnt(0)
	s_barrier
	s_and_saveexec_b64 s[0:1], vcc
	s_cbranch_execz .LBB122_551
; %bb.549:
	scratch_load_dwordx4 v[16:19], off, off offset:336
	s_mov_b32 s12, 0
	s_waitcnt vmcnt(0)
	v_mul_f64 v[4:5], v[2:3], v[18:19]
	v_mul_f64 v[6:7], v[0:1], v[18:19]
	v_fma_f64 v[4:5], v[0:1], v[16:17], -v[4:5]
	v_fmac_f64_e32 v[6:7], v[2:3], v[16:17]
	v_add_u32_e32 v0, 0x160, v12
	scratch_store_dwordx4 off, v[4:7], off offset:336
.LBB122_550:                            ; =>This Inner Loop Header: Depth=1
	v_add_u32_e32 v1, s12, v0
	ds_read2_b64 v[16:19], v1 offset1:1
	ds_read2_b64 v[20:23], v1 offset0:2 offset1:3
	ds_read2_b64 v[24:27], v1 offset0:4 offset1:5
	;; [unrolled: 1-line block ×5, first 2 shown]
	s_add_i32 s13, s12, 0x160
	s_waitcnt lgkmcnt(5)
	v_mul_f64 v[2:3], v[18:19], v[6:7]
	v_mul_f64 v[68:69], v[16:17], v[6:7]
	s_waitcnt lgkmcnt(4)
	v_mul_f64 v[70:71], v[22:23], v[6:7]
	v_mul_f64 v[72:73], v[20:21], v[6:7]
	s_waitcnt lgkmcnt(3)
	v_mul_f64 v[74:75], v[26:27], v[6:7]
	v_mul_f64 v[76:77], v[24:25], v[6:7]
	s_waitcnt lgkmcnt(2)
	v_mul_f64 v[78:79], v[30:31], v[6:7]
	v_mul_f64 v[80:81], v[28:29], v[6:7]
	s_waitcnt lgkmcnt(1)
	v_mul_f64 v[82:83], v[34:35], v[6:7]
	v_mul_f64 v[84:85], v[32:33], v[6:7]
	s_waitcnt lgkmcnt(0)
	v_mul_f64 v[86:87], v[38:39], v[6:7]
	v_mul_f64 v[88:89], v[36:37], v[6:7]
	s_add_i32 s14, s12, 0x170
	s_add_i32 s5, s12, 0x180
	;; [unrolled: 1-line block ×7, first 2 shown]
	scratch_load_dwordx4 v[40:43], off, s13
	scratch_load_dwordx4 v[44:47], off, s14
	;; [unrolled: 1-line block ×7, first 2 shown]
	v_fma_f64 v[2:3], v[16:17], v[4:5], -v[2:3]
	v_fmac_f64_e32 v[68:69], v[18:19], v[4:5]
	v_fma_f64 v[70:71], v[20:21], v[4:5], -v[70:71]
	v_fmac_f64_e32 v[72:73], v[22:23], v[4:5]
	;; [unrolled: 2-line block ×6, first 2 shown]
	scratch_load_dwordx4 v[4:7], off, off offset:336
	scratch_load_dwordx4 v[16:19], off, s4
	ds_read2_b64 v[20:23], v1 offset0:12 offset1:13
	ds_read2_b64 v[24:27], v1 offset0:14 offset1:15
	s_addk_i32 s12, 0x80
	s_cmpk_lg_i32 s12, 0x280
	s_waitcnt vmcnt(8)
	v_add_f64 v[28:29], v[40:41], -v[2:3]
	v_add_f64 v[30:31], v[42:43], -v[68:69]
	s_waitcnt vmcnt(7)
	v_add_f64 v[32:33], v[44:45], -v[70:71]
	v_add_f64 v[34:35], v[46:47], -v[72:73]
	s_waitcnt vmcnt(6)
	v_add_f64 v[36:37], v[48:49], -v[74:75]
	v_add_f64 v[38:39], v[50:51], -v[76:77]
	s_waitcnt vmcnt(5)
	v_add_f64 v[40:41], v[52:53], -v[78:79]
	v_add_f64 v[42:43], v[54:55], -v[80:81]
	s_waitcnt vmcnt(4)
	v_add_f64 v[44:45], v[56:57], -v[82:83]
	v_add_f64 v[46:47], v[58:59], -v[84:85]
	s_waitcnt vmcnt(3)
	v_add_f64 v[48:49], v[60:61], -v[86:87]
	v_add_f64 v[50:51], v[62:63], -v[88:89]
	scratch_store_dwordx4 off, v[28:31], s13
	scratch_store_dwordx4 off, v[32:35], s14
	;; [unrolled: 1-line block ×6, first 2 shown]
	s_waitcnt vmcnt(7) lgkmcnt(1)
	v_mul_f64 v[2:3], v[22:23], v[6:7]
	v_mul_f64 v[28:29], v[20:21], v[6:7]
	s_waitcnt lgkmcnt(0)
	v_mul_f64 v[30:31], v[26:27], v[6:7]
	v_mul_f64 v[32:33], v[24:25], v[6:7]
	v_fma_f64 v[2:3], v[20:21], v[4:5], -v[2:3]
	v_fmac_f64_e32 v[28:29], v[22:23], v[4:5]
	v_fma_f64 v[24:25], v[24:25], v[4:5], -v[30:31]
	v_fmac_f64_e32 v[32:33], v[26:27], v[4:5]
	v_add_f64 v[20:21], v[64:65], -v[2:3]
	v_add_f64 v[22:23], v[66:67], -v[28:29]
	s_waitcnt vmcnt(6)
	v_add_f64 v[16:17], v[16:17], -v[24:25]
	v_add_f64 v[18:19], v[18:19], -v[32:33]
	scratch_store_dwordx4 off, v[20:23], s68
	scratch_store_dwordx4 off, v[16:19], s4
	s_cbranch_scc1 .LBB122_550
.LBB122_551:
	s_or_b64 exec, exec, s[0:1]
	s_barrier
	scratch_load_dwordx4 v[0:3], off, s55
	v_lshl_add_u32 v4, v15, 4, v12
	s_cmp_lt_i32 s66, 24
	s_waitcnt vmcnt(0)
	ds_write2_b64 v4, v[0:1], v[2:3] offset1:1
	s_waitcnt lgkmcnt(0)
	s_barrier
	ds_read2_b64 v[0:3], v12 offset0:44 offset1:45
	v_mov_b32_e32 v4, 22
	s_cbranch_scc1 .LBB122_554
; %bb.552:
	v_add_u32_e32 v5, 0x170, v12
	s_mov_b32 s4, 23
	v_mov_b32_e32 v4, 22
.LBB122_553:                            ; =>This Inner Loop Header: Depth=1
	ds_read2_b64 v[16:19], v5 offset1:1
	s_waitcnt lgkmcnt(1)
	v_xor_b32_e32 v7, 0x80000000, v1
	v_xor_b32_e32 v21, 0x80000000, v3
	v_cmp_gt_f64_e32 vcc, 0, v[2:3]
	v_cmp_gt_f64_e64 s[0:1], 0, v[0:1]
	v_mov_b32_e32 v6, v0
	v_mov_b32_e32 v20, v2
	v_cndmask_b32_e64 v7, v1, v7, s[0:1]
	v_cndmask_b32_e32 v21, v3, v21, vcc
	v_add_f64 v[6:7], v[6:7], v[20:21]
	s_waitcnt lgkmcnt(0)
	v_xor_b32_e32 v21, 0x80000000, v17
	v_xor_b32_e32 v23, 0x80000000, v19
	v_cmp_gt_f64_e32 vcc, 0, v[18:19]
	v_cmp_gt_f64_e64 s[0:1], 0, v[16:17]
	v_mov_b32_e32 v20, v16
	v_mov_b32_e32 v22, v18
	v_cndmask_b32_e64 v21, v17, v21, s[0:1]
	v_cndmask_b32_e32 v23, v19, v23, vcc
	v_add_f64 v[20:21], v[20:21], v[22:23]
	v_mov_b32_e32 v24, s4
	s_add_i32 s4, s4, 1
	v_cmp_lt_f64_e32 vcc, v[6:7], v[20:21]
	v_add_u32_e32 v5, 16, v5
	s_cmp_lg_u32 s66, s4
	v_cndmask_b32_e32 v1, v1, v17, vcc
	v_cndmask_b32_e32 v0, v0, v16, vcc
	;; [unrolled: 1-line block ×5, first 2 shown]
	s_cbranch_scc1 .LBB122_553
.LBB122_554:
	s_waitcnt lgkmcnt(0)
	v_cmp_eq_f64_e32 vcc, 0, v[0:1]
	v_cmp_eq_f64_e64 s[0:1], 0, v[2:3]
	s_and_b64 s[0:1], vcc, s[0:1]
	s_and_saveexec_b64 s[4:5], s[0:1]
	s_xor_b64 s[0:1], exec, s[4:5]
; %bb.555:
	v_cmp_ne_u32_e32 vcc, 0, v13
	s_nop 1
	v_cndmask_b32_e32 v13, 23, v13, vcc
; %bb.556:
	s_andn2_saveexec_b64 s[0:1], s[0:1]
	s_cbranch_execz .LBB122_562
; %bb.557:
	v_cmp_ngt_f64_e64 s[4:5], |v[0:1]|, |v[2:3]|
	s_and_saveexec_b64 s[12:13], s[4:5]
	s_xor_b64 s[12:13], exec, s[12:13]
	s_cbranch_execz .LBB122_559
; %bb.558:
	v_div_scale_f64 v[6:7], s[4:5], v[2:3], v[2:3], v[0:1]
	v_rcp_f64_e32 v[16:17], v[6:7]
	v_div_scale_f64 v[18:19], vcc, v[0:1], v[2:3], v[0:1]
	v_fma_f64 v[20:21], -v[6:7], v[16:17], 1.0
	v_fmac_f64_e32 v[16:17], v[16:17], v[20:21]
	v_fma_f64 v[20:21], -v[6:7], v[16:17], 1.0
	v_fmac_f64_e32 v[16:17], v[16:17], v[20:21]
	v_mul_f64 v[20:21], v[18:19], v[16:17]
	v_fma_f64 v[6:7], -v[6:7], v[20:21], v[18:19]
	v_div_fmas_f64 v[6:7], v[6:7], v[16:17], v[20:21]
	v_div_fixup_f64 v[6:7], v[6:7], v[2:3], v[0:1]
	v_fmac_f64_e32 v[2:3], v[0:1], v[6:7]
	v_div_scale_f64 v[0:1], s[4:5], v[2:3], v[2:3], 1.0
	v_rcp_f64_e32 v[16:17], v[0:1]
	s_nop 0
	v_fma_f64 v[18:19], -v[0:1], v[16:17], 1.0
	v_fmac_f64_e32 v[16:17], v[16:17], v[18:19]
	v_fma_f64 v[18:19], -v[0:1], v[16:17], 1.0
	v_fmac_f64_e32 v[16:17], v[16:17], v[18:19]
	v_div_scale_f64 v[18:19], vcc, 1.0, v[2:3], 1.0
	v_mul_f64 v[20:21], v[18:19], v[16:17]
	v_fma_f64 v[0:1], -v[0:1], v[20:21], v[18:19]
	s_nop 1
	v_div_fmas_f64 v[0:1], v[0:1], v[16:17], v[20:21]
	v_div_fixup_f64 v[2:3], v[0:1], v[2:3], 1.0
	v_mul_f64 v[0:1], v[6:7], v[2:3]
	v_xor_b32_e32 v3, 0x80000000, v3
.LBB122_559:
	s_andn2_saveexec_b64 s[12:13], s[12:13]
	s_cbranch_execz .LBB122_561
; %bb.560:
	v_div_scale_f64 v[6:7], s[4:5], v[0:1], v[0:1], v[2:3]
	v_rcp_f64_e32 v[16:17], v[6:7]
	v_div_scale_f64 v[18:19], vcc, v[2:3], v[0:1], v[2:3]
	v_fma_f64 v[20:21], -v[6:7], v[16:17], 1.0
	v_fmac_f64_e32 v[16:17], v[16:17], v[20:21]
	v_fma_f64 v[20:21], -v[6:7], v[16:17], 1.0
	v_fmac_f64_e32 v[16:17], v[16:17], v[20:21]
	v_mul_f64 v[20:21], v[18:19], v[16:17]
	v_fma_f64 v[6:7], -v[6:7], v[20:21], v[18:19]
	v_div_fmas_f64 v[6:7], v[6:7], v[16:17], v[20:21]
	v_div_fixup_f64 v[6:7], v[6:7], v[0:1], v[2:3]
	v_fmac_f64_e32 v[0:1], v[2:3], v[6:7]
	v_div_scale_f64 v[2:3], s[4:5], v[0:1], v[0:1], 1.0
	v_rcp_f64_e32 v[16:17], v[2:3]
	s_nop 0
	v_fma_f64 v[18:19], -v[2:3], v[16:17], 1.0
	v_fmac_f64_e32 v[16:17], v[16:17], v[18:19]
	v_fma_f64 v[18:19], -v[2:3], v[16:17], 1.0
	v_fmac_f64_e32 v[16:17], v[16:17], v[18:19]
	v_div_scale_f64 v[18:19], vcc, 1.0, v[0:1], 1.0
	v_mul_f64 v[20:21], v[18:19], v[16:17]
	v_fma_f64 v[2:3], -v[2:3], v[20:21], v[18:19]
	s_nop 1
	v_div_fmas_f64 v[2:3], v[2:3], v[16:17], v[20:21]
	v_div_fixup_f64 v[0:1], v[2:3], v[0:1], 1.0
	v_mul_f64 v[2:3], v[6:7], -v[0:1]
.LBB122_561:
	s_or_b64 exec, exec, s[12:13]
.LBB122_562:
	s_or_b64 exec, exec, s[0:1]
	v_cmp_ne_u32_e32 vcc, v15, v4
	s_and_saveexec_b64 s[0:1], vcc
	s_xor_b64 s[0:1], exec, s[0:1]
	s_cbranch_execz .LBB122_568
; %bb.563:
	v_cmp_eq_u32_e32 vcc, 22, v15
	s_and_saveexec_b64 s[12:13], vcc
	s_cbranch_execz .LBB122_567
; %bb.564:
	v_cmp_ne_u32_e32 vcc, 22, v4
	s_xor_b64 s[4:5], s[18:19], -1
	s_and_b64 s[4:5], s[4:5], vcc
	s_and_saveexec_b64 s[14:15], s[4:5]
	s_cbranch_execz .LBB122_566
; %bb.565:
	v_ashrrev_i32_e32 v5, 31, v4
	v_lshl_add_u64 v[6:7], v[4:5], 2, v[10:11]
	global_load_dword v5, v[6:7], off
	global_load_dword v14, v[10:11], off offset:88
	s_waitcnt vmcnt(1)
	global_store_dword v[10:11], v5, off offset:88
	s_waitcnt vmcnt(1)
	global_store_dword v[6:7], v14, off
.LBB122_566:
	s_or_b64 exec, exec, s[14:15]
	v_mov_b32_e32 v15, v4
	v_mov_b32_e32 v14, v4
.LBB122_567:
	s_or_b64 exec, exec, s[12:13]
.LBB122_568:
	s_andn2_saveexec_b64 s[0:1], s[0:1]
	s_cbranch_execz .LBB122_572
; %bb.569:
	s_mov_b32 s4, 0
	v_add_u32_e32 v4, 0x170, v12
.LBB122_570:                            ; =>This Inner Loop Header: Depth=1
	s_add_i32 s12, s4, 0x170
	s_add_i32 s13, s4, 0x180
	;; [unrolled: 1-line block ×13, first 2 shown]
	scratch_load_dwordx4 v[16:19], off, s12
	scratch_load_dwordx4 v[20:23], off, s13
	;; [unrolled: 1-line block ×13, first 2 shown]
	v_add_u32_e32 v5, s4, v4
	s_addk_i32 s4, 0xd0
	s_cmpk_eq_i32 s4, 0x270
	s_waitcnt vmcnt(12)
	ds_write2_b64 v5, v[16:17], v[18:19] offset1:1
	s_waitcnt vmcnt(11)
	ds_write2_b64 v5, v[20:21], v[22:23] offset0:2 offset1:3
	s_waitcnt vmcnt(10)
	ds_write2_b64 v5, v[24:25], v[26:27] offset0:4 offset1:5
	;; [unrolled: 2-line block ×12, first 2 shown]
	s_cbranch_scc0 .LBB122_570
; %bb.571:
	v_mov_b32_e32 v15, 22
.LBB122_572:
	s_or_b64 exec, exec, s[0:1]
	v_cmp_lt_i32_e32 vcc, 22, v15
	s_waitcnt lgkmcnt(0)
	s_barrier
	s_and_saveexec_b64 s[0:1], vcc
	s_cbranch_execz .LBB122_575
; %bb.573:
	scratch_load_dwordx4 v[16:19], off, off offset:352
	s_mov_b32 s4, 0
	s_waitcnt vmcnt(0)
	v_mul_f64 v[4:5], v[2:3], v[18:19]
	v_mul_f64 v[6:7], v[0:1], v[18:19]
	v_fma_f64 v[4:5], v[0:1], v[16:17], -v[4:5]
	v_fmac_f64_e32 v[6:7], v[2:3], v[16:17]
	v_add_u32_e32 v0, 0x170, v12
	scratch_store_dwordx4 off, v[4:7], off offset:352
.LBB122_574:                            ; =>This Inner Loop Header: Depth=1
	s_add_i32 s12, s4, 0x170
	s_add_i32 s13, s4, 0x180
	;; [unrolled: 1-line block ×3, first 2 shown]
	scratch_load_dwordx4 v[16:19], off, s12
	scratch_load_dwordx4 v[20:23], off, s13
	;; [unrolled: 1-line block ×3, first 2 shown]
	v_add_u32_e32 v1, s4, v0
	ds_read2_b64 v[28:31], v1 offset1:1
	ds_read2_b64 v[32:35], v1 offset0:2 offset1:3
	ds_read2_b64 v[36:39], v1 offset0:4 offset1:5
	s_add_i32 s4, s4, 48
	s_cmpk_lg_i32 s4, 0x270
	s_waitcnt lgkmcnt(2)
	v_mul_f64 v[2:3], v[30:31], v[6:7]
	v_mul_f64 v[40:41], v[28:29], v[6:7]
	s_waitcnt lgkmcnt(1)
	v_mul_f64 v[42:43], v[34:35], v[6:7]
	v_mul_f64 v[44:45], v[32:33], v[6:7]
	;; [unrolled: 3-line block ×3, first 2 shown]
	v_fma_f64 v[2:3], v[28:29], v[4:5], -v[2:3]
	v_fmac_f64_e32 v[40:41], v[30:31], v[4:5]
	v_fma_f64 v[28:29], v[32:33], v[4:5], -v[42:43]
	v_fmac_f64_e32 v[44:45], v[34:35], v[4:5]
	;; [unrolled: 2-line block ×3, first 2 shown]
	s_waitcnt vmcnt(2)
	v_add_f64 v[16:17], v[16:17], -v[2:3]
	v_add_f64 v[18:19], v[18:19], -v[40:41]
	s_waitcnt vmcnt(1)
	v_add_f64 v[20:21], v[20:21], -v[28:29]
	v_add_f64 v[22:23], v[22:23], -v[44:45]
	;; [unrolled: 3-line block ×3, first 2 shown]
	scratch_store_dwordx4 off, v[16:19], s12
	scratch_store_dwordx4 off, v[20:23], s13
	;; [unrolled: 1-line block ×3, first 2 shown]
	s_cbranch_scc1 .LBB122_574
.LBB122_575:
	s_or_b64 exec, exec, s[0:1]
	s_barrier
	scratch_load_dwordx4 v[0:3], off, s62
	v_lshl_add_u32 v4, v15, 4, v12
	s_cmp_lt_i32 s66, 25
	s_waitcnt vmcnt(0)
	ds_write2_b64 v4, v[0:1], v[2:3] offset1:1
	s_waitcnt lgkmcnt(0)
	s_barrier
	ds_read2_b64 v[0:3], v12 offset0:46 offset1:47
	v_mov_b32_e32 v4, 23
	s_cbranch_scc1 .LBB122_578
; %bb.576:
	v_add_u32_e32 v5, 0x180, v12
	s_mov_b32 s4, 24
	v_mov_b32_e32 v4, 23
.LBB122_577:                            ; =>This Inner Loop Header: Depth=1
	ds_read2_b64 v[16:19], v5 offset1:1
	s_waitcnt lgkmcnt(1)
	v_xor_b32_e32 v7, 0x80000000, v1
	v_xor_b32_e32 v21, 0x80000000, v3
	v_cmp_gt_f64_e32 vcc, 0, v[2:3]
	v_cmp_gt_f64_e64 s[0:1], 0, v[0:1]
	v_mov_b32_e32 v6, v0
	v_mov_b32_e32 v20, v2
	v_cndmask_b32_e64 v7, v1, v7, s[0:1]
	v_cndmask_b32_e32 v21, v3, v21, vcc
	v_add_f64 v[6:7], v[6:7], v[20:21]
	s_waitcnt lgkmcnt(0)
	v_xor_b32_e32 v21, 0x80000000, v17
	v_xor_b32_e32 v23, 0x80000000, v19
	v_cmp_gt_f64_e32 vcc, 0, v[18:19]
	v_cmp_gt_f64_e64 s[0:1], 0, v[16:17]
	v_mov_b32_e32 v20, v16
	v_mov_b32_e32 v22, v18
	v_cndmask_b32_e64 v21, v17, v21, s[0:1]
	v_cndmask_b32_e32 v23, v19, v23, vcc
	v_add_f64 v[20:21], v[20:21], v[22:23]
	v_mov_b32_e32 v24, s4
	s_add_i32 s4, s4, 1
	v_cmp_lt_f64_e32 vcc, v[6:7], v[20:21]
	v_add_u32_e32 v5, 16, v5
	s_cmp_lg_u32 s66, s4
	v_cndmask_b32_e32 v1, v1, v17, vcc
	v_cndmask_b32_e32 v0, v0, v16, vcc
	;; [unrolled: 1-line block ×5, first 2 shown]
	s_cbranch_scc1 .LBB122_577
.LBB122_578:
	s_waitcnt lgkmcnt(0)
	v_cmp_eq_f64_e32 vcc, 0, v[0:1]
	v_cmp_eq_f64_e64 s[0:1], 0, v[2:3]
	s_and_b64 s[0:1], vcc, s[0:1]
	s_and_saveexec_b64 s[4:5], s[0:1]
	s_xor_b64 s[0:1], exec, s[4:5]
; %bb.579:
	v_cmp_ne_u32_e32 vcc, 0, v13
	s_nop 1
	v_cndmask_b32_e32 v13, 24, v13, vcc
; %bb.580:
	s_andn2_saveexec_b64 s[0:1], s[0:1]
	s_cbranch_execz .LBB122_586
; %bb.581:
	v_cmp_ngt_f64_e64 s[4:5], |v[0:1]|, |v[2:3]|
	s_and_saveexec_b64 s[12:13], s[4:5]
	s_xor_b64 s[12:13], exec, s[12:13]
	s_cbranch_execz .LBB122_583
; %bb.582:
	v_div_scale_f64 v[6:7], s[4:5], v[2:3], v[2:3], v[0:1]
	v_rcp_f64_e32 v[16:17], v[6:7]
	v_div_scale_f64 v[18:19], vcc, v[0:1], v[2:3], v[0:1]
	v_fma_f64 v[20:21], -v[6:7], v[16:17], 1.0
	v_fmac_f64_e32 v[16:17], v[16:17], v[20:21]
	v_fma_f64 v[20:21], -v[6:7], v[16:17], 1.0
	v_fmac_f64_e32 v[16:17], v[16:17], v[20:21]
	v_mul_f64 v[20:21], v[18:19], v[16:17]
	v_fma_f64 v[6:7], -v[6:7], v[20:21], v[18:19]
	v_div_fmas_f64 v[6:7], v[6:7], v[16:17], v[20:21]
	v_div_fixup_f64 v[6:7], v[6:7], v[2:3], v[0:1]
	v_fmac_f64_e32 v[2:3], v[0:1], v[6:7]
	v_div_scale_f64 v[0:1], s[4:5], v[2:3], v[2:3], 1.0
	v_rcp_f64_e32 v[16:17], v[0:1]
	s_nop 0
	v_fma_f64 v[18:19], -v[0:1], v[16:17], 1.0
	v_fmac_f64_e32 v[16:17], v[16:17], v[18:19]
	v_fma_f64 v[18:19], -v[0:1], v[16:17], 1.0
	v_fmac_f64_e32 v[16:17], v[16:17], v[18:19]
	v_div_scale_f64 v[18:19], vcc, 1.0, v[2:3], 1.0
	v_mul_f64 v[20:21], v[18:19], v[16:17]
	v_fma_f64 v[0:1], -v[0:1], v[20:21], v[18:19]
	s_nop 1
	v_div_fmas_f64 v[0:1], v[0:1], v[16:17], v[20:21]
	v_div_fixup_f64 v[2:3], v[0:1], v[2:3], 1.0
	v_mul_f64 v[0:1], v[6:7], v[2:3]
	v_xor_b32_e32 v3, 0x80000000, v3
.LBB122_583:
	s_andn2_saveexec_b64 s[12:13], s[12:13]
	s_cbranch_execz .LBB122_585
; %bb.584:
	v_div_scale_f64 v[6:7], s[4:5], v[0:1], v[0:1], v[2:3]
	v_rcp_f64_e32 v[16:17], v[6:7]
	v_div_scale_f64 v[18:19], vcc, v[2:3], v[0:1], v[2:3]
	v_fma_f64 v[20:21], -v[6:7], v[16:17], 1.0
	v_fmac_f64_e32 v[16:17], v[16:17], v[20:21]
	v_fma_f64 v[20:21], -v[6:7], v[16:17], 1.0
	v_fmac_f64_e32 v[16:17], v[16:17], v[20:21]
	v_mul_f64 v[20:21], v[18:19], v[16:17]
	v_fma_f64 v[6:7], -v[6:7], v[20:21], v[18:19]
	v_div_fmas_f64 v[6:7], v[6:7], v[16:17], v[20:21]
	v_div_fixup_f64 v[6:7], v[6:7], v[0:1], v[2:3]
	v_fmac_f64_e32 v[0:1], v[2:3], v[6:7]
	v_div_scale_f64 v[2:3], s[4:5], v[0:1], v[0:1], 1.0
	v_rcp_f64_e32 v[16:17], v[2:3]
	s_nop 0
	v_fma_f64 v[18:19], -v[2:3], v[16:17], 1.0
	v_fmac_f64_e32 v[16:17], v[16:17], v[18:19]
	v_fma_f64 v[18:19], -v[2:3], v[16:17], 1.0
	v_fmac_f64_e32 v[16:17], v[16:17], v[18:19]
	v_div_scale_f64 v[18:19], vcc, 1.0, v[0:1], 1.0
	v_mul_f64 v[20:21], v[18:19], v[16:17]
	v_fma_f64 v[2:3], -v[2:3], v[20:21], v[18:19]
	s_nop 1
	v_div_fmas_f64 v[2:3], v[2:3], v[16:17], v[20:21]
	v_div_fixup_f64 v[0:1], v[2:3], v[0:1], 1.0
	v_mul_f64 v[2:3], v[6:7], -v[0:1]
.LBB122_585:
	s_or_b64 exec, exec, s[12:13]
.LBB122_586:
	s_or_b64 exec, exec, s[0:1]
	v_cmp_ne_u32_e32 vcc, v15, v4
	s_and_saveexec_b64 s[0:1], vcc
	s_xor_b64 s[0:1], exec, s[0:1]
	s_cbranch_execz .LBB122_592
; %bb.587:
	v_cmp_eq_u32_e32 vcc, 23, v15
	s_and_saveexec_b64 s[12:13], vcc
	s_cbranch_execz .LBB122_591
; %bb.588:
	v_cmp_ne_u32_e32 vcc, 23, v4
	s_xor_b64 s[4:5], s[18:19], -1
	s_and_b64 s[4:5], s[4:5], vcc
	s_and_saveexec_b64 s[14:15], s[4:5]
	s_cbranch_execz .LBB122_590
; %bb.589:
	v_ashrrev_i32_e32 v5, 31, v4
	v_lshl_add_u64 v[6:7], v[4:5], 2, v[10:11]
	global_load_dword v5, v[6:7], off
	global_load_dword v14, v[10:11], off offset:92
	s_waitcnt vmcnt(1)
	global_store_dword v[10:11], v5, off offset:92
	s_waitcnt vmcnt(1)
	global_store_dword v[6:7], v14, off
.LBB122_590:
	s_or_b64 exec, exec, s[14:15]
	v_mov_b32_e32 v15, v4
	v_mov_b32_e32 v14, v4
.LBB122_591:
	s_or_b64 exec, exec, s[12:13]
.LBB122_592:
	s_andn2_saveexec_b64 s[0:1], s[0:1]
	s_cbranch_execz .LBB122_596
; %bb.593:
	s_mov_b32 s4, 0
	v_add_u32_e32 v4, 0x180, v12
.LBB122_594:                            ; =>This Inner Loop Header: Depth=1
	s_add_i32 s12, s4, 0x180
	s_add_i32 s5, s4, 0x190
	scratch_load_dwordx4 v[16:19], off, s12
	scratch_load_dwordx4 v[20:23], off, s5
	v_add_u32_e32 v5, s4, v4
	s_add_i32 s4, s4, 32
	s_cmpk_eq_i32 s4, 0x260
	s_waitcnt vmcnt(1)
	ds_write2_b64 v5, v[16:17], v[18:19] offset1:1
	s_waitcnt vmcnt(0)
	ds_write2_b64 v5, v[20:21], v[22:23] offset0:2 offset1:3
	s_cbranch_scc0 .LBB122_594
; %bb.595:
	v_mov_b32_e32 v15, 23
.LBB122_596:
	s_or_b64 exec, exec, s[0:1]
	v_cmp_lt_i32_e32 vcc, 23, v15
	s_waitcnt lgkmcnt(0)
	s_barrier
	s_and_saveexec_b64 s[0:1], vcc
	s_cbranch_execz .LBB122_599
; %bb.597:
	scratch_load_dwordx4 v[16:19], off, off offset:368
	s_mov_b32 s4, 0
	s_waitcnt vmcnt(0)
	v_mul_f64 v[4:5], v[2:3], v[18:19]
	v_mul_f64 v[6:7], v[0:1], v[18:19]
	v_fma_f64 v[4:5], v[0:1], v[16:17], -v[4:5]
	v_fmac_f64_e32 v[6:7], v[2:3], v[16:17]
	v_add_u32_e32 v0, 0x180, v12
	scratch_store_dwordx4 off, v[4:7], off offset:368
.LBB122_598:                            ; =>This Inner Loop Header: Depth=1
	s_add_i32 s12, s4, 0x180
	s_add_i32 s5, s4, 0x190
	scratch_load_dwordx4 v[16:19], off, s12
	scratch_load_dwordx4 v[20:23], off, s5
	v_add_u32_e32 v1, s4, v0
	ds_read2_b64 v[24:27], v1 offset1:1
	ds_read2_b64 v[28:31], v1 offset0:2 offset1:3
	s_add_i32 s4, s4, 32
	s_cmpk_lg_i32 s4, 0x260
	s_waitcnt lgkmcnt(1)
	v_mul_f64 v[2:3], v[26:27], v[6:7]
	v_mul_f64 v[32:33], v[24:25], v[6:7]
	s_waitcnt lgkmcnt(0)
	v_mul_f64 v[34:35], v[30:31], v[6:7]
	v_mul_f64 v[36:37], v[28:29], v[6:7]
	v_fma_f64 v[2:3], v[24:25], v[4:5], -v[2:3]
	v_fmac_f64_e32 v[32:33], v[26:27], v[4:5]
	v_fma_f64 v[24:25], v[28:29], v[4:5], -v[34:35]
	v_fmac_f64_e32 v[36:37], v[30:31], v[4:5]
	s_waitcnt vmcnt(1)
	v_add_f64 v[16:17], v[16:17], -v[2:3]
	v_add_f64 v[18:19], v[18:19], -v[32:33]
	s_waitcnt vmcnt(0)
	v_add_f64 v[20:21], v[20:21], -v[24:25]
	v_add_f64 v[22:23], v[22:23], -v[36:37]
	scratch_store_dwordx4 off, v[16:19], s12
	scratch_store_dwordx4 off, v[20:23], s5
	s_cbranch_scc1 .LBB122_598
.LBB122_599:
	s_or_b64 exec, exec, s[0:1]
	s_barrier
	scratch_load_dwordx4 v[0:3], off, s60
	v_lshl_add_u32 v4, v15, 4, v12
	s_cmp_lt_i32 s66, 26
	s_waitcnt vmcnt(0)
	ds_write2_b64 v4, v[0:1], v[2:3] offset1:1
	s_waitcnt lgkmcnt(0)
	s_barrier
	ds_read2_b64 v[0:3], v12 offset0:48 offset1:49
	v_mov_b32_e32 v4, 24
	s_cbranch_scc1 .LBB122_602
; %bb.600:
	v_add_u32_e32 v5, 0x190, v12
	s_mov_b32 s4, 25
	v_mov_b32_e32 v4, 24
.LBB122_601:                            ; =>This Inner Loop Header: Depth=1
	ds_read2_b64 v[16:19], v5 offset1:1
	s_waitcnt lgkmcnt(1)
	v_xor_b32_e32 v7, 0x80000000, v1
	v_xor_b32_e32 v21, 0x80000000, v3
	v_cmp_gt_f64_e32 vcc, 0, v[2:3]
	v_cmp_gt_f64_e64 s[0:1], 0, v[0:1]
	v_mov_b32_e32 v6, v0
	v_mov_b32_e32 v20, v2
	v_cndmask_b32_e64 v7, v1, v7, s[0:1]
	v_cndmask_b32_e32 v21, v3, v21, vcc
	v_add_f64 v[6:7], v[6:7], v[20:21]
	s_waitcnt lgkmcnt(0)
	v_xor_b32_e32 v21, 0x80000000, v17
	v_xor_b32_e32 v23, 0x80000000, v19
	v_cmp_gt_f64_e32 vcc, 0, v[18:19]
	v_cmp_gt_f64_e64 s[0:1], 0, v[16:17]
	v_mov_b32_e32 v20, v16
	v_mov_b32_e32 v22, v18
	v_cndmask_b32_e64 v21, v17, v21, s[0:1]
	v_cndmask_b32_e32 v23, v19, v23, vcc
	v_add_f64 v[20:21], v[20:21], v[22:23]
	v_mov_b32_e32 v24, s4
	s_add_i32 s4, s4, 1
	v_cmp_lt_f64_e32 vcc, v[6:7], v[20:21]
	v_add_u32_e32 v5, 16, v5
	s_cmp_lg_u32 s66, s4
	v_cndmask_b32_e32 v1, v1, v17, vcc
	v_cndmask_b32_e32 v0, v0, v16, vcc
	;; [unrolled: 1-line block ×5, first 2 shown]
	s_cbranch_scc1 .LBB122_601
.LBB122_602:
	s_waitcnt lgkmcnt(0)
	v_cmp_eq_f64_e32 vcc, 0, v[0:1]
	v_cmp_eq_f64_e64 s[0:1], 0, v[2:3]
	s_and_b64 s[0:1], vcc, s[0:1]
	s_and_saveexec_b64 s[4:5], s[0:1]
	s_xor_b64 s[0:1], exec, s[4:5]
; %bb.603:
	v_cmp_ne_u32_e32 vcc, 0, v13
	s_nop 1
	v_cndmask_b32_e32 v13, 25, v13, vcc
; %bb.604:
	s_andn2_saveexec_b64 s[0:1], s[0:1]
	s_cbranch_execz .LBB122_610
; %bb.605:
	v_cmp_ngt_f64_e64 s[4:5], |v[0:1]|, |v[2:3]|
	s_and_saveexec_b64 s[12:13], s[4:5]
	s_xor_b64 s[12:13], exec, s[12:13]
	s_cbranch_execz .LBB122_607
; %bb.606:
	v_div_scale_f64 v[6:7], s[4:5], v[2:3], v[2:3], v[0:1]
	v_rcp_f64_e32 v[16:17], v[6:7]
	v_div_scale_f64 v[18:19], vcc, v[0:1], v[2:3], v[0:1]
	v_fma_f64 v[20:21], -v[6:7], v[16:17], 1.0
	v_fmac_f64_e32 v[16:17], v[16:17], v[20:21]
	v_fma_f64 v[20:21], -v[6:7], v[16:17], 1.0
	v_fmac_f64_e32 v[16:17], v[16:17], v[20:21]
	v_mul_f64 v[20:21], v[18:19], v[16:17]
	v_fma_f64 v[6:7], -v[6:7], v[20:21], v[18:19]
	v_div_fmas_f64 v[6:7], v[6:7], v[16:17], v[20:21]
	v_div_fixup_f64 v[6:7], v[6:7], v[2:3], v[0:1]
	v_fmac_f64_e32 v[2:3], v[0:1], v[6:7]
	v_div_scale_f64 v[0:1], s[4:5], v[2:3], v[2:3], 1.0
	v_rcp_f64_e32 v[16:17], v[0:1]
	s_nop 0
	v_fma_f64 v[18:19], -v[0:1], v[16:17], 1.0
	v_fmac_f64_e32 v[16:17], v[16:17], v[18:19]
	v_fma_f64 v[18:19], -v[0:1], v[16:17], 1.0
	v_fmac_f64_e32 v[16:17], v[16:17], v[18:19]
	v_div_scale_f64 v[18:19], vcc, 1.0, v[2:3], 1.0
	v_mul_f64 v[20:21], v[18:19], v[16:17]
	v_fma_f64 v[0:1], -v[0:1], v[20:21], v[18:19]
	s_nop 1
	v_div_fmas_f64 v[0:1], v[0:1], v[16:17], v[20:21]
	v_div_fixup_f64 v[2:3], v[0:1], v[2:3], 1.0
	v_mul_f64 v[0:1], v[6:7], v[2:3]
	v_xor_b32_e32 v3, 0x80000000, v3
.LBB122_607:
	s_andn2_saveexec_b64 s[12:13], s[12:13]
	s_cbranch_execz .LBB122_609
; %bb.608:
	v_div_scale_f64 v[6:7], s[4:5], v[0:1], v[0:1], v[2:3]
	v_rcp_f64_e32 v[16:17], v[6:7]
	v_div_scale_f64 v[18:19], vcc, v[2:3], v[0:1], v[2:3]
	v_fma_f64 v[20:21], -v[6:7], v[16:17], 1.0
	v_fmac_f64_e32 v[16:17], v[16:17], v[20:21]
	v_fma_f64 v[20:21], -v[6:7], v[16:17], 1.0
	v_fmac_f64_e32 v[16:17], v[16:17], v[20:21]
	v_mul_f64 v[20:21], v[18:19], v[16:17]
	v_fma_f64 v[6:7], -v[6:7], v[20:21], v[18:19]
	v_div_fmas_f64 v[6:7], v[6:7], v[16:17], v[20:21]
	v_div_fixup_f64 v[6:7], v[6:7], v[0:1], v[2:3]
	v_fmac_f64_e32 v[0:1], v[2:3], v[6:7]
	v_div_scale_f64 v[2:3], s[4:5], v[0:1], v[0:1], 1.0
	v_rcp_f64_e32 v[16:17], v[2:3]
	s_nop 0
	v_fma_f64 v[18:19], -v[2:3], v[16:17], 1.0
	v_fmac_f64_e32 v[16:17], v[16:17], v[18:19]
	v_fma_f64 v[18:19], -v[2:3], v[16:17], 1.0
	v_fmac_f64_e32 v[16:17], v[16:17], v[18:19]
	v_div_scale_f64 v[18:19], vcc, 1.0, v[0:1], 1.0
	v_mul_f64 v[20:21], v[18:19], v[16:17]
	v_fma_f64 v[2:3], -v[2:3], v[20:21], v[18:19]
	s_nop 1
	v_div_fmas_f64 v[2:3], v[2:3], v[16:17], v[20:21]
	v_div_fixup_f64 v[0:1], v[2:3], v[0:1], 1.0
	v_mul_f64 v[2:3], v[6:7], -v[0:1]
.LBB122_609:
	s_or_b64 exec, exec, s[12:13]
.LBB122_610:
	s_or_b64 exec, exec, s[0:1]
	v_cmp_ne_u32_e32 vcc, v15, v4
	s_and_saveexec_b64 s[0:1], vcc
	s_xor_b64 s[0:1], exec, s[0:1]
	s_cbranch_execz .LBB122_616
; %bb.611:
	v_cmp_eq_u32_e32 vcc, 24, v15
	s_and_saveexec_b64 s[12:13], vcc
	s_cbranch_execz .LBB122_615
; %bb.612:
	v_cmp_ne_u32_e32 vcc, 24, v4
	s_xor_b64 s[4:5], s[18:19], -1
	s_and_b64 s[4:5], s[4:5], vcc
	s_and_saveexec_b64 s[14:15], s[4:5]
	s_cbranch_execz .LBB122_614
; %bb.613:
	v_ashrrev_i32_e32 v5, 31, v4
	v_lshl_add_u64 v[6:7], v[4:5], 2, v[10:11]
	global_load_dword v5, v[6:7], off
	global_load_dword v14, v[10:11], off offset:96
	s_waitcnt vmcnt(1)
	global_store_dword v[10:11], v5, off offset:96
	s_waitcnt vmcnt(1)
	global_store_dword v[6:7], v14, off
.LBB122_614:
	s_or_b64 exec, exec, s[14:15]
	v_mov_b32_e32 v15, v4
	v_mov_b32_e32 v14, v4
.LBB122_615:
	s_or_b64 exec, exec, s[12:13]
.LBB122_616:
	s_andn2_saveexec_b64 s[0:1], s[0:1]
	s_cbranch_execz .LBB122_622
; %bb.617:
	s_mov_b32 s4, 0
	v_add_u32_e32 v4, 0x190, v12
	s_branch .LBB122_619
.LBB122_618:                            ;   in Loop: Header=BB122_619 Depth=1
	s_andn2_b64 vcc, exec, s[12:13]
	s_cbranch_vccz .LBB122_621
.LBB122_619:                            ; =>This Inner Loop Header: Depth=1
	s_add_i32 s12, s4, 0x190
	s_add_i32 s13, s4, 0x1a0
	scratch_load_dwordx4 v[16:19], off, s12
	scratch_load_dwordx4 v[20:23], off, s13
	s_add_i32 s12, s4, 0x1b0
	s_add_i32 s13, s4, 0x1c0
	scratch_load_dwordx4 v[24:27], off, s12
	scratch_load_dwordx4 v[28:31], off, s13
	s_add_i32 s12, s4, 0x1d0
	scratch_load_dwordx4 v[32:35], off, s12
	s_mov_b32 s5, s4
	v_add_u32_e32 v5, s4, v4
	s_cmpk_eq_i32 s4, 0x200
	s_mov_b64 s[12:13], -1
	s_waitcnt vmcnt(4)
	ds_write2_b64 v5, v[16:17], v[18:19] offset1:1
	s_waitcnt vmcnt(3)
	ds_write2_b64 v5, v[20:21], v[22:23] offset0:2 offset1:3
	s_waitcnt vmcnt(2)
	ds_write2_b64 v5, v[24:25], v[26:27] offset0:4 offset1:5
	;; [unrolled: 2-line block ×4, first 2 shown]
	s_cbranch_scc1 .LBB122_618
; %bb.620:                              ;   in Loop: Header=BB122_619 Depth=1
	s_add_i32 s12, s5, 0x1e0
	s_add_i32 s13, s5, 0x1f0
	scratch_load_dwordx4 v[16:19], off, s12
	scratch_load_dwordx4 v[20:23], off, s13
	s_addk_i32 s5, 0x200
	scratch_load_dwordx4 v[24:27], off, s5
	s_addk_i32 s4, 0x80
	s_mov_b64 s[12:13], 0
	s_waitcnt vmcnt(2)
	ds_write2_b64 v5, v[16:17], v[18:19] offset0:10 offset1:11
	s_waitcnt vmcnt(1)
	ds_write2_b64 v5, v[20:21], v[22:23] offset0:12 offset1:13
	;; [unrolled: 2-line block ×3, first 2 shown]
	s_branch .LBB122_618
.LBB122_621:
	v_mov_b32_e32 v15, 24
.LBB122_622:
	s_or_b64 exec, exec, s[0:1]
	v_cmp_lt_i32_e32 vcc, 24, v15
	s_waitcnt lgkmcnt(0)
	s_barrier
	s_and_saveexec_b64 s[0:1], vcc
	s_cbranch_execz .LBB122_627
; %bb.623:
	scratch_load_dwordx4 v[16:19], off, off offset:384
	s_mov_b32 s14, 0
	s_waitcnt vmcnt(0)
	v_mul_f64 v[4:5], v[2:3], v[18:19]
	v_mul_f64 v[6:7], v[0:1], v[18:19]
	v_fma_f64 v[4:5], v[0:1], v[16:17], -v[4:5]
	v_fmac_f64_e32 v[6:7], v[2:3], v[16:17]
	v_add_u32_e32 v0, 0x190, v12
	scratch_store_dwordx4 off, v[4:7], off offset:384
	s_branch .LBB122_625
.LBB122_624:                            ;   in Loop: Header=BB122_625 Depth=1
	s_andn2_b64 vcc, exec, s[12:13]
	s_cbranch_vccz .LBB122_627
.LBB122_625:                            ; =>This Inner Loop Header: Depth=1
	s_add_i32 s4, s14, 0x190
	scratch_load_dwordx4 v[16:19], off, s4
	s_add_i32 s5, s14, 0x1a0
	s_add_i32 s12, s14, 0x1b0
	;; [unrolled: 1-line block ×4, first 2 shown]
	scratch_load_dwordx4 v[20:23], off, s5
	scratch_load_dwordx4 v[24:27], off, s12
	;; [unrolled: 1-line block ×4, first 2 shown]
	v_add_u32_e32 v1, s14, v0
	ds_read2_b64 v[36:39], v1 offset1:1
	ds_read2_b64 v[40:43], v1 offset0:2 offset1:3
	ds_read2_b64 v[44:47], v1 offset0:4 offset1:5
	;; [unrolled: 1-line block ×4, first 2 shown]
	s_waitcnt lgkmcnt(4)
	v_mul_f64 v[2:3], v[38:39], v[6:7]
	v_mul_f64 v[56:57], v[36:37], v[6:7]
	s_waitcnt lgkmcnt(3)
	v_mul_f64 v[58:59], v[42:43], v[6:7]
	v_mul_f64 v[60:61], v[40:41], v[6:7]
	;; [unrolled: 3-line block ×5, first 2 shown]
	v_fma_f64 v[2:3], v[36:37], v[4:5], -v[2:3]
	v_fmac_f64_e32 v[56:57], v[38:39], v[4:5]
	v_fma_f64 v[36:37], v[40:41], v[4:5], -v[58:59]
	v_fmac_f64_e32 v[60:61], v[42:43], v[4:5]
	v_fma_f64 v[38:39], v[44:45], v[4:5], -v[62:63]
	v_fmac_f64_e32 v[64:65], v[46:47], v[4:5]
	v_fma_f64 v[40:41], v[48:49], v[4:5], -v[66:67]
	v_fmac_f64_e32 v[68:69], v[50:51], v[4:5]
	v_fma_f64 v[42:43], v[52:53], v[4:5], -v[70:71]
	v_fmac_f64_e32 v[72:73], v[54:55], v[4:5]
	s_mov_b32 s15, s14
	s_cmpk_eq_i32 s14, 0x200
	s_waitcnt vmcnt(4)
	v_add_f64 v[16:17], v[16:17], -v[2:3]
	v_add_f64 v[18:19], v[18:19], -v[56:57]
	s_waitcnt vmcnt(3)
	v_add_f64 v[20:21], v[20:21], -v[36:37]
	v_add_f64 v[22:23], v[22:23], -v[60:61]
	;; [unrolled: 3-line block ×5, first 2 shown]
	scratch_store_dwordx4 off, v[16:19], s4
	scratch_store_dwordx4 off, v[20:23], s5
	;; [unrolled: 1-line block ×5, first 2 shown]
	s_mov_b64 s[12:13], -1
	s_cbranch_scc1 .LBB122_624
; %bb.626:                              ;   in Loop: Header=BB122_625 Depth=1
	s_add_i32 s4, s15, 0x1e0
	scratch_load_dwordx4 v[16:19], off, s4
	s_add_i32 s5, s15, 0x1f0
	s_addk_i32 s15, 0x200
	scratch_load_dwordx4 v[20:23], off, s5
	scratch_load_dwordx4 v[24:27], off, s15
	ds_read2_b64 v[28:31], v1 offset0:10 offset1:11
	ds_read2_b64 v[32:35], v1 offset0:12 offset1:13
	;; [unrolled: 1-line block ×3, first 2 shown]
	s_addk_i32 s14, 0x80
	s_mov_b64 s[12:13], 0
	s_waitcnt lgkmcnt(2)
	v_mul_f64 v[2:3], v[30:31], v[6:7]
	v_mul_f64 v[40:41], v[28:29], v[6:7]
	s_waitcnt lgkmcnt(1)
	v_mul_f64 v[42:43], v[34:35], v[6:7]
	v_mul_f64 v[44:45], v[32:33], v[6:7]
	;; [unrolled: 3-line block ×3, first 2 shown]
	v_fma_f64 v[2:3], v[28:29], v[4:5], -v[2:3]
	v_fmac_f64_e32 v[40:41], v[30:31], v[4:5]
	v_fma_f64 v[28:29], v[32:33], v[4:5], -v[42:43]
	v_fmac_f64_e32 v[44:45], v[34:35], v[4:5]
	;; [unrolled: 2-line block ×3, first 2 shown]
	s_waitcnt vmcnt(2)
	v_add_f64 v[16:17], v[16:17], -v[2:3]
	v_add_f64 v[18:19], v[18:19], -v[40:41]
	s_waitcnt vmcnt(1)
	v_add_f64 v[20:21], v[20:21], -v[28:29]
	v_add_f64 v[22:23], v[22:23], -v[44:45]
	;; [unrolled: 3-line block ×3, first 2 shown]
	scratch_store_dwordx4 off, v[16:19], s4
	scratch_store_dwordx4 off, v[20:23], s5
	;; [unrolled: 1-line block ×3, first 2 shown]
	s_branch .LBB122_624
.LBB122_627:
	s_or_b64 exec, exec, s[0:1]
	s_barrier
	scratch_load_dwordx4 v[0:3], off, s64
	v_lshl_add_u32 v4, v15, 4, v12
	s_cmp_lt_i32 s66, 27
	s_waitcnt vmcnt(0)
	ds_write2_b64 v4, v[0:1], v[2:3] offset1:1
	s_waitcnt lgkmcnt(0)
	s_barrier
	ds_read2_b64 v[0:3], v12 offset0:50 offset1:51
	v_mov_b32_e32 v4, 25
	s_cbranch_scc1 .LBB122_630
; %bb.628:
	v_add_u32_e32 v5, 0x1a0, v12
	s_mov_b32 s4, 26
	v_mov_b32_e32 v4, 25
.LBB122_629:                            ; =>This Inner Loop Header: Depth=1
	ds_read2_b64 v[16:19], v5 offset1:1
	s_waitcnt lgkmcnt(1)
	v_xor_b32_e32 v7, 0x80000000, v1
	v_xor_b32_e32 v21, 0x80000000, v3
	v_cmp_gt_f64_e32 vcc, 0, v[2:3]
	v_cmp_gt_f64_e64 s[0:1], 0, v[0:1]
	v_mov_b32_e32 v6, v0
	v_mov_b32_e32 v20, v2
	v_cndmask_b32_e64 v7, v1, v7, s[0:1]
	v_cndmask_b32_e32 v21, v3, v21, vcc
	v_add_f64 v[6:7], v[6:7], v[20:21]
	s_waitcnt lgkmcnt(0)
	v_xor_b32_e32 v21, 0x80000000, v17
	v_xor_b32_e32 v23, 0x80000000, v19
	v_cmp_gt_f64_e32 vcc, 0, v[18:19]
	v_cmp_gt_f64_e64 s[0:1], 0, v[16:17]
	v_mov_b32_e32 v20, v16
	v_mov_b32_e32 v22, v18
	v_cndmask_b32_e64 v21, v17, v21, s[0:1]
	v_cndmask_b32_e32 v23, v19, v23, vcc
	v_add_f64 v[20:21], v[20:21], v[22:23]
	v_mov_b32_e32 v24, s4
	s_add_i32 s4, s4, 1
	v_cmp_lt_f64_e32 vcc, v[6:7], v[20:21]
	v_add_u32_e32 v5, 16, v5
	s_cmp_lg_u32 s66, s4
	v_cndmask_b32_e32 v1, v1, v17, vcc
	v_cndmask_b32_e32 v0, v0, v16, vcc
	;; [unrolled: 1-line block ×5, first 2 shown]
	s_cbranch_scc1 .LBB122_629
.LBB122_630:
	s_waitcnt lgkmcnt(0)
	v_cmp_eq_f64_e32 vcc, 0, v[0:1]
	v_cmp_eq_f64_e64 s[0:1], 0, v[2:3]
	s_and_b64 s[0:1], vcc, s[0:1]
	s_and_saveexec_b64 s[4:5], s[0:1]
	s_xor_b64 s[0:1], exec, s[4:5]
; %bb.631:
	v_cmp_ne_u32_e32 vcc, 0, v13
	s_nop 1
	v_cndmask_b32_e32 v13, 26, v13, vcc
; %bb.632:
	s_andn2_saveexec_b64 s[0:1], s[0:1]
	s_cbranch_execz .LBB122_638
; %bb.633:
	v_cmp_ngt_f64_e64 s[4:5], |v[0:1]|, |v[2:3]|
	s_and_saveexec_b64 s[12:13], s[4:5]
	s_xor_b64 s[12:13], exec, s[12:13]
	s_cbranch_execz .LBB122_635
; %bb.634:
	v_div_scale_f64 v[6:7], s[4:5], v[2:3], v[2:3], v[0:1]
	v_rcp_f64_e32 v[16:17], v[6:7]
	v_div_scale_f64 v[18:19], vcc, v[0:1], v[2:3], v[0:1]
	v_fma_f64 v[20:21], -v[6:7], v[16:17], 1.0
	v_fmac_f64_e32 v[16:17], v[16:17], v[20:21]
	v_fma_f64 v[20:21], -v[6:7], v[16:17], 1.0
	v_fmac_f64_e32 v[16:17], v[16:17], v[20:21]
	v_mul_f64 v[20:21], v[18:19], v[16:17]
	v_fma_f64 v[6:7], -v[6:7], v[20:21], v[18:19]
	v_div_fmas_f64 v[6:7], v[6:7], v[16:17], v[20:21]
	v_div_fixup_f64 v[6:7], v[6:7], v[2:3], v[0:1]
	v_fmac_f64_e32 v[2:3], v[0:1], v[6:7]
	v_div_scale_f64 v[0:1], s[4:5], v[2:3], v[2:3], 1.0
	v_rcp_f64_e32 v[16:17], v[0:1]
	s_nop 0
	v_fma_f64 v[18:19], -v[0:1], v[16:17], 1.0
	v_fmac_f64_e32 v[16:17], v[16:17], v[18:19]
	v_fma_f64 v[18:19], -v[0:1], v[16:17], 1.0
	v_fmac_f64_e32 v[16:17], v[16:17], v[18:19]
	v_div_scale_f64 v[18:19], vcc, 1.0, v[2:3], 1.0
	v_mul_f64 v[20:21], v[18:19], v[16:17]
	v_fma_f64 v[0:1], -v[0:1], v[20:21], v[18:19]
	s_nop 1
	v_div_fmas_f64 v[0:1], v[0:1], v[16:17], v[20:21]
	v_div_fixup_f64 v[2:3], v[0:1], v[2:3], 1.0
	v_mul_f64 v[0:1], v[6:7], v[2:3]
	v_xor_b32_e32 v3, 0x80000000, v3
.LBB122_635:
	s_andn2_saveexec_b64 s[12:13], s[12:13]
	s_cbranch_execz .LBB122_637
; %bb.636:
	v_div_scale_f64 v[6:7], s[4:5], v[0:1], v[0:1], v[2:3]
	v_rcp_f64_e32 v[16:17], v[6:7]
	v_div_scale_f64 v[18:19], vcc, v[2:3], v[0:1], v[2:3]
	v_fma_f64 v[20:21], -v[6:7], v[16:17], 1.0
	v_fmac_f64_e32 v[16:17], v[16:17], v[20:21]
	v_fma_f64 v[20:21], -v[6:7], v[16:17], 1.0
	v_fmac_f64_e32 v[16:17], v[16:17], v[20:21]
	v_mul_f64 v[20:21], v[18:19], v[16:17]
	v_fma_f64 v[6:7], -v[6:7], v[20:21], v[18:19]
	v_div_fmas_f64 v[6:7], v[6:7], v[16:17], v[20:21]
	v_div_fixup_f64 v[6:7], v[6:7], v[0:1], v[2:3]
	v_fmac_f64_e32 v[0:1], v[2:3], v[6:7]
	v_div_scale_f64 v[2:3], s[4:5], v[0:1], v[0:1], 1.0
	v_rcp_f64_e32 v[16:17], v[2:3]
	s_nop 0
	v_fma_f64 v[18:19], -v[2:3], v[16:17], 1.0
	v_fmac_f64_e32 v[16:17], v[16:17], v[18:19]
	v_fma_f64 v[18:19], -v[2:3], v[16:17], 1.0
	v_fmac_f64_e32 v[16:17], v[16:17], v[18:19]
	v_div_scale_f64 v[18:19], vcc, 1.0, v[0:1], 1.0
	v_mul_f64 v[20:21], v[18:19], v[16:17]
	v_fma_f64 v[2:3], -v[2:3], v[20:21], v[18:19]
	s_nop 1
	v_div_fmas_f64 v[2:3], v[2:3], v[16:17], v[20:21]
	v_div_fixup_f64 v[0:1], v[2:3], v[0:1], 1.0
	v_mul_f64 v[2:3], v[6:7], -v[0:1]
.LBB122_637:
	s_or_b64 exec, exec, s[12:13]
.LBB122_638:
	s_or_b64 exec, exec, s[0:1]
	v_cmp_ne_u32_e32 vcc, v15, v4
	s_and_saveexec_b64 s[0:1], vcc
	s_xor_b64 s[0:1], exec, s[0:1]
	s_cbranch_execz .LBB122_644
; %bb.639:
	v_cmp_eq_u32_e32 vcc, 25, v15
	s_and_saveexec_b64 s[12:13], vcc
	s_cbranch_execz .LBB122_643
; %bb.640:
	v_cmp_ne_u32_e32 vcc, 25, v4
	s_xor_b64 s[4:5], s[18:19], -1
	s_and_b64 s[4:5], s[4:5], vcc
	s_and_saveexec_b64 s[14:15], s[4:5]
	s_cbranch_execz .LBB122_642
; %bb.641:
	v_ashrrev_i32_e32 v5, 31, v4
	v_lshl_add_u64 v[6:7], v[4:5], 2, v[10:11]
	global_load_dword v5, v[6:7], off
	global_load_dword v14, v[10:11], off offset:100
	s_waitcnt vmcnt(1)
	global_store_dword v[10:11], v5, off offset:100
	s_waitcnt vmcnt(1)
	global_store_dword v[6:7], v14, off
.LBB122_642:
	s_or_b64 exec, exec, s[14:15]
	v_mov_b32_e32 v15, v4
	v_mov_b32_e32 v14, v4
.LBB122_643:
	s_or_b64 exec, exec, s[12:13]
.LBB122_644:
	s_andn2_saveexec_b64 s[0:1], s[0:1]
	s_cbranch_execz .LBB122_646
; %bb.645:
	scratch_load_dwordx4 v[4:7], off, s63
	scratch_load_dwordx4 v[16:19], off, s56
	;; [unrolled: 1-line block ×21, first 2 shown]
	v_mov_b32_e32 v15, 25
	s_waitcnt vmcnt(20)
	ds_write2_b64 v12, v[4:5], v[6:7] offset0:52 offset1:53
	scratch_load_dwordx4 v[4:7], off, s34
	s_waitcnt vmcnt(20)
	ds_write2_b64 v12, v[16:17], v[18:19] offset0:54 offset1:55
	scratch_load_dwordx4 v[16:19], off, s33
	;; [unrolled: 3-line block ×15, first 2 shown]
	s_waitcnt vmcnt(20)
	ds_write2_b64 v12, v[72:73], v[74:75] offset0:82 offset1:83
	s_waitcnt vmcnt(19)
	ds_write2_b64 v12, v[76:77], v[78:79] offset0:84 offset1:85
	;; [unrolled: 2-line block ×21, first 2 shown]
.LBB122_646:
	s_or_b64 exec, exec, s[0:1]
	v_cmp_lt_i32_e32 vcc, 25, v15
	s_waitcnt lgkmcnt(0)
	s_barrier
	s_and_saveexec_b64 s[0:1], vcc
	s_cbranch_execz .LBB122_649
; %bb.647:
	scratch_load_dwordx4 v[16:19], off, off offset:400
	s_mov_b32 s12, 0
	s_waitcnt vmcnt(0)
	v_mul_f64 v[4:5], v[2:3], v[18:19]
	v_mul_f64 v[6:7], v[0:1], v[18:19]
	v_fma_f64 v[4:5], v[0:1], v[16:17], -v[4:5]
	v_fmac_f64_e32 v[6:7], v[2:3], v[16:17]
	v_add_u32_e32 v0, 0x1a0, v12
	scratch_store_dwordx4 off, v[4:7], off offset:400
.LBB122_648:                            ; =>This Inner Loop Header: Depth=1
	v_add_u32_e32 v1, s12, v0
	ds_read2_b64 v[16:19], v1 offset1:1
	ds_read2_b64 v[20:23], v1 offset0:2 offset1:3
	ds_read2_b64 v[24:27], v1 offset0:4 offset1:5
	;; [unrolled: 1-line block ×5, first 2 shown]
	s_add_i32 s13, s12, 0x1a0
	s_waitcnt lgkmcnt(5)
	v_mul_f64 v[2:3], v[18:19], v[6:7]
	v_mul_f64 v[72:73], v[16:17], v[6:7]
	s_waitcnt lgkmcnt(4)
	v_mul_f64 v[74:75], v[22:23], v[6:7]
	v_mul_f64 v[76:77], v[20:21], v[6:7]
	;; [unrolled: 3-line block ×6, first 2 shown]
	s_add_i32 s14, s12, 0x1b0
	s_add_i32 s15, s12, 0x1c0
	;; [unrolled: 1-line block ×8, first 2 shown]
	scratch_load_dwordx4 v[40:43], off, s13
	scratch_load_dwordx4 v[44:47], off, s14
	;; [unrolled: 1-line block ×8, first 2 shown]
	v_fma_f64 v[2:3], v[16:17], v[4:5], -v[2:3]
	v_fmac_f64_e32 v[72:73], v[18:19], v[4:5]
	v_fma_f64 v[74:75], v[20:21], v[4:5], -v[74:75]
	v_fmac_f64_e32 v[76:77], v[22:23], v[4:5]
	;; [unrolled: 2-line block ×6, first 2 shown]
	scratch_load_dwordx4 v[4:7], off, off offset:400
	scratch_load_dwordx4 v[16:19], off, s4
	ds_read2_b64 v[20:23], v1 offset0:12 offset1:13
	ds_read2_b64 v[24:27], v1 offset0:14 offset1:15
	;; [unrolled: 1-line block ×3, first 2 shown]
	s_addk_i32 s12, 0x90
	s_cmpk_lg_i32 s12, 0x240
	s_waitcnt vmcnt(9)
	v_add_f64 v[32:33], v[40:41], -v[2:3]
	v_add_f64 v[34:35], v[42:43], -v[72:73]
	s_waitcnt vmcnt(8)
	v_add_f64 v[36:37], v[44:45], -v[74:75]
	v_add_f64 v[38:39], v[46:47], -v[76:77]
	s_waitcnt vmcnt(7)
	v_add_f64 v[40:41], v[48:49], -v[78:79]
	v_add_f64 v[42:43], v[50:51], -v[80:81]
	s_waitcnt vmcnt(6)
	v_add_f64 v[44:45], v[52:53], -v[82:83]
	v_add_f64 v[46:47], v[54:55], -v[84:85]
	s_waitcnt vmcnt(5)
	v_add_f64 v[48:49], v[56:57], -v[86:87]
	v_add_f64 v[50:51], v[58:59], -v[88:89]
	s_waitcnt vmcnt(4)
	v_add_f64 v[52:53], v[60:61], -v[90:91]
	v_add_f64 v[54:55], v[62:63], -v[92:93]
	scratch_store_dwordx4 off, v[32:35], s13
	scratch_store_dwordx4 off, v[36:39], s14
	;; [unrolled: 1-line block ×6, first 2 shown]
	s_waitcnt vmcnt(7) lgkmcnt(2)
	v_mul_f64 v[2:3], v[22:23], v[6:7]
	v_mul_f64 v[32:33], v[20:21], v[6:7]
	s_waitcnt lgkmcnt(1)
	v_mul_f64 v[34:35], v[26:27], v[6:7]
	v_mul_f64 v[36:37], v[24:25], v[6:7]
	s_waitcnt lgkmcnt(0)
	v_mul_f64 v[38:39], v[30:31], v[6:7]
	v_mul_f64 v[40:41], v[28:29], v[6:7]
	v_fma_f64 v[2:3], v[20:21], v[4:5], -v[2:3]
	v_fmac_f64_e32 v[32:33], v[22:23], v[4:5]
	v_fma_f64 v[24:25], v[24:25], v[4:5], -v[34:35]
	v_fmac_f64_e32 v[36:37], v[26:27], v[4:5]
	;; [unrolled: 2-line block ×3, first 2 shown]
	v_add_f64 v[20:21], v[64:65], -v[2:3]
	v_add_f64 v[22:23], v[66:67], -v[32:33]
	;; [unrolled: 1-line block ×4, first 2 shown]
	s_waitcnt vmcnt(6)
	v_add_f64 v[16:17], v[16:17], -v[28:29]
	v_add_f64 v[18:19], v[18:19], -v[40:41]
	scratch_store_dwordx4 off, v[20:23], s68
	scratch_store_dwordx4 off, v[24:27], s69
	;; [unrolled: 1-line block ×3, first 2 shown]
	s_cbranch_scc1 .LBB122_648
.LBB122_649:
	s_or_b64 exec, exec, s[0:1]
	s_barrier
	scratch_load_dwordx4 v[0:3], off, s63
	v_lshl_add_u32 v4, v15, 4, v12
	s_cmp_lt_i32 s66, 28
	s_waitcnt vmcnt(0)
	ds_write2_b64 v4, v[0:1], v[2:3] offset1:1
	s_waitcnt lgkmcnt(0)
	s_barrier
	ds_read2_b64 v[0:3], v12 offset0:52 offset1:53
	v_mov_b32_e32 v4, 26
	s_cbranch_scc1 .LBB122_652
; %bb.650:
	v_add_u32_e32 v5, 0x1b0, v12
	s_mov_b32 s4, 27
	v_mov_b32_e32 v4, 26
.LBB122_651:                            ; =>This Inner Loop Header: Depth=1
	ds_read2_b64 v[16:19], v5 offset1:1
	s_waitcnt lgkmcnt(1)
	v_xor_b32_e32 v7, 0x80000000, v1
	v_xor_b32_e32 v21, 0x80000000, v3
	v_cmp_gt_f64_e32 vcc, 0, v[2:3]
	v_cmp_gt_f64_e64 s[0:1], 0, v[0:1]
	v_mov_b32_e32 v6, v0
	v_mov_b32_e32 v20, v2
	v_cndmask_b32_e64 v7, v1, v7, s[0:1]
	v_cndmask_b32_e32 v21, v3, v21, vcc
	v_add_f64 v[6:7], v[6:7], v[20:21]
	s_waitcnt lgkmcnt(0)
	v_xor_b32_e32 v21, 0x80000000, v17
	v_xor_b32_e32 v23, 0x80000000, v19
	v_cmp_gt_f64_e32 vcc, 0, v[18:19]
	v_cmp_gt_f64_e64 s[0:1], 0, v[16:17]
	v_mov_b32_e32 v20, v16
	v_mov_b32_e32 v22, v18
	v_cndmask_b32_e64 v21, v17, v21, s[0:1]
	v_cndmask_b32_e32 v23, v19, v23, vcc
	v_add_f64 v[20:21], v[20:21], v[22:23]
	v_mov_b32_e32 v24, s4
	s_add_i32 s4, s4, 1
	v_cmp_lt_f64_e32 vcc, v[6:7], v[20:21]
	v_add_u32_e32 v5, 16, v5
	s_cmp_lg_u32 s66, s4
	v_cndmask_b32_e32 v1, v1, v17, vcc
	v_cndmask_b32_e32 v0, v0, v16, vcc
	;; [unrolled: 1-line block ×5, first 2 shown]
	s_cbranch_scc1 .LBB122_651
.LBB122_652:
	s_waitcnt lgkmcnt(0)
	v_cmp_eq_f64_e32 vcc, 0, v[0:1]
	v_cmp_eq_f64_e64 s[0:1], 0, v[2:3]
	s_and_b64 s[0:1], vcc, s[0:1]
	s_and_saveexec_b64 s[4:5], s[0:1]
	s_xor_b64 s[0:1], exec, s[4:5]
; %bb.653:
	v_cmp_ne_u32_e32 vcc, 0, v13
	s_nop 1
	v_cndmask_b32_e32 v13, 27, v13, vcc
; %bb.654:
	s_andn2_saveexec_b64 s[0:1], s[0:1]
	s_cbranch_execz .LBB122_660
; %bb.655:
	v_cmp_ngt_f64_e64 s[4:5], |v[0:1]|, |v[2:3]|
	s_and_saveexec_b64 s[12:13], s[4:5]
	s_xor_b64 s[12:13], exec, s[12:13]
	s_cbranch_execz .LBB122_657
; %bb.656:
	v_div_scale_f64 v[6:7], s[4:5], v[2:3], v[2:3], v[0:1]
	v_rcp_f64_e32 v[16:17], v[6:7]
	v_div_scale_f64 v[18:19], vcc, v[0:1], v[2:3], v[0:1]
	v_fma_f64 v[20:21], -v[6:7], v[16:17], 1.0
	v_fmac_f64_e32 v[16:17], v[16:17], v[20:21]
	v_fma_f64 v[20:21], -v[6:7], v[16:17], 1.0
	v_fmac_f64_e32 v[16:17], v[16:17], v[20:21]
	v_mul_f64 v[20:21], v[18:19], v[16:17]
	v_fma_f64 v[6:7], -v[6:7], v[20:21], v[18:19]
	v_div_fmas_f64 v[6:7], v[6:7], v[16:17], v[20:21]
	v_div_fixup_f64 v[6:7], v[6:7], v[2:3], v[0:1]
	v_fmac_f64_e32 v[2:3], v[0:1], v[6:7]
	v_div_scale_f64 v[0:1], s[4:5], v[2:3], v[2:3], 1.0
	v_rcp_f64_e32 v[16:17], v[0:1]
	s_nop 0
	v_fma_f64 v[18:19], -v[0:1], v[16:17], 1.0
	v_fmac_f64_e32 v[16:17], v[16:17], v[18:19]
	v_fma_f64 v[18:19], -v[0:1], v[16:17], 1.0
	v_fmac_f64_e32 v[16:17], v[16:17], v[18:19]
	v_div_scale_f64 v[18:19], vcc, 1.0, v[2:3], 1.0
	v_mul_f64 v[20:21], v[18:19], v[16:17]
	v_fma_f64 v[0:1], -v[0:1], v[20:21], v[18:19]
	s_nop 1
	v_div_fmas_f64 v[0:1], v[0:1], v[16:17], v[20:21]
	v_div_fixup_f64 v[2:3], v[0:1], v[2:3], 1.0
	v_mul_f64 v[0:1], v[6:7], v[2:3]
	v_xor_b32_e32 v3, 0x80000000, v3
.LBB122_657:
	s_andn2_saveexec_b64 s[12:13], s[12:13]
	s_cbranch_execz .LBB122_659
; %bb.658:
	v_div_scale_f64 v[6:7], s[4:5], v[0:1], v[0:1], v[2:3]
	v_rcp_f64_e32 v[16:17], v[6:7]
	v_div_scale_f64 v[18:19], vcc, v[2:3], v[0:1], v[2:3]
	v_fma_f64 v[20:21], -v[6:7], v[16:17], 1.0
	v_fmac_f64_e32 v[16:17], v[16:17], v[20:21]
	v_fma_f64 v[20:21], -v[6:7], v[16:17], 1.0
	v_fmac_f64_e32 v[16:17], v[16:17], v[20:21]
	v_mul_f64 v[20:21], v[18:19], v[16:17]
	v_fma_f64 v[6:7], -v[6:7], v[20:21], v[18:19]
	v_div_fmas_f64 v[6:7], v[6:7], v[16:17], v[20:21]
	v_div_fixup_f64 v[6:7], v[6:7], v[0:1], v[2:3]
	v_fmac_f64_e32 v[0:1], v[2:3], v[6:7]
	v_div_scale_f64 v[2:3], s[4:5], v[0:1], v[0:1], 1.0
	v_rcp_f64_e32 v[16:17], v[2:3]
	s_nop 0
	v_fma_f64 v[18:19], -v[2:3], v[16:17], 1.0
	v_fmac_f64_e32 v[16:17], v[16:17], v[18:19]
	v_fma_f64 v[18:19], -v[2:3], v[16:17], 1.0
	v_fmac_f64_e32 v[16:17], v[16:17], v[18:19]
	v_div_scale_f64 v[18:19], vcc, 1.0, v[0:1], 1.0
	v_mul_f64 v[20:21], v[18:19], v[16:17]
	v_fma_f64 v[2:3], -v[2:3], v[20:21], v[18:19]
	s_nop 1
	v_div_fmas_f64 v[2:3], v[2:3], v[16:17], v[20:21]
	v_div_fixup_f64 v[0:1], v[2:3], v[0:1], 1.0
	v_mul_f64 v[2:3], v[6:7], -v[0:1]
.LBB122_659:
	s_or_b64 exec, exec, s[12:13]
.LBB122_660:
	s_or_b64 exec, exec, s[0:1]
	v_cmp_ne_u32_e32 vcc, v15, v4
	s_and_saveexec_b64 s[0:1], vcc
	s_xor_b64 s[0:1], exec, s[0:1]
	s_cbranch_execz .LBB122_666
; %bb.661:
	v_cmp_eq_u32_e32 vcc, 26, v15
	s_and_saveexec_b64 s[12:13], vcc
	s_cbranch_execz .LBB122_665
; %bb.662:
	v_cmp_ne_u32_e32 vcc, 26, v4
	s_xor_b64 s[4:5], s[18:19], -1
	s_and_b64 s[4:5], s[4:5], vcc
	s_and_saveexec_b64 s[14:15], s[4:5]
	s_cbranch_execz .LBB122_664
; %bb.663:
	v_ashrrev_i32_e32 v5, 31, v4
	v_lshl_add_u64 v[6:7], v[4:5], 2, v[10:11]
	global_load_dword v5, v[6:7], off
	global_load_dword v14, v[10:11], off offset:104
	s_waitcnt vmcnt(1)
	global_store_dword v[10:11], v5, off offset:104
	s_waitcnt vmcnt(1)
	global_store_dword v[6:7], v14, off
.LBB122_664:
	s_or_b64 exec, exec, s[14:15]
	v_mov_b32_e32 v15, v4
	v_mov_b32_e32 v14, v4
.LBB122_665:
	s_or_b64 exec, exec, s[12:13]
.LBB122_666:
	s_andn2_saveexec_b64 s[0:1], s[0:1]
	s_cbranch_execz .LBB122_668
; %bb.667:
	scratch_load_dwordx4 v[4:7], off, s56
	v_mov_b32_e32 v15, 26
	s_waitcnt vmcnt(0)
	ds_write2_b64 v12, v[4:5], v[6:7] offset0:54 offset1:55
	scratch_load_dwordx4 v[4:7], off, s52
	s_waitcnt vmcnt(0)
	ds_write2_b64 v12, v[4:5], v[6:7] offset0:56 offset1:57
	scratch_load_dwordx4 v[4:7], off, s92
	;; [unrolled: 3-line block ×34, first 2 shown]
	s_waitcnt vmcnt(0)
	ds_write2_b64 v12, v[4:5], v[6:7] offset0:122 offset1:123
.LBB122_668:
	s_or_b64 exec, exec, s[0:1]
	v_cmp_lt_i32_e32 vcc, 26, v15
	s_waitcnt lgkmcnt(0)
	s_barrier
	s_and_saveexec_b64 s[0:1], vcc
	s_cbranch_execz .LBB122_671
; %bb.669:
	scratch_load_dwordx4 v[16:19], off, off offset:416
	s_mov_b32 s12, 0
	s_waitcnt vmcnt(0)
	v_mul_f64 v[4:5], v[2:3], v[18:19]
	v_mul_f64 v[6:7], v[0:1], v[18:19]
	v_fma_f64 v[4:5], v[0:1], v[16:17], -v[4:5]
	v_fmac_f64_e32 v[6:7], v[2:3], v[16:17]
	v_add_u32_e32 v0, 0x1b0, v12
	scratch_store_dwordx4 off, v[4:7], off offset:416
.LBB122_670:                            ; =>This Inner Loop Header: Depth=1
	v_add_u32_e32 v1, s12, v0
	ds_read2_b64 v[16:19], v1 offset1:1
	ds_read2_b64 v[20:23], v1 offset0:2 offset1:3
	ds_read2_b64 v[24:27], v1 offset0:4 offset1:5
	;; [unrolled: 1-line block ×5, first 2 shown]
	s_add_i32 s13, s12, 0x1b0
	s_add_i32 s5, s12, 0x1c0
	;; [unrolled: 1-line block ×6, first 2 shown]
	scratch_load_dwordx4 v[40:43], off, s13
	scratch_load_dwordx4 v[44:47], off, s5
	;; [unrolled: 1-line block ×6, first 2 shown]
	s_waitcnt lgkmcnt(5)
	v_mul_f64 v[2:3], v[18:19], v[6:7]
	v_mul_f64 v[64:65], v[16:17], v[6:7]
	s_waitcnt lgkmcnt(4)
	v_mul_f64 v[66:67], v[22:23], v[6:7]
	v_mul_f64 v[68:69], v[20:21], v[6:7]
	;; [unrolled: 3-line block ×6, first 2 shown]
	s_add_i32 s4, s12, 0x210
	v_fma_f64 v[2:3], v[16:17], v[4:5], -v[2:3]
	v_fmac_f64_e32 v[64:65], v[18:19], v[4:5]
	v_fma_f64 v[66:67], v[20:21], v[4:5], -v[66:67]
	v_fmac_f64_e32 v[68:69], v[22:23], v[4:5]
	;; [unrolled: 2-line block ×6, first 2 shown]
	scratch_load_dwordx4 v[4:7], off, off offset:416
	scratch_load_dwordx4 v[16:19], off, s4
	ds_read2_b64 v[20:23], v1 offset0:12 offset1:13
	s_addk_i32 s12, 0x70
	s_cmpk_lg_i32 s12, 0x230
	s_waitcnt vmcnt(7)
	v_add_f64 v[24:25], v[40:41], -v[2:3]
	v_add_f64 v[26:27], v[42:43], -v[64:65]
	s_waitcnt vmcnt(6)
	v_add_f64 v[28:29], v[44:45], -v[66:67]
	v_add_f64 v[30:31], v[46:47], -v[68:69]
	;; [unrolled: 3-line block ×6, first 2 shown]
	scratch_store_dwordx4 off, v[24:27], s13
	scratch_store_dwordx4 off, v[28:31], s5
	;; [unrolled: 1-line block ×6, first 2 shown]
	s_waitcnt vmcnt(7) lgkmcnt(0)
	v_mul_f64 v[2:3], v[22:23], v[6:7]
	v_mul_f64 v[24:25], v[20:21], v[6:7]
	v_fma_f64 v[2:3], v[20:21], v[4:5], -v[2:3]
	v_fmac_f64_e32 v[24:25], v[22:23], v[4:5]
	s_waitcnt vmcnt(6)
	v_add_f64 v[16:17], v[16:17], -v[2:3]
	v_add_f64 v[18:19], v[18:19], -v[24:25]
	scratch_store_dwordx4 off, v[16:19], s4
	s_cbranch_scc1 .LBB122_670
.LBB122_671:
	s_or_b64 exec, exec, s[0:1]
	s_barrier
	scratch_load_dwordx4 v[0:3], off, s56
	v_lshl_add_u32 v4, v15, 4, v12
	v_readlane_b32 s16, v128, 0
	s_cmp_lt_i32 s66, 29
	v_readlane_b32 s17, v128, 1
	s_waitcnt vmcnt(0)
	ds_write2_b64 v4, v[0:1], v[2:3] offset1:1
	s_waitcnt lgkmcnt(0)
	s_barrier
	ds_read2_b64 v[0:3], v12 offset0:54 offset1:55
	v_mov_b32_e32 v4, 27
	s_cbranch_scc1 .LBB122_674
; %bb.672:
	v_add_u32_e32 v5, 0x1c0, v12
	s_mov_b32 s4, 28
	v_mov_b32_e32 v4, 27
.LBB122_673:                            ; =>This Inner Loop Header: Depth=1
	ds_read2_b64 v[16:19], v5 offset1:1
	s_waitcnt lgkmcnt(1)
	v_xor_b32_e32 v7, 0x80000000, v1
	v_xor_b32_e32 v21, 0x80000000, v3
	v_cmp_gt_f64_e32 vcc, 0, v[2:3]
	v_cmp_gt_f64_e64 s[0:1], 0, v[0:1]
	v_mov_b32_e32 v6, v0
	v_mov_b32_e32 v20, v2
	v_cndmask_b32_e64 v7, v1, v7, s[0:1]
	v_cndmask_b32_e32 v21, v3, v21, vcc
	v_add_f64 v[6:7], v[6:7], v[20:21]
	s_waitcnt lgkmcnt(0)
	v_xor_b32_e32 v21, 0x80000000, v17
	v_xor_b32_e32 v23, 0x80000000, v19
	v_cmp_gt_f64_e32 vcc, 0, v[18:19]
	v_cmp_gt_f64_e64 s[0:1], 0, v[16:17]
	v_mov_b32_e32 v20, v16
	v_mov_b32_e32 v22, v18
	v_cndmask_b32_e64 v21, v17, v21, s[0:1]
	v_cndmask_b32_e32 v23, v19, v23, vcc
	v_add_f64 v[20:21], v[20:21], v[22:23]
	v_mov_b32_e32 v24, s4
	s_add_i32 s4, s4, 1
	v_cmp_lt_f64_e32 vcc, v[6:7], v[20:21]
	v_add_u32_e32 v5, 16, v5
	s_cmp_lg_u32 s66, s4
	v_cndmask_b32_e32 v1, v1, v17, vcc
	v_cndmask_b32_e32 v0, v0, v16, vcc
	;; [unrolled: 1-line block ×5, first 2 shown]
	s_cbranch_scc1 .LBB122_673
.LBB122_674:
	s_waitcnt lgkmcnt(0)
	v_cmp_eq_f64_e32 vcc, 0, v[0:1]
	v_cmp_eq_f64_e64 s[0:1], 0, v[2:3]
	s_and_b64 s[0:1], vcc, s[0:1]
	s_and_saveexec_b64 s[4:5], s[0:1]
	s_xor_b64 s[0:1], exec, s[4:5]
; %bb.675:
	v_cmp_ne_u32_e32 vcc, 0, v13
	s_nop 1
	v_cndmask_b32_e32 v13, 28, v13, vcc
; %bb.676:
	s_andn2_saveexec_b64 s[0:1], s[0:1]
	s_cbranch_execz .LBB122_682
; %bb.677:
	v_cmp_ngt_f64_e64 s[4:5], |v[0:1]|, |v[2:3]|
	s_and_saveexec_b64 s[12:13], s[4:5]
	s_xor_b64 s[12:13], exec, s[12:13]
	s_cbranch_execz .LBB122_679
; %bb.678:
	v_div_scale_f64 v[6:7], s[4:5], v[2:3], v[2:3], v[0:1]
	v_rcp_f64_e32 v[16:17], v[6:7]
	v_div_scale_f64 v[18:19], vcc, v[0:1], v[2:3], v[0:1]
	v_fma_f64 v[20:21], -v[6:7], v[16:17], 1.0
	v_fmac_f64_e32 v[16:17], v[16:17], v[20:21]
	v_fma_f64 v[20:21], -v[6:7], v[16:17], 1.0
	v_fmac_f64_e32 v[16:17], v[16:17], v[20:21]
	v_mul_f64 v[20:21], v[18:19], v[16:17]
	v_fma_f64 v[6:7], -v[6:7], v[20:21], v[18:19]
	v_div_fmas_f64 v[6:7], v[6:7], v[16:17], v[20:21]
	v_div_fixup_f64 v[6:7], v[6:7], v[2:3], v[0:1]
	v_fmac_f64_e32 v[2:3], v[0:1], v[6:7]
	v_div_scale_f64 v[0:1], s[4:5], v[2:3], v[2:3], 1.0
	v_rcp_f64_e32 v[16:17], v[0:1]
	s_nop 0
	v_fma_f64 v[18:19], -v[0:1], v[16:17], 1.0
	v_fmac_f64_e32 v[16:17], v[16:17], v[18:19]
	v_fma_f64 v[18:19], -v[0:1], v[16:17], 1.0
	v_fmac_f64_e32 v[16:17], v[16:17], v[18:19]
	v_div_scale_f64 v[18:19], vcc, 1.0, v[2:3], 1.0
	v_mul_f64 v[20:21], v[18:19], v[16:17]
	v_fma_f64 v[0:1], -v[0:1], v[20:21], v[18:19]
	s_nop 1
	v_div_fmas_f64 v[0:1], v[0:1], v[16:17], v[20:21]
	v_div_fixup_f64 v[2:3], v[0:1], v[2:3], 1.0
	v_mul_f64 v[0:1], v[6:7], v[2:3]
	v_xor_b32_e32 v3, 0x80000000, v3
.LBB122_679:
	s_andn2_saveexec_b64 s[12:13], s[12:13]
	s_cbranch_execz .LBB122_681
; %bb.680:
	v_div_scale_f64 v[6:7], s[4:5], v[0:1], v[0:1], v[2:3]
	v_rcp_f64_e32 v[16:17], v[6:7]
	v_div_scale_f64 v[18:19], vcc, v[2:3], v[0:1], v[2:3]
	v_fma_f64 v[20:21], -v[6:7], v[16:17], 1.0
	v_fmac_f64_e32 v[16:17], v[16:17], v[20:21]
	v_fma_f64 v[20:21], -v[6:7], v[16:17], 1.0
	v_fmac_f64_e32 v[16:17], v[16:17], v[20:21]
	v_mul_f64 v[20:21], v[18:19], v[16:17]
	v_fma_f64 v[6:7], -v[6:7], v[20:21], v[18:19]
	v_div_fmas_f64 v[6:7], v[6:7], v[16:17], v[20:21]
	v_div_fixup_f64 v[6:7], v[6:7], v[0:1], v[2:3]
	v_fmac_f64_e32 v[0:1], v[2:3], v[6:7]
	v_div_scale_f64 v[2:3], s[4:5], v[0:1], v[0:1], 1.0
	v_rcp_f64_e32 v[16:17], v[2:3]
	s_nop 0
	v_fma_f64 v[18:19], -v[2:3], v[16:17], 1.0
	v_fmac_f64_e32 v[16:17], v[16:17], v[18:19]
	v_fma_f64 v[18:19], -v[2:3], v[16:17], 1.0
	v_fmac_f64_e32 v[16:17], v[16:17], v[18:19]
	v_div_scale_f64 v[18:19], vcc, 1.0, v[0:1], 1.0
	v_mul_f64 v[20:21], v[18:19], v[16:17]
	v_fma_f64 v[2:3], -v[2:3], v[20:21], v[18:19]
	s_nop 1
	v_div_fmas_f64 v[2:3], v[2:3], v[16:17], v[20:21]
	v_div_fixup_f64 v[0:1], v[2:3], v[0:1], 1.0
	v_mul_f64 v[2:3], v[6:7], -v[0:1]
.LBB122_681:
	s_or_b64 exec, exec, s[12:13]
.LBB122_682:
	s_or_b64 exec, exec, s[0:1]
	v_cmp_ne_u32_e32 vcc, v15, v4
	s_and_saveexec_b64 s[0:1], vcc
	s_xor_b64 s[0:1], exec, s[0:1]
	s_cbranch_execz .LBB122_688
; %bb.683:
	v_cmp_eq_u32_e32 vcc, 27, v15
	s_and_saveexec_b64 s[12:13], vcc
	s_cbranch_execz .LBB122_687
; %bb.684:
	v_cmp_ne_u32_e32 vcc, 27, v4
	s_xor_b64 s[4:5], s[18:19], -1
	s_and_b64 s[4:5], s[4:5], vcc
	s_and_saveexec_b64 s[14:15], s[4:5]
	s_cbranch_execz .LBB122_686
; %bb.685:
	v_ashrrev_i32_e32 v5, 31, v4
	v_lshl_add_u64 v[6:7], v[4:5], 2, v[10:11]
	global_load_dword v5, v[6:7], off
	global_load_dword v14, v[10:11], off offset:108
	s_waitcnt vmcnt(1)
	global_store_dword v[10:11], v5, off offset:108
	s_waitcnt vmcnt(1)
	global_store_dword v[6:7], v14, off
.LBB122_686:
	s_or_b64 exec, exec, s[14:15]
	v_mov_b32_e32 v15, v4
	v_mov_b32_e32 v14, v4
.LBB122_687:
	s_or_b64 exec, exec, s[12:13]
.LBB122_688:
	s_andn2_saveexec_b64 s[0:1], s[0:1]
	s_cbranch_execz .LBB122_690
; %bb.689:
	scratch_load_dwordx4 v[4:7], off, s52
	v_mov_b32_e32 v15, 27
	s_waitcnt vmcnt(0)
	ds_write2_b64 v12, v[4:5], v[6:7] offset0:56 offset1:57
	scratch_load_dwordx4 v[4:7], off, s92
	s_waitcnt vmcnt(0)
	ds_write2_b64 v12, v[4:5], v[6:7] offset0:58 offset1:59
	scratch_load_dwordx4 v[4:7], off, s51
	;; [unrolled: 3-line block ×33, first 2 shown]
	s_waitcnt vmcnt(0)
	ds_write2_b64 v12, v[4:5], v[6:7] offset0:122 offset1:123
.LBB122_690:
	s_or_b64 exec, exec, s[0:1]
	v_cmp_lt_i32_e32 vcc, 27, v15
	s_waitcnt lgkmcnt(0)
	s_barrier
	s_and_saveexec_b64 s[0:1], vcc
	s_cbranch_execz .LBB122_693
; %bb.691:
	scratch_load_dwordx4 v[16:19], off, off offset:432
	s_mov_b32 s4, 0
	s_waitcnt vmcnt(0)
	v_mul_f64 v[4:5], v[2:3], v[18:19]
	v_mul_f64 v[6:7], v[0:1], v[18:19]
	v_fma_f64 v[4:5], v[0:1], v[16:17], -v[4:5]
	v_fmac_f64_e32 v[6:7], v[2:3], v[16:17]
	v_add_u32_e32 v0, 0x1c0, v12
	scratch_store_dwordx4 off, v[4:7], off offset:432
.LBB122_692:                            ; =>This Inner Loop Header: Depth=1
	s_add_i32 s12, s4, 0x1c0
	s_add_i32 s5, s4, 0x1d0
	scratch_load_dwordx4 v[16:19], off, s12
	scratch_load_dwordx4 v[20:23], off, s5
	v_add_u32_e32 v1, s4, v0
	ds_read2_b64 v[24:27], v1 offset1:1
	ds_read2_b64 v[28:31], v1 offset0:2 offset1:3
	s_add_i32 s4, s4, 32
	s_cmpk_lg_i32 s4, 0x220
	s_waitcnt lgkmcnt(1)
	v_mul_f64 v[2:3], v[26:27], v[6:7]
	v_mul_f64 v[32:33], v[24:25], v[6:7]
	s_waitcnt lgkmcnt(0)
	v_mul_f64 v[34:35], v[30:31], v[6:7]
	v_mul_f64 v[36:37], v[28:29], v[6:7]
	v_fma_f64 v[2:3], v[24:25], v[4:5], -v[2:3]
	v_fmac_f64_e32 v[32:33], v[26:27], v[4:5]
	v_fma_f64 v[24:25], v[28:29], v[4:5], -v[34:35]
	v_fmac_f64_e32 v[36:37], v[30:31], v[4:5]
	s_waitcnt vmcnt(1)
	v_add_f64 v[16:17], v[16:17], -v[2:3]
	v_add_f64 v[18:19], v[18:19], -v[32:33]
	s_waitcnt vmcnt(0)
	v_add_f64 v[20:21], v[20:21], -v[24:25]
	v_add_f64 v[22:23], v[22:23], -v[36:37]
	scratch_store_dwordx4 off, v[16:19], s12
	scratch_store_dwordx4 off, v[20:23], s5
	s_cbranch_scc1 .LBB122_692
.LBB122_693:
	s_or_b64 exec, exec, s[0:1]
	s_barrier
	scratch_load_dwordx4 v[0:3], off, s52
	v_lshl_add_u32 v4, v15, 4, v12
	s_cmp_lt_i32 s66, 30
	s_waitcnt vmcnt(0)
	ds_write2_b64 v4, v[0:1], v[2:3] offset1:1
	s_waitcnt lgkmcnt(0)
	s_barrier
	ds_read2_b64 v[0:3], v12 offset0:56 offset1:57
	v_mov_b32_e32 v4, 28
	s_cbranch_scc1 .LBB122_696
; %bb.694:
	v_add_u32_e32 v5, 0x1d0, v12
	s_mov_b32 s4, 29
	v_mov_b32_e32 v4, 28
.LBB122_695:                            ; =>This Inner Loop Header: Depth=1
	ds_read2_b64 v[16:19], v5 offset1:1
	s_waitcnt lgkmcnt(1)
	v_xor_b32_e32 v7, 0x80000000, v1
	v_xor_b32_e32 v21, 0x80000000, v3
	v_cmp_gt_f64_e32 vcc, 0, v[2:3]
	v_cmp_gt_f64_e64 s[0:1], 0, v[0:1]
	v_mov_b32_e32 v6, v0
	v_mov_b32_e32 v20, v2
	v_cndmask_b32_e64 v7, v1, v7, s[0:1]
	v_cndmask_b32_e32 v21, v3, v21, vcc
	v_add_f64 v[6:7], v[6:7], v[20:21]
	s_waitcnt lgkmcnt(0)
	v_xor_b32_e32 v21, 0x80000000, v17
	v_xor_b32_e32 v23, 0x80000000, v19
	v_cmp_gt_f64_e32 vcc, 0, v[18:19]
	v_cmp_gt_f64_e64 s[0:1], 0, v[16:17]
	v_mov_b32_e32 v20, v16
	v_mov_b32_e32 v22, v18
	v_cndmask_b32_e64 v21, v17, v21, s[0:1]
	v_cndmask_b32_e32 v23, v19, v23, vcc
	v_add_f64 v[20:21], v[20:21], v[22:23]
	v_mov_b32_e32 v24, s4
	s_add_i32 s4, s4, 1
	v_cmp_lt_f64_e32 vcc, v[6:7], v[20:21]
	v_add_u32_e32 v5, 16, v5
	s_cmp_lg_u32 s66, s4
	v_cndmask_b32_e32 v1, v1, v17, vcc
	v_cndmask_b32_e32 v0, v0, v16, vcc
	v_cndmask_b32_e32 v3, v3, v19, vcc
	v_cndmask_b32_e32 v2, v2, v18, vcc
	v_cndmask_b32_e32 v4, v4, v24, vcc
	s_cbranch_scc1 .LBB122_695
.LBB122_696:
	s_waitcnt lgkmcnt(0)
	v_cmp_eq_f64_e32 vcc, 0, v[0:1]
	v_cmp_eq_f64_e64 s[0:1], 0, v[2:3]
	s_and_b64 s[0:1], vcc, s[0:1]
	s_and_saveexec_b64 s[4:5], s[0:1]
	s_xor_b64 s[0:1], exec, s[4:5]
; %bb.697:
	v_cmp_ne_u32_e32 vcc, 0, v13
	s_nop 1
	v_cndmask_b32_e32 v13, 29, v13, vcc
; %bb.698:
	s_andn2_saveexec_b64 s[0:1], s[0:1]
	s_cbranch_execz .LBB122_704
; %bb.699:
	v_cmp_ngt_f64_e64 s[4:5], |v[0:1]|, |v[2:3]|
	s_and_saveexec_b64 s[12:13], s[4:5]
	s_xor_b64 s[12:13], exec, s[12:13]
	s_cbranch_execz .LBB122_701
; %bb.700:
	v_div_scale_f64 v[6:7], s[4:5], v[2:3], v[2:3], v[0:1]
	v_rcp_f64_e32 v[16:17], v[6:7]
	v_div_scale_f64 v[18:19], vcc, v[0:1], v[2:3], v[0:1]
	v_fma_f64 v[20:21], -v[6:7], v[16:17], 1.0
	v_fmac_f64_e32 v[16:17], v[16:17], v[20:21]
	v_fma_f64 v[20:21], -v[6:7], v[16:17], 1.0
	v_fmac_f64_e32 v[16:17], v[16:17], v[20:21]
	v_mul_f64 v[20:21], v[18:19], v[16:17]
	v_fma_f64 v[6:7], -v[6:7], v[20:21], v[18:19]
	v_div_fmas_f64 v[6:7], v[6:7], v[16:17], v[20:21]
	v_div_fixup_f64 v[6:7], v[6:7], v[2:3], v[0:1]
	v_fmac_f64_e32 v[2:3], v[0:1], v[6:7]
	v_div_scale_f64 v[0:1], s[4:5], v[2:3], v[2:3], 1.0
	v_rcp_f64_e32 v[16:17], v[0:1]
	s_nop 0
	v_fma_f64 v[18:19], -v[0:1], v[16:17], 1.0
	v_fmac_f64_e32 v[16:17], v[16:17], v[18:19]
	v_fma_f64 v[18:19], -v[0:1], v[16:17], 1.0
	v_fmac_f64_e32 v[16:17], v[16:17], v[18:19]
	v_div_scale_f64 v[18:19], vcc, 1.0, v[2:3], 1.0
	v_mul_f64 v[20:21], v[18:19], v[16:17]
	v_fma_f64 v[0:1], -v[0:1], v[20:21], v[18:19]
	s_nop 1
	v_div_fmas_f64 v[0:1], v[0:1], v[16:17], v[20:21]
	v_div_fixup_f64 v[2:3], v[0:1], v[2:3], 1.0
	v_mul_f64 v[0:1], v[6:7], v[2:3]
	v_xor_b32_e32 v3, 0x80000000, v3
.LBB122_701:
	s_andn2_saveexec_b64 s[12:13], s[12:13]
	s_cbranch_execz .LBB122_703
; %bb.702:
	v_div_scale_f64 v[6:7], s[4:5], v[0:1], v[0:1], v[2:3]
	v_rcp_f64_e32 v[16:17], v[6:7]
	v_div_scale_f64 v[18:19], vcc, v[2:3], v[0:1], v[2:3]
	v_fma_f64 v[20:21], -v[6:7], v[16:17], 1.0
	v_fmac_f64_e32 v[16:17], v[16:17], v[20:21]
	v_fma_f64 v[20:21], -v[6:7], v[16:17], 1.0
	v_fmac_f64_e32 v[16:17], v[16:17], v[20:21]
	v_mul_f64 v[20:21], v[18:19], v[16:17]
	v_fma_f64 v[6:7], -v[6:7], v[20:21], v[18:19]
	v_div_fmas_f64 v[6:7], v[6:7], v[16:17], v[20:21]
	v_div_fixup_f64 v[6:7], v[6:7], v[0:1], v[2:3]
	v_fmac_f64_e32 v[0:1], v[2:3], v[6:7]
	v_div_scale_f64 v[2:3], s[4:5], v[0:1], v[0:1], 1.0
	v_rcp_f64_e32 v[16:17], v[2:3]
	s_nop 0
	v_fma_f64 v[18:19], -v[2:3], v[16:17], 1.0
	v_fmac_f64_e32 v[16:17], v[16:17], v[18:19]
	v_fma_f64 v[18:19], -v[2:3], v[16:17], 1.0
	v_fmac_f64_e32 v[16:17], v[16:17], v[18:19]
	v_div_scale_f64 v[18:19], vcc, 1.0, v[0:1], 1.0
	v_mul_f64 v[20:21], v[18:19], v[16:17]
	v_fma_f64 v[2:3], -v[2:3], v[20:21], v[18:19]
	s_nop 1
	v_div_fmas_f64 v[2:3], v[2:3], v[16:17], v[20:21]
	v_div_fixup_f64 v[0:1], v[2:3], v[0:1], 1.0
	v_mul_f64 v[2:3], v[6:7], -v[0:1]
.LBB122_703:
	s_or_b64 exec, exec, s[12:13]
.LBB122_704:
	s_or_b64 exec, exec, s[0:1]
	v_cmp_ne_u32_e32 vcc, v15, v4
	s_and_saveexec_b64 s[0:1], vcc
	s_xor_b64 s[0:1], exec, s[0:1]
	s_cbranch_execz .LBB122_710
; %bb.705:
	v_cmp_eq_u32_e32 vcc, 28, v15
	s_and_saveexec_b64 s[12:13], vcc
	s_cbranch_execz .LBB122_709
; %bb.706:
	v_cmp_ne_u32_e32 vcc, 28, v4
	s_xor_b64 s[4:5], s[18:19], -1
	s_and_b64 s[4:5], s[4:5], vcc
	s_and_saveexec_b64 s[14:15], s[4:5]
	s_cbranch_execz .LBB122_708
; %bb.707:
	v_ashrrev_i32_e32 v5, 31, v4
	v_lshl_add_u64 v[6:7], v[4:5], 2, v[10:11]
	global_load_dword v5, v[6:7], off
	global_load_dword v14, v[10:11], off offset:112
	s_waitcnt vmcnt(1)
	global_store_dword v[10:11], v5, off offset:112
	s_waitcnt vmcnt(1)
	global_store_dword v[6:7], v14, off
.LBB122_708:
	s_or_b64 exec, exec, s[14:15]
	v_mov_b32_e32 v15, v4
	v_mov_b32_e32 v14, v4
.LBB122_709:
	s_or_b64 exec, exec, s[12:13]
.LBB122_710:
	s_andn2_saveexec_b64 s[0:1], s[0:1]
	s_cbranch_execz .LBB122_712
; %bb.711:
	scratch_load_dwordx4 v[4:7], off, s92
	v_mov_b32_e32 v15, 28
	s_waitcnt vmcnt(0)
	ds_write2_b64 v12, v[4:5], v[6:7] offset0:58 offset1:59
	scratch_load_dwordx4 v[4:7], off, s51
	s_waitcnt vmcnt(0)
	ds_write2_b64 v12, v[4:5], v[6:7] offset0:60 offset1:61
	scratch_load_dwordx4 v[4:7], off, s50
	s_waitcnt vmcnt(0)
	ds_write2_b64 v12, v[4:5], v[6:7] offset0:62 offset1:63
	scratch_load_dwordx4 v[4:7], off, s57
	s_waitcnt vmcnt(0)
	ds_write2_b64 v12, v[4:5], v[6:7] offset0:64 offset1:65
	scratch_load_dwordx4 v[4:7], off, s48
	s_waitcnt vmcnt(0)
	ds_write2_b64 v12, v[4:5], v[6:7] offset0:66 offset1:67
	scratch_load_dwordx4 v[4:7], off, s47
	s_waitcnt vmcnt(0)
	ds_write2_b64 v12, v[4:5], v[6:7] offset0:68 offset1:69
	scratch_load_dwordx4 v[4:7], off, s46
	s_waitcnt vmcnt(0)
	ds_write2_b64 v12, v[4:5], v[6:7] offset0:70 offset1:71
	scratch_load_dwordx4 v[4:7], off, s45
	s_waitcnt vmcnt(0)
	ds_write2_b64 v12, v[4:5], v[6:7] offset0:72 offset1:73
	scratch_load_dwordx4 v[4:7], off, s44
	s_waitcnt vmcnt(0)
	ds_write2_b64 v12, v[4:5], v[6:7] offset0:74 offset1:75
	scratch_load_dwordx4 v[4:7], off, s43
	s_waitcnt vmcnt(0)
	ds_write2_b64 v12, v[4:5], v[6:7] offset0:76 offset1:77
	scratch_load_dwordx4 v[4:7], off, s42
	s_waitcnt vmcnt(0)
	ds_write2_b64 v12, v[4:5], v[6:7] offset0:78 offset1:79
	scratch_load_dwordx4 v[4:7], off, s41
	s_waitcnt vmcnt(0)
	ds_write2_b64 v12, v[4:5], v[6:7] offset0:80 offset1:81
	scratch_load_dwordx4 v[4:7], off, s40
	s_waitcnt vmcnt(0)
	ds_write2_b64 v12, v[4:5], v[6:7] offset0:82 offset1:83
	scratch_load_dwordx4 v[4:7], off, s39
	s_waitcnt vmcnt(0)
	ds_write2_b64 v12, v[4:5], v[6:7] offset0:84 offset1:85
	scratch_load_dwordx4 v[4:7], off, s38
	s_waitcnt vmcnt(0)
	ds_write2_b64 v12, v[4:5], v[6:7] offset0:86 offset1:87
	scratch_load_dwordx4 v[4:7], off, s37
	s_waitcnt vmcnt(0)
	ds_write2_b64 v12, v[4:5], v[6:7] offset0:88 offset1:89
	scratch_load_dwordx4 v[4:7], off, s36
	s_waitcnt vmcnt(0)
	ds_write2_b64 v12, v[4:5], v[6:7] offset0:90 offset1:91
	scratch_load_dwordx4 v[4:7], off, s35
	s_waitcnt vmcnt(0)
	ds_write2_b64 v12, v[4:5], v[6:7] offset0:92 offset1:93
	scratch_load_dwordx4 v[4:7], off, s34
	s_waitcnt vmcnt(0)
	ds_write2_b64 v12, v[4:5], v[6:7] offset0:94 offset1:95
	scratch_load_dwordx4 v[4:7], off, s33
	s_waitcnt vmcnt(0)
	ds_write2_b64 v12, v[4:5], v[6:7] offset0:96 offset1:97
	scratch_load_dwordx4 v[4:7], off, s31
	s_waitcnt vmcnt(0)
	ds_write2_b64 v12, v[4:5], v[6:7] offset0:98 offset1:99
	scratch_load_dwordx4 v[4:7], off, s30
	s_waitcnt vmcnt(0)
	ds_write2_b64 v12, v[4:5], v[6:7] offset0:100 offset1:101
	scratch_load_dwordx4 v[4:7], off, s29
	s_waitcnt vmcnt(0)
	ds_write2_b64 v12, v[4:5], v[6:7] offset0:102 offset1:103
	scratch_load_dwordx4 v[4:7], off, s28
	s_waitcnt vmcnt(0)
	ds_write2_b64 v12, v[4:5], v[6:7] offset0:104 offset1:105
	scratch_load_dwordx4 v[4:7], off, s27
	s_waitcnt vmcnt(0)
	ds_write2_b64 v12, v[4:5], v[6:7] offset0:106 offset1:107
	scratch_load_dwordx4 v[4:7], off, s26
	s_waitcnt vmcnt(0)
	ds_write2_b64 v12, v[4:5], v[6:7] offset0:108 offset1:109
	scratch_load_dwordx4 v[4:7], off, s25
	s_waitcnt vmcnt(0)
	ds_write2_b64 v12, v[4:5], v[6:7] offset0:110 offset1:111
	scratch_load_dwordx4 v[4:7], off, s24
	s_waitcnt vmcnt(0)
	ds_write2_b64 v12, v[4:5], v[6:7] offset0:112 offset1:113
	scratch_load_dwordx4 v[4:7], off, s23
	s_waitcnt vmcnt(0)
	ds_write2_b64 v12, v[4:5], v[6:7] offset0:114 offset1:115
	scratch_load_dwordx4 v[4:7], off, s22
	s_waitcnt vmcnt(0)
	ds_write2_b64 v12, v[4:5], v[6:7] offset0:116 offset1:117
	scratch_load_dwordx4 v[4:7], off, s21
	s_waitcnt vmcnt(0)
	ds_write2_b64 v12, v[4:5], v[6:7] offset0:118 offset1:119
	scratch_load_dwordx4 v[4:7], off, s20
	s_waitcnt vmcnt(0)
	ds_write2_b64 v12, v[4:5], v[6:7] offset0:120 offset1:121
	scratch_load_dwordx4 v[4:7], off, s65
	s_waitcnt vmcnt(0)
	ds_write2_b64 v12, v[4:5], v[6:7] offset0:122 offset1:123
.LBB122_712:
	s_or_b64 exec, exec, s[0:1]
	v_cmp_lt_i32_e32 vcc, 28, v15
	s_waitcnt lgkmcnt(0)
	s_barrier
	s_and_saveexec_b64 s[0:1], vcc
	s_cbranch_execz .LBB122_715
; %bb.713:
	scratch_load_dwordx4 v[16:19], off, off offset:448
	s_mov_b32 s4, 0
	s_waitcnt vmcnt(0)
	v_mul_f64 v[4:5], v[2:3], v[18:19]
	v_mul_f64 v[6:7], v[0:1], v[18:19]
	v_fma_f64 v[4:5], v[0:1], v[16:17], -v[4:5]
	v_fmac_f64_e32 v[6:7], v[2:3], v[16:17]
	v_add_u32_e32 v0, 0x1d0, v12
	scratch_store_dwordx4 off, v[4:7], off offset:448
.LBB122_714:                            ; =>This Inner Loop Header: Depth=1
	s_add_i32 s12, s4, 0x1d0
	s_add_i32 s13, s4, 0x1e0
	;; [unrolled: 1-line block ×3, first 2 shown]
	scratch_load_dwordx4 v[16:19], off, s12
	scratch_load_dwordx4 v[20:23], off, s13
	;; [unrolled: 1-line block ×3, first 2 shown]
	v_add_u32_e32 v1, s4, v0
	ds_read2_b64 v[28:31], v1 offset1:1
	ds_read2_b64 v[32:35], v1 offset0:2 offset1:3
	ds_read2_b64 v[36:39], v1 offset0:4 offset1:5
	s_add_i32 s4, s4, 48
	s_cmpk_lg_i32 s4, 0x210
	s_waitcnt lgkmcnt(2)
	v_mul_f64 v[2:3], v[30:31], v[6:7]
	v_mul_f64 v[40:41], v[28:29], v[6:7]
	s_waitcnt lgkmcnt(1)
	v_mul_f64 v[42:43], v[34:35], v[6:7]
	v_mul_f64 v[44:45], v[32:33], v[6:7]
	;; [unrolled: 3-line block ×3, first 2 shown]
	v_fma_f64 v[2:3], v[28:29], v[4:5], -v[2:3]
	v_fmac_f64_e32 v[40:41], v[30:31], v[4:5]
	v_fma_f64 v[28:29], v[32:33], v[4:5], -v[42:43]
	v_fmac_f64_e32 v[44:45], v[34:35], v[4:5]
	;; [unrolled: 2-line block ×3, first 2 shown]
	s_waitcnt vmcnt(2)
	v_add_f64 v[16:17], v[16:17], -v[2:3]
	v_add_f64 v[18:19], v[18:19], -v[40:41]
	s_waitcnt vmcnt(1)
	v_add_f64 v[20:21], v[20:21], -v[28:29]
	v_add_f64 v[22:23], v[22:23], -v[44:45]
	;; [unrolled: 3-line block ×3, first 2 shown]
	scratch_store_dwordx4 off, v[16:19], s12
	scratch_store_dwordx4 off, v[20:23], s13
	scratch_store_dwordx4 off, v[24:27], s5
	s_cbranch_scc1 .LBB122_714
.LBB122_715:
	s_or_b64 exec, exec, s[0:1]
	s_barrier
	scratch_load_dwordx4 v[0:3], off, s92
	v_lshl_add_u32 v4, v15, 4, v12
	s_cmp_lt_i32 s66, 31
	s_waitcnt vmcnt(0)
	ds_write2_b64 v4, v[0:1], v[2:3] offset1:1
	s_waitcnt lgkmcnt(0)
	s_barrier
	ds_read2_b64 v[0:3], v12 offset0:58 offset1:59
	v_mov_b32_e32 v4, 29
	s_cbranch_scc1 .LBB122_718
; %bb.716:
	v_add_u32_e32 v5, 0x1e0, v12
	s_mov_b32 s4, 30
	v_mov_b32_e32 v4, 29
.LBB122_717:                            ; =>This Inner Loop Header: Depth=1
	ds_read2_b64 v[16:19], v5 offset1:1
	s_waitcnt lgkmcnt(1)
	v_xor_b32_e32 v7, 0x80000000, v1
	v_xor_b32_e32 v21, 0x80000000, v3
	v_cmp_gt_f64_e32 vcc, 0, v[2:3]
	v_cmp_gt_f64_e64 s[0:1], 0, v[0:1]
	v_mov_b32_e32 v6, v0
	v_mov_b32_e32 v20, v2
	v_cndmask_b32_e64 v7, v1, v7, s[0:1]
	v_cndmask_b32_e32 v21, v3, v21, vcc
	v_add_f64 v[6:7], v[6:7], v[20:21]
	s_waitcnt lgkmcnt(0)
	v_xor_b32_e32 v21, 0x80000000, v17
	v_xor_b32_e32 v23, 0x80000000, v19
	v_cmp_gt_f64_e32 vcc, 0, v[18:19]
	v_cmp_gt_f64_e64 s[0:1], 0, v[16:17]
	v_mov_b32_e32 v20, v16
	v_mov_b32_e32 v22, v18
	v_cndmask_b32_e64 v21, v17, v21, s[0:1]
	v_cndmask_b32_e32 v23, v19, v23, vcc
	v_add_f64 v[20:21], v[20:21], v[22:23]
	v_mov_b32_e32 v24, s4
	s_add_i32 s4, s4, 1
	v_cmp_lt_f64_e32 vcc, v[6:7], v[20:21]
	v_add_u32_e32 v5, 16, v5
	s_cmp_lg_u32 s66, s4
	v_cndmask_b32_e32 v1, v1, v17, vcc
	v_cndmask_b32_e32 v0, v0, v16, vcc
	;; [unrolled: 1-line block ×5, first 2 shown]
	s_cbranch_scc1 .LBB122_717
.LBB122_718:
	s_waitcnt lgkmcnt(0)
	v_cmp_eq_f64_e32 vcc, 0, v[0:1]
	v_cmp_eq_f64_e64 s[0:1], 0, v[2:3]
	s_and_b64 s[0:1], vcc, s[0:1]
	s_and_saveexec_b64 s[4:5], s[0:1]
	s_xor_b64 s[0:1], exec, s[4:5]
; %bb.719:
	v_cmp_ne_u32_e32 vcc, 0, v13
	s_nop 1
	v_cndmask_b32_e32 v13, 30, v13, vcc
; %bb.720:
	s_andn2_saveexec_b64 s[0:1], s[0:1]
	s_cbranch_execz .LBB122_726
; %bb.721:
	v_cmp_ngt_f64_e64 s[4:5], |v[0:1]|, |v[2:3]|
	s_and_saveexec_b64 s[12:13], s[4:5]
	s_xor_b64 s[12:13], exec, s[12:13]
	s_cbranch_execz .LBB122_723
; %bb.722:
	v_div_scale_f64 v[6:7], s[4:5], v[2:3], v[2:3], v[0:1]
	v_rcp_f64_e32 v[16:17], v[6:7]
	v_div_scale_f64 v[18:19], vcc, v[0:1], v[2:3], v[0:1]
	v_fma_f64 v[20:21], -v[6:7], v[16:17], 1.0
	v_fmac_f64_e32 v[16:17], v[16:17], v[20:21]
	v_fma_f64 v[20:21], -v[6:7], v[16:17], 1.0
	v_fmac_f64_e32 v[16:17], v[16:17], v[20:21]
	v_mul_f64 v[20:21], v[18:19], v[16:17]
	v_fma_f64 v[6:7], -v[6:7], v[20:21], v[18:19]
	v_div_fmas_f64 v[6:7], v[6:7], v[16:17], v[20:21]
	v_div_fixup_f64 v[6:7], v[6:7], v[2:3], v[0:1]
	v_fmac_f64_e32 v[2:3], v[0:1], v[6:7]
	v_div_scale_f64 v[0:1], s[4:5], v[2:3], v[2:3], 1.0
	v_rcp_f64_e32 v[16:17], v[0:1]
	s_nop 0
	v_fma_f64 v[18:19], -v[0:1], v[16:17], 1.0
	v_fmac_f64_e32 v[16:17], v[16:17], v[18:19]
	v_fma_f64 v[18:19], -v[0:1], v[16:17], 1.0
	v_fmac_f64_e32 v[16:17], v[16:17], v[18:19]
	v_div_scale_f64 v[18:19], vcc, 1.0, v[2:3], 1.0
	v_mul_f64 v[20:21], v[18:19], v[16:17]
	v_fma_f64 v[0:1], -v[0:1], v[20:21], v[18:19]
	s_nop 1
	v_div_fmas_f64 v[0:1], v[0:1], v[16:17], v[20:21]
	v_div_fixup_f64 v[2:3], v[0:1], v[2:3], 1.0
	v_mul_f64 v[0:1], v[6:7], v[2:3]
	v_xor_b32_e32 v3, 0x80000000, v3
.LBB122_723:
	s_andn2_saveexec_b64 s[12:13], s[12:13]
	s_cbranch_execz .LBB122_725
; %bb.724:
	v_div_scale_f64 v[6:7], s[4:5], v[0:1], v[0:1], v[2:3]
	v_rcp_f64_e32 v[16:17], v[6:7]
	v_div_scale_f64 v[18:19], vcc, v[2:3], v[0:1], v[2:3]
	v_fma_f64 v[20:21], -v[6:7], v[16:17], 1.0
	v_fmac_f64_e32 v[16:17], v[16:17], v[20:21]
	v_fma_f64 v[20:21], -v[6:7], v[16:17], 1.0
	v_fmac_f64_e32 v[16:17], v[16:17], v[20:21]
	v_mul_f64 v[20:21], v[18:19], v[16:17]
	v_fma_f64 v[6:7], -v[6:7], v[20:21], v[18:19]
	v_div_fmas_f64 v[6:7], v[6:7], v[16:17], v[20:21]
	v_div_fixup_f64 v[6:7], v[6:7], v[0:1], v[2:3]
	v_fmac_f64_e32 v[0:1], v[2:3], v[6:7]
	v_div_scale_f64 v[2:3], s[4:5], v[0:1], v[0:1], 1.0
	v_rcp_f64_e32 v[16:17], v[2:3]
	s_nop 0
	v_fma_f64 v[18:19], -v[2:3], v[16:17], 1.0
	v_fmac_f64_e32 v[16:17], v[16:17], v[18:19]
	v_fma_f64 v[18:19], -v[2:3], v[16:17], 1.0
	v_fmac_f64_e32 v[16:17], v[16:17], v[18:19]
	v_div_scale_f64 v[18:19], vcc, 1.0, v[0:1], 1.0
	v_mul_f64 v[20:21], v[18:19], v[16:17]
	v_fma_f64 v[2:3], -v[2:3], v[20:21], v[18:19]
	s_nop 1
	v_div_fmas_f64 v[2:3], v[2:3], v[16:17], v[20:21]
	v_div_fixup_f64 v[0:1], v[2:3], v[0:1], 1.0
	v_mul_f64 v[2:3], v[6:7], -v[0:1]
.LBB122_725:
	s_or_b64 exec, exec, s[12:13]
.LBB122_726:
	s_or_b64 exec, exec, s[0:1]
	v_cmp_ne_u32_e32 vcc, v15, v4
	s_and_saveexec_b64 s[0:1], vcc
	s_xor_b64 s[0:1], exec, s[0:1]
	s_cbranch_execz .LBB122_732
; %bb.727:
	v_cmp_eq_u32_e32 vcc, 29, v15
	s_and_saveexec_b64 s[12:13], vcc
	s_cbranch_execz .LBB122_731
; %bb.728:
	v_cmp_ne_u32_e32 vcc, 29, v4
	s_xor_b64 s[4:5], s[18:19], -1
	s_and_b64 s[4:5], s[4:5], vcc
	s_and_saveexec_b64 s[14:15], s[4:5]
	s_cbranch_execz .LBB122_730
; %bb.729:
	v_ashrrev_i32_e32 v5, 31, v4
	v_lshl_add_u64 v[6:7], v[4:5], 2, v[10:11]
	global_load_dword v5, v[6:7], off
	global_load_dword v14, v[10:11], off offset:116
	s_waitcnt vmcnt(1)
	global_store_dword v[10:11], v5, off offset:116
	s_waitcnt vmcnt(1)
	global_store_dword v[6:7], v14, off
.LBB122_730:
	s_or_b64 exec, exec, s[14:15]
	v_mov_b32_e32 v15, v4
	v_mov_b32_e32 v14, v4
.LBB122_731:
	s_or_b64 exec, exec, s[12:13]
.LBB122_732:
	s_andn2_saveexec_b64 s[0:1], s[0:1]
	s_cbranch_execz .LBB122_734
; %bb.733:
	scratch_load_dwordx4 v[4:7], off, s51
	v_mov_b32_e32 v15, 29
	s_waitcnt vmcnt(0)
	ds_write2_b64 v12, v[4:5], v[6:7] offset0:60 offset1:61
	scratch_load_dwordx4 v[4:7], off, s50
	s_waitcnt vmcnt(0)
	ds_write2_b64 v12, v[4:5], v[6:7] offset0:62 offset1:63
	scratch_load_dwordx4 v[4:7], off, s57
	;; [unrolled: 3-line block ×31, first 2 shown]
	s_waitcnt vmcnt(0)
	ds_write2_b64 v12, v[4:5], v[6:7] offset0:122 offset1:123
.LBB122_734:
	s_or_b64 exec, exec, s[0:1]
	v_cmp_lt_i32_e32 vcc, 29, v15
	s_waitcnt lgkmcnt(0)
	s_barrier
	s_and_saveexec_b64 s[0:1], vcc
	s_cbranch_execz .LBB122_736
; %bb.735:
	scratch_load_dwordx4 v[4:7], off, off offset:464
	s_waitcnt vmcnt(0)
	v_mul_f64 v[16:17], v[2:3], v[6:7]
	v_mul_f64 v[18:19], v[0:1], v[6:7]
	v_fma_f64 v[16:17], v[0:1], v[4:5], -v[16:17]
	v_fmac_f64_e32 v[18:19], v[2:3], v[4:5]
	ds_read2_b64 v[0:3], v12 offset0:60 offset1:61
	scratch_store_dwordx4 off, v[16:19], off offset:464
	s_waitcnt lgkmcnt(0)
	v_mul_f64 v[4:5], v[2:3], v[18:19]
	v_mul_f64 v[6:7], v[0:1], v[18:19]
	v_fma_f64 v[4:5], v[0:1], v[16:17], -v[4:5]
	v_fmac_f64_e32 v[6:7], v[2:3], v[16:17]
	scratch_load_dwordx4 v[0:3], off, off offset:480
	s_waitcnt vmcnt(0)
	v_add_f64 v[0:1], v[0:1], -v[4:5]
	v_add_f64 v[2:3], v[2:3], -v[6:7]
	scratch_store_dwordx4 off, v[0:3], off offset:480
	ds_read2_b64 v[0:3], v12 offset0:62 offset1:63
	s_waitcnt lgkmcnt(0)
	v_mul_f64 v[4:5], v[2:3], v[18:19]
	v_mul_f64 v[6:7], v[0:1], v[18:19]
	v_fma_f64 v[4:5], v[0:1], v[16:17], -v[4:5]
	v_fmac_f64_e32 v[6:7], v[2:3], v[16:17]
	scratch_load_dwordx4 v[0:3], off, off offset:496
	s_waitcnt vmcnt(0)
	v_add_f64 v[0:1], v[0:1], -v[4:5]
	v_add_f64 v[2:3], v[2:3], -v[6:7]
	scratch_store_dwordx4 off, v[0:3], off offset:496
	ds_read2_b64 v[0:3], v12 offset0:64 offset1:65
	;; [unrolled: 11-line block ×6, first 2 shown]
	scratch_load_dwordx2 v[16:17], off, off offset:464
	scratch_load_dwordx4 v[0:3], off, off offset:464
	s_waitcnt vmcnt(0) lgkmcnt(0)
	v_mul_f64 v[18:19], v[6:7], v[2:3]
	v_mul_f64 v[20:21], v[4:5], v[2:3]
	v_fma_f64 v[18:19], v[4:5], v[16:17], -v[18:19]
	v_fmac_f64_e32 v[20:21], v[6:7], v[16:17]
	scratch_load_dwordx4 v[4:7], off, off offset:576
	s_waitcnt vmcnt(0)
	v_add_f64 v[4:5], v[4:5], -v[18:19]
	v_add_f64 v[6:7], v[6:7], -v[20:21]
	scratch_store_dwordx4 off, v[4:7], off offset:576
	ds_read2_b64 v[4:7], v12 offset0:74 offset1:75
	s_waitcnt lgkmcnt(0)
	v_mul_f64 v[18:19], v[6:7], v[2:3]
	v_mul_f64 v[20:21], v[4:5], v[2:3]
	v_fma_f64 v[18:19], v[4:5], v[16:17], -v[18:19]
	v_fmac_f64_e32 v[20:21], v[6:7], v[16:17]
	scratch_load_dwordx4 v[4:7], off, off offset:592
	s_waitcnt vmcnt(0)
	v_add_f64 v[4:5], v[4:5], -v[18:19]
	v_add_f64 v[6:7], v[6:7], -v[20:21]
	scratch_store_dwordx4 off, v[4:7], off offset:592
	ds_read2_b64 v[4:7], v12 offset0:76 offset1:77
	s_waitcnt lgkmcnt(0)
	;; [unrolled: 11-line block ×5, first 2 shown]
	v_mul_f64 v[18:19], v[6:7], v[2:3]
	v_fma_f64 v[18:19], v[4:5], v[16:17], -v[18:19]
	v_mul_f64 v[20:21], v[4:5], v[2:3]
	scratch_load_dwordx4 v[2:5], off, off offset:656
	v_fmac_f64_e32 v[20:21], v[6:7], v[16:17]
	s_waitcnt vmcnt(0)
	v_add_f64 v[2:3], v[2:3], -v[18:19]
	v_add_f64 v[4:5], v[4:5], -v[20:21]
	scratch_store_dwordx4 off, v[2:5], off offset:656
	ds_read2_b64 v[16:19], v12 offset0:84 offset1:85
	scratch_load_dwordx2 v[2:3], off, off offset:464
	scratch_load_dwordx2 v[4:5], off, off offset:472
	s_waitcnt vmcnt(0) lgkmcnt(0)
	v_mul_f64 v[6:7], v[18:19], v[4:5]
	v_mul_f64 v[20:21], v[16:17], v[4:5]
	v_fma_f64 v[6:7], v[16:17], v[2:3], -v[6:7]
	v_fmac_f64_e32 v[20:21], v[18:19], v[2:3]
	scratch_load_dwordx4 v[16:19], off, off offset:672
	s_waitcnt vmcnt(0)
	v_add_f64 v[16:17], v[16:17], -v[6:7]
	v_add_f64 v[18:19], v[18:19], -v[20:21]
	scratch_store_dwordx4 off, v[16:19], off offset:672
	ds_read2_b64 v[16:19], v12 offset0:86 offset1:87
	s_waitcnt lgkmcnt(0)
	v_mul_f64 v[6:7], v[18:19], v[4:5]
	v_mul_f64 v[20:21], v[16:17], v[4:5]
	v_fma_f64 v[6:7], v[16:17], v[2:3], -v[6:7]
	v_fmac_f64_e32 v[20:21], v[18:19], v[2:3]
	scratch_load_dwordx4 v[16:19], off, off offset:688
	s_waitcnt vmcnt(0)
	v_add_f64 v[16:17], v[16:17], -v[6:7]
	v_add_f64 v[18:19], v[18:19], -v[20:21]
	scratch_store_dwordx4 off, v[16:19], off offset:688
	ds_read2_b64 v[16:19], v12 offset0:88 offset1:89
	s_waitcnt lgkmcnt(0)
	v_mul_f64 v[6:7], v[18:19], v[4:5]
	v_mul_f64 v[20:21], v[16:17], v[4:5]
	v_fma_f64 v[6:7], v[16:17], v[2:3], -v[6:7]
	v_fmac_f64_e32 v[20:21], v[18:19], v[2:3]
	scratch_load_dwordx4 v[16:19], off, off offset:704
	s_waitcnt vmcnt(0)
	v_add_f64 v[16:17], v[16:17], -v[6:7]
	v_add_f64 v[18:19], v[18:19], -v[20:21]
	scratch_store_dwordx4 off, v[16:19], off offset:704
	ds_read2_b64 v[16:19], v12 offset0:90 offset1:91
	s_waitcnt lgkmcnt(0)
	v_mul_f64 v[6:7], v[18:19], v[4:5]
	v_mul_f64 v[20:21], v[16:17], v[4:5]
	v_fma_f64 v[6:7], v[16:17], v[2:3], -v[6:7]
	v_fmac_f64_e32 v[20:21], v[18:19], v[2:3]
	scratch_load_dwordx4 v[16:19], off, off offset:720
	s_waitcnt vmcnt(0)
	v_add_f64 v[16:17], v[16:17], -v[6:7]
	v_add_f64 v[18:19], v[18:19], -v[20:21]
	scratch_store_dwordx4 off, v[16:19], off offset:720
	ds_read2_b64 v[16:19], v12 offset0:92 offset1:93
	s_waitcnt lgkmcnt(0)
	v_mul_f64 v[6:7], v[18:19], v[4:5]
	v_mul_f64 v[20:21], v[16:17], v[4:5]
	v_fma_f64 v[6:7], v[16:17], v[2:3], -v[6:7]
	v_fmac_f64_e32 v[20:21], v[18:19], v[2:3]
	scratch_load_dwordx4 v[16:19], off, off offset:736
	s_waitcnt vmcnt(0)
	v_add_f64 v[16:17], v[16:17], -v[6:7]
	v_add_f64 v[18:19], v[18:19], -v[20:21]
	scratch_store_dwordx4 off, v[16:19], off offset:736
	ds_read2_b64 v[16:19], v12 offset0:94 offset1:95
	s_waitcnt lgkmcnt(0)
	v_mul_f64 v[6:7], v[18:19], v[4:5]
	v_fma_f64 v[6:7], v[16:17], v[2:3], -v[6:7]
	v_mul_f64 v[16:17], v[16:17], v[4:5]
	v_fmac_f64_e32 v[16:17], v[18:19], v[2:3]
	scratch_load_dwordx4 v[2:5], off, off offset:752
	s_waitcnt vmcnt(0)
	v_add_f64 v[2:3], v[2:3], -v[6:7]
	v_add_f64 v[4:5], v[4:5], -v[16:17]
	scratch_store_dwordx4 off, v[2:5], off offset:752
	ds_read2_b64 v[16:19], v12 offset0:96 offset1:97
	scratch_load_dwordx2 v[2:3], off, off offset:464
	scratch_load_dwordx2 v[4:5], off, off offset:472
	s_waitcnt vmcnt(0) lgkmcnt(0)
	v_mul_f64 v[6:7], v[18:19], v[4:5]
	v_mul_f64 v[20:21], v[16:17], v[4:5]
	v_fma_f64 v[6:7], v[16:17], v[2:3], -v[6:7]
	v_fmac_f64_e32 v[20:21], v[18:19], v[2:3]
	scratch_load_dwordx4 v[16:19], off, off offset:768
	s_waitcnt vmcnt(0)
	v_add_f64 v[16:17], v[16:17], -v[6:7]
	v_add_f64 v[18:19], v[18:19], -v[20:21]
	scratch_store_dwordx4 off, v[16:19], off offset:768
	ds_read2_b64 v[16:19], v12 offset0:98 offset1:99
	s_waitcnt lgkmcnt(0)
	v_mul_f64 v[6:7], v[18:19], v[4:5]
	v_mul_f64 v[20:21], v[16:17], v[4:5]
	v_fma_f64 v[6:7], v[16:17], v[2:3], -v[6:7]
	v_fmac_f64_e32 v[20:21], v[18:19], v[2:3]
	scratch_load_dwordx4 v[16:19], off, off offset:784
	s_waitcnt vmcnt(0)
	v_add_f64 v[16:17], v[16:17], -v[6:7]
	v_add_f64 v[18:19], v[18:19], -v[20:21]
	scratch_store_dwordx4 off, v[16:19], off offset:784
	ds_read2_b64 v[16:19], v12 offset0:100 offset1:101
	s_waitcnt lgkmcnt(0)
	;; [unrolled: 11-line block ×5, first 2 shown]
	v_mul_f64 v[6:7], v[18:19], v[4:5]
	v_fma_f64 v[6:7], v[16:17], v[2:3], -v[6:7]
	v_mul_f64 v[16:17], v[16:17], v[4:5]
	v_fmac_f64_e32 v[16:17], v[18:19], v[2:3]
	scratch_load_dwordx4 v[2:5], off, off offset:848
	s_waitcnt vmcnt(0)
	v_add_f64 v[2:3], v[2:3], -v[6:7]
	v_add_f64 v[4:5], v[4:5], -v[16:17]
	scratch_store_dwordx4 off, v[2:5], off offset:848
	ds_read2_b64 v[2:5], v12 offset0:108 offset1:109
	scratch_load_dwordx2 v[6:7], off, off offset:464
	scratch_load_dwordx2 v[16:17], off, off offset:472
	s_waitcnt vmcnt(0) lgkmcnt(0)
	v_mul_f64 v[18:19], v[4:5], v[16:17]
	v_mul_f64 v[20:21], v[2:3], v[16:17]
	v_fma_f64 v[18:19], v[2:3], v[6:7], -v[18:19]
	v_fmac_f64_e32 v[20:21], v[4:5], v[6:7]
	scratch_load_dwordx4 v[2:5], off, off offset:864
	s_waitcnt vmcnt(0)
	v_add_f64 v[2:3], v[2:3], -v[18:19]
	v_add_f64 v[4:5], v[4:5], -v[20:21]
	scratch_store_dwordx4 off, v[2:5], off offset:864
	ds_read2_b64 v[2:5], v12 offset0:110 offset1:111
	s_waitcnt lgkmcnt(0)
	v_mul_f64 v[18:19], v[4:5], v[16:17]
	v_mul_f64 v[20:21], v[2:3], v[16:17]
	v_fma_f64 v[18:19], v[2:3], v[6:7], -v[18:19]
	v_fmac_f64_e32 v[20:21], v[4:5], v[6:7]
	scratch_load_dwordx4 v[2:5], off, off offset:880
	s_waitcnt vmcnt(0)
	v_add_f64 v[2:3], v[2:3], -v[18:19]
	v_add_f64 v[4:5], v[4:5], -v[20:21]
	scratch_store_dwordx4 off, v[2:5], off offset:880
	ds_read2_b64 v[2:5], v12 offset0:112 offset1:113
	s_waitcnt lgkmcnt(0)
	;; [unrolled: 11-line block ×5, first 2 shown]
	v_mul_f64 v[18:19], v[4:5], v[16:17]
	v_mul_f64 v[16:17], v[2:3], v[16:17]
	v_fma_f64 v[18:19], v[2:3], v[6:7], -v[18:19]
	v_fmac_f64_e32 v[16:17], v[4:5], v[6:7]
	scratch_load_dwordx4 v[2:5], off, off offset:944
	scratch_load_dwordx2 v[6:7], off, off offset:472
	s_waitcnt vmcnt(1)
	v_add_f64 v[2:3], v[2:3], -v[18:19]
	v_add_f64 v[4:5], v[4:5], -v[16:17]
	scratch_store_dwordx4 off, v[2:5], off offset:944
	ds_read2_b64 v[2:5], v12 offset0:120 offset1:121
	s_waitcnt vmcnt(1) lgkmcnt(0)
	v_mul_f64 v[16:17], v[4:5], v[6:7]
	v_mul_f64 v[18:19], v[2:3], v[6:7]
	v_fma_f64 v[16:17], v[2:3], v[0:1], -v[16:17]
	v_fmac_f64_e32 v[18:19], v[4:5], v[0:1]
	scratch_load_dwordx4 v[2:5], off, off offset:960
	s_waitcnt vmcnt(0)
	v_add_f64 v[2:3], v[2:3], -v[16:17]
	v_add_f64 v[4:5], v[4:5], -v[18:19]
	scratch_store_dwordx4 off, v[2:5], off offset:960
	ds_read2_b64 v[2:5], v12 offset0:122 offset1:123
	s_waitcnt lgkmcnt(0)
	v_mul_f64 v[16:17], v[4:5], v[6:7]
	v_mul_f64 v[6:7], v[2:3], v[6:7]
	v_fma_f64 v[16:17], v[2:3], v[0:1], -v[16:17]
	v_fmac_f64_e32 v[6:7], v[4:5], v[0:1]
	scratch_load_dwordx4 v[0:3], off, off offset:976
	s_waitcnt vmcnt(0)
	v_add_f64 v[0:1], v[0:1], -v[16:17]
	v_add_f64 v[2:3], v[2:3], -v[6:7]
	scratch_store_dwordx4 off, v[0:3], off offset:976
.LBB122_736:
	s_or_b64 exec, exec, s[0:1]
	s_barrier
	scratch_load_dwordx4 v[0:3], off, s51
	v_lshl_add_u32 v4, v15, 4, v12
	s_cmp_lt_i32 s66, 32
	s_waitcnt vmcnt(0)
	ds_write2_b64 v4, v[0:1], v[2:3] offset1:1
	s_waitcnt lgkmcnt(0)
	s_barrier
	ds_read2_b64 v[0:3], v12 offset0:60 offset1:61
	v_mov_b32_e32 v4, 30
	s_cbranch_scc1 .LBB122_739
; %bb.737:
	v_add_u32_e32 v5, 0x1f0, v12
	s_mov_b32 s4, 31
	v_mov_b32_e32 v4, 30
.LBB122_738:                            ; =>This Inner Loop Header: Depth=1
	ds_read2_b64 v[16:19], v5 offset1:1
	s_waitcnt lgkmcnt(1)
	v_xor_b32_e32 v7, 0x80000000, v1
	v_xor_b32_e32 v21, 0x80000000, v3
	v_cmp_gt_f64_e32 vcc, 0, v[2:3]
	v_cmp_gt_f64_e64 s[0:1], 0, v[0:1]
	v_mov_b32_e32 v6, v0
	v_mov_b32_e32 v20, v2
	v_cndmask_b32_e64 v7, v1, v7, s[0:1]
	v_cndmask_b32_e32 v21, v3, v21, vcc
	v_add_f64 v[6:7], v[6:7], v[20:21]
	s_waitcnt lgkmcnt(0)
	v_xor_b32_e32 v21, 0x80000000, v17
	v_xor_b32_e32 v23, 0x80000000, v19
	v_cmp_gt_f64_e32 vcc, 0, v[18:19]
	v_cmp_gt_f64_e64 s[0:1], 0, v[16:17]
	v_mov_b32_e32 v20, v16
	v_mov_b32_e32 v22, v18
	v_cndmask_b32_e64 v21, v17, v21, s[0:1]
	v_cndmask_b32_e32 v23, v19, v23, vcc
	v_add_f64 v[20:21], v[20:21], v[22:23]
	v_mov_b32_e32 v24, s4
	s_add_i32 s4, s4, 1
	v_cmp_lt_f64_e32 vcc, v[6:7], v[20:21]
	v_add_u32_e32 v5, 16, v5
	s_cmp_lg_u32 s66, s4
	v_cndmask_b32_e32 v1, v1, v17, vcc
	v_cndmask_b32_e32 v0, v0, v16, vcc
	;; [unrolled: 1-line block ×5, first 2 shown]
	s_cbranch_scc1 .LBB122_738
.LBB122_739:
	s_waitcnt lgkmcnt(0)
	v_cmp_eq_f64_e32 vcc, 0, v[0:1]
	v_cmp_eq_f64_e64 s[0:1], 0, v[2:3]
	s_and_b64 s[0:1], vcc, s[0:1]
	s_and_saveexec_b64 s[4:5], s[0:1]
	s_xor_b64 s[0:1], exec, s[4:5]
; %bb.740:
	v_cmp_ne_u32_e32 vcc, 0, v13
	s_nop 1
	v_cndmask_b32_e32 v13, 31, v13, vcc
; %bb.741:
	s_andn2_saveexec_b64 s[0:1], s[0:1]
	s_cbranch_execz .LBB122_747
; %bb.742:
	v_cmp_ngt_f64_e64 s[4:5], |v[0:1]|, |v[2:3]|
	s_and_saveexec_b64 s[12:13], s[4:5]
	s_xor_b64 s[12:13], exec, s[12:13]
	s_cbranch_execz .LBB122_744
; %bb.743:
	v_div_scale_f64 v[6:7], s[4:5], v[2:3], v[2:3], v[0:1]
	v_rcp_f64_e32 v[16:17], v[6:7]
	v_div_scale_f64 v[18:19], vcc, v[0:1], v[2:3], v[0:1]
	v_fma_f64 v[20:21], -v[6:7], v[16:17], 1.0
	v_fmac_f64_e32 v[16:17], v[16:17], v[20:21]
	v_fma_f64 v[20:21], -v[6:7], v[16:17], 1.0
	v_fmac_f64_e32 v[16:17], v[16:17], v[20:21]
	v_mul_f64 v[20:21], v[18:19], v[16:17]
	v_fma_f64 v[6:7], -v[6:7], v[20:21], v[18:19]
	v_div_fmas_f64 v[6:7], v[6:7], v[16:17], v[20:21]
	v_div_fixup_f64 v[6:7], v[6:7], v[2:3], v[0:1]
	v_fmac_f64_e32 v[2:3], v[0:1], v[6:7]
	v_div_scale_f64 v[0:1], s[4:5], v[2:3], v[2:3], 1.0
	v_rcp_f64_e32 v[16:17], v[0:1]
	s_nop 0
	v_fma_f64 v[18:19], -v[0:1], v[16:17], 1.0
	v_fmac_f64_e32 v[16:17], v[16:17], v[18:19]
	v_fma_f64 v[18:19], -v[0:1], v[16:17], 1.0
	v_fmac_f64_e32 v[16:17], v[16:17], v[18:19]
	v_div_scale_f64 v[18:19], vcc, 1.0, v[2:3], 1.0
	v_mul_f64 v[20:21], v[18:19], v[16:17]
	v_fma_f64 v[0:1], -v[0:1], v[20:21], v[18:19]
	s_nop 1
	v_div_fmas_f64 v[0:1], v[0:1], v[16:17], v[20:21]
	v_div_fixup_f64 v[2:3], v[0:1], v[2:3], 1.0
	v_mul_f64 v[0:1], v[6:7], v[2:3]
	v_xor_b32_e32 v3, 0x80000000, v3
.LBB122_744:
	s_andn2_saveexec_b64 s[12:13], s[12:13]
	s_cbranch_execz .LBB122_746
; %bb.745:
	v_div_scale_f64 v[6:7], s[4:5], v[0:1], v[0:1], v[2:3]
	v_rcp_f64_e32 v[16:17], v[6:7]
	v_div_scale_f64 v[18:19], vcc, v[2:3], v[0:1], v[2:3]
	v_fma_f64 v[20:21], -v[6:7], v[16:17], 1.0
	v_fmac_f64_e32 v[16:17], v[16:17], v[20:21]
	v_fma_f64 v[20:21], -v[6:7], v[16:17], 1.0
	v_fmac_f64_e32 v[16:17], v[16:17], v[20:21]
	v_mul_f64 v[20:21], v[18:19], v[16:17]
	v_fma_f64 v[6:7], -v[6:7], v[20:21], v[18:19]
	v_div_fmas_f64 v[6:7], v[6:7], v[16:17], v[20:21]
	v_div_fixup_f64 v[6:7], v[6:7], v[0:1], v[2:3]
	v_fmac_f64_e32 v[0:1], v[2:3], v[6:7]
	v_div_scale_f64 v[2:3], s[4:5], v[0:1], v[0:1], 1.0
	v_rcp_f64_e32 v[16:17], v[2:3]
	s_nop 0
	v_fma_f64 v[18:19], -v[2:3], v[16:17], 1.0
	v_fmac_f64_e32 v[16:17], v[16:17], v[18:19]
	v_fma_f64 v[18:19], -v[2:3], v[16:17], 1.0
	v_fmac_f64_e32 v[16:17], v[16:17], v[18:19]
	v_div_scale_f64 v[18:19], vcc, 1.0, v[0:1], 1.0
	v_mul_f64 v[20:21], v[18:19], v[16:17]
	v_fma_f64 v[2:3], -v[2:3], v[20:21], v[18:19]
	s_nop 1
	v_div_fmas_f64 v[2:3], v[2:3], v[16:17], v[20:21]
	v_div_fixup_f64 v[0:1], v[2:3], v[0:1], 1.0
	v_mul_f64 v[2:3], v[6:7], -v[0:1]
.LBB122_746:
	s_or_b64 exec, exec, s[12:13]
.LBB122_747:
	s_or_b64 exec, exec, s[0:1]
	v_cmp_ne_u32_e32 vcc, v15, v4
	s_and_saveexec_b64 s[0:1], vcc
	s_xor_b64 s[0:1], exec, s[0:1]
	s_cbranch_execz .LBB122_753
; %bb.748:
	v_cmp_eq_u32_e32 vcc, 30, v15
	s_and_saveexec_b64 s[12:13], vcc
	s_cbranch_execz .LBB122_752
; %bb.749:
	v_cmp_ne_u32_e32 vcc, 30, v4
	s_xor_b64 s[4:5], s[18:19], -1
	s_and_b64 s[4:5], s[4:5], vcc
	s_and_saveexec_b64 s[14:15], s[4:5]
	s_cbranch_execz .LBB122_751
; %bb.750:
	v_ashrrev_i32_e32 v5, 31, v4
	v_lshl_add_u64 v[6:7], v[4:5], 2, v[10:11]
	global_load_dword v5, v[6:7], off
	global_load_dword v14, v[10:11], off offset:120
	s_waitcnt vmcnt(1)
	global_store_dword v[10:11], v5, off offset:120
	s_waitcnt vmcnt(1)
	global_store_dword v[6:7], v14, off
.LBB122_751:
	s_or_b64 exec, exec, s[14:15]
	v_mov_b32_e32 v15, v4
	v_mov_b32_e32 v14, v4
.LBB122_752:
	s_or_b64 exec, exec, s[12:13]
.LBB122_753:
	s_andn2_saveexec_b64 s[0:1], s[0:1]
	s_cbranch_execz .LBB122_755
; %bb.754:
	scratch_load_dwordx4 v[4:7], off, s50
	v_mov_b32_e32 v15, 30
	s_waitcnt vmcnt(0)
	ds_write2_b64 v12, v[4:5], v[6:7] offset0:62 offset1:63
	scratch_load_dwordx4 v[4:7], off, s57
	s_waitcnt vmcnt(0)
	ds_write2_b64 v12, v[4:5], v[6:7] offset0:64 offset1:65
	scratch_load_dwordx4 v[4:7], off, s48
	;; [unrolled: 3-line block ×30, first 2 shown]
	s_waitcnt vmcnt(0)
	ds_write2_b64 v12, v[4:5], v[6:7] offset0:122 offset1:123
.LBB122_755:
	s_or_b64 exec, exec, s[0:1]
	v_cmp_lt_i32_e32 vcc, 30, v15
	s_waitcnt lgkmcnt(0)
	s_barrier
	s_and_saveexec_b64 s[0:1], vcc
	s_cbranch_execz .LBB122_757
; %bb.756:
	scratch_load_dwordx4 v[4:7], off, off offset:480
	s_waitcnt vmcnt(0)
	v_mul_f64 v[16:17], v[2:3], v[6:7]
	v_mul_f64 v[18:19], v[0:1], v[6:7]
	v_fma_f64 v[16:17], v[0:1], v[4:5], -v[16:17]
	v_fmac_f64_e32 v[18:19], v[2:3], v[4:5]
	ds_read2_b64 v[0:3], v12 offset0:62 offset1:63
	scratch_store_dwordx4 off, v[16:19], off offset:480
	s_waitcnt lgkmcnt(0)
	v_mul_f64 v[4:5], v[2:3], v[18:19]
	v_mul_f64 v[6:7], v[0:1], v[18:19]
	v_fma_f64 v[4:5], v[0:1], v[16:17], -v[4:5]
	v_fmac_f64_e32 v[6:7], v[2:3], v[16:17]
	scratch_load_dwordx4 v[0:3], off, off offset:496
	s_waitcnt vmcnt(0)
	v_add_f64 v[0:1], v[0:1], -v[4:5]
	v_add_f64 v[2:3], v[2:3], -v[6:7]
	scratch_store_dwordx4 off, v[0:3], off offset:496
	ds_read2_b64 v[0:3], v12 offset0:64 offset1:65
	s_waitcnt lgkmcnt(0)
	v_mul_f64 v[4:5], v[2:3], v[18:19]
	v_mul_f64 v[6:7], v[0:1], v[18:19]
	v_fma_f64 v[4:5], v[0:1], v[16:17], -v[4:5]
	v_fmac_f64_e32 v[6:7], v[2:3], v[16:17]
	scratch_load_dwordx4 v[0:3], off, off offset:512
	s_waitcnt vmcnt(0)
	v_add_f64 v[0:1], v[0:1], -v[4:5]
	v_add_f64 v[2:3], v[2:3], -v[6:7]
	scratch_store_dwordx4 off, v[0:3], off offset:512
	ds_read2_b64 v[0:3], v12 offset0:66 offset1:67
	;; [unrolled: 11-line block ×6, first 2 shown]
	scratch_load_dwordx2 v[16:17], off, off offset:480
	scratch_load_dwordx4 v[0:3], off, off offset:480
	s_waitcnt vmcnt(0) lgkmcnt(0)
	v_mul_f64 v[18:19], v[6:7], v[2:3]
	v_mul_f64 v[20:21], v[4:5], v[2:3]
	v_fma_f64 v[18:19], v[4:5], v[16:17], -v[18:19]
	v_fmac_f64_e32 v[20:21], v[6:7], v[16:17]
	scratch_load_dwordx4 v[4:7], off, off offset:592
	s_waitcnt vmcnt(0)
	v_add_f64 v[4:5], v[4:5], -v[18:19]
	v_add_f64 v[6:7], v[6:7], -v[20:21]
	scratch_store_dwordx4 off, v[4:7], off offset:592
	ds_read2_b64 v[4:7], v12 offset0:76 offset1:77
	s_waitcnt lgkmcnt(0)
	v_mul_f64 v[18:19], v[6:7], v[2:3]
	v_mul_f64 v[20:21], v[4:5], v[2:3]
	v_fma_f64 v[18:19], v[4:5], v[16:17], -v[18:19]
	v_fmac_f64_e32 v[20:21], v[6:7], v[16:17]
	scratch_load_dwordx4 v[4:7], off, off offset:608
	s_waitcnt vmcnt(0)
	v_add_f64 v[4:5], v[4:5], -v[18:19]
	v_add_f64 v[6:7], v[6:7], -v[20:21]
	scratch_store_dwordx4 off, v[4:7], off offset:608
	ds_read2_b64 v[4:7], v12 offset0:78 offset1:79
	s_waitcnt lgkmcnt(0)
	;; [unrolled: 11-line block ×5, first 2 shown]
	v_mul_f64 v[18:19], v[6:7], v[2:3]
	v_fma_f64 v[18:19], v[4:5], v[16:17], -v[18:19]
	v_mul_f64 v[20:21], v[4:5], v[2:3]
	scratch_load_dwordx4 v[2:5], off, off offset:672
	v_fmac_f64_e32 v[20:21], v[6:7], v[16:17]
	s_waitcnt vmcnt(0)
	v_add_f64 v[2:3], v[2:3], -v[18:19]
	v_add_f64 v[4:5], v[4:5], -v[20:21]
	scratch_store_dwordx4 off, v[2:5], off offset:672
	ds_read2_b64 v[16:19], v12 offset0:86 offset1:87
	scratch_load_dwordx2 v[2:3], off, off offset:480
	scratch_load_dwordx2 v[4:5], off, off offset:488
	s_waitcnt vmcnt(0) lgkmcnt(0)
	v_mul_f64 v[6:7], v[18:19], v[4:5]
	v_mul_f64 v[20:21], v[16:17], v[4:5]
	v_fma_f64 v[6:7], v[16:17], v[2:3], -v[6:7]
	v_fmac_f64_e32 v[20:21], v[18:19], v[2:3]
	scratch_load_dwordx4 v[16:19], off, off offset:688
	s_waitcnt vmcnt(0)
	v_add_f64 v[16:17], v[16:17], -v[6:7]
	v_add_f64 v[18:19], v[18:19], -v[20:21]
	scratch_store_dwordx4 off, v[16:19], off offset:688
	ds_read2_b64 v[16:19], v12 offset0:88 offset1:89
	s_waitcnt lgkmcnt(0)
	v_mul_f64 v[6:7], v[18:19], v[4:5]
	v_mul_f64 v[20:21], v[16:17], v[4:5]
	v_fma_f64 v[6:7], v[16:17], v[2:3], -v[6:7]
	v_fmac_f64_e32 v[20:21], v[18:19], v[2:3]
	scratch_load_dwordx4 v[16:19], off, off offset:704
	s_waitcnt vmcnt(0)
	v_add_f64 v[16:17], v[16:17], -v[6:7]
	v_add_f64 v[18:19], v[18:19], -v[20:21]
	scratch_store_dwordx4 off, v[16:19], off offset:704
	ds_read2_b64 v[16:19], v12 offset0:90 offset1:91
	s_waitcnt lgkmcnt(0)
	;; [unrolled: 11-line block ×5, first 2 shown]
	v_mul_f64 v[6:7], v[18:19], v[4:5]
	v_fma_f64 v[6:7], v[16:17], v[2:3], -v[6:7]
	v_mul_f64 v[16:17], v[16:17], v[4:5]
	v_fmac_f64_e32 v[16:17], v[18:19], v[2:3]
	scratch_load_dwordx4 v[2:5], off, off offset:768
	s_waitcnt vmcnt(0)
	v_add_f64 v[2:3], v[2:3], -v[6:7]
	v_add_f64 v[4:5], v[4:5], -v[16:17]
	scratch_store_dwordx4 off, v[2:5], off offset:768
	ds_read2_b64 v[16:19], v12 offset0:98 offset1:99
	scratch_load_dwordx2 v[2:3], off, off offset:480
	scratch_load_dwordx2 v[4:5], off, off offset:488
	s_waitcnt vmcnt(0) lgkmcnt(0)
	v_mul_f64 v[6:7], v[18:19], v[4:5]
	v_mul_f64 v[20:21], v[16:17], v[4:5]
	v_fma_f64 v[6:7], v[16:17], v[2:3], -v[6:7]
	v_fmac_f64_e32 v[20:21], v[18:19], v[2:3]
	scratch_load_dwordx4 v[16:19], off, off offset:784
	s_waitcnt vmcnt(0)
	v_add_f64 v[16:17], v[16:17], -v[6:7]
	v_add_f64 v[18:19], v[18:19], -v[20:21]
	scratch_store_dwordx4 off, v[16:19], off offset:784
	ds_read2_b64 v[16:19], v12 offset0:100 offset1:101
	s_waitcnt lgkmcnt(0)
	v_mul_f64 v[6:7], v[18:19], v[4:5]
	v_mul_f64 v[20:21], v[16:17], v[4:5]
	v_fma_f64 v[6:7], v[16:17], v[2:3], -v[6:7]
	v_fmac_f64_e32 v[20:21], v[18:19], v[2:3]
	scratch_load_dwordx4 v[16:19], off, off offset:800
	s_waitcnt vmcnt(0)
	v_add_f64 v[16:17], v[16:17], -v[6:7]
	v_add_f64 v[18:19], v[18:19], -v[20:21]
	scratch_store_dwordx4 off, v[16:19], off offset:800
	ds_read2_b64 v[16:19], v12 offset0:102 offset1:103
	s_waitcnt lgkmcnt(0)
	;; [unrolled: 11-line block ×5, first 2 shown]
	v_mul_f64 v[6:7], v[18:19], v[4:5]
	v_fma_f64 v[6:7], v[16:17], v[2:3], -v[6:7]
	v_mul_f64 v[16:17], v[16:17], v[4:5]
	v_fmac_f64_e32 v[16:17], v[18:19], v[2:3]
	scratch_load_dwordx4 v[2:5], off, off offset:864
	s_waitcnt vmcnt(0)
	v_add_f64 v[2:3], v[2:3], -v[6:7]
	v_add_f64 v[4:5], v[4:5], -v[16:17]
	scratch_store_dwordx4 off, v[2:5], off offset:864
	ds_read2_b64 v[16:19], v12 offset0:110 offset1:111
	scratch_load_dwordx2 v[2:3], off, off offset:480
	scratch_load_dwordx2 v[4:5], off, off offset:488
	s_waitcnt vmcnt(0) lgkmcnt(0)
	v_mul_f64 v[6:7], v[18:19], v[4:5]
	v_mul_f64 v[20:21], v[16:17], v[4:5]
	v_fma_f64 v[6:7], v[16:17], v[2:3], -v[6:7]
	v_fmac_f64_e32 v[20:21], v[18:19], v[2:3]
	scratch_load_dwordx4 v[16:19], off, off offset:880
	s_waitcnt vmcnt(0)
	v_add_f64 v[16:17], v[16:17], -v[6:7]
	v_add_f64 v[18:19], v[18:19], -v[20:21]
	scratch_store_dwordx4 off, v[16:19], off offset:880
	ds_read2_b64 v[16:19], v12 offset0:112 offset1:113
	s_waitcnt lgkmcnt(0)
	v_mul_f64 v[6:7], v[18:19], v[4:5]
	v_mul_f64 v[20:21], v[16:17], v[4:5]
	v_fma_f64 v[6:7], v[16:17], v[2:3], -v[6:7]
	v_fmac_f64_e32 v[20:21], v[18:19], v[2:3]
	scratch_load_dwordx4 v[16:19], off, off offset:896
	s_waitcnt vmcnt(0)
	v_add_f64 v[16:17], v[16:17], -v[6:7]
	v_add_f64 v[18:19], v[18:19], -v[20:21]
	scratch_store_dwordx4 off, v[16:19], off offset:896
	ds_read2_b64 v[16:19], v12 offset0:114 offset1:115
	s_waitcnt lgkmcnt(0)
	;; [unrolled: 11-line block ×5, first 2 shown]
	v_mul_f64 v[6:7], v[18:19], v[4:5]
	v_fma_f64 v[6:7], v[16:17], v[2:3], -v[6:7]
	v_mul_f64 v[16:17], v[16:17], v[4:5]
	v_fmac_f64_e32 v[16:17], v[18:19], v[2:3]
	scratch_load_dwordx4 v[2:5], off, off offset:960
	s_waitcnt vmcnt(0)
	v_add_f64 v[2:3], v[2:3], -v[6:7]
	scratch_load_dwordx2 v[6:7], off, off offset:488
	v_add_f64 v[4:5], v[4:5], -v[16:17]
	scratch_store_dwordx4 off, v[2:5], off offset:960
	ds_read2_b64 v[2:5], v12 offset0:122 offset1:123
	s_waitcnt vmcnt(1) lgkmcnt(0)
	v_mul_f64 v[16:17], v[4:5], v[6:7]
	v_mul_f64 v[6:7], v[2:3], v[6:7]
	v_fma_f64 v[16:17], v[2:3], v[0:1], -v[16:17]
	v_fmac_f64_e32 v[6:7], v[4:5], v[0:1]
	scratch_load_dwordx4 v[0:3], off, off offset:976
	s_waitcnt vmcnt(0)
	v_add_f64 v[0:1], v[0:1], -v[16:17]
	v_add_f64 v[2:3], v[2:3], -v[6:7]
	scratch_store_dwordx4 off, v[0:3], off offset:976
.LBB122_757:
	s_or_b64 exec, exec, s[0:1]
	s_barrier
	scratch_load_dwordx4 v[0:3], off, s50
	v_lshl_add_u32 v4, v15, 4, v12
	s_cmp_lt_i32 s66, 33
	s_waitcnt vmcnt(0)
	ds_write2_b64 v4, v[0:1], v[2:3] offset1:1
	s_waitcnt lgkmcnt(0)
	s_barrier
	ds_read2_b64 v[0:3], v12 offset0:62 offset1:63
	v_mov_b32_e32 v4, 31
	s_cbranch_scc1 .LBB122_760
; %bb.758:
	v_add_u32_e32 v5, 0x200, v12
	s_mov_b32 s4, 32
	v_mov_b32_e32 v4, 31
.LBB122_759:                            ; =>This Inner Loop Header: Depth=1
	ds_read2_b64 v[16:19], v5 offset1:1
	s_waitcnt lgkmcnt(1)
	v_xor_b32_e32 v7, 0x80000000, v1
	v_xor_b32_e32 v21, 0x80000000, v3
	v_cmp_gt_f64_e32 vcc, 0, v[2:3]
	v_cmp_gt_f64_e64 s[0:1], 0, v[0:1]
	v_mov_b32_e32 v6, v0
	v_mov_b32_e32 v20, v2
	v_cndmask_b32_e64 v7, v1, v7, s[0:1]
	v_cndmask_b32_e32 v21, v3, v21, vcc
	v_add_f64 v[6:7], v[6:7], v[20:21]
	s_waitcnt lgkmcnt(0)
	v_xor_b32_e32 v21, 0x80000000, v17
	v_xor_b32_e32 v23, 0x80000000, v19
	v_cmp_gt_f64_e32 vcc, 0, v[18:19]
	v_cmp_gt_f64_e64 s[0:1], 0, v[16:17]
	v_mov_b32_e32 v20, v16
	v_mov_b32_e32 v22, v18
	v_cndmask_b32_e64 v21, v17, v21, s[0:1]
	v_cndmask_b32_e32 v23, v19, v23, vcc
	v_add_f64 v[20:21], v[20:21], v[22:23]
	v_mov_b32_e32 v24, s4
	s_add_i32 s4, s4, 1
	v_cmp_lt_f64_e32 vcc, v[6:7], v[20:21]
	v_add_u32_e32 v5, 16, v5
	s_cmp_lg_u32 s66, s4
	v_cndmask_b32_e32 v1, v1, v17, vcc
	v_cndmask_b32_e32 v0, v0, v16, vcc
	;; [unrolled: 1-line block ×5, first 2 shown]
	s_cbranch_scc1 .LBB122_759
.LBB122_760:
	s_waitcnt lgkmcnt(0)
	v_cmp_eq_f64_e32 vcc, 0, v[0:1]
	v_cmp_eq_f64_e64 s[0:1], 0, v[2:3]
	s_and_b64 s[0:1], vcc, s[0:1]
	s_and_saveexec_b64 s[4:5], s[0:1]
	s_xor_b64 s[0:1], exec, s[4:5]
; %bb.761:
	v_cmp_ne_u32_e32 vcc, 0, v13
	s_nop 1
	v_cndmask_b32_e32 v13, 32, v13, vcc
; %bb.762:
	s_andn2_saveexec_b64 s[0:1], s[0:1]
	s_cbranch_execz .LBB122_768
; %bb.763:
	v_cmp_ngt_f64_e64 s[4:5], |v[0:1]|, |v[2:3]|
	s_and_saveexec_b64 s[12:13], s[4:5]
	s_xor_b64 s[12:13], exec, s[12:13]
	s_cbranch_execz .LBB122_765
; %bb.764:
	v_div_scale_f64 v[6:7], s[4:5], v[2:3], v[2:3], v[0:1]
	v_rcp_f64_e32 v[16:17], v[6:7]
	v_div_scale_f64 v[18:19], vcc, v[0:1], v[2:3], v[0:1]
	v_fma_f64 v[20:21], -v[6:7], v[16:17], 1.0
	v_fmac_f64_e32 v[16:17], v[16:17], v[20:21]
	v_fma_f64 v[20:21], -v[6:7], v[16:17], 1.0
	v_fmac_f64_e32 v[16:17], v[16:17], v[20:21]
	v_mul_f64 v[20:21], v[18:19], v[16:17]
	v_fma_f64 v[6:7], -v[6:7], v[20:21], v[18:19]
	v_div_fmas_f64 v[6:7], v[6:7], v[16:17], v[20:21]
	v_div_fixup_f64 v[6:7], v[6:7], v[2:3], v[0:1]
	v_fmac_f64_e32 v[2:3], v[0:1], v[6:7]
	v_div_scale_f64 v[0:1], s[4:5], v[2:3], v[2:3], 1.0
	v_rcp_f64_e32 v[16:17], v[0:1]
	s_nop 0
	v_fma_f64 v[18:19], -v[0:1], v[16:17], 1.0
	v_fmac_f64_e32 v[16:17], v[16:17], v[18:19]
	v_fma_f64 v[18:19], -v[0:1], v[16:17], 1.0
	v_fmac_f64_e32 v[16:17], v[16:17], v[18:19]
	v_div_scale_f64 v[18:19], vcc, 1.0, v[2:3], 1.0
	v_mul_f64 v[20:21], v[18:19], v[16:17]
	v_fma_f64 v[0:1], -v[0:1], v[20:21], v[18:19]
	s_nop 1
	v_div_fmas_f64 v[0:1], v[0:1], v[16:17], v[20:21]
	v_div_fixup_f64 v[2:3], v[0:1], v[2:3], 1.0
	v_mul_f64 v[0:1], v[6:7], v[2:3]
	v_xor_b32_e32 v3, 0x80000000, v3
.LBB122_765:
	s_andn2_saveexec_b64 s[12:13], s[12:13]
	s_cbranch_execz .LBB122_767
; %bb.766:
	v_div_scale_f64 v[6:7], s[4:5], v[0:1], v[0:1], v[2:3]
	v_rcp_f64_e32 v[16:17], v[6:7]
	v_div_scale_f64 v[18:19], vcc, v[2:3], v[0:1], v[2:3]
	v_fma_f64 v[20:21], -v[6:7], v[16:17], 1.0
	v_fmac_f64_e32 v[16:17], v[16:17], v[20:21]
	v_fma_f64 v[20:21], -v[6:7], v[16:17], 1.0
	v_fmac_f64_e32 v[16:17], v[16:17], v[20:21]
	v_mul_f64 v[20:21], v[18:19], v[16:17]
	v_fma_f64 v[6:7], -v[6:7], v[20:21], v[18:19]
	v_div_fmas_f64 v[6:7], v[6:7], v[16:17], v[20:21]
	v_div_fixup_f64 v[6:7], v[6:7], v[0:1], v[2:3]
	v_fmac_f64_e32 v[0:1], v[2:3], v[6:7]
	v_div_scale_f64 v[2:3], s[4:5], v[0:1], v[0:1], 1.0
	v_rcp_f64_e32 v[16:17], v[2:3]
	s_nop 0
	v_fma_f64 v[18:19], -v[2:3], v[16:17], 1.0
	v_fmac_f64_e32 v[16:17], v[16:17], v[18:19]
	v_fma_f64 v[18:19], -v[2:3], v[16:17], 1.0
	v_fmac_f64_e32 v[16:17], v[16:17], v[18:19]
	v_div_scale_f64 v[18:19], vcc, 1.0, v[0:1], 1.0
	v_mul_f64 v[20:21], v[18:19], v[16:17]
	v_fma_f64 v[2:3], -v[2:3], v[20:21], v[18:19]
	s_nop 1
	v_div_fmas_f64 v[2:3], v[2:3], v[16:17], v[20:21]
	v_div_fixup_f64 v[0:1], v[2:3], v[0:1], 1.0
	v_mul_f64 v[2:3], v[6:7], -v[0:1]
.LBB122_767:
	s_or_b64 exec, exec, s[12:13]
.LBB122_768:
	s_or_b64 exec, exec, s[0:1]
	v_cmp_ne_u32_e32 vcc, v15, v4
	s_and_saveexec_b64 s[0:1], vcc
	s_xor_b64 s[0:1], exec, s[0:1]
	s_cbranch_execz .LBB122_774
; %bb.769:
	v_cmp_eq_u32_e32 vcc, 31, v15
	s_and_saveexec_b64 s[12:13], vcc
	s_cbranch_execz .LBB122_773
; %bb.770:
	v_cmp_ne_u32_e32 vcc, 31, v4
	s_xor_b64 s[4:5], s[18:19], -1
	s_and_b64 s[4:5], s[4:5], vcc
	s_and_saveexec_b64 s[14:15], s[4:5]
	s_cbranch_execz .LBB122_772
; %bb.771:
	v_ashrrev_i32_e32 v5, 31, v4
	v_lshl_add_u64 v[6:7], v[4:5], 2, v[10:11]
	global_load_dword v5, v[6:7], off
	global_load_dword v14, v[10:11], off offset:124
	s_waitcnt vmcnt(1)
	global_store_dword v[10:11], v5, off offset:124
	s_waitcnt vmcnt(1)
	global_store_dword v[6:7], v14, off
.LBB122_772:
	s_or_b64 exec, exec, s[14:15]
	v_mov_b32_e32 v15, v4
	v_mov_b32_e32 v14, v4
.LBB122_773:
	s_or_b64 exec, exec, s[12:13]
.LBB122_774:
	s_andn2_saveexec_b64 s[0:1], s[0:1]
	s_cbranch_execz .LBB122_776
; %bb.775:
	scratch_load_dwordx4 v[4:7], off, s57
	v_mov_b32_e32 v15, 31
	s_waitcnt vmcnt(0)
	ds_write2_b64 v12, v[4:5], v[6:7] offset0:64 offset1:65
	scratch_load_dwordx4 v[4:7], off, s48
	s_waitcnt vmcnt(0)
	ds_write2_b64 v12, v[4:5], v[6:7] offset0:66 offset1:67
	scratch_load_dwordx4 v[4:7], off, s47
	;; [unrolled: 3-line block ×29, first 2 shown]
	s_waitcnt vmcnt(0)
	ds_write2_b64 v12, v[4:5], v[6:7] offset0:122 offset1:123
.LBB122_776:
	s_or_b64 exec, exec, s[0:1]
	v_cmp_lt_i32_e32 vcc, 31, v15
	s_waitcnt lgkmcnt(0)
	s_barrier
	s_and_saveexec_b64 s[0:1], vcc
	s_cbranch_execz .LBB122_778
; %bb.777:
	scratch_load_dwordx4 v[4:7], off, off offset:496
	s_waitcnt vmcnt(0)
	v_mul_f64 v[16:17], v[2:3], v[6:7]
	v_mul_f64 v[18:19], v[0:1], v[6:7]
	v_fma_f64 v[16:17], v[0:1], v[4:5], -v[16:17]
	v_fmac_f64_e32 v[18:19], v[2:3], v[4:5]
	ds_read2_b64 v[0:3], v12 offset0:64 offset1:65
	scratch_store_dwordx4 off, v[16:19], off offset:496
	s_waitcnt lgkmcnt(0)
	v_mul_f64 v[4:5], v[2:3], v[18:19]
	v_mul_f64 v[6:7], v[0:1], v[18:19]
	v_fma_f64 v[4:5], v[0:1], v[16:17], -v[4:5]
	v_fmac_f64_e32 v[6:7], v[2:3], v[16:17]
	scratch_load_dwordx4 v[0:3], off, off offset:512
	s_waitcnt vmcnt(0)
	v_add_f64 v[0:1], v[0:1], -v[4:5]
	v_add_f64 v[2:3], v[2:3], -v[6:7]
	scratch_store_dwordx4 off, v[0:3], off offset:512
	ds_read2_b64 v[0:3], v12 offset0:66 offset1:67
	s_waitcnt lgkmcnt(0)
	v_mul_f64 v[4:5], v[2:3], v[18:19]
	v_mul_f64 v[6:7], v[0:1], v[18:19]
	v_fma_f64 v[4:5], v[0:1], v[16:17], -v[4:5]
	v_fmac_f64_e32 v[6:7], v[2:3], v[16:17]
	scratch_load_dwordx4 v[0:3], off, off offset:528
	s_waitcnt vmcnt(0)
	v_add_f64 v[0:1], v[0:1], -v[4:5]
	v_add_f64 v[2:3], v[2:3], -v[6:7]
	scratch_store_dwordx4 off, v[0:3], off offset:528
	ds_read2_b64 v[0:3], v12 offset0:68 offset1:69
	;; [unrolled: 11-line block ×6, first 2 shown]
	scratch_load_dwordx2 v[16:17], off, off offset:496
	scratch_load_dwordx4 v[0:3], off, off offset:496
	s_waitcnt vmcnt(0) lgkmcnt(0)
	v_mul_f64 v[18:19], v[6:7], v[2:3]
	v_mul_f64 v[20:21], v[4:5], v[2:3]
	v_fma_f64 v[18:19], v[4:5], v[16:17], -v[18:19]
	v_fmac_f64_e32 v[20:21], v[6:7], v[16:17]
	scratch_load_dwordx4 v[4:7], off, off offset:608
	s_waitcnt vmcnt(0)
	v_add_f64 v[4:5], v[4:5], -v[18:19]
	v_add_f64 v[6:7], v[6:7], -v[20:21]
	scratch_store_dwordx4 off, v[4:7], off offset:608
	ds_read2_b64 v[4:7], v12 offset0:78 offset1:79
	s_waitcnt lgkmcnt(0)
	v_mul_f64 v[18:19], v[6:7], v[2:3]
	v_mul_f64 v[20:21], v[4:5], v[2:3]
	v_fma_f64 v[18:19], v[4:5], v[16:17], -v[18:19]
	v_fmac_f64_e32 v[20:21], v[6:7], v[16:17]
	scratch_load_dwordx4 v[4:7], off, off offset:624
	s_waitcnt vmcnt(0)
	v_add_f64 v[4:5], v[4:5], -v[18:19]
	v_add_f64 v[6:7], v[6:7], -v[20:21]
	scratch_store_dwordx4 off, v[4:7], off offset:624
	ds_read2_b64 v[4:7], v12 offset0:80 offset1:81
	s_waitcnt lgkmcnt(0)
	;; [unrolled: 11-line block ×5, first 2 shown]
	v_mul_f64 v[18:19], v[6:7], v[2:3]
	v_fma_f64 v[18:19], v[4:5], v[16:17], -v[18:19]
	v_mul_f64 v[20:21], v[4:5], v[2:3]
	scratch_load_dwordx4 v[2:5], off, off offset:688
	v_fmac_f64_e32 v[20:21], v[6:7], v[16:17]
	s_waitcnt vmcnt(0)
	v_add_f64 v[2:3], v[2:3], -v[18:19]
	v_add_f64 v[4:5], v[4:5], -v[20:21]
	scratch_store_dwordx4 off, v[2:5], off offset:688
	ds_read2_b64 v[2:5], v12 offset0:88 offset1:89
	scratch_load_dwordx2 v[6:7], off, off offset:496
	scratch_load_dwordx2 v[16:17], off, off offset:504
	s_waitcnt vmcnt(0) lgkmcnt(0)
	v_mul_f64 v[18:19], v[4:5], v[16:17]
	v_mul_f64 v[20:21], v[2:3], v[16:17]
	v_fma_f64 v[18:19], v[2:3], v[6:7], -v[18:19]
	v_fmac_f64_e32 v[20:21], v[4:5], v[6:7]
	scratch_load_dwordx4 v[2:5], off, off offset:704
	s_waitcnt vmcnt(0)
	v_add_f64 v[2:3], v[2:3], -v[18:19]
	v_add_f64 v[4:5], v[4:5], -v[20:21]
	scratch_store_dwordx4 off, v[2:5], off offset:704
	ds_read2_b64 v[2:5], v12 offset0:90 offset1:91
	s_waitcnt lgkmcnt(0)
	v_mul_f64 v[18:19], v[4:5], v[16:17]
	v_mul_f64 v[20:21], v[2:3], v[16:17]
	v_fma_f64 v[18:19], v[2:3], v[6:7], -v[18:19]
	v_fmac_f64_e32 v[20:21], v[4:5], v[6:7]
	scratch_load_dwordx4 v[2:5], off, off offset:720
	s_waitcnt vmcnt(0)
	v_add_f64 v[2:3], v[2:3], -v[18:19]
	v_add_f64 v[4:5], v[4:5], -v[20:21]
	scratch_store_dwordx4 off, v[2:5], off offset:720
	ds_read2_b64 v[2:5], v12 offset0:92 offset1:93
	s_waitcnt lgkmcnt(0)
	;; [unrolled: 11-line block ×5, first 2 shown]
	v_mul_f64 v[18:19], v[4:5], v[16:17]
	v_mul_f64 v[16:17], v[2:3], v[16:17]
	v_fma_f64 v[18:19], v[2:3], v[6:7], -v[18:19]
	v_fmac_f64_e32 v[16:17], v[4:5], v[6:7]
	scratch_load_dwordx4 v[2:5], off, off offset:784
	s_waitcnt vmcnt(0)
	v_add_f64 v[2:3], v[2:3], -v[18:19]
	v_add_f64 v[4:5], v[4:5], -v[16:17]
	scratch_store_dwordx4 off, v[2:5], off offset:784
	ds_read2_b64 v[2:5], v12 offset0:100 offset1:101
	scratch_load_dwordx2 v[6:7], off, off offset:496
	scratch_load_dwordx2 v[16:17], off, off offset:504
	s_waitcnt vmcnt(0) lgkmcnt(0)
	v_mul_f64 v[18:19], v[4:5], v[16:17]
	v_mul_f64 v[20:21], v[2:3], v[16:17]
	v_fma_f64 v[18:19], v[2:3], v[6:7], -v[18:19]
	v_fmac_f64_e32 v[20:21], v[4:5], v[6:7]
	scratch_load_dwordx4 v[2:5], off, off offset:800
	s_waitcnt vmcnt(0)
	v_add_f64 v[2:3], v[2:3], -v[18:19]
	v_add_f64 v[4:5], v[4:5], -v[20:21]
	scratch_store_dwordx4 off, v[2:5], off offset:800
	ds_read2_b64 v[2:5], v12 offset0:102 offset1:103
	s_waitcnt lgkmcnt(0)
	v_mul_f64 v[18:19], v[4:5], v[16:17]
	v_mul_f64 v[20:21], v[2:3], v[16:17]
	v_fma_f64 v[18:19], v[2:3], v[6:7], -v[18:19]
	v_fmac_f64_e32 v[20:21], v[4:5], v[6:7]
	scratch_load_dwordx4 v[2:5], off, off offset:816
	s_waitcnt vmcnt(0)
	v_add_f64 v[2:3], v[2:3], -v[18:19]
	v_add_f64 v[4:5], v[4:5], -v[20:21]
	scratch_store_dwordx4 off, v[2:5], off offset:816
	ds_read2_b64 v[2:5], v12 offset0:104 offset1:105
	s_waitcnt lgkmcnt(0)
	;; [unrolled: 11-line block ×5, first 2 shown]
	v_mul_f64 v[18:19], v[4:5], v[16:17]
	v_mul_f64 v[16:17], v[2:3], v[16:17]
	v_fma_f64 v[18:19], v[2:3], v[6:7], -v[18:19]
	v_fmac_f64_e32 v[16:17], v[4:5], v[6:7]
	scratch_load_dwordx4 v[2:5], off, off offset:880
	scratch_load_dwordx2 v[6:7], off, off offset:504
	s_waitcnt vmcnt(1)
	v_add_f64 v[2:3], v[2:3], -v[18:19]
	v_add_f64 v[4:5], v[4:5], -v[16:17]
	scratch_store_dwordx4 off, v[2:5], off offset:880
	ds_read2_b64 v[2:5], v12 offset0:112 offset1:113
	s_waitcnt vmcnt(1) lgkmcnt(0)
	v_mul_f64 v[16:17], v[4:5], v[6:7]
	v_mul_f64 v[18:19], v[2:3], v[6:7]
	v_fma_f64 v[16:17], v[2:3], v[0:1], -v[16:17]
	v_fmac_f64_e32 v[18:19], v[4:5], v[0:1]
	scratch_load_dwordx4 v[2:5], off, off offset:896
	s_waitcnt vmcnt(0)
	v_add_f64 v[2:3], v[2:3], -v[16:17]
	v_add_f64 v[4:5], v[4:5], -v[18:19]
	scratch_store_dwordx4 off, v[2:5], off offset:896
	ds_read2_b64 v[2:5], v12 offset0:114 offset1:115
	s_waitcnt lgkmcnt(0)
	v_mul_f64 v[16:17], v[4:5], v[6:7]
	v_mul_f64 v[18:19], v[2:3], v[6:7]
	v_fma_f64 v[16:17], v[2:3], v[0:1], -v[16:17]
	v_fmac_f64_e32 v[18:19], v[4:5], v[0:1]
	scratch_load_dwordx4 v[2:5], off, off offset:912
	s_waitcnt vmcnt(0)
	v_add_f64 v[2:3], v[2:3], -v[16:17]
	v_add_f64 v[4:5], v[4:5], -v[18:19]
	scratch_store_dwordx4 off, v[2:5], off offset:912
	ds_read2_b64 v[2:5], v12 offset0:116 offset1:117
	s_waitcnt lgkmcnt(0)
	;; [unrolled: 11-line block ×5, first 2 shown]
	v_mul_f64 v[16:17], v[4:5], v[6:7]
	v_mul_f64 v[6:7], v[2:3], v[6:7]
	v_fma_f64 v[16:17], v[2:3], v[0:1], -v[16:17]
	v_fmac_f64_e32 v[6:7], v[4:5], v[0:1]
	scratch_load_dwordx4 v[0:3], off, off offset:976
	s_waitcnt vmcnt(0)
	v_add_f64 v[0:1], v[0:1], -v[16:17]
	v_add_f64 v[2:3], v[2:3], -v[6:7]
	scratch_store_dwordx4 off, v[0:3], off offset:976
.LBB122_778:
	s_or_b64 exec, exec, s[0:1]
	s_barrier
	scratch_load_dwordx4 v[0:3], off, s57
	v_lshl_add_u32 v4, v15, 4, v12
	s_cmp_lt_i32 s66, 34
	s_waitcnt vmcnt(0)
	ds_write2_b64 v4, v[0:1], v[2:3] offset1:1
	s_waitcnt lgkmcnt(0)
	s_barrier
	ds_read2_b64 v[0:3], v12 offset0:64 offset1:65
	v_mov_b32_e32 v4, 32
	s_cbranch_scc1 .LBB122_781
; %bb.779:
	v_add_u32_e32 v5, 0x210, v12
	s_mov_b32 s4, 33
	v_mov_b32_e32 v4, 32
.LBB122_780:                            ; =>This Inner Loop Header: Depth=1
	ds_read2_b64 v[16:19], v5 offset1:1
	s_waitcnt lgkmcnt(1)
	v_xor_b32_e32 v7, 0x80000000, v1
	v_xor_b32_e32 v21, 0x80000000, v3
	v_cmp_gt_f64_e32 vcc, 0, v[2:3]
	v_cmp_gt_f64_e64 s[0:1], 0, v[0:1]
	v_mov_b32_e32 v6, v0
	v_mov_b32_e32 v20, v2
	v_cndmask_b32_e64 v7, v1, v7, s[0:1]
	v_cndmask_b32_e32 v21, v3, v21, vcc
	v_add_f64 v[6:7], v[6:7], v[20:21]
	s_waitcnt lgkmcnt(0)
	v_xor_b32_e32 v21, 0x80000000, v17
	v_xor_b32_e32 v23, 0x80000000, v19
	v_cmp_gt_f64_e32 vcc, 0, v[18:19]
	v_cmp_gt_f64_e64 s[0:1], 0, v[16:17]
	v_mov_b32_e32 v20, v16
	v_mov_b32_e32 v22, v18
	v_cndmask_b32_e64 v21, v17, v21, s[0:1]
	v_cndmask_b32_e32 v23, v19, v23, vcc
	v_add_f64 v[20:21], v[20:21], v[22:23]
	v_mov_b32_e32 v24, s4
	s_add_i32 s4, s4, 1
	v_cmp_lt_f64_e32 vcc, v[6:7], v[20:21]
	v_add_u32_e32 v5, 16, v5
	s_cmp_lg_u32 s66, s4
	v_cndmask_b32_e32 v1, v1, v17, vcc
	v_cndmask_b32_e32 v0, v0, v16, vcc
	v_cndmask_b32_e32 v3, v3, v19, vcc
	v_cndmask_b32_e32 v2, v2, v18, vcc
	v_cndmask_b32_e32 v4, v4, v24, vcc
	s_cbranch_scc1 .LBB122_780
.LBB122_781:
	s_waitcnt lgkmcnt(0)
	v_cmp_eq_f64_e32 vcc, 0, v[0:1]
	v_cmp_eq_f64_e64 s[0:1], 0, v[2:3]
	s_and_b64 s[0:1], vcc, s[0:1]
	s_and_saveexec_b64 s[4:5], s[0:1]
	s_xor_b64 s[0:1], exec, s[4:5]
; %bb.782:
	v_cmp_ne_u32_e32 vcc, 0, v13
	s_nop 1
	v_cndmask_b32_e32 v13, 33, v13, vcc
; %bb.783:
	s_andn2_saveexec_b64 s[0:1], s[0:1]
	s_cbranch_execz .LBB122_789
; %bb.784:
	v_cmp_ngt_f64_e64 s[4:5], |v[0:1]|, |v[2:3]|
	s_and_saveexec_b64 s[12:13], s[4:5]
	s_xor_b64 s[12:13], exec, s[12:13]
	s_cbranch_execz .LBB122_786
; %bb.785:
	v_div_scale_f64 v[6:7], s[4:5], v[2:3], v[2:3], v[0:1]
	v_rcp_f64_e32 v[16:17], v[6:7]
	v_div_scale_f64 v[18:19], vcc, v[0:1], v[2:3], v[0:1]
	v_fma_f64 v[20:21], -v[6:7], v[16:17], 1.0
	v_fmac_f64_e32 v[16:17], v[16:17], v[20:21]
	v_fma_f64 v[20:21], -v[6:7], v[16:17], 1.0
	v_fmac_f64_e32 v[16:17], v[16:17], v[20:21]
	v_mul_f64 v[20:21], v[18:19], v[16:17]
	v_fma_f64 v[6:7], -v[6:7], v[20:21], v[18:19]
	v_div_fmas_f64 v[6:7], v[6:7], v[16:17], v[20:21]
	v_div_fixup_f64 v[6:7], v[6:7], v[2:3], v[0:1]
	v_fmac_f64_e32 v[2:3], v[0:1], v[6:7]
	v_div_scale_f64 v[0:1], s[4:5], v[2:3], v[2:3], 1.0
	v_rcp_f64_e32 v[16:17], v[0:1]
	s_nop 0
	v_fma_f64 v[18:19], -v[0:1], v[16:17], 1.0
	v_fmac_f64_e32 v[16:17], v[16:17], v[18:19]
	v_fma_f64 v[18:19], -v[0:1], v[16:17], 1.0
	v_fmac_f64_e32 v[16:17], v[16:17], v[18:19]
	v_div_scale_f64 v[18:19], vcc, 1.0, v[2:3], 1.0
	v_mul_f64 v[20:21], v[18:19], v[16:17]
	v_fma_f64 v[0:1], -v[0:1], v[20:21], v[18:19]
	s_nop 1
	v_div_fmas_f64 v[0:1], v[0:1], v[16:17], v[20:21]
	v_div_fixup_f64 v[2:3], v[0:1], v[2:3], 1.0
	v_mul_f64 v[0:1], v[6:7], v[2:3]
	v_xor_b32_e32 v3, 0x80000000, v3
.LBB122_786:
	s_andn2_saveexec_b64 s[12:13], s[12:13]
	s_cbranch_execz .LBB122_788
; %bb.787:
	v_div_scale_f64 v[6:7], s[4:5], v[0:1], v[0:1], v[2:3]
	v_rcp_f64_e32 v[16:17], v[6:7]
	v_div_scale_f64 v[18:19], vcc, v[2:3], v[0:1], v[2:3]
	v_fma_f64 v[20:21], -v[6:7], v[16:17], 1.0
	v_fmac_f64_e32 v[16:17], v[16:17], v[20:21]
	v_fma_f64 v[20:21], -v[6:7], v[16:17], 1.0
	v_fmac_f64_e32 v[16:17], v[16:17], v[20:21]
	v_mul_f64 v[20:21], v[18:19], v[16:17]
	v_fma_f64 v[6:7], -v[6:7], v[20:21], v[18:19]
	v_div_fmas_f64 v[6:7], v[6:7], v[16:17], v[20:21]
	v_div_fixup_f64 v[6:7], v[6:7], v[0:1], v[2:3]
	v_fmac_f64_e32 v[0:1], v[2:3], v[6:7]
	v_div_scale_f64 v[2:3], s[4:5], v[0:1], v[0:1], 1.0
	v_rcp_f64_e32 v[16:17], v[2:3]
	s_nop 0
	v_fma_f64 v[18:19], -v[2:3], v[16:17], 1.0
	v_fmac_f64_e32 v[16:17], v[16:17], v[18:19]
	v_fma_f64 v[18:19], -v[2:3], v[16:17], 1.0
	v_fmac_f64_e32 v[16:17], v[16:17], v[18:19]
	v_div_scale_f64 v[18:19], vcc, 1.0, v[0:1], 1.0
	v_mul_f64 v[20:21], v[18:19], v[16:17]
	v_fma_f64 v[2:3], -v[2:3], v[20:21], v[18:19]
	s_nop 1
	v_div_fmas_f64 v[2:3], v[2:3], v[16:17], v[20:21]
	v_div_fixup_f64 v[0:1], v[2:3], v[0:1], 1.0
	v_mul_f64 v[2:3], v[6:7], -v[0:1]
.LBB122_788:
	s_or_b64 exec, exec, s[12:13]
.LBB122_789:
	s_or_b64 exec, exec, s[0:1]
	v_cmp_ne_u32_e32 vcc, v15, v4
	s_and_saveexec_b64 s[0:1], vcc
	s_xor_b64 s[0:1], exec, s[0:1]
	s_cbranch_execz .LBB122_795
; %bb.790:
	v_cmp_eq_u32_e32 vcc, 32, v15
	s_and_saveexec_b64 s[12:13], vcc
	s_cbranch_execz .LBB122_794
; %bb.791:
	v_cmp_ne_u32_e32 vcc, 32, v4
	s_xor_b64 s[4:5], s[18:19], -1
	s_and_b64 s[4:5], s[4:5], vcc
	s_and_saveexec_b64 s[14:15], s[4:5]
	s_cbranch_execz .LBB122_793
; %bb.792:
	v_ashrrev_i32_e32 v5, 31, v4
	v_lshl_add_u64 v[6:7], v[4:5], 2, v[10:11]
	global_load_dword v5, v[6:7], off
	global_load_dword v14, v[10:11], off offset:128
	s_waitcnt vmcnt(1)
	global_store_dword v[10:11], v5, off offset:128
	s_waitcnt vmcnt(1)
	global_store_dword v[6:7], v14, off
.LBB122_793:
	s_or_b64 exec, exec, s[14:15]
	v_mov_b32_e32 v15, v4
	v_mov_b32_e32 v14, v4
.LBB122_794:
	s_or_b64 exec, exec, s[12:13]
.LBB122_795:
	s_andn2_saveexec_b64 s[0:1], s[0:1]
	s_cbranch_execz .LBB122_797
; %bb.796:
	scratch_load_dwordx4 v[4:7], off, s48
	v_mov_b32_e32 v15, 32
	s_waitcnt vmcnt(0)
	ds_write2_b64 v12, v[4:5], v[6:7] offset0:66 offset1:67
	scratch_load_dwordx4 v[4:7], off, s47
	s_waitcnt vmcnt(0)
	ds_write2_b64 v12, v[4:5], v[6:7] offset0:68 offset1:69
	scratch_load_dwordx4 v[4:7], off, s46
	;; [unrolled: 3-line block ×28, first 2 shown]
	s_waitcnt vmcnt(0)
	ds_write2_b64 v12, v[4:5], v[6:7] offset0:122 offset1:123
.LBB122_797:
	s_or_b64 exec, exec, s[0:1]
	v_cmp_lt_i32_e32 vcc, 32, v15
	s_waitcnt lgkmcnt(0)
	s_barrier
	s_and_saveexec_b64 s[0:1], vcc
	s_cbranch_execz .LBB122_799
; %bb.798:
	scratch_load_dwordx4 v[4:7], off, off offset:512
	s_waitcnt vmcnt(0)
	v_mul_f64 v[16:17], v[2:3], v[6:7]
	v_mul_f64 v[18:19], v[0:1], v[6:7]
	v_fma_f64 v[16:17], v[0:1], v[4:5], -v[16:17]
	v_fmac_f64_e32 v[18:19], v[2:3], v[4:5]
	ds_read2_b64 v[0:3], v12 offset0:66 offset1:67
	scratch_store_dwordx4 off, v[16:19], off offset:512
	s_waitcnt lgkmcnt(0)
	v_mul_f64 v[4:5], v[2:3], v[18:19]
	v_mul_f64 v[6:7], v[0:1], v[18:19]
	v_fma_f64 v[4:5], v[0:1], v[16:17], -v[4:5]
	v_fmac_f64_e32 v[6:7], v[2:3], v[16:17]
	scratch_load_dwordx4 v[0:3], off, off offset:528
	s_waitcnt vmcnt(0)
	v_add_f64 v[0:1], v[0:1], -v[4:5]
	v_add_f64 v[2:3], v[2:3], -v[6:7]
	scratch_store_dwordx4 off, v[0:3], off offset:528
	ds_read2_b64 v[0:3], v12 offset0:68 offset1:69
	s_waitcnt lgkmcnt(0)
	v_mul_f64 v[4:5], v[2:3], v[18:19]
	v_mul_f64 v[6:7], v[0:1], v[18:19]
	v_fma_f64 v[4:5], v[0:1], v[16:17], -v[4:5]
	v_fmac_f64_e32 v[6:7], v[2:3], v[16:17]
	scratch_load_dwordx4 v[0:3], off, off offset:544
	s_waitcnt vmcnt(0)
	v_add_f64 v[0:1], v[0:1], -v[4:5]
	v_add_f64 v[2:3], v[2:3], -v[6:7]
	scratch_store_dwordx4 off, v[0:3], off offset:544
	ds_read2_b64 v[0:3], v12 offset0:70 offset1:71
	;; [unrolled: 11-line block ×6, first 2 shown]
	scratch_load_dwordx2 v[16:17], off, off offset:512
	scratch_load_dwordx4 v[0:3], off, off offset:512
	s_waitcnt vmcnt(0) lgkmcnt(0)
	v_mul_f64 v[18:19], v[6:7], v[2:3]
	v_mul_f64 v[20:21], v[4:5], v[2:3]
	v_fma_f64 v[18:19], v[4:5], v[16:17], -v[18:19]
	v_fmac_f64_e32 v[20:21], v[6:7], v[16:17]
	scratch_load_dwordx4 v[4:7], off, off offset:624
	s_waitcnt vmcnt(0)
	v_add_f64 v[4:5], v[4:5], -v[18:19]
	v_add_f64 v[6:7], v[6:7], -v[20:21]
	scratch_store_dwordx4 off, v[4:7], off offset:624
	ds_read2_b64 v[4:7], v12 offset0:80 offset1:81
	s_waitcnt lgkmcnt(0)
	v_mul_f64 v[18:19], v[6:7], v[2:3]
	v_mul_f64 v[20:21], v[4:5], v[2:3]
	v_fma_f64 v[18:19], v[4:5], v[16:17], -v[18:19]
	v_fmac_f64_e32 v[20:21], v[6:7], v[16:17]
	scratch_load_dwordx4 v[4:7], off, off offset:640
	s_waitcnt vmcnt(0)
	v_add_f64 v[4:5], v[4:5], -v[18:19]
	v_add_f64 v[6:7], v[6:7], -v[20:21]
	scratch_store_dwordx4 off, v[4:7], off offset:640
	ds_read2_b64 v[4:7], v12 offset0:82 offset1:83
	s_waitcnt lgkmcnt(0)
	;; [unrolled: 11-line block ×5, first 2 shown]
	v_mul_f64 v[18:19], v[6:7], v[2:3]
	v_fma_f64 v[18:19], v[4:5], v[16:17], -v[18:19]
	v_mul_f64 v[20:21], v[4:5], v[2:3]
	scratch_load_dwordx4 v[2:5], off, off offset:704
	v_fmac_f64_e32 v[20:21], v[6:7], v[16:17]
	s_waitcnt vmcnt(0)
	v_add_f64 v[2:3], v[2:3], -v[18:19]
	v_add_f64 v[4:5], v[4:5], -v[20:21]
	scratch_store_dwordx4 off, v[2:5], off offset:704
	ds_read2_b64 v[2:5], v12 offset0:90 offset1:91
	scratch_load_dwordx2 v[6:7], off, off offset:512
	scratch_load_dwordx2 v[16:17], off, off offset:520
	s_waitcnt vmcnt(0) lgkmcnt(0)
	v_mul_f64 v[18:19], v[4:5], v[16:17]
	v_mul_f64 v[20:21], v[2:3], v[16:17]
	v_fma_f64 v[18:19], v[2:3], v[6:7], -v[18:19]
	v_fmac_f64_e32 v[20:21], v[4:5], v[6:7]
	scratch_load_dwordx4 v[2:5], off, off offset:720
	s_waitcnt vmcnt(0)
	v_add_f64 v[2:3], v[2:3], -v[18:19]
	v_add_f64 v[4:5], v[4:5], -v[20:21]
	scratch_store_dwordx4 off, v[2:5], off offset:720
	ds_read2_b64 v[2:5], v12 offset0:92 offset1:93
	s_waitcnt lgkmcnt(0)
	v_mul_f64 v[18:19], v[4:5], v[16:17]
	v_mul_f64 v[20:21], v[2:3], v[16:17]
	v_fma_f64 v[18:19], v[2:3], v[6:7], -v[18:19]
	v_fmac_f64_e32 v[20:21], v[4:5], v[6:7]
	scratch_load_dwordx4 v[2:5], off, off offset:736
	s_waitcnt vmcnt(0)
	v_add_f64 v[2:3], v[2:3], -v[18:19]
	v_add_f64 v[4:5], v[4:5], -v[20:21]
	scratch_store_dwordx4 off, v[2:5], off offset:736
	ds_read2_b64 v[2:5], v12 offset0:94 offset1:95
	s_waitcnt lgkmcnt(0)
	;; [unrolled: 11-line block ×5, first 2 shown]
	v_mul_f64 v[18:19], v[4:5], v[16:17]
	v_mul_f64 v[16:17], v[2:3], v[16:17]
	v_fma_f64 v[18:19], v[2:3], v[6:7], -v[18:19]
	v_fmac_f64_e32 v[16:17], v[4:5], v[6:7]
	scratch_load_dwordx4 v[2:5], off, off offset:800
	s_waitcnt vmcnt(0)
	v_add_f64 v[2:3], v[2:3], -v[18:19]
	v_add_f64 v[4:5], v[4:5], -v[16:17]
	scratch_store_dwordx4 off, v[2:5], off offset:800
	ds_read2_b64 v[2:5], v12 offset0:102 offset1:103
	scratch_load_dwordx2 v[6:7], off, off offset:512
	scratch_load_dwordx2 v[16:17], off, off offset:520
	s_waitcnt vmcnt(0) lgkmcnt(0)
	v_mul_f64 v[18:19], v[4:5], v[16:17]
	v_mul_f64 v[20:21], v[2:3], v[16:17]
	v_fma_f64 v[18:19], v[2:3], v[6:7], -v[18:19]
	v_fmac_f64_e32 v[20:21], v[4:5], v[6:7]
	scratch_load_dwordx4 v[2:5], off, off offset:816
	s_waitcnt vmcnt(0)
	v_add_f64 v[2:3], v[2:3], -v[18:19]
	v_add_f64 v[4:5], v[4:5], -v[20:21]
	scratch_store_dwordx4 off, v[2:5], off offset:816
	ds_read2_b64 v[2:5], v12 offset0:104 offset1:105
	s_waitcnt lgkmcnt(0)
	v_mul_f64 v[18:19], v[4:5], v[16:17]
	v_mul_f64 v[20:21], v[2:3], v[16:17]
	v_fma_f64 v[18:19], v[2:3], v[6:7], -v[18:19]
	v_fmac_f64_e32 v[20:21], v[4:5], v[6:7]
	scratch_load_dwordx4 v[2:5], off, off offset:832
	s_waitcnt vmcnt(0)
	v_add_f64 v[2:3], v[2:3], -v[18:19]
	v_add_f64 v[4:5], v[4:5], -v[20:21]
	scratch_store_dwordx4 off, v[2:5], off offset:832
	ds_read2_b64 v[2:5], v12 offset0:106 offset1:107
	s_waitcnt lgkmcnt(0)
	;; [unrolled: 11-line block ×5, first 2 shown]
	v_mul_f64 v[18:19], v[4:5], v[16:17]
	v_mul_f64 v[16:17], v[2:3], v[16:17]
	v_fma_f64 v[18:19], v[2:3], v[6:7], -v[18:19]
	v_fmac_f64_e32 v[16:17], v[4:5], v[6:7]
	scratch_load_dwordx4 v[2:5], off, off offset:896
	scratch_load_dwordx2 v[6:7], off, off offset:520
	s_waitcnt vmcnt(1)
	v_add_f64 v[2:3], v[2:3], -v[18:19]
	v_add_f64 v[4:5], v[4:5], -v[16:17]
	scratch_store_dwordx4 off, v[2:5], off offset:896
	ds_read2_b64 v[2:5], v12 offset0:114 offset1:115
	s_waitcnt vmcnt(1) lgkmcnt(0)
	v_mul_f64 v[16:17], v[4:5], v[6:7]
	v_mul_f64 v[18:19], v[2:3], v[6:7]
	v_fma_f64 v[16:17], v[2:3], v[0:1], -v[16:17]
	v_fmac_f64_e32 v[18:19], v[4:5], v[0:1]
	scratch_load_dwordx4 v[2:5], off, off offset:912
	s_waitcnt vmcnt(0)
	v_add_f64 v[2:3], v[2:3], -v[16:17]
	v_add_f64 v[4:5], v[4:5], -v[18:19]
	scratch_store_dwordx4 off, v[2:5], off offset:912
	ds_read2_b64 v[2:5], v12 offset0:116 offset1:117
	s_waitcnt lgkmcnt(0)
	v_mul_f64 v[16:17], v[4:5], v[6:7]
	v_mul_f64 v[18:19], v[2:3], v[6:7]
	v_fma_f64 v[16:17], v[2:3], v[0:1], -v[16:17]
	v_fmac_f64_e32 v[18:19], v[4:5], v[0:1]
	scratch_load_dwordx4 v[2:5], off, off offset:928
	s_waitcnt vmcnt(0)
	v_add_f64 v[2:3], v[2:3], -v[16:17]
	v_add_f64 v[4:5], v[4:5], -v[18:19]
	scratch_store_dwordx4 off, v[2:5], off offset:928
	ds_read2_b64 v[2:5], v12 offset0:118 offset1:119
	s_waitcnt lgkmcnt(0)
	;; [unrolled: 11-line block ×4, first 2 shown]
	v_mul_f64 v[16:17], v[4:5], v[6:7]
	v_mul_f64 v[6:7], v[2:3], v[6:7]
	v_fma_f64 v[16:17], v[2:3], v[0:1], -v[16:17]
	v_fmac_f64_e32 v[6:7], v[4:5], v[0:1]
	scratch_load_dwordx4 v[0:3], off, off offset:976
	s_waitcnt vmcnt(0)
	v_add_f64 v[0:1], v[0:1], -v[16:17]
	v_add_f64 v[2:3], v[2:3], -v[6:7]
	scratch_store_dwordx4 off, v[0:3], off offset:976
.LBB122_799:
	s_or_b64 exec, exec, s[0:1]
	s_barrier
	scratch_load_dwordx4 v[0:3], off, s48
	v_lshl_add_u32 v4, v15, 4, v12
	s_cmp_lt_i32 s66, 35
	s_waitcnt vmcnt(0)
	ds_write2_b64 v4, v[0:1], v[2:3] offset1:1
	s_waitcnt lgkmcnt(0)
	s_barrier
	ds_read2_b64 v[0:3], v12 offset0:66 offset1:67
	v_mov_b32_e32 v4, 33
	s_cbranch_scc1 .LBB122_802
; %bb.800:
	v_add_u32_e32 v5, 0x220, v12
	s_mov_b32 s4, 34
	v_mov_b32_e32 v4, 33
.LBB122_801:                            ; =>This Inner Loop Header: Depth=1
	ds_read2_b64 v[16:19], v5 offset1:1
	s_waitcnt lgkmcnt(1)
	v_xor_b32_e32 v7, 0x80000000, v1
	v_xor_b32_e32 v21, 0x80000000, v3
	v_cmp_gt_f64_e32 vcc, 0, v[2:3]
	v_cmp_gt_f64_e64 s[0:1], 0, v[0:1]
	v_mov_b32_e32 v6, v0
	v_mov_b32_e32 v20, v2
	v_cndmask_b32_e64 v7, v1, v7, s[0:1]
	v_cndmask_b32_e32 v21, v3, v21, vcc
	v_add_f64 v[6:7], v[6:7], v[20:21]
	s_waitcnt lgkmcnt(0)
	v_xor_b32_e32 v21, 0x80000000, v17
	v_xor_b32_e32 v23, 0x80000000, v19
	v_cmp_gt_f64_e32 vcc, 0, v[18:19]
	v_cmp_gt_f64_e64 s[0:1], 0, v[16:17]
	v_mov_b32_e32 v20, v16
	v_mov_b32_e32 v22, v18
	v_cndmask_b32_e64 v21, v17, v21, s[0:1]
	v_cndmask_b32_e32 v23, v19, v23, vcc
	v_add_f64 v[20:21], v[20:21], v[22:23]
	v_mov_b32_e32 v24, s4
	s_add_i32 s4, s4, 1
	v_cmp_lt_f64_e32 vcc, v[6:7], v[20:21]
	v_add_u32_e32 v5, 16, v5
	s_cmp_lg_u32 s66, s4
	v_cndmask_b32_e32 v1, v1, v17, vcc
	v_cndmask_b32_e32 v0, v0, v16, vcc
	;; [unrolled: 1-line block ×5, first 2 shown]
	s_cbranch_scc1 .LBB122_801
.LBB122_802:
	s_waitcnt lgkmcnt(0)
	v_cmp_eq_f64_e32 vcc, 0, v[0:1]
	v_cmp_eq_f64_e64 s[0:1], 0, v[2:3]
	s_and_b64 s[0:1], vcc, s[0:1]
	s_and_saveexec_b64 s[4:5], s[0:1]
	s_xor_b64 s[0:1], exec, s[4:5]
; %bb.803:
	v_cmp_ne_u32_e32 vcc, 0, v13
	s_nop 1
	v_cndmask_b32_e32 v13, 34, v13, vcc
; %bb.804:
	s_andn2_saveexec_b64 s[0:1], s[0:1]
	s_cbranch_execz .LBB122_810
; %bb.805:
	v_cmp_ngt_f64_e64 s[4:5], |v[0:1]|, |v[2:3]|
	s_and_saveexec_b64 s[12:13], s[4:5]
	s_xor_b64 s[12:13], exec, s[12:13]
	s_cbranch_execz .LBB122_807
; %bb.806:
	v_div_scale_f64 v[6:7], s[4:5], v[2:3], v[2:3], v[0:1]
	v_rcp_f64_e32 v[16:17], v[6:7]
	v_div_scale_f64 v[18:19], vcc, v[0:1], v[2:3], v[0:1]
	v_fma_f64 v[20:21], -v[6:7], v[16:17], 1.0
	v_fmac_f64_e32 v[16:17], v[16:17], v[20:21]
	v_fma_f64 v[20:21], -v[6:7], v[16:17], 1.0
	v_fmac_f64_e32 v[16:17], v[16:17], v[20:21]
	v_mul_f64 v[20:21], v[18:19], v[16:17]
	v_fma_f64 v[6:7], -v[6:7], v[20:21], v[18:19]
	v_div_fmas_f64 v[6:7], v[6:7], v[16:17], v[20:21]
	v_div_fixup_f64 v[6:7], v[6:7], v[2:3], v[0:1]
	v_fmac_f64_e32 v[2:3], v[0:1], v[6:7]
	v_div_scale_f64 v[0:1], s[4:5], v[2:3], v[2:3], 1.0
	v_rcp_f64_e32 v[16:17], v[0:1]
	s_nop 0
	v_fma_f64 v[18:19], -v[0:1], v[16:17], 1.0
	v_fmac_f64_e32 v[16:17], v[16:17], v[18:19]
	v_fma_f64 v[18:19], -v[0:1], v[16:17], 1.0
	v_fmac_f64_e32 v[16:17], v[16:17], v[18:19]
	v_div_scale_f64 v[18:19], vcc, 1.0, v[2:3], 1.0
	v_mul_f64 v[20:21], v[18:19], v[16:17]
	v_fma_f64 v[0:1], -v[0:1], v[20:21], v[18:19]
	s_nop 1
	v_div_fmas_f64 v[0:1], v[0:1], v[16:17], v[20:21]
	v_div_fixup_f64 v[2:3], v[0:1], v[2:3], 1.0
	v_mul_f64 v[0:1], v[6:7], v[2:3]
	v_xor_b32_e32 v3, 0x80000000, v3
.LBB122_807:
	s_andn2_saveexec_b64 s[12:13], s[12:13]
	s_cbranch_execz .LBB122_809
; %bb.808:
	v_div_scale_f64 v[6:7], s[4:5], v[0:1], v[0:1], v[2:3]
	v_rcp_f64_e32 v[16:17], v[6:7]
	v_div_scale_f64 v[18:19], vcc, v[2:3], v[0:1], v[2:3]
	v_fma_f64 v[20:21], -v[6:7], v[16:17], 1.0
	v_fmac_f64_e32 v[16:17], v[16:17], v[20:21]
	v_fma_f64 v[20:21], -v[6:7], v[16:17], 1.0
	v_fmac_f64_e32 v[16:17], v[16:17], v[20:21]
	v_mul_f64 v[20:21], v[18:19], v[16:17]
	v_fma_f64 v[6:7], -v[6:7], v[20:21], v[18:19]
	v_div_fmas_f64 v[6:7], v[6:7], v[16:17], v[20:21]
	v_div_fixup_f64 v[6:7], v[6:7], v[0:1], v[2:3]
	v_fmac_f64_e32 v[0:1], v[2:3], v[6:7]
	v_div_scale_f64 v[2:3], s[4:5], v[0:1], v[0:1], 1.0
	v_rcp_f64_e32 v[16:17], v[2:3]
	s_nop 0
	v_fma_f64 v[18:19], -v[2:3], v[16:17], 1.0
	v_fmac_f64_e32 v[16:17], v[16:17], v[18:19]
	v_fma_f64 v[18:19], -v[2:3], v[16:17], 1.0
	v_fmac_f64_e32 v[16:17], v[16:17], v[18:19]
	v_div_scale_f64 v[18:19], vcc, 1.0, v[0:1], 1.0
	v_mul_f64 v[20:21], v[18:19], v[16:17]
	v_fma_f64 v[2:3], -v[2:3], v[20:21], v[18:19]
	s_nop 1
	v_div_fmas_f64 v[2:3], v[2:3], v[16:17], v[20:21]
	v_div_fixup_f64 v[0:1], v[2:3], v[0:1], 1.0
	v_mul_f64 v[2:3], v[6:7], -v[0:1]
.LBB122_809:
	s_or_b64 exec, exec, s[12:13]
.LBB122_810:
	s_or_b64 exec, exec, s[0:1]
	v_cmp_ne_u32_e32 vcc, v15, v4
	s_and_saveexec_b64 s[0:1], vcc
	s_xor_b64 s[0:1], exec, s[0:1]
	s_cbranch_execz .LBB122_816
; %bb.811:
	v_cmp_eq_u32_e32 vcc, 33, v15
	s_and_saveexec_b64 s[12:13], vcc
	s_cbranch_execz .LBB122_815
; %bb.812:
	v_cmp_ne_u32_e32 vcc, 33, v4
	s_xor_b64 s[4:5], s[18:19], -1
	s_and_b64 s[4:5], s[4:5], vcc
	s_and_saveexec_b64 s[14:15], s[4:5]
	s_cbranch_execz .LBB122_814
; %bb.813:
	v_ashrrev_i32_e32 v5, 31, v4
	v_lshl_add_u64 v[6:7], v[4:5], 2, v[10:11]
	global_load_dword v5, v[6:7], off
	global_load_dword v14, v[10:11], off offset:132
	s_waitcnt vmcnt(1)
	global_store_dword v[10:11], v5, off offset:132
	s_waitcnt vmcnt(1)
	global_store_dword v[6:7], v14, off
.LBB122_814:
	s_or_b64 exec, exec, s[14:15]
	v_mov_b32_e32 v15, v4
	v_mov_b32_e32 v14, v4
.LBB122_815:
	s_or_b64 exec, exec, s[12:13]
.LBB122_816:
	s_andn2_saveexec_b64 s[0:1], s[0:1]
	s_cbranch_execz .LBB122_818
; %bb.817:
	scratch_load_dwordx4 v[4:7], off, s47
	scratch_load_dwordx4 v[16:19], off, s46
	;; [unrolled: 1-line block ×28, first 2 shown]
	v_mov_b32_e32 v15, 33
	s_waitcnt vmcnt(27)
	ds_write2_b64 v12, v[4:5], v[6:7] offset0:68 offset1:69
	s_waitcnt vmcnt(26)
	ds_write2_b64 v12, v[16:17], v[18:19] offset0:70 offset1:71
	;; [unrolled: 2-line block ×28, first 2 shown]
.LBB122_818:
	s_or_b64 exec, exec, s[0:1]
	v_cmp_lt_i32_e32 vcc, 33, v15
	s_waitcnt lgkmcnt(0)
	s_barrier
	s_and_saveexec_b64 s[0:1], vcc
	s_cbranch_execz .LBB122_820
; %bb.819:
	scratch_load_dwordx4 v[4:7], off, off offset:528
	s_waitcnt vmcnt(0)
	v_mul_f64 v[16:17], v[2:3], v[6:7]
	v_mul_f64 v[18:19], v[0:1], v[6:7]
	v_fma_f64 v[16:17], v[0:1], v[4:5], -v[16:17]
	v_fmac_f64_e32 v[18:19], v[2:3], v[4:5]
	ds_read2_b64 v[0:3], v12 offset0:68 offset1:69
	scratch_store_dwordx4 off, v[16:19], off offset:528
	s_waitcnt lgkmcnt(0)
	v_mul_f64 v[4:5], v[2:3], v[18:19]
	v_mul_f64 v[6:7], v[0:1], v[18:19]
	v_fma_f64 v[4:5], v[0:1], v[16:17], -v[4:5]
	v_fmac_f64_e32 v[6:7], v[2:3], v[16:17]
	scratch_load_dwordx4 v[0:3], off, off offset:544
	s_waitcnt vmcnt(0)
	v_add_f64 v[0:1], v[0:1], -v[4:5]
	v_add_f64 v[2:3], v[2:3], -v[6:7]
	scratch_store_dwordx4 off, v[0:3], off offset:544
	ds_read2_b64 v[0:3], v12 offset0:70 offset1:71
	s_waitcnt lgkmcnt(0)
	v_mul_f64 v[4:5], v[2:3], v[18:19]
	v_mul_f64 v[6:7], v[0:1], v[18:19]
	v_fma_f64 v[4:5], v[0:1], v[16:17], -v[4:5]
	v_fmac_f64_e32 v[6:7], v[2:3], v[16:17]
	scratch_load_dwordx4 v[0:3], off, off offset:560
	s_waitcnt vmcnt(0)
	v_add_f64 v[0:1], v[0:1], -v[4:5]
	v_add_f64 v[2:3], v[2:3], -v[6:7]
	scratch_store_dwordx4 off, v[0:3], off offset:560
	ds_read2_b64 v[0:3], v12 offset0:72 offset1:73
	;; [unrolled: 11-line block ×6, first 2 shown]
	scratch_load_dwordx2 v[16:17], off, off offset:528
	scratch_load_dwordx4 v[0:3], off, off offset:528
	s_waitcnt vmcnt(0) lgkmcnt(0)
	v_mul_f64 v[18:19], v[6:7], v[2:3]
	v_mul_f64 v[20:21], v[4:5], v[2:3]
	v_fma_f64 v[18:19], v[4:5], v[16:17], -v[18:19]
	v_fmac_f64_e32 v[20:21], v[6:7], v[16:17]
	scratch_load_dwordx4 v[4:7], off, off offset:640
	s_waitcnt vmcnt(0)
	v_add_f64 v[4:5], v[4:5], -v[18:19]
	v_add_f64 v[6:7], v[6:7], -v[20:21]
	scratch_store_dwordx4 off, v[4:7], off offset:640
	ds_read2_b64 v[4:7], v12 offset0:82 offset1:83
	s_waitcnt lgkmcnt(0)
	v_mul_f64 v[18:19], v[6:7], v[2:3]
	v_mul_f64 v[20:21], v[4:5], v[2:3]
	v_fma_f64 v[18:19], v[4:5], v[16:17], -v[18:19]
	v_fmac_f64_e32 v[20:21], v[6:7], v[16:17]
	scratch_load_dwordx4 v[4:7], off, off offset:656
	s_waitcnt vmcnt(0)
	v_add_f64 v[4:5], v[4:5], -v[18:19]
	v_add_f64 v[6:7], v[6:7], -v[20:21]
	scratch_store_dwordx4 off, v[4:7], off offset:656
	ds_read2_b64 v[4:7], v12 offset0:84 offset1:85
	s_waitcnt lgkmcnt(0)
	;; [unrolled: 11-line block ×5, first 2 shown]
	v_mul_f64 v[18:19], v[6:7], v[2:3]
	v_fma_f64 v[18:19], v[4:5], v[16:17], -v[18:19]
	v_mul_f64 v[20:21], v[4:5], v[2:3]
	scratch_load_dwordx4 v[2:5], off, off offset:720
	v_fmac_f64_e32 v[20:21], v[6:7], v[16:17]
	s_waitcnt vmcnt(0)
	v_add_f64 v[2:3], v[2:3], -v[18:19]
	v_add_f64 v[4:5], v[4:5], -v[20:21]
	scratch_store_dwordx4 off, v[2:5], off offset:720
	ds_read2_b64 v[2:5], v12 offset0:92 offset1:93
	scratch_load_dwordx2 v[6:7], off, off offset:528
	scratch_load_dwordx2 v[16:17], off, off offset:536
	s_waitcnt vmcnt(0) lgkmcnt(0)
	v_mul_f64 v[18:19], v[4:5], v[16:17]
	v_mul_f64 v[20:21], v[2:3], v[16:17]
	v_fma_f64 v[18:19], v[2:3], v[6:7], -v[18:19]
	v_fmac_f64_e32 v[20:21], v[4:5], v[6:7]
	scratch_load_dwordx4 v[2:5], off, off offset:736
	s_waitcnt vmcnt(0)
	v_add_f64 v[2:3], v[2:3], -v[18:19]
	v_add_f64 v[4:5], v[4:5], -v[20:21]
	scratch_store_dwordx4 off, v[2:5], off offset:736
	ds_read2_b64 v[2:5], v12 offset0:94 offset1:95
	s_waitcnt lgkmcnt(0)
	v_mul_f64 v[18:19], v[4:5], v[16:17]
	v_mul_f64 v[20:21], v[2:3], v[16:17]
	v_fma_f64 v[18:19], v[2:3], v[6:7], -v[18:19]
	v_fmac_f64_e32 v[20:21], v[4:5], v[6:7]
	scratch_load_dwordx4 v[2:5], off, off offset:752
	s_waitcnt vmcnt(0)
	v_add_f64 v[2:3], v[2:3], -v[18:19]
	v_add_f64 v[4:5], v[4:5], -v[20:21]
	scratch_store_dwordx4 off, v[2:5], off offset:752
	ds_read2_b64 v[2:5], v12 offset0:96 offset1:97
	s_waitcnt lgkmcnt(0)
	;; [unrolled: 11-line block ×5, first 2 shown]
	v_mul_f64 v[18:19], v[4:5], v[16:17]
	v_mul_f64 v[16:17], v[2:3], v[16:17]
	v_fma_f64 v[18:19], v[2:3], v[6:7], -v[18:19]
	v_fmac_f64_e32 v[16:17], v[4:5], v[6:7]
	scratch_load_dwordx4 v[2:5], off, off offset:816
	s_waitcnt vmcnt(0)
	v_add_f64 v[2:3], v[2:3], -v[18:19]
	v_add_f64 v[4:5], v[4:5], -v[16:17]
	scratch_store_dwordx4 off, v[2:5], off offset:816
	ds_read2_b64 v[2:5], v12 offset0:104 offset1:105
	scratch_load_dwordx2 v[6:7], off, off offset:528
	scratch_load_dwordx2 v[16:17], off, off offset:536
	s_waitcnt vmcnt(0) lgkmcnt(0)
	v_mul_f64 v[18:19], v[4:5], v[16:17]
	v_mul_f64 v[20:21], v[2:3], v[16:17]
	v_fma_f64 v[18:19], v[2:3], v[6:7], -v[18:19]
	v_fmac_f64_e32 v[20:21], v[4:5], v[6:7]
	scratch_load_dwordx4 v[2:5], off, off offset:832
	s_waitcnt vmcnt(0)
	v_add_f64 v[2:3], v[2:3], -v[18:19]
	v_add_f64 v[4:5], v[4:5], -v[20:21]
	scratch_store_dwordx4 off, v[2:5], off offset:832
	ds_read2_b64 v[2:5], v12 offset0:106 offset1:107
	s_waitcnt lgkmcnt(0)
	v_mul_f64 v[18:19], v[4:5], v[16:17]
	v_mul_f64 v[20:21], v[2:3], v[16:17]
	v_fma_f64 v[18:19], v[2:3], v[6:7], -v[18:19]
	v_fmac_f64_e32 v[20:21], v[4:5], v[6:7]
	scratch_load_dwordx4 v[2:5], off, off offset:848
	s_waitcnt vmcnt(0)
	v_add_f64 v[2:3], v[2:3], -v[18:19]
	v_add_f64 v[4:5], v[4:5], -v[20:21]
	scratch_store_dwordx4 off, v[2:5], off offset:848
	ds_read2_b64 v[2:5], v12 offset0:108 offset1:109
	s_waitcnt lgkmcnt(0)
	;; [unrolled: 11-line block ×5, first 2 shown]
	v_mul_f64 v[18:19], v[4:5], v[16:17]
	v_mul_f64 v[16:17], v[2:3], v[16:17]
	v_fma_f64 v[18:19], v[2:3], v[6:7], -v[18:19]
	v_fmac_f64_e32 v[16:17], v[4:5], v[6:7]
	scratch_load_dwordx4 v[2:5], off, off offset:912
	scratch_load_dwordx2 v[6:7], off, off offset:536
	s_waitcnt vmcnt(1)
	v_add_f64 v[2:3], v[2:3], -v[18:19]
	v_add_f64 v[4:5], v[4:5], -v[16:17]
	scratch_store_dwordx4 off, v[2:5], off offset:912
	ds_read2_b64 v[2:5], v12 offset0:116 offset1:117
	s_waitcnt vmcnt(1) lgkmcnt(0)
	v_mul_f64 v[16:17], v[4:5], v[6:7]
	v_mul_f64 v[18:19], v[2:3], v[6:7]
	v_fma_f64 v[16:17], v[2:3], v[0:1], -v[16:17]
	v_fmac_f64_e32 v[18:19], v[4:5], v[0:1]
	scratch_load_dwordx4 v[2:5], off, off offset:928
	s_waitcnt vmcnt(0)
	v_add_f64 v[2:3], v[2:3], -v[16:17]
	v_add_f64 v[4:5], v[4:5], -v[18:19]
	scratch_store_dwordx4 off, v[2:5], off offset:928
	ds_read2_b64 v[2:5], v12 offset0:118 offset1:119
	s_waitcnt lgkmcnt(0)
	v_mul_f64 v[16:17], v[4:5], v[6:7]
	v_mul_f64 v[18:19], v[2:3], v[6:7]
	v_fma_f64 v[16:17], v[2:3], v[0:1], -v[16:17]
	v_fmac_f64_e32 v[18:19], v[4:5], v[0:1]
	scratch_load_dwordx4 v[2:5], off, off offset:944
	s_waitcnt vmcnt(0)
	v_add_f64 v[2:3], v[2:3], -v[16:17]
	v_add_f64 v[4:5], v[4:5], -v[18:19]
	scratch_store_dwordx4 off, v[2:5], off offset:944
	ds_read2_b64 v[2:5], v12 offset0:120 offset1:121
	s_waitcnt lgkmcnt(0)
	;; [unrolled: 11-line block ×3, first 2 shown]
	v_mul_f64 v[16:17], v[4:5], v[6:7]
	v_mul_f64 v[6:7], v[2:3], v[6:7]
	v_fma_f64 v[16:17], v[2:3], v[0:1], -v[16:17]
	v_fmac_f64_e32 v[6:7], v[4:5], v[0:1]
	scratch_load_dwordx4 v[0:3], off, off offset:976
	s_waitcnt vmcnt(0)
	v_add_f64 v[0:1], v[0:1], -v[16:17]
	v_add_f64 v[2:3], v[2:3], -v[6:7]
	scratch_store_dwordx4 off, v[0:3], off offset:976
.LBB122_820:
	s_or_b64 exec, exec, s[0:1]
	s_barrier
	scratch_load_dwordx4 v[0:3], off, s47
	v_lshl_add_u32 v4, v15, 4, v12
	s_cmp_lt_i32 s66, 36
	s_waitcnt vmcnt(0)
	ds_write2_b64 v4, v[0:1], v[2:3] offset1:1
	s_waitcnt lgkmcnt(0)
	s_barrier
	ds_read2_b64 v[0:3], v12 offset0:68 offset1:69
	v_mov_b32_e32 v4, 34
	s_cbranch_scc1 .LBB122_823
; %bb.821:
	v_add_u32_e32 v5, 0x230, v12
	s_mov_b32 s4, 35
	v_mov_b32_e32 v4, 34
.LBB122_822:                            ; =>This Inner Loop Header: Depth=1
	ds_read2_b64 v[16:19], v5 offset1:1
	s_waitcnt lgkmcnt(1)
	v_xor_b32_e32 v7, 0x80000000, v1
	v_xor_b32_e32 v21, 0x80000000, v3
	v_cmp_gt_f64_e32 vcc, 0, v[2:3]
	v_cmp_gt_f64_e64 s[0:1], 0, v[0:1]
	v_mov_b32_e32 v6, v0
	v_mov_b32_e32 v20, v2
	v_cndmask_b32_e64 v7, v1, v7, s[0:1]
	v_cndmask_b32_e32 v21, v3, v21, vcc
	v_add_f64 v[6:7], v[6:7], v[20:21]
	s_waitcnt lgkmcnt(0)
	v_xor_b32_e32 v21, 0x80000000, v17
	v_xor_b32_e32 v23, 0x80000000, v19
	v_cmp_gt_f64_e32 vcc, 0, v[18:19]
	v_cmp_gt_f64_e64 s[0:1], 0, v[16:17]
	v_mov_b32_e32 v20, v16
	v_mov_b32_e32 v22, v18
	v_cndmask_b32_e64 v21, v17, v21, s[0:1]
	v_cndmask_b32_e32 v23, v19, v23, vcc
	v_add_f64 v[20:21], v[20:21], v[22:23]
	v_mov_b32_e32 v24, s4
	s_add_i32 s4, s4, 1
	v_cmp_lt_f64_e32 vcc, v[6:7], v[20:21]
	v_add_u32_e32 v5, 16, v5
	s_cmp_lg_u32 s66, s4
	v_cndmask_b32_e32 v1, v1, v17, vcc
	v_cndmask_b32_e32 v0, v0, v16, vcc
	;; [unrolled: 1-line block ×5, first 2 shown]
	s_cbranch_scc1 .LBB122_822
.LBB122_823:
	s_waitcnt lgkmcnt(0)
	v_cmp_eq_f64_e32 vcc, 0, v[0:1]
	v_cmp_eq_f64_e64 s[0:1], 0, v[2:3]
	s_and_b64 s[0:1], vcc, s[0:1]
	s_and_saveexec_b64 s[4:5], s[0:1]
	s_xor_b64 s[0:1], exec, s[4:5]
; %bb.824:
	v_cmp_ne_u32_e32 vcc, 0, v13
	s_nop 1
	v_cndmask_b32_e32 v13, 35, v13, vcc
; %bb.825:
	s_andn2_saveexec_b64 s[0:1], s[0:1]
	s_cbranch_execz .LBB122_831
; %bb.826:
	v_cmp_ngt_f64_e64 s[4:5], |v[0:1]|, |v[2:3]|
	s_and_saveexec_b64 s[12:13], s[4:5]
	s_xor_b64 s[12:13], exec, s[12:13]
	s_cbranch_execz .LBB122_828
; %bb.827:
	v_div_scale_f64 v[6:7], s[4:5], v[2:3], v[2:3], v[0:1]
	v_rcp_f64_e32 v[16:17], v[6:7]
	v_div_scale_f64 v[18:19], vcc, v[0:1], v[2:3], v[0:1]
	v_fma_f64 v[20:21], -v[6:7], v[16:17], 1.0
	v_fmac_f64_e32 v[16:17], v[16:17], v[20:21]
	v_fma_f64 v[20:21], -v[6:7], v[16:17], 1.0
	v_fmac_f64_e32 v[16:17], v[16:17], v[20:21]
	v_mul_f64 v[20:21], v[18:19], v[16:17]
	v_fma_f64 v[6:7], -v[6:7], v[20:21], v[18:19]
	v_div_fmas_f64 v[6:7], v[6:7], v[16:17], v[20:21]
	v_div_fixup_f64 v[6:7], v[6:7], v[2:3], v[0:1]
	v_fmac_f64_e32 v[2:3], v[0:1], v[6:7]
	v_div_scale_f64 v[0:1], s[4:5], v[2:3], v[2:3], 1.0
	v_rcp_f64_e32 v[16:17], v[0:1]
	s_nop 0
	v_fma_f64 v[18:19], -v[0:1], v[16:17], 1.0
	v_fmac_f64_e32 v[16:17], v[16:17], v[18:19]
	v_fma_f64 v[18:19], -v[0:1], v[16:17], 1.0
	v_fmac_f64_e32 v[16:17], v[16:17], v[18:19]
	v_div_scale_f64 v[18:19], vcc, 1.0, v[2:3], 1.0
	v_mul_f64 v[20:21], v[18:19], v[16:17]
	v_fma_f64 v[0:1], -v[0:1], v[20:21], v[18:19]
	s_nop 1
	v_div_fmas_f64 v[0:1], v[0:1], v[16:17], v[20:21]
	v_div_fixup_f64 v[2:3], v[0:1], v[2:3], 1.0
	v_mul_f64 v[0:1], v[6:7], v[2:3]
	v_xor_b32_e32 v3, 0x80000000, v3
.LBB122_828:
	s_andn2_saveexec_b64 s[12:13], s[12:13]
	s_cbranch_execz .LBB122_830
; %bb.829:
	v_div_scale_f64 v[6:7], s[4:5], v[0:1], v[0:1], v[2:3]
	v_rcp_f64_e32 v[16:17], v[6:7]
	v_div_scale_f64 v[18:19], vcc, v[2:3], v[0:1], v[2:3]
	v_fma_f64 v[20:21], -v[6:7], v[16:17], 1.0
	v_fmac_f64_e32 v[16:17], v[16:17], v[20:21]
	v_fma_f64 v[20:21], -v[6:7], v[16:17], 1.0
	v_fmac_f64_e32 v[16:17], v[16:17], v[20:21]
	v_mul_f64 v[20:21], v[18:19], v[16:17]
	v_fma_f64 v[6:7], -v[6:7], v[20:21], v[18:19]
	v_div_fmas_f64 v[6:7], v[6:7], v[16:17], v[20:21]
	v_div_fixup_f64 v[6:7], v[6:7], v[0:1], v[2:3]
	v_fmac_f64_e32 v[0:1], v[2:3], v[6:7]
	v_div_scale_f64 v[2:3], s[4:5], v[0:1], v[0:1], 1.0
	v_rcp_f64_e32 v[16:17], v[2:3]
	s_nop 0
	v_fma_f64 v[18:19], -v[2:3], v[16:17], 1.0
	v_fmac_f64_e32 v[16:17], v[16:17], v[18:19]
	v_fma_f64 v[18:19], -v[2:3], v[16:17], 1.0
	v_fmac_f64_e32 v[16:17], v[16:17], v[18:19]
	v_div_scale_f64 v[18:19], vcc, 1.0, v[0:1], 1.0
	v_mul_f64 v[20:21], v[18:19], v[16:17]
	v_fma_f64 v[2:3], -v[2:3], v[20:21], v[18:19]
	s_nop 1
	v_div_fmas_f64 v[2:3], v[2:3], v[16:17], v[20:21]
	v_div_fixup_f64 v[0:1], v[2:3], v[0:1], 1.0
	v_mul_f64 v[2:3], v[6:7], -v[0:1]
.LBB122_830:
	s_or_b64 exec, exec, s[12:13]
.LBB122_831:
	s_or_b64 exec, exec, s[0:1]
	v_cmp_ne_u32_e32 vcc, v15, v4
	s_and_saveexec_b64 s[0:1], vcc
	s_xor_b64 s[0:1], exec, s[0:1]
	s_cbranch_execz .LBB122_837
; %bb.832:
	v_cmp_eq_u32_e32 vcc, 34, v15
	s_and_saveexec_b64 s[12:13], vcc
	s_cbranch_execz .LBB122_836
; %bb.833:
	v_cmp_ne_u32_e32 vcc, 34, v4
	s_xor_b64 s[4:5], s[18:19], -1
	s_and_b64 s[4:5], s[4:5], vcc
	s_and_saveexec_b64 s[14:15], s[4:5]
	s_cbranch_execz .LBB122_835
; %bb.834:
	v_ashrrev_i32_e32 v5, 31, v4
	v_lshl_add_u64 v[6:7], v[4:5], 2, v[10:11]
	global_load_dword v5, v[6:7], off
	global_load_dword v14, v[10:11], off offset:136
	s_waitcnt vmcnt(1)
	global_store_dword v[10:11], v5, off offset:136
	s_waitcnt vmcnt(1)
	global_store_dword v[6:7], v14, off
.LBB122_835:
	s_or_b64 exec, exec, s[14:15]
	v_mov_b32_e32 v15, v4
	v_mov_b32_e32 v14, v4
.LBB122_836:
	s_or_b64 exec, exec, s[12:13]
.LBB122_837:
	s_andn2_saveexec_b64 s[0:1], s[0:1]
	s_cbranch_execz .LBB122_839
; %bb.838:
	scratch_load_dwordx4 v[4:7], off, s46
	scratch_load_dwordx4 v[16:19], off, s45
	;; [unrolled: 1-line block ×27, first 2 shown]
	v_mov_b32_e32 v15, 34
	s_waitcnt vmcnt(26)
	ds_write2_b64 v12, v[4:5], v[6:7] offset0:70 offset1:71
	s_waitcnt vmcnt(25)
	ds_write2_b64 v12, v[16:17], v[18:19] offset0:72 offset1:73
	;; [unrolled: 2-line block ×27, first 2 shown]
.LBB122_839:
	s_or_b64 exec, exec, s[0:1]
	v_cmp_lt_i32_e32 vcc, 34, v15
	s_waitcnt lgkmcnt(0)
	s_barrier
	s_and_saveexec_b64 s[0:1], vcc
	s_cbranch_execz .LBB122_841
; %bb.840:
	scratch_load_dwordx4 v[4:7], off, off offset:544
	s_waitcnt vmcnt(0)
	v_mul_f64 v[16:17], v[2:3], v[6:7]
	v_mul_f64 v[18:19], v[0:1], v[6:7]
	v_fma_f64 v[16:17], v[0:1], v[4:5], -v[16:17]
	v_fmac_f64_e32 v[18:19], v[2:3], v[4:5]
	ds_read2_b64 v[0:3], v12 offset0:70 offset1:71
	scratch_store_dwordx4 off, v[16:19], off offset:544
	s_waitcnt lgkmcnt(0)
	v_mul_f64 v[4:5], v[2:3], v[18:19]
	v_mul_f64 v[6:7], v[0:1], v[18:19]
	v_fma_f64 v[4:5], v[0:1], v[16:17], -v[4:5]
	v_fmac_f64_e32 v[6:7], v[2:3], v[16:17]
	scratch_load_dwordx4 v[0:3], off, off offset:560
	s_waitcnt vmcnt(0)
	v_add_f64 v[0:1], v[0:1], -v[4:5]
	v_add_f64 v[2:3], v[2:3], -v[6:7]
	scratch_store_dwordx4 off, v[0:3], off offset:560
	ds_read2_b64 v[0:3], v12 offset0:72 offset1:73
	s_waitcnt lgkmcnt(0)
	v_mul_f64 v[4:5], v[2:3], v[18:19]
	v_mul_f64 v[6:7], v[0:1], v[18:19]
	v_fma_f64 v[4:5], v[0:1], v[16:17], -v[4:5]
	v_fmac_f64_e32 v[6:7], v[2:3], v[16:17]
	scratch_load_dwordx4 v[0:3], off, off offset:576
	s_waitcnt vmcnt(0)
	v_add_f64 v[0:1], v[0:1], -v[4:5]
	v_add_f64 v[2:3], v[2:3], -v[6:7]
	scratch_store_dwordx4 off, v[0:3], off offset:576
	ds_read2_b64 v[0:3], v12 offset0:74 offset1:75
	;; [unrolled: 11-line block ×6, first 2 shown]
	scratch_load_dwordx2 v[16:17], off, off offset:544
	scratch_load_dwordx4 v[0:3], off, off offset:544
	s_waitcnt vmcnt(0) lgkmcnt(0)
	v_mul_f64 v[18:19], v[6:7], v[2:3]
	v_mul_f64 v[20:21], v[4:5], v[2:3]
	v_fma_f64 v[18:19], v[4:5], v[16:17], -v[18:19]
	v_fmac_f64_e32 v[20:21], v[6:7], v[16:17]
	scratch_load_dwordx4 v[4:7], off, off offset:656
	s_waitcnt vmcnt(0)
	v_add_f64 v[4:5], v[4:5], -v[18:19]
	v_add_f64 v[6:7], v[6:7], -v[20:21]
	scratch_store_dwordx4 off, v[4:7], off offset:656
	ds_read2_b64 v[4:7], v12 offset0:84 offset1:85
	s_waitcnt lgkmcnt(0)
	v_mul_f64 v[18:19], v[6:7], v[2:3]
	v_mul_f64 v[20:21], v[4:5], v[2:3]
	v_fma_f64 v[18:19], v[4:5], v[16:17], -v[18:19]
	v_fmac_f64_e32 v[20:21], v[6:7], v[16:17]
	scratch_load_dwordx4 v[4:7], off, off offset:672
	s_waitcnt vmcnt(0)
	v_add_f64 v[4:5], v[4:5], -v[18:19]
	v_add_f64 v[6:7], v[6:7], -v[20:21]
	scratch_store_dwordx4 off, v[4:7], off offset:672
	ds_read2_b64 v[4:7], v12 offset0:86 offset1:87
	s_waitcnt lgkmcnt(0)
	;; [unrolled: 11-line block ×5, first 2 shown]
	v_mul_f64 v[18:19], v[6:7], v[2:3]
	v_fma_f64 v[18:19], v[4:5], v[16:17], -v[18:19]
	v_mul_f64 v[20:21], v[4:5], v[2:3]
	scratch_load_dwordx4 v[2:5], off, off offset:736
	v_fmac_f64_e32 v[20:21], v[6:7], v[16:17]
	s_waitcnt vmcnt(0)
	v_add_f64 v[2:3], v[2:3], -v[18:19]
	v_add_f64 v[4:5], v[4:5], -v[20:21]
	scratch_store_dwordx4 off, v[2:5], off offset:736
	ds_read2_b64 v[2:5], v12 offset0:94 offset1:95
	scratch_load_dwordx2 v[6:7], off, off offset:544
	scratch_load_dwordx2 v[16:17], off, off offset:552
	s_waitcnt vmcnt(0) lgkmcnt(0)
	v_mul_f64 v[18:19], v[4:5], v[16:17]
	v_mul_f64 v[20:21], v[2:3], v[16:17]
	v_fma_f64 v[18:19], v[2:3], v[6:7], -v[18:19]
	v_fmac_f64_e32 v[20:21], v[4:5], v[6:7]
	scratch_load_dwordx4 v[2:5], off, off offset:752
	s_waitcnt vmcnt(0)
	v_add_f64 v[2:3], v[2:3], -v[18:19]
	v_add_f64 v[4:5], v[4:5], -v[20:21]
	scratch_store_dwordx4 off, v[2:5], off offset:752
	ds_read2_b64 v[2:5], v12 offset0:96 offset1:97
	s_waitcnt lgkmcnt(0)
	v_mul_f64 v[18:19], v[4:5], v[16:17]
	v_mul_f64 v[20:21], v[2:3], v[16:17]
	v_fma_f64 v[18:19], v[2:3], v[6:7], -v[18:19]
	v_fmac_f64_e32 v[20:21], v[4:5], v[6:7]
	scratch_load_dwordx4 v[2:5], off, off offset:768
	s_waitcnt vmcnt(0)
	v_add_f64 v[2:3], v[2:3], -v[18:19]
	v_add_f64 v[4:5], v[4:5], -v[20:21]
	scratch_store_dwordx4 off, v[2:5], off offset:768
	ds_read2_b64 v[2:5], v12 offset0:98 offset1:99
	s_waitcnt lgkmcnt(0)
	;; [unrolled: 11-line block ×5, first 2 shown]
	v_mul_f64 v[18:19], v[4:5], v[16:17]
	v_mul_f64 v[16:17], v[2:3], v[16:17]
	v_fma_f64 v[18:19], v[2:3], v[6:7], -v[18:19]
	v_fmac_f64_e32 v[16:17], v[4:5], v[6:7]
	scratch_load_dwordx4 v[2:5], off, off offset:832
	s_waitcnt vmcnt(0)
	v_add_f64 v[2:3], v[2:3], -v[18:19]
	v_add_f64 v[4:5], v[4:5], -v[16:17]
	scratch_store_dwordx4 off, v[2:5], off offset:832
	ds_read2_b64 v[2:5], v12 offset0:106 offset1:107
	scratch_load_dwordx2 v[6:7], off, off offset:544
	scratch_load_dwordx2 v[16:17], off, off offset:552
	s_waitcnt vmcnt(0) lgkmcnt(0)
	v_mul_f64 v[18:19], v[4:5], v[16:17]
	v_mul_f64 v[20:21], v[2:3], v[16:17]
	v_fma_f64 v[18:19], v[2:3], v[6:7], -v[18:19]
	v_fmac_f64_e32 v[20:21], v[4:5], v[6:7]
	scratch_load_dwordx4 v[2:5], off, off offset:848
	s_waitcnt vmcnt(0)
	v_add_f64 v[2:3], v[2:3], -v[18:19]
	v_add_f64 v[4:5], v[4:5], -v[20:21]
	scratch_store_dwordx4 off, v[2:5], off offset:848
	ds_read2_b64 v[2:5], v12 offset0:108 offset1:109
	s_waitcnt lgkmcnt(0)
	v_mul_f64 v[18:19], v[4:5], v[16:17]
	v_mul_f64 v[20:21], v[2:3], v[16:17]
	v_fma_f64 v[18:19], v[2:3], v[6:7], -v[18:19]
	v_fmac_f64_e32 v[20:21], v[4:5], v[6:7]
	scratch_load_dwordx4 v[2:5], off, off offset:864
	s_waitcnt vmcnt(0)
	v_add_f64 v[2:3], v[2:3], -v[18:19]
	v_add_f64 v[4:5], v[4:5], -v[20:21]
	scratch_store_dwordx4 off, v[2:5], off offset:864
	ds_read2_b64 v[2:5], v12 offset0:110 offset1:111
	s_waitcnt lgkmcnt(0)
	;; [unrolled: 11-line block ×5, first 2 shown]
	v_mul_f64 v[18:19], v[4:5], v[16:17]
	v_mul_f64 v[16:17], v[2:3], v[16:17]
	v_fma_f64 v[18:19], v[2:3], v[6:7], -v[18:19]
	v_fmac_f64_e32 v[16:17], v[4:5], v[6:7]
	scratch_load_dwordx4 v[2:5], off, off offset:928
	s_waitcnt vmcnt(0)
	v_add_f64 v[4:5], v[4:5], -v[16:17]
	scratch_load_dwordx2 v[16:17], off, off offset:552
	v_add_f64 v[2:3], v[2:3], -v[18:19]
	scratch_store_dwordx4 off, v[2:5], off offset:928
	ds_read2_b64 v[2:5], v12 offset0:118 offset1:119
	s_waitcnt vmcnt(1) lgkmcnt(0)
	v_mul_f64 v[6:7], v[4:5], v[16:17]
	v_mul_f64 v[18:19], v[2:3], v[16:17]
	v_fma_f64 v[6:7], v[2:3], v[0:1], -v[6:7]
	v_fmac_f64_e32 v[18:19], v[4:5], v[0:1]
	scratch_load_dwordx4 v[2:5], off, off offset:944
	s_waitcnt vmcnt(0)
	v_add_f64 v[2:3], v[2:3], -v[6:7]
	v_add_f64 v[4:5], v[4:5], -v[18:19]
	scratch_store_dwordx4 off, v[2:5], off offset:944
	ds_read2_b64 v[2:5], v12 offset0:120 offset1:121
	s_waitcnt lgkmcnt(0)
	v_mul_f64 v[6:7], v[4:5], v[16:17]
	v_mul_f64 v[18:19], v[2:3], v[16:17]
	v_fma_f64 v[6:7], v[2:3], v[0:1], -v[6:7]
	v_fmac_f64_e32 v[18:19], v[4:5], v[0:1]
	scratch_load_dwordx4 v[2:5], off, off offset:960
	s_waitcnt vmcnt(0)
	v_add_f64 v[2:3], v[2:3], -v[6:7]
	v_add_f64 v[4:5], v[4:5], -v[18:19]
	scratch_store_dwordx4 off, v[2:5], off offset:960
	ds_read2_b64 v[4:7], v12 offset0:122 offset1:123
	s_waitcnt lgkmcnt(0)
	v_mul_f64 v[2:3], v[6:7], v[16:17]
	v_fma_f64 v[2:3], v[4:5], v[0:1], -v[2:3]
	v_mul_f64 v[4:5], v[4:5], v[16:17]
	scratch_load_dwordx4 v[16:19], off, off offset:976
	v_fmac_f64_e32 v[4:5], v[6:7], v[0:1]
	s_waitcnt vmcnt(0)
	v_add_f64 v[0:1], v[16:17], -v[2:3]
	v_add_f64 v[2:3], v[18:19], -v[4:5]
	scratch_store_dwordx4 off, v[0:3], off offset:976
.LBB122_841:
	s_or_b64 exec, exec, s[0:1]
	s_barrier
	scratch_load_dwordx4 v[0:3], off, s46
	v_lshl_add_u32 v4, v15, 4, v12
	s_cmp_lt_i32 s66, 37
	s_waitcnt vmcnt(0)
	ds_write2_b64 v4, v[0:1], v[2:3] offset1:1
	s_waitcnt lgkmcnt(0)
	s_barrier
	ds_read2_b64 v[0:3], v12 offset0:70 offset1:71
	v_mov_b32_e32 v4, 35
	s_cbranch_scc1 .LBB122_844
; %bb.842:
	v_add_u32_e32 v5, 0x240, v12
	s_mov_b32 s4, 36
	v_mov_b32_e32 v4, 35
.LBB122_843:                            ; =>This Inner Loop Header: Depth=1
	ds_read2_b64 v[16:19], v5 offset1:1
	s_waitcnt lgkmcnt(1)
	v_xor_b32_e32 v7, 0x80000000, v1
	v_xor_b32_e32 v21, 0x80000000, v3
	v_cmp_gt_f64_e32 vcc, 0, v[2:3]
	v_cmp_gt_f64_e64 s[0:1], 0, v[0:1]
	v_mov_b32_e32 v6, v0
	v_mov_b32_e32 v20, v2
	v_cndmask_b32_e64 v7, v1, v7, s[0:1]
	v_cndmask_b32_e32 v21, v3, v21, vcc
	v_add_f64 v[6:7], v[6:7], v[20:21]
	s_waitcnt lgkmcnt(0)
	v_xor_b32_e32 v21, 0x80000000, v17
	v_xor_b32_e32 v23, 0x80000000, v19
	v_cmp_gt_f64_e32 vcc, 0, v[18:19]
	v_cmp_gt_f64_e64 s[0:1], 0, v[16:17]
	v_mov_b32_e32 v20, v16
	v_mov_b32_e32 v22, v18
	v_cndmask_b32_e64 v21, v17, v21, s[0:1]
	v_cndmask_b32_e32 v23, v19, v23, vcc
	v_add_f64 v[20:21], v[20:21], v[22:23]
	v_mov_b32_e32 v24, s4
	s_add_i32 s4, s4, 1
	v_cmp_lt_f64_e32 vcc, v[6:7], v[20:21]
	v_add_u32_e32 v5, 16, v5
	s_cmp_lg_u32 s66, s4
	v_cndmask_b32_e32 v1, v1, v17, vcc
	v_cndmask_b32_e32 v0, v0, v16, vcc
	;; [unrolled: 1-line block ×5, first 2 shown]
	s_cbranch_scc1 .LBB122_843
.LBB122_844:
	s_waitcnt lgkmcnt(0)
	v_cmp_eq_f64_e32 vcc, 0, v[0:1]
	v_cmp_eq_f64_e64 s[0:1], 0, v[2:3]
	s_and_b64 s[0:1], vcc, s[0:1]
	s_and_saveexec_b64 s[4:5], s[0:1]
	s_xor_b64 s[0:1], exec, s[4:5]
; %bb.845:
	v_cmp_ne_u32_e32 vcc, 0, v13
	s_nop 1
	v_cndmask_b32_e32 v13, 36, v13, vcc
; %bb.846:
	s_andn2_saveexec_b64 s[0:1], s[0:1]
	s_cbranch_execz .LBB122_852
; %bb.847:
	v_cmp_ngt_f64_e64 s[4:5], |v[0:1]|, |v[2:3]|
	s_and_saveexec_b64 s[12:13], s[4:5]
	s_xor_b64 s[12:13], exec, s[12:13]
	s_cbranch_execz .LBB122_849
; %bb.848:
	v_div_scale_f64 v[6:7], s[4:5], v[2:3], v[2:3], v[0:1]
	v_rcp_f64_e32 v[16:17], v[6:7]
	v_div_scale_f64 v[18:19], vcc, v[0:1], v[2:3], v[0:1]
	v_fma_f64 v[20:21], -v[6:7], v[16:17], 1.0
	v_fmac_f64_e32 v[16:17], v[16:17], v[20:21]
	v_fma_f64 v[20:21], -v[6:7], v[16:17], 1.0
	v_fmac_f64_e32 v[16:17], v[16:17], v[20:21]
	v_mul_f64 v[20:21], v[18:19], v[16:17]
	v_fma_f64 v[6:7], -v[6:7], v[20:21], v[18:19]
	v_div_fmas_f64 v[6:7], v[6:7], v[16:17], v[20:21]
	v_div_fixup_f64 v[6:7], v[6:7], v[2:3], v[0:1]
	v_fmac_f64_e32 v[2:3], v[0:1], v[6:7]
	v_div_scale_f64 v[0:1], s[4:5], v[2:3], v[2:3], 1.0
	v_rcp_f64_e32 v[16:17], v[0:1]
	s_nop 0
	v_fma_f64 v[18:19], -v[0:1], v[16:17], 1.0
	v_fmac_f64_e32 v[16:17], v[16:17], v[18:19]
	v_fma_f64 v[18:19], -v[0:1], v[16:17], 1.0
	v_fmac_f64_e32 v[16:17], v[16:17], v[18:19]
	v_div_scale_f64 v[18:19], vcc, 1.0, v[2:3], 1.0
	v_mul_f64 v[20:21], v[18:19], v[16:17]
	v_fma_f64 v[0:1], -v[0:1], v[20:21], v[18:19]
	s_nop 1
	v_div_fmas_f64 v[0:1], v[0:1], v[16:17], v[20:21]
	v_div_fixup_f64 v[2:3], v[0:1], v[2:3], 1.0
	v_mul_f64 v[0:1], v[6:7], v[2:3]
	v_xor_b32_e32 v3, 0x80000000, v3
.LBB122_849:
	s_andn2_saveexec_b64 s[12:13], s[12:13]
	s_cbranch_execz .LBB122_851
; %bb.850:
	v_div_scale_f64 v[6:7], s[4:5], v[0:1], v[0:1], v[2:3]
	v_rcp_f64_e32 v[16:17], v[6:7]
	v_div_scale_f64 v[18:19], vcc, v[2:3], v[0:1], v[2:3]
	v_fma_f64 v[20:21], -v[6:7], v[16:17], 1.0
	v_fmac_f64_e32 v[16:17], v[16:17], v[20:21]
	v_fma_f64 v[20:21], -v[6:7], v[16:17], 1.0
	v_fmac_f64_e32 v[16:17], v[16:17], v[20:21]
	v_mul_f64 v[20:21], v[18:19], v[16:17]
	v_fma_f64 v[6:7], -v[6:7], v[20:21], v[18:19]
	v_div_fmas_f64 v[6:7], v[6:7], v[16:17], v[20:21]
	v_div_fixup_f64 v[6:7], v[6:7], v[0:1], v[2:3]
	v_fmac_f64_e32 v[0:1], v[2:3], v[6:7]
	v_div_scale_f64 v[2:3], s[4:5], v[0:1], v[0:1], 1.0
	v_rcp_f64_e32 v[16:17], v[2:3]
	s_nop 0
	v_fma_f64 v[18:19], -v[2:3], v[16:17], 1.0
	v_fmac_f64_e32 v[16:17], v[16:17], v[18:19]
	v_fma_f64 v[18:19], -v[2:3], v[16:17], 1.0
	v_fmac_f64_e32 v[16:17], v[16:17], v[18:19]
	v_div_scale_f64 v[18:19], vcc, 1.0, v[0:1], 1.0
	v_mul_f64 v[20:21], v[18:19], v[16:17]
	v_fma_f64 v[2:3], -v[2:3], v[20:21], v[18:19]
	s_nop 1
	v_div_fmas_f64 v[2:3], v[2:3], v[16:17], v[20:21]
	v_div_fixup_f64 v[0:1], v[2:3], v[0:1], 1.0
	v_mul_f64 v[2:3], v[6:7], -v[0:1]
.LBB122_851:
	s_or_b64 exec, exec, s[12:13]
.LBB122_852:
	s_or_b64 exec, exec, s[0:1]
	v_cmp_ne_u32_e32 vcc, v15, v4
	s_and_saveexec_b64 s[0:1], vcc
	s_xor_b64 s[0:1], exec, s[0:1]
	s_cbranch_execz .LBB122_858
; %bb.853:
	v_cmp_eq_u32_e32 vcc, 35, v15
	s_and_saveexec_b64 s[12:13], vcc
	s_cbranch_execz .LBB122_857
; %bb.854:
	v_cmp_ne_u32_e32 vcc, 35, v4
	s_xor_b64 s[4:5], s[18:19], -1
	s_and_b64 s[4:5], s[4:5], vcc
	s_and_saveexec_b64 s[14:15], s[4:5]
	s_cbranch_execz .LBB122_856
; %bb.855:
	v_ashrrev_i32_e32 v5, 31, v4
	v_lshl_add_u64 v[6:7], v[4:5], 2, v[10:11]
	global_load_dword v5, v[6:7], off
	global_load_dword v14, v[10:11], off offset:140
	s_waitcnt vmcnt(1)
	global_store_dword v[10:11], v5, off offset:140
	s_waitcnt vmcnt(1)
	global_store_dword v[6:7], v14, off
.LBB122_856:
	s_or_b64 exec, exec, s[14:15]
	v_mov_b32_e32 v15, v4
	v_mov_b32_e32 v14, v4
.LBB122_857:
	s_or_b64 exec, exec, s[12:13]
.LBB122_858:
	s_andn2_saveexec_b64 s[0:1], s[0:1]
	s_cbranch_execz .LBB122_860
; %bb.859:
	scratch_load_dwordx4 v[4:7], off, s45
	scratch_load_dwordx4 v[16:19], off, s44
	;; [unrolled: 1-line block ×26, first 2 shown]
	v_mov_b32_e32 v15, 35
	s_waitcnt vmcnt(25)
	ds_write2_b64 v12, v[4:5], v[6:7] offset0:72 offset1:73
	s_waitcnt vmcnt(24)
	ds_write2_b64 v12, v[16:17], v[18:19] offset0:74 offset1:75
	;; [unrolled: 2-line block ×26, first 2 shown]
.LBB122_860:
	s_or_b64 exec, exec, s[0:1]
	v_cmp_lt_i32_e32 vcc, 35, v15
	s_waitcnt lgkmcnt(0)
	s_barrier
	s_and_saveexec_b64 s[0:1], vcc
	s_cbranch_execz .LBB122_862
; %bb.861:
	scratch_load_dwordx4 v[4:7], off, off offset:560
	s_waitcnt vmcnt(0)
	v_mul_f64 v[16:17], v[2:3], v[6:7]
	v_mul_f64 v[18:19], v[0:1], v[6:7]
	v_fma_f64 v[16:17], v[0:1], v[4:5], -v[16:17]
	v_fmac_f64_e32 v[18:19], v[2:3], v[4:5]
	ds_read2_b64 v[0:3], v12 offset0:72 offset1:73
	scratch_store_dwordx4 off, v[16:19], off offset:560
	s_waitcnt lgkmcnt(0)
	v_mul_f64 v[4:5], v[2:3], v[18:19]
	v_mul_f64 v[6:7], v[0:1], v[18:19]
	v_fma_f64 v[4:5], v[0:1], v[16:17], -v[4:5]
	v_fmac_f64_e32 v[6:7], v[2:3], v[16:17]
	scratch_load_dwordx4 v[0:3], off, off offset:576
	s_waitcnt vmcnt(0)
	v_add_f64 v[0:1], v[0:1], -v[4:5]
	v_add_f64 v[2:3], v[2:3], -v[6:7]
	scratch_store_dwordx4 off, v[0:3], off offset:576
	ds_read2_b64 v[0:3], v12 offset0:74 offset1:75
	s_waitcnt lgkmcnt(0)
	v_mul_f64 v[4:5], v[2:3], v[18:19]
	v_mul_f64 v[6:7], v[0:1], v[18:19]
	v_fma_f64 v[4:5], v[0:1], v[16:17], -v[4:5]
	v_fmac_f64_e32 v[6:7], v[2:3], v[16:17]
	scratch_load_dwordx4 v[0:3], off, off offset:592
	s_waitcnt vmcnt(0)
	v_add_f64 v[0:1], v[0:1], -v[4:5]
	v_add_f64 v[2:3], v[2:3], -v[6:7]
	scratch_store_dwordx4 off, v[0:3], off offset:592
	ds_read2_b64 v[0:3], v12 offset0:76 offset1:77
	s_waitcnt lgkmcnt(0)
	v_mul_f64 v[4:5], v[2:3], v[18:19]
	v_mul_f64 v[6:7], v[0:1], v[18:19]
	v_fma_f64 v[4:5], v[0:1], v[16:17], -v[4:5]
	v_fmac_f64_e32 v[6:7], v[2:3], v[16:17]
	scratch_load_dwordx4 v[0:3], off, off offset:608
	s_waitcnt vmcnt(0)
	v_add_f64 v[0:1], v[0:1], -v[4:5]
	v_add_f64 v[2:3], v[2:3], -v[6:7]
	scratch_store_dwordx4 off, v[0:3], off offset:608
	ds_read2_b64 v[0:3], v12 offset0:78 offset1:79
	s_waitcnt lgkmcnt(0)
	v_mul_f64 v[4:5], v[2:3], v[18:19]
	v_mul_f64 v[6:7], v[0:1], v[18:19]
	v_fma_f64 v[4:5], v[0:1], v[16:17], -v[4:5]
	v_fmac_f64_e32 v[6:7], v[2:3], v[16:17]
	scratch_load_dwordx4 v[0:3], off, off offset:624
	s_waitcnt vmcnt(0)
	v_add_f64 v[0:1], v[0:1], -v[4:5]
	v_add_f64 v[2:3], v[2:3], -v[6:7]
	scratch_store_dwordx4 off, v[0:3], off offset:624
	ds_read2_b64 v[0:3], v12 offset0:80 offset1:81
	s_waitcnt lgkmcnt(0)
	v_mul_f64 v[4:5], v[2:3], v[18:19]
	v_mul_f64 v[6:7], v[0:1], v[18:19]
	v_fma_f64 v[4:5], v[0:1], v[16:17], -v[4:5]
	v_fmac_f64_e32 v[6:7], v[2:3], v[16:17]
	scratch_load_dwordx4 v[0:3], off, off offset:640
	s_waitcnt vmcnt(0)
	v_add_f64 v[0:1], v[0:1], -v[4:5]
	v_add_f64 v[2:3], v[2:3], -v[6:7]
	scratch_store_dwordx4 off, v[0:3], off offset:640
	ds_read2_b64 v[0:3], v12 offset0:82 offset1:83
	s_waitcnt lgkmcnt(0)
	v_mul_f64 v[4:5], v[2:3], v[18:19]
	v_mul_f64 v[6:7], v[0:1], v[18:19]
	v_fma_f64 v[4:5], v[0:1], v[16:17], -v[4:5]
	v_fmac_f64_e32 v[6:7], v[2:3], v[16:17]
	scratch_load_dwordx4 v[0:3], off, off offset:656
	s_waitcnt vmcnt(0)
	v_add_f64 v[0:1], v[0:1], -v[4:5]
	v_add_f64 v[2:3], v[2:3], -v[6:7]
	scratch_store_dwordx4 off, v[0:3], off offset:656
	ds_read2_b64 v[4:7], v12 offset0:84 offset1:85
	scratch_load_dwordx2 v[16:17], off, off offset:560
	scratch_load_dwordx4 v[0:3], off, off offset:560
	s_waitcnt vmcnt(0) lgkmcnt(0)
	v_mul_f64 v[18:19], v[6:7], v[2:3]
	v_mul_f64 v[20:21], v[4:5], v[2:3]
	v_fma_f64 v[18:19], v[4:5], v[16:17], -v[18:19]
	v_fmac_f64_e32 v[20:21], v[6:7], v[16:17]
	scratch_load_dwordx4 v[4:7], off, off offset:672
	s_waitcnt vmcnt(0)
	v_add_f64 v[4:5], v[4:5], -v[18:19]
	v_add_f64 v[6:7], v[6:7], -v[20:21]
	scratch_store_dwordx4 off, v[4:7], off offset:672
	ds_read2_b64 v[4:7], v12 offset0:86 offset1:87
	s_waitcnt lgkmcnt(0)
	v_mul_f64 v[18:19], v[6:7], v[2:3]
	v_mul_f64 v[20:21], v[4:5], v[2:3]
	v_fma_f64 v[18:19], v[4:5], v[16:17], -v[18:19]
	v_fmac_f64_e32 v[20:21], v[6:7], v[16:17]
	scratch_load_dwordx4 v[4:7], off, off offset:688
	s_waitcnt vmcnt(0)
	v_add_f64 v[4:5], v[4:5], -v[18:19]
	v_add_f64 v[6:7], v[6:7], -v[20:21]
	scratch_store_dwordx4 off, v[4:7], off offset:688
	ds_read2_b64 v[4:7], v12 offset0:88 offset1:89
	s_waitcnt lgkmcnt(0)
	;; [unrolled: 11-line block ×5, first 2 shown]
	v_mul_f64 v[18:19], v[6:7], v[2:3]
	v_fma_f64 v[18:19], v[4:5], v[16:17], -v[18:19]
	v_mul_f64 v[20:21], v[4:5], v[2:3]
	scratch_load_dwordx4 v[2:5], off, off offset:752
	v_fmac_f64_e32 v[20:21], v[6:7], v[16:17]
	s_waitcnt vmcnt(0)
	v_add_f64 v[2:3], v[2:3], -v[18:19]
	v_add_f64 v[4:5], v[4:5], -v[20:21]
	scratch_store_dwordx4 off, v[2:5], off offset:752
	ds_read2_b64 v[2:5], v12 offset0:96 offset1:97
	scratch_load_dwordx2 v[6:7], off, off offset:560
	scratch_load_dwordx2 v[16:17], off, off offset:568
	s_waitcnt vmcnt(0) lgkmcnt(0)
	v_mul_f64 v[18:19], v[4:5], v[16:17]
	v_mul_f64 v[20:21], v[2:3], v[16:17]
	v_fma_f64 v[18:19], v[2:3], v[6:7], -v[18:19]
	v_fmac_f64_e32 v[20:21], v[4:5], v[6:7]
	scratch_load_dwordx4 v[2:5], off, off offset:768
	s_waitcnt vmcnt(0)
	v_add_f64 v[2:3], v[2:3], -v[18:19]
	v_add_f64 v[4:5], v[4:5], -v[20:21]
	scratch_store_dwordx4 off, v[2:5], off offset:768
	ds_read2_b64 v[2:5], v12 offset0:98 offset1:99
	s_waitcnt lgkmcnt(0)
	v_mul_f64 v[18:19], v[4:5], v[16:17]
	v_mul_f64 v[20:21], v[2:3], v[16:17]
	v_fma_f64 v[18:19], v[2:3], v[6:7], -v[18:19]
	v_fmac_f64_e32 v[20:21], v[4:5], v[6:7]
	scratch_load_dwordx4 v[2:5], off, off offset:784
	s_waitcnt vmcnt(0)
	v_add_f64 v[2:3], v[2:3], -v[18:19]
	v_add_f64 v[4:5], v[4:5], -v[20:21]
	scratch_store_dwordx4 off, v[2:5], off offset:784
	ds_read2_b64 v[2:5], v12 offset0:100 offset1:101
	s_waitcnt lgkmcnt(0)
	;; [unrolled: 11-line block ×5, first 2 shown]
	v_mul_f64 v[18:19], v[4:5], v[16:17]
	v_mul_f64 v[16:17], v[2:3], v[16:17]
	v_fma_f64 v[18:19], v[2:3], v[6:7], -v[18:19]
	v_fmac_f64_e32 v[16:17], v[4:5], v[6:7]
	scratch_load_dwordx4 v[2:5], off, off offset:848
	s_waitcnt vmcnt(0)
	v_add_f64 v[2:3], v[2:3], -v[18:19]
	v_add_f64 v[4:5], v[4:5], -v[16:17]
	scratch_store_dwordx4 off, v[2:5], off offset:848
	ds_read2_b64 v[2:5], v12 offset0:108 offset1:109
	scratch_load_dwordx2 v[6:7], off, off offset:560
	scratch_load_dwordx2 v[16:17], off, off offset:568
	s_waitcnt vmcnt(0) lgkmcnt(0)
	v_mul_f64 v[18:19], v[4:5], v[16:17]
	v_mul_f64 v[20:21], v[2:3], v[16:17]
	v_fma_f64 v[18:19], v[2:3], v[6:7], -v[18:19]
	v_fmac_f64_e32 v[20:21], v[4:5], v[6:7]
	scratch_load_dwordx4 v[2:5], off, off offset:864
	s_waitcnt vmcnt(0)
	v_add_f64 v[2:3], v[2:3], -v[18:19]
	v_add_f64 v[4:5], v[4:5], -v[20:21]
	scratch_store_dwordx4 off, v[2:5], off offset:864
	ds_read2_b64 v[2:5], v12 offset0:110 offset1:111
	s_waitcnt lgkmcnt(0)
	v_mul_f64 v[18:19], v[4:5], v[16:17]
	v_mul_f64 v[20:21], v[2:3], v[16:17]
	v_fma_f64 v[18:19], v[2:3], v[6:7], -v[18:19]
	v_fmac_f64_e32 v[20:21], v[4:5], v[6:7]
	scratch_load_dwordx4 v[2:5], off, off offset:880
	s_waitcnt vmcnt(0)
	v_add_f64 v[2:3], v[2:3], -v[18:19]
	v_add_f64 v[4:5], v[4:5], -v[20:21]
	scratch_store_dwordx4 off, v[2:5], off offset:880
	ds_read2_b64 v[2:5], v12 offset0:112 offset1:113
	s_waitcnt lgkmcnt(0)
	;; [unrolled: 11-line block ×5, first 2 shown]
	v_mul_f64 v[18:19], v[4:5], v[16:17]
	v_mul_f64 v[16:17], v[2:3], v[16:17]
	v_fma_f64 v[18:19], v[2:3], v[6:7], -v[18:19]
	v_fmac_f64_e32 v[16:17], v[4:5], v[6:7]
	scratch_load_dwordx4 v[2:5], off, off offset:944
	s_waitcnt vmcnt(0)
	v_add_f64 v[4:5], v[4:5], -v[16:17]
	scratch_load_dwordx2 v[16:17], off, off offset:568
	v_add_f64 v[2:3], v[2:3], -v[18:19]
	scratch_store_dwordx4 off, v[2:5], off offset:944
	ds_read2_b64 v[2:5], v12 offset0:120 offset1:121
	s_waitcnt vmcnt(1) lgkmcnt(0)
	v_mul_f64 v[6:7], v[4:5], v[16:17]
	v_mul_f64 v[18:19], v[2:3], v[16:17]
	v_fma_f64 v[6:7], v[2:3], v[0:1], -v[6:7]
	v_fmac_f64_e32 v[18:19], v[4:5], v[0:1]
	scratch_load_dwordx4 v[2:5], off, off offset:960
	s_waitcnt vmcnt(0)
	v_add_f64 v[2:3], v[2:3], -v[6:7]
	v_add_f64 v[4:5], v[4:5], -v[18:19]
	scratch_store_dwordx4 off, v[2:5], off offset:960
	ds_read2_b64 v[4:7], v12 offset0:122 offset1:123
	s_waitcnt lgkmcnt(0)
	v_mul_f64 v[2:3], v[6:7], v[16:17]
	v_fma_f64 v[2:3], v[4:5], v[0:1], -v[2:3]
	v_mul_f64 v[4:5], v[4:5], v[16:17]
	scratch_load_dwordx4 v[16:19], off, off offset:976
	v_fmac_f64_e32 v[4:5], v[6:7], v[0:1]
	s_waitcnt vmcnt(0)
	v_add_f64 v[0:1], v[16:17], -v[2:3]
	v_add_f64 v[2:3], v[18:19], -v[4:5]
	scratch_store_dwordx4 off, v[0:3], off offset:976
.LBB122_862:
	s_or_b64 exec, exec, s[0:1]
	s_barrier
	scratch_load_dwordx4 v[0:3], off, s45
	v_lshl_add_u32 v4, v15, 4, v12
	s_cmp_lt_i32 s66, 38
	s_waitcnt vmcnt(0)
	ds_write2_b64 v4, v[0:1], v[2:3] offset1:1
	s_waitcnt lgkmcnt(0)
	s_barrier
	ds_read2_b64 v[0:3], v12 offset0:72 offset1:73
	v_mov_b32_e32 v4, 36
	s_cbranch_scc1 .LBB122_865
; %bb.863:
	v_add_u32_e32 v5, 0x250, v12
	s_mov_b32 s4, 37
	v_mov_b32_e32 v4, 36
.LBB122_864:                            ; =>This Inner Loop Header: Depth=1
	ds_read2_b64 v[16:19], v5 offset1:1
	s_waitcnt lgkmcnt(1)
	v_xor_b32_e32 v7, 0x80000000, v1
	v_xor_b32_e32 v21, 0x80000000, v3
	v_cmp_gt_f64_e32 vcc, 0, v[2:3]
	v_cmp_gt_f64_e64 s[0:1], 0, v[0:1]
	v_mov_b32_e32 v6, v0
	v_mov_b32_e32 v20, v2
	v_cndmask_b32_e64 v7, v1, v7, s[0:1]
	v_cndmask_b32_e32 v21, v3, v21, vcc
	v_add_f64 v[6:7], v[6:7], v[20:21]
	s_waitcnt lgkmcnt(0)
	v_xor_b32_e32 v21, 0x80000000, v17
	v_xor_b32_e32 v23, 0x80000000, v19
	v_cmp_gt_f64_e32 vcc, 0, v[18:19]
	v_cmp_gt_f64_e64 s[0:1], 0, v[16:17]
	v_mov_b32_e32 v20, v16
	v_mov_b32_e32 v22, v18
	v_cndmask_b32_e64 v21, v17, v21, s[0:1]
	v_cndmask_b32_e32 v23, v19, v23, vcc
	v_add_f64 v[20:21], v[20:21], v[22:23]
	v_mov_b32_e32 v24, s4
	s_add_i32 s4, s4, 1
	v_cmp_lt_f64_e32 vcc, v[6:7], v[20:21]
	v_add_u32_e32 v5, 16, v5
	s_cmp_lg_u32 s66, s4
	v_cndmask_b32_e32 v1, v1, v17, vcc
	v_cndmask_b32_e32 v0, v0, v16, vcc
	;; [unrolled: 1-line block ×5, first 2 shown]
	s_cbranch_scc1 .LBB122_864
.LBB122_865:
	s_waitcnt lgkmcnt(0)
	v_cmp_eq_f64_e32 vcc, 0, v[0:1]
	v_cmp_eq_f64_e64 s[0:1], 0, v[2:3]
	s_and_b64 s[0:1], vcc, s[0:1]
	s_and_saveexec_b64 s[4:5], s[0:1]
	s_xor_b64 s[0:1], exec, s[4:5]
; %bb.866:
	v_cmp_ne_u32_e32 vcc, 0, v13
	s_nop 1
	v_cndmask_b32_e32 v13, 37, v13, vcc
; %bb.867:
	s_andn2_saveexec_b64 s[0:1], s[0:1]
	s_cbranch_execz .LBB122_873
; %bb.868:
	v_cmp_ngt_f64_e64 s[4:5], |v[0:1]|, |v[2:3]|
	s_and_saveexec_b64 s[12:13], s[4:5]
	s_xor_b64 s[12:13], exec, s[12:13]
	s_cbranch_execz .LBB122_870
; %bb.869:
	v_div_scale_f64 v[6:7], s[4:5], v[2:3], v[2:3], v[0:1]
	v_rcp_f64_e32 v[16:17], v[6:7]
	v_div_scale_f64 v[18:19], vcc, v[0:1], v[2:3], v[0:1]
	v_fma_f64 v[20:21], -v[6:7], v[16:17], 1.0
	v_fmac_f64_e32 v[16:17], v[16:17], v[20:21]
	v_fma_f64 v[20:21], -v[6:7], v[16:17], 1.0
	v_fmac_f64_e32 v[16:17], v[16:17], v[20:21]
	v_mul_f64 v[20:21], v[18:19], v[16:17]
	v_fma_f64 v[6:7], -v[6:7], v[20:21], v[18:19]
	v_div_fmas_f64 v[6:7], v[6:7], v[16:17], v[20:21]
	v_div_fixup_f64 v[6:7], v[6:7], v[2:3], v[0:1]
	v_fmac_f64_e32 v[2:3], v[0:1], v[6:7]
	v_div_scale_f64 v[0:1], s[4:5], v[2:3], v[2:3], 1.0
	v_rcp_f64_e32 v[16:17], v[0:1]
	s_nop 0
	v_fma_f64 v[18:19], -v[0:1], v[16:17], 1.0
	v_fmac_f64_e32 v[16:17], v[16:17], v[18:19]
	v_fma_f64 v[18:19], -v[0:1], v[16:17], 1.0
	v_fmac_f64_e32 v[16:17], v[16:17], v[18:19]
	v_div_scale_f64 v[18:19], vcc, 1.0, v[2:3], 1.0
	v_mul_f64 v[20:21], v[18:19], v[16:17]
	v_fma_f64 v[0:1], -v[0:1], v[20:21], v[18:19]
	s_nop 1
	v_div_fmas_f64 v[0:1], v[0:1], v[16:17], v[20:21]
	v_div_fixup_f64 v[2:3], v[0:1], v[2:3], 1.0
	v_mul_f64 v[0:1], v[6:7], v[2:3]
	v_xor_b32_e32 v3, 0x80000000, v3
.LBB122_870:
	s_andn2_saveexec_b64 s[12:13], s[12:13]
	s_cbranch_execz .LBB122_872
; %bb.871:
	v_div_scale_f64 v[6:7], s[4:5], v[0:1], v[0:1], v[2:3]
	v_rcp_f64_e32 v[16:17], v[6:7]
	v_div_scale_f64 v[18:19], vcc, v[2:3], v[0:1], v[2:3]
	v_fma_f64 v[20:21], -v[6:7], v[16:17], 1.0
	v_fmac_f64_e32 v[16:17], v[16:17], v[20:21]
	v_fma_f64 v[20:21], -v[6:7], v[16:17], 1.0
	v_fmac_f64_e32 v[16:17], v[16:17], v[20:21]
	v_mul_f64 v[20:21], v[18:19], v[16:17]
	v_fma_f64 v[6:7], -v[6:7], v[20:21], v[18:19]
	v_div_fmas_f64 v[6:7], v[6:7], v[16:17], v[20:21]
	v_div_fixup_f64 v[6:7], v[6:7], v[0:1], v[2:3]
	v_fmac_f64_e32 v[0:1], v[2:3], v[6:7]
	v_div_scale_f64 v[2:3], s[4:5], v[0:1], v[0:1], 1.0
	v_rcp_f64_e32 v[16:17], v[2:3]
	s_nop 0
	v_fma_f64 v[18:19], -v[2:3], v[16:17], 1.0
	v_fmac_f64_e32 v[16:17], v[16:17], v[18:19]
	v_fma_f64 v[18:19], -v[2:3], v[16:17], 1.0
	v_fmac_f64_e32 v[16:17], v[16:17], v[18:19]
	v_div_scale_f64 v[18:19], vcc, 1.0, v[0:1], 1.0
	v_mul_f64 v[20:21], v[18:19], v[16:17]
	v_fma_f64 v[2:3], -v[2:3], v[20:21], v[18:19]
	s_nop 1
	v_div_fmas_f64 v[2:3], v[2:3], v[16:17], v[20:21]
	v_div_fixup_f64 v[0:1], v[2:3], v[0:1], 1.0
	v_mul_f64 v[2:3], v[6:7], -v[0:1]
.LBB122_872:
	s_or_b64 exec, exec, s[12:13]
.LBB122_873:
	s_or_b64 exec, exec, s[0:1]
	v_cmp_ne_u32_e32 vcc, v15, v4
	s_and_saveexec_b64 s[0:1], vcc
	s_xor_b64 s[0:1], exec, s[0:1]
	s_cbranch_execz .LBB122_879
; %bb.874:
	v_cmp_eq_u32_e32 vcc, 36, v15
	s_and_saveexec_b64 s[12:13], vcc
	s_cbranch_execz .LBB122_878
; %bb.875:
	v_cmp_ne_u32_e32 vcc, 36, v4
	s_xor_b64 s[4:5], s[18:19], -1
	s_and_b64 s[4:5], s[4:5], vcc
	s_and_saveexec_b64 s[14:15], s[4:5]
	s_cbranch_execz .LBB122_877
; %bb.876:
	v_ashrrev_i32_e32 v5, 31, v4
	v_lshl_add_u64 v[6:7], v[4:5], 2, v[10:11]
	global_load_dword v5, v[6:7], off
	global_load_dword v14, v[10:11], off offset:144
	s_waitcnt vmcnt(1)
	global_store_dword v[10:11], v5, off offset:144
	s_waitcnt vmcnt(1)
	global_store_dword v[6:7], v14, off
.LBB122_877:
	s_or_b64 exec, exec, s[14:15]
	v_mov_b32_e32 v15, v4
	v_mov_b32_e32 v14, v4
.LBB122_878:
	s_or_b64 exec, exec, s[12:13]
.LBB122_879:
	s_andn2_saveexec_b64 s[0:1], s[0:1]
	s_cbranch_execz .LBB122_881
; %bb.880:
	scratch_load_dwordx4 v[4:7], off, s44
	scratch_load_dwordx4 v[16:19], off, s43
	;; [unrolled: 1-line block ×25, first 2 shown]
	v_mov_b32_e32 v15, 36
	s_waitcnt vmcnt(24)
	ds_write2_b64 v12, v[4:5], v[6:7] offset0:74 offset1:75
	s_waitcnt vmcnt(23)
	ds_write2_b64 v12, v[16:17], v[18:19] offset0:76 offset1:77
	s_waitcnt vmcnt(22)
	ds_write2_b64 v12, v[20:21], v[22:23] offset0:78 offset1:79
	s_waitcnt vmcnt(21)
	ds_write2_b64 v12, v[24:25], v[26:27] offset0:80 offset1:81
	s_waitcnt vmcnt(20)
	ds_write2_b64 v12, v[28:29], v[30:31] offset0:82 offset1:83
	s_waitcnt vmcnt(19)
	ds_write2_b64 v12, v[32:33], v[34:35] offset0:84 offset1:85
	s_waitcnt vmcnt(18)
	ds_write2_b64 v12, v[36:37], v[38:39] offset0:86 offset1:87
	s_waitcnt vmcnt(17)
	ds_write2_b64 v12, v[40:41], v[42:43] offset0:88 offset1:89
	s_waitcnt vmcnt(16)
	ds_write2_b64 v12, v[44:45], v[46:47] offset0:90 offset1:91
	s_waitcnt vmcnt(15)
	ds_write2_b64 v12, v[48:49], v[50:51] offset0:92 offset1:93
	s_waitcnt vmcnt(14)
	ds_write2_b64 v12, v[52:53], v[54:55] offset0:94 offset1:95
	s_waitcnt vmcnt(13)
	ds_write2_b64 v12, v[56:57], v[58:59] offset0:96 offset1:97
	s_waitcnt vmcnt(12)
	ds_write2_b64 v12, v[60:61], v[62:63] offset0:98 offset1:99
	s_waitcnt vmcnt(11)
	ds_write2_b64 v12, v[64:65], v[66:67] offset0:100 offset1:101
	s_waitcnt vmcnt(10)
	ds_write2_b64 v12, v[68:69], v[70:71] offset0:102 offset1:103
	s_waitcnt vmcnt(9)
	ds_write2_b64 v12, v[72:73], v[74:75] offset0:104 offset1:105
	s_waitcnt vmcnt(8)
	ds_write2_b64 v12, v[76:77], v[78:79] offset0:106 offset1:107
	s_waitcnt vmcnt(7)
	ds_write2_b64 v12, v[80:81], v[82:83] offset0:108 offset1:109
	s_waitcnt vmcnt(6)
	ds_write2_b64 v12, v[84:85], v[86:87] offset0:110 offset1:111
	s_waitcnt vmcnt(5)
	ds_write2_b64 v12, v[88:89], v[90:91] offset0:112 offset1:113
	s_waitcnt vmcnt(4)
	ds_write2_b64 v12, v[92:93], v[94:95] offset0:114 offset1:115
	s_waitcnt vmcnt(3)
	ds_write2_b64 v12, v[96:97], v[98:99] offset0:116 offset1:117
	s_waitcnt vmcnt(2)
	ds_write2_b64 v12, v[100:101], v[102:103] offset0:118 offset1:119
	s_waitcnt vmcnt(1)
	ds_write2_b64 v12, v[104:105], v[106:107] offset0:120 offset1:121
	s_waitcnt vmcnt(0)
	ds_write2_b64 v12, v[108:109], v[110:111] offset0:122 offset1:123
.LBB122_881:
	s_or_b64 exec, exec, s[0:1]
	v_cmp_lt_i32_e32 vcc, 36, v15
	s_waitcnt lgkmcnt(0)
	s_barrier
	s_and_saveexec_b64 s[0:1], vcc
	s_cbranch_execz .LBB122_883
; %bb.882:
	scratch_load_dwordx4 v[4:7], off, off offset:576
	s_waitcnt vmcnt(0)
	v_mul_f64 v[16:17], v[2:3], v[6:7]
	v_mul_f64 v[18:19], v[0:1], v[6:7]
	v_fma_f64 v[16:17], v[0:1], v[4:5], -v[16:17]
	v_fmac_f64_e32 v[18:19], v[2:3], v[4:5]
	ds_read2_b64 v[0:3], v12 offset0:74 offset1:75
	scratch_store_dwordx4 off, v[16:19], off offset:576
	s_waitcnt lgkmcnt(0)
	v_mul_f64 v[4:5], v[2:3], v[18:19]
	v_mul_f64 v[6:7], v[0:1], v[18:19]
	v_fma_f64 v[4:5], v[0:1], v[16:17], -v[4:5]
	v_fmac_f64_e32 v[6:7], v[2:3], v[16:17]
	scratch_load_dwordx4 v[0:3], off, off offset:592
	s_waitcnt vmcnt(0)
	v_add_f64 v[0:1], v[0:1], -v[4:5]
	v_add_f64 v[2:3], v[2:3], -v[6:7]
	scratch_store_dwordx4 off, v[0:3], off offset:592
	ds_read2_b64 v[0:3], v12 offset0:76 offset1:77
	s_waitcnt lgkmcnt(0)
	v_mul_f64 v[4:5], v[2:3], v[18:19]
	v_mul_f64 v[6:7], v[0:1], v[18:19]
	v_fma_f64 v[4:5], v[0:1], v[16:17], -v[4:5]
	v_fmac_f64_e32 v[6:7], v[2:3], v[16:17]
	scratch_load_dwordx4 v[0:3], off, off offset:608
	s_waitcnt vmcnt(0)
	v_add_f64 v[0:1], v[0:1], -v[4:5]
	v_add_f64 v[2:3], v[2:3], -v[6:7]
	scratch_store_dwordx4 off, v[0:3], off offset:608
	ds_read2_b64 v[0:3], v12 offset0:78 offset1:79
	;; [unrolled: 11-line block ×6, first 2 shown]
	scratch_load_dwordx2 v[16:17], off, off offset:576
	scratch_load_dwordx4 v[0:3], off, off offset:576
	s_waitcnt vmcnt(0) lgkmcnt(0)
	v_mul_f64 v[18:19], v[6:7], v[2:3]
	v_mul_f64 v[20:21], v[4:5], v[2:3]
	v_fma_f64 v[18:19], v[4:5], v[16:17], -v[18:19]
	v_fmac_f64_e32 v[20:21], v[6:7], v[16:17]
	scratch_load_dwordx4 v[4:7], off, off offset:688
	s_waitcnt vmcnt(0)
	v_add_f64 v[4:5], v[4:5], -v[18:19]
	v_add_f64 v[6:7], v[6:7], -v[20:21]
	scratch_store_dwordx4 off, v[4:7], off offset:688
	ds_read2_b64 v[4:7], v12 offset0:88 offset1:89
	s_waitcnt lgkmcnt(0)
	v_mul_f64 v[18:19], v[6:7], v[2:3]
	v_mul_f64 v[20:21], v[4:5], v[2:3]
	v_fma_f64 v[18:19], v[4:5], v[16:17], -v[18:19]
	v_fmac_f64_e32 v[20:21], v[6:7], v[16:17]
	scratch_load_dwordx4 v[4:7], off, off offset:704
	s_waitcnt vmcnt(0)
	v_add_f64 v[4:5], v[4:5], -v[18:19]
	v_add_f64 v[6:7], v[6:7], -v[20:21]
	scratch_store_dwordx4 off, v[4:7], off offset:704
	ds_read2_b64 v[4:7], v12 offset0:90 offset1:91
	s_waitcnt lgkmcnt(0)
	;; [unrolled: 11-line block ×5, first 2 shown]
	v_mul_f64 v[18:19], v[6:7], v[2:3]
	v_fma_f64 v[18:19], v[4:5], v[16:17], -v[18:19]
	v_mul_f64 v[20:21], v[4:5], v[2:3]
	scratch_load_dwordx4 v[2:5], off, off offset:768
	v_fmac_f64_e32 v[20:21], v[6:7], v[16:17]
	s_waitcnt vmcnt(0)
	v_add_f64 v[2:3], v[2:3], -v[18:19]
	v_add_f64 v[4:5], v[4:5], -v[20:21]
	scratch_store_dwordx4 off, v[2:5], off offset:768
	ds_read2_b64 v[2:5], v12 offset0:98 offset1:99
	scratch_load_dwordx2 v[6:7], off, off offset:576
	scratch_load_dwordx2 v[16:17], off, off offset:584
	s_waitcnt vmcnt(0) lgkmcnt(0)
	v_mul_f64 v[18:19], v[4:5], v[16:17]
	v_mul_f64 v[20:21], v[2:3], v[16:17]
	v_fma_f64 v[18:19], v[2:3], v[6:7], -v[18:19]
	v_fmac_f64_e32 v[20:21], v[4:5], v[6:7]
	scratch_load_dwordx4 v[2:5], off, off offset:784
	s_waitcnt vmcnt(0)
	v_add_f64 v[2:3], v[2:3], -v[18:19]
	v_add_f64 v[4:5], v[4:5], -v[20:21]
	scratch_store_dwordx4 off, v[2:5], off offset:784
	ds_read2_b64 v[2:5], v12 offset0:100 offset1:101
	s_waitcnt lgkmcnt(0)
	v_mul_f64 v[18:19], v[4:5], v[16:17]
	v_mul_f64 v[20:21], v[2:3], v[16:17]
	v_fma_f64 v[18:19], v[2:3], v[6:7], -v[18:19]
	v_fmac_f64_e32 v[20:21], v[4:5], v[6:7]
	scratch_load_dwordx4 v[2:5], off, off offset:800
	s_waitcnt vmcnt(0)
	v_add_f64 v[2:3], v[2:3], -v[18:19]
	v_add_f64 v[4:5], v[4:5], -v[20:21]
	scratch_store_dwordx4 off, v[2:5], off offset:800
	ds_read2_b64 v[2:5], v12 offset0:102 offset1:103
	s_waitcnt lgkmcnt(0)
	;; [unrolled: 11-line block ×5, first 2 shown]
	v_mul_f64 v[18:19], v[4:5], v[16:17]
	v_mul_f64 v[16:17], v[2:3], v[16:17]
	v_fma_f64 v[18:19], v[2:3], v[6:7], -v[18:19]
	v_fmac_f64_e32 v[16:17], v[4:5], v[6:7]
	scratch_load_dwordx4 v[2:5], off, off offset:864
	s_waitcnt vmcnt(0)
	v_add_f64 v[2:3], v[2:3], -v[18:19]
	v_add_f64 v[4:5], v[4:5], -v[16:17]
	scratch_store_dwordx4 off, v[2:5], off offset:864
	ds_read2_b64 v[2:5], v12 offset0:110 offset1:111
	scratch_load_dwordx2 v[6:7], off, off offset:576
	scratch_load_dwordx2 v[16:17], off, off offset:584
	s_waitcnt vmcnt(0) lgkmcnt(0)
	v_mul_f64 v[18:19], v[4:5], v[16:17]
	v_mul_f64 v[20:21], v[2:3], v[16:17]
	v_fma_f64 v[18:19], v[2:3], v[6:7], -v[18:19]
	v_fmac_f64_e32 v[20:21], v[4:5], v[6:7]
	scratch_load_dwordx4 v[2:5], off, off offset:880
	s_waitcnt vmcnt(0)
	v_add_f64 v[2:3], v[2:3], -v[18:19]
	v_add_f64 v[4:5], v[4:5], -v[20:21]
	scratch_store_dwordx4 off, v[2:5], off offset:880
	ds_read2_b64 v[2:5], v12 offset0:112 offset1:113
	s_waitcnt lgkmcnt(0)
	v_mul_f64 v[18:19], v[4:5], v[16:17]
	v_mul_f64 v[20:21], v[2:3], v[16:17]
	v_fma_f64 v[18:19], v[2:3], v[6:7], -v[18:19]
	v_fmac_f64_e32 v[20:21], v[4:5], v[6:7]
	scratch_load_dwordx4 v[2:5], off, off offset:896
	s_waitcnt vmcnt(0)
	v_add_f64 v[2:3], v[2:3], -v[18:19]
	v_add_f64 v[4:5], v[4:5], -v[20:21]
	scratch_store_dwordx4 off, v[2:5], off offset:896
	ds_read2_b64 v[2:5], v12 offset0:114 offset1:115
	s_waitcnt lgkmcnt(0)
	;; [unrolled: 11-line block ×5, first 2 shown]
	v_mul_f64 v[18:19], v[4:5], v[16:17]
	v_mul_f64 v[16:17], v[2:3], v[16:17]
	v_fma_f64 v[18:19], v[2:3], v[6:7], -v[18:19]
	v_fmac_f64_e32 v[16:17], v[4:5], v[6:7]
	scratch_load_dwordx4 v[2:5], off, off offset:960
	s_waitcnt vmcnt(0)
	v_add_f64 v[4:5], v[4:5], -v[16:17]
	scratch_load_dwordx2 v[16:17], off, off offset:584
	v_add_f64 v[2:3], v[2:3], -v[18:19]
	scratch_store_dwordx4 off, v[2:5], off offset:960
	ds_read2_b64 v[2:5], v12 offset0:122 offset1:123
	s_waitcnt vmcnt(1) lgkmcnt(0)
	v_mul_f64 v[6:7], v[4:5], v[16:17]
	v_fma_f64 v[6:7], v[2:3], v[0:1], -v[6:7]
	v_mul_f64 v[2:3], v[2:3], v[16:17]
	scratch_load_dwordx4 v[16:19], off, off offset:976
	v_fmac_f64_e32 v[2:3], v[4:5], v[0:1]
	s_waitcnt vmcnt(0)
	v_add_f64 v[0:1], v[16:17], -v[6:7]
	v_add_f64 v[2:3], v[18:19], -v[2:3]
	scratch_store_dwordx4 off, v[0:3], off offset:976
.LBB122_883:
	s_or_b64 exec, exec, s[0:1]
	s_barrier
	scratch_load_dwordx4 v[0:3], off, s44
	v_lshl_add_u32 v4, v15, 4, v12
	s_cmp_lt_i32 s66, 39
	s_waitcnt vmcnt(0)
	ds_write2_b64 v4, v[0:1], v[2:3] offset1:1
	s_waitcnt lgkmcnt(0)
	s_barrier
	ds_read2_b64 v[0:3], v12 offset0:74 offset1:75
	v_mov_b32_e32 v4, 37
	s_cbranch_scc1 .LBB122_886
; %bb.884:
	v_add_u32_e32 v5, 0x260, v12
	s_mov_b32 s4, 38
	v_mov_b32_e32 v4, 37
.LBB122_885:                            ; =>This Inner Loop Header: Depth=1
	ds_read2_b64 v[16:19], v5 offset1:1
	s_waitcnt lgkmcnt(1)
	v_xor_b32_e32 v7, 0x80000000, v1
	v_xor_b32_e32 v21, 0x80000000, v3
	v_cmp_gt_f64_e32 vcc, 0, v[2:3]
	v_cmp_gt_f64_e64 s[0:1], 0, v[0:1]
	v_mov_b32_e32 v6, v0
	v_mov_b32_e32 v20, v2
	v_cndmask_b32_e64 v7, v1, v7, s[0:1]
	v_cndmask_b32_e32 v21, v3, v21, vcc
	v_add_f64 v[6:7], v[6:7], v[20:21]
	s_waitcnt lgkmcnt(0)
	v_xor_b32_e32 v21, 0x80000000, v17
	v_xor_b32_e32 v23, 0x80000000, v19
	v_cmp_gt_f64_e32 vcc, 0, v[18:19]
	v_cmp_gt_f64_e64 s[0:1], 0, v[16:17]
	v_mov_b32_e32 v20, v16
	v_mov_b32_e32 v22, v18
	v_cndmask_b32_e64 v21, v17, v21, s[0:1]
	v_cndmask_b32_e32 v23, v19, v23, vcc
	v_add_f64 v[20:21], v[20:21], v[22:23]
	v_mov_b32_e32 v24, s4
	s_add_i32 s4, s4, 1
	v_cmp_lt_f64_e32 vcc, v[6:7], v[20:21]
	v_add_u32_e32 v5, 16, v5
	s_cmp_lg_u32 s66, s4
	v_cndmask_b32_e32 v1, v1, v17, vcc
	v_cndmask_b32_e32 v0, v0, v16, vcc
	;; [unrolled: 1-line block ×5, first 2 shown]
	s_cbranch_scc1 .LBB122_885
.LBB122_886:
	s_waitcnt lgkmcnt(0)
	v_cmp_eq_f64_e32 vcc, 0, v[0:1]
	v_cmp_eq_f64_e64 s[0:1], 0, v[2:3]
	s_and_b64 s[0:1], vcc, s[0:1]
	s_and_saveexec_b64 s[4:5], s[0:1]
	s_xor_b64 s[0:1], exec, s[4:5]
; %bb.887:
	v_cmp_ne_u32_e32 vcc, 0, v13
	s_nop 1
	v_cndmask_b32_e32 v13, 38, v13, vcc
; %bb.888:
	s_andn2_saveexec_b64 s[0:1], s[0:1]
	s_cbranch_execz .LBB122_894
; %bb.889:
	v_cmp_ngt_f64_e64 s[4:5], |v[0:1]|, |v[2:3]|
	s_and_saveexec_b64 s[12:13], s[4:5]
	s_xor_b64 s[12:13], exec, s[12:13]
	s_cbranch_execz .LBB122_891
; %bb.890:
	v_div_scale_f64 v[6:7], s[4:5], v[2:3], v[2:3], v[0:1]
	v_rcp_f64_e32 v[16:17], v[6:7]
	v_div_scale_f64 v[18:19], vcc, v[0:1], v[2:3], v[0:1]
	v_fma_f64 v[20:21], -v[6:7], v[16:17], 1.0
	v_fmac_f64_e32 v[16:17], v[16:17], v[20:21]
	v_fma_f64 v[20:21], -v[6:7], v[16:17], 1.0
	v_fmac_f64_e32 v[16:17], v[16:17], v[20:21]
	v_mul_f64 v[20:21], v[18:19], v[16:17]
	v_fma_f64 v[6:7], -v[6:7], v[20:21], v[18:19]
	v_div_fmas_f64 v[6:7], v[6:7], v[16:17], v[20:21]
	v_div_fixup_f64 v[6:7], v[6:7], v[2:3], v[0:1]
	v_fmac_f64_e32 v[2:3], v[0:1], v[6:7]
	v_div_scale_f64 v[0:1], s[4:5], v[2:3], v[2:3], 1.0
	v_rcp_f64_e32 v[16:17], v[0:1]
	s_nop 0
	v_fma_f64 v[18:19], -v[0:1], v[16:17], 1.0
	v_fmac_f64_e32 v[16:17], v[16:17], v[18:19]
	v_fma_f64 v[18:19], -v[0:1], v[16:17], 1.0
	v_fmac_f64_e32 v[16:17], v[16:17], v[18:19]
	v_div_scale_f64 v[18:19], vcc, 1.0, v[2:3], 1.0
	v_mul_f64 v[20:21], v[18:19], v[16:17]
	v_fma_f64 v[0:1], -v[0:1], v[20:21], v[18:19]
	s_nop 1
	v_div_fmas_f64 v[0:1], v[0:1], v[16:17], v[20:21]
	v_div_fixup_f64 v[2:3], v[0:1], v[2:3], 1.0
	v_mul_f64 v[0:1], v[6:7], v[2:3]
	v_xor_b32_e32 v3, 0x80000000, v3
.LBB122_891:
	s_andn2_saveexec_b64 s[12:13], s[12:13]
	s_cbranch_execz .LBB122_893
; %bb.892:
	v_div_scale_f64 v[6:7], s[4:5], v[0:1], v[0:1], v[2:3]
	v_rcp_f64_e32 v[16:17], v[6:7]
	v_div_scale_f64 v[18:19], vcc, v[2:3], v[0:1], v[2:3]
	v_fma_f64 v[20:21], -v[6:7], v[16:17], 1.0
	v_fmac_f64_e32 v[16:17], v[16:17], v[20:21]
	v_fma_f64 v[20:21], -v[6:7], v[16:17], 1.0
	v_fmac_f64_e32 v[16:17], v[16:17], v[20:21]
	v_mul_f64 v[20:21], v[18:19], v[16:17]
	v_fma_f64 v[6:7], -v[6:7], v[20:21], v[18:19]
	v_div_fmas_f64 v[6:7], v[6:7], v[16:17], v[20:21]
	v_div_fixup_f64 v[6:7], v[6:7], v[0:1], v[2:3]
	v_fmac_f64_e32 v[0:1], v[2:3], v[6:7]
	v_div_scale_f64 v[2:3], s[4:5], v[0:1], v[0:1], 1.0
	v_rcp_f64_e32 v[16:17], v[2:3]
	s_nop 0
	v_fma_f64 v[18:19], -v[2:3], v[16:17], 1.0
	v_fmac_f64_e32 v[16:17], v[16:17], v[18:19]
	v_fma_f64 v[18:19], -v[2:3], v[16:17], 1.0
	v_fmac_f64_e32 v[16:17], v[16:17], v[18:19]
	v_div_scale_f64 v[18:19], vcc, 1.0, v[0:1], 1.0
	v_mul_f64 v[20:21], v[18:19], v[16:17]
	v_fma_f64 v[2:3], -v[2:3], v[20:21], v[18:19]
	s_nop 1
	v_div_fmas_f64 v[2:3], v[2:3], v[16:17], v[20:21]
	v_div_fixup_f64 v[0:1], v[2:3], v[0:1], 1.0
	v_mul_f64 v[2:3], v[6:7], -v[0:1]
.LBB122_893:
	s_or_b64 exec, exec, s[12:13]
.LBB122_894:
	s_or_b64 exec, exec, s[0:1]
	v_cmp_ne_u32_e32 vcc, v15, v4
	s_and_saveexec_b64 s[0:1], vcc
	s_xor_b64 s[0:1], exec, s[0:1]
	s_cbranch_execz .LBB122_900
; %bb.895:
	v_cmp_eq_u32_e32 vcc, 37, v15
	s_and_saveexec_b64 s[12:13], vcc
	s_cbranch_execz .LBB122_899
; %bb.896:
	v_cmp_ne_u32_e32 vcc, 37, v4
	s_xor_b64 s[4:5], s[18:19], -1
	s_and_b64 s[4:5], s[4:5], vcc
	s_and_saveexec_b64 s[14:15], s[4:5]
	s_cbranch_execz .LBB122_898
; %bb.897:
	v_ashrrev_i32_e32 v5, 31, v4
	v_lshl_add_u64 v[6:7], v[4:5], 2, v[10:11]
	global_load_dword v5, v[6:7], off
	global_load_dword v14, v[10:11], off offset:148
	s_waitcnt vmcnt(1)
	global_store_dword v[10:11], v5, off offset:148
	s_waitcnt vmcnt(1)
	global_store_dword v[6:7], v14, off
.LBB122_898:
	s_or_b64 exec, exec, s[14:15]
	v_mov_b32_e32 v15, v4
	v_mov_b32_e32 v14, v4
.LBB122_899:
	s_or_b64 exec, exec, s[12:13]
.LBB122_900:
	s_andn2_saveexec_b64 s[0:1], s[0:1]
	s_cbranch_execz .LBB122_902
; %bb.901:
	scratch_load_dwordx4 v[4:7], off, s43
	scratch_load_dwordx4 v[16:19], off, s42
	;; [unrolled: 1-line block ×24, first 2 shown]
	v_mov_b32_e32 v15, 37
	s_waitcnt vmcnt(23)
	ds_write2_b64 v12, v[4:5], v[6:7] offset0:76 offset1:77
	s_waitcnt vmcnt(22)
	ds_write2_b64 v12, v[16:17], v[18:19] offset0:78 offset1:79
	;; [unrolled: 2-line block ×24, first 2 shown]
.LBB122_902:
	s_or_b64 exec, exec, s[0:1]
	v_cmp_lt_i32_e32 vcc, 37, v15
	s_waitcnt lgkmcnt(0)
	s_barrier
	s_and_saveexec_b64 s[0:1], vcc
	s_cbranch_execz .LBB122_904
; %bb.903:
	scratch_load_dwordx4 v[4:7], off, off offset:592
	s_waitcnt vmcnt(0)
	v_mul_f64 v[16:17], v[2:3], v[6:7]
	v_mul_f64 v[18:19], v[0:1], v[6:7]
	v_fma_f64 v[16:17], v[0:1], v[4:5], -v[16:17]
	v_fmac_f64_e32 v[18:19], v[2:3], v[4:5]
	ds_read2_b64 v[0:3], v12 offset0:76 offset1:77
	scratch_store_dwordx4 off, v[16:19], off offset:592
	s_waitcnt lgkmcnt(0)
	v_mul_f64 v[4:5], v[2:3], v[18:19]
	v_mul_f64 v[6:7], v[0:1], v[18:19]
	v_fma_f64 v[4:5], v[0:1], v[16:17], -v[4:5]
	v_fmac_f64_e32 v[6:7], v[2:3], v[16:17]
	scratch_load_dwordx4 v[0:3], off, off offset:608
	s_waitcnt vmcnt(0)
	v_add_f64 v[0:1], v[0:1], -v[4:5]
	v_add_f64 v[2:3], v[2:3], -v[6:7]
	scratch_store_dwordx4 off, v[0:3], off offset:608
	ds_read2_b64 v[0:3], v12 offset0:78 offset1:79
	s_waitcnt lgkmcnt(0)
	v_mul_f64 v[4:5], v[2:3], v[18:19]
	v_mul_f64 v[6:7], v[0:1], v[18:19]
	v_fma_f64 v[4:5], v[0:1], v[16:17], -v[4:5]
	v_fmac_f64_e32 v[6:7], v[2:3], v[16:17]
	scratch_load_dwordx4 v[0:3], off, off offset:624
	s_waitcnt vmcnt(0)
	v_add_f64 v[0:1], v[0:1], -v[4:5]
	v_add_f64 v[2:3], v[2:3], -v[6:7]
	scratch_store_dwordx4 off, v[0:3], off offset:624
	ds_read2_b64 v[0:3], v12 offset0:80 offset1:81
	;; [unrolled: 11-line block ×6, first 2 shown]
	scratch_load_dwordx2 v[16:17], off, off offset:592
	scratch_load_dwordx4 v[0:3], off, off offset:592
	s_waitcnt vmcnt(0) lgkmcnt(0)
	v_mul_f64 v[18:19], v[6:7], v[2:3]
	v_mul_f64 v[20:21], v[4:5], v[2:3]
	v_fma_f64 v[18:19], v[4:5], v[16:17], -v[18:19]
	v_fmac_f64_e32 v[20:21], v[6:7], v[16:17]
	scratch_load_dwordx4 v[4:7], off, off offset:704
	s_waitcnt vmcnt(0)
	v_add_f64 v[4:5], v[4:5], -v[18:19]
	v_add_f64 v[6:7], v[6:7], -v[20:21]
	scratch_store_dwordx4 off, v[4:7], off offset:704
	ds_read2_b64 v[4:7], v12 offset0:90 offset1:91
	s_waitcnt lgkmcnt(0)
	v_mul_f64 v[18:19], v[6:7], v[2:3]
	v_mul_f64 v[20:21], v[4:5], v[2:3]
	v_fma_f64 v[18:19], v[4:5], v[16:17], -v[18:19]
	v_fmac_f64_e32 v[20:21], v[6:7], v[16:17]
	scratch_load_dwordx4 v[4:7], off, off offset:720
	s_waitcnt vmcnt(0)
	v_add_f64 v[4:5], v[4:5], -v[18:19]
	v_add_f64 v[6:7], v[6:7], -v[20:21]
	scratch_store_dwordx4 off, v[4:7], off offset:720
	ds_read2_b64 v[4:7], v12 offset0:92 offset1:93
	s_waitcnt lgkmcnt(0)
	;; [unrolled: 11-line block ×5, first 2 shown]
	v_mul_f64 v[18:19], v[6:7], v[2:3]
	v_fma_f64 v[18:19], v[4:5], v[16:17], -v[18:19]
	v_mul_f64 v[20:21], v[4:5], v[2:3]
	scratch_load_dwordx4 v[2:5], off, off offset:784
	v_fmac_f64_e32 v[20:21], v[6:7], v[16:17]
	s_waitcnt vmcnt(0)
	v_add_f64 v[2:3], v[2:3], -v[18:19]
	v_add_f64 v[4:5], v[4:5], -v[20:21]
	scratch_store_dwordx4 off, v[2:5], off offset:784
	ds_read2_b64 v[16:19], v12 offset0:100 offset1:101
	scratch_load_dwordx2 v[2:3], off, off offset:592
	scratch_load_dwordx2 v[4:5], off, off offset:600
	s_waitcnt vmcnt(0) lgkmcnt(0)
	v_mul_f64 v[6:7], v[18:19], v[4:5]
	v_mul_f64 v[20:21], v[16:17], v[4:5]
	v_fma_f64 v[6:7], v[16:17], v[2:3], -v[6:7]
	v_fmac_f64_e32 v[20:21], v[18:19], v[2:3]
	scratch_load_dwordx4 v[16:19], off, off offset:800
	s_waitcnt vmcnt(0)
	v_add_f64 v[16:17], v[16:17], -v[6:7]
	v_add_f64 v[18:19], v[18:19], -v[20:21]
	scratch_store_dwordx4 off, v[16:19], off offset:800
	ds_read2_b64 v[16:19], v12 offset0:102 offset1:103
	s_waitcnt lgkmcnt(0)
	v_mul_f64 v[6:7], v[18:19], v[4:5]
	v_mul_f64 v[20:21], v[16:17], v[4:5]
	v_fma_f64 v[6:7], v[16:17], v[2:3], -v[6:7]
	v_fmac_f64_e32 v[20:21], v[18:19], v[2:3]
	scratch_load_dwordx4 v[16:19], off, off offset:816
	s_waitcnt vmcnt(0)
	v_add_f64 v[16:17], v[16:17], -v[6:7]
	v_add_f64 v[18:19], v[18:19], -v[20:21]
	scratch_store_dwordx4 off, v[16:19], off offset:816
	ds_read2_b64 v[16:19], v12 offset0:104 offset1:105
	s_waitcnt lgkmcnt(0)
	v_mul_f64 v[6:7], v[18:19], v[4:5]
	v_mul_f64 v[20:21], v[16:17], v[4:5]
	v_fma_f64 v[6:7], v[16:17], v[2:3], -v[6:7]
	v_fmac_f64_e32 v[20:21], v[18:19], v[2:3]
	scratch_load_dwordx4 v[16:19], off, off offset:832
	s_waitcnt vmcnt(0)
	v_add_f64 v[16:17], v[16:17], -v[6:7]
	v_add_f64 v[18:19], v[18:19], -v[20:21]
	scratch_store_dwordx4 off, v[16:19], off offset:832
	ds_read2_b64 v[16:19], v12 offset0:106 offset1:107
	s_waitcnt lgkmcnt(0)
	v_mul_f64 v[6:7], v[18:19], v[4:5]
	v_mul_f64 v[20:21], v[16:17], v[4:5]
	v_fma_f64 v[6:7], v[16:17], v[2:3], -v[6:7]
	v_fmac_f64_e32 v[20:21], v[18:19], v[2:3]
	scratch_load_dwordx4 v[16:19], off, off offset:848
	s_waitcnt vmcnt(0)
	v_add_f64 v[16:17], v[16:17], -v[6:7]
	v_add_f64 v[18:19], v[18:19], -v[20:21]
	scratch_store_dwordx4 off, v[16:19], off offset:848
	ds_read2_b64 v[16:19], v12 offset0:108 offset1:109
	s_waitcnt lgkmcnt(0)
	v_mul_f64 v[6:7], v[18:19], v[4:5]
	v_mul_f64 v[20:21], v[16:17], v[4:5]
	v_fma_f64 v[6:7], v[16:17], v[2:3], -v[6:7]
	v_fmac_f64_e32 v[20:21], v[18:19], v[2:3]
	scratch_load_dwordx4 v[16:19], off, off offset:864
	s_waitcnt vmcnt(0)
	v_add_f64 v[16:17], v[16:17], -v[6:7]
	v_add_f64 v[18:19], v[18:19], -v[20:21]
	scratch_store_dwordx4 off, v[16:19], off offset:864
	ds_read2_b64 v[16:19], v12 offset0:110 offset1:111
	s_waitcnt lgkmcnt(0)
	v_mul_f64 v[6:7], v[18:19], v[4:5]
	v_fma_f64 v[6:7], v[16:17], v[2:3], -v[6:7]
	v_mul_f64 v[16:17], v[16:17], v[4:5]
	v_fmac_f64_e32 v[16:17], v[18:19], v[2:3]
	scratch_load_dwordx4 v[2:5], off, off offset:880
	s_waitcnt vmcnt(0)
	v_add_f64 v[2:3], v[2:3], -v[6:7]
	scratch_load_dwordx2 v[6:7], off, off offset:600
	v_add_f64 v[4:5], v[4:5], -v[16:17]
	scratch_store_dwordx4 off, v[2:5], off offset:880
	ds_read2_b64 v[2:5], v12 offset0:112 offset1:113
	s_waitcnt vmcnt(1) lgkmcnt(0)
	v_mul_f64 v[16:17], v[4:5], v[6:7]
	v_mul_f64 v[18:19], v[2:3], v[6:7]
	v_fma_f64 v[16:17], v[2:3], v[0:1], -v[16:17]
	v_fmac_f64_e32 v[18:19], v[4:5], v[0:1]
	scratch_load_dwordx4 v[2:5], off, off offset:896
	s_waitcnt vmcnt(0)
	v_add_f64 v[2:3], v[2:3], -v[16:17]
	v_add_f64 v[4:5], v[4:5], -v[18:19]
	scratch_store_dwordx4 off, v[2:5], off offset:896
	ds_read2_b64 v[2:5], v12 offset0:114 offset1:115
	s_waitcnt lgkmcnt(0)
	v_mul_f64 v[16:17], v[4:5], v[6:7]
	v_mul_f64 v[18:19], v[2:3], v[6:7]
	v_fma_f64 v[16:17], v[2:3], v[0:1], -v[16:17]
	v_fmac_f64_e32 v[18:19], v[4:5], v[0:1]
	scratch_load_dwordx4 v[2:5], off, off offset:912
	s_waitcnt vmcnt(0)
	v_add_f64 v[2:3], v[2:3], -v[16:17]
	v_add_f64 v[4:5], v[4:5], -v[18:19]
	scratch_store_dwordx4 off, v[2:5], off offset:912
	ds_read2_b64 v[2:5], v12 offset0:116 offset1:117
	s_waitcnt lgkmcnt(0)
	;; [unrolled: 11-line block ×5, first 2 shown]
	v_mul_f64 v[16:17], v[4:5], v[6:7]
	v_mul_f64 v[6:7], v[2:3], v[6:7]
	v_fma_f64 v[16:17], v[2:3], v[0:1], -v[16:17]
	v_fmac_f64_e32 v[6:7], v[4:5], v[0:1]
	scratch_load_dwordx4 v[0:3], off, off offset:976
	s_waitcnt vmcnt(0)
	v_add_f64 v[0:1], v[0:1], -v[16:17]
	v_add_f64 v[2:3], v[2:3], -v[6:7]
	scratch_store_dwordx4 off, v[0:3], off offset:976
.LBB122_904:
	s_or_b64 exec, exec, s[0:1]
	s_barrier
	scratch_load_dwordx4 v[0:3], off, s43
	v_lshl_add_u32 v4, v15, 4, v12
	s_cmp_lt_i32 s66, 40
	s_waitcnt vmcnt(0)
	ds_write2_b64 v4, v[0:1], v[2:3] offset1:1
	s_waitcnt lgkmcnt(0)
	s_barrier
	ds_read2_b64 v[0:3], v12 offset0:76 offset1:77
	v_mov_b32_e32 v4, 38
	s_cbranch_scc1 .LBB122_907
; %bb.905:
	v_add_u32_e32 v5, 0x270, v12
	s_mov_b32 s4, 39
	v_mov_b32_e32 v4, 38
.LBB122_906:                            ; =>This Inner Loop Header: Depth=1
	ds_read2_b64 v[16:19], v5 offset1:1
	s_waitcnt lgkmcnt(1)
	v_xor_b32_e32 v7, 0x80000000, v1
	v_xor_b32_e32 v21, 0x80000000, v3
	v_cmp_gt_f64_e32 vcc, 0, v[2:3]
	v_cmp_gt_f64_e64 s[0:1], 0, v[0:1]
	v_mov_b32_e32 v6, v0
	v_mov_b32_e32 v20, v2
	v_cndmask_b32_e64 v7, v1, v7, s[0:1]
	v_cndmask_b32_e32 v21, v3, v21, vcc
	v_add_f64 v[6:7], v[6:7], v[20:21]
	s_waitcnt lgkmcnt(0)
	v_xor_b32_e32 v21, 0x80000000, v17
	v_xor_b32_e32 v23, 0x80000000, v19
	v_cmp_gt_f64_e32 vcc, 0, v[18:19]
	v_cmp_gt_f64_e64 s[0:1], 0, v[16:17]
	v_mov_b32_e32 v20, v16
	v_mov_b32_e32 v22, v18
	v_cndmask_b32_e64 v21, v17, v21, s[0:1]
	v_cndmask_b32_e32 v23, v19, v23, vcc
	v_add_f64 v[20:21], v[20:21], v[22:23]
	v_mov_b32_e32 v24, s4
	s_add_i32 s4, s4, 1
	v_cmp_lt_f64_e32 vcc, v[6:7], v[20:21]
	v_add_u32_e32 v5, 16, v5
	s_cmp_lg_u32 s66, s4
	v_cndmask_b32_e32 v1, v1, v17, vcc
	v_cndmask_b32_e32 v0, v0, v16, vcc
	;; [unrolled: 1-line block ×5, first 2 shown]
	s_cbranch_scc1 .LBB122_906
.LBB122_907:
	s_waitcnt lgkmcnt(0)
	v_cmp_eq_f64_e32 vcc, 0, v[0:1]
	v_cmp_eq_f64_e64 s[0:1], 0, v[2:3]
	s_and_b64 s[0:1], vcc, s[0:1]
	s_and_saveexec_b64 s[4:5], s[0:1]
	s_xor_b64 s[0:1], exec, s[4:5]
; %bb.908:
	v_cmp_ne_u32_e32 vcc, 0, v13
	s_nop 1
	v_cndmask_b32_e32 v13, 39, v13, vcc
; %bb.909:
	s_andn2_saveexec_b64 s[0:1], s[0:1]
	s_cbranch_execz .LBB122_915
; %bb.910:
	v_cmp_ngt_f64_e64 s[4:5], |v[0:1]|, |v[2:3]|
	s_and_saveexec_b64 s[12:13], s[4:5]
	s_xor_b64 s[12:13], exec, s[12:13]
	s_cbranch_execz .LBB122_912
; %bb.911:
	v_div_scale_f64 v[6:7], s[4:5], v[2:3], v[2:3], v[0:1]
	v_rcp_f64_e32 v[16:17], v[6:7]
	v_div_scale_f64 v[18:19], vcc, v[0:1], v[2:3], v[0:1]
	v_fma_f64 v[20:21], -v[6:7], v[16:17], 1.0
	v_fmac_f64_e32 v[16:17], v[16:17], v[20:21]
	v_fma_f64 v[20:21], -v[6:7], v[16:17], 1.0
	v_fmac_f64_e32 v[16:17], v[16:17], v[20:21]
	v_mul_f64 v[20:21], v[18:19], v[16:17]
	v_fma_f64 v[6:7], -v[6:7], v[20:21], v[18:19]
	v_div_fmas_f64 v[6:7], v[6:7], v[16:17], v[20:21]
	v_div_fixup_f64 v[6:7], v[6:7], v[2:3], v[0:1]
	v_fmac_f64_e32 v[2:3], v[0:1], v[6:7]
	v_div_scale_f64 v[0:1], s[4:5], v[2:3], v[2:3], 1.0
	v_rcp_f64_e32 v[16:17], v[0:1]
	s_nop 0
	v_fma_f64 v[18:19], -v[0:1], v[16:17], 1.0
	v_fmac_f64_e32 v[16:17], v[16:17], v[18:19]
	v_fma_f64 v[18:19], -v[0:1], v[16:17], 1.0
	v_fmac_f64_e32 v[16:17], v[16:17], v[18:19]
	v_div_scale_f64 v[18:19], vcc, 1.0, v[2:3], 1.0
	v_mul_f64 v[20:21], v[18:19], v[16:17]
	v_fma_f64 v[0:1], -v[0:1], v[20:21], v[18:19]
	s_nop 1
	v_div_fmas_f64 v[0:1], v[0:1], v[16:17], v[20:21]
	v_div_fixup_f64 v[2:3], v[0:1], v[2:3], 1.0
	v_mul_f64 v[0:1], v[6:7], v[2:3]
	v_xor_b32_e32 v3, 0x80000000, v3
.LBB122_912:
	s_andn2_saveexec_b64 s[12:13], s[12:13]
	s_cbranch_execz .LBB122_914
; %bb.913:
	v_div_scale_f64 v[6:7], s[4:5], v[0:1], v[0:1], v[2:3]
	v_rcp_f64_e32 v[16:17], v[6:7]
	v_div_scale_f64 v[18:19], vcc, v[2:3], v[0:1], v[2:3]
	v_fma_f64 v[20:21], -v[6:7], v[16:17], 1.0
	v_fmac_f64_e32 v[16:17], v[16:17], v[20:21]
	v_fma_f64 v[20:21], -v[6:7], v[16:17], 1.0
	v_fmac_f64_e32 v[16:17], v[16:17], v[20:21]
	v_mul_f64 v[20:21], v[18:19], v[16:17]
	v_fma_f64 v[6:7], -v[6:7], v[20:21], v[18:19]
	v_div_fmas_f64 v[6:7], v[6:7], v[16:17], v[20:21]
	v_div_fixup_f64 v[6:7], v[6:7], v[0:1], v[2:3]
	v_fmac_f64_e32 v[0:1], v[2:3], v[6:7]
	v_div_scale_f64 v[2:3], s[4:5], v[0:1], v[0:1], 1.0
	v_rcp_f64_e32 v[16:17], v[2:3]
	s_nop 0
	v_fma_f64 v[18:19], -v[2:3], v[16:17], 1.0
	v_fmac_f64_e32 v[16:17], v[16:17], v[18:19]
	v_fma_f64 v[18:19], -v[2:3], v[16:17], 1.0
	v_fmac_f64_e32 v[16:17], v[16:17], v[18:19]
	v_div_scale_f64 v[18:19], vcc, 1.0, v[0:1], 1.0
	v_mul_f64 v[20:21], v[18:19], v[16:17]
	v_fma_f64 v[2:3], -v[2:3], v[20:21], v[18:19]
	s_nop 1
	v_div_fmas_f64 v[2:3], v[2:3], v[16:17], v[20:21]
	v_div_fixup_f64 v[0:1], v[2:3], v[0:1], 1.0
	v_mul_f64 v[2:3], v[6:7], -v[0:1]
.LBB122_914:
	s_or_b64 exec, exec, s[12:13]
.LBB122_915:
	s_or_b64 exec, exec, s[0:1]
	v_cmp_ne_u32_e32 vcc, v15, v4
	s_and_saveexec_b64 s[0:1], vcc
	s_xor_b64 s[0:1], exec, s[0:1]
	s_cbranch_execz .LBB122_921
; %bb.916:
	v_cmp_eq_u32_e32 vcc, 38, v15
	s_and_saveexec_b64 s[12:13], vcc
	s_cbranch_execz .LBB122_920
; %bb.917:
	v_cmp_ne_u32_e32 vcc, 38, v4
	s_xor_b64 s[4:5], s[18:19], -1
	s_and_b64 s[4:5], s[4:5], vcc
	s_and_saveexec_b64 s[14:15], s[4:5]
	s_cbranch_execz .LBB122_919
; %bb.918:
	v_ashrrev_i32_e32 v5, 31, v4
	v_lshl_add_u64 v[6:7], v[4:5], 2, v[10:11]
	global_load_dword v5, v[6:7], off
	global_load_dword v14, v[10:11], off offset:152
	s_waitcnt vmcnt(1)
	global_store_dword v[10:11], v5, off offset:152
	s_waitcnt vmcnt(1)
	global_store_dword v[6:7], v14, off
.LBB122_919:
	s_or_b64 exec, exec, s[14:15]
	v_mov_b32_e32 v15, v4
	v_mov_b32_e32 v14, v4
.LBB122_920:
	s_or_b64 exec, exec, s[12:13]
.LBB122_921:
	s_andn2_saveexec_b64 s[0:1], s[0:1]
	s_cbranch_execz .LBB122_923
; %bb.922:
	scratch_load_dwordx4 v[4:7], off, s42
	scratch_load_dwordx4 v[16:19], off, s41
	;; [unrolled: 1-line block ×23, first 2 shown]
	v_mov_b32_e32 v15, 38
	s_waitcnt vmcnt(22)
	ds_write2_b64 v12, v[4:5], v[6:7] offset0:78 offset1:79
	s_waitcnt vmcnt(21)
	ds_write2_b64 v12, v[16:17], v[18:19] offset0:80 offset1:81
	;; [unrolled: 2-line block ×23, first 2 shown]
.LBB122_923:
	s_or_b64 exec, exec, s[0:1]
	v_cmp_lt_i32_e32 vcc, 38, v15
	s_waitcnt lgkmcnt(0)
	s_barrier
	s_and_saveexec_b64 s[0:1], vcc
	s_cbranch_execz .LBB122_925
; %bb.924:
	scratch_load_dwordx4 v[4:7], off, off offset:608
	s_waitcnt vmcnt(0)
	v_mul_f64 v[16:17], v[2:3], v[6:7]
	v_mul_f64 v[18:19], v[0:1], v[6:7]
	v_fma_f64 v[16:17], v[0:1], v[4:5], -v[16:17]
	v_fmac_f64_e32 v[18:19], v[2:3], v[4:5]
	ds_read2_b64 v[0:3], v12 offset0:78 offset1:79
	scratch_store_dwordx4 off, v[16:19], off offset:608
	s_waitcnt lgkmcnt(0)
	v_mul_f64 v[4:5], v[2:3], v[18:19]
	v_mul_f64 v[6:7], v[0:1], v[18:19]
	v_fma_f64 v[4:5], v[0:1], v[16:17], -v[4:5]
	v_fmac_f64_e32 v[6:7], v[2:3], v[16:17]
	scratch_load_dwordx4 v[0:3], off, off offset:624
	s_waitcnt vmcnt(0)
	v_add_f64 v[0:1], v[0:1], -v[4:5]
	v_add_f64 v[2:3], v[2:3], -v[6:7]
	scratch_store_dwordx4 off, v[0:3], off offset:624
	ds_read2_b64 v[0:3], v12 offset0:80 offset1:81
	s_waitcnt lgkmcnt(0)
	v_mul_f64 v[4:5], v[2:3], v[18:19]
	v_mul_f64 v[6:7], v[0:1], v[18:19]
	v_fma_f64 v[4:5], v[0:1], v[16:17], -v[4:5]
	v_fmac_f64_e32 v[6:7], v[2:3], v[16:17]
	scratch_load_dwordx4 v[0:3], off, off offset:640
	s_waitcnt vmcnt(0)
	v_add_f64 v[0:1], v[0:1], -v[4:5]
	v_add_f64 v[2:3], v[2:3], -v[6:7]
	scratch_store_dwordx4 off, v[0:3], off offset:640
	ds_read2_b64 v[0:3], v12 offset0:82 offset1:83
	;; [unrolled: 11-line block ×6, first 2 shown]
	scratch_load_dwordx2 v[16:17], off, off offset:608
	scratch_load_dwordx4 v[0:3], off, off offset:608
	s_waitcnt vmcnt(0) lgkmcnt(0)
	v_mul_f64 v[18:19], v[6:7], v[2:3]
	v_mul_f64 v[20:21], v[4:5], v[2:3]
	v_fma_f64 v[18:19], v[4:5], v[16:17], -v[18:19]
	v_fmac_f64_e32 v[20:21], v[6:7], v[16:17]
	scratch_load_dwordx4 v[4:7], off, off offset:720
	s_waitcnt vmcnt(0)
	v_add_f64 v[4:5], v[4:5], -v[18:19]
	v_add_f64 v[6:7], v[6:7], -v[20:21]
	scratch_store_dwordx4 off, v[4:7], off offset:720
	ds_read2_b64 v[4:7], v12 offset0:92 offset1:93
	s_waitcnt lgkmcnt(0)
	v_mul_f64 v[18:19], v[6:7], v[2:3]
	v_mul_f64 v[20:21], v[4:5], v[2:3]
	v_fma_f64 v[18:19], v[4:5], v[16:17], -v[18:19]
	v_fmac_f64_e32 v[20:21], v[6:7], v[16:17]
	scratch_load_dwordx4 v[4:7], off, off offset:736
	s_waitcnt vmcnt(0)
	v_add_f64 v[4:5], v[4:5], -v[18:19]
	v_add_f64 v[6:7], v[6:7], -v[20:21]
	scratch_store_dwordx4 off, v[4:7], off offset:736
	ds_read2_b64 v[4:7], v12 offset0:94 offset1:95
	s_waitcnt lgkmcnt(0)
	;; [unrolled: 11-line block ×5, first 2 shown]
	v_mul_f64 v[18:19], v[6:7], v[2:3]
	v_fma_f64 v[18:19], v[4:5], v[16:17], -v[18:19]
	v_mul_f64 v[20:21], v[4:5], v[2:3]
	scratch_load_dwordx4 v[2:5], off, off offset:800
	v_fmac_f64_e32 v[20:21], v[6:7], v[16:17]
	s_waitcnt vmcnt(0)
	v_add_f64 v[2:3], v[2:3], -v[18:19]
	v_add_f64 v[4:5], v[4:5], -v[20:21]
	scratch_store_dwordx4 off, v[2:5], off offset:800
	ds_read2_b64 v[16:19], v12 offset0:102 offset1:103
	scratch_load_dwordx2 v[2:3], off, off offset:608
	scratch_load_dwordx2 v[4:5], off, off offset:616
	s_waitcnt vmcnt(0) lgkmcnt(0)
	v_mul_f64 v[6:7], v[18:19], v[4:5]
	v_mul_f64 v[20:21], v[16:17], v[4:5]
	v_fma_f64 v[6:7], v[16:17], v[2:3], -v[6:7]
	v_fmac_f64_e32 v[20:21], v[18:19], v[2:3]
	scratch_load_dwordx4 v[16:19], off, off offset:816
	s_waitcnt vmcnt(0)
	v_add_f64 v[16:17], v[16:17], -v[6:7]
	v_add_f64 v[18:19], v[18:19], -v[20:21]
	scratch_store_dwordx4 off, v[16:19], off offset:816
	ds_read2_b64 v[16:19], v12 offset0:104 offset1:105
	s_waitcnt lgkmcnt(0)
	v_mul_f64 v[6:7], v[18:19], v[4:5]
	v_mul_f64 v[20:21], v[16:17], v[4:5]
	v_fma_f64 v[6:7], v[16:17], v[2:3], -v[6:7]
	v_fmac_f64_e32 v[20:21], v[18:19], v[2:3]
	scratch_load_dwordx4 v[16:19], off, off offset:832
	s_waitcnt vmcnt(0)
	v_add_f64 v[16:17], v[16:17], -v[6:7]
	v_add_f64 v[18:19], v[18:19], -v[20:21]
	scratch_store_dwordx4 off, v[16:19], off offset:832
	ds_read2_b64 v[16:19], v12 offset0:106 offset1:107
	s_waitcnt lgkmcnt(0)
	;; [unrolled: 11-line block ×5, first 2 shown]
	v_mul_f64 v[6:7], v[18:19], v[4:5]
	v_fma_f64 v[6:7], v[16:17], v[2:3], -v[6:7]
	v_mul_f64 v[16:17], v[16:17], v[4:5]
	v_fmac_f64_e32 v[16:17], v[18:19], v[2:3]
	scratch_load_dwordx4 v[2:5], off, off offset:896
	s_waitcnt vmcnt(0)
	v_add_f64 v[2:3], v[2:3], -v[6:7]
	scratch_load_dwordx2 v[6:7], off, off offset:616
	v_add_f64 v[4:5], v[4:5], -v[16:17]
	scratch_store_dwordx4 off, v[2:5], off offset:896
	ds_read2_b64 v[2:5], v12 offset0:114 offset1:115
	s_waitcnt vmcnt(1) lgkmcnt(0)
	v_mul_f64 v[16:17], v[4:5], v[6:7]
	v_mul_f64 v[18:19], v[2:3], v[6:7]
	v_fma_f64 v[16:17], v[2:3], v[0:1], -v[16:17]
	v_fmac_f64_e32 v[18:19], v[4:5], v[0:1]
	scratch_load_dwordx4 v[2:5], off, off offset:912
	s_waitcnt vmcnt(0)
	v_add_f64 v[2:3], v[2:3], -v[16:17]
	v_add_f64 v[4:5], v[4:5], -v[18:19]
	scratch_store_dwordx4 off, v[2:5], off offset:912
	ds_read2_b64 v[2:5], v12 offset0:116 offset1:117
	s_waitcnt lgkmcnt(0)
	v_mul_f64 v[16:17], v[4:5], v[6:7]
	v_mul_f64 v[18:19], v[2:3], v[6:7]
	v_fma_f64 v[16:17], v[2:3], v[0:1], -v[16:17]
	v_fmac_f64_e32 v[18:19], v[4:5], v[0:1]
	scratch_load_dwordx4 v[2:5], off, off offset:928
	s_waitcnt vmcnt(0)
	v_add_f64 v[2:3], v[2:3], -v[16:17]
	v_add_f64 v[4:5], v[4:5], -v[18:19]
	scratch_store_dwordx4 off, v[2:5], off offset:928
	ds_read2_b64 v[2:5], v12 offset0:118 offset1:119
	s_waitcnt lgkmcnt(0)
	v_mul_f64 v[16:17], v[4:5], v[6:7]
	v_mul_f64 v[18:19], v[2:3], v[6:7]
	v_fma_f64 v[16:17], v[2:3], v[0:1], -v[16:17]
	v_fmac_f64_e32 v[18:19], v[4:5], v[0:1]
	scratch_load_dwordx4 v[2:5], off, off offset:944
	s_waitcnt vmcnt(0)
	v_add_f64 v[2:3], v[2:3], -v[16:17]
	v_add_f64 v[4:5], v[4:5], -v[18:19]
	scratch_store_dwordx4 off, v[2:5], off offset:944
	ds_read2_b64 v[2:5], v12 offset0:120 offset1:121
	s_waitcnt lgkmcnt(0)
	v_mul_f64 v[16:17], v[4:5], v[6:7]
	v_mul_f64 v[18:19], v[2:3], v[6:7]
	v_fma_f64 v[16:17], v[2:3], v[0:1], -v[16:17]
	v_fmac_f64_e32 v[18:19], v[4:5], v[0:1]
	scratch_load_dwordx4 v[2:5], off, off offset:960
	s_waitcnt vmcnt(0)
	v_add_f64 v[2:3], v[2:3], -v[16:17]
	v_add_f64 v[4:5], v[4:5], -v[18:19]
	scratch_store_dwordx4 off, v[2:5], off offset:960
	ds_read2_b64 v[2:5], v12 offset0:122 offset1:123
	s_waitcnt lgkmcnt(0)
	v_mul_f64 v[16:17], v[4:5], v[6:7]
	v_mul_f64 v[6:7], v[2:3], v[6:7]
	v_fma_f64 v[16:17], v[2:3], v[0:1], -v[16:17]
	v_fmac_f64_e32 v[6:7], v[4:5], v[0:1]
	scratch_load_dwordx4 v[0:3], off, off offset:976
	s_waitcnt vmcnt(0)
	v_add_f64 v[0:1], v[0:1], -v[16:17]
	v_add_f64 v[2:3], v[2:3], -v[6:7]
	scratch_store_dwordx4 off, v[0:3], off offset:976
.LBB122_925:
	s_or_b64 exec, exec, s[0:1]
	s_barrier
	scratch_load_dwordx4 v[0:3], off, s42
	v_lshl_add_u32 v4, v15, 4, v12
	s_cmp_lt_i32 s66, 41
	s_waitcnt vmcnt(0)
	ds_write2_b64 v4, v[0:1], v[2:3] offset1:1
	s_waitcnt lgkmcnt(0)
	s_barrier
	ds_read2_b64 v[0:3], v12 offset0:78 offset1:79
	v_mov_b32_e32 v4, 39
	s_cbranch_scc1 .LBB122_928
; %bb.926:
	v_add_u32_e32 v5, 0x280, v12
	s_mov_b32 s4, 40
	v_mov_b32_e32 v4, 39
.LBB122_927:                            ; =>This Inner Loop Header: Depth=1
	ds_read2_b64 v[16:19], v5 offset1:1
	s_waitcnt lgkmcnt(1)
	v_xor_b32_e32 v7, 0x80000000, v1
	v_xor_b32_e32 v21, 0x80000000, v3
	v_cmp_gt_f64_e32 vcc, 0, v[2:3]
	v_cmp_gt_f64_e64 s[0:1], 0, v[0:1]
	v_mov_b32_e32 v6, v0
	v_mov_b32_e32 v20, v2
	v_cndmask_b32_e64 v7, v1, v7, s[0:1]
	v_cndmask_b32_e32 v21, v3, v21, vcc
	v_add_f64 v[6:7], v[6:7], v[20:21]
	s_waitcnt lgkmcnt(0)
	v_xor_b32_e32 v21, 0x80000000, v17
	v_xor_b32_e32 v23, 0x80000000, v19
	v_cmp_gt_f64_e32 vcc, 0, v[18:19]
	v_cmp_gt_f64_e64 s[0:1], 0, v[16:17]
	v_mov_b32_e32 v20, v16
	v_mov_b32_e32 v22, v18
	v_cndmask_b32_e64 v21, v17, v21, s[0:1]
	v_cndmask_b32_e32 v23, v19, v23, vcc
	v_add_f64 v[20:21], v[20:21], v[22:23]
	v_mov_b32_e32 v24, s4
	s_add_i32 s4, s4, 1
	v_cmp_lt_f64_e32 vcc, v[6:7], v[20:21]
	v_add_u32_e32 v5, 16, v5
	s_cmp_lg_u32 s66, s4
	v_cndmask_b32_e32 v1, v1, v17, vcc
	v_cndmask_b32_e32 v0, v0, v16, vcc
	;; [unrolled: 1-line block ×5, first 2 shown]
	s_cbranch_scc1 .LBB122_927
.LBB122_928:
	s_waitcnt lgkmcnt(0)
	v_cmp_eq_f64_e32 vcc, 0, v[0:1]
	v_cmp_eq_f64_e64 s[0:1], 0, v[2:3]
	s_and_b64 s[0:1], vcc, s[0:1]
	s_and_saveexec_b64 s[4:5], s[0:1]
	s_xor_b64 s[0:1], exec, s[4:5]
; %bb.929:
	v_cmp_ne_u32_e32 vcc, 0, v13
	s_nop 1
	v_cndmask_b32_e32 v13, 40, v13, vcc
; %bb.930:
	s_andn2_saveexec_b64 s[0:1], s[0:1]
	s_cbranch_execz .LBB122_936
; %bb.931:
	v_cmp_ngt_f64_e64 s[4:5], |v[0:1]|, |v[2:3]|
	s_and_saveexec_b64 s[12:13], s[4:5]
	s_xor_b64 s[12:13], exec, s[12:13]
	s_cbranch_execz .LBB122_933
; %bb.932:
	v_div_scale_f64 v[6:7], s[4:5], v[2:3], v[2:3], v[0:1]
	v_rcp_f64_e32 v[16:17], v[6:7]
	v_div_scale_f64 v[18:19], vcc, v[0:1], v[2:3], v[0:1]
	v_fma_f64 v[20:21], -v[6:7], v[16:17], 1.0
	v_fmac_f64_e32 v[16:17], v[16:17], v[20:21]
	v_fma_f64 v[20:21], -v[6:7], v[16:17], 1.0
	v_fmac_f64_e32 v[16:17], v[16:17], v[20:21]
	v_mul_f64 v[20:21], v[18:19], v[16:17]
	v_fma_f64 v[6:7], -v[6:7], v[20:21], v[18:19]
	v_div_fmas_f64 v[6:7], v[6:7], v[16:17], v[20:21]
	v_div_fixup_f64 v[6:7], v[6:7], v[2:3], v[0:1]
	v_fmac_f64_e32 v[2:3], v[0:1], v[6:7]
	v_div_scale_f64 v[0:1], s[4:5], v[2:3], v[2:3], 1.0
	v_rcp_f64_e32 v[16:17], v[0:1]
	s_nop 0
	v_fma_f64 v[18:19], -v[0:1], v[16:17], 1.0
	v_fmac_f64_e32 v[16:17], v[16:17], v[18:19]
	v_fma_f64 v[18:19], -v[0:1], v[16:17], 1.0
	v_fmac_f64_e32 v[16:17], v[16:17], v[18:19]
	v_div_scale_f64 v[18:19], vcc, 1.0, v[2:3], 1.0
	v_mul_f64 v[20:21], v[18:19], v[16:17]
	v_fma_f64 v[0:1], -v[0:1], v[20:21], v[18:19]
	s_nop 1
	v_div_fmas_f64 v[0:1], v[0:1], v[16:17], v[20:21]
	v_div_fixup_f64 v[2:3], v[0:1], v[2:3], 1.0
	v_mul_f64 v[0:1], v[6:7], v[2:3]
	v_xor_b32_e32 v3, 0x80000000, v3
.LBB122_933:
	s_andn2_saveexec_b64 s[12:13], s[12:13]
	s_cbranch_execz .LBB122_935
; %bb.934:
	v_div_scale_f64 v[6:7], s[4:5], v[0:1], v[0:1], v[2:3]
	v_rcp_f64_e32 v[16:17], v[6:7]
	v_div_scale_f64 v[18:19], vcc, v[2:3], v[0:1], v[2:3]
	v_fma_f64 v[20:21], -v[6:7], v[16:17], 1.0
	v_fmac_f64_e32 v[16:17], v[16:17], v[20:21]
	v_fma_f64 v[20:21], -v[6:7], v[16:17], 1.0
	v_fmac_f64_e32 v[16:17], v[16:17], v[20:21]
	v_mul_f64 v[20:21], v[18:19], v[16:17]
	v_fma_f64 v[6:7], -v[6:7], v[20:21], v[18:19]
	v_div_fmas_f64 v[6:7], v[6:7], v[16:17], v[20:21]
	v_div_fixup_f64 v[6:7], v[6:7], v[0:1], v[2:3]
	v_fmac_f64_e32 v[0:1], v[2:3], v[6:7]
	v_div_scale_f64 v[2:3], s[4:5], v[0:1], v[0:1], 1.0
	v_rcp_f64_e32 v[16:17], v[2:3]
	s_nop 0
	v_fma_f64 v[18:19], -v[2:3], v[16:17], 1.0
	v_fmac_f64_e32 v[16:17], v[16:17], v[18:19]
	v_fma_f64 v[18:19], -v[2:3], v[16:17], 1.0
	v_fmac_f64_e32 v[16:17], v[16:17], v[18:19]
	v_div_scale_f64 v[18:19], vcc, 1.0, v[0:1], 1.0
	v_mul_f64 v[20:21], v[18:19], v[16:17]
	v_fma_f64 v[2:3], -v[2:3], v[20:21], v[18:19]
	s_nop 1
	v_div_fmas_f64 v[2:3], v[2:3], v[16:17], v[20:21]
	v_div_fixup_f64 v[0:1], v[2:3], v[0:1], 1.0
	v_mul_f64 v[2:3], v[6:7], -v[0:1]
.LBB122_935:
	s_or_b64 exec, exec, s[12:13]
.LBB122_936:
	s_or_b64 exec, exec, s[0:1]
	v_cmp_ne_u32_e32 vcc, v15, v4
	s_and_saveexec_b64 s[0:1], vcc
	s_xor_b64 s[0:1], exec, s[0:1]
	s_cbranch_execz .LBB122_942
; %bb.937:
	v_cmp_eq_u32_e32 vcc, 39, v15
	s_and_saveexec_b64 s[12:13], vcc
	s_cbranch_execz .LBB122_941
; %bb.938:
	v_cmp_ne_u32_e32 vcc, 39, v4
	s_xor_b64 s[4:5], s[18:19], -1
	s_and_b64 s[4:5], s[4:5], vcc
	s_and_saveexec_b64 s[14:15], s[4:5]
	s_cbranch_execz .LBB122_940
; %bb.939:
	v_ashrrev_i32_e32 v5, 31, v4
	v_lshl_add_u64 v[6:7], v[4:5], 2, v[10:11]
	global_load_dword v5, v[6:7], off
	global_load_dword v14, v[10:11], off offset:156
	s_waitcnt vmcnt(1)
	global_store_dword v[10:11], v5, off offset:156
	s_waitcnt vmcnt(1)
	global_store_dword v[6:7], v14, off
.LBB122_940:
	s_or_b64 exec, exec, s[14:15]
	v_mov_b32_e32 v15, v4
	v_mov_b32_e32 v14, v4
.LBB122_941:
	s_or_b64 exec, exec, s[12:13]
.LBB122_942:
	s_andn2_saveexec_b64 s[0:1], s[0:1]
	s_cbranch_execz .LBB122_944
; %bb.943:
	scratch_load_dwordx4 v[4:7], off, s41
	scratch_load_dwordx4 v[16:19], off, s40
	;; [unrolled: 1-line block ×22, first 2 shown]
	v_mov_b32_e32 v15, 39
	s_waitcnt vmcnt(21)
	ds_write2_b64 v12, v[4:5], v[6:7] offset0:80 offset1:81
	s_waitcnt vmcnt(20)
	ds_write2_b64 v12, v[16:17], v[18:19] offset0:82 offset1:83
	;; [unrolled: 2-line block ×22, first 2 shown]
.LBB122_944:
	s_or_b64 exec, exec, s[0:1]
	v_cmp_lt_i32_e32 vcc, 39, v15
	s_waitcnt lgkmcnt(0)
	s_barrier
	s_and_saveexec_b64 s[0:1], vcc
	s_cbranch_execz .LBB122_946
; %bb.945:
	scratch_load_dwordx4 v[4:7], off, off offset:624
	s_waitcnt vmcnt(0)
	v_mul_f64 v[16:17], v[2:3], v[6:7]
	v_mul_f64 v[18:19], v[0:1], v[6:7]
	v_fma_f64 v[16:17], v[0:1], v[4:5], -v[16:17]
	v_fmac_f64_e32 v[18:19], v[2:3], v[4:5]
	ds_read2_b64 v[0:3], v12 offset0:80 offset1:81
	scratch_store_dwordx4 off, v[16:19], off offset:624
	s_waitcnt lgkmcnt(0)
	v_mul_f64 v[4:5], v[2:3], v[18:19]
	v_mul_f64 v[6:7], v[0:1], v[18:19]
	v_fma_f64 v[4:5], v[0:1], v[16:17], -v[4:5]
	v_fmac_f64_e32 v[6:7], v[2:3], v[16:17]
	scratch_load_dwordx4 v[0:3], off, off offset:640
	s_waitcnt vmcnt(0)
	v_add_f64 v[0:1], v[0:1], -v[4:5]
	v_add_f64 v[2:3], v[2:3], -v[6:7]
	scratch_store_dwordx4 off, v[0:3], off offset:640
	ds_read2_b64 v[0:3], v12 offset0:82 offset1:83
	s_waitcnt lgkmcnt(0)
	v_mul_f64 v[4:5], v[2:3], v[18:19]
	v_mul_f64 v[6:7], v[0:1], v[18:19]
	v_fma_f64 v[4:5], v[0:1], v[16:17], -v[4:5]
	v_fmac_f64_e32 v[6:7], v[2:3], v[16:17]
	scratch_load_dwordx4 v[0:3], off, off offset:656
	s_waitcnt vmcnt(0)
	v_add_f64 v[0:1], v[0:1], -v[4:5]
	v_add_f64 v[2:3], v[2:3], -v[6:7]
	scratch_store_dwordx4 off, v[0:3], off offset:656
	ds_read2_b64 v[0:3], v12 offset0:84 offset1:85
	;; [unrolled: 11-line block ×6, first 2 shown]
	scratch_load_dwordx2 v[16:17], off, off offset:624
	scratch_load_dwordx4 v[0:3], off, off offset:624
	s_waitcnt vmcnt(0) lgkmcnt(0)
	v_mul_f64 v[18:19], v[6:7], v[2:3]
	v_mul_f64 v[20:21], v[4:5], v[2:3]
	v_fma_f64 v[18:19], v[4:5], v[16:17], -v[18:19]
	v_fmac_f64_e32 v[20:21], v[6:7], v[16:17]
	scratch_load_dwordx4 v[4:7], off, off offset:736
	s_waitcnt vmcnt(0)
	v_add_f64 v[4:5], v[4:5], -v[18:19]
	v_add_f64 v[6:7], v[6:7], -v[20:21]
	scratch_store_dwordx4 off, v[4:7], off offset:736
	ds_read2_b64 v[4:7], v12 offset0:94 offset1:95
	s_waitcnt lgkmcnt(0)
	v_mul_f64 v[18:19], v[6:7], v[2:3]
	v_mul_f64 v[20:21], v[4:5], v[2:3]
	v_fma_f64 v[18:19], v[4:5], v[16:17], -v[18:19]
	v_fmac_f64_e32 v[20:21], v[6:7], v[16:17]
	scratch_load_dwordx4 v[4:7], off, off offset:752
	s_waitcnt vmcnt(0)
	v_add_f64 v[4:5], v[4:5], -v[18:19]
	v_add_f64 v[6:7], v[6:7], -v[20:21]
	scratch_store_dwordx4 off, v[4:7], off offset:752
	ds_read2_b64 v[4:7], v12 offset0:96 offset1:97
	s_waitcnt lgkmcnt(0)
	;; [unrolled: 11-line block ×5, first 2 shown]
	v_mul_f64 v[18:19], v[6:7], v[2:3]
	v_fma_f64 v[18:19], v[4:5], v[16:17], -v[18:19]
	v_mul_f64 v[20:21], v[4:5], v[2:3]
	scratch_load_dwordx4 v[2:5], off, off offset:816
	v_fmac_f64_e32 v[20:21], v[6:7], v[16:17]
	s_waitcnt vmcnt(0)
	v_add_f64 v[2:3], v[2:3], -v[18:19]
	v_add_f64 v[4:5], v[4:5], -v[20:21]
	scratch_store_dwordx4 off, v[2:5], off offset:816
	ds_read2_b64 v[16:19], v12 offset0:104 offset1:105
	scratch_load_dwordx2 v[2:3], off, off offset:624
	scratch_load_dwordx2 v[4:5], off, off offset:632
	s_waitcnt vmcnt(0) lgkmcnt(0)
	v_mul_f64 v[6:7], v[18:19], v[4:5]
	v_mul_f64 v[20:21], v[16:17], v[4:5]
	v_fma_f64 v[6:7], v[16:17], v[2:3], -v[6:7]
	v_fmac_f64_e32 v[20:21], v[18:19], v[2:3]
	scratch_load_dwordx4 v[16:19], off, off offset:832
	s_waitcnt vmcnt(0)
	v_add_f64 v[16:17], v[16:17], -v[6:7]
	v_add_f64 v[18:19], v[18:19], -v[20:21]
	scratch_store_dwordx4 off, v[16:19], off offset:832
	ds_read2_b64 v[16:19], v12 offset0:106 offset1:107
	s_waitcnt lgkmcnt(0)
	v_mul_f64 v[6:7], v[18:19], v[4:5]
	v_mul_f64 v[20:21], v[16:17], v[4:5]
	v_fma_f64 v[6:7], v[16:17], v[2:3], -v[6:7]
	v_fmac_f64_e32 v[20:21], v[18:19], v[2:3]
	scratch_load_dwordx4 v[16:19], off, off offset:848
	s_waitcnt vmcnt(0)
	v_add_f64 v[16:17], v[16:17], -v[6:7]
	v_add_f64 v[18:19], v[18:19], -v[20:21]
	scratch_store_dwordx4 off, v[16:19], off offset:848
	ds_read2_b64 v[16:19], v12 offset0:108 offset1:109
	s_waitcnt lgkmcnt(0)
	;; [unrolled: 11-line block ×5, first 2 shown]
	v_mul_f64 v[6:7], v[18:19], v[4:5]
	v_fma_f64 v[6:7], v[16:17], v[2:3], -v[6:7]
	v_mul_f64 v[16:17], v[16:17], v[4:5]
	v_fmac_f64_e32 v[16:17], v[18:19], v[2:3]
	scratch_load_dwordx4 v[2:5], off, off offset:912
	s_waitcnt vmcnt(0)
	v_add_f64 v[2:3], v[2:3], -v[6:7]
	scratch_load_dwordx2 v[6:7], off, off offset:632
	v_add_f64 v[4:5], v[4:5], -v[16:17]
	scratch_store_dwordx4 off, v[2:5], off offset:912
	ds_read2_b64 v[2:5], v12 offset0:116 offset1:117
	s_waitcnt vmcnt(1) lgkmcnt(0)
	v_mul_f64 v[16:17], v[4:5], v[6:7]
	v_mul_f64 v[18:19], v[2:3], v[6:7]
	v_fma_f64 v[16:17], v[2:3], v[0:1], -v[16:17]
	v_fmac_f64_e32 v[18:19], v[4:5], v[0:1]
	scratch_load_dwordx4 v[2:5], off, off offset:928
	s_waitcnt vmcnt(0)
	v_add_f64 v[2:3], v[2:3], -v[16:17]
	v_add_f64 v[4:5], v[4:5], -v[18:19]
	scratch_store_dwordx4 off, v[2:5], off offset:928
	ds_read2_b64 v[2:5], v12 offset0:118 offset1:119
	s_waitcnt lgkmcnt(0)
	v_mul_f64 v[16:17], v[4:5], v[6:7]
	v_mul_f64 v[18:19], v[2:3], v[6:7]
	v_fma_f64 v[16:17], v[2:3], v[0:1], -v[16:17]
	v_fmac_f64_e32 v[18:19], v[4:5], v[0:1]
	scratch_load_dwordx4 v[2:5], off, off offset:944
	s_waitcnt vmcnt(0)
	v_add_f64 v[2:3], v[2:3], -v[16:17]
	v_add_f64 v[4:5], v[4:5], -v[18:19]
	scratch_store_dwordx4 off, v[2:5], off offset:944
	ds_read2_b64 v[2:5], v12 offset0:120 offset1:121
	s_waitcnt lgkmcnt(0)
	;; [unrolled: 11-line block ×3, first 2 shown]
	v_mul_f64 v[16:17], v[4:5], v[6:7]
	v_mul_f64 v[6:7], v[2:3], v[6:7]
	v_fma_f64 v[16:17], v[2:3], v[0:1], -v[16:17]
	v_fmac_f64_e32 v[6:7], v[4:5], v[0:1]
	scratch_load_dwordx4 v[0:3], off, off offset:976
	s_waitcnt vmcnt(0)
	v_add_f64 v[0:1], v[0:1], -v[16:17]
	v_add_f64 v[2:3], v[2:3], -v[6:7]
	scratch_store_dwordx4 off, v[0:3], off offset:976
.LBB122_946:
	s_or_b64 exec, exec, s[0:1]
	s_barrier
	scratch_load_dwordx4 v[0:3], off, s41
	v_lshl_add_u32 v4, v15, 4, v12
	s_cmp_lt_i32 s66, 42
	s_waitcnt vmcnt(0)
	ds_write2_b64 v4, v[0:1], v[2:3] offset1:1
	s_waitcnt lgkmcnt(0)
	s_barrier
	ds_read2_b64 v[0:3], v12 offset0:80 offset1:81
	v_mov_b32_e32 v4, 40
	s_cbranch_scc1 .LBB122_949
; %bb.947:
	v_add_u32_e32 v5, 0x290, v12
	s_mov_b32 s4, 41
	v_mov_b32_e32 v4, 40
.LBB122_948:                            ; =>This Inner Loop Header: Depth=1
	ds_read2_b64 v[16:19], v5 offset1:1
	s_waitcnt lgkmcnt(1)
	v_xor_b32_e32 v7, 0x80000000, v1
	v_xor_b32_e32 v21, 0x80000000, v3
	v_cmp_gt_f64_e32 vcc, 0, v[2:3]
	v_cmp_gt_f64_e64 s[0:1], 0, v[0:1]
	v_mov_b32_e32 v6, v0
	v_mov_b32_e32 v20, v2
	v_cndmask_b32_e64 v7, v1, v7, s[0:1]
	v_cndmask_b32_e32 v21, v3, v21, vcc
	v_add_f64 v[6:7], v[6:7], v[20:21]
	s_waitcnt lgkmcnt(0)
	v_xor_b32_e32 v21, 0x80000000, v17
	v_xor_b32_e32 v23, 0x80000000, v19
	v_cmp_gt_f64_e32 vcc, 0, v[18:19]
	v_cmp_gt_f64_e64 s[0:1], 0, v[16:17]
	v_mov_b32_e32 v20, v16
	v_mov_b32_e32 v22, v18
	v_cndmask_b32_e64 v21, v17, v21, s[0:1]
	v_cndmask_b32_e32 v23, v19, v23, vcc
	v_add_f64 v[20:21], v[20:21], v[22:23]
	v_mov_b32_e32 v24, s4
	s_add_i32 s4, s4, 1
	v_cmp_lt_f64_e32 vcc, v[6:7], v[20:21]
	v_add_u32_e32 v5, 16, v5
	s_cmp_lg_u32 s66, s4
	v_cndmask_b32_e32 v1, v1, v17, vcc
	v_cndmask_b32_e32 v0, v0, v16, vcc
	;; [unrolled: 1-line block ×5, first 2 shown]
	s_cbranch_scc1 .LBB122_948
.LBB122_949:
	s_waitcnt lgkmcnt(0)
	v_cmp_eq_f64_e32 vcc, 0, v[0:1]
	v_cmp_eq_f64_e64 s[0:1], 0, v[2:3]
	s_and_b64 s[0:1], vcc, s[0:1]
	s_and_saveexec_b64 s[4:5], s[0:1]
	s_xor_b64 s[0:1], exec, s[4:5]
; %bb.950:
	v_cmp_ne_u32_e32 vcc, 0, v13
	s_nop 1
	v_cndmask_b32_e32 v13, 41, v13, vcc
; %bb.951:
	s_andn2_saveexec_b64 s[0:1], s[0:1]
	s_cbranch_execz .LBB122_957
; %bb.952:
	v_cmp_ngt_f64_e64 s[4:5], |v[0:1]|, |v[2:3]|
	s_and_saveexec_b64 s[12:13], s[4:5]
	s_xor_b64 s[12:13], exec, s[12:13]
	s_cbranch_execz .LBB122_954
; %bb.953:
	v_div_scale_f64 v[6:7], s[4:5], v[2:3], v[2:3], v[0:1]
	v_rcp_f64_e32 v[16:17], v[6:7]
	v_div_scale_f64 v[18:19], vcc, v[0:1], v[2:3], v[0:1]
	v_fma_f64 v[20:21], -v[6:7], v[16:17], 1.0
	v_fmac_f64_e32 v[16:17], v[16:17], v[20:21]
	v_fma_f64 v[20:21], -v[6:7], v[16:17], 1.0
	v_fmac_f64_e32 v[16:17], v[16:17], v[20:21]
	v_mul_f64 v[20:21], v[18:19], v[16:17]
	v_fma_f64 v[6:7], -v[6:7], v[20:21], v[18:19]
	v_div_fmas_f64 v[6:7], v[6:7], v[16:17], v[20:21]
	v_div_fixup_f64 v[6:7], v[6:7], v[2:3], v[0:1]
	v_fmac_f64_e32 v[2:3], v[0:1], v[6:7]
	v_div_scale_f64 v[0:1], s[4:5], v[2:3], v[2:3], 1.0
	v_rcp_f64_e32 v[16:17], v[0:1]
	s_nop 0
	v_fma_f64 v[18:19], -v[0:1], v[16:17], 1.0
	v_fmac_f64_e32 v[16:17], v[16:17], v[18:19]
	v_fma_f64 v[18:19], -v[0:1], v[16:17], 1.0
	v_fmac_f64_e32 v[16:17], v[16:17], v[18:19]
	v_div_scale_f64 v[18:19], vcc, 1.0, v[2:3], 1.0
	v_mul_f64 v[20:21], v[18:19], v[16:17]
	v_fma_f64 v[0:1], -v[0:1], v[20:21], v[18:19]
	s_nop 1
	v_div_fmas_f64 v[0:1], v[0:1], v[16:17], v[20:21]
	v_div_fixup_f64 v[2:3], v[0:1], v[2:3], 1.0
	v_mul_f64 v[0:1], v[6:7], v[2:3]
	v_xor_b32_e32 v3, 0x80000000, v3
.LBB122_954:
	s_andn2_saveexec_b64 s[12:13], s[12:13]
	s_cbranch_execz .LBB122_956
; %bb.955:
	v_div_scale_f64 v[6:7], s[4:5], v[0:1], v[0:1], v[2:3]
	v_rcp_f64_e32 v[16:17], v[6:7]
	v_div_scale_f64 v[18:19], vcc, v[2:3], v[0:1], v[2:3]
	v_fma_f64 v[20:21], -v[6:7], v[16:17], 1.0
	v_fmac_f64_e32 v[16:17], v[16:17], v[20:21]
	v_fma_f64 v[20:21], -v[6:7], v[16:17], 1.0
	v_fmac_f64_e32 v[16:17], v[16:17], v[20:21]
	v_mul_f64 v[20:21], v[18:19], v[16:17]
	v_fma_f64 v[6:7], -v[6:7], v[20:21], v[18:19]
	v_div_fmas_f64 v[6:7], v[6:7], v[16:17], v[20:21]
	v_div_fixup_f64 v[6:7], v[6:7], v[0:1], v[2:3]
	v_fmac_f64_e32 v[0:1], v[2:3], v[6:7]
	v_div_scale_f64 v[2:3], s[4:5], v[0:1], v[0:1], 1.0
	v_rcp_f64_e32 v[16:17], v[2:3]
	s_nop 0
	v_fma_f64 v[18:19], -v[2:3], v[16:17], 1.0
	v_fmac_f64_e32 v[16:17], v[16:17], v[18:19]
	v_fma_f64 v[18:19], -v[2:3], v[16:17], 1.0
	v_fmac_f64_e32 v[16:17], v[16:17], v[18:19]
	v_div_scale_f64 v[18:19], vcc, 1.0, v[0:1], 1.0
	v_mul_f64 v[20:21], v[18:19], v[16:17]
	v_fma_f64 v[2:3], -v[2:3], v[20:21], v[18:19]
	s_nop 1
	v_div_fmas_f64 v[2:3], v[2:3], v[16:17], v[20:21]
	v_div_fixup_f64 v[0:1], v[2:3], v[0:1], 1.0
	v_mul_f64 v[2:3], v[6:7], -v[0:1]
.LBB122_956:
	s_or_b64 exec, exec, s[12:13]
.LBB122_957:
	s_or_b64 exec, exec, s[0:1]
	v_cmp_ne_u32_e32 vcc, v15, v4
	s_and_saveexec_b64 s[0:1], vcc
	s_xor_b64 s[0:1], exec, s[0:1]
	s_cbranch_execz .LBB122_963
; %bb.958:
	v_cmp_eq_u32_e32 vcc, 40, v15
	s_and_saveexec_b64 s[12:13], vcc
	s_cbranch_execz .LBB122_962
; %bb.959:
	v_cmp_ne_u32_e32 vcc, 40, v4
	s_xor_b64 s[4:5], s[18:19], -1
	s_and_b64 s[4:5], s[4:5], vcc
	s_and_saveexec_b64 s[14:15], s[4:5]
	s_cbranch_execz .LBB122_961
; %bb.960:
	v_ashrrev_i32_e32 v5, 31, v4
	v_lshl_add_u64 v[6:7], v[4:5], 2, v[10:11]
	global_load_dword v5, v[6:7], off
	global_load_dword v14, v[10:11], off offset:160
	s_waitcnt vmcnt(1)
	global_store_dword v[10:11], v5, off offset:160
	s_waitcnt vmcnt(1)
	global_store_dword v[6:7], v14, off
.LBB122_961:
	s_or_b64 exec, exec, s[14:15]
	v_mov_b32_e32 v15, v4
	v_mov_b32_e32 v14, v4
.LBB122_962:
	s_or_b64 exec, exec, s[12:13]
.LBB122_963:
	s_andn2_saveexec_b64 s[0:1], s[0:1]
	s_cbranch_execz .LBB122_965
; %bb.964:
	scratch_load_dwordx4 v[4:7], off, s40
	scratch_load_dwordx4 v[16:19], off, s39
	;; [unrolled: 1-line block ×21, first 2 shown]
	v_mov_b32_e32 v15, 40
	s_waitcnt vmcnt(20)
	ds_write2_b64 v12, v[4:5], v[6:7] offset0:82 offset1:83
	s_waitcnt vmcnt(19)
	ds_write2_b64 v12, v[16:17], v[18:19] offset0:84 offset1:85
	;; [unrolled: 2-line block ×21, first 2 shown]
.LBB122_965:
	s_or_b64 exec, exec, s[0:1]
	v_cmp_lt_i32_e32 vcc, 40, v15
	s_waitcnt lgkmcnt(0)
	s_barrier
	s_and_saveexec_b64 s[0:1], vcc
	s_cbranch_execz .LBB122_967
; %bb.966:
	scratch_load_dwordx4 v[4:7], off, off offset:640
	s_waitcnt vmcnt(0)
	v_mul_f64 v[16:17], v[2:3], v[6:7]
	v_mul_f64 v[18:19], v[0:1], v[6:7]
	v_fma_f64 v[16:17], v[0:1], v[4:5], -v[16:17]
	v_fmac_f64_e32 v[18:19], v[2:3], v[4:5]
	ds_read2_b64 v[0:3], v12 offset0:82 offset1:83
	scratch_store_dwordx4 off, v[16:19], off offset:640
	s_waitcnt lgkmcnt(0)
	v_mul_f64 v[4:5], v[2:3], v[18:19]
	v_mul_f64 v[6:7], v[0:1], v[18:19]
	v_fma_f64 v[4:5], v[0:1], v[16:17], -v[4:5]
	v_fmac_f64_e32 v[6:7], v[2:3], v[16:17]
	scratch_load_dwordx4 v[0:3], off, off offset:656
	s_waitcnt vmcnt(0)
	v_add_f64 v[0:1], v[0:1], -v[4:5]
	v_add_f64 v[2:3], v[2:3], -v[6:7]
	scratch_store_dwordx4 off, v[0:3], off offset:656
	ds_read2_b64 v[0:3], v12 offset0:84 offset1:85
	s_waitcnt lgkmcnt(0)
	v_mul_f64 v[4:5], v[2:3], v[18:19]
	v_mul_f64 v[6:7], v[0:1], v[18:19]
	v_fma_f64 v[4:5], v[0:1], v[16:17], -v[4:5]
	v_fmac_f64_e32 v[6:7], v[2:3], v[16:17]
	scratch_load_dwordx4 v[0:3], off, off offset:672
	s_waitcnt vmcnt(0)
	v_add_f64 v[0:1], v[0:1], -v[4:5]
	v_add_f64 v[2:3], v[2:3], -v[6:7]
	scratch_store_dwordx4 off, v[0:3], off offset:672
	ds_read2_b64 v[0:3], v12 offset0:86 offset1:87
	;; [unrolled: 11-line block ×6, first 2 shown]
	scratch_load_dwordx2 v[16:17], off, off offset:640
	scratch_load_dwordx4 v[0:3], off, off offset:640
	s_waitcnt vmcnt(0) lgkmcnt(0)
	v_mul_f64 v[18:19], v[6:7], v[2:3]
	v_mul_f64 v[20:21], v[4:5], v[2:3]
	v_fma_f64 v[18:19], v[4:5], v[16:17], -v[18:19]
	v_fmac_f64_e32 v[20:21], v[6:7], v[16:17]
	scratch_load_dwordx4 v[4:7], off, off offset:752
	s_waitcnt vmcnt(0)
	v_add_f64 v[4:5], v[4:5], -v[18:19]
	v_add_f64 v[6:7], v[6:7], -v[20:21]
	scratch_store_dwordx4 off, v[4:7], off offset:752
	ds_read2_b64 v[4:7], v12 offset0:96 offset1:97
	s_waitcnt lgkmcnt(0)
	v_mul_f64 v[18:19], v[6:7], v[2:3]
	v_mul_f64 v[20:21], v[4:5], v[2:3]
	v_fma_f64 v[18:19], v[4:5], v[16:17], -v[18:19]
	v_fmac_f64_e32 v[20:21], v[6:7], v[16:17]
	scratch_load_dwordx4 v[4:7], off, off offset:768
	s_waitcnt vmcnt(0)
	v_add_f64 v[4:5], v[4:5], -v[18:19]
	v_add_f64 v[6:7], v[6:7], -v[20:21]
	scratch_store_dwordx4 off, v[4:7], off offset:768
	ds_read2_b64 v[4:7], v12 offset0:98 offset1:99
	s_waitcnt lgkmcnt(0)
	;; [unrolled: 11-line block ×5, first 2 shown]
	v_mul_f64 v[18:19], v[6:7], v[2:3]
	v_fma_f64 v[18:19], v[4:5], v[16:17], -v[18:19]
	v_mul_f64 v[20:21], v[4:5], v[2:3]
	scratch_load_dwordx4 v[2:5], off, off offset:832
	v_fmac_f64_e32 v[20:21], v[6:7], v[16:17]
	s_waitcnt vmcnt(0)
	v_add_f64 v[2:3], v[2:3], -v[18:19]
	v_add_f64 v[4:5], v[4:5], -v[20:21]
	scratch_store_dwordx4 off, v[2:5], off offset:832
	ds_read2_b64 v[16:19], v12 offset0:106 offset1:107
	scratch_load_dwordx2 v[2:3], off, off offset:640
	scratch_load_dwordx2 v[4:5], off, off offset:648
	s_waitcnt vmcnt(0) lgkmcnt(0)
	v_mul_f64 v[6:7], v[18:19], v[4:5]
	v_mul_f64 v[20:21], v[16:17], v[4:5]
	v_fma_f64 v[6:7], v[16:17], v[2:3], -v[6:7]
	v_fmac_f64_e32 v[20:21], v[18:19], v[2:3]
	scratch_load_dwordx4 v[16:19], off, off offset:848
	s_waitcnt vmcnt(0)
	v_add_f64 v[16:17], v[16:17], -v[6:7]
	v_add_f64 v[18:19], v[18:19], -v[20:21]
	scratch_store_dwordx4 off, v[16:19], off offset:848
	ds_read2_b64 v[16:19], v12 offset0:108 offset1:109
	s_waitcnt lgkmcnt(0)
	v_mul_f64 v[6:7], v[18:19], v[4:5]
	v_mul_f64 v[20:21], v[16:17], v[4:5]
	v_fma_f64 v[6:7], v[16:17], v[2:3], -v[6:7]
	v_fmac_f64_e32 v[20:21], v[18:19], v[2:3]
	scratch_load_dwordx4 v[16:19], off, off offset:864
	s_waitcnt vmcnt(0)
	v_add_f64 v[16:17], v[16:17], -v[6:7]
	v_add_f64 v[18:19], v[18:19], -v[20:21]
	scratch_store_dwordx4 off, v[16:19], off offset:864
	ds_read2_b64 v[16:19], v12 offset0:110 offset1:111
	s_waitcnt lgkmcnt(0)
	;; [unrolled: 11-line block ×5, first 2 shown]
	v_mul_f64 v[6:7], v[18:19], v[4:5]
	v_fma_f64 v[6:7], v[16:17], v[2:3], -v[6:7]
	v_mul_f64 v[16:17], v[16:17], v[4:5]
	v_fmac_f64_e32 v[16:17], v[18:19], v[2:3]
	scratch_load_dwordx4 v[2:5], off, off offset:928
	s_waitcnt vmcnt(0)
	v_add_f64 v[4:5], v[4:5], -v[16:17]
	scratch_load_dwordx2 v[16:17], off, off offset:648
	v_add_f64 v[2:3], v[2:3], -v[6:7]
	scratch_store_dwordx4 off, v[2:5], off offset:928
	ds_read2_b64 v[2:5], v12 offset0:118 offset1:119
	s_waitcnt vmcnt(1) lgkmcnt(0)
	v_mul_f64 v[6:7], v[4:5], v[16:17]
	v_mul_f64 v[18:19], v[2:3], v[16:17]
	v_fma_f64 v[6:7], v[2:3], v[0:1], -v[6:7]
	v_fmac_f64_e32 v[18:19], v[4:5], v[0:1]
	scratch_load_dwordx4 v[2:5], off, off offset:944
	s_waitcnt vmcnt(0)
	v_add_f64 v[2:3], v[2:3], -v[6:7]
	v_add_f64 v[4:5], v[4:5], -v[18:19]
	scratch_store_dwordx4 off, v[2:5], off offset:944
	ds_read2_b64 v[2:5], v12 offset0:120 offset1:121
	s_waitcnt lgkmcnt(0)
	v_mul_f64 v[6:7], v[4:5], v[16:17]
	v_mul_f64 v[18:19], v[2:3], v[16:17]
	v_fma_f64 v[6:7], v[2:3], v[0:1], -v[6:7]
	v_fmac_f64_e32 v[18:19], v[4:5], v[0:1]
	scratch_load_dwordx4 v[2:5], off, off offset:960
	s_waitcnt vmcnt(0)
	v_add_f64 v[2:3], v[2:3], -v[6:7]
	v_add_f64 v[4:5], v[4:5], -v[18:19]
	scratch_store_dwordx4 off, v[2:5], off offset:960
	ds_read2_b64 v[4:7], v12 offset0:122 offset1:123
	s_waitcnt lgkmcnt(0)
	v_mul_f64 v[2:3], v[6:7], v[16:17]
	v_fma_f64 v[2:3], v[4:5], v[0:1], -v[2:3]
	v_mul_f64 v[4:5], v[4:5], v[16:17]
	scratch_load_dwordx4 v[16:19], off, off offset:976
	v_fmac_f64_e32 v[4:5], v[6:7], v[0:1]
	s_waitcnt vmcnt(0)
	v_add_f64 v[0:1], v[16:17], -v[2:3]
	v_add_f64 v[2:3], v[18:19], -v[4:5]
	scratch_store_dwordx4 off, v[0:3], off offset:976
.LBB122_967:
	s_or_b64 exec, exec, s[0:1]
	s_barrier
	scratch_load_dwordx4 v[0:3], off, s40
	v_lshl_add_u32 v4, v15, 4, v12
	s_cmp_lt_i32 s66, 43
	s_waitcnt vmcnt(0)
	ds_write2_b64 v4, v[0:1], v[2:3] offset1:1
	s_waitcnt lgkmcnt(0)
	s_barrier
	ds_read2_b64 v[0:3], v12 offset0:82 offset1:83
	v_mov_b32_e32 v4, 41
	s_cbranch_scc1 .LBB122_970
; %bb.968:
	v_add_u32_e32 v5, 0x2a0, v12
	s_mov_b32 s4, 42
	v_mov_b32_e32 v4, 41
.LBB122_969:                            ; =>This Inner Loop Header: Depth=1
	ds_read2_b64 v[16:19], v5 offset1:1
	s_waitcnt lgkmcnt(1)
	v_xor_b32_e32 v7, 0x80000000, v1
	v_xor_b32_e32 v21, 0x80000000, v3
	v_cmp_gt_f64_e32 vcc, 0, v[2:3]
	v_cmp_gt_f64_e64 s[0:1], 0, v[0:1]
	v_mov_b32_e32 v6, v0
	v_mov_b32_e32 v20, v2
	v_cndmask_b32_e64 v7, v1, v7, s[0:1]
	v_cndmask_b32_e32 v21, v3, v21, vcc
	v_add_f64 v[6:7], v[6:7], v[20:21]
	s_waitcnt lgkmcnt(0)
	v_xor_b32_e32 v21, 0x80000000, v17
	v_xor_b32_e32 v23, 0x80000000, v19
	v_cmp_gt_f64_e32 vcc, 0, v[18:19]
	v_cmp_gt_f64_e64 s[0:1], 0, v[16:17]
	v_mov_b32_e32 v20, v16
	v_mov_b32_e32 v22, v18
	v_cndmask_b32_e64 v21, v17, v21, s[0:1]
	v_cndmask_b32_e32 v23, v19, v23, vcc
	v_add_f64 v[20:21], v[20:21], v[22:23]
	v_mov_b32_e32 v24, s4
	s_add_i32 s4, s4, 1
	v_cmp_lt_f64_e32 vcc, v[6:7], v[20:21]
	v_add_u32_e32 v5, 16, v5
	s_cmp_lg_u32 s66, s4
	v_cndmask_b32_e32 v1, v1, v17, vcc
	v_cndmask_b32_e32 v0, v0, v16, vcc
	;; [unrolled: 1-line block ×5, first 2 shown]
	s_cbranch_scc1 .LBB122_969
.LBB122_970:
	s_waitcnt lgkmcnt(0)
	v_cmp_eq_f64_e32 vcc, 0, v[0:1]
	v_cmp_eq_f64_e64 s[0:1], 0, v[2:3]
	s_and_b64 s[0:1], vcc, s[0:1]
	s_and_saveexec_b64 s[4:5], s[0:1]
	s_xor_b64 s[0:1], exec, s[4:5]
; %bb.971:
	v_cmp_ne_u32_e32 vcc, 0, v13
	s_nop 1
	v_cndmask_b32_e32 v13, 42, v13, vcc
; %bb.972:
	s_andn2_saveexec_b64 s[0:1], s[0:1]
	s_cbranch_execz .LBB122_978
; %bb.973:
	v_cmp_ngt_f64_e64 s[4:5], |v[0:1]|, |v[2:3]|
	s_and_saveexec_b64 s[12:13], s[4:5]
	s_xor_b64 s[12:13], exec, s[12:13]
	s_cbranch_execz .LBB122_975
; %bb.974:
	v_div_scale_f64 v[6:7], s[4:5], v[2:3], v[2:3], v[0:1]
	v_rcp_f64_e32 v[16:17], v[6:7]
	v_div_scale_f64 v[18:19], vcc, v[0:1], v[2:3], v[0:1]
	v_fma_f64 v[20:21], -v[6:7], v[16:17], 1.0
	v_fmac_f64_e32 v[16:17], v[16:17], v[20:21]
	v_fma_f64 v[20:21], -v[6:7], v[16:17], 1.0
	v_fmac_f64_e32 v[16:17], v[16:17], v[20:21]
	v_mul_f64 v[20:21], v[18:19], v[16:17]
	v_fma_f64 v[6:7], -v[6:7], v[20:21], v[18:19]
	v_div_fmas_f64 v[6:7], v[6:7], v[16:17], v[20:21]
	v_div_fixup_f64 v[6:7], v[6:7], v[2:3], v[0:1]
	v_fmac_f64_e32 v[2:3], v[0:1], v[6:7]
	v_div_scale_f64 v[0:1], s[4:5], v[2:3], v[2:3], 1.0
	v_rcp_f64_e32 v[16:17], v[0:1]
	s_nop 0
	v_fma_f64 v[18:19], -v[0:1], v[16:17], 1.0
	v_fmac_f64_e32 v[16:17], v[16:17], v[18:19]
	v_fma_f64 v[18:19], -v[0:1], v[16:17], 1.0
	v_fmac_f64_e32 v[16:17], v[16:17], v[18:19]
	v_div_scale_f64 v[18:19], vcc, 1.0, v[2:3], 1.0
	v_mul_f64 v[20:21], v[18:19], v[16:17]
	v_fma_f64 v[0:1], -v[0:1], v[20:21], v[18:19]
	s_nop 1
	v_div_fmas_f64 v[0:1], v[0:1], v[16:17], v[20:21]
	v_div_fixup_f64 v[2:3], v[0:1], v[2:3], 1.0
	v_mul_f64 v[0:1], v[6:7], v[2:3]
	v_xor_b32_e32 v3, 0x80000000, v3
.LBB122_975:
	s_andn2_saveexec_b64 s[12:13], s[12:13]
	s_cbranch_execz .LBB122_977
; %bb.976:
	v_div_scale_f64 v[6:7], s[4:5], v[0:1], v[0:1], v[2:3]
	v_rcp_f64_e32 v[16:17], v[6:7]
	v_div_scale_f64 v[18:19], vcc, v[2:3], v[0:1], v[2:3]
	v_fma_f64 v[20:21], -v[6:7], v[16:17], 1.0
	v_fmac_f64_e32 v[16:17], v[16:17], v[20:21]
	v_fma_f64 v[20:21], -v[6:7], v[16:17], 1.0
	v_fmac_f64_e32 v[16:17], v[16:17], v[20:21]
	v_mul_f64 v[20:21], v[18:19], v[16:17]
	v_fma_f64 v[6:7], -v[6:7], v[20:21], v[18:19]
	v_div_fmas_f64 v[6:7], v[6:7], v[16:17], v[20:21]
	v_div_fixup_f64 v[6:7], v[6:7], v[0:1], v[2:3]
	v_fmac_f64_e32 v[0:1], v[2:3], v[6:7]
	v_div_scale_f64 v[2:3], s[4:5], v[0:1], v[0:1], 1.0
	v_rcp_f64_e32 v[16:17], v[2:3]
	s_nop 0
	v_fma_f64 v[18:19], -v[2:3], v[16:17], 1.0
	v_fmac_f64_e32 v[16:17], v[16:17], v[18:19]
	v_fma_f64 v[18:19], -v[2:3], v[16:17], 1.0
	v_fmac_f64_e32 v[16:17], v[16:17], v[18:19]
	v_div_scale_f64 v[18:19], vcc, 1.0, v[0:1], 1.0
	v_mul_f64 v[20:21], v[18:19], v[16:17]
	v_fma_f64 v[2:3], -v[2:3], v[20:21], v[18:19]
	s_nop 1
	v_div_fmas_f64 v[2:3], v[2:3], v[16:17], v[20:21]
	v_div_fixup_f64 v[0:1], v[2:3], v[0:1], 1.0
	v_mul_f64 v[2:3], v[6:7], -v[0:1]
.LBB122_977:
	s_or_b64 exec, exec, s[12:13]
.LBB122_978:
	s_or_b64 exec, exec, s[0:1]
	v_cmp_ne_u32_e32 vcc, v15, v4
	s_and_saveexec_b64 s[0:1], vcc
	s_xor_b64 s[0:1], exec, s[0:1]
	s_cbranch_execz .LBB122_984
; %bb.979:
	v_cmp_eq_u32_e32 vcc, 41, v15
	s_and_saveexec_b64 s[12:13], vcc
	s_cbranch_execz .LBB122_983
; %bb.980:
	v_cmp_ne_u32_e32 vcc, 41, v4
	s_xor_b64 s[4:5], s[18:19], -1
	s_and_b64 s[4:5], s[4:5], vcc
	s_and_saveexec_b64 s[14:15], s[4:5]
	s_cbranch_execz .LBB122_982
; %bb.981:
	v_ashrrev_i32_e32 v5, 31, v4
	v_lshl_add_u64 v[6:7], v[4:5], 2, v[10:11]
	global_load_dword v5, v[6:7], off
	global_load_dword v14, v[10:11], off offset:164
	s_waitcnt vmcnt(1)
	global_store_dword v[10:11], v5, off offset:164
	s_waitcnt vmcnt(1)
	global_store_dword v[6:7], v14, off
.LBB122_982:
	s_or_b64 exec, exec, s[14:15]
	v_mov_b32_e32 v15, v4
	v_mov_b32_e32 v14, v4
.LBB122_983:
	s_or_b64 exec, exec, s[12:13]
.LBB122_984:
	s_andn2_saveexec_b64 s[0:1], s[0:1]
	s_cbranch_execz .LBB122_986
; %bb.985:
	scratch_load_dwordx4 v[4:7], off, s39
	scratch_load_dwordx4 v[16:19], off, s38
	;; [unrolled: 1-line block ×20, first 2 shown]
	v_mov_b32_e32 v15, 41
	s_waitcnt vmcnt(19)
	ds_write2_b64 v12, v[4:5], v[6:7] offset0:84 offset1:85
	s_waitcnt vmcnt(18)
	ds_write2_b64 v12, v[16:17], v[18:19] offset0:86 offset1:87
	;; [unrolled: 2-line block ×20, first 2 shown]
.LBB122_986:
	s_or_b64 exec, exec, s[0:1]
	v_cmp_lt_i32_e32 vcc, 41, v15
	s_waitcnt lgkmcnt(0)
	s_barrier
	s_and_saveexec_b64 s[0:1], vcc
	s_cbranch_execz .LBB122_988
; %bb.987:
	scratch_load_dwordx4 v[4:7], off, off offset:656
	s_waitcnt vmcnt(0)
	v_mul_f64 v[16:17], v[2:3], v[6:7]
	v_mul_f64 v[18:19], v[0:1], v[6:7]
	v_fma_f64 v[16:17], v[0:1], v[4:5], -v[16:17]
	v_fmac_f64_e32 v[18:19], v[2:3], v[4:5]
	ds_read2_b64 v[0:3], v12 offset0:84 offset1:85
	scratch_store_dwordx4 off, v[16:19], off offset:656
	s_waitcnt lgkmcnt(0)
	v_mul_f64 v[4:5], v[2:3], v[18:19]
	v_mul_f64 v[6:7], v[0:1], v[18:19]
	v_fma_f64 v[4:5], v[0:1], v[16:17], -v[4:5]
	v_fmac_f64_e32 v[6:7], v[2:3], v[16:17]
	scratch_load_dwordx4 v[0:3], off, off offset:672
	s_waitcnt vmcnt(0)
	v_add_f64 v[0:1], v[0:1], -v[4:5]
	v_add_f64 v[2:3], v[2:3], -v[6:7]
	scratch_store_dwordx4 off, v[0:3], off offset:672
	ds_read2_b64 v[0:3], v12 offset0:86 offset1:87
	s_waitcnt lgkmcnt(0)
	v_mul_f64 v[4:5], v[2:3], v[18:19]
	v_mul_f64 v[6:7], v[0:1], v[18:19]
	v_fma_f64 v[4:5], v[0:1], v[16:17], -v[4:5]
	v_fmac_f64_e32 v[6:7], v[2:3], v[16:17]
	scratch_load_dwordx4 v[0:3], off, off offset:688
	s_waitcnt vmcnt(0)
	v_add_f64 v[0:1], v[0:1], -v[4:5]
	v_add_f64 v[2:3], v[2:3], -v[6:7]
	scratch_store_dwordx4 off, v[0:3], off offset:688
	ds_read2_b64 v[0:3], v12 offset0:88 offset1:89
	;; [unrolled: 11-line block ×6, first 2 shown]
	scratch_load_dwordx2 v[16:17], off, off offset:656
	scratch_load_dwordx4 v[0:3], off, off offset:656
	s_waitcnt vmcnt(0) lgkmcnt(0)
	v_mul_f64 v[18:19], v[6:7], v[2:3]
	v_mul_f64 v[20:21], v[4:5], v[2:3]
	v_fma_f64 v[18:19], v[4:5], v[16:17], -v[18:19]
	v_fmac_f64_e32 v[20:21], v[6:7], v[16:17]
	scratch_load_dwordx4 v[4:7], off, off offset:768
	s_waitcnt vmcnt(0)
	v_add_f64 v[4:5], v[4:5], -v[18:19]
	v_add_f64 v[6:7], v[6:7], -v[20:21]
	scratch_store_dwordx4 off, v[4:7], off offset:768
	ds_read2_b64 v[4:7], v12 offset0:98 offset1:99
	s_waitcnt lgkmcnt(0)
	v_mul_f64 v[18:19], v[6:7], v[2:3]
	v_mul_f64 v[20:21], v[4:5], v[2:3]
	v_fma_f64 v[18:19], v[4:5], v[16:17], -v[18:19]
	v_fmac_f64_e32 v[20:21], v[6:7], v[16:17]
	scratch_load_dwordx4 v[4:7], off, off offset:784
	s_waitcnt vmcnt(0)
	v_add_f64 v[4:5], v[4:5], -v[18:19]
	v_add_f64 v[6:7], v[6:7], -v[20:21]
	scratch_store_dwordx4 off, v[4:7], off offset:784
	ds_read2_b64 v[4:7], v12 offset0:100 offset1:101
	s_waitcnt lgkmcnt(0)
	;; [unrolled: 11-line block ×5, first 2 shown]
	v_mul_f64 v[18:19], v[6:7], v[2:3]
	v_fma_f64 v[18:19], v[4:5], v[16:17], -v[18:19]
	v_mul_f64 v[20:21], v[4:5], v[2:3]
	scratch_load_dwordx4 v[2:5], off, off offset:848
	v_fmac_f64_e32 v[20:21], v[6:7], v[16:17]
	s_waitcnt vmcnt(0)
	v_add_f64 v[2:3], v[2:3], -v[18:19]
	v_add_f64 v[4:5], v[4:5], -v[20:21]
	scratch_store_dwordx4 off, v[2:5], off offset:848
	ds_read2_b64 v[16:19], v12 offset0:108 offset1:109
	scratch_load_dwordx2 v[2:3], off, off offset:656
	scratch_load_dwordx2 v[4:5], off, off offset:664
	s_waitcnt vmcnt(0) lgkmcnt(0)
	v_mul_f64 v[6:7], v[18:19], v[4:5]
	v_mul_f64 v[20:21], v[16:17], v[4:5]
	v_fma_f64 v[6:7], v[16:17], v[2:3], -v[6:7]
	v_fmac_f64_e32 v[20:21], v[18:19], v[2:3]
	scratch_load_dwordx4 v[16:19], off, off offset:864
	s_waitcnt vmcnt(0)
	v_add_f64 v[16:17], v[16:17], -v[6:7]
	v_add_f64 v[18:19], v[18:19], -v[20:21]
	scratch_store_dwordx4 off, v[16:19], off offset:864
	ds_read2_b64 v[16:19], v12 offset0:110 offset1:111
	s_waitcnt lgkmcnt(0)
	v_mul_f64 v[6:7], v[18:19], v[4:5]
	v_mul_f64 v[20:21], v[16:17], v[4:5]
	v_fma_f64 v[6:7], v[16:17], v[2:3], -v[6:7]
	v_fmac_f64_e32 v[20:21], v[18:19], v[2:3]
	scratch_load_dwordx4 v[16:19], off, off offset:880
	s_waitcnt vmcnt(0)
	v_add_f64 v[16:17], v[16:17], -v[6:7]
	v_add_f64 v[18:19], v[18:19], -v[20:21]
	scratch_store_dwordx4 off, v[16:19], off offset:880
	ds_read2_b64 v[16:19], v12 offset0:112 offset1:113
	s_waitcnt lgkmcnt(0)
	;; [unrolled: 11-line block ×5, first 2 shown]
	v_mul_f64 v[6:7], v[18:19], v[4:5]
	v_fma_f64 v[6:7], v[16:17], v[2:3], -v[6:7]
	v_mul_f64 v[16:17], v[16:17], v[4:5]
	v_fmac_f64_e32 v[16:17], v[18:19], v[2:3]
	scratch_load_dwordx4 v[2:5], off, off offset:944
	s_waitcnt vmcnt(0)
	v_add_f64 v[2:3], v[2:3], -v[6:7]
	scratch_load_dwordx2 v[6:7], off, off offset:664
	v_add_f64 v[4:5], v[4:5], -v[16:17]
	scratch_store_dwordx4 off, v[2:5], off offset:944
	ds_read2_b64 v[2:5], v12 offset0:120 offset1:121
	s_waitcnt vmcnt(1) lgkmcnt(0)
	v_mul_f64 v[16:17], v[4:5], v[6:7]
	v_mul_f64 v[18:19], v[2:3], v[6:7]
	v_fma_f64 v[16:17], v[2:3], v[0:1], -v[16:17]
	v_fmac_f64_e32 v[18:19], v[4:5], v[0:1]
	scratch_load_dwordx4 v[2:5], off, off offset:960
	s_waitcnt vmcnt(0)
	v_add_f64 v[2:3], v[2:3], -v[16:17]
	v_add_f64 v[4:5], v[4:5], -v[18:19]
	scratch_store_dwordx4 off, v[2:5], off offset:960
	ds_read2_b64 v[2:5], v12 offset0:122 offset1:123
	s_waitcnt lgkmcnt(0)
	v_mul_f64 v[16:17], v[4:5], v[6:7]
	v_mul_f64 v[6:7], v[2:3], v[6:7]
	v_fma_f64 v[16:17], v[2:3], v[0:1], -v[16:17]
	v_fmac_f64_e32 v[6:7], v[4:5], v[0:1]
	scratch_load_dwordx4 v[0:3], off, off offset:976
	s_waitcnt vmcnt(0)
	v_add_f64 v[0:1], v[0:1], -v[16:17]
	v_add_f64 v[2:3], v[2:3], -v[6:7]
	scratch_store_dwordx4 off, v[0:3], off offset:976
.LBB122_988:
	s_or_b64 exec, exec, s[0:1]
	s_barrier
	scratch_load_dwordx4 v[0:3], off, s39
	v_lshl_add_u32 v4, v15, 4, v12
	s_cmp_lt_i32 s66, 44
	s_waitcnt vmcnt(0)
	ds_write2_b64 v4, v[0:1], v[2:3] offset1:1
	s_waitcnt lgkmcnt(0)
	s_barrier
	ds_read2_b64 v[0:3], v12 offset0:84 offset1:85
	v_mov_b32_e32 v4, 42
	s_cbranch_scc1 .LBB122_991
; %bb.989:
	v_add_u32_e32 v5, 0x2b0, v12
	s_mov_b32 s4, 43
	v_mov_b32_e32 v4, 42
.LBB122_990:                            ; =>This Inner Loop Header: Depth=1
	ds_read2_b64 v[16:19], v5 offset1:1
	s_waitcnt lgkmcnt(1)
	v_xor_b32_e32 v7, 0x80000000, v1
	v_xor_b32_e32 v21, 0x80000000, v3
	v_cmp_gt_f64_e32 vcc, 0, v[2:3]
	v_cmp_gt_f64_e64 s[0:1], 0, v[0:1]
	v_mov_b32_e32 v6, v0
	v_mov_b32_e32 v20, v2
	v_cndmask_b32_e64 v7, v1, v7, s[0:1]
	v_cndmask_b32_e32 v21, v3, v21, vcc
	v_add_f64 v[6:7], v[6:7], v[20:21]
	s_waitcnt lgkmcnt(0)
	v_xor_b32_e32 v21, 0x80000000, v17
	v_xor_b32_e32 v23, 0x80000000, v19
	v_cmp_gt_f64_e32 vcc, 0, v[18:19]
	v_cmp_gt_f64_e64 s[0:1], 0, v[16:17]
	v_mov_b32_e32 v20, v16
	v_mov_b32_e32 v22, v18
	v_cndmask_b32_e64 v21, v17, v21, s[0:1]
	v_cndmask_b32_e32 v23, v19, v23, vcc
	v_add_f64 v[20:21], v[20:21], v[22:23]
	v_mov_b32_e32 v24, s4
	s_add_i32 s4, s4, 1
	v_cmp_lt_f64_e32 vcc, v[6:7], v[20:21]
	v_add_u32_e32 v5, 16, v5
	s_cmp_lg_u32 s66, s4
	v_cndmask_b32_e32 v1, v1, v17, vcc
	v_cndmask_b32_e32 v0, v0, v16, vcc
	;; [unrolled: 1-line block ×5, first 2 shown]
	s_cbranch_scc1 .LBB122_990
.LBB122_991:
	s_waitcnt lgkmcnt(0)
	v_cmp_eq_f64_e32 vcc, 0, v[0:1]
	v_cmp_eq_f64_e64 s[0:1], 0, v[2:3]
	s_and_b64 s[0:1], vcc, s[0:1]
	s_and_saveexec_b64 s[4:5], s[0:1]
	s_xor_b64 s[0:1], exec, s[4:5]
; %bb.992:
	v_cmp_ne_u32_e32 vcc, 0, v13
	s_nop 1
	v_cndmask_b32_e32 v13, 43, v13, vcc
; %bb.993:
	s_andn2_saveexec_b64 s[0:1], s[0:1]
	s_cbranch_execz .LBB122_999
; %bb.994:
	v_cmp_ngt_f64_e64 s[4:5], |v[0:1]|, |v[2:3]|
	s_and_saveexec_b64 s[12:13], s[4:5]
	s_xor_b64 s[12:13], exec, s[12:13]
	s_cbranch_execz .LBB122_996
; %bb.995:
	v_div_scale_f64 v[6:7], s[4:5], v[2:3], v[2:3], v[0:1]
	v_rcp_f64_e32 v[16:17], v[6:7]
	v_div_scale_f64 v[18:19], vcc, v[0:1], v[2:3], v[0:1]
	v_fma_f64 v[20:21], -v[6:7], v[16:17], 1.0
	v_fmac_f64_e32 v[16:17], v[16:17], v[20:21]
	v_fma_f64 v[20:21], -v[6:7], v[16:17], 1.0
	v_fmac_f64_e32 v[16:17], v[16:17], v[20:21]
	v_mul_f64 v[20:21], v[18:19], v[16:17]
	v_fma_f64 v[6:7], -v[6:7], v[20:21], v[18:19]
	v_div_fmas_f64 v[6:7], v[6:7], v[16:17], v[20:21]
	v_div_fixup_f64 v[6:7], v[6:7], v[2:3], v[0:1]
	v_fmac_f64_e32 v[2:3], v[0:1], v[6:7]
	v_div_scale_f64 v[0:1], s[4:5], v[2:3], v[2:3], 1.0
	v_rcp_f64_e32 v[16:17], v[0:1]
	s_nop 0
	v_fma_f64 v[18:19], -v[0:1], v[16:17], 1.0
	v_fmac_f64_e32 v[16:17], v[16:17], v[18:19]
	v_fma_f64 v[18:19], -v[0:1], v[16:17], 1.0
	v_fmac_f64_e32 v[16:17], v[16:17], v[18:19]
	v_div_scale_f64 v[18:19], vcc, 1.0, v[2:3], 1.0
	v_mul_f64 v[20:21], v[18:19], v[16:17]
	v_fma_f64 v[0:1], -v[0:1], v[20:21], v[18:19]
	s_nop 1
	v_div_fmas_f64 v[0:1], v[0:1], v[16:17], v[20:21]
	v_div_fixup_f64 v[2:3], v[0:1], v[2:3], 1.0
	v_mul_f64 v[0:1], v[6:7], v[2:3]
	v_xor_b32_e32 v3, 0x80000000, v3
.LBB122_996:
	s_andn2_saveexec_b64 s[12:13], s[12:13]
	s_cbranch_execz .LBB122_998
; %bb.997:
	v_div_scale_f64 v[6:7], s[4:5], v[0:1], v[0:1], v[2:3]
	v_rcp_f64_e32 v[16:17], v[6:7]
	v_div_scale_f64 v[18:19], vcc, v[2:3], v[0:1], v[2:3]
	v_fma_f64 v[20:21], -v[6:7], v[16:17], 1.0
	v_fmac_f64_e32 v[16:17], v[16:17], v[20:21]
	v_fma_f64 v[20:21], -v[6:7], v[16:17], 1.0
	v_fmac_f64_e32 v[16:17], v[16:17], v[20:21]
	v_mul_f64 v[20:21], v[18:19], v[16:17]
	v_fma_f64 v[6:7], -v[6:7], v[20:21], v[18:19]
	v_div_fmas_f64 v[6:7], v[6:7], v[16:17], v[20:21]
	v_div_fixup_f64 v[6:7], v[6:7], v[0:1], v[2:3]
	v_fmac_f64_e32 v[0:1], v[2:3], v[6:7]
	v_div_scale_f64 v[2:3], s[4:5], v[0:1], v[0:1], 1.0
	v_rcp_f64_e32 v[16:17], v[2:3]
	s_nop 0
	v_fma_f64 v[18:19], -v[2:3], v[16:17], 1.0
	v_fmac_f64_e32 v[16:17], v[16:17], v[18:19]
	v_fma_f64 v[18:19], -v[2:3], v[16:17], 1.0
	v_fmac_f64_e32 v[16:17], v[16:17], v[18:19]
	v_div_scale_f64 v[18:19], vcc, 1.0, v[0:1], 1.0
	v_mul_f64 v[20:21], v[18:19], v[16:17]
	v_fma_f64 v[2:3], -v[2:3], v[20:21], v[18:19]
	s_nop 1
	v_div_fmas_f64 v[2:3], v[2:3], v[16:17], v[20:21]
	v_div_fixup_f64 v[0:1], v[2:3], v[0:1], 1.0
	v_mul_f64 v[2:3], v[6:7], -v[0:1]
.LBB122_998:
	s_or_b64 exec, exec, s[12:13]
.LBB122_999:
	s_or_b64 exec, exec, s[0:1]
	v_cmp_ne_u32_e32 vcc, v15, v4
	s_and_saveexec_b64 s[0:1], vcc
	s_xor_b64 s[0:1], exec, s[0:1]
	s_cbranch_execz .LBB122_1005
; %bb.1000:
	v_cmp_eq_u32_e32 vcc, 42, v15
	s_and_saveexec_b64 s[12:13], vcc
	s_cbranch_execz .LBB122_1004
; %bb.1001:
	v_cmp_ne_u32_e32 vcc, 42, v4
	s_xor_b64 s[4:5], s[18:19], -1
	s_and_b64 s[4:5], s[4:5], vcc
	s_and_saveexec_b64 s[14:15], s[4:5]
	s_cbranch_execz .LBB122_1003
; %bb.1002:
	v_ashrrev_i32_e32 v5, 31, v4
	v_lshl_add_u64 v[6:7], v[4:5], 2, v[10:11]
	global_load_dword v5, v[6:7], off
	global_load_dword v14, v[10:11], off offset:168
	s_waitcnt vmcnt(1)
	global_store_dword v[10:11], v5, off offset:168
	s_waitcnt vmcnt(1)
	global_store_dword v[6:7], v14, off
.LBB122_1003:
	s_or_b64 exec, exec, s[14:15]
	v_mov_b32_e32 v15, v4
	v_mov_b32_e32 v14, v4
.LBB122_1004:
	s_or_b64 exec, exec, s[12:13]
.LBB122_1005:
	s_andn2_saveexec_b64 s[0:1], s[0:1]
	s_cbranch_execz .LBB122_1007
; %bb.1006:
	scratch_load_dwordx4 v[4:7], off, s38
	scratch_load_dwordx4 v[16:19], off, s37
	;; [unrolled: 1-line block ×19, first 2 shown]
	v_mov_b32_e32 v15, 42
	s_waitcnt vmcnt(18)
	ds_write2_b64 v12, v[4:5], v[6:7] offset0:86 offset1:87
	s_waitcnt vmcnt(17)
	ds_write2_b64 v12, v[16:17], v[18:19] offset0:88 offset1:89
	;; [unrolled: 2-line block ×19, first 2 shown]
.LBB122_1007:
	s_or_b64 exec, exec, s[0:1]
	v_cmp_lt_i32_e32 vcc, 42, v15
	s_waitcnt lgkmcnt(0)
	s_barrier
	s_and_saveexec_b64 s[0:1], vcc
	s_cbranch_execz .LBB122_1009
; %bb.1008:
	scratch_load_dwordx4 v[4:7], off, off offset:672
	s_waitcnt vmcnt(0)
	v_mul_f64 v[16:17], v[2:3], v[6:7]
	v_mul_f64 v[18:19], v[0:1], v[6:7]
	v_fma_f64 v[16:17], v[0:1], v[4:5], -v[16:17]
	v_fmac_f64_e32 v[18:19], v[2:3], v[4:5]
	ds_read2_b64 v[0:3], v12 offset0:86 offset1:87
	scratch_store_dwordx4 off, v[16:19], off offset:672
	s_waitcnt lgkmcnt(0)
	v_mul_f64 v[4:5], v[2:3], v[18:19]
	v_mul_f64 v[6:7], v[0:1], v[18:19]
	v_fma_f64 v[4:5], v[0:1], v[16:17], -v[4:5]
	v_fmac_f64_e32 v[6:7], v[2:3], v[16:17]
	scratch_load_dwordx4 v[0:3], off, off offset:688
	s_waitcnt vmcnt(0)
	v_add_f64 v[0:1], v[0:1], -v[4:5]
	v_add_f64 v[2:3], v[2:3], -v[6:7]
	scratch_store_dwordx4 off, v[0:3], off offset:688
	ds_read2_b64 v[0:3], v12 offset0:88 offset1:89
	s_waitcnt lgkmcnt(0)
	v_mul_f64 v[4:5], v[2:3], v[18:19]
	v_mul_f64 v[6:7], v[0:1], v[18:19]
	v_fma_f64 v[4:5], v[0:1], v[16:17], -v[4:5]
	v_fmac_f64_e32 v[6:7], v[2:3], v[16:17]
	scratch_load_dwordx4 v[0:3], off, off offset:704
	s_waitcnt vmcnt(0)
	v_add_f64 v[0:1], v[0:1], -v[4:5]
	v_add_f64 v[2:3], v[2:3], -v[6:7]
	scratch_store_dwordx4 off, v[0:3], off offset:704
	ds_read2_b64 v[0:3], v12 offset0:90 offset1:91
	s_waitcnt lgkmcnt(0)
	v_mul_f64 v[4:5], v[2:3], v[18:19]
	v_mul_f64 v[6:7], v[0:1], v[18:19]
	v_fma_f64 v[4:5], v[0:1], v[16:17], -v[4:5]
	v_fmac_f64_e32 v[6:7], v[2:3], v[16:17]
	scratch_load_dwordx4 v[0:3], off, off offset:720
	s_waitcnt vmcnt(0)
	v_add_f64 v[0:1], v[0:1], -v[4:5]
	v_add_f64 v[2:3], v[2:3], -v[6:7]
	scratch_store_dwordx4 off, v[0:3], off offset:720
	ds_read2_b64 v[0:3], v12 offset0:92 offset1:93
	s_waitcnt lgkmcnt(0)
	v_mul_f64 v[4:5], v[2:3], v[18:19]
	v_mul_f64 v[6:7], v[0:1], v[18:19]
	v_fma_f64 v[4:5], v[0:1], v[16:17], -v[4:5]
	v_fmac_f64_e32 v[6:7], v[2:3], v[16:17]
	scratch_load_dwordx4 v[0:3], off, off offset:736
	s_waitcnt vmcnt(0)
	v_add_f64 v[0:1], v[0:1], -v[4:5]
	v_add_f64 v[2:3], v[2:3], -v[6:7]
	scratch_store_dwordx4 off, v[0:3], off offset:736
	ds_read2_b64 v[0:3], v12 offset0:94 offset1:95
	s_waitcnt lgkmcnt(0)
	v_mul_f64 v[4:5], v[2:3], v[18:19]
	v_mul_f64 v[6:7], v[0:1], v[18:19]
	v_fma_f64 v[4:5], v[0:1], v[16:17], -v[4:5]
	v_fmac_f64_e32 v[6:7], v[2:3], v[16:17]
	scratch_load_dwordx4 v[0:3], off, off offset:752
	s_waitcnt vmcnt(0)
	v_add_f64 v[0:1], v[0:1], -v[4:5]
	v_add_f64 v[2:3], v[2:3], -v[6:7]
	scratch_store_dwordx4 off, v[0:3], off offset:752
	ds_read2_b64 v[0:3], v12 offset0:96 offset1:97
	s_waitcnt lgkmcnt(0)
	v_mul_f64 v[4:5], v[2:3], v[18:19]
	v_mul_f64 v[6:7], v[0:1], v[18:19]
	v_fma_f64 v[4:5], v[0:1], v[16:17], -v[4:5]
	v_fmac_f64_e32 v[6:7], v[2:3], v[16:17]
	scratch_load_dwordx4 v[0:3], off, off offset:768
	s_waitcnt vmcnt(0)
	v_add_f64 v[0:1], v[0:1], -v[4:5]
	v_add_f64 v[2:3], v[2:3], -v[6:7]
	scratch_store_dwordx4 off, v[0:3], off offset:768
	ds_read2_b64 v[4:7], v12 offset0:98 offset1:99
	scratch_load_dwordx2 v[16:17], off, off offset:672
	scratch_load_dwordx4 v[0:3], off, off offset:672
	s_waitcnt vmcnt(0) lgkmcnt(0)
	v_mul_f64 v[18:19], v[6:7], v[2:3]
	v_mul_f64 v[20:21], v[4:5], v[2:3]
	v_fma_f64 v[18:19], v[4:5], v[16:17], -v[18:19]
	v_fmac_f64_e32 v[20:21], v[6:7], v[16:17]
	scratch_load_dwordx4 v[4:7], off, off offset:784
	s_waitcnt vmcnt(0)
	v_add_f64 v[4:5], v[4:5], -v[18:19]
	v_add_f64 v[6:7], v[6:7], -v[20:21]
	scratch_store_dwordx4 off, v[4:7], off offset:784
	ds_read2_b64 v[4:7], v12 offset0:100 offset1:101
	s_waitcnt lgkmcnt(0)
	v_mul_f64 v[18:19], v[6:7], v[2:3]
	v_mul_f64 v[20:21], v[4:5], v[2:3]
	v_fma_f64 v[18:19], v[4:5], v[16:17], -v[18:19]
	v_fmac_f64_e32 v[20:21], v[6:7], v[16:17]
	scratch_load_dwordx4 v[4:7], off, off offset:800
	s_waitcnt vmcnt(0)
	v_add_f64 v[4:5], v[4:5], -v[18:19]
	v_add_f64 v[6:7], v[6:7], -v[20:21]
	scratch_store_dwordx4 off, v[4:7], off offset:800
	ds_read2_b64 v[4:7], v12 offset0:102 offset1:103
	s_waitcnt lgkmcnt(0)
	;; [unrolled: 11-line block ×5, first 2 shown]
	v_mul_f64 v[18:19], v[6:7], v[2:3]
	v_fma_f64 v[18:19], v[4:5], v[16:17], -v[18:19]
	v_mul_f64 v[20:21], v[4:5], v[2:3]
	scratch_load_dwordx4 v[2:5], off, off offset:864
	v_fmac_f64_e32 v[20:21], v[6:7], v[16:17]
	s_waitcnt vmcnt(0)
	v_add_f64 v[2:3], v[2:3], -v[18:19]
	v_add_f64 v[4:5], v[4:5], -v[20:21]
	scratch_store_dwordx4 off, v[2:5], off offset:864
	ds_read2_b64 v[16:19], v12 offset0:110 offset1:111
	scratch_load_dwordx2 v[2:3], off, off offset:672
	scratch_load_dwordx2 v[4:5], off, off offset:680
	s_waitcnt vmcnt(0) lgkmcnt(0)
	v_mul_f64 v[6:7], v[18:19], v[4:5]
	v_mul_f64 v[20:21], v[16:17], v[4:5]
	v_fma_f64 v[6:7], v[16:17], v[2:3], -v[6:7]
	v_fmac_f64_e32 v[20:21], v[18:19], v[2:3]
	scratch_load_dwordx4 v[16:19], off, off offset:880
	s_waitcnt vmcnt(0)
	v_add_f64 v[16:17], v[16:17], -v[6:7]
	v_add_f64 v[18:19], v[18:19], -v[20:21]
	scratch_store_dwordx4 off, v[16:19], off offset:880
	ds_read2_b64 v[16:19], v12 offset0:112 offset1:113
	s_waitcnt lgkmcnt(0)
	v_mul_f64 v[6:7], v[18:19], v[4:5]
	v_mul_f64 v[20:21], v[16:17], v[4:5]
	v_fma_f64 v[6:7], v[16:17], v[2:3], -v[6:7]
	v_fmac_f64_e32 v[20:21], v[18:19], v[2:3]
	scratch_load_dwordx4 v[16:19], off, off offset:896
	s_waitcnt vmcnt(0)
	v_add_f64 v[16:17], v[16:17], -v[6:7]
	v_add_f64 v[18:19], v[18:19], -v[20:21]
	scratch_store_dwordx4 off, v[16:19], off offset:896
	ds_read2_b64 v[16:19], v12 offset0:114 offset1:115
	s_waitcnt lgkmcnt(0)
	;; [unrolled: 11-line block ×5, first 2 shown]
	v_mul_f64 v[6:7], v[18:19], v[4:5]
	v_fma_f64 v[6:7], v[16:17], v[2:3], -v[6:7]
	v_mul_f64 v[16:17], v[16:17], v[4:5]
	v_fmac_f64_e32 v[16:17], v[18:19], v[2:3]
	scratch_load_dwordx4 v[2:5], off, off offset:960
	s_waitcnt vmcnt(0)
	v_add_f64 v[2:3], v[2:3], -v[6:7]
	scratch_load_dwordx2 v[6:7], off, off offset:680
	v_add_f64 v[4:5], v[4:5], -v[16:17]
	scratch_store_dwordx4 off, v[2:5], off offset:960
	ds_read2_b64 v[2:5], v12 offset0:122 offset1:123
	s_waitcnt vmcnt(1) lgkmcnt(0)
	v_mul_f64 v[16:17], v[4:5], v[6:7]
	v_mul_f64 v[6:7], v[2:3], v[6:7]
	v_fma_f64 v[16:17], v[2:3], v[0:1], -v[16:17]
	v_fmac_f64_e32 v[6:7], v[4:5], v[0:1]
	scratch_load_dwordx4 v[0:3], off, off offset:976
	s_waitcnt vmcnt(0)
	v_add_f64 v[0:1], v[0:1], -v[16:17]
	v_add_f64 v[2:3], v[2:3], -v[6:7]
	scratch_store_dwordx4 off, v[0:3], off offset:976
.LBB122_1009:
	s_or_b64 exec, exec, s[0:1]
	s_barrier
	scratch_load_dwordx4 v[0:3], off, s38
	v_lshl_add_u32 v4, v15, 4, v12
	s_cmp_lt_i32 s66, 45
	s_waitcnt vmcnt(0)
	ds_write2_b64 v4, v[0:1], v[2:3] offset1:1
	s_waitcnt lgkmcnt(0)
	s_barrier
	ds_read2_b64 v[0:3], v12 offset0:86 offset1:87
	v_mov_b32_e32 v4, 43
	s_cbranch_scc1 .LBB122_1012
; %bb.1010:
	v_add_u32_e32 v5, 0x2c0, v12
	s_mov_b32 s4, 44
	v_mov_b32_e32 v4, 43
.LBB122_1011:                           ; =>This Inner Loop Header: Depth=1
	ds_read2_b64 v[16:19], v5 offset1:1
	s_waitcnt lgkmcnt(1)
	v_xor_b32_e32 v7, 0x80000000, v1
	v_xor_b32_e32 v21, 0x80000000, v3
	v_cmp_gt_f64_e32 vcc, 0, v[2:3]
	v_cmp_gt_f64_e64 s[0:1], 0, v[0:1]
	v_mov_b32_e32 v6, v0
	v_mov_b32_e32 v20, v2
	v_cndmask_b32_e64 v7, v1, v7, s[0:1]
	v_cndmask_b32_e32 v21, v3, v21, vcc
	v_add_f64 v[6:7], v[6:7], v[20:21]
	s_waitcnt lgkmcnt(0)
	v_xor_b32_e32 v21, 0x80000000, v17
	v_xor_b32_e32 v23, 0x80000000, v19
	v_cmp_gt_f64_e32 vcc, 0, v[18:19]
	v_cmp_gt_f64_e64 s[0:1], 0, v[16:17]
	v_mov_b32_e32 v20, v16
	v_mov_b32_e32 v22, v18
	v_cndmask_b32_e64 v21, v17, v21, s[0:1]
	v_cndmask_b32_e32 v23, v19, v23, vcc
	v_add_f64 v[20:21], v[20:21], v[22:23]
	v_mov_b32_e32 v24, s4
	s_add_i32 s4, s4, 1
	v_cmp_lt_f64_e32 vcc, v[6:7], v[20:21]
	v_add_u32_e32 v5, 16, v5
	s_cmp_lg_u32 s66, s4
	v_cndmask_b32_e32 v1, v1, v17, vcc
	v_cndmask_b32_e32 v0, v0, v16, vcc
	;; [unrolled: 1-line block ×5, first 2 shown]
	s_cbranch_scc1 .LBB122_1011
.LBB122_1012:
	s_waitcnt lgkmcnt(0)
	v_cmp_eq_f64_e32 vcc, 0, v[0:1]
	v_cmp_eq_f64_e64 s[0:1], 0, v[2:3]
	s_and_b64 s[0:1], vcc, s[0:1]
	s_and_saveexec_b64 s[4:5], s[0:1]
	s_xor_b64 s[0:1], exec, s[4:5]
; %bb.1013:
	v_cmp_ne_u32_e32 vcc, 0, v13
	s_nop 1
	v_cndmask_b32_e32 v13, 44, v13, vcc
; %bb.1014:
	s_andn2_saveexec_b64 s[0:1], s[0:1]
	s_cbranch_execz .LBB122_1020
; %bb.1015:
	v_cmp_ngt_f64_e64 s[4:5], |v[0:1]|, |v[2:3]|
	s_and_saveexec_b64 s[12:13], s[4:5]
	s_xor_b64 s[12:13], exec, s[12:13]
	s_cbranch_execz .LBB122_1017
; %bb.1016:
	v_div_scale_f64 v[6:7], s[4:5], v[2:3], v[2:3], v[0:1]
	v_rcp_f64_e32 v[16:17], v[6:7]
	v_div_scale_f64 v[18:19], vcc, v[0:1], v[2:3], v[0:1]
	v_fma_f64 v[20:21], -v[6:7], v[16:17], 1.0
	v_fmac_f64_e32 v[16:17], v[16:17], v[20:21]
	v_fma_f64 v[20:21], -v[6:7], v[16:17], 1.0
	v_fmac_f64_e32 v[16:17], v[16:17], v[20:21]
	v_mul_f64 v[20:21], v[18:19], v[16:17]
	v_fma_f64 v[6:7], -v[6:7], v[20:21], v[18:19]
	v_div_fmas_f64 v[6:7], v[6:7], v[16:17], v[20:21]
	v_div_fixup_f64 v[6:7], v[6:7], v[2:3], v[0:1]
	v_fmac_f64_e32 v[2:3], v[0:1], v[6:7]
	v_div_scale_f64 v[0:1], s[4:5], v[2:3], v[2:3], 1.0
	v_rcp_f64_e32 v[16:17], v[0:1]
	s_nop 0
	v_fma_f64 v[18:19], -v[0:1], v[16:17], 1.0
	v_fmac_f64_e32 v[16:17], v[16:17], v[18:19]
	v_fma_f64 v[18:19], -v[0:1], v[16:17], 1.0
	v_fmac_f64_e32 v[16:17], v[16:17], v[18:19]
	v_div_scale_f64 v[18:19], vcc, 1.0, v[2:3], 1.0
	v_mul_f64 v[20:21], v[18:19], v[16:17]
	v_fma_f64 v[0:1], -v[0:1], v[20:21], v[18:19]
	s_nop 1
	v_div_fmas_f64 v[0:1], v[0:1], v[16:17], v[20:21]
	v_div_fixup_f64 v[2:3], v[0:1], v[2:3], 1.0
	v_mul_f64 v[0:1], v[6:7], v[2:3]
	v_xor_b32_e32 v3, 0x80000000, v3
.LBB122_1017:
	s_andn2_saveexec_b64 s[12:13], s[12:13]
	s_cbranch_execz .LBB122_1019
; %bb.1018:
	v_div_scale_f64 v[6:7], s[4:5], v[0:1], v[0:1], v[2:3]
	v_rcp_f64_e32 v[16:17], v[6:7]
	v_div_scale_f64 v[18:19], vcc, v[2:3], v[0:1], v[2:3]
	v_fma_f64 v[20:21], -v[6:7], v[16:17], 1.0
	v_fmac_f64_e32 v[16:17], v[16:17], v[20:21]
	v_fma_f64 v[20:21], -v[6:7], v[16:17], 1.0
	v_fmac_f64_e32 v[16:17], v[16:17], v[20:21]
	v_mul_f64 v[20:21], v[18:19], v[16:17]
	v_fma_f64 v[6:7], -v[6:7], v[20:21], v[18:19]
	v_div_fmas_f64 v[6:7], v[6:7], v[16:17], v[20:21]
	v_div_fixup_f64 v[6:7], v[6:7], v[0:1], v[2:3]
	v_fmac_f64_e32 v[0:1], v[2:3], v[6:7]
	v_div_scale_f64 v[2:3], s[4:5], v[0:1], v[0:1], 1.0
	v_rcp_f64_e32 v[16:17], v[2:3]
	s_nop 0
	v_fma_f64 v[18:19], -v[2:3], v[16:17], 1.0
	v_fmac_f64_e32 v[16:17], v[16:17], v[18:19]
	v_fma_f64 v[18:19], -v[2:3], v[16:17], 1.0
	v_fmac_f64_e32 v[16:17], v[16:17], v[18:19]
	v_div_scale_f64 v[18:19], vcc, 1.0, v[0:1], 1.0
	v_mul_f64 v[20:21], v[18:19], v[16:17]
	v_fma_f64 v[2:3], -v[2:3], v[20:21], v[18:19]
	s_nop 1
	v_div_fmas_f64 v[2:3], v[2:3], v[16:17], v[20:21]
	v_div_fixup_f64 v[0:1], v[2:3], v[0:1], 1.0
	v_mul_f64 v[2:3], v[6:7], -v[0:1]
.LBB122_1019:
	s_or_b64 exec, exec, s[12:13]
.LBB122_1020:
	s_or_b64 exec, exec, s[0:1]
	v_cmp_ne_u32_e32 vcc, v15, v4
	s_and_saveexec_b64 s[0:1], vcc
	s_xor_b64 s[0:1], exec, s[0:1]
	s_cbranch_execz .LBB122_1026
; %bb.1021:
	v_cmp_eq_u32_e32 vcc, 43, v15
	s_and_saveexec_b64 s[12:13], vcc
	s_cbranch_execz .LBB122_1025
; %bb.1022:
	v_cmp_ne_u32_e32 vcc, 43, v4
	s_xor_b64 s[4:5], s[18:19], -1
	s_and_b64 s[4:5], s[4:5], vcc
	s_and_saveexec_b64 s[14:15], s[4:5]
	s_cbranch_execz .LBB122_1024
; %bb.1023:
	v_ashrrev_i32_e32 v5, 31, v4
	v_lshl_add_u64 v[6:7], v[4:5], 2, v[10:11]
	global_load_dword v5, v[6:7], off
	global_load_dword v14, v[10:11], off offset:172
	s_waitcnt vmcnt(1)
	global_store_dword v[10:11], v5, off offset:172
	s_waitcnt vmcnt(1)
	global_store_dword v[6:7], v14, off
.LBB122_1024:
	s_or_b64 exec, exec, s[14:15]
	v_mov_b32_e32 v15, v4
	v_mov_b32_e32 v14, v4
.LBB122_1025:
	s_or_b64 exec, exec, s[12:13]
.LBB122_1026:
	s_andn2_saveexec_b64 s[0:1], s[0:1]
	s_cbranch_execz .LBB122_1028
; %bb.1027:
	scratch_load_dwordx4 v[4:7], off, s37
	scratch_load_dwordx4 v[16:19], off, s36
	;; [unrolled: 1-line block ×18, first 2 shown]
	v_mov_b32_e32 v15, 43
	s_waitcnt vmcnt(17)
	ds_write2_b64 v12, v[4:5], v[6:7] offset0:88 offset1:89
	s_waitcnt vmcnt(16)
	ds_write2_b64 v12, v[16:17], v[18:19] offset0:90 offset1:91
	;; [unrolled: 2-line block ×18, first 2 shown]
.LBB122_1028:
	s_or_b64 exec, exec, s[0:1]
	v_cmp_lt_i32_e32 vcc, 43, v15
	s_waitcnt lgkmcnt(0)
	s_barrier
	s_and_saveexec_b64 s[0:1], vcc
	s_cbranch_execz .LBB122_1030
; %bb.1029:
	scratch_load_dwordx4 v[4:7], off, off offset:688
	s_waitcnt vmcnt(0)
	v_mul_f64 v[16:17], v[2:3], v[6:7]
	v_mul_f64 v[18:19], v[0:1], v[6:7]
	v_fma_f64 v[16:17], v[0:1], v[4:5], -v[16:17]
	v_fmac_f64_e32 v[18:19], v[2:3], v[4:5]
	ds_read2_b64 v[0:3], v12 offset0:88 offset1:89
	scratch_store_dwordx4 off, v[16:19], off offset:688
	s_waitcnt lgkmcnt(0)
	v_mul_f64 v[4:5], v[2:3], v[18:19]
	v_mul_f64 v[6:7], v[0:1], v[18:19]
	v_fma_f64 v[4:5], v[0:1], v[16:17], -v[4:5]
	v_fmac_f64_e32 v[6:7], v[2:3], v[16:17]
	scratch_load_dwordx4 v[0:3], off, off offset:704
	s_waitcnt vmcnt(0)
	v_add_f64 v[0:1], v[0:1], -v[4:5]
	v_add_f64 v[2:3], v[2:3], -v[6:7]
	scratch_store_dwordx4 off, v[0:3], off offset:704
	ds_read2_b64 v[0:3], v12 offset0:90 offset1:91
	s_waitcnt lgkmcnt(0)
	v_mul_f64 v[4:5], v[2:3], v[18:19]
	v_mul_f64 v[6:7], v[0:1], v[18:19]
	v_fma_f64 v[4:5], v[0:1], v[16:17], -v[4:5]
	v_fmac_f64_e32 v[6:7], v[2:3], v[16:17]
	scratch_load_dwordx4 v[0:3], off, off offset:720
	s_waitcnt vmcnt(0)
	v_add_f64 v[0:1], v[0:1], -v[4:5]
	v_add_f64 v[2:3], v[2:3], -v[6:7]
	scratch_store_dwordx4 off, v[0:3], off offset:720
	ds_read2_b64 v[0:3], v12 offset0:92 offset1:93
	;; [unrolled: 11-line block ×6, first 2 shown]
	scratch_load_dwordx2 v[16:17], off, off offset:688
	scratch_load_dwordx4 v[0:3], off, off offset:688
	s_waitcnt vmcnt(0) lgkmcnt(0)
	v_mul_f64 v[18:19], v[6:7], v[2:3]
	v_mul_f64 v[20:21], v[4:5], v[2:3]
	v_fma_f64 v[18:19], v[4:5], v[16:17], -v[18:19]
	v_fmac_f64_e32 v[20:21], v[6:7], v[16:17]
	scratch_load_dwordx4 v[4:7], off, off offset:800
	s_waitcnt vmcnt(0)
	v_add_f64 v[4:5], v[4:5], -v[18:19]
	v_add_f64 v[6:7], v[6:7], -v[20:21]
	scratch_store_dwordx4 off, v[4:7], off offset:800
	ds_read2_b64 v[4:7], v12 offset0:102 offset1:103
	s_waitcnt lgkmcnt(0)
	v_mul_f64 v[18:19], v[6:7], v[2:3]
	v_mul_f64 v[20:21], v[4:5], v[2:3]
	v_fma_f64 v[18:19], v[4:5], v[16:17], -v[18:19]
	v_fmac_f64_e32 v[20:21], v[6:7], v[16:17]
	scratch_load_dwordx4 v[4:7], off, off offset:816
	s_waitcnt vmcnt(0)
	v_add_f64 v[4:5], v[4:5], -v[18:19]
	v_add_f64 v[6:7], v[6:7], -v[20:21]
	scratch_store_dwordx4 off, v[4:7], off offset:816
	ds_read2_b64 v[4:7], v12 offset0:104 offset1:105
	s_waitcnt lgkmcnt(0)
	;; [unrolled: 11-line block ×5, first 2 shown]
	v_mul_f64 v[18:19], v[6:7], v[2:3]
	v_fma_f64 v[18:19], v[4:5], v[16:17], -v[18:19]
	v_mul_f64 v[20:21], v[4:5], v[2:3]
	scratch_load_dwordx4 v[2:5], off, off offset:880
	v_fmac_f64_e32 v[20:21], v[6:7], v[16:17]
	s_waitcnt vmcnt(0)
	v_add_f64 v[2:3], v[2:3], -v[18:19]
	v_add_f64 v[4:5], v[4:5], -v[20:21]
	scratch_store_dwordx4 off, v[2:5], off offset:880
	scratch_load_dwordx2 v[2:3], off, off offset:696
	ds_read2_b64 v[4:7], v12 offset0:112 offset1:113
	s_waitcnt vmcnt(0) lgkmcnt(0)
	v_mul_f64 v[16:17], v[6:7], v[2:3]
	v_mul_f64 v[18:19], v[4:5], v[2:3]
	v_fma_f64 v[16:17], v[4:5], v[0:1], -v[16:17]
	v_fmac_f64_e32 v[18:19], v[6:7], v[0:1]
	scratch_load_dwordx4 v[4:7], off, off offset:896
	s_waitcnt vmcnt(0)
	v_add_f64 v[4:5], v[4:5], -v[16:17]
	v_add_f64 v[6:7], v[6:7], -v[18:19]
	scratch_store_dwordx4 off, v[4:7], off offset:896
	ds_read2_b64 v[4:7], v12 offset0:114 offset1:115
	s_waitcnt lgkmcnt(0)
	v_mul_f64 v[16:17], v[6:7], v[2:3]
	v_mul_f64 v[18:19], v[4:5], v[2:3]
	v_fma_f64 v[16:17], v[4:5], v[0:1], -v[16:17]
	v_fmac_f64_e32 v[18:19], v[6:7], v[0:1]
	scratch_load_dwordx4 v[4:7], off, off offset:912
	s_waitcnt vmcnt(0)
	v_add_f64 v[4:5], v[4:5], -v[16:17]
	v_add_f64 v[6:7], v[6:7], -v[18:19]
	scratch_store_dwordx4 off, v[4:7], off offset:912
	ds_read2_b64 v[4:7], v12 offset0:116 offset1:117
	s_waitcnt lgkmcnt(0)
	v_mul_f64 v[16:17], v[6:7], v[2:3]
	v_mul_f64 v[18:19], v[4:5], v[2:3]
	v_fma_f64 v[16:17], v[4:5], v[0:1], -v[16:17]
	v_fmac_f64_e32 v[18:19], v[6:7], v[0:1]
	scratch_load_dwordx4 v[4:7], off, off offset:928
	s_waitcnt vmcnt(0)
	v_add_f64 v[4:5], v[4:5], -v[16:17]
	v_add_f64 v[6:7], v[6:7], -v[18:19]
	scratch_store_dwordx4 off, v[4:7], off offset:928
	ds_read2_b64 v[4:7], v12 offset0:118 offset1:119
	s_waitcnt lgkmcnt(0)
	v_mul_f64 v[16:17], v[6:7], v[2:3]
	v_mul_f64 v[18:19], v[4:5], v[2:3]
	v_fma_f64 v[16:17], v[4:5], v[0:1], -v[16:17]
	v_fmac_f64_e32 v[18:19], v[6:7], v[0:1]
	scratch_load_dwordx4 v[4:7], off, off offset:944
	s_waitcnt vmcnt(0)
	v_add_f64 v[4:5], v[4:5], -v[16:17]
	v_add_f64 v[6:7], v[6:7], -v[18:19]
	scratch_store_dwordx4 off, v[4:7], off offset:944
	ds_read2_b64 v[4:7], v12 offset0:120 offset1:121
	s_waitcnt lgkmcnt(0)
	v_mul_f64 v[16:17], v[6:7], v[2:3]
	v_mul_f64 v[18:19], v[4:5], v[2:3]
	v_fma_f64 v[16:17], v[4:5], v[0:1], -v[16:17]
	v_fmac_f64_e32 v[18:19], v[6:7], v[0:1]
	scratch_load_dwordx4 v[4:7], off, off offset:960
	s_waitcnt vmcnt(0)
	v_add_f64 v[4:5], v[4:5], -v[16:17]
	v_add_f64 v[6:7], v[6:7], -v[18:19]
	scratch_store_dwordx4 off, v[4:7], off offset:960
	ds_read2_b64 v[4:7], v12 offset0:122 offset1:123
	s_waitcnt lgkmcnt(0)
	v_mul_f64 v[16:17], v[6:7], v[2:3]
	v_fma_f64 v[16:17], v[4:5], v[0:1], -v[16:17]
	v_mul_f64 v[4:5], v[4:5], v[2:3]
	v_fmac_f64_e32 v[4:5], v[6:7], v[0:1]
	scratch_load_dwordx4 v[0:3], off, off offset:976
	s_waitcnt vmcnt(0)
	v_add_f64 v[0:1], v[0:1], -v[16:17]
	v_add_f64 v[2:3], v[2:3], -v[4:5]
	scratch_store_dwordx4 off, v[0:3], off offset:976
.LBB122_1030:
	s_or_b64 exec, exec, s[0:1]
	s_barrier
	scratch_load_dwordx4 v[0:3], off, s37
	v_lshl_add_u32 v4, v15, 4, v12
	s_cmp_lt_i32 s66, 46
	s_waitcnt vmcnt(0)
	ds_write2_b64 v4, v[0:1], v[2:3] offset1:1
	s_waitcnt lgkmcnt(0)
	s_barrier
	ds_read2_b64 v[0:3], v12 offset0:88 offset1:89
	v_mov_b32_e32 v4, 44
	s_cbranch_scc1 .LBB122_1033
; %bb.1031:
	v_add_u32_e32 v5, 0x2d0, v12
	s_mov_b32 s4, 45
	v_mov_b32_e32 v4, 44
.LBB122_1032:                           ; =>This Inner Loop Header: Depth=1
	ds_read2_b64 v[16:19], v5 offset1:1
	s_waitcnt lgkmcnt(1)
	v_xor_b32_e32 v7, 0x80000000, v1
	v_xor_b32_e32 v21, 0x80000000, v3
	v_cmp_gt_f64_e32 vcc, 0, v[2:3]
	v_cmp_gt_f64_e64 s[0:1], 0, v[0:1]
	v_mov_b32_e32 v6, v0
	v_mov_b32_e32 v20, v2
	v_cndmask_b32_e64 v7, v1, v7, s[0:1]
	v_cndmask_b32_e32 v21, v3, v21, vcc
	v_add_f64 v[6:7], v[6:7], v[20:21]
	s_waitcnt lgkmcnt(0)
	v_xor_b32_e32 v21, 0x80000000, v17
	v_xor_b32_e32 v23, 0x80000000, v19
	v_cmp_gt_f64_e32 vcc, 0, v[18:19]
	v_cmp_gt_f64_e64 s[0:1], 0, v[16:17]
	v_mov_b32_e32 v20, v16
	v_mov_b32_e32 v22, v18
	v_cndmask_b32_e64 v21, v17, v21, s[0:1]
	v_cndmask_b32_e32 v23, v19, v23, vcc
	v_add_f64 v[20:21], v[20:21], v[22:23]
	v_mov_b32_e32 v24, s4
	s_add_i32 s4, s4, 1
	v_cmp_lt_f64_e32 vcc, v[6:7], v[20:21]
	v_add_u32_e32 v5, 16, v5
	s_cmp_lg_u32 s66, s4
	v_cndmask_b32_e32 v1, v1, v17, vcc
	v_cndmask_b32_e32 v0, v0, v16, vcc
	;; [unrolled: 1-line block ×5, first 2 shown]
	s_cbranch_scc1 .LBB122_1032
.LBB122_1033:
	s_waitcnt lgkmcnt(0)
	v_cmp_eq_f64_e32 vcc, 0, v[0:1]
	v_cmp_eq_f64_e64 s[0:1], 0, v[2:3]
	s_and_b64 s[0:1], vcc, s[0:1]
	s_and_saveexec_b64 s[4:5], s[0:1]
	s_xor_b64 s[0:1], exec, s[4:5]
; %bb.1034:
	v_cmp_ne_u32_e32 vcc, 0, v13
	s_nop 1
	v_cndmask_b32_e32 v13, 45, v13, vcc
; %bb.1035:
	s_andn2_saveexec_b64 s[0:1], s[0:1]
	s_cbranch_execz .LBB122_1041
; %bb.1036:
	v_cmp_ngt_f64_e64 s[4:5], |v[0:1]|, |v[2:3]|
	s_and_saveexec_b64 s[12:13], s[4:5]
	s_xor_b64 s[12:13], exec, s[12:13]
	s_cbranch_execz .LBB122_1038
; %bb.1037:
	v_div_scale_f64 v[6:7], s[4:5], v[2:3], v[2:3], v[0:1]
	v_rcp_f64_e32 v[16:17], v[6:7]
	v_div_scale_f64 v[18:19], vcc, v[0:1], v[2:3], v[0:1]
	v_fma_f64 v[20:21], -v[6:7], v[16:17], 1.0
	v_fmac_f64_e32 v[16:17], v[16:17], v[20:21]
	v_fma_f64 v[20:21], -v[6:7], v[16:17], 1.0
	v_fmac_f64_e32 v[16:17], v[16:17], v[20:21]
	v_mul_f64 v[20:21], v[18:19], v[16:17]
	v_fma_f64 v[6:7], -v[6:7], v[20:21], v[18:19]
	v_div_fmas_f64 v[6:7], v[6:7], v[16:17], v[20:21]
	v_div_fixup_f64 v[6:7], v[6:7], v[2:3], v[0:1]
	v_fmac_f64_e32 v[2:3], v[0:1], v[6:7]
	v_div_scale_f64 v[0:1], s[4:5], v[2:3], v[2:3], 1.0
	v_rcp_f64_e32 v[16:17], v[0:1]
	s_nop 0
	v_fma_f64 v[18:19], -v[0:1], v[16:17], 1.0
	v_fmac_f64_e32 v[16:17], v[16:17], v[18:19]
	v_fma_f64 v[18:19], -v[0:1], v[16:17], 1.0
	v_fmac_f64_e32 v[16:17], v[16:17], v[18:19]
	v_div_scale_f64 v[18:19], vcc, 1.0, v[2:3], 1.0
	v_mul_f64 v[20:21], v[18:19], v[16:17]
	v_fma_f64 v[0:1], -v[0:1], v[20:21], v[18:19]
	s_nop 1
	v_div_fmas_f64 v[0:1], v[0:1], v[16:17], v[20:21]
	v_div_fixup_f64 v[2:3], v[0:1], v[2:3], 1.0
	v_mul_f64 v[0:1], v[6:7], v[2:3]
	v_xor_b32_e32 v3, 0x80000000, v3
.LBB122_1038:
	s_andn2_saveexec_b64 s[12:13], s[12:13]
	s_cbranch_execz .LBB122_1040
; %bb.1039:
	v_div_scale_f64 v[6:7], s[4:5], v[0:1], v[0:1], v[2:3]
	v_rcp_f64_e32 v[16:17], v[6:7]
	v_div_scale_f64 v[18:19], vcc, v[2:3], v[0:1], v[2:3]
	v_fma_f64 v[20:21], -v[6:7], v[16:17], 1.0
	v_fmac_f64_e32 v[16:17], v[16:17], v[20:21]
	v_fma_f64 v[20:21], -v[6:7], v[16:17], 1.0
	v_fmac_f64_e32 v[16:17], v[16:17], v[20:21]
	v_mul_f64 v[20:21], v[18:19], v[16:17]
	v_fma_f64 v[6:7], -v[6:7], v[20:21], v[18:19]
	v_div_fmas_f64 v[6:7], v[6:7], v[16:17], v[20:21]
	v_div_fixup_f64 v[6:7], v[6:7], v[0:1], v[2:3]
	v_fmac_f64_e32 v[0:1], v[2:3], v[6:7]
	v_div_scale_f64 v[2:3], s[4:5], v[0:1], v[0:1], 1.0
	v_rcp_f64_e32 v[16:17], v[2:3]
	s_nop 0
	v_fma_f64 v[18:19], -v[2:3], v[16:17], 1.0
	v_fmac_f64_e32 v[16:17], v[16:17], v[18:19]
	v_fma_f64 v[18:19], -v[2:3], v[16:17], 1.0
	v_fmac_f64_e32 v[16:17], v[16:17], v[18:19]
	v_div_scale_f64 v[18:19], vcc, 1.0, v[0:1], 1.0
	v_mul_f64 v[20:21], v[18:19], v[16:17]
	v_fma_f64 v[2:3], -v[2:3], v[20:21], v[18:19]
	s_nop 1
	v_div_fmas_f64 v[2:3], v[2:3], v[16:17], v[20:21]
	v_div_fixup_f64 v[0:1], v[2:3], v[0:1], 1.0
	v_mul_f64 v[2:3], v[6:7], -v[0:1]
.LBB122_1040:
	s_or_b64 exec, exec, s[12:13]
.LBB122_1041:
	s_or_b64 exec, exec, s[0:1]
	v_cmp_ne_u32_e32 vcc, v15, v4
	s_and_saveexec_b64 s[0:1], vcc
	s_xor_b64 s[0:1], exec, s[0:1]
	s_cbranch_execz .LBB122_1047
; %bb.1042:
	v_cmp_eq_u32_e32 vcc, 44, v15
	s_and_saveexec_b64 s[12:13], vcc
	s_cbranch_execz .LBB122_1046
; %bb.1043:
	v_cmp_ne_u32_e32 vcc, 44, v4
	s_xor_b64 s[4:5], s[18:19], -1
	s_and_b64 s[4:5], s[4:5], vcc
	s_and_saveexec_b64 s[14:15], s[4:5]
	s_cbranch_execz .LBB122_1045
; %bb.1044:
	v_ashrrev_i32_e32 v5, 31, v4
	v_lshl_add_u64 v[6:7], v[4:5], 2, v[10:11]
	global_load_dword v5, v[6:7], off
	global_load_dword v14, v[10:11], off offset:176
	s_waitcnt vmcnt(1)
	global_store_dword v[10:11], v5, off offset:176
	s_waitcnt vmcnt(1)
	global_store_dword v[6:7], v14, off
.LBB122_1045:
	s_or_b64 exec, exec, s[14:15]
	v_mov_b32_e32 v15, v4
	v_mov_b32_e32 v14, v4
.LBB122_1046:
	s_or_b64 exec, exec, s[12:13]
.LBB122_1047:
	s_andn2_saveexec_b64 s[0:1], s[0:1]
	s_cbranch_execz .LBB122_1049
; %bb.1048:
	scratch_load_dwordx4 v[4:7], off, s36
	scratch_load_dwordx4 v[16:19], off, s35
	;; [unrolled: 1-line block ×17, first 2 shown]
	v_mov_b32_e32 v15, 44
	s_waitcnt vmcnt(16)
	ds_write2_b64 v12, v[4:5], v[6:7] offset0:90 offset1:91
	s_waitcnt vmcnt(15)
	ds_write2_b64 v12, v[16:17], v[18:19] offset0:92 offset1:93
	;; [unrolled: 2-line block ×17, first 2 shown]
.LBB122_1049:
	s_or_b64 exec, exec, s[0:1]
	v_cmp_lt_i32_e32 vcc, 44, v15
	s_waitcnt lgkmcnt(0)
	s_barrier
	s_and_saveexec_b64 s[0:1], vcc
	s_cbranch_execz .LBB122_1051
; %bb.1050:
	scratch_load_dwordx4 v[4:7], off, off offset:704
	s_waitcnt vmcnt(0)
	v_mul_f64 v[16:17], v[2:3], v[6:7]
	v_mul_f64 v[18:19], v[0:1], v[6:7]
	v_fma_f64 v[16:17], v[0:1], v[4:5], -v[16:17]
	v_fmac_f64_e32 v[18:19], v[2:3], v[4:5]
	ds_read2_b64 v[0:3], v12 offset0:90 offset1:91
	scratch_store_dwordx4 off, v[16:19], off offset:704
	s_waitcnt lgkmcnt(0)
	v_mul_f64 v[4:5], v[2:3], v[18:19]
	v_mul_f64 v[6:7], v[0:1], v[18:19]
	v_fma_f64 v[4:5], v[0:1], v[16:17], -v[4:5]
	v_fmac_f64_e32 v[6:7], v[2:3], v[16:17]
	scratch_load_dwordx4 v[0:3], off, off offset:720
	s_waitcnt vmcnt(0)
	v_add_f64 v[0:1], v[0:1], -v[4:5]
	v_add_f64 v[2:3], v[2:3], -v[6:7]
	scratch_store_dwordx4 off, v[0:3], off offset:720
	ds_read2_b64 v[0:3], v12 offset0:92 offset1:93
	s_waitcnt lgkmcnt(0)
	v_mul_f64 v[4:5], v[2:3], v[18:19]
	v_mul_f64 v[6:7], v[0:1], v[18:19]
	v_fma_f64 v[4:5], v[0:1], v[16:17], -v[4:5]
	v_fmac_f64_e32 v[6:7], v[2:3], v[16:17]
	scratch_load_dwordx4 v[0:3], off, off offset:736
	s_waitcnt vmcnt(0)
	v_add_f64 v[0:1], v[0:1], -v[4:5]
	v_add_f64 v[2:3], v[2:3], -v[6:7]
	scratch_store_dwordx4 off, v[0:3], off offset:736
	ds_read2_b64 v[0:3], v12 offset0:94 offset1:95
	;; [unrolled: 11-line block ×6, first 2 shown]
	scratch_load_dwordx2 v[16:17], off, off offset:704
	scratch_load_dwordx4 v[0:3], off, off offset:704
	s_waitcnt vmcnt(0) lgkmcnt(0)
	v_mul_f64 v[18:19], v[6:7], v[2:3]
	v_mul_f64 v[20:21], v[4:5], v[2:3]
	v_fma_f64 v[18:19], v[4:5], v[16:17], -v[18:19]
	v_fmac_f64_e32 v[20:21], v[6:7], v[16:17]
	scratch_load_dwordx4 v[4:7], off, off offset:816
	s_waitcnt vmcnt(0)
	v_add_f64 v[4:5], v[4:5], -v[18:19]
	v_add_f64 v[6:7], v[6:7], -v[20:21]
	scratch_store_dwordx4 off, v[4:7], off offset:816
	ds_read2_b64 v[4:7], v12 offset0:104 offset1:105
	s_waitcnt lgkmcnt(0)
	v_mul_f64 v[18:19], v[6:7], v[2:3]
	v_mul_f64 v[20:21], v[4:5], v[2:3]
	v_fma_f64 v[18:19], v[4:5], v[16:17], -v[18:19]
	v_fmac_f64_e32 v[20:21], v[6:7], v[16:17]
	scratch_load_dwordx4 v[4:7], off, off offset:832
	s_waitcnt vmcnt(0)
	v_add_f64 v[4:5], v[4:5], -v[18:19]
	v_add_f64 v[6:7], v[6:7], -v[20:21]
	scratch_store_dwordx4 off, v[4:7], off offset:832
	ds_read2_b64 v[4:7], v12 offset0:106 offset1:107
	s_waitcnt lgkmcnt(0)
	;; [unrolled: 11-line block ×5, first 2 shown]
	v_mul_f64 v[18:19], v[6:7], v[2:3]
	v_fma_f64 v[18:19], v[4:5], v[16:17], -v[18:19]
	v_mul_f64 v[20:21], v[4:5], v[2:3]
	scratch_load_dwordx4 v[2:5], off, off offset:896
	v_fmac_f64_e32 v[20:21], v[6:7], v[16:17]
	scratch_load_dwordx2 v[6:7], off, off offset:712
	s_waitcnt vmcnt(1)
	v_add_f64 v[2:3], v[2:3], -v[18:19]
	v_add_f64 v[4:5], v[4:5], -v[20:21]
	scratch_store_dwordx4 off, v[2:5], off offset:896
	ds_read2_b64 v[2:5], v12 offset0:114 offset1:115
	s_waitcnt vmcnt(1) lgkmcnt(0)
	v_mul_f64 v[16:17], v[4:5], v[6:7]
	v_mul_f64 v[18:19], v[2:3], v[6:7]
	v_fma_f64 v[16:17], v[2:3], v[0:1], -v[16:17]
	v_fmac_f64_e32 v[18:19], v[4:5], v[0:1]
	scratch_load_dwordx4 v[2:5], off, off offset:912
	s_waitcnt vmcnt(0)
	v_add_f64 v[2:3], v[2:3], -v[16:17]
	v_add_f64 v[4:5], v[4:5], -v[18:19]
	scratch_store_dwordx4 off, v[2:5], off offset:912
	ds_read2_b64 v[2:5], v12 offset0:116 offset1:117
	s_waitcnt lgkmcnt(0)
	v_mul_f64 v[16:17], v[4:5], v[6:7]
	v_mul_f64 v[18:19], v[2:3], v[6:7]
	v_fma_f64 v[16:17], v[2:3], v[0:1], -v[16:17]
	v_fmac_f64_e32 v[18:19], v[4:5], v[0:1]
	scratch_load_dwordx4 v[2:5], off, off offset:928
	s_waitcnt vmcnt(0)
	v_add_f64 v[2:3], v[2:3], -v[16:17]
	v_add_f64 v[4:5], v[4:5], -v[18:19]
	scratch_store_dwordx4 off, v[2:5], off offset:928
	ds_read2_b64 v[2:5], v12 offset0:118 offset1:119
	s_waitcnt lgkmcnt(0)
	;; [unrolled: 11-line block ×4, first 2 shown]
	v_mul_f64 v[16:17], v[4:5], v[6:7]
	v_mul_f64 v[6:7], v[2:3], v[6:7]
	v_fma_f64 v[16:17], v[2:3], v[0:1], -v[16:17]
	v_fmac_f64_e32 v[6:7], v[4:5], v[0:1]
	scratch_load_dwordx4 v[0:3], off, off offset:976
	s_waitcnt vmcnt(0)
	v_add_f64 v[0:1], v[0:1], -v[16:17]
	v_add_f64 v[2:3], v[2:3], -v[6:7]
	scratch_store_dwordx4 off, v[0:3], off offset:976
.LBB122_1051:
	s_or_b64 exec, exec, s[0:1]
	s_barrier
	scratch_load_dwordx4 v[0:3], off, s36
	v_lshl_add_u32 v4, v15, 4, v12
	s_cmp_lt_i32 s66, 47
	s_waitcnt vmcnt(0)
	ds_write2_b64 v4, v[0:1], v[2:3] offset1:1
	s_waitcnt lgkmcnt(0)
	s_barrier
	ds_read2_b64 v[0:3], v12 offset0:90 offset1:91
	v_mov_b32_e32 v4, 45
	s_cbranch_scc1 .LBB122_1054
; %bb.1052:
	v_add_u32_e32 v5, 0x2e0, v12
	s_mov_b32 s4, 46
	v_mov_b32_e32 v4, 45
.LBB122_1053:                           ; =>This Inner Loop Header: Depth=1
	ds_read2_b64 v[16:19], v5 offset1:1
	s_waitcnt lgkmcnt(1)
	v_xor_b32_e32 v7, 0x80000000, v1
	v_xor_b32_e32 v21, 0x80000000, v3
	v_cmp_gt_f64_e32 vcc, 0, v[2:3]
	v_cmp_gt_f64_e64 s[0:1], 0, v[0:1]
	v_mov_b32_e32 v6, v0
	v_mov_b32_e32 v20, v2
	v_cndmask_b32_e64 v7, v1, v7, s[0:1]
	v_cndmask_b32_e32 v21, v3, v21, vcc
	v_add_f64 v[6:7], v[6:7], v[20:21]
	s_waitcnt lgkmcnt(0)
	v_xor_b32_e32 v21, 0x80000000, v17
	v_xor_b32_e32 v23, 0x80000000, v19
	v_cmp_gt_f64_e32 vcc, 0, v[18:19]
	v_cmp_gt_f64_e64 s[0:1], 0, v[16:17]
	v_mov_b32_e32 v20, v16
	v_mov_b32_e32 v22, v18
	v_cndmask_b32_e64 v21, v17, v21, s[0:1]
	v_cndmask_b32_e32 v23, v19, v23, vcc
	v_add_f64 v[20:21], v[20:21], v[22:23]
	v_mov_b32_e32 v24, s4
	s_add_i32 s4, s4, 1
	v_cmp_lt_f64_e32 vcc, v[6:7], v[20:21]
	v_add_u32_e32 v5, 16, v5
	s_cmp_lg_u32 s66, s4
	v_cndmask_b32_e32 v1, v1, v17, vcc
	v_cndmask_b32_e32 v0, v0, v16, vcc
	;; [unrolled: 1-line block ×5, first 2 shown]
	s_cbranch_scc1 .LBB122_1053
.LBB122_1054:
	s_waitcnt lgkmcnt(0)
	v_cmp_eq_f64_e32 vcc, 0, v[0:1]
	v_cmp_eq_f64_e64 s[0:1], 0, v[2:3]
	s_and_b64 s[0:1], vcc, s[0:1]
	s_and_saveexec_b64 s[4:5], s[0:1]
	s_xor_b64 s[0:1], exec, s[4:5]
; %bb.1055:
	v_cmp_ne_u32_e32 vcc, 0, v13
	s_nop 1
	v_cndmask_b32_e32 v13, 46, v13, vcc
; %bb.1056:
	s_andn2_saveexec_b64 s[0:1], s[0:1]
	s_cbranch_execz .LBB122_1062
; %bb.1057:
	v_cmp_ngt_f64_e64 s[4:5], |v[0:1]|, |v[2:3]|
	s_and_saveexec_b64 s[12:13], s[4:5]
	s_xor_b64 s[12:13], exec, s[12:13]
	s_cbranch_execz .LBB122_1059
; %bb.1058:
	v_div_scale_f64 v[6:7], s[4:5], v[2:3], v[2:3], v[0:1]
	v_rcp_f64_e32 v[16:17], v[6:7]
	v_div_scale_f64 v[18:19], vcc, v[0:1], v[2:3], v[0:1]
	v_fma_f64 v[20:21], -v[6:7], v[16:17], 1.0
	v_fmac_f64_e32 v[16:17], v[16:17], v[20:21]
	v_fma_f64 v[20:21], -v[6:7], v[16:17], 1.0
	v_fmac_f64_e32 v[16:17], v[16:17], v[20:21]
	v_mul_f64 v[20:21], v[18:19], v[16:17]
	v_fma_f64 v[6:7], -v[6:7], v[20:21], v[18:19]
	v_div_fmas_f64 v[6:7], v[6:7], v[16:17], v[20:21]
	v_div_fixup_f64 v[6:7], v[6:7], v[2:3], v[0:1]
	v_fmac_f64_e32 v[2:3], v[0:1], v[6:7]
	v_div_scale_f64 v[0:1], s[4:5], v[2:3], v[2:3], 1.0
	v_rcp_f64_e32 v[16:17], v[0:1]
	s_nop 0
	v_fma_f64 v[18:19], -v[0:1], v[16:17], 1.0
	v_fmac_f64_e32 v[16:17], v[16:17], v[18:19]
	v_fma_f64 v[18:19], -v[0:1], v[16:17], 1.0
	v_fmac_f64_e32 v[16:17], v[16:17], v[18:19]
	v_div_scale_f64 v[18:19], vcc, 1.0, v[2:3], 1.0
	v_mul_f64 v[20:21], v[18:19], v[16:17]
	v_fma_f64 v[0:1], -v[0:1], v[20:21], v[18:19]
	s_nop 1
	v_div_fmas_f64 v[0:1], v[0:1], v[16:17], v[20:21]
	v_div_fixup_f64 v[2:3], v[0:1], v[2:3], 1.0
	v_mul_f64 v[0:1], v[6:7], v[2:3]
	v_xor_b32_e32 v3, 0x80000000, v3
.LBB122_1059:
	s_andn2_saveexec_b64 s[12:13], s[12:13]
	s_cbranch_execz .LBB122_1061
; %bb.1060:
	v_div_scale_f64 v[6:7], s[4:5], v[0:1], v[0:1], v[2:3]
	v_rcp_f64_e32 v[16:17], v[6:7]
	v_div_scale_f64 v[18:19], vcc, v[2:3], v[0:1], v[2:3]
	v_fma_f64 v[20:21], -v[6:7], v[16:17], 1.0
	v_fmac_f64_e32 v[16:17], v[16:17], v[20:21]
	v_fma_f64 v[20:21], -v[6:7], v[16:17], 1.0
	v_fmac_f64_e32 v[16:17], v[16:17], v[20:21]
	v_mul_f64 v[20:21], v[18:19], v[16:17]
	v_fma_f64 v[6:7], -v[6:7], v[20:21], v[18:19]
	v_div_fmas_f64 v[6:7], v[6:7], v[16:17], v[20:21]
	v_div_fixup_f64 v[6:7], v[6:7], v[0:1], v[2:3]
	v_fmac_f64_e32 v[0:1], v[2:3], v[6:7]
	v_div_scale_f64 v[2:3], s[4:5], v[0:1], v[0:1], 1.0
	v_rcp_f64_e32 v[16:17], v[2:3]
	s_nop 0
	v_fma_f64 v[18:19], -v[2:3], v[16:17], 1.0
	v_fmac_f64_e32 v[16:17], v[16:17], v[18:19]
	v_fma_f64 v[18:19], -v[2:3], v[16:17], 1.0
	v_fmac_f64_e32 v[16:17], v[16:17], v[18:19]
	v_div_scale_f64 v[18:19], vcc, 1.0, v[0:1], 1.0
	v_mul_f64 v[20:21], v[18:19], v[16:17]
	v_fma_f64 v[2:3], -v[2:3], v[20:21], v[18:19]
	s_nop 1
	v_div_fmas_f64 v[2:3], v[2:3], v[16:17], v[20:21]
	v_div_fixup_f64 v[0:1], v[2:3], v[0:1], 1.0
	v_mul_f64 v[2:3], v[6:7], -v[0:1]
.LBB122_1061:
	s_or_b64 exec, exec, s[12:13]
.LBB122_1062:
	s_or_b64 exec, exec, s[0:1]
	v_cmp_ne_u32_e32 vcc, v15, v4
	s_and_saveexec_b64 s[0:1], vcc
	s_xor_b64 s[0:1], exec, s[0:1]
	s_cbranch_execz .LBB122_1068
; %bb.1063:
	v_cmp_eq_u32_e32 vcc, 45, v15
	s_and_saveexec_b64 s[12:13], vcc
	s_cbranch_execz .LBB122_1067
; %bb.1064:
	v_cmp_ne_u32_e32 vcc, 45, v4
	s_xor_b64 s[4:5], s[18:19], -1
	s_and_b64 s[4:5], s[4:5], vcc
	s_and_saveexec_b64 s[14:15], s[4:5]
	s_cbranch_execz .LBB122_1066
; %bb.1065:
	v_ashrrev_i32_e32 v5, 31, v4
	v_lshl_add_u64 v[6:7], v[4:5], 2, v[10:11]
	global_load_dword v5, v[6:7], off
	global_load_dword v14, v[10:11], off offset:180
	s_waitcnt vmcnt(1)
	global_store_dword v[10:11], v5, off offset:180
	s_waitcnt vmcnt(1)
	global_store_dword v[6:7], v14, off
.LBB122_1066:
	s_or_b64 exec, exec, s[14:15]
	v_mov_b32_e32 v15, v4
	v_mov_b32_e32 v14, v4
.LBB122_1067:
	s_or_b64 exec, exec, s[12:13]
.LBB122_1068:
	s_andn2_saveexec_b64 s[0:1], s[0:1]
	s_cbranch_execz .LBB122_1070
; %bb.1069:
	scratch_load_dwordx4 v[4:7], off, s35
	scratch_load_dwordx4 v[16:19], off, s34
	;; [unrolled: 1-line block ×16, first 2 shown]
	v_mov_b32_e32 v15, 45
	s_waitcnt vmcnt(15)
	ds_write2_b64 v12, v[4:5], v[6:7] offset0:92 offset1:93
	s_waitcnt vmcnt(14)
	ds_write2_b64 v12, v[16:17], v[18:19] offset0:94 offset1:95
	s_waitcnt vmcnt(13)
	ds_write2_b64 v12, v[20:21], v[22:23] offset0:96 offset1:97
	s_waitcnt vmcnt(12)
	ds_write2_b64 v12, v[24:25], v[26:27] offset0:98 offset1:99
	s_waitcnt vmcnt(11)
	ds_write2_b64 v12, v[28:29], v[30:31] offset0:100 offset1:101
	s_waitcnt vmcnt(10)
	ds_write2_b64 v12, v[32:33], v[34:35] offset0:102 offset1:103
	s_waitcnt vmcnt(9)
	ds_write2_b64 v12, v[36:37], v[38:39] offset0:104 offset1:105
	s_waitcnt vmcnt(8)
	ds_write2_b64 v12, v[40:41], v[42:43] offset0:106 offset1:107
	s_waitcnt vmcnt(7)
	ds_write2_b64 v12, v[44:45], v[46:47] offset0:108 offset1:109
	s_waitcnt vmcnt(6)
	ds_write2_b64 v12, v[48:49], v[50:51] offset0:110 offset1:111
	s_waitcnt vmcnt(5)
	ds_write2_b64 v12, v[52:53], v[54:55] offset0:112 offset1:113
	s_waitcnt vmcnt(4)
	ds_write2_b64 v12, v[56:57], v[58:59] offset0:114 offset1:115
	s_waitcnt vmcnt(3)
	ds_write2_b64 v12, v[60:61], v[62:63] offset0:116 offset1:117
	s_waitcnt vmcnt(2)
	ds_write2_b64 v12, v[64:65], v[66:67] offset0:118 offset1:119
	s_waitcnt vmcnt(1)
	ds_write2_b64 v12, v[68:69], v[70:71] offset0:120 offset1:121
	s_waitcnt vmcnt(0)
	ds_write2_b64 v12, v[72:73], v[74:75] offset0:122 offset1:123
.LBB122_1070:
	s_or_b64 exec, exec, s[0:1]
	v_cmp_lt_i32_e32 vcc, 45, v15
	s_waitcnt lgkmcnt(0)
	s_barrier
	s_and_saveexec_b64 s[0:1], vcc
	s_cbranch_execz .LBB122_1072
; %bb.1071:
	scratch_load_dwordx4 v[4:7], off, off offset:720
	s_waitcnt vmcnt(0)
	v_mul_f64 v[16:17], v[2:3], v[6:7]
	v_mul_f64 v[18:19], v[0:1], v[6:7]
	v_fma_f64 v[16:17], v[0:1], v[4:5], -v[16:17]
	v_fmac_f64_e32 v[18:19], v[2:3], v[4:5]
	ds_read2_b64 v[0:3], v12 offset0:92 offset1:93
	scratch_store_dwordx4 off, v[16:19], off offset:720
	s_waitcnt lgkmcnt(0)
	v_mul_f64 v[4:5], v[2:3], v[18:19]
	v_mul_f64 v[6:7], v[0:1], v[18:19]
	v_fma_f64 v[4:5], v[0:1], v[16:17], -v[4:5]
	v_fmac_f64_e32 v[6:7], v[2:3], v[16:17]
	scratch_load_dwordx4 v[0:3], off, off offset:736
	s_waitcnt vmcnt(0)
	v_add_f64 v[0:1], v[0:1], -v[4:5]
	v_add_f64 v[2:3], v[2:3], -v[6:7]
	scratch_store_dwordx4 off, v[0:3], off offset:736
	ds_read2_b64 v[0:3], v12 offset0:94 offset1:95
	s_waitcnt lgkmcnt(0)
	v_mul_f64 v[4:5], v[2:3], v[18:19]
	v_mul_f64 v[6:7], v[0:1], v[18:19]
	v_fma_f64 v[4:5], v[0:1], v[16:17], -v[4:5]
	v_fmac_f64_e32 v[6:7], v[2:3], v[16:17]
	scratch_load_dwordx4 v[0:3], off, off offset:752
	s_waitcnt vmcnt(0)
	v_add_f64 v[0:1], v[0:1], -v[4:5]
	v_add_f64 v[2:3], v[2:3], -v[6:7]
	scratch_store_dwordx4 off, v[0:3], off offset:752
	ds_read2_b64 v[0:3], v12 offset0:96 offset1:97
	;; [unrolled: 11-line block ×6, first 2 shown]
	scratch_load_dwordx2 v[16:17], off, off offset:720
	scratch_load_dwordx4 v[0:3], off, off offset:720
	s_waitcnt vmcnt(0) lgkmcnt(0)
	v_mul_f64 v[18:19], v[6:7], v[2:3]
	v_mul_f64 v[20:21], v[4:5], v[2:3]
	v_fma_f64 v[18:19], v[4:5], v[16:17], -v[18:19]
	v_fmac_f64_e32 v[20:21], v[6:7], v[16:17]
	scratch_load_dwordx4 v[4:7], off, off offset:832
	s_waitcnt vmcnt(0)
	v_add_f64 v[4:5], v[4:5], -v[18:19]
	v_add_f64 v[6:7], v[6:7], -v[20:21]
	scratch_store_dwordx4 off, v[4:7], off offset:832
	ds_read2_b64 v[4:7], v12 offset0:106 offset1:107
	s_waitcnt lgkmcnt(0)
	v_mul_f64 v[18:19], v[6:7], v[2:3]
	v_mul_f64 v[20:21], v[4:5], v[2:3]
	v_fma_f64 v[18:19], v[4:5], v[16:17], -v[18:19]
	v_fmac_f64_e32 v[20:21], v[6:7], v[16:17]
	scratch_load_dwordx4 v[4:7], off, off offset:848
	s_waitcnt vmcnt(0)
	v_add_f64 v[4:5], v[4:5], -v[18:19]
	v_add_f64 v[6:7], v[6:7], -v[20:21]
	scratch_store_dwordx4 off, v[4:7], off offset:848
	ds_read2_b64 v[4:7], v12 offset0:108 offset1:109
	s_waitcnt lgkmcnt(0)
	;; [unrolled: 11-line block ×5, first 2 shown]
	v_mul_f64 v[18:19], v[6:7], v[2:3]
	v_fma_f64 v[18:19], v[4:5], v[16:17], -v[18:19]
	v_mul_f64 v[20:21], v[4:5], v[2:3]
	scratch_load_dwordx4 v[2:5], off, off offset:912
	v_fmac_f64_e32 v[20:21], v[6:7], v[16:17]
	scratch_load_dwordx2 v[6:7], off, off offset:728
	s_waitcnt vmcnt(1)
	v_add_f64 v[2:3], v[2:3], -v[18:19]
	v_add_f64 v[4:5], v[4:5], -v[20:21]
	scratch_store_dwordx4 off, v[2:5], off offset:912
	ds_read2_b64 v[2:5], v12 offset0:116 offset1:117
	s_waitcnt vmcnt(1) lgkmcnt(0)
	v_mul_f64 v[16:17], v[4:5], v[6:7]
	v_mul_f64 v[18:19], v[2:3], v[6:7]
	v_fma_f64 v[16:17], v[2:3], v[0:1], -v[16:17]
	v_fmac_f64_e32 v[18:19], v[4:5], v[0:1]
	scratch_load_dwordx4 v[2:5], off, off offset:928
	s_waitcnt vmcnt(0)
	v_add_f64 v[2:3], v[2:3], -v[16:17]
	v_add_f64 v[4:5], v[4:5], -v[18:19]
	scratch_store_dwordx4 off, v[2:5], off offset:928
	ds_read2_b64 v[2:5], v12 offset0:118 offset1:119
	s_waitcnt lgkmcnt(0)
	v_mul_f64 v[16:17], v[4:5], v[6:7]
	v_mul_f64 v[18:19], v[2:3], v[6:7]
	v_fma_f64 v[16:17], v[2:3], v[0:1], -v[16:17]
	v_fmac_f64_e32 v[18:19], v[4:5], v[0:1]
	scratch_load_dwordx4 v[2:5], off, off offset:944
	s_waitcnt vmcnt(0)
	v_add_f64 v[2:3], v[2:3], -v[16:17]
	v_add_f64 v[4:5], v[4:5], -v[18:19]
	scratch_store_dwordx4 off, v[2:5], off offset:944
	ds_read2_b64 v[2:5], v12 offset0:120 offset1:121
	s_waitcnt lgkmcnt(0)
	;; [unrolled: 11-line block ×3, first 2 shown]
	v_mul_f64 v[16:17], v[4:5], v[6:7]
	v_mul_f64 v[6:7], v[2:3], v[6:7]
	v_fma_f64 v[16:17], v[2:3], v[0:1], -v[16:17]
	v_fmac_f64_e32 v[6:7], v[4:5], v[0:1]
	scratch_load_dwordx4 v[0:3], off, off offset:976
	s_waitcnt vmcnt(0)
	v_add_f64 v[0:1], v[0:1], -v[16:17]
	v_add_f64 v[2:3], v[2:3], -v[6:7]
	scratch_store_dwordx4 off, v[0:3], off offset:976
.LBB122_1072:
	s_or_b64 exec, exec, s[0:1]
	s_barrier
	scratch_load_dwordx4 v[0:3], off, s35
	v_lshl_add_u32 v4, v15, 4, v12
	s_cmp_lt_i32 s66, 48
	s_waitcnt vmcnt(0)
	ds_write2_b64 v4, v[0:1], v[2:3] offset1:1
	s_waitcnt lgkmcnt(0)
	s_barrier
	ds_read2_b64 v[0:3], v12 offset0:92 offset1:93
	v_mov_b32_e32 v4, 46
	s_cbranch_scc1 .LBB122_1075
; %bb.1073:
	v_add_u32_e32 v5, 0x2f0, v12
	s_mov_b32 s4, 47
	v_mov_b32_e32 v4, 46
.LBB122_1074:                           ; =>This Inner Loop Header: Depth=1
	ds_read2_b64 v[16:19], v5 offset1:1
	s_waitcnt lgkmcnt(1)
	v_xor_b32_e32 v7, 0x80000000, v1
	v_xor_b32_e32 v21, 0x80000000, v3
	v_cmp_gt_f64_e32 vcc, 0, v[2:3]
	v_cmp_gt_f64_e64 s[0:1], 0, v[0:1]
	v_mov_b32_e32 v6, v0
	v_mov_b32_e32 v20, v2
	v_cndmask_b32_e64 v7, v1, v7, s[0:1]
	v_cndmask_b32_e32 v21, v3, v21, vcc
	v_add_f64 v[6:7], v[6:7], v[20:21]
	s_waitcnt lgkmcnt(0)
	v_xor_b32_e32 v21, 0x80000000, v17
	v_xor_b32_e32 v23, 0x80000000, v19
	v_cmp_gt_f64_e32 vcc, 0, v[18:19]
	v_cmp_gt_f64_e64 s[0:1], 0, v[16:17]
	v_mov_b32_e32 v20, v16
	v_mov_b32_e32 v22, v18
	v_cndmask_b32_e64 v21, v17, v21, s[0:1]
	v_cndmask_b32_e32 v23, v19, v23, vcc
	v_add_f64 v[20:21], v[20:21], v[22:23]
	v_mov_b32_e32 v24, s4
	s_add_i32 s4, s4, 1
	v_cmp_lt_f64_e32 vcc, v[6:7], v[20:21]
	v_add_u32_e32 v5, 16, v5
	s_cmp_lg_u32 s66, s4
	v_cndmask_b32_e32 v1, v1, v17, vcc
	v_cndmask_b32_e32 v0, v0, v16, vcc
	;; [unrolled: 1-line block ×5, first 2 shown]
	s_cbranch_scc1 .LBB122_1074
.LBB122_1075:
	s_waitcnt lgkmcnt(0)
	v_cmp_eq_f64_e32 vcc, 0, v[0:1]
	v_cmp_eq_f64_e64 s[0:1], 0, v[2:3]
	s_and_b64 s[0:1], vcc, s[0:1]
	s_and_saveexec_b64 s[4:5], s[0:1]
	s_xor_b64 s[0:1], exec, s[4:5]
; %bb.1076:
	v_cmp_ne_u32_e32 vcc, 0, v13
	s_nop 1
	v_cndmask_b32_e32 v13, 47, v13, vcc
; %bb.1077:
	s_andn2_saveexec_b64 s[0:1], s[0:1]
	s_cbranch_execz .LBB122_1083
; %bb.1078:
	v_cmp_ngt_f64_e64 s[4:5], |v[0:1]|, |v[2:3]|
	s_and_saveexec_b64 s[12:13], s[4:5]
	s_xor_b64 s[12:13], exec, s[12:13]
	s_cbranch_execz .LBB122_1080
; %bb.1079:
	v_div_scale_f64 v[6:7], s[4:5], v[2:3], v[2:3], v[0:1]
	v_rcp_f64_e32 v[16:17], v[6:7]
	v_div_scale_f64 v[18:19], vcc, v[0:1], v[2:3], v[0:1]
	v_fma_f64 v[20:21], -v[6:7], v[16:17], 1.0
	v_fmac_f64_e32 v[16:17], v[16:17], v[20:21]
	v_fma_f64 v[20:21], -v[6:7], v[16:17], 1.0
	v_fmac_f64_e32 v[16:17], v[16:17], v[20:21]
	v_mul_f64 v[20:21], v[18:19], v[16:17]
	v_fma_f64 v[6:7], -v[6:7], v[20:21], v[18:19]
	v_div_fmas_f64 v[6:7], v[6:7], v[16:17], v[20:21]
	v_div_fixup_f64 v[6:7], v[6:7], v[2:3], v[0:1]
	v_fmac_f64_e32 v[2:3], v[0:1], v[6:7]
	v_div_scale_f64 v[0:1], s[4:5], v[2:3], v[2:3], 1.0
	v_rcp_f64_e32 v[16:17], v[0:1]
	s_nop 0
	v_fma_f64 v[18:19], -v[0:1], v[16:17], 1.0
	v_fmac_f64_e32 v[16:17], v[16:17], v[18:19]
	v_fma_f64 v[18:19], -v[0:1], v[16:17], 1.0
	v_fmac_f64_e32 v[16:17], v[16:17], v[18:19]
	v_div_scale_f64 v[18:19], vcc, 1.0, v[2:3], 1.0
	v_mul_f64 v[20:21], v[18:19], v[16:17]
	v_fma_f64 v[0:1], -v[0:1], v[20:21], v[18:19]
	s_nop 1
	v_div_fmas_f64 v[0:1], v[0:1], v[16:17], v[20:21]
	v_div_fixup_f64 v[2:3], v[0:1], v[2:3], 1.0
	v_mul_f64 v[0:1], v[6:7], v[2:3]
	v_xor_b32_e32 v3, 0x80000000, v3
.LBB122_1080:
	s_andn2_saveexec_b64 s[12:13], s[12:13]
	s_cbranch_execz .LBB122_1082
; %bb.1081:
	v_div_scale_f64 v[6:7], s[4:5], v[0:1], v[0:1], v[2:3]
	v_rcp_f64_e32 v[16:17], v[6:7]
	v_div_scale_f64 v[18:19], vcc, v[2:3], v[0:1], v[2:3]
	v_fma_f64 v[20:21], -v[6:7], v[16:17], 1.0
	v_fmac_f64_e32 v[16:17], v[16:17], v[20:21]
	v_fma_f64 v[20:21], -v[6:7], v[16:17], 1.0
	v_fmac_f64_e32 v[16:17], v[16:17], v[20:21]
	v_mul_f64 v[20:21], v[18:19], v[16:17]
	v_fma_f64 v[6:7], -v[6:7], v[20:21], v[18:19]
	v_div_fmas_f64 v[6:7], v[6:7], v[16:17], v[20:21]
	v_div_fixup_f64 v[6:7], v[6:7], v[0:1], v[2:3]
	v_fmac_f64_e32 v[0:1], v[2:3], v[6:7]
	v_div_scale_f64 v[2:3], s[4:5], v[0:1], v[0:1], 1.0
	v_rcp_f64_e32 v[16:17], v[2:3]
	s_nop 0
	v_fma_f64 v[18:19], -v[2:3], v[16:17], 1.0
	v_fmac_f64_e32 v[16:17], v[16:17], v[18:19]
	v_fma_f64 v[18:19], -v[2:3], v[16:17], 1.0
	v_fmac_f64_e32 v[16:17], v[16:17], v[18:19]
	v_div_scale_f64 v[18:19], vcc, 1.0, v[0:1], 1.0
	v_mul_f64 v[20:21], v[18:19], v[16:17]
	v_fma_f64 v[2:3], -v[2:3], v[20:21], v[18:19]
	s_nop 1
	v_div_fmas_f64 v[2:3], v[2:3], v[16:17], v[20:21]
	v_div_fixup_f64 v[0:1], v[2:3], v[0:1], 1.0
	v_mul_f64 v[2:3], v[6:7], -v[0:1]
.LBB122_1082:
	s_or_b64 exec, exec, s[12:13]
.LBB122_1083:
	s_or_b64 exec, exec, s[0:1]
	v_cmp_ne_u32_e32 vcc, v15, v4
	s_and_saveexec_b64 s[0:1], vcc
	s_xor_b64 s[0:1], exec, s[0:1]
	s_cbranch_execz .LBB122_1089
; %bb.1084:
	v_cmp_eq_u32_e32 vcc, 46, v15
	s_and_saveexec_b64 s[12:13], vcc
	s_cbranch_execz .LBB122_1088
; %bb.1085:
	v_cmp_ne_u32_e32 vcc, 46, v4
	s_xor_b64 s[4:5], s[18:19], -1
	s_and_b64 s[4:5], s[4:5], vcc
	s_and_saveexec_b64 s[14:15], s[4:5]
	s_cbranch_execz .LBB122_1087
; %bb.1086:
	v_ashrrev_i32_e32 v5, 31, v4
	v_lshl_add_u64 v[6:7], v[4:5], 2, v[10:11]
	global_load_dword v5, v[6:7], off
	global_load_dword v14, v[10:11], off offset:184
	s_waitcnt vmcnt(1)
	global_store_dword v[10:11], v5, off offset:184
	s_waitcnt vmcnt(1)
	global_store_dword v[6:7], v14, off
.LBB122_1087:
	s_or_b64 exec, exec, s[14:15]
	v_mov_b32_e32 v15, v4
	v_mov_b32_e32 v14, v4
.LBB122_1088:
	s_or_b64 exec, exec, s[12:13]
.LBB122_1089:
	s_andn2_saveexec_b64 s[0:1], s[0:1]
	s_cbranch_execz .LBB122_1091
; %bb.1090:
	scratch_load_dwordx4 v[4:7], off, s34
	scratch_load_dwordx4 v[16:19], off, s33
	;; [unrolled: 1-line block ×15, first 2 shown]
	v_mov_b32_e32 v15, 46
	s_waitcnt vmcnt(14)
	ds_write2_b64 v12, v[4:5], v[6:7] offset0:94 offset1:95
	s_waitcnt vmcnt(13)
	ds_write2_b64 v12, v[16:17], v[18:19] offset0:96 offset1:97
	;; [unrolled: 2-line block ×15, first 2 shown]
.LBB122_1091:
	s_or_b64 exec, exec, s[0:1]
	v_cmp_lt_i32_e32 vcc, 46, v15
	s_waitcnt lgkmcnt(0)
	s_barrier
	s_and_saveexec_b64 s[0:1], vcc
	s_cbranch_execz .LBB122_1093
; %bb.1092:
	scratch_load_dwordx4 v[4:7], off, off offset:736
	s_waitcnt vmcnt(0)
	v_mul_f64 v[16:17], v[2:3], v[6:7]
	v_mul_f64 v[18:19], v[0:1], v[6:7]
	v_fma_f64 v[16:17], v[0:1], v[4:5], -v[16:17]
	v_fmac_f64_e32 v[18:19], v[2:3], v[4:5]
	ds_read2_b64 v[0:3], v12 offset0:94 offset1:95
	scratch_store_dwordx4 off, v[16:19], off offset:736
	s_waitcnt lgkmcnt(0)
	v_mul_f64 v[4:5], v[2:3], v[18:19]
	v_mul_f64 v[6:7], v[0:1], v[18:19]
	v_fma_f64 v[4:5], v[0:1], v[16:17], -v[4:5]
	v_fmac_f64_e32 v[6:7], v[2:3], v[16:17]
	scratch_load_dwordx4 v[0:3], off, off offset:752
	s_waitcnt vmcnt(0)
	v_add_f64 v[0:1], v[0:1], -v[4:5]
	v_add_f64 v[2:3], v[2:3], -v[6:7]
	scratch_store_dwordx4 off, v[0:3], off offset:752
	ds_read2_b64 v[0:3], v12 offset0:96 offset1:97
	s_waitcnt lgkmcnt(0)
	v_mul_f64 v[4:5], v[2:3], v[18:19]
	v_mul_f64 v[6:7], v[0:1], v[18:19]
	v_fma_f64 v[4:5], v[0:1], v[16:17], -v[4:5]
	v_fmac_f64_e32 v[6:7], v[2:3], v[16:17]
	scratch_load_dwordx4 v[0:3], off, off offset:768
	s_waitcnt vmcnt(0)
	v_add_f64 v[0:1], v[0:1], -v[4:5]
	v_add_f64 v[2:3], v[2:3], -v[6:7]
	scratch_store_dwordx4 off, v[0:3], off offset:768
	ds_read2_b64 v[0:3], v12 offset0:98 offset1:99
	;; [unrolled: 11-line block ×6, first 2 shown]
	scratch_load_dwordx2 v[16:17], off, off offset:736
	scratch_load_dwordx4 v[0:3], off, off offset:736
	s_waitcnt vmcnt(0) lgkmcnt(0)
	v_mul_f64 v[18:19], v[6:7], v[2:3]
	v_mul_f64 v[20:21], v[4:5], v[2:3]
	v_fma_f64 v[18:19], v[4:5], v[16:17], -v[18:19]
	v_fmac_f64_e32 v[20:21], v[6:7], v[16:17]
	scratch_load_dwordx4 v[4:7], off, off offset:848
	s_waitcnt vmcnt(0)
	v_add_f64 v[4:5], v[4:5], -v[18:19]
	v_add_f64 v[6:7], v[6:7], -v[20:21]
	scratch_store_dwordx4 off, v[4:7], off offset:848
	ds_read2_b64 v[4:7], v12 offset0:108 offset1:109
	s_waitcnt lgkmcnt(0)
	v_mul_f64 v[18:19], v[6:7], v[2:3]
	v_mul_f64 v[20:21], v[4:5], v[2:3]
	v_fma_f64 v[18:19], v[4:5], v[16:17], -v[18:19]
	v_fmac_f64_e32 v[20:21], v[6:7], v[16:17]
	scratch_load_dwordx4 v[4:7], off, off offset:864
	s_waitcnt vmcnt(0)
	v_add_f64 v[4:5], v[4:5], -v[18:19]
	v_add_f64 v[6:7], v[6:7], -v[20:21]
	scratch_store_dwordx4 off, v[4:7], off offset:864
	ds_read2_b64 v[4:7], v12 offset0:110 offset1:111
	s_waitcnt lgkmcnt(0)
	;; [unrolled: 11-line block ×5, first 2 shown]
	v_mul_f64 v[18:19], v[6:7], v[2:3]
	v_fma_f64 v[18:19], v[4:5], v[16:17], -v[18:19]
	v_mul_f64 v[20:21], v[4:5], v[2:3]
	scratch_load_dwordx4 v[2:5], off, off offset:928
	v_fmac_f64_e32 v[20:21], v[6:7], v[16:17]
	scratch_load_dwordx2 v[6:7], off, off offset:744
	s_waitcnt vmcnt(1)
	v_add_f64 v[2:3], v[2:3], -v[18:19]
	v_add_f64 v[4:5], v[4:5], -v[20:21]
	scratch_store_dwordx4 off, v[2:5], off offset:928
	ds_read2_b64 v[2:5], v12 offset0:118 offset1:119
	s_waitcnt vmcnt(1) lgkmcnt(0)
	v_mul_f64 v[16:17], v[4:5], v[6:7]
	v_mul_f64 v[18:19], v[2:3], v[6:7]
	v_fma_f64 v[16:17], v[2:3], v[0:1], -v[16:17]
	v_fmac_f64_e32 v[18:19], v[4:5], v[0:1]
	scratch_load_dwordx4 v[2:5], off, off offset:944
	s_waitcnt vmcnt(0)
	v_add_f64 v[2:3], v[2:3], -v[16:17]
	v_add_f64 v[4:5], v[4:5], -v[18:19]
	scratch_store_dwordx4 off, v[2:5], off offset:944
	ds_read2_b64 v[2:5], v12 offset0:120 offset1:121
	s_waitcnt lgkmcnt(0)
	v_mul_f64 v[16:17], v[4:5], v[6:7]
	v_mul_f64 v[18:19], v[2:3], v[6:7]
	v_fma_f64 v[16:17], v[2:3], v[0:1], -v[16:17]
	v_fmac_f64_e32 v[18:19], v[4:5], v[0:1]
	scratch_load_dwordx4 v[2:5], off, off offset:960
	s_waitcnt vmcnt(0)
	v_add_f64 v[2:3], v[2:3], -v[16:17]
	v_add_f64 v[4:5], v[4:5], -v[18:19]
	scratch_store_dwordx4 off, v[2:5], off offset:960
	ds_read2_b64 v[2:5], v12 offset0:122 offset1:123
	s_waitcnt lgkmcnt(0)
	v_mul_f64 v[16:17], v[4:5], v[6:7]
	v_mul_f64 v[6:7], v[2:3], v[6:7]
	v_fma_f64 v[16:17], v[2:3], v[0:1], -v[16:17]
	v_fmac_f64_e32 v[6:7], v[4:5], v[0:1]
	scratch_load_dwordx4 v[0:3], off, off offset:976
	s_waitcnt vmcnt(0)
	v_add_f64 v[0:1], v[0:1], -v[16:17]
	v_add_f64 v[2:3], v[2:3], -v[6:7]
	scratch_store_dwordx4 off, v[0:3], off offset:976
.LBB122_1093:
	s_or_b64 exec, exec, s[0:1]
	s_barrier
	scratch_load_dwordx4 v[0:3], off, s34
	v_lshl_add_u32 v4, v15, 4, v12
	s_cmp_lt_i32 s66, 49
	s_waitcnt vmcnt(0)
	ds_write2_b64 v4, v[0:1], v[2:3] offset1:1
	s_waitcnt lgkmcnt(0)
	s_barrier
	ds_read2_b64 v[0:3], v12 offset0:94 offset1:95
	v_mov_b32_e32 v4, 47
	s_cbranch_scc1 .LBB122_1096
; %bb.1094:
	v_add_u32_e32 v5, 0x300, v12
	s_mov_b32 s4, 48
	v_mov_b32_e32 v4, 47
.LBB122_1095:                           ; =>This Inner Loop Header: Depth=1
	ds_read2_b64 v[16:19], v5 offset1:1
	s_waitcnt lgkmcnt(1)
	v_xor_b32_e32 v7, 0x80000000, v1
	v_xor_b32_e32 v21, 0x80000000, v3
	v_cmp_gt_f64_e32 vcc, 0, v[2:3]
	v_cmp_gt_f64_e64 s[0:1], 0, v[0:1]
	v_mov_b32_e32 v6, v0
	v_mov_b32_e32 v20, v2
	v_cndmask_b32_e64 v7, v1, v7, s[0:1]
	v_cndmask_b32_e32 v21, v3, v21, vcc
	v_add_f64 v[6:7], v[6:7], v[20:21]
	s_waitcnt lgkmcnt(0)
	v_xor_b32_e32 v21, 0x80000000, v17
	v_xor_b32_e32 v23, 0x80000000, v19
	v_cmp_gt_f64_e32 vcc, 0, v[18:19]
	v_cmp_gt_f64_e64 s[0:1], 0, v[16:17]
	v_mov_b32_e32 v20, v16
	v_mov_b32_e32 v22, v18
	v_cndmask_b32_e64 v21, v17, v21, s[0:1]
	v_cndmask_b32_e32 v23, v19, v23, vcc
	v_add_f64 v[20:21], v[20:21], v[22:23]
	v_mov_b32_e32 v24, s4
	s_add_i32 s4, s4, 1
	v_cmp_lt_f64_e32 vcc, v[6:7], v[20:21]
	v_add_u32_e32 v5, 16, v5
	s_cmp_lg_u32 s66, s4
	v_cndmask_b32_e32 v1, v1, v17, vcc
	v_cndmask_b32_e32 v0, v0, v16, vcc
	;; [unrolled: 1-line block ×5, first 2 shown]
	s_cbranch_scc1 .LBB122_1095
.LBB122_1096:
	s_waitcnt lgkmcnt(0)
	v_cmp_eq_f64_e32 vcc, 0, v[0:1]
	v_cmp_eq_f64_e64 s[0:1], 0, v[2:3]
	s_and_b64 s[0:1], vcc, s[0:1]
	s_and_saveexec_b64 s[4:5], s[0:1]
	s_xor_b64 s[0:1], exec, s[4:5]
; %bb.1097:
	v_cmp_ne_u32_e32 vcc, 0, v13
	s_nop 1
	v_cndmask_b32_e32 v13, 48, v13, vcc
; %bb.1098:
	s_andn2_saveexec_b64 s[0:1], s[0:1]
	s_cbranch_execz .LBB122_1104
; %bb.1099:
	v_cmp_ngt_f64_e64 s[4:5], |v[0:1]|, |v[2:3]|
	s_and_saveexec_b64 s[12:13], s[4:5]
	s_xor_b64 s[12:13], exec, s[12:13]
	s_cbranch_execz .LBB122_1101
; %bb.1100:
	v_div_scale_f64 v[6:7], s[4:5], v[2:3], v[2:3], v[0:1]
	v_rcp_f64_e32 v[16:17], v[6:7]
	v_div_scale_f64 v[18:19], vcc, v[0:1], v[2:3], v[0:1]
	v_fma_f64 v[20:21], -v[6:7], v[16:17], 1.0
	v_fmac_f64_e32 v[16:17], v[16:17], v[20:21]
	v_fma_f64 v[20:21], -v[6:7], v[16:17], 1.0
	v_fmac_f64_e32 v[16:17], v[16:17], v[20:21]
	v_mul_f64 v[20:21], v[18:19], v[16:17]
	v_fma_f64 v[6:7], -v[6:7], v[20:21], v[18:19]
	v_div_fmas_f64 v[6:7], v[6:7], v[16:17], v[20:21]
	v_div_fixup_f64 v[6:7], v[6:7], v[2:3], v[0:1]
	v_fmac_f64_e32 v[2:3], v[0:1], v[6:7]
	v_div_scale_f64 v[0:1], s[4:5], v[2:3], v[2:3], 1.0
	v_rcp_f64_e32 v[16:17], v[0:1]
	s_nop 0
	v_fma_f64 v[18:19], -v[0:1], v[16:17], 1.0
	v_fmac_f64_e32 v[16:17], v[16:17], v[18:19]
	v_fma_f64 v[18:19], -v[0:1], v[16:17], 1.0
	v_fmac_f64_e32 v[16:17], v[16:17], v[18:19]
	v_div_scale_f64 v[18:19], vcc, 1.0, v[2:3], 1.0
	v_mul_f64 v[20:21], v[18:19], v[16:17]
	v_fma_f64 v[0:1], -v[0:1], v[20:21], v[18:19]
	s_nop 1
	v_div_fmas_f64 v[0:1], v[0:1], v[16:17], v[20:21]
	v_div_fixup_f64 v[2:3], v[0:1], v[2:3], 1.0
	v_mul_f64 v[0:1], v[6:7], v[2:3]
	v_xor_b32_e32 v3, 0x80000000, v3
.LBB122_1101:
	s_andn2_saveexec_b64 s[12:13], s[12:13]
	s_cbranch_execz .LBB122_1103
; %bb.1102:
	v_div_scale_f64 v[6:7], s[4:5], v[0:1], v[0:1], v[2:3]
	v_rcp_f64_e32 v[16:17], v[6:7]
	v_div_scale_f64 v[18:19], vcc, v[2:3], v[0:1], v[2:3]
	v_fma_f64 v[20:21], -v[6:7], v[16:17], 1.0
	v_fmac_f64_e32 v[16:17], v[16:17], v[20:21]
	v_fma_f64 v[20:21], -v[6:7], v[16:17], 1.0
	v_fmac_f64_e32 v[16:17], v[16:17], v[20:21]
	v_mul_f64 v[20:21], v[18:19], v[16:17]
	v_fma_f64 v[6:7], -v[6:7], v[20:21], v[18:19]
	v_div_fmas_f64 v[6:7], v[6:7], v[16:17], v[20:21]
	v_div_fixup_f64 v[6:7], v[6:7], v[0:1], v[2:3]
	v_fmac_f64_e32 v[0:1], v[2:3], v[6:7]
	v_div_scale_f64 v[2:3], s[4:5], v[0:1], v[0:1], 1.0
	v_rcp_f64_e32 v[16:17], v[2:3]
	s_nop 0
	v_fma_f64 v[18:19], -v[2:3], v[16:17], 1.0
	v_fmac_f64_e32 v[16:17], v[16:17], v[18:19]
	v_fma_f64 v[18:19], -v[2:3], v[16:17], 1.0
	v_fmac_f64_e32 v[16:17], v[16:17], v[18:19]
	v_div_scale_f64 v[18:19], vcc, 1.0, v[0:1], 1.0
	v_mul_f64 v[20:21], v[18:19], v[16:17]
	v_fma_f64 v[2:3], -v[2:3], v[20:21], v[18:19]
	s_nop 1
	v_div_fmas_f64 v[2:3], v[2:3], v[16:17], v[20:21]
	v_div_fixup_f64 v[0:1], v[2:3], v[0:1], 1.0
	v_mul_f64 v[2:3], v[6:7], -v[0:1]
.LBB122_1103:
	s_or_b64 exec, exec, s[12:13]
.LBB122_1104:
	s_or_b64 exec, exec, s[0:1]
	v_cmp_ne_u32_e32 vcc, v15, v4
	s_and_saveexec_b64 s[0:1], vcc
	s_xor_b64 s[0:1], exec, s[0:1]
	s_cbranch_execz .LBB122_1110
; %bb.1105:
	v_cmp_eq_u32_e32 vcc, 47, v15
	s_and_saveexec_b64 s[12:13], vcc
	s_cbranch_execz .LBB122_1109
; %bb.1106:
	v_cmp_ne_u32_e32 vcc, 47, v4
	s_xor_b64 s[4:5], s[18:19], -1
	s_and_b64 s[4:5], s[4:5], vcc
	s_and_saveexec_b64 s[14:15], s[4:5]
	s_cbranch_execz .LBB122_1108
; %bb.1107:
	v_ashrrev_i32_e32 v5, 31, v4
	v_lshl_add_u64 v[6:7], v[4:5], 2, v[10:11]
	global_load_dword v5, v[6:7], off
	global_load_dword v14, v[10:11], off offset:188
	s_waitcnt vmcnt(1)
	global_store_dword v[10:11], v5, off offset:188
	s_waitcnt vmcnt(1)
	global_store_dword v[6:7], v14, off
.LBB122_1108:
	s_or_b64 exec, exec, s[14:15]
	v_mov_b32_e32 v15, v4
	v_mov_b32_e32 v14, v4
.LBB122_1109:
	s_or_b64 exec, exec, s[12:13]
.LBB122_1110:
	s_andn2_saveexec_b64 s[0:1], s[0:1]
	s_cbranch_execz .LBB122_1112
; %bb.1111:
	scratch_load_dwordx4 v[4:7], off, s33
	scratch_load_dwordx4 v[16:19], off, s31
	;; [unrolled: 1-line block ×14, first 2 shown]
	v_mov_b32_e32 v15, 47
	s_waitcnt vmcnt(13)
	ds_write2_b64 v12, v[4:5], v[6:7] offset0:96 offset1:97
	s_waitcnt vmcnt(12)
	ds_write2_b64 v12, v[16:17], v[18:19] offset0:98 offset1:99
	;; [unrolled: 2-line block ×14, first 2 shown]
.LBB122_1112:
	s_or_b64 exec, exec, s[0:1]
	v_cmp_lt_i32_e32 vcc, 47, v15
	s_waitcnt lgkmcnt(0)
	s_barrier
	s_and_saveexec_b64 s[0:1], vcc
	s_cbranch_execz .LBB122_1114
; %bb.1113:
	scratch_load_dwordx4 v[4:7], off, off offset:752
	s_waitcnt vmcnt(0)
	v_mul_f64 v[16:17], v[2:3], v[6:7]
	v_mul_f64 v[18:19], v[0:1], v[6:7]
	v_fma_f64 v[16:17], v[0:1], v[4:5], -v[16:17]
	v_fmac_f64_e32 v[18:19], v[2:3], v[4:5]
	ds_read2_b64 v[0:3], v12 offset0:96 offset1:97
	scratch_store_dwordx4 off, v[16:19], off offset:752
	s_waitcnt lgkmcnt(0)
	v_mul_f64 v[4:5], v[2:3], v[18:19]
	v_mul_f64 v[6:7], v[0:1], v[18:19]
	v_fma_f64 v[4:5], v[0:1], v[16:17], -v[4:5]
	v_fmac_f64_e32 v[6:7], v[2:3], v[16:17]
	scratch_load_dwordx4 v[0:3], off, off offset:768
	s_waitcnt vmcnt(0)
	v_add_f64 v[0:1], v[0:1], -v[4:5]
	v_add_f64 v[2:3], v[2:3], -v[6:7]
	scratch_store_dwordx4 off, v[0:3], off offset:768
	ds_read2_b64 v[0:3], v12 offset0:98 offset1:99
	s_waitcnt lgkmcnt(0)
	v_mul_f64 v[4:5], v[2:3], v[18:19]
	v_mul_f64 v[6:7], v[0:1], v[18:19]
	v_fma_f64 v[4:5], v[0:1], v[16:17], -v[4:5]
	v_fmac_f64_e32 v[6:7], v[2:3], v[16:17]
	scratch_load_dwordx4 v[0:3], off, off offset:784
	s_waitcnt vmcnt(0)
	v_add_f64 v[0:1], v[0:1], -v[4:5]
	v_add_f64 v[2:3], v[2:3], -v[6:7]
	scratch_store_dwordx4 off, v[0:3], off offset:784
	ds_read2_b64 v[0:3], v12 offset0:100 offset1:101
	;; [unrolled: 11-line block ×6, first 2 shown]
	scratch_load_dwordx2 v[16:17], off, off offset:752
	scratch_load_dwordx4 v[0:3], off, off offset:752
	s_waitcnt vmcnt(0) lgkmcnt(0)
	v_mul_f64 v[18:19], v[6:7], v[2:3]
	v_mul_f64 v[20:21], v[4:5], v[2:3]
	v_fma_f64 v[18:19], v[4:5], v[16:17], -v[18:19]
	v_fmac_f64_e32 v[20:21], v[6:7], v[16:17]
	scratch_load_dwordx4 v[4:7], off, off offset:864
	s_waitcnt vmcnt(0)
	v_add_f64 v[4:5], v[4:5], -v[18:19]
	v_add_f64 v[6:7], v[6:7], -v[20:21]
	scratch_store_dwordx4 off, v[4:7], off offset:864
	ds_read2_b64 v[4:7], v12 offset0:110 offset1:111
	s_waitcnt lgkmcnt(0)
	v_mul_f64 v[18:19], v[6:7], v[2:3]
	v_mul_f64 v[20:21], v[4:5], v[2:3]
	v_fma_f64 v[18:19], v[4:5], v[16:17], -v[18:19]
	v_fmac_f64_e32 v[20:21], v[6:7], v[16:17]
	scratch_load_dwordx4 v[4:7], off, off offset:880
	s_waitcnt vmcnt(0)
	v_add_f64 v[4:5], v[4:5], -v[18:19]
	v_add_f64 v[6:7], v[6:7], -v[20:21]
	scratch_store_dwordx4 off, v[4:7], off offset:880
	ds_read2_b64 v[4:7], v12 offset0:112 offset1:113
	s_waitcnt lgkmcnt(0)
	;; [unrolled: 11-line block ×5, first 2 shown]
	v_mul_f64 v[18:19], v[6:7], v[2:3]
	v_fma_f64 v[18:19], v[4:5], v[16:17], -v[18:19]
	v_mul_f64 v[20:21], v[4:5], v[2:3]
	scratch_load_dwordx4 v[2:5], off, off offset:944
	v_fmac_f64_e32 v[20:21], v[6:7], v[16:17]
	scratch_load_dwordx2 v[6:7], off, off offset:760
	s_waitcnt vmcnt(1)
	v_add_f64 v[2:3], v[2:3], -v[18:19]
	v_add_f64 v[4:5], v[4:5], -v[20:21]
	scratch_store_dwordx4 off, v[2:5], off offset:944
	ds_read2_b64 v[2:5], v12 offset0:120 offset1:121
	s_waitcnt vmcnt(1) lgkmcnt(0)
	v_mul_f64 v[16:17], v[4:5], v[6:7]
	v_mul_f64 v[18:19], v[2:3], v[6:7]
	v_fma_f64 v[16:17], v[2:3], v[0:1], -v[16:17]
	v_fmac_f64_e32 v[18:19], v[4:5], v[0:1]
	scratch_load_dwordx4 v[2:5], off, off offset:960
	s_waitcnt vmcnt(0)
	v_add_f64 v[2:3], v[2:3], -v[16:17]
	v_add_f64 v[4:5], v[4:5], -v[18:19]
	scratch_store_dwordx4 off, v[2:5], off offset:960
	ds_read2_b64 v[2:5], v12 offset0:122 offset1:123
	s_waitcnt lgkmcnt(0)
	v_mul_f64 v[16:17], v[4:5], v[6:7]
	v_mul_f64 v[6:7], v[2:3], v[6:7]
	v_fma_f64 v[16:17], v[2:3], v[0:1], -v[16:17]
	v_fmac_f64_e32 v[6:7], v[4:5], v[0:1]
	scratch_load_dwordx4 v[0:3], off, off offset:976
	s_waitcnt vmcnt(0)
	v_add_f64 v[0:1], v[0:1], -v[16:17]
	v_add_f64 v[2:3], v[2:3], -v[6:7]
	scratch_store_dwordx4 off, v[0:3], off offset:976
.LBB122_1114:
	s_or_b64 exec, exec, s[0:1]
	s_barrier
	scratch_load_dwordx4 v[0:3], off, s33
	v_lshl_add_u32 v4, v15, 4, v12
	s_cmp_lt_i32 s66, 50
	s_waitcnt vmcnt(0)
	ds_write2_b64 v4, v[0:1], v[2:3] offset1:1
	s_waitcnt lgkmcnt(0)
	s_barrier
	ds_read2_b64 v[0:3], v12 offset0:96 offset1:97
	v_mov_b32_e32 v4, 48
	s_cbranch_scc1 .LBB122_1117
; %bb.1115:
	v_add_u32_e32 v5, 0x310, v12
	s_mov_b32 s4, 49
	v_mov_b32_e32 v4, 48
.LBB122_1116:                           ; =>This Inner Loop Header: Depth=1
	ds_read2_b64 v[16:19], v5 offset1:1
	s_waitcnt lgkmcnt(1)
	v_xor_b32_e32 v7, 0x80000000, v1
	v_xor_b32_e32 v21, 0x80000000, v3
	v_cmp_gt_f64_e32 vcc, 0, v[2:3]
	v_cmp_gt_f64_e64 s[0:1], 0, v[0:1]
	v_mov_b32_e32 v6, v0
	v_mov_b32_e32 v20, v2
	v_cndmask_b32_e64 v7, v1, v7, s[0:1]
	v_cndmask_b32_e32 v21, v3, v21, vcc
	v_add_f64 v[6:7], v[6:7], v[20:21]
	s_waitcnt lgkmcnt(0)
	v_xor_b32_e32 v21, 0x80000000, v17
	v_xor_b32_e32 v23, 0x80000000, v19
	v_cmp_gt_f64_e32 vcc, 0, v[18:19]
	v_cmp_gt_f64_e64 s[0:1], 0, v[16:17]
	v_mov_b32_e32 v20, v16
	v_mov_b32_e32 v22, v18
	v_cndmask_b32_e64 v21, v17, v21, s[0:1]
	v_cndmask_b32_e32 v23, v19, v23, vcc
	v_add_f64 v[20:21], v[20:21], v[22:23]
	v_mov_b32_e32 v24, s4
	s_add_i32 s4, s4, 1
	v_cmp_lt_f64_e32 vcc, v[6:7], v[20:21]
	v_add_u32_e32 v5, 16, v5
	s_cmp_lg_u32 s66, s4
	v_cndmask_b32_e32 v1, v1, v17, vcc
	v_cndmask_b32_e32 v0, v0, v16, vcc
	;; [unrolled: 1-line block ×5, first 2 shown]
	s_cbranch_scc1 .LBB122_1116
.LBB122_1117:
	s_waitcnt lgkmcnt(0)
	v_cmp_eq_f64_e32 vcc, 0, v[0:1]
	v_cmp_eq_f64_e64 s[0:1], 0, v[2:3]
	s_and_b64 s[0:1], vcc, s[0:1]
	s_and_saveexec_b64 s[4:5], s[0:1]
	s_xor_b64 s[0:1], exec, s[4:5]
; %bb.1118:
	v_cmp_ne_u32_e32 vcc, 0, v13
	s_nop 1
	v_cndmask_b32_e32 v13, 49, v13, vcc
; %bb.1119:
	s_andn2_saveexec_b64 s[0:1], s[0:1]
	s_cbranch_execz .LBB122_1125
; %bb.1120:
	v_cmp_ngt_f64_e64 s[4:5], |v[0:1]|, |v[2:3]|
	s_and_saveexec_b64 s[12:13], s[4:5]
	s_xor_b64 s[12:13], exec, s[12:13]
	s_cbranch_execz .LBB122_1122
; %bb.1121:
	v_div_scale_f64 v[6:7], s[4:5], v[2:3], v[2:3], v[0:1]
	v_rcp_f64_e32 v[16:17], v[6:7]
	v_div_scale_f64 v[18:19], vcc, v[0:1], v[2:3], v[0:1]
	v_fma_f64 v[20:21], -v[6:7], v[16:17], 1.0
	v_fmac_f64_e32 v[16:17], v[16:17], v[20:21]
	v_fma_f64 v[20:21], -v[6:7], v[16:17], 1.0
	v_fmac_f64_e32 v[16:17], v[16:17], v[20:21]
	v_mul_f64 v[20:21], v[18:19], v[16:17]
	v_fma_f64 v[6:7], -v[6:7], v[20:21], v[18:19]
	v_div_fmas_f64 v[6:7], v[6:7], v[16:17], v[20:21]
	v_div_fixup_f64 v[6:7], v[6:7], v[2:3], v[0:1]
	v_fmac_f64_e32 v[2:3], v[0:1], v[6:7]
	v_div_scale_f64 v[0:1], s[4:5], v[2:3], v[2:3], 1.0
	v_rcp_f64_e32 v[16:17], v[0:1]
	s_nop 0
	v_fma_f64 v[18:19], -v[0:1], v[16:17], 1.0
	v_fmac_f64_e32 v[16:17], v[16:17], v[18:19]
	v_fma_f64 v[18:19], -v[0:1], v[16:17], 1.0
	v_fmac_f64_e32 v[16:17], v[16:17], v[18:19]
	v_div_scale_f64 v[18:19], vcc, 1.0, v[2:3], 1.0
	v_mul_f64 v[20:21], v[18:19], v[16:17]
	v_fma_f64 v[0:1], -v[0:1], v[20:21], v[18:19]
	s_nop 1
	v_div_fmas_f64 v[0:1], v[0:1], v[16:17], v[20:21]
	v_div_fixup_f64 v[2:3], v[0:1], v[2:3], 1.0
	v_mul_f64 v[0:1], v[6:7], v[2:3]
	v_xor_b32_e32 v3, 0x80000000, v3
.LBB122_1122:
	s_andn2_saveexec_b64 s[12:13], s[12:13]
	s_cbranch_execz .LBB122_1124
; %bb.1123:
	v_div_scale_f64 v[6:7], s[4:5], v[0:1], v[0:1], v[2:3]
	v_rcp_f64_e32 v[16:17], v[6:7]
	v_div_scale_f64 v[18:19], vcc, v[2:3], v[0:1], v[2:3]
	v_fma_f64 v[20:21], -v[6:7], v[16:17], 1.0
	v_fmac_f64_e32 v[16:17], v[16:17], v[20:21]
	v_fma_f64 v[20:21], -v[6:7], v[16:17], 1.0
	v_fmac_f64_e32 v[16:17], v[16:17], v[20:21]
	v_mul_f64 v[20:21], v[18:19], v[16:17]
	v_fma_f64 v[6:7], -v[6:7], v[20:21], v[18:19]
	v_div_fmas_f64 v[6:7], v[6:7], v[16:17], v[20:21]
	v_div_fixup_f64 v[6:7], v[6:7], v[0:1], v[2:3]
	v_fmac_f64_e32 v[0:1], v[2:3], v[6:7]
	v_div_scale_f64 v[2:3], s[4:5], v[0:1], v[0:1], 1.0
	v_rcp_f64_e32 v[16:17], v[2:3]
	s_nop 0
	v_fma_f64 v[18:19], -v[2:3], v[16:17], 1.0
	v_fmac_f64_e32 v[16:17], v[16:17], v[18:19]
	v_fma_f64 v[18:19], -v[2:3], v[16:17], 1.0
	v_fmac_f64_e32 v[16:17], v[16:17], v[18:19]
	v_div_scale_f64 v[18:19], vcc, 1.0, v[0:1], 1.0
	v_mul_f64 v[20:21], v[18:19], v[16:17]
	v_fma_f64 v[2:3], -v[2:3], v[20:21], v[18:19]
	s_nop 1
	v_div_fmas_f64 v[2:3], v[2:3], v[16:17], v[20:21]
	v_div_fixup_f64 v[0:1], v[2:3], v[0:1], 1.0
	v_mul_f64 v[2:3], v[6:7], -v[0:1]
.LBB122_1124:
	s_or_b64 exec, exec, s[12:13]
.LBB122_1125:
	s_or_b64 exec, exec, s[0:1]
	v_cmp_ne_u32_e32 vcc, v15, v4
	s_and_saveexec_b64 s[0:1], vcc
	s_xor_b64 s[0:1], exec, s[0:1]
	s_cbranch_execz .LBB122_1131
; %bb.1126:
	v_cmp_eq_u32_e32 vcc, 48, v15
	s_and_saveexec_b64 s[12:13], vcc
	s_cbranch_execz .LBB122_1130
; %bb.1127:
	v_cmp_ne_u32_e32 vcc, 48, v4
	s_xor_b64 s[4:5], s[18:19], -1
	s_and_b64 s[4:5], s[4:5], vcc
	s_and_saveexec_b64 s[14:15], s[4:5]
	s_cbranch_execz .LBB122_1129
; %bb.1128:
	v_ashrrev_i32_e32 v5, 31, v4
	v_lshl_add_u64 v[6:7], v[4:5], 2, v[10:11]
	global_load_dword v5, v[6:7], off
	global_load_dword v14, v[10:11], off offset:192
	s_waitcnt vmcnt(1)
	global_store_dword v[10:11], v5, off offset:192
	s_waitcnt vmcnt(1)
	global_store_dword v[6:7], v14, off
.LBB122_1129:
	s_or_b64 exec, exec, s[14:15]
	v_mov_b32_e32 v15, v4
	v_mov_b32_e32 v14, v4
.LBB122_1130:
	s_or_b64 exec, exec, s[12:13]
.LBB122_1131:
	s_andn2_saveexec_b64 s[0:1], s[0:1]
	s_cbranch_execz .LBB122_1133
; %bb.1132:
	scratch_load_dwordx4 v[4:7], off, s31
	scratch_load_dwordx4 v[16:19], off, s30
	;; [unrolled: 1-line block ×13, first 2 shown]
	v_mov_b32_e32 v15, 48
	s_waitcnt vmcnt(12)
	ds_write2_b64 v12, v[4:5], v[6:7] offset0:98 offset1:99
	s_waitcnt vmcnt(11)
	ds_write2_b64 v12, v[16:17], v[18:19] offset0:100 offset1:101
	;; [unrolled: 2-line block ×13, first 2 shown]
.LBB122_1133:
	s_or_b64 exec, exec, s[0:1]
	v_cmp_lt_i32_e32 vcc, 48, v15
	s_waitcnt lgkmcnt(0)
	s_barrier
	s_and_saveexec_b64 s[0:1], vcc
	s_cbranch_execz .LBB122_1135
; %bb.1134:
	scratch_load_dwordx4 v[4:7], off, off offset:768
	s_waitcnt vmcnt(0)
	v_mul_f64 v[16:17], v[2:3], v[6:7]
	v_mul_f64 v[18:19], v[0:1], v[6:7]
	v_fma_f64 v[16:17], v[0:1], v[4:5], -v[16:17]
	v_fmac_f64_e32 v[18:19], v[2:3], v[4:5]
	ds_read2_b64 v[0:3], v12 offset0:98 offset1:99
	scratch_store_dwordx4 off, v[16:19], off offset:768
	s_waitcnt lgkmcnt(0)
	v_mul_f64 v[4:5], v[2:3], v[18:19]
	v_mul_f64 v[6:7], v[0:1], v[18:19]
	v_fma_f64 v[4:5], v[0:1], v[16:17], -v[4:5]
	v_fmac_f64_e32 v[6:7], v[2:3], v[16:17]
	scratch_load_dwordx4 v[0:3], off, off offset:784
	s_waitcnt vmcnt(0)
	v_add_f64 v[0:1], v[0:1], -v[4:5]
	v_add_f64 v[2:3], v[2:3], -v[6:7]
	scratch_store_dwordx4 off, v[0:3], off offset:784
	ds_read2_b64 v[0:3], v12 offset0:100 offset1:101
	s_waitcnt lgkmcnt(0)
	v_mul_f64 v[4:5], v[2:3], v[18:19]
	v_mul_f64 v[6:7], v[0:1], v[18:19]
	v_fma_f64 v[4:5], v[0:1], v[16:17], -v[4:5]
	v_fmac_f64_e32 v[6:7], v[2:3], v[16:17]
	scratch_load_dwordx4 v[0:3], off, off offset:800
	s_waitcnt vmcnt(0)
	v_add_f64 v[0:1], v[0:1], -v[4:5]
	v_add_f64 v[2:3], v[2:3], -v[6:7]
	scratch_store_dwordx4 off, v[0:3], off offset:800
	ds_read2_b64 v[0:3], v12 offset0:102 offset1:103
	;; [unrolled: 11-line block ×6, first 2 shown]
	scratch_load_dwordx2 v[16:17], off, off offset:768
	scratch_load_dwordx4 v[4:7], off, off offset:768
	s_waitcnt vmcnt(0) lgkmcnt(0)
	v_mul_f64 v[18:19], v[2:3], v[6:7]
	v_mul_f64 v[20:21], v[0:1], v[6:7]
	v_fma_f64 v[18:19], v[0:1], v[16:17], -v[18:19]
	v_fmac_f64_e32 v[20:21], v[2:3], v[16:17]
	scratch_load_dwordx4 v[0:3], off, off offset:880
	s_waitcnt vmcnt(0)
	v_add_f64 v[0:1], v[0:1], -v[18:19]
	v_add_f64 v[2:3], v[2:3], -v[20:21]
	scratch_store_dwordx4 off, v[0:3], off offset:880
	ds_read2_b64 v[0:3], v12 offset0:112 offset1:113
	s_waitcnt lgkmcnt(0)
	v_mul_f64 v[18:19], v[2:3], v[6:7]
	v_mul_f64 v[20:21], v[0:1], v[6:7]
	v_fma_f64 v[18:19], v[0:1], v[16:17], -v[18:19]
	v_fmac_f64_e32 v[20:21], v[2:3], v[16:17]
	scratch_load_dwordx4 v[0:3], off, off offset:896
	s_waitcnt vmcnt(0)
	v_add_f64 v[0:1], v[0:1], -v[18:19]
	v_add_f64 v[2:3], v[2:3], -v[20:21]
	scratch_store_dwordx4 off, v[0:3], off offset:896
	ds_read2_b64 v[0:3], v12 offset0:114 offset1:115
	s_waitcnt lgkmcnt(0)
	;; [unrolled: 11-line block ×5, first 2 shown]
	v_mul_f64 v[18:19], v[2:3], v[6:7]
	v_mul_f64 v[6:7], v[0:1], v[6:7]
	v_fma_f64 v[18:19], v[0:1], v[16:17], -v[18:19]
	v_fmac_f64_e32 v[6:7], v[2:3], v[16:17]
	scratch_load_dwordx4 v[0:3], off, off offset:960
	s_waitcnt vmcnt(0)
	v_add_f64 v[2:3], v[2:3], -v[6:7]
	scratch_load_dwordx2 v[6:7], off, off offset:776
	v_add_f64 v[0:1], v[0:1], -v[18:19]
	scratch_store_dwordx4 off, v[0:3], off offset:960
	ds_read2_b64 v[0:3], v12 offset0:122 offset1:123
	s_waitcnt vmcnt(1) lgkmcnt(0)
	v_mul_f64 v[16:17], v[2:3], v[6:7]
	v_mul_f64 v[6:7], v[0:1], v[6:7]
	v_fma_f64 v[16:17], v[0:1], v[4:5], -v[16:17]
	v_fmac_f64_e32 v[6:7], v[2:3], v[4:5]
	scratch_load_dwordx4 v[0:3], off, off offset:976
	s_waitcnt vmcnt(0)
	v_add_f64 v[0:1], v[0:1], -v[16:17]
	v_add_f64 v[2:3], v[2:3], -v[6:7]
	scratch_store_dwordx4 off, v[0:3], off offset:976
.LBB122_1135:
	s_or_b64 exec, exec, s[0:1]
	s_barrier
	scratch_load_dwordx4 v[0:3], off, s31
	v_lshl_add_u32 v4, v15, 4, v12
	s_cmp_lt_i32 s66, 51
	s_waitcnt vmcnt(0)
	ds_write2_b64 v4, v[0:1], v[2:3] offset1:1
	s_waitcnt lgkmcnt(0)
	s_barrier
	ds_read2_b64 v[0:3], v12 offset0:98 offset1:99
	v_mov_b32_e32 v4, 49
	s_cbranch_scc1 .LBB122_1138
; %bb.1136:
	v_add_u32_e32 v5, 0x320, v12
	s_mov_b32 s4, 50
	v_mov_b32_e32 v4, 49
.LBB122_1137:                           ; =>This Inner Loop Header: Depth=1
	ds_read2_b64 v[16:19], v5 offset1:1
	s_waitcnt lgkmcnt(1)
	v_xor_b32_e32 v7, 0x80000000, v1
	v_xor_b32_e32 v21, 0x80000000, v3
	v_cmp_gt_f64_e32 vcc, 0, v[2:3]
	v_cmp_gt_f64_e64 s[0:1], 0, v[0:1]
	v_mov_b32_e32 v6, v0
	v_mov_b32_e32 v20, v2
	v_cndmask_b32_e64 v7, v1, v7, s[0:1]
	v_cndmask_b32_e32 v21, v3, v21, vcc
	v_add_f64 v[6:7], v[6:7], v[20:21]
	s_waitcnt lgkmcnt(0)
	v_xor_b32_e32 v21, 0x80000000, v17
	v_xor_b32_e32 v23, 0x80000000, v19
	v_cmp_gt_f64_e32 vcc, 0, v[18:19]
	v_cmp_gt_f64_e64 s[0:1], 0, v[16:17]
	v_mov_b32_e32 v20, v16
	v_mov_b32_e32 v22, v18
	v_cndmask_b32_e64 v21, v17, v21, s[0:1]
	v_cndmask_b32_e32 v23, v19, v23, vcc
	v_add_f64 v[20:21], v[20:21], v[22:23]
	v_mov_b32_e32 v24, s4
	s_add_i32 s4, s4, 1
	v_cmp_lt_f64_e32 vcc, v[6:7], v[20:21]
	v_add_u32_e32 v5, 16, v5
	s_cmp_lg_u32 s66, s4
	v_cndmask_b32_e32 v1, v1, v17, vcc
	v_cndmask_b32_e32 v0, v0, v16, vcc
	;; [unrolled: 1-line block ×5, first 2 shown]
	s_cbranch_scc1 .LBB122_1137
.LBB122_1138:
	s_waitcnt lgkmcnt(0)
	v_cmp_eq_f64_e32 vcc, 0, v[0:1]
	v_cmp_eq_f64_e64 s[0:1], 0, v[2:3]
	s_and_b64 s[0:1], vcc, s[0:1]
	s_and_saveexec_b64 s[4:5], s[0:1]
	s_xor_b64 s[0:1], exec, s[4:5]
; %bb.1139:
	v_cmp_ne_u32_e32 vcc, 0, v13
	s_nop 1
	v_cndmask_b32_e32 v13, 50, v13, vcc
; %bb.1140:
	s_andn2_saveexec_b64 s[0:1], s[0:1]
	s_cbranch_execz .LBB122_1146
; %bb.1141:
	v_cmp_ngt_f64_e64 s[4:5], |v[0:1]|, |v[2:3]|
	s_and_saveexec_b64 s[12:13], s[4:5]
	s_xor_b64 s[12:13], exec, s[12:13]
	s_cbranch_execz .LBB122_1143
; %bb.1142:
	v_div_scale_f64 v[6:7], s[4:5], v[2:3], v[2:3], v[0:1]
	v_rcp_f64_e32 v[16:17], v[6:7]
	v_div_scale_f64 v[18:19], vcc, v[0:1], v[2:3], v[0:1]
	v_fma_f64 v[20:21], -v[6:7], v[16:17], 1.0
	v_fmac_f64_e32 v[16:17], v[16:17], v[20:21]
	v_fma_f64 v[20:21], -v[6:7], v[16:17], 1.0
	v_fmac_f64_e32 v[16:17], v[16:17], v[20:21]
	v_mul_f64 v[20:21], v[18:19], v[16:17]
	v_fma_f64 v[6:7], -v[6:7], v[20:21], v[18:19]
	v_div_fmas_f64 v[6:7], v[6:7], v[16:17], v[20:21]
	v_div_fixup_f64 v[6:7], v[6:7], v[2:3], v[0:1]
	v_fmac_f64_e32 v[2:3], v[0:1], v[6:7]
	v_div_scale_f64 v[0:1], s[4:5], v[2:3], v[2:3], 1.0
	v_rcp_f64_e32 v[16:17], v[0:1]
	s_nop 0
	v_fma_f64 v[18:19], -v[0:1], v[16:17], 1.0
	v_fmac_f64_e32 v[16:17], v[16:17], v[18:19]
	v_fma_f64 v[18:19], -v[0:1], v[16:17], 1.0
	v_fmac_f64_e32 v[16:17], v[16:17], v[18:19]
	v_div_scale_f64 v[18:19], vcc, 1.0, v[2:3], 1.0
	v_mul_f64 v[20:21], v[18:19], v[16:17]
	v_fma_f64 v[0:1], -v[0:1], v[20:21], v[18:19]
	s_nop 1
	v_div_fmas_f64 v[0:1], v[0:1], v[16:17], v[20:21]
	v_div_fixup_f64 v[2:3], v[0:1], v[2:3], 1.0
	v_mul_f64 v[0:1], v[6:7], v[2:3]
	v_xor_b32_e32 v3, 0x80000000, v3
.LBB122_1143:
	s_andn2_saveexec_b64 s[12:13], s[12:13]
	s_cbranch_execz .LBB122_1145
; %bb.1144:
	v_div_scale_f64 v[6:7], s[4:5], v[0:1], v[0:1], v[2:3]
	v_rcp_f64_e32 v[16:17], v[6:7]
	v_div_scale_f64 v[18:19], vcc, v[2:3], v[0:1], v[2:3]
	v_fma_f64 v[20:21], -v[6:7], v[16:17], 1.0
	v_fmac_f64_e32 v[16:17], v[16:17], v[20:21]
	v_fma_f64 v[20:21], -v[6:7], v[16:17], 1.0
	v_fmac_f64_e32 v[16:17], v[16:17], v[20:21]
	v_mul_f64 v[20:21], v[18:19], v[16:17]
	v_fma_f64 v[6:7], -v[6:7], v[20:21], v[18:19]
	v_div_fmas_f64 v[6:7], v[6:7], v[16:17], v[20:21]
	v_div_fixup_f64 v[6:7], v[6:7], v[0:1], v[2:3]
	v_fmac_f64_e32 v[0:1], v[2:3], v[6:7]
	v_div_scale_f64 v[2:3], s[4:5], v[0:1], v[0:1], 1.0
	v_rcp_f64_e32 v[16:17], v[2:3]
	s_nop 0
	v_fma_f64 v[18:19], -v[2:3], v[16:17], 1.0
	v_fmac_f64_e32 v[16:17], v[16:17], v[18:19]
	v_fma_f64 v[18:19], -v[2:3], v[16:17], 1.0
	v_fmac_f64_e32 v[16:17], v[16:17], v[18:19]
	v_div_scale_f64 v[18:19], vcc, 1.0, v[0:1], 1.0
	v_mul_f64 v[20:21], v[18:19], v[16:17]
	v_fma_f64 v[2:3], -v[2:3], v[20:21], v[18:19]
	s_nop 1
	v_div_fmas_f64 v[2:3], v[2:3], v[16:17], v[20:21]
	v_div_fixup_f64 v[0:1], v[2:3], v[0:1], 1.0
	v_mul_f64 v[2:3], v[6:7], -v[0:1]
.LBB122_1145:
	s_or_b64 exec, exec, s[12:13]
.LBB122_1146:
	s_or_b64 exec, exec, s[0:1]
	v_cmp_ne_u32_e32 vcc, v15, v4
	s_and_saveexec_b64 s[0:1], vcc
	s_xor_b64 s[0:1], exec, s[0:1]
	s_cbranch_execz .LBB122_1152
; %bb.1147:
	v_cmp_eq_u32_e32 vcc, 49, v15
	s_and_saveexec_b64 s[12:13], vcc
	s_cbranch_execz .LBB122_1151
; %bb.1148:
	v_cmp_ne_u32_e32 vcc, 49, v4
	s_xor_b64 s[4:5], s[18:19], -1
	s_and_b64 s[4:5], s[4:5], vcc
	s_and_saveexec_b64 s[14:15], s[4:5]
	s_cbranch_execz .LBB122_1150
; %bb.1149:
	v_ashrrev_i32_e32 v5, 31, v4
	v_lshl_add_u64 v[6:7], v[4:5], 2, v[10:11]
	global_load_dword v5, v[6:7], off
	global_load_dword v14, v[10:11], off offset:196
	s_waitcnt vmcnt(1)
	global_store_dword v[10:11], v5, off offset:196
	s_waitcnt vmcnt(1)
	global_store_dword v[6:7], v14, off
.LBB122_1150:
	s_or_b64 exec, exec, s[14:15]
	v_mov_b32_e32 v15, v4
	v_mov_b32_e32 v14, v4
.LBB122_1151:
	s_or_b64 exec, exec, s[12:13]
.LBB122_1152:
	s_andn2_saveexec_b64 s[0:1], s[0:1]
	s_cbranch_execz .LBB122_1154
; %bb.1153:
	scratch_load_dwordx4 v[4:7], off, s30
	scratch_load_dwordx4 v[16:19], off, s29
	;; [unrolled: 1-line block ×12, first 2 shown]
	v_mov_b32_e32 v15, 49
	s_waitcnt vmcnt(11)
	ds_write2_b64 v12, v[4:5], v[6:7] offset0:100 offset1:101
	s_waitcnt vmcnt(10)
	ds_write2_b64 v12, v[16:17], v[18:19] offset0:102 offset1:103
	;; [unrolled: 2-line block ×12, first 2 shown]
.LBB122_1154:
	s_or_b64 exec, exec, s[0:1]
	v_cmp_lt_i32_e32 vcc, 49, v15
	s_waitcnt lgkmcnt(0)
	s_barrier
	s_and_saveexec_b64 s[0:1], vcc
	s_cbranch_execz .LBB122_1156
; %bb.1155:
	scratch_load_dwordx4 v[4:7], off, off offset:784
	s_waitcnt vmcnt(0)
	v_mul_f64 v[16:17], v[2:3], v[6:7]
	v_mul_f64 v[18:19], v[0:1], v[6:7]
	v_fma_f64 v[16:17], v[0:1], v[4:5], -v[16:17]
	v_fmac_f64_e32 v[18:19], v[2:3], v[4:5]
	ds_read2_b64 v[0:3], v12 offset0:100 offset1:101
	scratch_store_dwordx4 off, v[16:19], off offset:784
	s_waitcnt lgkmcnt(0)
	v_mul_f64 v[4:5], v[2:3], v[18:19]
	v_mul_f64 v[6:7], v[0:1], v[18:19]
	v_fma_f64 v[4:5], v[0:1], v[16:17], -v[4:5]
	v_fmac_f64_e32 v[6:7], v[2:3], v[16:17]
	scratch_load_dwordx4 v[0:3], off, off offset:800
	s_waitcnt vmcnt(0)
	v_add_f64 v[0:1], v[0:1], -v[4:5]
	v_add_f64 v[2:3], v[2:3], -v[6:7]
	scratch_store_dwordx4 off, v[0:3], off offset:800
	ds_read2_b64 v[0:3], v12 offset0:102 offset1:103
	s_waitcnt lgkmcnt(0)
	v_mul_f64 v[4:5], v[2:3], v[18:19]
	v_mul_f64 v[6:7], v[0:1], v[18:19]
	v_fma_f64 v[4:5], v[0:1], v[16:17], -v[4:5]
	v_fmac_f64_e32 v[6:7], v[2:3], v[16:17]
	scratch_load_dwordx4 v[0:3], off, off offset:816
	s_waitcnt vmcnt(0)
	v_add_f64 v[0:1], v[0:1], -v[4:5]
	v_add_f64 v[2:3], v[2:3], -v[6:7]
	scratch_store_dwordx4 off, v[0:3], off offset:816
	ds_read2_b64 v[0:3], v12 offset0:104 offset1:105
	;; [unrolled: 11-line block ×5, first 2 shown]
	s_waitcnt lgkmcnt(0)
	v_mul_f64 v[4:5], v[2:3], v[18:19]
	v_mul_f64 v[6:7], v[0:1], v[18:19]
	v_fma_f64 v[4:5], v[0:1], v[16:17], -v[4:5]
	v_fmac_f64_e32 v[6:7], v[2:3], v[16:17]
	scratch_load_dwordx4 v[0:3], off, off offset:880
	s_waitcnt vmcnt(0)
	v_add_f64 v[0:1], v[0:1], -v[4:5]
	v_add_f64 v[2:3], v[2:3], -v[6:7]
	scratch_load_dwordx4 v[4:7], off, off offset:784
	s_nop 0
	scratch_store_dwordx4 off, v[0:3], off offset:880
	ds_read2_b64 v[0:3], v12 offset0:112 offset1:113
	s_waitcnt vmcnt(1) lgkmcnt(0)
	v_mul_f64 v[16:17], v[2:3], v[6:7]
	v_mul_f64 v[18:19], v[0:1], v[6:7]
	v_fma_f64 v[16:17], v[0:1], v[4:5], -v[16:17]
	v_fmac_f64_e32 v[18:19], v[2:3], v[4:5]
	scratch_load_dwordx4 v[0:3], off, off offset:896
	s_waitcnt vmcnt(0)
	v_add_f64 v[0:1], v[0:1], -v[16:17]
	v_add_f64 v[2:3], v[2:3], -v[18:19]
	scratch_store_dwordx4 off, v[0:3], off offset:896
	ds_read2_b64 v[0:3], v12 offset0:114 offset1:115
	s_waitcnt lgkmcnt(0)
	v_mul_f64 v[16:17], v[2:3], v[6:7]
	v_mul_f64 v[18:19], v[0:1], v[6:7]
	v_fma_f64 v[16:17], v[0:1], v[4:5], -v[16:17]
	v_fmac_f64_e32 v[18:19], v[2:3], v[4:5]
	scratch_load_dwordx4 v[0:3], off, off offset:912
	s_waitcnt vmcnt(0)
	v_add_f64 v[0:1], v[0:1], -v[16:17]
	v_add_f64 v[2:3], v[2:3], -v[18:19]
	scratch_store_dwordx4 off, v[0:3], off offset:912
	ds_read2_b64 v[0:3], v12 offset0:116 offset1:117
	s_waitcnt lgkmcnt(0)
	;; [unrolled: 11-line block ×5, first 2 shown]
	v_mul_f64 v[16:17], v[2:3], v[6:7]
	v_mul_f64 v[6:7], v[0:1], v[6:7]
	v_fma_f64 v[16:17], v[0:1], v[4:5], -v[16:17]
	v_fmac_f64_e32 v[6:7], v[2:3], v[4:5]
	scratch_load_dwordx4 v[0:3], off, off offset:976
	s_waitcnt vmcnt(0)
	v_add_f64 v[0:1], v[0:1], -v[16:17]
	v_add_f64 v[2:3], v[2:3], -v[6:7]
	scratch_store_dwordx4 off, v[0:3], off offset:976
.LBB122_1156:
	s_or_b64 exec, exec, s[0:1]
	s_barrier
	scratch_load_dwordx4 v[0:3], off, s30
	v_lshl_add_u32 v4, v15, 4, v12
	s_cmp_lt_i32 s66, 52
	s_waitcnt vmcnt(0)
	ds_write2_b64 v4, v[0:1], v[2:3] offset1:1
	s_waitcnt lgkmcnt(0)
	s_barrier
	ds_read2_b64 v[0:3], v12 offset0:100 offset1:101
	v_mov_b32_e32 v4, 50
	s_cbranch_scc1 .LBB122_1159
; %bb.1157:
	v_add_u32_e32 v5, 0x330, v12
	s_mov_b32 s4, 51
	v_mov_b32_e32 v4, 50
.LBB122_1158:                           ; =>This Inner Loop Header: Depth=1
	ds_read2_b64 v[16:19], v5 offset1:1
	s_waitcnt lgkmcnt(1)
	v_xor_b32_e32 v7, 0x80000000, v1
	v_xor_b32_e32 v21, 0x80000000, v3
	v_cmp_gt_f64_e32 vcc, 0, v[2:3]
	v_cmp_gt_f64_e64 s[0:1], 0, v[0:1]
	v_mov_b32_e32 v6, v0
	v_mov_b32_e32 v20, v2
	v_cndmask_b32_e64 v7, v1, v7, s[0:1]
	v_cndmask_b32_e32 v21, v3, v21, vcc
	v_add_f64 v[6:7], v[6:7], v[20:21]
	s_waitcnt lgkmcnt(0)
	v_xor_b32_e32 v21, 0x80000000, v17
	v_xor_b32_e32 v23, 0x80000000, v19
	v_cmp_gt_f64_e32 vcc, 0, v[18:19]
	v_cmp_gt_f64_e64 s[0:1], 0, v[16:17]
	v_mov_b32_e32 v20, v16
	v_mov_b32_e32 v22, v18
	v_cndmask_b32_e64 v21, v17, v21, s[0:1]
	v_cndmask_b32_e32 v23, v19, v23, vcc
	v_add_f64 v[20:21], v[20:21], v[22:23]
	v_mov_b32_e32 v24, s4
	s_add_i32 s4, s4, 1
	v_cmp_lt_f64_e32 vcc, v[6:7], v[20:21]
	v_add_u32_e32 v5, 16, v5
	s_cmp_lg_u32 s66, s4
	v_cndmask_b32_e32 v1, v1, v17, vcc
	v_cndmask_b32_e32 v0, v0, v16, vcc
	;; [unrolled: 1-line block ×5, first 2 shown]
	s_cbranch_scc1 .LBB122_1158
.LBB122_1159:
	s_waitcnt lgkmcnt(0)
	v_cmp_eq_f64_e32 vcc, 0, v[0:1]
	v_cmp_eq_f64_e64 s[0:1], 0, v[2:3]
	s_and_b64 s[0:1], vcc, s[0:1]
	s_and_saveexec_b64 s[4:5], s[0:1]
	s_xor_b64 s[0:1], exec, s[4:5]
; %bb.1160:
	v_cmp_ne_u32_e32 vcc, 0, v13
	s_nop 1
	v_cndmask_b32_e32 v13, 51, v13, vcc
; %bb.1161:
	s_andn2_saveexec_b64 s[0:1], s[0:1]
	s_cbranch_execz .LBB122_1167
; %bb.1162:
	v_cmp_ngt_f64_e64 s[4:5], |v[0:1]|, |v[2:3]|
	s_and_saveexec_b64 s[12:13], s[4:5]
	s_xor_b64 s[12:13], exec, s[12:13]
	s_cbranch_execz .LBB122_1164
; %bb.1163:
	v_div_scale_f64 v[6:7], s[4:5], v[2:3], v[2:3], v[0:1]
	v_rcp_f64_e32 v[16:17], v[6:7]
	v_div_scale_f64 v[18:19], vcc, v[0:1], v[2:3], v[0:1]
	v_fma_f64 v[20:21], -v[6:7], v[16:17], 1.0
	v_fmac_f64_e32 v[16:17], v[16:17], v[20:21]
	v_fma_f64 v[20:21], -v[6:7], v[16:17], 1.0
	v_fmac_f64_e32 v[16:17], v[16:17], v[20:21]
	v_mul_f64 v[20:21], v[18:19], v[16:17]
	v_fma_f64 v[6:7], -v[6:7], v[20:21], v[18:19]
	v_div_fmas_f64 v[6:7], v[6:7], v[16:17], v[20:21]
	v_div_fixup_f64 v[6:7], v[6:7], v[2:3], v[0:1]
	v_fmac_f64_e32 v[2:3], v[0:1], v[6:7]
	v_div_scale_f64 v[0:1], s[4:5], v[2:3], v[2:3], 1.0
	v_rcp_f64_e32 v[16:17], v[0:1]
	s_nop 0
	v_fma_f64 v[18:19], -v[0:1], v[16:17], 1.0
	v_fmac_f64_e32 v[16:17], v[16:17], v[18:19]
	v_fma_f64 v[18:19], -v[0:1], v[16:17], 1.0
	v_fmac_f64_e32 v[16:17], v[16:17], v[18:19]
	v_div_scale_f64 v[18:19], vcc, 1.0, v[2:3], 1.0
	v_mul_f64 v[20:21], v[18:19], v[16:17]
	v_fma_f64 v[0:1], -v[0:1], v[20:21], v[18:19]
	s_nop 1
	v_div_fmas_f64 v[0:1], v[0:1], v[16:17], v[20:21]
	v_div_fixup_f64 v[2:3], v[0:1], v[2:3], 1.0
	v_mul_f64 v[0:1], v[6:7], v[2:3]
	v_xor_b32_e32 v3, 0x80000000, v3
.LBB122_1164:
	s_andn2_saveexec_b64 s[12:13], s[12:13]
	s_cbranch_execz .LBB122_1166
; %bb.1165:
	v_div_scale_f64 v[6:7], s[4:5], v[0:1], v[0:1], v[2:3]
	v_rcp_f64_e32 v[16:17], v[6:7]
	v_div_scale_f64 v[18:19], vcc, v[2:3], v[0:1], v[2:3]
	v_fma_f64 v[20:21], -v[6:7], v[16:17], 1.0
	v_fmac_f64_e32 v[16:17], v[16:17], v[20:21]
	v_fma_f64 v[20:21], -v[6:7], v[16:17], 1.0
	v_fmac_f64_e32 v[16:17], v[16:17], v[20:21]
	v_mul_f64 v[20:21], v[18:19], v[16:17]
	v_fma_f64 v[6:7], -v[6:7], v[20:21], v[18:19]
	v_div_fmas_f64 v[6:7], v[6:7], v[16:17], v[20:21]
	v_div_fixup_f64 v[6:7], v[6:7], v[0:1], v[2:3]
	v_fmac_f64_e32 v[0:1], v[2:3], v[6:7]
	v_div_scale_f64 v[2:3], s[4:5], v[0:1], v[0:1], 1.0
	v_rcp_f64_e32 v[16:17], v[2:3]
	s_nop 0
	v_fma_f64 v[18:19], -v[2:3], v[16:17], 1.0
	v_fmac_f64_e32 v[16:17], v[16:17], v[18:19]
	v_fma_f64 v[18:19], -v[2:3], v[16:17], 1.0
	v_fmac_f64_e32 v[16:17], v[16:17], v[18:19]
	v_div_scale_f64 v[18:19], vcc, 1.0, v[0:1], 1.0
	v_mul_f64 v[20:21], v[18:19], v[16:17]
	v_fma_f64 v[2:3], -v[2:3], v[20:21], v[18:19]
	s_nop 1
	v_div_fmas_f64 v[2:3], v[2:3], v[16:17], v[20:21]
	v_div_fixup_f64 v[0:1], v[2:3], v[0:1], 1.0
	v_mul_f64 v[2:3], v[6:7], -v[0:1]
.LBB122_1166:
	s_or_b64 exec, exec, s[12:13]
.LBB122_1167:
	s_or_b64 exec, exec, s[0:1]
	v_cmp_ne_u32_e32 vcc, v15, v4
	s_and_saveexec_b64 s[0:1], vcc
	s_xor_b64 s[0:1], exec, s[0:1]
	s_cbranch_execz .LBB122_1173
; %bb.1168:
	v_cmp_eq_u32_e32 vcc, 50, v15
	s_and_saveexec_b64 s[12:13], vcc
	s_cbranch_execz .LBB122_1172
; %bb.1169:
	v_cmp_ne_u32_e32 vcc, 50, v4
	s_xor_b64 s[4:5], s[18:19], -1
	s_and_b64 s[4:5], s[4:5], vcc
	s_and_saveexec_b64 s[14:15], s[4:5]
	s_cbranch_execz .LBB122_1171
; %bb.1170:
	v_ashrrev_i32_e32 v5, 31, v4
	v_lshl_add_u64 v[6:7], v[4:5], 2, v[10:11]
	global_load_dword v5, v[6:7], off
	global_load_dword v14, v[10:11], off offset:200
	s_waitcnt vmcnt(1)
	global_store_dword v[10:11], v5, off offset:200
	s_waitcnt vmcnt(1)
	global_store_dword v[6:7], v14, off
.LBB122_1171:
	s_or_b64 exec, exec, s[14:15]
	v_mov_b32_e32 v15, v4
	v_mov_b32_e32 v14, v4
.LBB122_1172:
	s_or_b64 exec, exec, s[12:13]
.LBB122_1173:
	s_andn2_saveexec_b64 s[0:1], s[0:1]
	s_cbranch_execz .LBB122_1175
; %bb.1174:
	scratch_load_dwordx4 v[4:7], off, s29
	scratch_load_dwordx4 v[16:19], off, s28
	;; [unrolled: 1-line block ×11, first 2 shown]
	v_mov_b32_e32 v15, 50
	s_waitcnt vmcnt(10)
	ds_write2_b64 v12, v[4:5], v[6:7] offset0:102 offset1:103
	s_waitcnt vmcnt(9)
	ds_write2_b64 v12, v[16:17], v[18:19] offset0:104 offset1:105
	;; [unrolled: 2-line block ×11, first 2 shown]
.LBB122_1175:
	s_or_b64 exec, exec, s[0:1]
	v_cmp_lt_i32_e32 vcc, 50, v15
	s_waitcnt lgkmcnt(0)
	s_barrier
	s_and_saveexec_b64 s[0:1], vcc
	s_cbranch_execz .LBB122_1177
; %bb.1176:
	scratch_load_dwordx4 v[4:7], off, off offset:800
	s_waitcnt vmcnt(0)
	v_mul_f64 v[16:17], v[2:3], v[6:7]
	v_mul_f64 v[18:19], v[0:1], v[6:7]
	v_fma_f64 v[16:17], v[0:1], v[4:5], -v[16:17]
	v_fmac_f64_e32 v[18:19], v[2:3], v[4:5]
	ds_read2_b64 v[0:3], v12 offset0:102 offset1:103
	scratch_store_dwordx4 off, v[16:19], off offset:800
	s_waitcnt lgkmcnt(0)
	v_mul_f64 v[4:5], v[2:3], v[18:19]
	v_mul_f64 v[6:7], v[0:1], v[18:19]
	v_fma_f64 v[4:5], v[0:1], v[16:17], -v[4:5]
	v_fmac_f64_e32 v[6:7], v[2:3], v[16:17]
	scratch_load_dwordx4 v[0:3], off, off offset:816
	s_waitcnt vmcnt(0)
	v_add_f64 v[0:1], v[0:1], -v[4:5]
	v_add_f64 v[2:3], v[2:3], -v[6:7]
	scratch_store_dwordx4 off, v[0:3], off offset:816
	ds_read2_b64 v[0:3], v12 offset0:104 offset1:105
	s_waitcnt lgkmcnt(0)
	v_mul_f64 v[4:5], v[2:3], v[18:19]
	v_mul_f64 v[6:7], v[0:1], v[18:19]
	v_fma_f64 v[4:5], v[0:1], v[16:17], -v[4:5]
	v_fmac_f64_e32 v[6:7], v[2:3], v[16:17]
	scratch_load_dwordx4 v[0:3], off, off offset:832
	s_waitcnt vmcnt(0)
	v_add_f64 v[0:1], v[0:1], -v[4:5]
	v_add_f64 v[2:3], v[2:3], -v[6:7]
	scratch_store_dwordx4 off, v[0:3], off offset:832
	ds_read2_b64 v[0:3], v12 offset0:106 offset1:107
	;; [unrolled: 11-line block ×5, first 2 shown]
	s_waitcnt lgkmcnt(0)
	v_mul_f64 v[4:5], v[2:3], v[18:19]
	v_mul_f64 v[6:7], v[0:1], v[18:19]
	v_fma_f64 v[4:5], v[0:1], v[16:17], -v[4:5]
	v_fmac_f64_e32 v[6:7], v[2:3], v[16:17]
	scratch_load_dwordx4 v[0:3], off, off offset:896
	s_waitcnt vmcnt(0)
	v_add_f64 v[0:1], v[0:1], -v[4:5]
	v_add_f64 v[2:3], v[2:3], -v[6:7]
	scratch_load_dwordx4 v[4:7], off, off offset:800
	s_nop 0
	scratch_store_dwordx4 off, v[0:3], off offset:896
	ds_read2_b64 v[0:3], v12 offset0:114 offset1:115
	s_waitcnt vmcnt(1) lgkmcnt(0)
	v_mul_f64 v[16:17], v[2:3], v[6:7]
	v_mul_f64 v[18:19], v[0:1], v[6:7]
	v_fma_f64 v[16:17], v[0:1], v[4:5], -v[16:17]
	v_fmac_f64_e32 v[18:19], v[2:3], v[4:5]
	scratch_load_dwordx4 v[0:3], off, off offset:912
	s_waitcnt vmcnt(0)
	v_add_f64 v[0:1], v[0:1], -v[16:17]
	v_add_f64 v[2:3], v[2:3], -v[18:19]
	scratch_store_dwordx4 off, v[0:3], off offset:912
	ds_read2_b64 v[0:3], v12 offset0:116 offset1:117
	s_waitcnt lgkmcnt(0)
	v_mul_f64 v[16:17], v[2:3], v[6:7]
	v_mul_f64 v[18:19], v[0:1], v[6:7]
	v_fma_f64 v[16:17], v[0:1], v[4:5], -v[16:17]
	v_fmac_f64_e32 v[18:19], v[2:3], v[4:5]
	scratch_load_dwordx4 v[0:3], off, off offset:928
	s_waitcnt vmcnt(0)
	v_add_f64 v[0:1], v[0:1], -v[16:17]
	v_add_f64 v[2:3], v[2:3], -v[18:19]
	scratch_store_dwordx4 off, v[0:3], off offset:928
	ds_read2_b64 v[0:3], v12 offset0:118 offset1:119
	s_waitcnt lgkmcnt(0)
	;; [unrolled: 11-line block ×4, first 2 shown]
	v_mul_f64 v[16:17], v[2:3], v[6:7]
	v_mul_f64 v[6:7], v[0:1], v[6:7]
	v_fma_f64 v[16:17], v[0:1], v[4:5], -v[16:17]
	v_fmac_f64_e32 v[6:7], v[2:3], v[4:5]
	scratch_load_dwordx4 v[0:3], off, off offset:976
	s_waitcnt vmcnt(0)
	v_add_f64 v[0:1], v[0:1], -v[16:17]
	v_add_f64 v[2:3], v[2:3], -v[6:7]
	scratch_store_dwordx4 off, v[0:3], off offset:976
.LBB122_1177:
	s_or_b64 exec, exec, s[0:1]
	s_barrier
	scratch_load_dwordx4 v[0:3], off, s29
	v_lshl_add_u32 v4, v15, 4, v12
	s_cmp_lt_i32 s66, 53
	s_waitcnt vmcnt(0)
	ds_write2_b64 v4, v[0:1], v[2:3] offset1:1
	s_waitcnt lgkmcnt(0)
	s_barrier
	ds_read2_b64 v[0:3], v12 offset0:102 offset1:103
	v_mov_b32_e32 v4, 51
	s_cbranch_scc1 .LBB122_1180
; %bb.1178:
	v_add_u32_e32 v5, 0x340, v12
	s_mov_b32 s4, 52
	v_mov_b32_e32 v4, 51
.LBB122_1179:                           ; =>This Inner Loop Header: Depth=1
	ds_read2_b64 v[16:19], v5 offset1:1
	s_waitcnt lgkmcnt(1)
	v_xor_b32_e32 v7, 0x80000000, v1
	v_xor_b32_e32 v21, 0x80000000, v3
	v_cmp_gt_f64_e32 vcc, 0, v[2:3]
	v_cmp_gt_f64_e64 s[0:1], 0, v[0:1]
	v_mov_b32_e32 v6, v0
	v_mov_b32_e32 v20, v2
	v_cndmask_b32_e64 v7, v1, v7, s[0:1]
	v_cndmask_b32_e32 v21, v3, v21, vcc
	v_add_f64 v[6:7], v[6:7], v[20:21]
	s_waitcnt lgkmcnt(0)
	v_xor_b32_e32 v21, 0x80000000, v17
	v_xor_b32_e32 v23, 0x80000000, v19
	v_cmp_gt_f64_e32 vcc, 0, v[18:19]
	v_cmp_gt_f64_e64 s[0:1], 0, v[16:17]
	v_mov_b32_e32 v20, v16
	v_mov_b32_e32 v22, v18
	v_cndmask_b32_e64 v21, v17, v21, s[0:1]
	v_cndmask_b32_e32 v23, v19, v23, vcc
	v_add_f64 v[20:21], v[20:21], v[22:23]
	v_mov_b32_e32 v24, s4
	s_add_i32 s4, s4, 1
	v_cmp_lt_f64_e32 vcc, v[6:7], v[20:21]
	v_add_u32_e32 v5, 16, v5
	s_cmp_lg_u32 s66, s4
	v_cndmask_b32_e32 v1, v1, v17, vcc
	v_cndmask_b32_e32 v0, v0, v16, vcc
	;; [unrolled: 1-line block ×5, first 2 shown]
	s_cbranch_scc1 .LBB122_1179
.LBB122_1180:
	s_waitcnt lgkmcnt(0)
	v_cmp_eq_f64_e32 vcc, 0, v[0:1]
	v_cmp_eq_f64_e64 s[0:1], 0, v[2:3]
	s_and_b64 s[0:1], vcc, s[0:1]
	s_and_saveexec_b64 s[4:5], s[0:1]
	s_xor_b64 s[0:1], exec, s[4:5]
; %bb.1181:
	v_cmp_ne_u32_e32 vcc, 0, v13
	s_nop 1
	v_cndmask_b32_e32 v13, 52, v13, vcc
; %bb.1182:
	s_andn2_saveexec_b64 s[0:1], s[0:1]
	s_cbranch_execz .LBB122_1188
; %bb.1183:
	v_cmp_ngt_f64_e64 s[4:5], |v[0:1]|, |v[2:3]|
	s_and_saveexec_b64 s[12:13], s[4:5]
	s_xor_b64 s[12:13], exec, s[12:13]
	s_cbranch_execz .LBB122_1185
; %bb.1184:
	v_div_scale_f64 v[6:7], s[4:5], v[2:3], v[2:3], v[0:1]
	v_rcp_f64_e32 v[16:17], v[6:7]
	v_div_scale_f64 v[18:19], vcc, v[0:1], v[2:3], v[0:1]
	v_fma_f64 v[20:21], -v[6:7], v[16:17], 1.0
	v_fmac_f64_e32 v[16:17], v[16:17], v[20:21]
	v_fma_f64 v[20:21], -v[6:7], v[16:17], 1.0
	v_fmac_f64_e32 v[16:17], v[16:17], v[20:21]
	v_mul_f64 v[20:21], v[18:19], v[16:17]
	v_fma_f64 v[6:7], -v[6:7], v[20:21], v[18:19]
	v_div_fmas_f64 v[6:7], v[6:7], v[16:17], v[20:21]
	v_div_fixup_f64 v[6:7], v[6:7], v[2:3], v[0:1]
	v_fmac_f64_e32 v[2:3], v[0:1], v[6:7]
	v_div_scale_f64 v[0:1], s[4:5], v[2:3], v[2:3], 1.0
	v_rcp_f64_e32 v[16:17], v[0:1]
	s_nop 0
	v_fma_f64 v[18:19], -v[0:1], v[16:17], 1.0
	v_fmac_f64_e32 v[16:17], v[16:17], v[18:19]
	v_fma_f64 v[18:19], -v[0:1], v[16:17], 1.0
	v_fmac_f64_e32 v[16:17], v[16:17], v[18:19]
	v_div_scale_f64 v[18:19], vcc, 1.0, v[2:3], 1.0
	v_mul_f64 v[20:21], v[18:19], v[16:17]
	v_fma_f64 v[0:1], -v[0:1], v[20:21], v[18:19]
	s_nop 1
	v_div_fmas_f64 v[0:1], v[0:1], v[16:17], v[20:21]
	v_div_fixup_f64 v[2:3], v[0:1], v[2:3], 1.0
	v_mul_f64 v[0:1], v[6:7], v[2:3]
	v_xor_b32_e32 v3, 0x80000000, v3
.LBB122_1185:
	s_andn2_saveexec_b64 s[12:13], s[12:13]
	s_cbranch_execz .LBB122_1187
; %bb.1186:
	v_div_scale_f64 v[6:7], s[4:5], v[0:1], v[0:1], v[2:3]
	v_rcp_f64_e32 v[16:17], v[6:7]
	v_div_scale_f64 v[18:19], vcc, v[2:3], v[0:1], v[2:3]
	v_fma_f64 v[20:21], -v[6:7], v[16:17], 1.0
	v_fmac_f64_e32 v[16:17], v[16:17], v[20:21]
	v_fma_f64 v[20:21], -v[6:7], v[16:17], 1.0
	v_fmac_f64_e32 v[16:17], v[16:17], v[20:21]
	v_mul_f64 v[20:21], v[18:19], v[16:17]
	v_fma_f64 v[6:7], -v[6:7], v[20:21], v[18:19]
	v_div_fmas_f64 v[6:7], v[6:7], v[16:17], v[20:21]
	v_div_fixup_f64 v[6:7], v[6:7], v[0:1], v[2:3]
	v_fmac_f64_e32 v[0:1], v[2:3], v[6:7]
	v_div_scale_f64 v[2:3], s[4:5], v[0:1], v[0:1], 1.0
	v_rcp_f64_e32 v[16:17], v[2:3]
	s_nop 0
	v_fma_f64 v[18:19], -v[2:3], v[16:17], 1.0
	v_fmac_f64_e32 v[16:17], v[16:17], v[18:19]
	v_fma_f64 v[18:19], -v[2:3], v[16:17], 1.0
	v_fmac_f64_e32 v[16:17], v[16:17], v[18:19]
	v_div_scale_f64 v[18:19], vcc, 1.0, v[0:1], 1.0
	v_mul_f64 v[20:21], v[18:19], v[16:17]
	v_fma_f64 v[2:3], -v[2:3], v[20:21], v[18:19]
	s_nop 1
	v_div_fmas_f64 v[2:3], v[2:3], v[16:17], v[20:21]
	v_div_fixup_f64 v[0:1], v[2:3], v[0:1], 1.0
	v_mul_f64 v[2:3], v[6:7], -v[0:1]
.LBB122_1187:
	s_or_b64 exec, exec, s[12:13]
.LBB122_1188:
	s_or_b64 exec, exec, s[0:1]
	v_cmp_ne_u32_e32 vcc, v15, v4
	s_and_saveexec_b64 s[0:1], vcc
	s_xor_b64 s[0:1], exec, s[0:1]
	s_cbranch_execz .LBB122_1194
; %bb.1189:
	v_cmp_eq_u32_e32 vcc, 51, v15
	s_and_saveexec_b64 s[12:13], vcc
	s_cbranch_execz .LBB122_1193
; %bb.1190:
	v_cmp_ne_u32_e32 vcc, 51, v4
	s_xor_b64 s[4:5], s[18:19], -1
	s_and_b64 s[4:5], s[4:5], vcc
	s_and_saveexec_b64 s[14:15], s[4:5]
	s_cbranch_execz .LBB122_1192
; %bb.1191:
	v_ashrrev_i32_e32 v5, 31, v4
	v_lshl_add_u64 v[6:7], v[4:5], 2, v[10:11]
	global_load_dword v5, v[6:7], off
	global_load_dword v14, v[10:11], off offset:204
	s_waitcnt vmcnt(1)
	global_store_dword v[10:11], v5, off offset:204
	s_waitcnt vmcnt(1)
	global_store_dword v[6:7], v14, off
.LBB122_1192:
	s_or_b64 exec, exec, s[14:15]
	v_mov_b32_e32 v15, v4
	v_mov_b32_e32 v14, v4
.LBB122_1193:
	s_or_b64 exec, exec, s[12:13]
.LBB122_1194:
	s_andn2_saveexec_b64 s[0:1], s[0:1]
	s_cbranch_execz .LBB122_1196
; %bb.1195:
	scratch_load_dwordx4 v[4:7], off, s28
	scratch_load_dwordx4 v[16:19], off, s27
	;; [unrolled: 1-line block ×10, first 2 shown]
	v_mov_b32_e32 v15, 51
	s_waitcnt vmcnt(9)
	ds_write2_b64 v12, v[4:5], v[6:7] offset0:104 offset1:105
	s_waitcnt vmcnt(8)
	ds_write2_b64 v12, v[16:17], v[18:19] offset0:106 offset1:107
	;; [unrolled: 2-line block ×10, first 2 shown]
.LBB122_1196:
	s_or_b64 exec, exec, s[0:1]
	v_cmp_lt_i32_e32 vcc, 51, v15
	s_waitcnt lgkmcnt(0)
	s_barrier
	s_and_saveexec_b64 s[0:1], vcc
	s_cbranch_execz .LBB122_1198
; %bb.1197:
	scratch_load_dwordx4 v[4:7], off, off offset:816
	scratch_load_dwordx4 v[16:19], off, off offset:832
	;; [unrolled: 1-line block ×7, first 2 shown]
	s_waitcnt vmcnt(6)
	v_mul_f64 v[40:41], v[2:3], v[6:7]
	v_mul_f64 v[42:43], v[0:1], v[6:7]
	v_fma_f64 v[40:41], v[0:1], v[4:5], -v[40:41]
	v_fmac_f64_e32 v[42:43], v[2:3], v[4:5]
	scratch_store_dwordx4 off, v[40:43], off offset:816
	scratch_load_dwordx4 v[0:3], off, off offset:816
	scratch_load_dwordx4 v[4:7], off, off offset:928
	;; [unrolled: 1-line block ×5, first 2 shown]
	ds_read2_b64 v[56:59], v12 offset0:104 offset1:105
	ds_read2_b64 v[60:63], v12 offset0:106 offset1:107
	;; [unrolled: 1-line block ×10, first 2 shown]
	s_waitcnt lgkmcnt(9)
	v_mul_f64 v[96:97], v[58:59], v[42:43]
	v_mul_f64 v[98:99], v[56:57], v[42:43]
	s_waitcnt lgkmcnt(8)
	v_mul_f64 v[100:101], v[62:63], v[42:43]
	v_mul_f64 v[102:103], v[60:61], v[42:43]
	;; [unrolled: 3-line block ×6, first 2 shown]
	v_fma_f64 v[56:57], v[56:57], v[40:41], -v[96:97]
	v_fmac_f64_e32 v[98:99], v[58:59], v[40:41]
	v_fma_f64 v[58:59], v[60:61], v[40:41], -v[100:101]
	v_fmac_f64_e32 v[102:103], v[62:63], v[40:41]
	;; [unrolled: 2-line block ×6, first 2 shown]
	s_waitcnt vmcnt(11)
	v_add_f64 v[16:17], v[16:17], -v[56:57]
	v_add_f64 v[18:19], v[18:19], -v[98:99]
	s_waitcnt vmcnt(10)
	v_add_f64 v[20:21], v[20:21], -v[58:59]
	v_add_f64 v[22:23], v[22:23], -v[102:103]
	;; [unrolled: 3-line block ×6, first 2 shown]
	scratch_store_dwordx4 off, v[16:19], off offset:832
	scratch_store_dwordx4 off, v[20:23], off offset:848
	;; [unrolled: 1-line block ×6, first 2 shown]
	s_waitcnt vmcnt(10) lgkmcnt(3)
	v_mul_f64 v[16:17], v[82:83], v[2:3]
	v_mul_f64 v[18:19], v[80:81], v[2:3]
	s_waitcnt lgkmcnt(2)
	v_mul_f64 v[20:21], v[86:87], v[2:3]
	v_mul_f64 v[22:23], v[84:85], v[2:3]
	s_waitcnt lgkmcnt(1)
	;; [unrolled: 3-line block ×3, first 2 shown]
	v_mul_f64 v[28:29], v[94:95], v[2:3]
	v_mul_f64 v[30:31], v[92:93], v[2:3]
	v_fma_f64 v[2:3], v[80:81], v[0:1], -v[16:17]
	v_fmac_f64_e32 v[18:19], v[82:83], v[0:1]
	v_fma_f64 v[16:17], v[84:85], v[0:1], -v[20:21]
	v_fmac_f64_e32 v[22:23], v[86:87], v[0:1]
	v_fma_f64 v[20:21], v[88:89], v[0:1], -v[24:25]
	v_fmac_f64_e32 v[26:27], v[90:91], v[0:1]
	v_fma_f64 v[24:25], v[92:93], v[0:1], -v[28:29]
	v_fmac_f64_e32 v[30:31], v[94:95], v[0:1]
	s_waitcnt vmcnt(9)
	v_add_f64 v[0:1], v[4:5], -v[2:3]
	v_add_f64 v[2:3], v[6:7], -v[18:19]
	s_waitcnt vmcnt(8)
	v_add_f64 v[4:5], v[44:45], -v[16:17]
	v_add_f64 v[6:7], v[46:47], -v[22:23]
	s_waitcnt vmcnt(7)
	v_add_f64 v[16:17], v[48:49], -v[20:21]
	v_add_f64 v[18:19], v[50:51], -v[26:27]
	s_waitcnt vmcnt(6)
	v_add_f64 v[20:21], v[52:53], -v[24:25]
	v_add_f64 v[22:23], v[54:55], -v[30:31]
	scratch_store_dwordx4 off, v[0:3], off offset:928
	scratch_store_dwordx4 off, v[4:7], off offset:944
	;; [unrolled: 1-line block ×4, first 2 shown]
.LBB122_1198:
	s_or_b64 exec, exec, s[0:1]
	s_barrier
	scratch_load_dwordx4 v[0:3], off, s28
	v_lshl_add_u32 v4, v15, 4, v12
	s_cmp_lt_i32 s66, 54
	s_waitcnt vmcnt(0)
	ds_write2_b64 v4, v[0:1], v[2:3] offset1:1
	s_waitcnt lgkmcnt(0)
	s_barrier
	ds_read2_b64 v[0:3], v12 offset0:104 offset1:105
	v_mov_b32_e32 v4, 52
	s_cbranch_scc1 .LBB122_1201
; %bb.1199:
	v_add_u32_e32 v5, 0x350, v12
	s_mov_b32 s4, 53
	v_mov_b32_e32 v4, 52
.LBB122_1200:                           ; =>This Inner Loop Header: Depth=1
	ds_read2_b64 v[16:19], v5 offset1:1
	s_waitcnt lgkmcnt(1)
	v_xor_b32_e32 v7, 0x80000000, v1
	v_xor_b32_e32 v21, 0x80000000, v3
	v_cmp_gt_f64_e32 vcc, 0, v[2:3]
	v_cmp_gt_f64_e64 s[0:1], 0, v[0:1]
	v_mov_b32_e32 v6, v0
	v_mov_b32_e32 v20, v2
	v_cndmask_b32_e64 v7, v1, v7, s[0:1]
	v_cndmask_b32_e32 v21, v3, v21, vcc
	v_add_f64 v[6:7], v[6:7], v[20:21]
	s_waitcnt lgkmcnt(0)
	v_xor_b32_e32 v21, 0x80000000, v17
	v_xor_b32_e32 v23, 0x80000000, v19
	v_cmp_gt_f64_e32 vcc, 0, v[18:19]
	v_cmp_gt_f64_e64 s[0:1], 0, v[16:17]
	v_mov_b32_e32 v20, v16
	v_mov_b32_e32 v22, v18
	v_cndmask_b32_e64 v21, v17, v21, s[0:1]
	v_cndmask_b32_e32 v23, v19, v23, vcc
	v_add_f64 v[20:21], v[20:21], v[22:23]
	v_mov_b32_e32 v24, s4
	s_add_i32 s4, s4, 1
	v_cmp_lt_f64_e32 vcc, v[6:7], v[20:21]
	v_add_u32_e32 v5, 16, v5
	s_cmp_lg_u32 s66, s4
	v_cndmask_b32_e32 v1, v1, v17, vcc
	v_cndmask_b32_e32 v0, v0, v16, vcc
	;; [unrolled: 1-line block ×5, first 2 shown]
	s_cbranch_scc1 .LBB122_1200
.LBB122_1201:
	s_waitcnt lgkmcnt(0)
	v_cmp_eq_f64_e32 vcc, 0, v[0:1]
	v_cmp_eq_f64_e64 s[0:1], 0, v[2:3]
	s_and_b64 s[0:1], vcc, s[0:1]
	s_and_saveexec_b64 s[4:5], s[0:1]
	s_xor_b64 s[0:1], exec, s[4:5]
; %bb.1202:
	v_cmp_ne_u32_e32 vcc, 0, v13
	s_nop 1
	v_cndmask_b32_e32 v13, 53, v13, vcc
; %bb.1203:
	s_andn2_saveexec_b64 s[0:1], s[0:1]
	s_cbranch_execz .LBB122_1209
; %bb.1204:
	v_cmp_ngt_f64_e64 s[4:5], |v[0:1]|, |v[2:3]|
	s_and_saveexec_b64 s[12:13], s[4:5]
	s_xor_b64 s[12:13], exec, s[12:13]
	s_cbranch_execz .LBB122_1206
; %bb.1205:
	v_div_scale_f64 v[6:7], s[4:5], v[2:3], v[2:3], v[0:1]
	v_rcp_f64_e32 v[16:17], v[6:7]
	v_div_scale_f64 v[18:19], vcc, v[0:1], v[2:3], v[0:1]
	v_fma_f64 v[20:21], -v[6:7], v[16:17], 1.0
	v_fmac_f64_e32 v[16:17], v[16:17], v[20:21]
	v_fma_f64 v[20:21], -v[6:7], v[16:17], 1.0
	v_fmac_f64_e32 v[16:17], v[16:17], v[20:21]
	v_mul_f64 v[20:21], v[18:19], v[16:17]
	v_fma_f64 v[6:7], -v[6:7], v[20:21], v[18:19]
	v_div_fmas_f64 v[6:7], v[6:7], v[16:17], v[20:21]
	v_div_fixup_f64 v[6:7], v[6:7], v[2:3], v[0:1]
	v_fmac_f64_e32 v[2:3], v[0:1], v[6:7]
	v_div_scale_f64 v[0:1], s[4:5], v[2:3], v[2:3], 1.0
	v_rcp_f64_e32 v[16:17], v[0:1]
	s_nop 0
	v_fma_f64 v[18:19], -v[0:1], v[16:17], 1.0
	v_fmac_f64_e32 v[16:17], v[16:17], v[18:19]
	v_fma_f64 v[18:19], -v[0:1], v[16:17], 1.0
	v_fmac_f64_e32 v[16:17], v[16:17], v[18:19]
	v_div_scale_f64 v[18:19], vcc, 1.0, v[2:3], 1.0
	v_mul_f64 v[20:21], v[18:19], v[16:17]
	v_fma_f64 v[0:1], -v[0:1], v[20:21], v[18:19]
	s_nop 1
	v_div_fmas_f64 v[0:1], v[0:1], v[16:17], v[20:21]
	v_div_fixup_f64 v[2:3], v[0:1], v[2:3], 1.0
	v_mul_f64 v[0:1], v[6:7], v[2:3]
	v_xor_b32_e32 v3, 0x80000000, v3
.LBB122_1206:
	s_andn2_saveexec_b64 s[12:13], s[12:13]
	s_cbranch_execz .LBB122_1208
; %bb.1207:
	v_div_scale_f64 v[6:7], s[4:5], v[0:1], v[0:1], v[2:3]
	v_rcp_f64_e32 v[16:17], v[6:7]
	v_div_scale_f64 v[18:19], vcc, v[2:3], v[0:1], v[2:3]
	v_fma_f64 v[20:21], -v[6:7], v[16:17], 1.0
	v_fmac_f64_e32 v[16:17], v[16:17], v[20:21]
	v_fma_f64 v[20:21], -v[6:7], v[16:17], 1.0
	v_fmac_f64_e32 v[16:17], v[16:17], v[20:21]
	v_mul_f64 v[20:21], v[18:19], v[16:17]
	v_fma_f64 v[6:7], -v[6:7], v[20:21], v[18:19]
	v_div_fmas_f64 v[6:7], v[6:7], v[16:17], v[20:21]
	v_div_fixup_f64 v[6:7], v[6:7], v[0:1], v[2:3]
	v_fmac_f64_e32 v[0:1], v[2:3], v[6:7]
	v_div_scale_f64 v[2:3], s[4:5], v[0:1], v[0:1], 1.0
	v_rcp_f64_e32 v[16:17], v[2:3]
	s_nop 0
	v_fma_f64 v[18:19], -v[2:3], v[16:17], 1.0
	v_fmac_f64_e32 v[16:17], v[16:17], v[18:19]
	v_fma_f64 v[18:19], -v[2:3], v[16:17], 1.0
	v_fmac_f64_e32 v[16:17], v[16:17], v[18:19]
	v_div_scale_f64 v[18:19], vcc, 1.0, v[0:1], 1.0
	v_mul_f64 v[20:21], v[18:19], v[16:17]
	v_fma_f64 v[2:3], -v[2:3], v[20:21], v[18:19]
	s_nop 1
	v_div_fmas_f64 v[2:3], v[2:3], v[16:17], v[20:21]
	v_div_fixup_f64 v[0:1], v[2:3], v[0:1], 1.0
	v_mul_f64 v[2:3], v[6:7], -v[0:1]
.LBB122_1208:
	s_or_b64 exec, exec, s[12:13]
.LBB122_1209:
	s_or_b64 exec, exec, s[0:1]
	v_cmp_ne_u32_e32 vcc, v15, v4
	s_and_saveexec_b64 s[0:1], vcc
	s_xor_b64 s[0:1], exec, s[0:1]
	s_cbranch_execz .LBB122_1215
; %bb.1210:
	v_cmp_eq_u32_e32 vcc, 52, v15
	s_and_saveexec_b64 s[12:13], vcc
	s_cbranch_execz .LBB122_1214
; %bb.1211:
	v_cmp_ne_u32_e32 vcc, 52, v4
	s_xor_b64 s[4:5], s[18:19], -1
	s_and_b64 s[4:5], s[4:5], vcc
	s_and_saveexec_b64 s[14:15], s[4:5]
	s_cbranch_execz .LBB122_1213
; %bb.1212:
	v_ashrrev_i32_e32 v5, 31, v4
	v_lshl_add_u64 v[6:7], v[4:5], 2, v[10:11]
	global_load_dword v5, v[6:7], off
	global_load_dword v14, v[10:11], off offset:208
	s_waitcnt vmcnt(1)
	global_store_dword v[10:11], v5, off offset:208
	s_waitcnt vmcnt(1)
	global_store_dword v[6:7], v14, off
.LBB122_1213:
	s_or_b64 exec, exec, s[14:15]
	v_mov_b32_e32 v15, v4
	v_mov_b32_e32 v14, v4
.LBB122_1214:
	s_or_b64 exec, exec, s[12:13]
.LBB122_1215:
	s_andn2_saveexec_b64 s[0:1], s[0:1]
	s_cbranch_execz .LBB122_1217
; %bb.1216:
	scratch_load_dwordx4 v[4:7], off, s27
	scratch_load_dwordx4 v[16:19], off, s26
	scratch_load_dwordx4 v[20:23], off, s25
	scratch_load_dwordx4 v[24:27], off, s24
	scratch_load_dwordx4 v[28:31], off, s23
	scratch_load_dwordx4 v[32:35], off, s22
	scratch_load_dwordx4 v[36:39], off, s21
	scratch_load_dwordx4 v[40:43], off, s20
	scratch_load_dwordx4 v[44:47], off, s65
	v_mov_b32_e32 v15, 52
	s_waitcnt vmcnt(8)
	ds_write2_b64 v12, v[4:5], v[6:7] offset0:106 offset1:107
	s_waitcnt vmcnt(7)
	ds_write2_b64 v12, v[16:17], v[18:19] offset0:108 offset1:109
	;; [unrolled: 2-line block ×9, first 2 shown]
.LBB122_1217:
	s_or_b64 exec, exec, s[0:1]
	v_cmp_lt_i32_e32 vcc, 52, v15
	s_waitcnt lgkmcnt(0)
	s_barrier
	s_and_saveexec_b64 s[0:1], vcc
	s_cbranch_execz .LBB122_1219
; %bb.1218:
	scratch_load_dwordx4 v[4:7], off, off offset:832
	scratch_load_dwordx4 v[16:19], off, off offset:848
	;; [unrolled: 1-line block ×7, first 2 shown]
	s_waitcnt vmcnt(6)
	v_mul_f64 v[40:41], v[2:3], v[6:7]
	v_mul_f64 v[42:43], v[0:1], v[6:7]
	v_fma_f64 v[40:41], v[0:1], v[4:5], -v[40:41]
	v_fmac_f64_e32 v[42:43], v[2:3], v[4:5]
	scratch_store_dwordx4 off, v[40:43], off offset:832
	scratch_load_dwordx4 v[0:3], off, off offset:832
	scratch_load_dwordx4 v[4:7], off, off offset:944
	;; [unrolled: 1-line block ×4, first 2 shown]
	ds_read2_b64 v[52:55], v12 offset0:106 offset1:107
	ds_read2_b64 v[56:59], v12 offset0:108 offset1:109
	;; [unrolled: 1-line block ×9, first 2 shown]
	s_waitcnt lgkmcnt(8)
	v_mul_f64 v[88:89], v[54:55], v[42:43]
	v_mul_f64 v[90:91], v[52:53], v[42:43]
	s_waitcnt lgkmcnt(7)
	v_mul_f64 v[92:93], v[58:59], v[42:43]
	v_mul_f64 v[94:95], v[56:57], v[42:43]
	s_waitcnt lgkmcnt(6)
	v_mul_f64 v[96:97], v[62:63], v[42:43]
	v_mul_f64 v[98:99], v[60:61], v[42:43]
	s_waitcnt lgkmcnt(5)
	v_mul_f64 v[100:101], v[66:67], v[42:43]
	v_mul_f64 v[102:103], v[64:65], v[42:43]
	s_waitcnt lgkmcnt(4)
	v_mul_f64 v[104:105], v[70:71], v[42:43]
	v_mul_f64 v[106:107], v[68:69], v[42:43]
	s_waitcnt lgkmcnt(3)
	v_mul_f64 v[108:109], v[74:75], v[42:43]
	v_mul_f64 v[42:43], v[72:73], v[42:43]
	v_fma_f64 v[52:53], v[52:53], v[40:41], -v[88:89]
	v_fmac_f64_e32 v[90:91], v[54:55], v[40:41]
	v_fma_f64 v[54:55], v[56:57], v[40:41], -v[92:93]
	v_fmac_f64_e32 v[94:95], v[58:59], v[40:41]
	;; [unrolled: 2-line block ×6, first 2 shown]
	s_waitcnt vmcnt(10)
	v_add_f64 v[16:17], v[16:17], -v[52:53]
	v_add_f64 v[18:19], v[18:19], -v[90:91]
	s_waitcnt vmcnt(9)
	v_add_f64 v[20:21], v[20:21], -v[54:55]
	v_add_f64 v[22:23], v[22:23], -v[94:95]
	;; [unrolled: 3-line block ×6, first 2 shown]
	scratch_store_dwordx4 off, v[16:19], off offset:848
	scratch_store_dwordx4 off, v[20:23], off offset:864
	;; [unrolled: 1-line block ×6, first 2 shown]
	s_waitcnt vmcnt(9) lgkmcnt(2)
	v_mul_f64 v[16:17], v[78:79], v[2:3]
	v_mul_f64 v[18:19], v[76:77], v[2:3]
	s_waitcnt lgkmcnt(1)
	v_mul_f64 v[20:21], v[82:83], v[2:3]
	v_mul_f64 v[22:23], v[80:81], v[2:3]
	s_waitcnt lgkmcnt(0)
	v_mul_f64 v[24:25], v[86:87], v[2:3]
	v_mul_f64 v[26:27], v[84:85], v[2:3]
	v_fma_f64 v[2:3], v[76:77], v[0:1], -v[16:17]
	v_fmac_f64_e32 v[18:19], v[78:79], v[0:1]
	v_fma_f64 v[16:17], v[80:81], v[0:1], -v[20:21]
	v_fmac_f64_e32 v[22:23], v[82:83], v[0:1]
	;; [unrolled: 2-line block ×3, first 2 shown]
	s_waitcnt vmcnt(8)
	v_add_f64 v[0:1], v[4:5], -v[2:3]
	v_add_f64 v[2:3], v[6:7], -v[18:19]
	s_waitcnt vmcnt(7)
	v_add_f64 v[4:5], v[44:45], -v[16:17]
	v_add_f64 v[6:7], v[46:47], -v[22:23]
	;; [unrolled: 3-line block ×3, first 2 shown]
	scratch_store_dwordx4 off, v[0:3], off offset:944
	scratch_store_dwordx4 off, v[4:7], off offset:960
	scratch_store_dwordx4 off, v[16:19], off offset:976
.LBB122_1219:
	s_or_b64 exec, exec, s[0:1]
	s_barrier
	scratch_load_dwordx4 v[0:3], off, s27
	v_lshl_add_u32 v4, v15, 4, v12
	s_cmp_lt_i32 s66, 55
	s_waitcnt vmcnt(0)
	ds_write2_b64 v4, v[0:1], v[2:3] offset1:1
	s_waitcnt lgkmcnt(0)
	s_barrier
	ds_read2_b64 v[0:3], v12 offset0:106 offset1:107
	v_mov_b32_e32 v4, 53
	s_cbranch_scc1 .LBB122_1222
; %bb.1220:
	v_add_u32_e32 v5, 0x360, v12
	s_mov_b32 s4, 54
	v_mov_b32_e32 v4, 53
.LBB122_1221:                           ; =>This Inner Loop Header: Depth=1
	ds_read2_b64 v[16:19], v5 offset1:1
	s_waitcnt lgkmcnt(1)
	v_xor_b32_e32 v7, 0x80000000, v1
	v_xor_b32_e32 v21, 0x80000000, v3
	v_cmp_gt_f64_e32 vcc, 0, v[2:3]
	v_cmp_gt_f64_e64 s[0:1], 0, v[0:1]
	v_mov_b32_e32 v6, v0
	v_mov_b32_e32 v20, v2
	v_cndmask_b32_e64 v7, v1, v7, s[0:1]
	v_cndmask_b32_e32 v21, v3, v21, vcc
	v_add_f64 v[6:7], v[6:7], v[20:21]
	s_waitcnt lgkmcnt(0)
	v_xor_b32_e32 v21, 0x80000000, v17
	v_xor_b32_e32 v23, 0x80000000, v19
	v_cmp_gt_f64_e32 vcc, 0, v[18:19]
	v_cmp_gt_f64_e64 s[0:1], 0, v[16:17]
	v_mov_b32_e32 v20, v16
	v_mov_b32_e32 v22, v18
	v_cndmask_b32_e64 v21, v17, v21, s[0:1]
	v_cndmask_b32_e32 v23, v19, v23, vcc
	v_add_f64 v[20:21], v[20:21], v[22:23]
	v_mov_b32_e32 v24, s4
	s_add_i32 s4, s4, 1
	v_cmp_lt_f64_e32 vcc, v[6:7], v[20:21]
	v_add_u32_e32 v5, 16, v5
	s_cmp_lg_u32 s66, s4
	v_cndmask_b32_e32 v1, v1, v17, vcc
	v_cndmask_b32_e32 v0, v0, v16, vcc
	;; [unrolled: 1-line block ×5, first 2 shown]
	s_cbranch_scc1 .LBB122_1221
.LBB122_1222:
	s_waitcnt lgkmcnt(0)
	v_cmp_eq_f64_e32 vcc, 0, v[0:1]
	v_cmp_eq_f64_e64 s[0:1], 0, v[2:3]
	s_and_b64 s[0:1], vcc, s[0:1]
	s_and_saveexec_b64 s[4:5], s[0:1]
	s_xor_b64 s[0:1], exec, s[4:5]
; %bb.1223:
	v_cmp_ne_u32_e32 vcc, 0, v13
	s_nop 1
	v_cndmask_b32_e32 v13, 54, v13, vcc
; %bb.1224:
	s_andn2_saveexec_b64 s[0:1], s[0:1]
	s_cbranch_execz .LBB122_1230
; %bb.1225:
	v_cmp_ngt_f64_e64 s[4:5], |v[0:1]|, |v[2:3]|
	s_and_saveexec_b64 s[12:13], s[4:5]
	s_xor_b64 s[12:13], exec, s[12:13]
	s_cbranch_execz .LBB122_1227
; %bb.1226:
	v_div_scale_f64 v[6:7], s[4:5], v[2:3], v[2:3], v[0:1]
	v_rcp_f64_e32 v[16:17], v[6:7]
	v_div_scale_f64 v[18:19], vcc, v[0:1], v[2:3], v[0:1]
	v_fma_f64 v[20:21], -v[6:7], v[16:17], 1.0
	v_fmac_f64_e32 v[16:17], v[16:17], v[20:21]
	v_fma_f64 v[20:21], -v[6:7], v[16:17], 1.0
	v_fmac_f64_e32 v[16:17], v[16:17], v[20:21]
	v_mul_f64 v[20:21], v[18:19], v[16:17]
	v_fma_f64 v[6:7], -v[6:7], v[20:21], v[18:19]
	v_div_fmas_f64 v[6:7], v[6:7], v[16:17], v[20:21]
	v_div_fixup_f64 v[6:7], v[6:7], v[2:3], v[0:1]
	v_fmac_f64_e32 v[2:3], v[0:1], v[6:7]
	v_div_scale_f64 v[0:1], s[4:5], v[2:3], v[2:3], 1.0
	v_rcp_f64_e32 v[16:17], v[0:1]
	s_nop 0
	v_fma_f64 v[18:19], -v[0:1], v[16:17], 1.0
	v_fmac_f64_e32 v[16:17], v[16:17], v[18:19]
	v_fma_f64 v[18:19], -v[0:1], v[16:17], 1.0
	v_fmac_f64_e32 v[16:17], v[16:17], v[18:19]
	v_div_scale_f64 v[18:19], vcc, 1.0, v[2:3], 1.0
	v_mul_f64 v[20:21], v[18:19], v[16:17]
	v_fma_f64 v[0:1], -v[0:1], v[20:21], v[18:19]
	s_nop 1
	v_div_fmas_f64 v[0:1], v[0:1], v[16:17], v[20:21]
	v_div_fixup_f64 v[2:3], v[0:1], v[2:3], 1.0
	v_mul_f64 v[0:1], v[6:7], v[2:3]
	v_xor_b32_e32 v3, 0x80000000, v3
.LBB122_1227:
	s_andn2_saveexec_b64 s[12:13], s[12:13]
	s_cbranch_execz .LBB122_1229
; %bb.1228:
	v_div_scale_f64 v[6:7], s[4:5], v[0:1], v[0:1], v[2:3]
	v_rcp_f64_e32 v[16:17], v[6:7]
	v_div_scale_f64 v[18:19], vcc, v[2:3], v[0:1], v[2:3]
	v_fma_f64 v[20:21], -v[6:7], v[16:17], 1.0
	v_fmac_f64_e32 v[16:17], v[16:17], v[20:21]
	v_fma_f64 v[20:21], -v[6:7], v[16:17], 1.0
	v_fmac_f64_e32 v[16:17], v[16:17], v[20:21]
	v_mul_f64 v[20:21], v[18:19], v[16:17]
	v_fma_f64 v[6:7], -v[6:7], v[20:21], v[18:19]
	v_div_fmas_f64 v[6:7], v[6:7], v[16:17], v[20:21]
	v_div_fixup_f64 v[6:7], v[6:7], v[0:1], v[2:3]
	v_fmac_f64_e32 v[0:1], v[2:3], v[6:7]
	v_div_scale_f64 v[2:3], s[4:5], v[0:1], v[0:1], 1.0
	v_rcp_f64_e32 v[16:17], v[2:3]
	s_nop 0
	v_fma_f64 v[18:19], -v[2:3], v[16:17], 1.0
	v_fmac_f64_e32 v[16:17], v[16:17], v[18:19]
	v_fma_f64 v[18:19], -v[2:3], v[16:17], 1.0
	v_fmac_f64_e32 v[16:17], v[16:17], v[18:19]
	v_div_scale_f64 v[18:19], vcc, 1.0, v[0:1], 1.0
	v_mul_f64 v[20:21], v[18:19], v[16:17]
	v_fma_f64 v[2:3], -v[2:3], v[20:21], v[18:19]
	s_nop 1
	v_div_fmas_f64 v[2:3], v[2:3], v[16:17], v[20:21]
	v_div_fixup_f64 v[0:1], v[2:3], v[0:1], 1.0
	v_mul_f64 v[2:3], v[6:7], -v[0:1]
.LBB122_1229:
	s_or_b64 exec, exec, s[12:13]
.LBB122_1230:
	s_or_b64 exec, exec, s[0:1]
	v_cmp_ne_u32_e32 vcc, v15, v4
	s_and_saveexec_b64 s[0:1], vcc
	s_xor_b64 s[0:1], exec, s[0:1]
	s_cbranch_execz .LBB122_1236
; %bb.1231:
	v_cmp_eq_u32_e32 vcc, 53, v15
	s_and_saveexec_b64 s[12:13], vcc
	s_cbranch_execz .LBB122_1235
; %bb.1232:
	v_cmp_ne_u32_e32 vcc, 53, v4
	s_xor_b64 s[4:5], s[18:19], -1
	s_and_b64 s[4:5], s[4:5], vcc
	s_and_saveexec_b64 s[14:15], s[4:5]
	s_cbranch_execz .LBB122_1234
; %bb.1233:
	v_ashrrev_i32_e32 v5, 31, v4
	v_lshl_add_u64 v[6:7], v[4:5], 2, v[10:11]
	global_load_dword v5, v[6:7], off
	global_load_dword v14, v[10:11], off offset:212
	s_waitcnt vmcnt(1)
	global_store_dword v[10:11], v5, off offset:212
	s_waitcnt vmcnt(1)
	global_store_dword v[6:7], v14, off
.LBB122_1234:
	s_or_b64 exec, exec, s[14:15]
	v_mov_b32_e32 v15, v4
	v_mov_b32_e32 v14, v4
.LBB122_1235:
	s_or_b64 exec, exec, s[12:13]
.LBB122_1236:
	s_andn2_saveexec_b64 s[0:1], s[0:1]
	s_cbranch_execz .LBB122_1238
; %bb.1237:
	scratch_load_dwordx4 v[4:7], off, s26
	scratch_load_dwordx4 v[16:19], off, s25
	;; [unrolled: 1-line block ×8, first 2 shown]
	v_mov_b32_e32 v15, 53
	s_waitcnt vmcnt(7)
	ds_write2_b64 v12, v[4:5], v[6:7] offset0:108 offset1:109
	s_waitcnt vmcnt(6)
	ds_write2_b64 v12, v[16:17], v[18:19] offset0:110 offset1:111
	;; [unrolled: 2-line block ×8, first 2 shown]
.LBB122_1238:
	s_or_b64 exec, exec, s[0:1]
	v_cmp_lt_i32_e32 vcc, 53, v15
	s_waitcnt lgkmcnt(0)
	s_barrier
	s_and_saveexec_b64 s[0:1], vcc
	s_cbranch_execz .LBB122_1240
; %bb.1239:
	scratch_load_dwordx4 v[4:7], off, off offset:848
	scratch_load_dwordx4 v[16:19], off, off offset:864
	;; [unrolled: 1-line block ×7, first 2 shown]
	s_waitcnt vmcnt(6)
	v_mul_f64 v[40:41], v[2:3], v[6:7]
	v_mul_f64 v[42:43], v[0:1], v[6:7]
	v_fma_f64 v[40:41], v[0:1], v[4:5], -v[40:41]
	v_fmac_f64_e32 v[42:43], v[2:3], v[4:5]
	scratch_store_dwordx4 off, v[40:43], off offset:848
	scratch_load_dwordx4 v[0:3], off, off offset:848
	scratch_load_dwordx4 v[4:7], off, off offset:960
	;; [unrolled: 1-line block ×3, first 2 shown]
	ds_read2_b64 v[48:51], v12 offset0:108 offset1:109
	ds_read2_b64 v[52:55], v12 offset0:110 offset1:111
	ds_read2_b64 v[56:59], v12 offset0:112 offset1:113
	ds_read2_b64 v[60:63], v12 offset0:114 offset1:115
	ds_read2_b64 v[64:67], v12 offset0:116 offset1:117
	ds_read2_b64 v[68:71], v12 offset0:118 offset1:119
	ds_read2_b64 v[72:75], v12 offset0:120 offset1:121
	ds_read2_b64 v[76:79], v12 offset0:122 offset1:123
	s_waitcnt lgkmcnt(7)
	v_mul_f64 v[80:81], v[50:51], v[42:43]
	v_mul_f64 v[82:83], v[48:49], v[42:43]
	s_waitcnt lgkmcnt(6)
	v_mul_f64 v[84:85], v[54:55], v[42:43]
	v_mul_f64 v[86:87], v[52:53], v[42:43]
	;; [unrolled: 3-line block ×6, first 2 shown]
	v_fma_f64 v[48:49], v[48:49], v[40:41], -v[80:81]
	v_fmac_f64_e32 v[82:83], v[50:51], v[40:41]
	v_fma_f64 v[50:51], v[52:53], v[40:41], -v[84:85]
	v_fmac_f64_e32 v[86:87], v[54:55], v[40:41]
	;; [unrolled: 2-line block ×6, first 2 shown]
	s_waitcnt vmcnt(9)
	v_add_f64 v[16:17], v[16:17], -v[48:49]
	v_add_f64 v[18:19], v[18:19], -v[82:83]
	s_waitcnt vmcnt(8)
	v_add_f64 v[20:21], v[20:21], -v[50:51]
	v_add_f64 v[22:23], v[22:23], -v[86:87]
	;; [unrolled: 3-line block ×6, first 2 shown]
	scratch_store_dwordx4 off, v[16:19], off offset:864
	scratch_store_dwordx4 off, v[20:23], off offset:880
	;; [unrolled: 1-line block ×6, first 2 shown]
	s_waitcnt vmcnt(8) lgkmcnt(1)
	v_mul_f64 v[16:17], v[74:75], v[2:3]
	v_mul_f64 v[18:19], v[72:73], v[2:3]
	s_waitcnt lgkmcnt(0)
	v_mul_f64 v[20:21], v[78:79], v[2:3]
	v_mul_f64 v[22:23], v[76:77], v[2:3]
	v_fma_f64 v[2:3], v[72:73], v[0:1], -v[16:17]
	v_fmac_f64_e32 v[18:19], v[74:75], v[0:1]
	v_fma_f64 v[16:17], v[76:77], v[0:1], -v[20:21]
	v_fmac_f64_e32 v[22:23], v[78:79], v[0:1]
	s_waitcnt vmcnt(7)
	v_add_f64 v[0:1], v[4:5], -v[2:3]
	v_add_f64 v[2:3], v[6:7], -v[18:19]
	s_waitcnt vmcnt(6)
	v_add_f64 v[4:5], v[44:45], -v[16:17]
	v_add_f64 v[6:7], v[46:47], -v[22:23]
	scratch_store_dwordx4 off, v[0:3], off offset:960
	scratch_store_dwordx4 off, v[4:7], off offset:976
.LBB122_1240:
	s_or_b64 exec, exec, s[0:1]
	s_barrier
	scratch_load_dwordx4 v[0:3], off, s26
	v_lshl_add_u32 v4, v15, 4, v12
	s_cmp_lt_i32 s66, 56
	s_waitcnt vmcnt(0)
	ds_write2_b64 v4, v[0:1], v[2:3] offset1:1
	s_waitcnt lgkmcnt(0)
	s_barrier
	ds_read2_b64 v[0:3], v12 offset0:108 offset1:109
	v_mov_b32_e32 v4, 54
	s_cbranch_scc1 .LBB122_1243
; %bb.1241:
	v_add_u32_e32 v5, 0x370, v12
	s_mov_b32 s4, 55
	v_mov_b32_e32 v4, 54
.LBB122_1242:                           ; =>This Inner Loop Header: Depth=1
	ds_read2_b64 v[16:19], v5 offset1:1
	s_waitcnt lgkmcnt(1)
	v_xor_b32_e32 v7, 0x80000000, v1
	v_xor_b32_e32 v21, 0x80000000, v3
	v_cmp_gt_f64_e32 vcc, 0, v[2:3]
	v_cmp_gt_f64_e64 s[0:1], 0, v[0:1]
	v_mov_b32_e32 v6, v0
	v_mov_b32_e32 v20, v2
	v_cndmask_b32_e64 v7, v1, v7, s[0:1]
	v_cndmask_b32_e32 v21, v3, v21, vcc
	v_add_f64 v[6:7], v[6:7], v[20:21]
	s_waitcnt lgkmcnt(0)
	v_xor_b32_e32 v21, 0x80000000, v17
	v_xor_b32_e32 v23, 0x80000000, v19
	v_cmp_gt_f64_e32 vcc, 0, v[18:19]
	v_cmp_gt_f64_e64 s[0:1], 0, v[16:17]
	v_mov_b32_e32 v20, v16
	v_mov_b32_e32 v22, v18
	v_cndmask_b32_e64 v21, v17, v21, s[0:1]
	v_cndmask_b32_e32 v23, v19, v23, vcc
	v_add_f64 v[20:21], v[20:21], v[22:23]
	v_mov_b32_e32 v24, s4
	s_add_i32 s4, s4, 1
	v_cmp_lt_f64_e32 vcc, v[6:7], v[20:21]
	v_add_u32_e32 v5, 16, v5
	s_cmp_lg_u32 s66, s4
	v_cndmask_b32_e32 v1, v1, v17, vcc
	v_cndmask_b32_e32 v0, v0, v16, vcc
	;; [unrolled: 1-line block ×5, first 2 shown]
	s_cbranch_scc1 .LBB122_1242
.LBB122_1243:
	s_waitcnt lgkmcnt(0)
	v_cmp_eq_f64_e32 vcc, 0, v[0:1]
	v_cmp_eq_f64_e64 s[0:1], 0, v[2:3]
	s_and_b64 s[0:1], vcc, s[0:1]
	s_and_saveexec_b64 s[4:5], s[0:1]
	s_xor_b64 s[0:1], exec, s[4:5]
; %bb.1244:
	v_cmp_ne_u32_e32 vcc, 0, v13
	s_nop 1
	v_cndmask_b32_e32 v13, 55, v13, vcc
; %bb.1245:
	s_andn2_saveexec_b64 s[0:1], s[0:1]
	s_cbranch_execz .LBB122_1251
; %bb.1246:
	v_cmp_ngt_f64_e64 s[4:5], |v[0:1]|, |v[2:3]|
	s_and_saveexec_b64 s[12:13], s[4:5]
	s_xor_b64 s[12:13], exec, s[12:13]
	s_cbranch_execz .LBB122_1248
; %bb.1247:
	v_div_scale_f64 v[6:7], s[4:5], v[2:3], v[2:3], v[0:1]
	v_rcp_f64_e32 v[16:17], v[6:7]
	v_div_scale_f64 v[18:19], vcc, v[0:1], v[2:3], v[0:1]
	v_fma_f64 v[20:21], -v[6:7], v[16:17], 1.0
	v_fmac_f64_e32 v[16:17], v[16:17], v[20:21]
	v_fma_f64 v[20:21], -v[6:7], v[16:17], 1.0
	v_fmac_f64_e32 v[16:17], v[16:17], v[20:21]
	v_mul_f64 v[20:21], v[18:19], v[16:17]
	v_fma_f64 v[6:7], -v[6:7], v[20:21], v[18:19]
	v_div_fmas_f64 v[6:7], v[6:7], v[16:17], v[20:21]
	v_div_fixup_f64 v[6:7], v[6:7], v[2:3], v[0:1]
	v_fmac_f64_e32 v[2:3], v[0:1], v[6:7]
	v_div_scale_f64 v[0:1], s[4:5], v[2:3], v[2:3], 1.0
	v_rcp_f64_e32 v[16:17], v[0:1]
	s_nop 0
	v_fma_f64 v[18:19], -v[0:1], v[16:17], 1.0
	v_fmac_f64_e32 v[16:17], v[16:17], v[18:19]
	v_fma_f64 v[18:19], -v[0:1], v[16:17], 1.0
	v_fmac_f64_e32 v[16:17], v[16:17], v[18:19]
	v_div_scale_f64 v[18:19], vcc, 1.0, v[2:3], 1.0
	v_mul_f64 v[20:21], v[18:19], v[16:17]
	v_fma_f64 v[0:1], -v[0:1], v[20:21], v[18:19]
	s_nop 1
	v_div_fmas_f64 v[0:1], v[0:1], v[16:17], v[20:21]
	v_div_fixup_f64 v[2:3], v[0:1], v[2:3], 1.0
	v_mul_f64 v[0:1], v[6:7], v[2:3]
	v_xor_b32_e32 v3, 0x80000000, v3
.LBB122_1248:
	s_andn2_saveexec_b64 s[12:13], s[12:13]
	s_cbranch_execz .LBB122_1250
; %bb.1249:
	v_div_scale_f64 v[6:7], s[4:5], v[0:1], v[0:1], v[2:3]
	v_rcp_f64_e32 v[16:17], v[6:7]
	v_div_scale_f64 v[18:19], vcc, v[2:3], v[0:1], v[2:3]
	v_fma_f64 v[20:21], -v[6:7], v[16:17], 1.0
	v_fmac_f64_e32 v[16:17], v[16:17], v[20:21]
	v_fma_f64 v[20:21], -v[6:7], v[16:17], 1.0
	v_fmac_f64_e32 v[16:17], v[16:17], v[20:21]
	v_mul_f64 v[20:21], v[18:19], v[16:17]
	v_fma_f64 v[6:7], -v[6:7], v[20:21], v[18:19]
	v_div_fmas_f64 v[6:7], v[6:7], v[16:17], v[20:21]
	v_div_fixup_f64 v[6:7], v[6:7], v[0:1], v[2:3]
	v_fmac_f64_e32 v[0:1], v[2:3], v[6:7]
	v_div_scale_f64 v[2:3], s[4:5], v[0:1], v[0:1], 1.0
	v_rcp_f64_e32 v[16:17], v[2:3]
	s_nop 0
	v_fma_f64 v[18:19], -v[2:3], v[16:17], 1.0
	v_fmac_f64_e32 v[16:17], v[16:17], v[18:19]
	v_fma_f64 v[18:19], -v[2:3], v[16:17], 1.0
	v_fmac_f64_e32 v[16:17], v[16:17], v[18:19]
	v_div_scale_f64 v[18:19], vcc, 1.0, v[0:1], 1.0
	v_mul_f64 v[20:21], v[18:19], v[16:17]
	v_fma_f64 v[2:3], -v[2:3], v[20:21], v[18:19]
	s_nop 1
	v_div_fmas_f64 v[2:3], v[2:3], v[16:17], v[20:21]
	v_div_fixup_f64 v[0:1], v[2:3], v[0:1], 1.0
	v_mul_f64 v[2:3], v[6:7], -v[0:1]
.LBB122_1250:
	s_or_b64 exec, exec, s[12:13]
.LBB122_1251:
	s_or_b64 exec, exec, s[0:1]
	v_cmp_ne_u32_e32 vcc, v15, v4
	s_and_saveexec_b64 s[0:1], vcc
	s_xor_b64 s[0:1], exec, s[0:1]
	s_cbranch_execz .LBB122_1257
; %bb.1252:
	v_cmp_eq_u32_e32 vcc, 54, v15
	s_and_saveexec_b64 s[12:13], vcc
	s_cbranch_execz .LBB122_1256
; %bb.1253:
	v_cmp_ne_u32_e32 vcc, 54, v4
	s_xor_b64 s[4:5], s[18:19], -1
	s_and_b64 s[4:5], s[4:5], vcc
	s_and_saveexec_b64 s[14:15], s[4:5]
	s_cbranch_execz .LBB122_1255
; %bb.1254:
	v_ashrrev_i32_e32 v5, 31, v4
	v_lshl_add_u64 v[6:7], v[4:5], 2, v[10:11]
	global_load_dword v5, v[6:7], off
	global_load_dword v14, v[10:11], off offset:216
	s_waitcnt vmcnt(1)
	global_store_dword v[10:11], v5, off offset:216
	s_waitcnt vmcnt(1)
	global_store_dword v[6:7], v14, off
.LBB122_1255:
	s_or_b64 exec, exec, s[14:15]
	v_mov_b32_e32 v15, v4
	v_mov_b32_e32 v14, v4
.LBB122_1256:
	s_or_b64 exec, exec, s[12:13]
.LBB122_1257:
	s_andn2_saveexec_b64 s[0:1], s[0:1]
	s_cbranch_execz .LBB122_1259
; %bb.1258:
	scratch_load_dwordx4 v[4:7], off, s25
	scratch_load_dwordx4 v[16:19], off, s24
	;; [unrolled: 1-line block ×7, first 2 shown]
	v_mov_b32_e32 v15, 54
	s_waitcnt vmcnt(6)
	ds_write2_b64 v12, v[4:5], v[6:7] offset0:110 offset1:111
	s_waitcnt vmcnt(5)
	ds_write2_b64 v12, v[16:17], v[18:19] offset0:112 offset1:113
	;; [unrolled: 2-line block ×7, first 2 shown]
.LBB122_1259:
	s_or_b64 exec, exec, s[0:1]
	v_cmp_lt_i32_e32 vcc, 54, v15
	s_waitcnt lgkmcnt(0)
	s_barrier
	s_and_saveexec_b64 s[0:1], vcc
	s_cbranch_execz .LBB122_1261
; %bb.1260:
	scratch_load_dwordx4 v[4:7], off, off offset:864
	scratch_load_dwordx4 v[16:19], off, off offset:880
	;; [unrolled: 1-line block ×7, first 2 shown]
	s_waitcnt vmcnt(6)
	v_mul_f64 v[40:41], v[2:3], v[6:7]
	v_mul_f64 v[42:43], v[0:1], v[6:7]
	v_fma_f64 v[40:41], v[0:1], v[4:5], -v[40:41]
	v_fmac_f64_e32 v[42:43], v[2:3], v[4:5]
	scratch_store_dwordx4 off, v[40:43], off offset:864
	scratch_load_dwordx4 v[0:3], off, off offset:864
	scratch_load_dwordx4 v[4:7], off, off offset:976
	ds_read2_b64 v[44:47], v12 offset0:110 offset1:111
	ds_read2_b64 v[48:51], v12 offset0:112 offset1:113
	;; [unrolled: 1-line block ×7, first 2 shown]
	s_waitcnt lgkmcnt(6)
	v_mul_f64 v[72:73], v[46:47], v[42:43]
	v_mul_f64 v[74:75], v[44:45], v[42:43]
	s_waitcnt lgkmcnt(5)
	v_mul_f64 v[76:77], v[50:51], v[42:43]
	v_mul_f64 v[78:79], v[48:49], v[42:43]
	s_waitcnt lgkmcnt(4)
	v_mul_f64 v[80:81], v[54:55], v[42:43]
	v_mul_f64 v[82:83], v[52:53], v[42:43]
	s_waitcnt lgkmcnt(3)
	v_mul_f64 v[84:85], v[58:59], v[42:43]
	v_mul_f64 v[86:87], v[56:57], v[42:43]
	s_waitcnt lgkmcnt(2)
	v_mul_f64 v[88:89], v[62:63], v[42:43]
	v_mul_f64 v[90:91], v[60:61], v[42:43]
	s_waitcnt lgkmcnt(1)
	v_mul_f64 v[92:93], v[66:67], v[42:43]
	v_mul_f64 v[42:43], v[64:65], v[42:43]
	v_fma_f64 v[44:45], v[44:45], v[40:41], -v[72:73]
	v_fmac_f64_e32 v[74:75], v[46:47], v[40:41]
	v_fma_f64 v[46:47], v[48:49], v[40:41], -v[76:77]
	v_fmac_f64_e32 v[78:79], v[50:51], v[40:41]
	;; [unrolled: 2-line block ×6, first 2 shown]
	s_waitcnt vmcnt(8)
	v_add_f64 v[16:17], v[16:17], -v[44:45]
	v_add_f64 v[18:19], v[18:19], -v[74:75]
	s_waitcnt vmcnt(7)
	v_add_f64 v[20:21], v[20:21], -v[46:47]
	v_add_f64 v[22:23], v[22:23], -v[78:79]
	;; [unrolled: 3-line block ×6, first 2 shown]
	scratch_store_dwordx4 off, v[16:19], off offset:880
	scratch_store_dwordx4 off, v[20:23], off offset:896
	;; [unrolled: 1-line block ×6, first 2 shown]
	s_waitcnt vmcnt(7) lgkmcnt(0)
	v_mul_f64 v[16:17], v[70:71], v[2:3]
	v_mul_f64 v[2:3], v[68:69], v[2:3]
	v_fma_f64 v[16:17], v[68:69], v[0:1], -v[16:17]
	v_fmac_f64_e32 v[2:3], v[70:71], v[0:1]
	s_waitcnt vmcnt(6)
	v_add_f64 v[0:1], v[4:5], -v[16:17]
	v_add_f64 v[2:3], v[6:7], -v[2:3]
	scratch_store_dwordx4 off, v[0:3], off offset:976
.LBB122_1261:
	s_or_b64 exec, exec, s[0:1]
	s_barrier
	scratch_load_dwordx4 v[0:3], off, s25
	v_lshl_add_u32 v4, v15, 4, v12
	s_cmp_lt_i32 s66, 57
	s_waitcnt vmcnt(0)
	ds_write2_b64 v4, v[0:1], v[2:3] offset1:1
	s_waitcnt lgkmcnt(0)
	s_barrier
	ds_read2_b64 v[0:3], v12 offset0:110 offset1:111
	v_mov_b32_e32 v4, 55
	s_cbranch_scc1 .LBB122_1264
; %bb.1262:
	v_add_u32_e32 v5, 0x380, v12
	s_mov_b32 s4, 56
	v_mov_b32_e32 v4, 55
.LBB122_1263:                           ; =>This Inner Loop Header: Depth=1
	ds_read2_b64 v[16:19], v5 offset1:1
	s_waitcnt lgkmcnt(1)
	v_xor_b32_e32 v7, 0x80000000, v1
	v_xor_b32_e32 v21, 0x80000000, v3
	v_cmp_gt_f64_e32 vcc, 0, v[2:3]
	v_cmp_gt_f64_e64 s[0:1], 0, v[0:1]
	v_mov_b32_e32 v6, v0
	v_mov_b32_e32 v20, v2
	v_cndmask_b32_e64 v7, v1, v7, s[0:1]
	v_cndmask_b32_e32 v21, v3, v21, vcc
	v_add_f64 v[6:7], v[6:7], v[20:21]
	s_waitcnt lgkmcnt(0)
	v_xor_b32_e32 v21, 0x80000000, v17
	v_xor_b32_e32 v23, 0x80000000, v19
	v_cmp_gt_f64_e32 vcc, 0, v[18:19]
	v_cmp_gt_f64_e64 s[0:1], 0, v[16:17]
	v_mov_b32_e32 v20, v16
	v_mov_b32_e32 v22, v18
	v_cndmask_b32_e64 v21, v17, v21, s[0:1]
	v_cndmask_b32_e32 v23, v19, v23, vcc
	v_add_f64 v[20:21], v[20:21], v[22:23]
	v_mov_b32_e32 v24, s4
	s_add_i32 s4, s4, 1
	v_cmp_lt_f64_e32 vcc, v[6:7], v[20:21]
	v_add_u32_e32 v5, 16, v5
	s_cmp_lg_u32 s66, s4
	v_cndmask_b32_e32 v1, v1, v17, vcc
	v_cndmask_b32_e32 v0, v0, v16, vcc
	;; [unrolled: 1-line block ×5, first 2 shown]
	s_cbranch_scc1 .LBB122_1263
.LBB122_1264:
	s_waitcnt lgkmcnt(0)
	v_cmp_eq_f64_e32 vcc, 0, v[0:1]
	v_cmp_eq_f64_e64 s[0:1], 0, v[2:3]
	s_and_b64 s[0:1], vcc, s[0:1]
	s_and_saveexec_b64 s[4:5], s[0:1]
	s_xor_b64 s[0:1], exec, s[4:5]
; %bb.1265:
	v_cmp_ne_u32_e32 vcc, 0, v13
	s_nop 1
	v_cndmask_b32_e32 v13, 56, v13, vcc
; %bb.1266:
	s_andn2_saveexec_b64 s[0:1], s[0:1]
	s_cbranch_execz .LBB122_1272
; %bb.1267:
	v_cmp_ngt_f64_e64 s[4:5], |v[0:1]|, |v[2:3]|
	s_and_saveexec_b64 s[12:13], s[4:5]
	s_xor_b64 s[12:13], exec, s[12:13]
	s_cbranch_execz .LBB122_1269
; %bb.1268:
	v_div_scale_f64 v[6:7], s[4:5], v[2:3], v[2:3], v[0:1]
	v_rcp_f64_e32 v[16:17], v[6:7]
	v_div_scale_f64 v[18:19], vcc, v[0:1], v[2:3], v[0:1]
	v_fma_f64 v[20:21], -v[6:7], v[16:17], 1.0
	v_fmac_f64_e32 v[16:17], v[16:17], v[20:21]
	v_fma_f64 v[20:21], -v[6:7], v[16:17], 1.0
	v_fmac_f64_e32 v[16:17], v[16:17], v[20:21]
	v_mul_f64 v[20:21], v[18:19], v[16:17]
	v_fma_f64 v[6:7], -v[6:7], v[20:21], v[18:19]
	v_div_fmas_f64 v[6:7], v[6:7], v[16:17], v[20:21]
	v_div_fixup_f64 v[6:7], v[6:7], v[2:3], v[0:1]
	v_fmac_f64_e32 v[2:3], v[0:1], v[6:7]
	v_div_scale_f64 v[0:1], s[4:5], v[2:3], v[2:3], 1.0
	v_rcp_f64_e32 v[16:17], v[0:1]
	s_nop 0
	v_fma_f64 v[18:19], -v[0:1], v[16:17], 1.0
	v_fmac_f64_e32 v[16:17], v[16:17], v[18:19]
	v_fma_f64 v[18:19], -v[0:1], v[16:17], 1.0
	v_fmac_f64_e32 v[16:17], v[16:17], v[18:19]
	v_div_scale_f64 v[18:19], vcc, 1.0, v[2:3], 1.0
	v_mul_f64 v[20:21], v[18:19], v[16:17]
	v_fma_f64 v[0:1], -v[0:1], v[20:21], v[18:19]
	s_nop 1
	v_div_fmas_f64 v[0:1], v[0:1], v[16:17], v[20:21]
	v_div_fixup_f64 v[2:3], v[0:1], v[2:3], 1.0
	v_mul_f64 v[0:1], v[6:7], v[2:3]
	v_xor_b32_e32 v3, 0x80000000, v3
.LBB122_1269:
	s_andn2_saveexec_b64 s[12:13], s[12:13]
	s_cbranch_execz .LBB122_1271
; %bb.1270:
	v_div_scale_f64 v[6:7], s[4:5], v[0:1], v[0:1], v[2:3]
	v_rcp_f64_e32 v[16:17], v[6:7]
	v_div_scale_f64 v[18:19], vcc, v[2:3], v[0:1], v[2:3]
	v_fma_f64 v[20:21], -v[6:7], v[16:17], 1.0
	v_fmac_f64_e32 v[16:17], v[16:17], v[20:21]
	v_fma_f64 v[20:21], -v[6:7], v[16:17], 1.0
	v_fmac_f64_e32 v[16:17], v[16:17], v[20:21]
	v_mul_f64 v[20:21], v[18:19], v[16:17]
	v_fma_f64 v[6:7], -v[6:7], v[20:21], v[18:19]
	v_div_fmas_f64 v[6:7], v[6:7], v[16:17], v[20:21]
	v_div_fixup_f64 v[6:7], v[6:7], v[0:1], v[2:3]
	v_fmac_f64_e32 v[0:1], v[2:3], v[6:7]
	v_div_scale_f64 v[2:3], s[4:5], v[0:1], v[0:1], 1.0
	v_rcp_f64_e32 v[16:17], v[2:3]
	s_nop 0
	v_fma_f64 v[18:19], -v[2:3], v[16:17], 1.0
	v_fmac_f64_e32 v[16:17], v[16:17], v[18:19]
	v_fma_f64 v[18:19], -v[2:3], v[16:17], 1.0
	v_fmac_f64_e32 v[16:17], v[16:17], v[18:19]
	v_div_scale_f64 v[18:19], vcc, 1.0, v[0:1], 1.0
	v_mul_f64 v[20:21], v[18:19], v[16:17]
	v_fma_f64 v[2:3], -v[2:3], v[20:21], v[18:19]
	s_nop 1
	v_div_fmas_f64 v[2:3], v[2:3], v[16:17], v[20:21]
	v_div_fixup_f64 v[0:1], v[2:3], v[0:1], 1.0
	v_mul_f64 v[2:3], v[6:7], -v[0:1]
.LBB122_1271:
	s_or_b64 exec, exec, s[12:13]
.LBB122_1272:
	s_or_b64 exec, exec, s[0:1]
	v_cmp_ne_u32_e32 vcc, v15, v4
	s_and_saveexec_b64 s[0:1], vcc
	s_xor_b64 s[0:1], exec, s[0:1]
	s_cbranch_execz .LBB122_1278
; %bb.1273:
	v_cmp_eq_u32_e32 vcc, 55, v15
	s_and_saveexec_b64 s[12:13], vcc
	s_cbranch_execz .LBB122_1277
; %bb.1274:
	v_cmp_ne_u32_e32 vcc, 55, v4
	s_xor_b64 s[4:5], s[18:19], -1
	s_and_b64 s[4:5], s[4:5], vcc
	s_and_saveexec_b64 s[14:15], s[4:5]
	s_cbranch_execz .LBB122_1276
; %bb.1275:
	v_ashrrev_i32_e32 v5, 31, v4
	v_lshl_add_u64 v[6:7], v[4:5], 2, v[10:11]
	global_load_dword v5, v[6:7], off
	global_load_dword v14, v[10:11], off offset:220
	s_waitcnt vmcnt(1)
	global_store_dword v[10:11], v5, off offset:220
	s_waitcnt vmcnt(1)
	global_store_dword v[6:7], v14, off
.LBB122_1276:
	s_or_b64 exec, exec, s[14:15]
	v_mov_b32_e32 v15, v4
	v_mov_b32_e32 v14, v4
.LBB122_1277:
	s_or_b64 exec, exec, s[12:13]
.LBB122_1278:
	s_andn2_saveexec_b64 s[0:1], s[0:1]
	s_cbranch_execz .LBB122_1280
; %bb.1279:
	scratch_load_dwordx4 v[4:7], off, s24
	scratch_load_dwordx4 v[16:19], off, s23
	scratch_load_dwordx4 v[20:23], off, s22
	scratch_load_dwordx4 v[24:27], off, s21
	scratch_load_dwordx4 v[28:31], off, s20
	scratch_load_dwordx4 v[32:35], off, s65
	v_mov_b32_e32 v15, 55
	s_waitcnt vmcnt(5)
	ds_write2_b64 v12, v[4:5], v[6:7] offset0:112 offset1:113
	s_waitcnt vmcnt(4)
	ds_write2_b64 v12, v[16:17], v[18:19] offset0:114 offset1:115
	;; [unrolled: 2-line block ×6, first 2 shown]
.LBB122_1280:
	s_or_b64 exec, exec, s[0:1]
	v_cmp_lt_i32_e32 vcc, 55, v15
	s_waitcnt lgkmcnt(0)
	s_barrier
	s_and_saveexec_b64 s[0:1], vcc
	s_cbranch_execz .LBB122_1282
; %bb.1281:
	scratch_load_dwordx4 v[4:7], off, off offset:880
	scratch_load_dwordx4 v[16:19], off, off offset:896
	;; [unrolled: 1-line block ×7, first 2 shown]
	ds_read2_b64 v[40:43], v12 offset0:112 offset1:113
	ds_read2_b64 v[44:47], v12 offset0:114 offset1:115
	;; [unrolled: 1-line block ×6, first 2 shown]
	s_waitcnt vmcnt(6)
	v_mul_f64 v[66:67], v[0:1], v[6:7]
	v_mul_f64 v[64:65], v[2:3], v[6:7]
	v_fmac_f64_e32 v[66:67], v[2:3], v[4:5]
	v_fma_f64 v[64:65], v[0:1], v[4:5], -v[64:65]
	s_waitcnt lgkmcnt(5)
	v_mul_f64 v[0:1], v[42:43], v[66:67]
	v_mul_f64 v[2:3], v[40:41], v[66:67]
	scratch_store_dwordx4 off, v[64:67], off offset:880
	s_waitcnt lgkmcnt(4)
	v_mul_f64 v[4:5], v[46:47], v[66:67]
	v_mul_f64 v[6:7], v[44:45], v[66:67]
	s_waitcnt lgkmcnt(3)
	v_mul_f64 v[68:69], v[50:51], v[66:67]
	v_mul_f64 v[70:71], v[48:49], v[66:67]
	s_waitcnt lgkmcnt(2)
	v_mul_f64 v[72:73], v[54:55], v[66:67]
	v_mul_f64 v[74:75], v[52:53], v[66:67]
	s_waitcnt lgkmcnt(1)
	v_mul_f64 v[76:77], v[58:59], v[66:67]
	v_mul_f64 v[78:79], v[56:57], v[66:67]
	s_waitcnt lgkmcnt(0)
	v_mul_f64 v[80:81], v[62:63], v[66:67]
	v_mul_f64 v[66:67], v[60:61], v[66:67]
	v_fma_f64 v[0:1], v[40:41], v[64:65], -v[0:1]
	v_fmac_f64_e32 v[2:3], v[42:43], v[64:65]
	v_fma_f64 v[4:5], v[44:45], v[64:65], -v[4:5]
	v_fmac_f64_e32 v[6:7], v[46:47], v[64:65]
	;; [unrolled: 2-line block ×6, first 2 shown]
	s_waitcnt vmcnt(6)
	v_add_f64 v[0:1], v[16:17], -v[0:1]
	v_add_f64 v[2:3], v[18:19], -v[2:3]
	s_waitcnt vmcnt(5)
	v_add_f64 v[4:5], v[20:21], -v[4:5]
	v_add_f64 v[6:7], v[22:23], -v[6:7]
	;; [unrolled: 3-line block ×6, first 2 shown]
	scratch_store_dwordx4 off, v[0:3], off offset:896
	scratch_store_dwordx4 off, v[4:7], off offset:912
	;; [unrolled: 1-line block ×6, first 2 shown]
.LBB122_1282:
	s_or_b64 exec, exec, s[0:1]
	s_barrier
	scratch_load_dwordx4 v[0:3], off, s24
	v_lshl_add_u32 v4, v15, 4, v12
	s_cmp_lt_i32 s66, 58
	s_waitcnt vmcnt(0)
	ds_write2_b64 v4, v[0:1], v[2:3] offset1:1
	s_waitcnt lgkmcnt(0)
	s_barrier
	ds_read2_b64 v[0:3], v12 offset0:112 offset1:113
	v_mov_b32_e32 v4, 56
	s_cbranch_scc1 .LBB122_1285
; %bb.1283:
	v_add_u32_e32 v5, 0x390, v12
	s_mov_b32 s4, 57
	v_mov_b32_e32 v4, 56
.LBB122_1284:                           ; =>This Inner Loop Header: Depth=1
	ds_read2_b64 v[16:19], v5 offset1:1
	s_waitcnt lgkmcnt(1)
	v_xor_b32_e32 v7, 0x80000000, v1
	v_xor_b32_e32 v21, 0x80000000, v3
	v_cmp_gt_f64_e32 vcc, 0, v[2:3]
	v_cmp_gt_f64_e64 s[0:1], 0, v[0:1]
	v_mov_b32_e32 v6, v0
	v_mov_b32_e32 v20, v2
	v_cndmask_b32_e64 v7, v1, v7, s[0:1]
	v_cndmask_b32_e32 v21, v3, v21, vcc
	v_add_f64 v[6:7], v[6:7], v[20:21]
	s_waitcnt lgkmcnt(0)
	v_xor_b32_e32 v21, 0x80000000, v17
	v_xor_b32_e32 v23, 0x80000000, v19
	v_cmp_gt_f64_e32 vcc, 0, v[18:19]
	v_cmp_gt_f64_e64 s[0:1], 0, v[16:17]
	v_mov_b32_e32 v20, v16
	v_mov_b32_e32 v22, v18
	v_cndmask_b32_e64 v21, v17, v21, s[0:1]
	v_cndmask_b32_e32 v23, v19, v23, vcc
	v_add_f64 v[20:21], v[20:21], v[22:23]
	v_mov_b32_e32 v24, s4
	s_add_i32 s4, s4, 1
	v_cmp_lt_f64_e32 vcc, v[6:7], v[20:21]
	v_add_u32_e32 v5, 16, v5
	s_cmp_lg_u32 s66, s4
	v_cndmask_b32_e32 v1, v1, v17, vcc
	v_cndmask_b32_e32 v0, v0, v16, vcc
	;; [unrolled: 1-line block ×5, first 2 shown]
	s_cbranch_scc1 .LBB122_1284
.LBB122_1285:
	s_waitcnt lgkmcnt(0)
	v_cmp_eq_f64_e32 vcc, 0, v[0:1]
	v_cmp_eq_f64_e64 s[0:1], 0, v[2:3]
	s_and_b64 s[0:1], vcc, s[0:1]
	s_and_saveexec_b64 s[4:5], s[0:1]
	s_xor_b64 s[0:1], exec, s[4:5]
; %bb.1286:
	v_cmp_ne_u32_e32 vcc, 0, v13
	s_nop 1
	v_cndmask_b32_e32 v13, 57, v13, vcc
; %bb.1287:
	s_andn2_saveexec_b64 s[0:1], s[0:1]
	s_cbranch_execz .LBB122_1293
; %bb.1288:
	v_cmp_ngt_f64_e64 s[4:5], |v[0:1]|, |v[2:3]|
	s_and_saveexec_b64 s[12:13], s[4:5]
	s_xor_b64 s[12:13], exec, s[12:13]
	s_cbranch_execz .LBB122_1290
; %bb.1289:
	v_div_scale_f64 v[6:7], s[4:5], v[2:3], v[2:3], v[0:1]
	v_rcp_f64_e32 v[16:17], v[6:7]
	v_div_scale_f64 v[18:19], vcc, v[0:1], v[2:3], v[0:1]
	v_fma_f64 v[20:21], -v[6:7], v[16:17], 1.0
	v_fmac_f64_e32 v[16:17], v[16:17], v[20:21]
	v_fma_f64 v[20:21], -v[6:7], v[16:17], 1.0
	v_fmac_f64_e32 v[16:17], v[16:17], v[20:21]
	v_mul_f64 v[20:21], v[18:19], v[16:17]
	v_fma_f64 v[6:7], -v[6:7], v[20:21], v[18:19]
	v_div_fmas_f64 v[6:7], v[6:7], v[16:17], v[20:21]
	v_div_fixup_f64 v[6:7], v[6:7], v[2:3], v[0:1]
	v_fmac_f64_e32 v[2:3], v[0:1], v[6:7]
	v_div_scale_f64 v[0:1], s[4:5], v[2:3], v[2:3], 1.0
	v_rcp_f64_e32 v[16:17], v[0:1]
	s_nop 0
	v_fma_f64 v[18:19], -v[0:1], v[16:17], 1.0
	v_fmac_f64_e32 v[16:17], v[16:17], v[18:19]
	v_fma_f64 v[18:19], -v[0:1], v[16:17], 1.0
	v_fmac_f64_e32 v[16:17], v[16:17], v[18:19]
	v_div_scale_f64 v[18:19], vcc, 1.0, v[2:3], 1.0
	v_mul_f64 v[20:21], v[18:19], v[16:17]
	v_fma_f64 v[0:1], -v[0:1], v[20:21], v[18:19]
	s_nop 1
	v_div_fmas_f64 v[0:1], v[0:1], v[16:17], v[20:21]
	v_div_fixup_f64 v[2:3], v[0:1], v[2:3], 1.0
	v_mul_f64 v[0:1], v[6:7], v[2:3]
	v_xor_b32_e32 v3, 0x80000000, v3
.LBB122_1290:
	s_andn2_saveexec_b64 s[12:13], s[12:13]
	s_cbranch_execz .LBB122_1292
; %bb.1291:
	v_div_scale_f64 v[6:7], s[4:5], v[0:1], v[0:1], v[2:3]
	v_rcp_f64_e32 v[16:17], v[6:7]
	v_div_scale_f64 v[18:19], vcc, v[2:3], v[0:1], v[2:3]
	v_fma_f64 v[20:21], -v[6:7], v[16:17], 1.0
	v_fmac_f64_e32 v[16:17], v[16:17], v[20:21]
	v_fma_f64 v[20:21], -v[6:7], v[16:17], 1.0
	v_fmac_f64_e32 v[16:17], v[16:17], v[20:21]
	v_mul_f64 v[20:21], v[18:19], v[16:17]
	v_fma_f64 v[6:7], -v[6:7], v[20:21], v[18:19]
	v_div_fmas_f64 v[6:7], v[6:7], v[16:17], v[20:21]
	v_div_fixup_f64 v[6:7], v[6:7], v[0:1], v[2:3]
	v_fmac_f64_e32 v[0:1], v[2:3], v[6:7]
	v_div_scale_f64 v[2:3], s[4:5], v[0:1], v[0:1], 1.0
	v_rcp_f64_e32 v[16:17], v[2:3]
	s_nop 0
	v_fma_f64 v[18:19], -v[2:3], v[16:17], 1.0
	v_fmac_f64_e32 v[16:17], v[16:17], v[18:19]
	v_fma_f64 v[18:19], -v[2:3], v[16:17], 1.0
	v_fmac_f64_e32 v[16:17], v[16:17], v[18:19]
	v_div_scale_f64 v[18:19], vcc, 1.0, v[0:1], 1.0
	v_mul_f64 v[20:21], v[18:19], v[16:17]
	v_fma_f64 v[2:3], -v[2:3], v[20:21], v[18:19]
	s_nop 1
	v_div_fmas_f64 v[2:3], v[2:3], v[16:17], v[20:21]
	v_div_fixup_f64 v[0:1], v[2:3], v[0:1], 1.0
	v_mul_f64 v[2:3], v[6:7], -v[0:1]
.LBB122_1292:
	s_or_b64 exec, exec, s[12:13]
.LBB122_1293:
	s_or_b64 exec, exec, s[0:1]
	v_cmp_ne_u32_e32 vcc, v15, v4
	s_and_saveexec_b64 s[0:1], vcc
	s_xor_b64 s[0:1], exec, s[0:1]
	s_cbranch_execz .LBB122_1299
; %bb.1294:
	v_cmp_eq_u32_e32 vcc, 56, v15
	s_and_saveexec_b64 s[12:13], vcc
	s_cbranch_execz .LBB122_1298
; %bb.1295:
	v_cmp_ne_u32_e32 vcc, 56, v4
	s_xor_b64 s[4:5], s[18:19], -1
	s_and_b64 s[4:5], s[4:5], vcc
	s_and_saveexec_b64 s[14:15], s[4:5]
	s_cbranch_execz .LBB122_1297
; %bb.1296:
	v_ashrrev_i32_e32 v5, 31, v4
	v_lshl_add_u64 v[6:7], v[4:5], 2, v[10:11]
	global_load_dword v5, v[6:7], off
	global_load_dword v14, v[10:11], off offset:224
	s_waitcnt vmcnt(1)
	global_store_dword v[10:11], v5, off offset:224
	s_waitcnt vmcnt(1)
	global_store_dword v[6:7], v14, off
.LBB122_1297:
	s_or_b64 exec, exec, s[14:15]
	v_mov_b32_e32 v15, v4
	v_mov_b32_e32 v14, v4
.LBB122_1298:
	s_or_b64 exec, exec, s[12:13]
.LBB122_1299:
	s_andn2_saveexec_b64 s[0:1], s[0:1]
	s_cbranch_execz .LBB122_1301
; %bb.1300:
	scratch_load_dwordx4 v[4:7], off, s23
	scratch_load_dwordx4 v[16:19], off, s22
	scratch_load_dwordx4 v[20:23], off, s21
	scratch_load_dwordx4 v[24:27], off, s20
	scratch_load_dwordx4 v[28:31], off, s65
	v_mov_b32_e32 v15, 56
	s_waitcnt vmcnt(4)
	ds_write2_b64 v12, v[4:5], v[6:7] offset0:114 offset1:115
	s_waitcnt vmcnt(3)
	ds_write2_b64 v12, v[16:17], v[18:19] offset0:116 offset1:117
	;; [unrolled: 2-line block ×5, first 2 shown]
.LBB122_1301:
	s_or_b64 exec, exec, s[0:1]
	v_cmp_lt_i32_e32 vcc, 56, v15
	s_waitcnt lgkmcnt(0)
	s_barrier
	s_and_saveexec_b64 s[0:1], vcc
	s_cbranch_execz .LBB122_1303
; %bb.1302:
	scratch_load_dwordx4 v[4:7], off, off offset:896
	scratch_load_dwordx4 v[16:19], off, off offset:912
	;; [unrolled: 1-line block ×6, first 2 shown]
	ds_read2_b64 v[36:39], v12 offset0:114 offset1:115
	ds_read2_b64 v[40:43], v12 offset0:116 offset1:117
	;; [unrolled: 1-line block ×5, first 2 shown]
	s_waitcnt vmcnt(5)
	v_mul_f64 v[58:59], v[0:1], v[6:7]
	v_mul_f64 v[56:57], v[2:3], v[6:7]
	v_fmac_f64_e32 v[58:59], v[2:3], v[4:5]
	v_fma_f64 v[56:57], v[0:1], v[4:5], -v[56:57]
	s_waitcnt lgkmcnt(4)
	v_mul_f64 v[0:1], v[38:39], v[58:59]
	v_mul_f64 v[2:3], v[36:37], v[58:59]
	scratch_store_dwordx4 off, v[56:59], off offset:896
	s_waitcnt lgkmcnt(3)
	v_mul_f64 v[4:5], v[42:43], v[58:59]
	v_mul_f64 v[6:7], v[40:41], v[58:59]
	s_waitcnt lgkmcnt(2)
	v_mul_f64 v[60:61], v[46:47], v[58:59]
	v_mul_f64 v[62:63], v[44:45], v[58:59]
	;; [unrolled: 3-line block ×4, first 2 shown]
	v_fma_f64 v[0:1], v[36:37], v[56:57], -v[0:1]
	v_fmac_f64_e32 v[2:3], v[38:39], v[56:57]
	v_fma_f64 v[4:5], v[40:41], v[56:57], -v[4:5]
	v_fmac_f64_e32 v[6:7], v[42:43], v[56:57]
	;; [unrolled: 2-line block ×5, first 2 shown]
	s_waitcnt vmcnt(5)
	v_add_f64 v[0:1], v[16:17], -v[0:1]
	v_add_f64 v[2:3], v[18:19], -v[2:3]
	s_waitcnt vmcnt(4)
	v_add_f64 v[4:5], v[20:21], -v[4:5]
	v_add_f64 v[6:7], v[22:23], -v[6:7]
	;; [unrolled: 3-line block ×5, first 2 shown]
	scratch_store_dwordx4 off, v[0:3], off offset:912
	scratch_store_dwordx4 off, v[4:7], off offset:928
	;; [unrolled: 1-line block ×5, first 2 shown]
.LBB122_1303:
	s_or_b64 exec, exec, s[0:1]
	s_barrier
	scratch_load_dwordx4 v[0:3], off, s23
	v_lshl_add_u32 v4, v15, 4, v12
	s_cmp_lt_i32 s66, 59
	s_waitcnt vmcnt(0)
	ds_write2_b64 v4, v[0:1], v[2:3] offset1:1
	s_waitcnt lgkmcnt(0)
	s_barrier
	ds_read2_b64 v[0:3], v12 offset0:114 offset1:115
	v_mov_b32_e32 v4, 57
	s_cbranch_scc1 .LBB122_1306
; %bb.1304:
	v_add_u32_e32 v5, 0x3a0, v12
	s_mov_b32 s4, 58
	v_mov_b32_e32 v4, 57
.LBB122_1305:                           ; =>This Inner Loop Header: Depth=1
	ds_read2_b64 v[16:19], v5 offset1:1
	s_waitcnt lgkmcnt(1)
	v_xor_b32_e32 v7, 0x80000000, v1
	v_xor_b32_e32 v21, 0x80000000, v3
	v_cmp_gt_f64_e32 vcc, 0, v[2:3]
	v_cmp_gt_f64_e64 s[0:1], 0, v[0:1]
	v_mov_b32_e32 v6, v0
	v_mov_b32_e32 v20, v2
	v_cndmask_b32_e64 v7, v1, v7, s[0:1]
	v_cndmask_b32_e32 v21, v3, v21, vcc
	v_add_f64 v[6:7], v[6:7], v[20:21]
	s_waitcnt lgkmcnt(0)
	v_xor_b32_e32 v21, 0x80000000, v17
	v_xor_b32_e32 v23, 0x80000000, v19
	v_cmp_gt_f64_e32 vcc, 0, v[18:19]
	v_cmp_gt_f64_e64 s[0:1], 0, v[16:17]
	v_mov_b32_e32 v20, v16
	v_mov_b32_e32 v22, v18
	v_cndmask_b32_e64 v21, v17, v21, s[0:1]
	v_cndmask_b32_e32 v23, v19, v23, vcc
	v_add_f64 v[20:21], v[20:21], v[22:23]
	v_mov_b32_e32 v24, s4
	s_add_i32 s4, s4, 1
	v_cmp_lt_f64_e32 vcc, v[6:7], v[20:21]
	v_add_u32_e32 v5, 16, v5
	s_cmp_lg_u32 s66, s4
	v_cndmask_b32_e32 v1, v1, v17, vcc
	v_cndmask_b32_e32 v0, v0, v16, vcc
	;; [unrolled: 1-line block ×5, first 2 shown]
	s_cbranch_scc1 .LBB122_1305
.LBB122_1306:
	s_waitcnt lgkmcnt(0)
	v_cmp_eq_f64_e32 vcc, 0, v[0:1]
	v_cmp_eq_f64_e64 s[0:1], 0, v[2:3]
	s_and_b64 s[0:1], vcc, s[0:1]
	s_and_saveexec_b64 s[4:5], s[0:1]
	s_xor_b64 s[0:1], exec, s[4:5]
; %bb.1307:
	v_cmp_ne_u32_e32 vcc, 0, v13
	s_nop 1
	v_cndmask_b32_e32 v13, 58, v13, vcc
; %bb.1308:
	s_andn2_saveexec_b64 s[0:1], s[0:1]
	s_cbranch_execz .LBB122_1314
; %bb.1309:
	v_cmp_ngt_f64_e64 s[4:5], |v[0:1]|, |v[2:3]|
	s_and_saveexec_b64 s[12:13], s[4:5]
	s_xor_b64 s[12:13], exec, s[12:13]
	s_cbranch_execz .LBB122_1311
; %bb.1310:
	v_div_scale_f64 v[6:7], s[4:5], v[2:3], v[2:3], v[0:1]
	v_rcp_f64_e32 v[16:17], v[6:7]
	v_div_scale_f64 v[18:19], vcc, v[0:1], v[2:3], v[0:1]
	v_fma_f64 v[20:21], -v[6:7], v[16:17], 1.0
	v_fmac_f64_e32 v[16:17], v[16:17], v[20:21]
	v_fma_f64 v[20:21], -v[6:7], v[16:17], 1.0
	v_fmac_f64_e32 v[16:17], v[16:17], v[20:21]
	v_mul_f64 v[20:21], v[18:19], v[16:17]
	v_fma_f64 v[6:7], -v[6:7], v[20:21], v[18:19]
	v_div_fmas_f64 v[6:7], v[6:7], v[16:17], v[20:21]
	v_div_fixup_f64 v[6:7], v[6:7], v[2:3], v[0:1]
	v_fmac_f64_e32 v[2:3], v[0:1], v[6:7]
	v_div_scale_f64 v[0:1], s[4:5], v[2:3], v[2:3], 1.0
	v_rcp_f64_e32 v[16:17], v[0:1]
	s_nop 0
	v_fma_f64 v[18:19], -v[0:1], v[16:17], 1.0
	v_fmac_f64_e32 v[16:17], v[16:17], v[18:19]
	v_fma_f64 v[18:19], -v[0:1], v[16:17], 1.0
	v_fmac_f64_e32 v[16:17], v[16:17], v[18:19]
	v_div_scale_f64 v[18:19], vcc, 1.0, v[2:3], 1.0
	v_mul_f64 v[20:21], v[18:19], v[16:17]
	v_fma_f64 v[0:1], -v[0:1], v[20:21], v[18:19]
	s_nop 1
	v_div_fmas_f64 v[0:1], v[0:1], v[16:17], v[20:21]
	v_div_fixup_f64 v[2:3], v[0:1], v[2:3], 1.0
	v_mul_f64 v[0:1], v[6:7], v[2:3]
	v_xor_b32_e32 v3, 0x80000000, v3
.LBB122_1311:
	s_andn2_saveexec_b64 s[12:13], s[12:13]
	s_cbranch_execz .LBB122_1313
; %bb.1312:
	v_div_scale_f64 v[6:7], s[4:5], v[0:1], v[0:1], v[2:3]
	v_rcp_f64_e32 v[16:17], v[6:7]
	v_div_scale_f64 v[18:19], vcc, v[2:3], v[0:1], v[2:3]
	v_fma_f64 v[20:21], -v[6:7], v[16:17], 1.0
	v_fmac_f64_e32 v[16:17], v[16:17], v[20:21]
	v_fma_f64 v[20:21], -v[6:7], v[16:17], 1.0
	v_fmac_f64_e32 v[16:17], v[16:17], v[20:21]
	v_mul_f64 v[20:21], v[18:19], v[16:17]
	v_fma_f64 v[6:7], -v[6:7], v[20:21], v[18:19]
	v_div_fmas_f64 v[6:7], v[6:7], v[16:17], v[20:21]
	v_div_fixup_f64 v[6:7], v[6:7], v[0:1], v[2:3]
	v_fmac_f64_e32 v[0:1], v[2:3], v[6:7]
	v_div_scale_f64 v[2:3], s[4:5], v[0:1], v[0:1], 1.0
	v_rcp_f64_e32 v[16:17], v[2:3]
	s_nop 0
	v_fma_f64 v[18:19], -v[2:3], v[16:17], 1.0
	v_fmac_f64_e32 v[16:17], v[16:17], v[18:19]
	v_fma_f64 v[18:19], -v[2:3], v[16:17], 1.0
	v_fmac_f64_e32 v[16:17], v[16:17], v[18:19]
	v_div_scale_f64 v[18:19], vcc, 1.0, v[0:1], 1.0
	v_mul_f64 v[20:21], v[18:19], v[16:17]
	v_fma_f64 v[2:3], -v[2:3], v[20:21], v[18:19]
	s_nop 1
	v_div_fmas_f64 v[2:3], v[2:3], v[16:17], v[20:21]
	v_div_fixup_f64 v[0:1], v[2:3], v[0:1], 1.0
	v_mul_f64 v[2:3], v[6:7], -v[0:1]
.LBB122_1313:
	s_or_b64 exec, exec, s[12:13]
.LBB122_1314:
	s_or_b64 exec, exec, s[0:1]
	v_cmp_ne_u32_e32 vcc, v15, v4
	s_and_saveexec_b64 s[0:1], vcc
	s_xor_b64 s[0:1], exec, s[0:1]
	s_cbranch_execz .LBB122_1320
; %bb.1315:
	v_cmp_eq_u32_e32 vcc, 57, v15
	s_and_saveexec_b64 s[12:13], vcc
	s_cbranch_execz .LBB122_1319
; %bb.1316:
	v_cmp_ne_u32_e32 vcc, 57, v4
	s_xor_b64 s[4:5], s[18:19], -1
	s_and_b64 s[4:5], s[4:5], vcc
	s_and_saveexec_b64 s[14:15], s[4:5]
	s_cbranch_execz .LBB122_1318
; %bb.1317:
	v_ashrrev_i32_e32 v5, 31, v4
	v_lshl_add_u64 v[6:7], v[4:5], 2, v[10:11]
	global_load_dword v5, v[6:7], off
	global_load_dword v14, v[10:11], off offset:228
	s_waitcnt vmcnt(1)
	global_store_dword v[10:11], v5, off offset:228
	s_waitcnt vmcnt(1)
	global_store_dword v[6:7], v14, off
.LBB122_1318:
	s_or_b64 exec, exec, s[14:15]
	v_mov_b32_e32 v15, v4
	v_mov_b32_e32 v14, v4
.LBB122_1319:
	s_or_b64 exec, exec, s[12:13]
.LBB122_1320:
	s_andn2_saveexec_b64 s[0:1], s[0:1]
	s_cbranch_execz .LBB122_1322
; %bb.1321:
	scratch_load_dwordx4 v[4:7], off, s22
	scratch_load_dwordx4 v[16:19], off, s21
	;; [unrolled: 1-line block ×4, first 2 shown]
	v_mov_b32_e32 v15, 57
	s_waitcnt vmcnt(3)
	ds_write2_b64 v12, v[4:5], v[6:7] offset0:116 offset1:117
	s_waitcnt vmcnt(2)
	ds_write2_b64 v12, v[16:17], v[18:19] offset0:118 offset1:119
	;; [unrolled: 2-line block ×4, first 2 shown]
.LBB122_1322:
	s_or_b64 exec, exec, s[0:1]
	v_cmp_lt_i32_e32 vcc, 57, v15
	s_waitcnt lgkmcnt(0)
	s_barrier
	s_and_saveexec_b64 s[0:1], vcc
	s_cbranch_execz .LBB122_1324
; %bb.1323:
	scratch_load_dwordx4 v[4:7], off, off offset:912
	scratch_load_dwordx4 v[16:19], off, off offset:928
	;; [unrolled: 1-line block ×5, first 2 shown]
	ds_read2_b64 v[32:35], v12 offset0:116 offset1:117
	ds_read2_b64 v[36:39], v12 offset0:118 offset1:119
	;; [unrolled: 1-line block ×4, first 2 shown]
	s_waitcnt vmcnt(4)
	v_mul_f64 v[50:51], v[0:1], v[6:7]
	v_mul_f64 v[48:49], v[2:3], v[6:7]
	v_fmac_f64_e32 v[50:51], v[2:3], v[4:5]
	v_fma_f64 v[48:49], v[0:1], v[4:5], -v[48:49]
	s_waitcnt lgkmcnt(3)
	v_mul_f64 v[0:1], v[34:35], v[50:51]
	v_mul_f64 v[2:3], v[32:33], v[50:51]
	scratch_store_dwordx4 off, v[48:51], off offset:912
	s_waitcnt lgkmcnt(2)
	v_mul_f64 v[4:5], v[38:39], v[50:51]
	v_mul_f64 v[6:7], v[36:37], v[50:51]
	s_waitcnt lgkmcnt(1)
	v_mul_f64 v[52:53], v[42:43], v[50:51]
	v_mul_f64 v[54:55], v[40:41], v[50:51]
	;; [unrolled: 3-line block ×3, first 2 shown]
	v_fma_f64 v[0:1], v[32:33], v[48:49], -v[0:1]
	v_fmac_f64_e32 v[2:3], v[34:35], v[48:49]
	v_fma_f64 v[4:5], v[36:37], v[48:49], -v[4:5]
	v_fmac_f64_e32 v[6:7], v[38:39], v[48:49]
	v_fma_f64 v[32:33], v[40:41], v[48:49], -v[52:53]
	v_fmac_f64_e32 v[54:55], v[42:43], v[48:49]
	v_fma_f64 v[34:35], v[44:45], v[48:49], -v[56:57]
	v_fmac_f64_e32 v[50:51], v[46:47], v[48:49]
	s_waitcnt vmcnt(4)
	v_add_f64 v[0:1], v[16:17], -v[0:1]
	v_add_f64 v[2:3], v[18:19], -v[2:3]
	s_waitcnt vmcnt(3)
	v_add_f64 v[4:5], v[20:21], -v[4:5]
	v_add_f64 v[6:7], v[22:23], -v[6:7]
	;; [unrolled: 3-line block ×4, first 2 shown]
	scratch_store_dwordx4 off, v[0:3], off offset:928
	scratch_store_dwordx4 off, v[4:7], off offset:944
	;; [unrolled: 1-line block ×4, first 2 shown]
.LBB122_1324:
	s_or_b64 exec, exec, s[0:1]
	s_barrier
	scratch_load_dwordx4 v[0:3], off, s22
	v_lshl_add_u32 v4, v15, 4, v12
	s_cmp_lt_i32 s66, 60
	s_waitcnt vmcnt(0)
	ds_write2_b64 v4, v[0:1], v[2:3] offset1:1
	s_waitcnt lgkmcnt(0)
	s_barrier
	ds_read2_b64 v[0:3], v12 offset0:116 offset1:117
	v_mov_b32_e32 v4, 58
	s_cbranch_scc1 .LBB122_1327
; %bb.1325:
	v_add_u32_e32 v5, 0x3b0, v12
	s_mov_b32 s4, 59
	v_mov_b32_e32 v4, 58
.LBB122_1326:                           ; =>This Inner Loop Header: Depth=1
	ds_read2_b64 v[16:19], v5 offset1:1
	s_waitcnt lgkmcnt(1)
	v_xor_b32_e32 v7, 0x80000000, v1
	v_xor_b32_e32 v21, 0x80000000, v3
	v_cmp_gt_f64_e32 vcc, 0, v[2:3]
	v_cmp_gt_f64_e64 s[0:1], 0, v[0:1]
	v_mov_b32_e32 v6, v0
	v_mov_b32_e32 v20, v2
	v_cndmask_b32_e64 v7, v1, v7, s[0:1]
	v_cndmask_b32_e32 v21, v3, v21, vcc
	v_add_f64 v[6:7], v[6:7], v[20:21]
	s_waitcnt lgkmcnt(0)
	v_xor_b32_e32 v21, 0x80000000, v17
	v_xor_b32_e32 v23, 0x80000000, v19
	v_cmp_gt_f64_e32 vcc, 0, v[18:19]
	v_cmp_gt_f64_e64 s[0:1], 0, v[16:17]
	v_mov_b32_e32 v20, v16
	v_mov_b32_e32 v22, v18
	v_cndmask_b32_e64 v21, v17, v21, s[0:1]
	v_cndmask_b32_e32 v23, v19, v23, vcc
	v_add_f64 v[20:21], v[20:21], v[22:23]
	v_mov_b32_e32 v24, s4
	s_add_i32 s4, s4, 1
	v_cmp_lt_f64_e32 vcc, v[6:7], v[20:21]
	v_add_u32_e32 v5, 16, v5
	s_cmp_lg_u32 s66, s4
	v_cndmask_b32_e32 v1, v1, v17, vcc
	v_cndmask_b32_e32 v0, v0, v16, vcc
	;; [unrolled: 1-line block ×5, first 2 shown]
	s_cbranch_scc1 .LBB122_1326
.LBB122_1327:
	s_waitcnt lgkmcnt(0)
	v_cmp_eq_f64_e32 vcc, 0, v[0:1]
	v_cmp_eq_f64_e64 s[0:1], 0, v[2:3]
	s_and_b64 s[0:1], vcc, s[0:1]
	s_and_saveexec_b64 s[4:5], s[0:1]
	s_xor_b64 s[0:1], exec, s[4:5]
; %bb.1328:
	v_cmp_ne_u32_e32 vcc, 0, v13
	s_nop 1
	v_cndmask_b32_e32 v13, 59, v13, vcc
; %bb.1329:
	s_andn2_saveexec_b64 s[0:1], s[0:1]
	s_cbranch_execz .LBB122_1335
; %bb.1330:
	v_cmp_ngt_f64_e64 s[4:5], |v[0:1]|, |v[2:3]|
	s_and_saveexec_b64 s[12:13], s[4:5]
	s_xor_b64 s[12:13], exec, s[12:13]
	s_cbranch_execz .LBB122_1332
; %bb.1331:
	v_div_scale_f64 v[6:7], s[4:5], v[2:3], v[2:3], v[0:1]
	v_rcp_f64_e32 v[16:17], v[6:7]
	v_div_scale_f64 v[18:19], vcc, v[0:1], v[2:3], v[0:1]
	v_fma_f64 v[20:21], -v[6:7], v[16:17], 1.0
	v_fmac_f64_e32 v[16:17], v[16:17], v[20:21]
	v_fma_f64 v[20:21], -v[6:7], v[16:17], 1.0
	v_fmac_f64_e32 v[16:17], v[16:17], v[20:21]
	v_mul_f64 v[20:21], v[18:19], v[16:17]
	v_fma_f64 v[6:7], -v[6:7], v[20:21], v[18:19]
	v_div_fmas_f64 v[6:7], v[6:7], v[16:17], v[20:21]
	v_div_fixup_f64 v[6:7], v[6:7], v[2:3], v[0:1]
	v_fmac_f64_e32 v[2:3], v[0:1], v[6:7]
	v_div_scale_f64 v[0:1], s[4:5], v[2:3], v[2:3], 1.0
	v_rcp_f64_e32 v[16:17], v[0:1]
	s_nop 0
	v_fma_f64 v[18:19], -v[0:1], v[16:17], 1.0
	v_fmac_f64_e32 v[16:17], v[16:17], v[18:19]
	v_fma_f64 v[18:19], -v[0:1], v[16:17], 1.0
	v_fmac_f64_e32 v[16:17], v[16:17], v[18:19]
	v_div_scale_f64 v[18:19], vcc, 1.0, v[2:3], 1.0
	v_mul_f64 v[20:21], v[18:19], v[16:17]
	v_fma_f64 v[0:1], -v[0:1], v[20:21], v[18:19]
	s_nop 1
	v_div_fmas_f64 v[0:1], v[0:1], v[16:17], v[20:21]
	v_div_fixup_f64 v[2:3], v[0:1], v[2:3], 1.0
	v_mul_f64 v[0:1], v[6:7], v[2:3]
	v_xor_b32_e32 v3, 0x80000000, v3
.LBB122_1332:
	s_andn2_saveexec_b64 s[12:13], s[12:13]
	s_cbranch_execz .LBB122_1334
; %bb.1333:
	v_div_scale_f64 v[6:7], s[4:5], v[0:1], v[0:1], v[2:3]
	v_rcp_f64_e32 v[16:17], v[6:7]
	v_div_scale_f64 v[18:19], vcc, v[2:3], v[0:1], v[2:3]
	v_fma_f64 v[20:21], -v[6:7], v[16:17], 1.0
	v_fmac_f64_e32 v[16:17], v[16:17], v[20:21]
	v_fma_f64 v[20:21], -v[6:7], v[16:17], 1.0
	v_fmac_f64_e32 v[16:17], v[16:17], v[20:21]
	v_mul_f64 v[20:21], v[18:19], v[16:17]
	v_fma_f64 v[6:7], -v[6:7], v[20:21], v[18:19]
	v_div_fmas_f64 v[6:7], v[6:7], v[16:17], v[20:21]
	v_div_fixup_f64 v[6:7], v[6:7], v[0:1], v[2:3]
	v_fmac_f64_e32 v[0:1], v[2:3], v[6:7]
	v_div_scale_f64 v[2:3], s[4:5], v[0:1], v[0:1], 1.0
	v_rcp_f64_e32 v[16:17], v[2:3]
	s_nop 0
	v_fma_f64 v[18:19], -v[2:3], v[16:17], 1.0
	v_fmac_f64_e32 v[16:17], v[16:17], v[18:19]
	v_fma_f64 v[18:19], -v[2:3], v[16:17], 1.0
	v_fmac_f64_e32 v[16:17], v[16:17], v[18:19]
	v_div_scale_f64 v[18:19], vcc, 1.0, v[0:1], 1.0
	v_mul_f64 v[20:21], v[18:19], v[16:17]
	v_fma_f64 v[2:3], -v[2:3], v[20:21], v[18:19]
	s_nop 1
	v_div_fmas_f64 v[2:3], v[2:3], v[16:17], v[20:21]
	v_div_fixup_f64 v[0:1], v[2:3], v[0:1], 1.0
	v_mul_f64 v[2:3], v[6:7], -v[0:1]
.LBB122_1334:
	s_or_b64 exec, exec, s[12:13]
.LBB122_1335:
	s_or_b64 exec, exec, s[0:1]
	v_cmp_ne_u32_e32 vcc, v15, v4
	s_and_saveexec_b64 s[0:1], vcc
	s_xor_b64 s[0:1], exec, s[0:1]
	s_cbranch_execz .LBB122_1341
; %bb.1336:
	v_cmp_eq_u32_e32 vcc, 58, v15
	s_and_saveexec_b64 s[12:13], vcc
	s_cbranch_execz .LBB122_1340
; %bb.1337:
	v_cmp_ne_u32_e32 vcc, 58, v4
	s_xor_b64 s[4:5], s[18:19], -1
	s_and_b64 s[4:5], s[4:5], vcc
	s_and_saveexec_b64 s[14:15], s[4:5]
	s_cbranch_execz .LBB122_1339
; %bb.1338:
	v_ashrrev_i32_e32 v5, 31, v4
	v_lshl_add_u64 v[6:7], v[4:5], 2, v[10:11]
	global_load_dword v5, v[6:7], off
	global_load_dword v14, v[10:11], off offset:232
	s_waitcnt vmcnt(1)
	global_store_dword v[10:11], v5, off offset:232
	s_waitcnt vmcnt(1)
	global_store_dword v[6:7], v14, off
.LBB122_1339:
	s_or_b64 exec, exec, s[14:15]
	v_mov_b32_e32 v15, v4
	v_mov_b32_e32 v14, v4
.LBB122_1340:
	s_or_b64 exec, exec, s[12:13]
.LBB122_1341:
	s_andn2_saveexec_b64 s[0:1], s[0:1]
	s_cbranch_execz .LBB122_1343
; %bb.1342:
	scratch_load_dwordx4 v[4:7], off, s21
	scratch_load_dwordx4 v[16:19], off, s20
	;; [unrolled: 1-line block ×3, first 2 shown]
	v_mov_b32_e32 v15, 58
	s_waitcnt vmcnt(2)
	ds_write2_b64 v12, v[4:5], v[6:7] offset0:118 offset1:119
	s_waitcnt vmcnt(1)
	ds_write2_b64 v12, v[16:17], v[18:19] offset0:120 offset1:121
	;; [unrolled: 2-line block ×3, first 2 shown]
.LBB122_1343:
	s_or_b64 exec, exec, s[0:1]
	v_cmp_lt_i32_e32 vcc, 58, v15
	s_waitcnt lgkmcnt(0)
	s_barrier
	s_and_saveexec_b64 s[0:1], vcc
	s_cbranch_execz .LBB122_1345
; %bb.1344:
	scratch_load_dwordx4 v[4:7], off, off offset:928
	scratch_load_dwordx4 v[16:19], off, off offset:944
	;; [unrolled: 1-line block ×4, first 2 shown]
	ds_read2_b64 v[28:31], v12 offset0:118 offset1:119
	ds_read2_b64 v[32:35], v12 offset0:120 offset1:121
	;; [unrolled: 1-line block ×3, first 2 shown]
	s_waitcnt vmcnt(3)
	v_mul_f64 v[42:43], v[0:1], v[6:7]
	v_mul_f64 v[40:41], v[2:3], v[6:7]
	v_fmac_f64_e32 v[42:43], v[2:3], v[4:5]
	v_fma_f64 v[40:41], v[0:1], v[4:5], -v[40:41]
	s_waitcnt lgkmcnt(2)
	v_mul_f64 v[0:1], v[30:31], v[42:43]
	v_mul_f64 v[2:3], v[28:29], v[42:43]
	scratch_store_dwordx4 off, v[40:43], off offset:928
	s_waitcnt lgkmcnt(1)
	v_mul_f64 v[4:5], v[34:35], v[42:43]
	v_mul_f64 v[6:7], v[32:33], v[42:43]
	s_waitcnt lgkmcnt(0)
	v_mul_f64 v[44:45], v[38:39], v[42:43]
	v_mul_f64 v[42:43], v[36:37], v[42:43]
	v_fma_f64 v[0:1], v[28:29], v[40:41], -v[0:1]
	v_fmac_f64_e32 v[2:3], v[30:31], v[40:41]
	v_fma_f64 v[4:5], v[32:33], v[40:41], -v[4:5]
	v_fmac_f64_e32 v[6:7], v[34:35], v[40:41]
	;; [unrolled: 2-line block ×3, first 2 shown]
	s_waitcnt vmcnt(3)
	v_add_f64 v[0:1], v[16:17], -v[0:1]
	v_add_f64 v[2:3], v[18:19], -v[2:3]
	s_waitcnt vmcnt(2)
	v_add_f64 v[4:5], v[20:21], -v[4:5]
	v_add_f64 v[6:7], v[22:23], -v[6:7]
	;; [unrolled: 3-line block ×3, first 2 shown]
	scratch_store_dwordx4 off, v[0:3], off offset:944
	scratch_store_dwordx4 off, v[4:7], off offset:960
	;; [unrolled: 1-line block ×3, first 2 shown]
.LBB122_1345:
	s_or_b64 exec, exec, s[0:1]
	s_barrier
	scratch_load_dwordx4 v[0:3], off, s21
	v_lshl_add_u32 v4, v15, 4, v12
	s_cmp_lt_i32 s66, 61
	s_waitcnt vmcnt(0)
	ds_write2_b64 v4, v[0:1], v[2:3] offset1:1
	s_waitcnt lgkmcnt(0)
	s_barrier
	ds_read2_b64 v[0:3], v12 offset0:118 offset1:119
	v_mov_b32_e32 v4, 59
	s_cbranch_scc1 .LBB122_1348
; %bb.1346:
	v_add_u32_e32 v5, 0x3c0, v12
	s_mov_b32 s4, 60
	v_mov_b32_e32 v4, 59
.LBB122_1347:                           ; =>This Inner Loop Header: Depth=1
	ds_read2_b64 v[16:19], v5 offset1:1
	s_waitcnt lgkmcnt(1)
	v_xor_b32_e32 v7, 0x80000000, v1
	v_xor_b32_e32 v21, 0x80000000, v3
	v_cmp_gt_f64_e32 vcc, 0, v[2:3]
	v_cmp_gt_f64_e64 s[0:1], 0, v[0:1]
	v_mov_b32_e32 v6, v0
	v_mov_b32_e32 v20, v2
	v_cndmask_b32_e64 v7, v1, v7, s[0:1]
	v_cndmask_b32_e32 v21, v3, v21, vcc
	v_add_f64 v[6:7], v[6:7], v[20:21]
	s_waitcnt lgkmcnt(0)
	v_xor_b32_e32 v21, 0x80000000, v17
	v_xor_b32_e32 v23, 0x80000000, v19
	v_cmp_gt_f64_e32 vcc, 0, v[18:19]
	v_cmp_gt_f64_e64 s[0:1], 0, v[16:17]
	v_mov_b32_e32 v20, v16
	v_mov_b32_e32 v22, v18
	v_cndmask_b32_e64 v21, v17, v21, s[0:1]
	v_cndmask_b32_e32 v23, v19, v23, vcc
	v_add_f64 v[20:21], v[20:21], v[22:23]
	v_mov_b32_e32 v24, s4
	s_add_i32 s4, s4, 1
	v_cmp_lt_f64_e32 vcc, v[6:7], v[20:21]
	v_add_u32_e32 v5, 16, v5
	s_cmp_lg_u32 s66, s4
	v_cndmask_b32_e32 v1, v1, v17, vcc
	v_cndmask_b32_e32 v0, v0, v16, vcc
	;; [unrolled: 1-line block ×5, first 2 shown]
	s_cbranch_scc1 .LBB122_1347
.LBB122_1348:
	s_waitcnt lgkmcnt(0)
	v_cmp_eq_f64_e32 vcc, 0, v[0:1]
	v_cmp_eq_f64_e64 s[0:1], 0, v[2:3]
	s_and_b64 s[0:1], vcc, s[0:1]
	s_and_saveexec_b64 s[4:5], s[0:1]
	s_xor_b64 s[0:1], exec, s[4:5]
; %bb.1349:
	v_cmp_ne_u32_e32 vcc, 0, v13
	s_nop 1
	v_cndmask_b32_e32 v13, 60, v13, vcc
; %bb.1350:
	s_andn2_saveexec_b64 s[0:1], s[0:1]
	s_cbranch_execz .LBB122_1356
; %bb.1351:
	v_cmp_ngt_f64_e64 s[4:5], |v[0:1]|, |v[2:3]|
	s_and_saveexec_b64 s[12:13], s[4:5]
	s_xor_b64 s[12:13], exec, s[12:13]
	s_cbranch_execz .LBB122_1353
; %bb.1352:
	v_div_scale_f64 v[6:7], s[4:5], v[2:3], v[2:3], v[0:1]
	v_rcp_f64_e32 v[16:17], v[6:7]
	v_div_scale_f64 v[18:19], vcc, v[0:1], v[2:3], v[0:1]
	v_fma_f64 v[20:21], -v[6:7], v[16:17], 1.0
	v_fmac_f64_e32 v[16:17], v[16:17], v[20:21]
	v_fma_f64 v[20:21], -v[6:7], v[16:17], 1.0
	v_fmac_f64_e32 v[16:17], v[16:17], v[20:21]
	v_mul_f64 v[20:21], v[18:19], v[16:17]
	v_fma_f64 v[6:7], -v[6:7], v[20:21], v[18:19]
	v_div_fmas_f64 v[6:7], v[6:7], v[16:17], v[20:21]
	v_div_fixup_f64 v[6:7], v[6:7], v[2:3], v[0:1]
	v_fmac_f64_e32 v[2:3], v[0:1], v[6:7]
	v_div_scale_f64 v[0:1], s[4:5], v[2:3], v[2:3], 1.0
	v_rcp_f64_e32 v[16:17], v[0:1]
	s_nop 0
	v_fma_f64 v[18:19], -v[0:1], v[16:17], 1.0
	v_fmac_f64_e32 v[16:17], v[16:17], v[18:19]
	v_fma_f64 v[18:19], -v[0:1], v[16:17], 1.0
	v_fmac_f64_e32 v[16:17], v[16:17], v[18:19]
	v_div_scale_f64 v[18:19], vcc, 1.0, v[2:3], 1.0
	v_mul_f64 v[20:21], v[18:19], v[16:17]
	v_fma_f64 v[0:1], -v[0:1], v[20:21], v[18:19]
	s_nop 1
	v_div_fmas_f64 v[0:1], v[0:1], v[16:17], v[20:21]
	v_div_fixup_f64 v[2:3], v[0:1], v[2:3], 1.0
	v_mul_f64 v[0:1], v[6:7], v[2:3]
	v_xor_b32_e32 v3, 0x80000000, v3
.LBB122_1353:
	s_andn2_saveexec_b64 s[12:13], s[12:13]
	s_cbranch_execz .LBB122_1355
; %bb.1354:
	v_div_scale_f64 v[6:7], s[4:5], v[0:1], v[0:1], v[2:3]
	v_rcp_f64_e32 v[16:17], v[6:7]
	v_div_scale_f64 v[18:19], vcc, v[2:3], v[0:1], v[2:3]
	v_fma_f64 v[20:21], -v[6:7], v[16:17], 1.0
	v_fmac_f64_e32 v[16:17], v[16:17], v[20:21]
	v_fma_f64 v[20:21], -v[6:7], v[16:17], 1.0
	v_fmac_f64_e32 v[16:17], v[16:17], v[20:21]
	v_mul_f64 v[20:21], v[18:19], v[16:17]
	v_fma_f64 v[6:7], -v[6:7], v[20:21], v[18:19]
	v_div_fmas_f64 v[6:7], v[6:7], v[16:17], v[20:21]
	v_div_fixup_f64 v[6:7], v[6:7], v[0:1], v[2:3]
	v_fmac_f64_e32 v[0:1], v[2:3], v[6:7]
	v_div_scale_f64 v[2:3], s[4:5], v[0:1], v[0:1], 1.0
	v_rcp_f64_e32 v[16:17], v[2:3]
	s_nop 0
	v_fma_f64 v[18:19], -v[2:3], v[16:17], 1.0
	v_fmac_f64_e32 v[16:17], v[16:17], v[18:19]
	v_fma_f64 v[18:19], -v[2:3], v[16:17], 1.0
	v_fmac_f64_e32 v[16:17], v[16:17], v[18:19]
	v_div_scale_f64 v[18:19], vcc, 1.0, v[0:1], 1.0
	v_mul_f64 v[20:21], v[18:19], v[16:17]
	v_fma_f64 v[2:3], -v[2:3], v[20:21], v[18:19]
	s_nop 1
	v_div_fmas_f64 v[2:3], v[2:3], v[16:17], v[20:21]
	v_div_fixup_f64 v[0:1], v[2:3], v[0:1], 1.0
	v_mul_f64 v[2:3], v[6:7], -v[0:1]
.LBB122_1355:
	s_or_b64 exec, exec, s[12:13]
.LBB122_1356:
	s_or_b64 exec, exec, s[0:1]
	v_cmp_ne_u32_e32 vcc, v15, v4
	s_and_saveexec_b64 s[0:1], vcc
	s_xor_b64 s[0:1], exec, s[0:1]
	s_cbranch_execz .LBB122_1362
; %bb.1357:
	v_cmp_eq_u32_e32 vcc, 59, v15
	s_and_saveexec_b64 s[12:13], vcc
	s_cbranch_execz .LBB122_1361
; %bb.1358:
	v_cmp_ne_u32_e32 vcc, 59, v4
	s_xor_b64 s[4:5], s[18:19], -1
	s_and_b64 s[4:5], s[4:5], vcc
	s_and_saveexec_b64 s[14:15], s[4:5]
	s_cbranch_execz .LBB122_1360
; %bb.1359:
	v_ashrrev_i32_e32 v5, 31, v4
	v_lshl_add_u64 v[6:7], v[4:5], 2, v[10:11]
	global_load_dword v5, v[6:7], off
	global_load_dword v14, v[10:11], off offset:236
	s_waitcnt vmcnt(1)
	global_store_dword v[10:11], v5, off offset:236
	s_waitcnt vmcnt(1)
	global_store_dword v[6:7], v14, off
.LBB122_1360:
	s_or_b64 exec, exec, s[14:15]
	v_mov_b32_e32 v15, v4
	v_mov_b32_e32 v14, v4
.LBB122_1361:
	s_or_b64 exec, exec, s[12:13]
.LBB122_1362:
	s_andn2_saveexec_b64 s[0:1], s[0:1]
	s_cbranch_execz .LBB122_1364
; %bb.1363:
	scratch_load_dwordx4 v[4:7], off, s20
	scratch_load_dwordx4 v[16:19], off, s65
	v_mov_b32_e32 v15, 59
	s_waitcnt vmcnt(1)
	ds_write2_b64 v12, v[4:5], v[6:7] offset0:120 offset1:121
	s_waitcnt vmcnt(0)
	ds_write2_b64 v12, v[16:17], v[18:19] offset0:122 offset1:123
.LBB122_1364:
	s_or_b64 exec, exec, s[0:1]
	v_cmp_lt_i32_e32 vcc, 59, v15
	s_waitcnt lgkmcnt(0)
	s_barrier
	s_and_saveexec_b64 s[0:1], vcc
	s_cbranch_execz .LBB122_1366
; %bb.1365:
	scratch_load_dwordx4 v[4:7], off, off offset:944
	scratch_load_dwordx4 v[16:19], off, off offset:960
	;; [unrolled: 1-line block ×3, first 2 shown]
	ds_read2_b64 v[24:27], v12 offset0:120 offset1:121
	ds_read2_b64 v[28:31], v12 offset0:122 offset1:123
	s_waitcnt vmcnt(2)
	v_mul_f64 v[34:35], v[0:1], v[6:7]
	v_mul_f64 v[32:33], v[2:3], v[6:7]
	v_fmac_f64_e32 v[34:35], v[2:3], v[4:5]
	v_fma_f64 v[32:33], v[0:1], v[4:5], -v[32:33]
	s_waitcnt lgkmcnt(1)
	v_mul_f64 v[0:1], v[26:27], v[34:35]
	v_mul_f64 v[2:3], v[24:25], v[34:35]
	s_waitcnt lgkmcnt(0)
	v_mul_f64 v[4:5], v[30:31], v[34:35]
	v_mul_f64 v[6:7], v[28:29], v[34:35]
	v_fma_f64 v[0:1], v[24:25], v[32:33], -v[0:1]
	v_fmac_f64_e32 v[2:3], v[26:27], v[32:33]
	v_fma_f64 v[4:5], v[28:29], v[32:33], -v[4:5]
	v_fmac_f64_e32 v[6:7], v[30:31], v[32:33]
	s_waitcnt vmcnt(1)
	v_add_f64 v[0:1], v[16:17], -v[0:1]
	v_add_f64 v[2:3], v[18:19], -v[2:3]
	scratch_store_dwordx4 off, v[32:35], off offset:944
	s_waitcnt vmcnt(1)
	v_add_f64 v[4:5], v[20:21], -v[4:5]
	v_add_f64 v[6:7], v[22:23], -v[6:7]
	scratch_store_dwordx4 off, v[0:3], off offset:960
	scratch_store_dwordx4 off, v[4:7], off offset:976
.LBB122_1366:
	s_or_b64 exec, exec, s[0:1]
	s_barrier
	scratch_load_dwordx4 v[0:3], off, s20
	v_lshl_add_u32 v4, v15, 4, v12
	s_cmp_lt_i32 s66, 62
	s_waitcnt vmcnt(0)
	ds_write2_b64 v4, v[0:1], v[2:3] offset1:1
	s_waitcnt lgkmcnt(0)
	s_barrier
	ds_read2_b64 v[0:3], v12 offset0:120 offset1:121
	v_mov_b32_e32 v4, 60
	s_cbranch_scc1 .LBB122_1369
; %bb.1367:
	v_add_u32_e32 v5, 0x3d0, v12
	s_mov_b32 s4, 61
	v_mov_b32_e32 v4, 60
.LBB122_1368:                           ; =>This Inner Loop Header: Depth=1
	ds_read2_b64 v[16:19], v5 offset1:1
	s_waitcnt lgkmcnt(1)
	v_xor_b32_e32 v7, 0x80000000, v1
	v_xor_b32_e32 v21, 0x80000000, v3
	v_cmp_gt_f64_e32 vcc, 0, v[2:3]
	v_cmp_gt_f64_e64 s[0:1], 0, v[0:1]
	v_mov_b32_e32 v6, v0
	v_mov_b32_e32 v20, v2
	v_cndmask_b32_e64 v7, v1, v7, s[0:1]
	v_cndmask_b32_e32 v21, v3, v21, vcc
	v_add_f64 v[6:7], v[6:7], v[20:21]
	s_waitcnt lgkmcnt(0)
	v_xor_b32_e32 v21, 0x80000000, v17
	v_xor_b32_e32 v23, 0x80000000, v19
	v_cmp_gt_f64_e32 vcc, 0, v[18:19]
	v_cmp_gt_f64_e64 s[0:1], 0, v[16:17]
	v_mov_b32_e32 v20, v16
	v_mov_b32_e32 v22, v18
	v_cndmask_b32_e64 v21, v17, v21, s[0:1]
	v_cndmask_b32_e32 v23, v19, v23, vcc
	v_add_f64 v[20:21], v[20:21], v[22:23]
	v_mov_b32_e32 v24, s4
	s_add_i32 s4, s4, 1
	v_cmp_lt_f64_e32 vcc, v[6:7], v[20:21]
	v_add_u32_e32 v5, 16, v5
	s_cmp_lg_u32 s66, s4
	v_cndmask_b32_e32 v1, v1, v17, vcc
	v_cndmask_b32_e32 v0, v0, v16, vcc
	;; [unrolled: 1-line block ×5, first 2 shown]
	s_cbranch_scc1 .LBB122_1368
.LBB122_1369:
	s_waitcnt lgkmcnt(0)
	v_cmp_eq_f64_e32 vcc, 0, v[0:1]
	v_cmp_eq_f64_e64 s[0:1], 0, v[2:3]
	s_and_b64 s[0:1], vcc, s[0:1]
	s_and_saveexec_b64 s[4:5], s[0:1]
	s_xor_b64 s[0:1], exec, s[4:5]
; %bb.1370:
	v_cmp_ne_u32_e32 vcc, 0, v13
	s_nop 1
	v_cndmask_b32_e32 v13, 61, v13, vcc
; %bb.1371:
	s_andn2_saveexec_b64 s[0:1], s[0:1]
	s_cbranch_execz .LBB122_1377
; %bb.1372:
	v_cmp_ngt_f64_e64 s[4:5], |v[0:1]|, |v[2:3]|
	s_and_saveexec_b64 s[12:13], s[4:5]
	s_xor_b64 s[12:13], exec, s[12:13]
	s_cbranch_execz .LBB122_1374
; %bb.1373:
	v_div_scale_f64 v[6:7], s[4:5], v[2:3], v[2:3], v[0:1]
	v_rcp_f64_e32 v[16:17], v[6:7]
	v_div_scale_f64 v[18:19], vcc, v[0:1], v[2:3], v[0:1]
	v_fma_f64 v[20:21], -v[6:7], v[16:17], 1.0
	v_fmac_f64_e32 v[16:17], v[16:17], v[20:21]
	v_fma_f64 v[20:21], -v[6:7], v[16:17], 1.0
	v_fmac_f64_e32 v[16:17], v[16:17], v[20:21]
	v_mul_f64 v[20:21], v[18:19], v[16:17]
	v_fma_f64 v[6:7], -v[6:7], v[20:21], v[18:19]
	v_div_fmas_f64 v[6:7], v[6:7], v[16:17], v[20:21]
	v_div_fixup_f64 v[6:7], v[6:7], v[2:3], v[0:1]
	v_fmac_f64_e32 v[2:3], v[0:1], v[6:7]
	v_div_scale_f64 v[0:1], s[4:5], v[2:3], v[2:3], 1.0
	v_rcp_f64_e32 v[16:17], v[0:1]
	s_nop 0
	v_fma_f64 v[18:19], -v[0:1], v[16:17], 1.0
	v_fmac_f64_e32 v[16:17], v[16:17], v[18:19]
	v_fma_f64 v[18:19], -v[0:1], v[16:17], 1.0
	v_fmac_f64_e32 v[16:17], v[16:17], v[18:19]
	v_div_scale_f64 v[18:19], vcc, 1.0, v[2:3], 1.0
	v_mul_f64 v[20:21], v[18:19], v[16:17]
	v_fma_f64 v[0:1], -v[0:1], v[20:21], v[18:19]
	s_nop 1
	v_div_fmas_f64 v[0:1], v[0:1], v[16:17], v[20:21]
	v_div_fixup_f64 v[2:3], v[0:1], v[2:3], 1.0
	v_mul_f64 v[0:1], v[6:7], v[2:3]
	v_xor_b32_e32 v3, 0x80000000, v3
.LBB122_1374:
	s_andn2_saveexec_b64 s[12:13], s[12:13]
	s_cbranch_execz .LBB122_1376
; %bb.1375:
	v_div_scale_f64 v[6:7], s[4:5], v[0:1], v[0:1], v[2:3]
	v_rcp_f64_e32 v[16:17], v[6:7]
	v_div_scale_f64 v[18:19], vcc, v[2:3], v[0:1], v[2:3]
	v_fma_f64 v[20:21], -v[6:7], v[16:17], 1.0
	v_fmac_f64_e32 v[16:17], v[16:17], v[20:21]
	v_fma_f64 v[20:21], -v[6:7], v[16:17], 1.0
	v_fmac_f64_e32 v[16:17], v[16:17], v[20:21]
	v_mul_f64 v[20:21], v[18:19], v[16:17]
	v_fma_f64 v[6:7], -v[6:7], v[20:21], v[18:19]
	v_div_fmas_f64 v[6:7], v[6:7], v[16:17], v[20:21]
	v_div_fixup_f64 v[6:7], v[6:7], v[0:1], v[2:3]
	v_fmac_f64_e32 v[0:1], v[2:3], v[6:7]
	v_div_scale_f64 v[2:3], s[4:5], v[0:1], v[0:1], 1.0
	v_rcp_f64_e32 v[16:17], v[2:3]
	s_nop 0
	v_fma_f64 v[18:19], -v[2:3], v[16:17], 1.0
	v_fmac_f64_e32 v[16:17], v[16:17], v[18:19]
	v_fma_f64 v[18:19], -v[2:3], v[16:17], 1.0
	v_fmac_f64_e32 v[16:17], v[16:17], v[18:19]
	v_div_scale_f64 v[18:19], vcc, 1.0, v[0:1], 1.0
	v_mul_f64 v[20:21], v[18:19], v[16:17]
	v_fma_f64 v[2:3], -v[2:3], v[20:21], v[18:19]
	s_nop 1
	v_div_fmas_f64 v[2:3], v[2:3], v[16:17], v[20:21]
	v_div_fixup_f64 v[0:1], v[2:3], v[0:1], 1.0
	v_mul_f64 v[2:3], v[6:7], -v[0:1]
.LBB122_1376:
	s_or_b64 exec, exec, s[12:13]
.LBB122_1377:
	s_or_b64 exec, exec, s[0:1]
	v_cmp_ne_u32_e32 vcc, v15, v4
	s_and_saveexec_b64 s[0:1], vcc
	s_xor_b64 s[0:1], exec, s[0:1]
	s_cbranch_execz .LBB122_1383
; %bb.1378:
	v_cmp_eq_u32_e32 vcc, 60, v15
	s_and_saveexec_b64 s[12:13], vcc
	s_cbranch_execz .LBB122_1382
; %bb.1379:
	v_cmp_ne_u32_e32 vcc, 60, v4
	s_xor_b64 s[4:5], s[18:19], -1
	s_and_b64 s[4:5], s[4:5], vcc
	s_and_saveexec_b64 s[14:15], s[4:5]
	s_cbranch_execz .LBB122_1381
; %bb.1380:
	v_ashrrev_i32_e32 v5, 31, v4
	v_lshl_add_u64 v[6:7], v[4:5], 2, v[10:11]
	global_load_dword v5, v[6:7], off
	global_load_dword v14, v[10:11], off offset:240
	s_waitcnt vmcnt(1)
	global_store_dword v[10:11], v5, off offset:240
	s_waitcnt vmcnt(1)
	global_store_dword v[6:7], v14, off
.LBB122_1381:
	s_or_b64 exec, exec, s[14:15]
	v_mov_b32_e32 v15, v4
	v_mov_b32_e32 v14, v4
.LBB122_1382:
	s_or_b64 exec, exec, s[12:13]
.LBB122_1383:
	s_andn2_saveexec_b64 s[0:1], s[0:1]
	s_cbranch_execz .LBB122_1385
; %bb.1384:
	scratch_load_dwordx4 v[4:7], off, s65
	v_mov_b32_e32 v15, 60
	s_waitcnt vmcnt(0)
	ds_write2_b64 v12, v[4:5], v[6:7] offset0:122 offset1:123
.LBB122_1385:
	s_or_b64 exec, exec, s[0:1]
	v_cmp_lt_i32_e32 vcc, 60, v15
	s_waitcnt lgkmcnt(0)
	s_barrier
	s_and_saveexec_b64 s[0:1], vcc
	s_cbranch_execz .LBB122_1387
; %bb.1386:
	scratch_load_dwordx4 v[4:7], off, off offset:960
	scratch_load_dwordx4 v[16:19], off, off offset:976
	ds_read2_b64 v[20:23], v12 offset0:122 offset1:123
	s_waitcnt vmcnt(1)
	v_mul_f64 v[26:27], v[0:1], v[6:7]
	v_mul_f64 v[24:25], v[2:3], v[6:7]
	v_fmac_f64_e32 v[26:27], v[2:3], v[4:5]
	v_fma_f64 v[24:25], v[0:1], v[4:5], -v[24:25]
	s_waitcnt lgkmcnt(0)
	v_mul_f64 v[0:1], v[22:23], v[26:27]
	v_mul_f64 v[2:3], v[20:21], v[26:27]
	v_fma_f64 v[0:1], v[20:21], v[24:25], -v[0:1]
	v_fmac_f64_e32 v[2:3], v[22:23], v[24:25]
	s_waitcnt vmcnt(0)
	v_add_f64 v[0:1], v[16:17], -v[0:1]
	v_add_f64 v[2:3], v[18:19], -v[2:3]
	scratch_store_dwordx4 off, v[24:27], off offset:960
	scratch_store_dwordx4 off, v[0:3], off offset:976
.LBB122_1387:
	s_or_b64 exec, exec, s[0:1]
	s_barrier
	scratch_load_dwordx4 v[0:3], off, s65
	v_lshl_add_u32 v4, v15, 4, v12
	s_cmp_lt_i32 s66, 63
	s_waitcnt vmcnt(0)
	ds_write2_b64 v4, v[0:1], v[2:3] offset1:1
	s_waitcnt lgkmcnt(0)
	s_barrier
	ds_read2_b64 v[0:3], v12 offset0:122 offset1:123
	v_mov_b32_e32 v4, 61
	s_cbranch_scc1 .LBB122_1390
; %bb.1388:
	v_add_u32_e32 v5, 0x3e0, v12
	s_mov_b32 s4, 62
	v_mov_b32_e32 v4, 61
.LBB122_1389:                           ; =>This Inner Loop Header: Depth=1
	ds_read2_b64 v[16:19], v5 offset1:1
	s_waitcnt lgkmcnt(1)
	v_xor_b32_e32 v7, 0x80000000, v1
	v_xor_b32_e32 v12, 0x80000000, v3
	v_cmp_gt_f64_e32 vcc, 0, v[2:3]
	v_cmp_gt_f64_e64 s[0:1], 0, v[0:1]
	v_mov_b32_e32 v6, v0
	v_mov_b32_e32 v20, v2
	v_cndmask_b32_e64 v7, v1, v7, s[0:1]
	v_cndmask_b32_e32 v21, v3, v12, vcc
	s_waitcnt lgkmcnt(0)
	v_xor_b32_e32 v12, 0x80000000, v17
	v_xor_b32_e32 v23, 0x80000000, v19
	v_cmp_gt_f64_e32 vcc, 0, v[18:19]
	v_cmp_gt_f64_e64 s[0:1], 0, v[16:17]
	v_add_f64 v[6:7], v[6:7], v[20:21]
	v_mov_b32_e32 v20, v16
	v_mov_b32_e32 v22, v18
	v_cndmask_b32_e64 v21, v17, v12, s[0:1]
	v_cndmask_b32_e32 v23, v19, v23, vcc
	v_add_f64 v[20:21], v[20:21], v[22:23]
	v_mov_b32_e32 v24, s4
	s_add_i32 s4, s4, 1
	v_cmp_lt_f64_e32 vcc, v[6:7], v[20:21]
	v_add_u32_e32 v5, 16, v5
	s_cmp_lg_u32 s66, s4
	v_cndmask_b32_e32 v1, v1, v17, vcc
	v_cndmask_b32_e32 v0, v0, v16, vcc
	;; [unrolled: 1-line block ×5, first 2 shown]
	s_cbranch_scc1 .LBB122_1389
.LBB122_1390:
	s_waitcnt lgkmcnt(0)
	v_cmp_eq_f64_e32 vcc, 0, v[0:1]
	v_cmp_eq_f64_e64 s[0:1], 0, v[2:3]
	s_and_b64 s[0:1], vcc, s[0:1]
	s_and_saveexec_b64 s[4:5], s[0:1]
	s_xor_b64 s[0:1], exec, s[4:5]
; %bb.1391:
	v_cmp_ne_u32_e32 vcc, 0, v13
	s_nop 1
	v_cndmask_b32_e32 v13, 62, v13, vcc
; %bb.1392:
	s_andn2_saveexec_b64 s[0:1], s[0:1]
	s_cbranch_execz .LBB122_1398
; %bb.1393:
	v_cmp_ngt_f64_e64 s[4:5], |v[0:1]|, |v[2:3]|
	s_and_saveexec_b64 s[12:13], s[4:5]
	s_xor_b64 s[12:13], exec, s[12:13]
	s_cbranch_execz .LBB122_1395
; %bb.1394:
	v_div_scale_f64 v[6:7], s[4:5], v[2:3], v[2:3], v[0:1]
	v_rcp_f64_e32 v[16:17], v[6:7]
	v_div_scale_f64 v[18:19], vcc, v[0:1], v[2:3], v[0:1]
	v_fma_f64 v[20:21], -v[6:7], v[16:17], 1.0
	v_fmac_f64_e32 v[16:17], v[16:17], v[20:21]
	v_fma_f64 v[20:21], -v[6:7], v[16:17], 1.0
	v_fmac_f64_e32 v[16:17], v[16:17], v[20:21]
	v_mul_f64 v[20:21], v[18:19], v[16:17]
	v_fma_f64 v[6:7], -v[6:7], v[20:21], v[18:19]
	v_div_fmas_f64 v[6:7], v[6:7], v[16:17], v[20:21]
	v_div_fixup_f64 v[6:7], v[6:7], v[2:3], v[0:1]
	v_fmac_f64_e32 v[2:3], v[0:1], v[6:7]
	v_div_scale_f64 v[0:1], s[4:5], v[2:3], v[2:3], 1.0
	v_rcp_f64_e32 v[16:17], v[0:1]
	s_nop 0
	v_fma_f64 v[18:19], -v[0:1], v[16:17], 1.0
	v_fmac_f64_e32 v[16:17], v[16:17], v[18:19]
	v_fma_f64 v[18:19], -v[0:1], v[16:17], 1.0
	v_fmac_f64_e32 v[16:17], v[16:17], v[18:19]
	v_div_scale_f64 v[18:19], vcc, 1.0, v[2:3], 1.0
	v_mul_f64 v[20:21], v[18:19], v[16:17]
	v_fma_f64 v[0:1], -v[0:1], v[20:21], v[18:19]
	s_nop 1
	v_div_fmas_f64 v[0:1], v[0:1], v[16:17], v[20:21]
	v_div_fixup_f64 v[2:3], v[0:1], v[2:3], 1.0
	v_mul_f64 v[0:1], v[6:7], v[2:3]
	v_xor_b32_e32 v3, 0x80000000, v3
.LBB122_1395:
	s_andn2_saveexec_b64 s[12:13], s[12:13]
	s_cbranch_execz .LBB122_1397
; %bb.1396:
	v_div_scale_f64 v[6:7], s[4:5], v[0:1], v[0:1], v[2:3]
	v_rcp_f64_e32 v[16:17], v[6:7]
	v_div_scale_f64 v[18:19], vcc, v[2:3], v[0:1], v[2:3]
	v_fma_f64 v[20:21], -v[6:7], v[16:17], 1.0
	v_fmac_f64_e32 v[16:17], v[16:17], v[20:21]
	v_fma_f64 v[20:21], -v[6:7], v[16:17], 1.0
	v_fmac_f64_e32 v[16:17], v[16:17], v[20:21]
	v_mul_f64 v[20:21], v[18:19], v[16:17]
	v_fma_f64 v[6:7], -v[6:7], v[20:21], v[18:19]
	v_div_fmas_f64 v[6:7], v[6:7], v[16:17], v[20:21]
	v_div_fixup_f64 v[6:7], v[6:7], v[0:1], v[2:3]
	v_fmac_f64_e32 v[0:1], v[2:3], v[6:7]
	v_div_scale_f64 v[2:3], s[4:5], v[0:1], v[0:1], 1.0
	v_rcp_f64_e32 v[16:17], v[2:3]
	s_nop 0
	v_fma_f64 v[18:19], -v[2:3], v[16:17], 1.0
	v_fmac_f64_e32 v[16:17], v[16:17], v[18:19]
	v_fma_f64 v[18:19], -v[2:3], v[16:17], 1.0
	v_fmac_f64_e32 v[16:17], v[16:17], v[18:19]
	v_div_scale_f64 v[18:19], vcc, 1.0, v[0:1], 1.0
	v_mul_f64 v[20:21], v[18:19], v[16:17]
	v_fma_f64 v[2:3], -v[2:3], v[20:21], v[18:19]
	s_nop 1
	v_div_fmas_f64 v[2:3], v[2:3], v[16:17], v[20:21]
	v_div_fixup_f64 v[0:1], v[2:3], v[0:1], 1.0
	v_mul_f64 v[2:3], v[6:7], -v[0:1]
.LBB122_1397:
	s_or_b64 exec, exec, s[12:13]
.LBB122_1398:
	s_or_b64 exec, exec, s[0:1]
	v_cmp_ne_u32_e32 vcc, v15, v4
	v_mov_b32_e32 v68, 61
	s_and_saveexec_b64 s[0:1], vcc
	s_cbranch_execz .LBB122_1404
; %bb.1399:
	v_cmp_eq_u32_e32 vcc, 61, v15
	s_and_saveexec_b64 s[12:13], vcc
	s_cbranch_execz .LBB122_1403
; %bb.1400:
	v_cmp_ne_u32_e32 vcc, 61, v4
	s_xor_b64 s[4:5], s[18:19], -1
	s_and_b64 s[4:5], s[4:5], vcc
	s_and_saveexec_b64 s[14:15], s[4:5]
	s_cbranch_execz .LBB122_1402
; %bb.1401:
	v_ashrrev_i32_e32 v5, 31, v4
	v_lshl_add_u64 v[6:7], v[4:5], 2, v[10:11]
	global_load_dword v5, v[6:7], off
	global_load_dword v12, v[10:11], off offset:244
	s_waitcnt vmcnt(1)
	global_store_dword v[10:11], v5, off offset:244
	s_waitcnt vmcnt(1)
	global_store_dword v[6:7], v12, off
.LBB122_1402:
	s_or_b64 exec, exec, s[14:15]
	v_mov_b32_e32 v15, v4
	v_mov_b32_e32 v14, v4
.LBB122_1403:
	s_or_b64 exec, exec, s[12:13]
	v_mov_b32_e32 v68, v15
.LBB122_1404:
	s_or_b64 exec, exec, s[0:1]
	v_cmp_lt_i32_e32 vcc, 61, v68
	s_barrier
	s_and_saveexec_b64 s[0:1], vcc
	s_cbranch_execz .LBB122_1406
; %bb.1405:
	scratch_load_dwordx4 v[4:7], off, off offset:976
	s_waitcnt vmcnt(0)
	v_mul_f64 v[10:11], v[2:3], v[6:7]
	v_mul_f64 v[18:19], v[0:1], v[6:7]
	v_fma_f64 v[16:17], v[0:1], v[4:5], -v[10:11]
	v_fmac_f64_e32 v[18:19], v[2:3], v[4:5]
	scratch_store_dwordx4 off, v[16:19], off offset:976
.LBB122_1406:
	s_or_b64 exec, exec, s[0:1]
	v_cmp_gt_i32_e32 vcc, 62, v68
	v_ashrrev_i32_e32 v69, 31, v68
	s_barrier
	s_and_saveexec_b64 s[0:1], vcc
	s_cbranch_execz .LBB122_1408
; %bb.1407:
	v_readlane_b32 s4, v128, 2
	v_readlane_b32 s5, v128, 3
	;; [unrolled: 1-line block ×6, first 2 shown]
	v_mul_lo_u32 v4, s11, v8
	v_mul_lo_u32 v5, s10, v9
	v_mad_u64_u32 v[2:3], s[4:5], s10, v8, 0
	v_mov_b32_e32 v0, s6
	v_mov_b32_e32 v1, s7
	v_add3_u32 v3, v3, v5, v4
	v_readlane_b32 s8, v128, 6
	v_readlane_b32 s9, v128, 7
	v_lshl_add_u64 v[0:1], v[2:3], 2, v[0:1]
	v_add3_u32 v2, v14, s17, 1
	v_lshl_add_u64 v[0:1], s[8:9], 2, v[0:1]
	v_lshl_add_u64 v[0:1], v[68:69], 2, v[0:1]
	global_store_dword v[0:1], v2, off
.LBB122_1408:
	s_or_b64 exec, exec, s[0:1]
	v_cmp_eq_u32_e32 vcc, 0, v68
	s_and_saveexec_b64 s[6:7], vcc
	s_cbranch_execz .LBB122_1411
; %bb.1409:
	v_readlane_b32 s0, v128, 11
	v_readlane_b32 s1, v128, 12
	s_nop 0
	v_mov_b32_e32 v0, s0
	v_mov_b32_e32 v1, s1
	v_lshl_add_u64 v[0:1], v[8:9], 2, v[0:1]
	global_load_dword v2, v[0:1], off
	v_cmp_ne_u32_e64 s[0:1], 0, v13
	s_waitcnt vmcnt(0)
	v_cmp_eq_u32_e32 vcc, 0, v2
	s_and_b64 s[0:1], vcc, s[0:1]
	s_and_b64 exec, exec, s[0:1]
	s_cbranch_execz .LBB122_1411
; %bb.1410:
	v_add_u32_e32 v2, s17, v13
	global_store_dword v[0:1], v2, off
.LBB122_1411:
	s_or_b64 exec, exec, s[6:7]
	scratch_load_dwordx4 v[28:31], off, off
	scratch_load_dwordx4 v[20:23], off, s94
	scratch_load_dwordx4 v[12:15], off, s93
	;; [unrolled: 1-line block ×16, first 2 shown]
	v_readlane_b32 s0, v128, 10
	v_lshl_add_u64 v[116:117], v[68:69], 4, v[112:113]
	s_nop 0
	v_add_u32_e32 v114, s0, v68
	scratch_load_dwordx4 v[68:71], off, s53
	scratch_load_dwordx4 v[72:75], off, s58
	;; [unrolled: 1-line block ×11, first 2 shown]
	v_add_u32_e32 v122, s2, v114
	v_ashrrev_i32_e32 v115, 31, v114
	v_ashrrev_i32_e32 v123, 31, v122
	v_lshl_add_u64 v[114:115], v[114:115], 4, v[112:113]
	s_waitcnt vmcnt(27)
	global_store_dwordx4 v[116:117], v[28:31], off
	v_lshl_add_u64 v[116:117], s[2:3], 4, v[116:117]
	scratch_load_dwordx4 v[28:31], off, s56
	scratch_load_dwordx4 v[118:121], off, s52
	s_waitcnt vmcnt(29)
	global_store_dwordx4 v[116:117], v[20:23], off
	s_waitcnt vmcnt(29)
	global_store_dwordx4 v[114:115], v[12:15], off
	v_add_u32_e32 v20, s2, v122
	v_add_u32_e32 v116, s2, v20
	v_lshl_add_u64 v[22:23], v[122:123], 4, v[112:113]
	v_add_u32_e32 v122, s2, v116
	v_add_u32_e32 v12, s2, v122
	v_ashrrev_i32_e32 v123, 31, v122
	v_add_u32_e32 v114, s2, v12
	v_lshl_add_u64 v[14:15], v[122:123], 4, v[112:113]
	v_add_u32_e32 v122, s2, v114
	s_waitcnt vmcnt(29)
	global_store_dwordx4 v[22:23], v[8:11], off
	v_ashrrev_i32_e32 v21, 31, v20
	v_ashrrev_i32_e32 v123, 31, v122
	v_add_u32_e32 v8, s2, v122
	v_add_u32_e32 v22, s2, v8
	v_lshl_add_u64 v[20:21], v[20:21], 4, v[112:113]
	v_lshl_add_u64 v[10:11], v[122:123], 4, v[112:113]
	v_add_u32_e32 v122, s2, v22
	v_ashrrev_i32_e32 v117, 31, v116
	s_waitcnt vmcnt(29)
	global_store_dwordx4 v[20:21], v[0:3], off
	v_add_u32_e32 v20, s2, v122
	v_lshl_add_u64 v[116:117], v[116:117], 4, v[112:113]
	v_ashrrev_i32_e32 v13, 31, v12
	v_ashrrev_i32_e32 v115, 31, v114
	;; [unrolled: 1-line block ×6, first 2 shown]
	v_lshl_add_u64 v[12:13], v[12:13], 4, v[112:113]
	v_lshl_add_u64 v[114:115], v[114:115], 4, v[112:113]
	v_lshl_add_u64 v[8:9], v[8:9], 4, v[112:113]
	v_lshl_add_u64 v[22:23], v[22:23], 4, v[112:113]
	v_lshl_add_u64 v[0:1], v[122:123], 4, v[112:113]
	v_lshl_add_u64 v[2:3], v[20:21], 4, v[112:113]
	s_waitcnt vmcnt(29)
	global_store_dwordx4 v[116:117], v[4:7], off
	s_waitcnt vmcnt(29)
	global_store_dwordx4 v[14:15], v[16:19], off
	;; [unrolled: 2-line block ×9, first 2 shown]
	scratch_load_dwordx4 v[0:3], off, s92
	v_add_u32_e32 v8, s2, v20
	v_ashrrev_i32_e32 v9, 31, v8
	v_lshl_add_u64 v[4:5], v[8:9], 4, v[112:113]
	v_add_u32_e32 v12, s2, v8
	s_waitcnt vmcnt(30)
	global_store_dwordx4 v[4:5], v[56:59], off
	scratch_load_dwordx4 v[4:7], off, s51
	v_ashrrev_i32_e32 v13, 31, v12
	v_lshl_add_u64 v[8:9], v[12:13], 4, v[112:113]
	s_waitcnt vmcnt(31)
	global_store_dwordx4 v[8:9], v[60:63], off
	scratch_load_dwordx4 v[8:11], off, s50
	v_add_u32_e32 v12, s2, v12
	v_ashrrev_i32_e32 v13, 31, v12
	v_lshl_add_u64 v[14:15], v[12:13], 4, v[112:113]
	v_add_u32_e32 v16, s2, v12
	s_waitcnt vmcnt(32)
	global_store_dwordx4 v[14:15], v[64:67], off
	scratch_load_dwordx4 v[12:15], off, s57
	v_ashrrev_i32_e32 v17, 31, v16
	v_lshl_add_u64 v[18:19], v[16:17], 4, v[112:113]
	v_add_u32_e32 v20, s2, v16
	s_waitcnt vmcnt(33)
	global_store_dwordx4 v[18:19], v[68:71], off
	scratch_load_dwordx4 v[16:19], off, s48
	v_ashrrev_i32_e32 v21, 31, v20
	v_lshl_add_u64 v[22:23], v[20:21], 4, v[112:113]
	s_waitcnt vmcnt(34)
	global_store_dwordx4 v[22:23], v[72:75], off
	v_add_u32_e32 v24, s2, v20
	scratch_load_dwordx4 v[20:23], off, s47
	v_ashrrev_i32_e32 v25, 31, v24
	v_lshl_add_u64 v[26:27], v[24:25], 4, v[112:113]
	v_add_u32_e32 v32, s2, v24
	s_waitcnt vmcnt(35)
	global_store_dwordx4 v[26:27], v[76:79], off
	v_ashrrev_i32_e32 v33, 31, v32
	scratch_load_dwordx4 v[24:27], off, s46
	v_lshl_add_u64 v[34:35], v[32:33], 4, v[112:113]
	v_add_u32_e32 v36, s2, v32
	s_waitcnt vmcnt(36)
	global_store_dwordx4 v[34:35], v[80:83], off
	v_ashrrev_i32_e32 v37, 31, v36
	scratch_load_dwordx4 v[32:35], off, s45
	v_lshl_add_u64 v[38:39], v[36:37], 4, v[112:113]
	s_waitcnt vmcnt(37)
	global_store_dwordx4 v[38:39], v[84:87], off
	v_add_u32_e32 v40, s2, v36
	scratch_load_dwordx4 v[36:39], off, s44
	v_ashrrev_i32_e32 v41, 31, v40
	v_lshl_add_u64 v[42:43], v[40:41], 4, v[112:113]
	v_add_u32_e32 v44, s2, v40
	s_waitcnt vmcnt(38)
	global_store_dwordx4 v[42:43], v[88:91], off
	v_ashrrev_i32_e32 v45, 31, v44
	scratch_load_dwordx4 v[40:43], off, s43
	v_lshl_add_u64 v[46:47], v[44:45], 4, v[112:113]
	s_waitcnt vmcnt(39)
	global_store_dwordx4 v[46:47], v[92:95], off
	v_add_u32_e32 v48, s2, v44
	scratch_load_dwordx4 v[44:47], off, s42
	v_ashrrev_i32_e32 v49, 31, v48
	v_lshl_add_u64 v[50:51], v[48:49], 4, v[112:113]
	s_waitcnt vmcnt(40)
	global_store_dwordx4 v[50:51], v[96:99], off
	v_add_u32_e32 v52, s2, v48
	scratch_load_dwordx4 v[48:51], off, s41
	v_ashrrev_i32_e32 v53, 31, v52
	;; [unrolled: 6-line block ×3, first 2 shown]
	v_add_u32_e32 v60, s2, v56
	v_lshl_add_u64 v[58:59], v[56:57], 4, v[112:113]
	v_ashrrev_i32_e32 v61, 31, v60
	s_waitcnt vmcnt(42)
	global_store_dwordx4 v[58:59], v[104:107], off
	scratch_load_dwordx4 v[56:59], off, s39
	v_lshl_add_u64 v[62:63], v[60:61], 4, v[112:113]
	s_waitcnt vmcnt(41)
	global_store_dwordx4 v[62:63], v[28:31], off
	scratch_load_dwordx4 v[28:31], off, s38
	v_add_u32_e32 v64, s2, v60
	v_ashrrev_i32_e32 v65, 31, v64
	v_lshl_add_u64 v[60:61], v[64:65], 4, v[112:113]
	s_waitcnt vmcnt(42)
	global_store_dwordx4 v[60:61], v[118:121], off
	scratch_load_dwordx4 v[60:63], off, s37
	v_add_u32_e32 v68, s2, v64
	v_ashrrev_i32_e32 v69, 31, v68
	v_lshl_add_u64 v[70:71], v[68:69], 4, v[112:113]
	scratch_load_dwordx4 v[64:67], off, s36
	v_add_u32_e32 v68, s2, v68
	s_waitcnt vmcnt(31)
	global_store_dwordx4 v[70:71], v[0:3], off
	scratch_load_dwordx4 v[0:3], off, s35
	v_ashrrev_i32_e32 v69, 31, v68
	v_lshl_add_u64 v[70:71], v[68:69], 4, v[112:113]
	v_add_u32_e32 v68, s2, v68
	s_waitcnt vmcnt(31)
	global_store_dwordx4 v[70:71], v[4:7], off
	scratch_load_dwordx4 v[4:7], off, s34
	v_ashrrev_i32_e32 v69, 31, v68
	v_lshl_add_u64 v[70:71], v[68:69], 4, v[112:113]
	s_waitcnt vmcnt(31)
	global_store_dwordx4 v[70:71], v[8:11], off
	scratch_load_dwordx4 v[8:11], off, s33
	v_add_u32_e32 v72, s2, v68
	v_ashrrev_i32_e32 v73, 31, v72
	scratch_load_dwordx4 v[68:71], off, s31
	v_lshl_add_u64 v[74:75], v[72:73], 4, v[112:113]
	v_add_u32_e32 v72, s2, v72
	s_waitcnt vmcnt(32)
	global_store_dwordx4 v[74:75], v[12:15], off
	v_ashrrev_i32_e32 v73, 31, v72
	scratch_load_dwordx4 v[12:15], off, s30
	v_lshl_add_u64 v[74:75], v[72:73], 4, v[112:113]
	v_add_u32_e32 v72, s2, v72
	s_waitcnt vmcnt(32)
	global_store_dwordx4 v[74:75], v[16:19], off
	scratch_load_dwordx4 v[16:19], off, s29
	v_ashrrev_i32_e32 v73, 31, v72
	v_lshl_add_u64 v[74:75], v[72:73], 4, v[112:113]
	s_waitcnt vmcnt(32)
	global_store_dwordx4 v[74:75], v[20:23], off
	scratch_load_dwordx4 v[20:23], off, s28
	v_add_u32_e32 v76, s2, v72
	v_ashrrev_i32_e32 v77, 31, v76
	scratch_load_dwordx4 v[72:75], off, s27
	v_lshl_add_u64 v[78:79], v[76:77], 4, v[112:113]
	v_add_u32_e32 v76, s2, v76
	s_waitcnt vmcnt(33)
	global_store_dwordx4 v[78:79], v[24:27], off
	v_ashrrev_i32_e32 v77, 31, v76
	scratch_load_dwordx4 v[24:27], off, s26
	v_lshl_add_u64 v[78:79], v[76:77], 4, v[112:113]
	v_add_u32_e32 v76, s2, v76
	s_waitcnt vmcnt(33)
	global_store_dwordx4 v[78:79], v[32:35], off
	scratch_load_dwordx4 v[32:35], off, s25
	v_ashrrev_i32_e32 v77, 31, v76
	v_lshl_add_u64 v[78:79], v[76:77], 4, v[112:113]
	s_waitcnt vmcnt(33)
	global_store_dwordx4 v[78:79], v[36:39], off
	scratch_load_dwordx4 v[36:39], off, s24
	v_add_u32_e32 v80, s2, v76
	v_ashrrev_i32_e32 v81, 31, v80
	scratch_load_dwordx4 v[76:79], off, s23
	v_lshl_add_u64 v[82:83], v[80:81], 4, v[112:113]
	v_add_u32_e32 v80, s2, v80
	s_waitcnt vmcnt(34)
	global_store_dwordx4 v[82:83], v[40:43], off
	v_ashrrev_i32_e32 v81, 31, v80
	scratch_load_dwordx4 v[40:43], off, s22
	v_lshl_add_u64 v[82:83], v[80:81], 4, v[112:113]
	s_waitcnt vmcnt(34)
	global_store_dwordx4 v[82:83], v[44:47], off
	v_add_u32_e32 v80, s2, v80
	scratch_load_dwordx4 v[44:47], off, s21
	v_ashrrev_i32_e32 v81, 31, v80
	v_lshl_add_u64 v[82:83], v[80:81], 4, v[112:113]
	s_waitcnt vmcnt(34)
	global_store_dwordx4 v[82:83], v[48:51], off
	scratch_load_dwordx4 v[48:51], off, s20
	v_add_u32_e32 v80, s2, v80
	v_ashrrev_i32_e32 v81, 31, v80
	v_lshl_add_u64 v[82:83], v[80:81], 4, v[112:113]
	s_waitcnt vmcnt(34)
	global_store_dwordx4 v[82:83], v[52:55], off
	s_nop 1
	v_add_u32_e32 v52, s2, v80
	v_ashrrev_i32_e32 v53, 31, v52
	v_lshl_add_u64 v[54:55], v[52:53], 4, v[112:113]
	v_add_u32_e32 v52, s2, v52
	v_ashrrev_i32_e32 v53, 31, v52
	s_waitcnt vmcnt(33)
	global_store_dwordx4 v[54:55], v[56:59], off
	v_lshl_add_u64 v[54:55], v[52:53], 4, v[112:113]
	s_waitcnt vmcnt(32)
	global_store_dwordx4 v[54:55], v[28:31], off
	s_nop 1
	v_add_u32_e32 v28, s2, v52
	v_ashrrev_i32_e32 v29, 31, v28
	v_lshl_add_u64 v[30:31], v[28:29], 4, v[112:113]
	v_add_u32_e32 v28, s2, v28
	v_ashrrev_i32_e32 v29, 31, v28
	s_waitcnt vmcnt(31)
	global_store_dwordx4 v[30:31], v[60:63], off
	v_lshl_add_u64 v[30:31], v[28:29], 4, v[112:113]
	v_add_u32_e32 v28, s2, v28
	v_ashrrev_i32_e32 v29, 31, v28
	s_waitcnt vmcnt(31)
	global_store_dwordx4 v[30:31], v[64:67], off
	v_lshl_add_u64 v[30:31], v[28:29], 4, v[112:113]
	s_waitcnt vmcnt(30)
	global_store_dwordx4 v[30:31], v[0:3], off
	s_nop 1
	v_add_u32_e32 v0, s2, v28
	v_ashrrev_i32_e32 v1, 31, v0
	v_lshl_add_u64 v[2:3], v[0:1], 4, v[112:113]
	v_add_u32_e32 v0, s2, v0
	v_ashrrev_i32_e32 v1, 31, v0
	s_waitcnt vmcnt(29)
	global_store_dwordx4 v[2:3], v[4:7], off
	v_lshl_add_u64 v[2:3], v[0:1], 4, v[112:113]
	v_add_u32_e32 v0, s2, v0
	v_ashrrev_i32_e32 v1, 31, v0
	s_waitcnt vmcnt(28)
	global_store_dwordx4 v[2:3], v[8:11], off
	;; [unrolled: 5-line block ×13, first 2 shown]
	v_lshl_add_u64 v[2:3], v[0:1], 4, v[112:113]
	v_add_u32_e32 v0, s2, v0
	v_ashrrev_i32_e32 v1, 31, v0
	v_lshl_add_u64 v[0:1], v[0:1], 4, v[112:113]
	s_waitcnt vmcnt(19)
	global_store_dwordx4 v[2:3], v[48:51], off
	global_store_dwordx4 v[0:1], v[108:111], off
.LBB122_1412:
	s_endpgm
	.section	.rodata,"a",@progbits
	.p2align	6, 0x0
	.amdhsa_kernel _ZN9rocsolver6v33100L18getf2_small_kernelILi62E19rocblas_complex_numIdEiiPS3_EEvT1_T3_lS5_lPS5_llPT2_S5_S5_S7_l
		.amdhsa_group_segment_fixed_size 0
		.amdhsa_private_segment_fixed_size 1008
		.amdhsa_kernarg_size 352
		.amdhsa_user_sgpr_count 2
		.amdhsa_user_sgpr_dispatch_ptr 0
		.amdhsa_user_sgpr_queue_ptr 0
		.amdhsa_user_sgpr_kernarg_segment_ptr 1
		.amdhsa_user_sgpr_dispatch_id 0
		.amdhsa_user_sgpr_kernarg_preload_length 0
		.amdhsa_user_sgpr_kernarg_preload_offset 0
		.amdhsa_user_sgpr_private_segment_size 0
		.amdhsa_uses_dynamic_stack 0
		.amdhsa_enable_private_segment 1
		.amdhsa_system_sgpr_workgroup_id_x 1
		.amdhsa_system_sgpr_workgroup_id_y 1
		.amdhsa_system_sgpr_workgroup_id_z 0
		.amdhsa_system_sgpr_workgroup_info 0
		.amdhsa_system_vgpr_workitem_id 1
		.amdhsa_next_free_vgpr 129
		.amdhsa_next_free_sgpr 100
		.amdhsa_accum_offset 132
		.amdhsa_reserve_vcc 1
		.amdhsa_float_round_mode_32 0
		.amdhsa_float_round_mode_16_64 0
		.amdhsa_float_denorm_mode_32 3
		.amdhsa_float_denorm_mode_16_64 3
		.amdhsa_dx10_clamp 1
		.amdhsa_ieee_mode 1
		.amdhsa_fp16_overflow 0
		.amdhsa_tg_split 0
		.amdhsa_exception_fp_ieee_invalid_op 0
		.amdhsa_exception_fp_denorm_src 0
		.amdhsa_exception_fp_ieee_div_zero 0
		.amdhsa_exception_fp_ieee_overflow 0
		.amdhsa_exception_fp_ieee_underflow 0
		.amdhsa_exception_fp_ieee_inexact 0
		.amdhsa_exception_int_div_zero 0
	.end_amdhsa_kernel
	.section	.text._ZN9rocsolver6v33100L18getf2_small_kernelILi62E19rocblas_complex_numIdEiiPS3_EEvT1_T3_lS5_lPS5_llPT2_S5_S5_S7_l,"axG",@progbits,_ZN9rocsolver6v33100L18getf2_small_kernelILi62E19rocblas_complex_numIdEiiPS3_EEvT1_T3_lS5_lPS5_llPT2_S5_S5_S7_l,comdat
.Lfunc_end122:
	.size	_ZN9rocsolver6v33100L18getf2_small_kernelILi62E19rocblas_complex_numIdEiiPS3_EEvT1_T3_lS5_lPS5_llPT2_S5_S5_S7_l, .Lfunc_end122-_ZN9rocsolver6v33100L18getf2_small_kernelILi62E19rocblas_complex_numIdEiiPS3_EEvT1_T3_lS5_lPS5_llPT2_S5_S5_S7_l
                                        ; -- End function
	.set _ZN9rocsolver6v33100L18getf2_small_kernelILi62E19rocblas_complex_numIdEiiPS3_EEvT1_T3_lS5_lPS5_llPT2_S5_S5_S7_l.num_vgpr, 129
	.set _ZN9rocsolver6v33100L18getf2_small_kernelILi62E19rocblas_complex_numIdEiiPS3_EEvT1_T3_lS5_lPS5_llPT2_S5_S5_S7_l.num_agpr, 0
	.set _ZN9rocsolver6v33100L18getf2_small_kernelILi62E19rocblas_complex_numIdEiiPS3_EEvT1_T3_lS5_lPS5_llPT2_S5_S5_S7_l.numbered_sgpr, 100
	.set _ZN9rocsolver6v33100L18getf2_small_kernelILi62E19rocblas_complex_numIdEiiPS3_EEvT1_T3_lS5_lPS5_llPT2_S5_S5_S7_l.num_named_barrier, 0
	.set _ZN9rocsolver6v33100L18getf2_small_kernelILi62E19rocblas_complex_numIdEiiPS3_EEvT1_T3_lS5_lPS5_llPT2_S5_S5_S7_l.private_seg_size, 1008
	.set _ZN9rocsolver6v33100L18getf2_small_kernelILi62E19rocblas_complex_numIdEiiPS3_EEvT1_T3_lS5_lPS5_llPT2_S5_S5_S7_l.uses_vcc, 1
	.set _ZN9rocsolver6v33100L18getf2_small_kernelILi62E19rocblas_complex_numIdEiiPS3_EEvT1_T3_lS5_lPS5_llPT2_S5_S5_S7_l.uses_flat_scratch, 0
	.set _ZN9rocsolver6v33100L18getf2_small_kernelILi62E19rocblas_complex_numIdEiiPS3_EEvT1_T3_lS5_lPS5_llPT2_S5_S5_S7_l.has_dyn_sized_stack, 0
	.set _ZN9rocsolver6v33100L18getf2_small_kernelILi62E19rocblas_complex_numIdEiiPS3_EEvT1_T3_lS5_lPS5_llPT2_S5_S5_S7_l.has_recursion, 0
	.set _ZN9rocsolver6v33100L18getf2_small_kernelILi62E19rocblas_complex_numIdEiiPS3_EEvT1_T3_lS5_lPS5_llPT2_S5_S5_S7_l.has_indirect_call, 0
	.section	.AMDGPU.csdata,"",@progbits
; Kernel info:
; codeLenInByte = 138256
; TotalNumSgprs: 106
; NumVgprs: 129
; NumAgprs: 0
; TotalNumVgprs: 129
; ScratchSize: 1008
; MemoryBound: 0
; FloatMode: 240
; IeeeMode: 1
; LDSByteSize: 0 bytes/workgroup (compile time only)
; SGPRBlocks: 13
; VGPRBlocks: 16
; NumSGPRsForWavesPerEU: 106
; NumVGPRsForWavesPerEU: 129
; AccumOffset: 132
; Occupancy: 3
; WaveLimiterHint : 1
; COMPUTE_PGM_RSRC2:SCRATCH_EN: 1
; COMPUTE_PGM_RSRC2:USER_SGPR: 2
; COMPUTE_PGM_RSRC2:TRAP_HANDLER: 0
; COMPUTE_PGM_RSRC2:TGID_X_EN: 1
; COMPUTE_PGM_RSRC2:TGID_Y_EN: 1
; COMPUTE_PGM_RSRC2:TGID_Z_EN: 0
; COMPUTE_PGM_RSRC2:TIDIG_COMP_CNT: 1
; COMPUTE_PGM_RSRC3_GFX90A:ACCUM_OFFSET: 32
; COMPUTE_PGM_RSRC3_GFX90A:TG_SPLIT: 0
	.section	.text._ZN9rocsolver6v33100L23getf2_npvt_small_kernelILi62E19rocblas_complex_numIdEiiPS3_EEvT1_T3_lS5_lPT2_S5_S5_,"axG",@progbits,_ZN9rocsolver6v33100L23getf2_npvt_small_kernelILi62E19rocblas_complex_numIdEiiPS3_EEvT1_T3_lS5_lPT2_S5_S5_,comdat
	.globl	_ZN9rocsolver6v33100L23getf2_npvt_small_kernelILi62E19rocblas_complex_numIdEiiPS3_EEvT1_T3_lS5_lPT2_S5_S5_ ; -- Begin function _ZN9rocsolver6v33100L23getf2_npvt_small_kernelILi62E19rocblas_complex_numIdEiiPS3_EEvT1_T3_lS5_lPT2_S5_S5_
	.p2align	8
	.type	_ZN9rocsolver6v33100L23getf2_npvt_small_kernelILi62E19rocblas_complex_numIdEiiPS3_EEvT1_T3_lS5_lPT2_S5_S5_,@function
_ZN9rocsolver6v33100L23getf2_npvt_small_kernelILi62E19rocblas_complex_numIdEiiPS3_EEvT1_T3_lS5_lPT2_S5_S5_: ; @_ZN9rocsolver6v33100L23getf2_npvt_small_kernelILi62E19rocblas_complex_numIdEiiPS3_EEvT1_T3_lS5_lPT2_S5_S5_
; %bb.0:
	s_load_dword s2, s[0:1], 0x44
	s_load_dwordx2 s[8:9], s[0:1], 0x30
	v_bfe_u32 v26, v0, 10, 10
	s_waitcnt lgkmcnt(0)
	s_lshr_b32 s10, s2, 16
	s_mul_i32 s3, s3, s10
	v_add_u32_e32 v252, s3, v26
	v_cmp_gt_i32_e32 vcc, s8, v252
	s_and_saveexec_b64 s[2:3], vcc
	s_cbranch_execz .LBB123_670
; %bb.1:
	s_load_dwordx4 s[12:15], s[0:1], 0x8
	s_load_dword s2, s[0:1], 0x18
	s_load_dwordx4 s[4:7], s[0:1], 0x20
	v_ashrrev_i32_e32 v253, 31, v252
	v_and_b32_e32 v248, 0x3ff, v0
	s_waitcnt lgkmcnt(0)
	v_mov_b32_e32 v2, s12
	v_mov_b32_e32 v3, s13
	v_mul_lo_u32 v4, s5, v252
	v_mul_lo_u32 v5, s4, v253
	v_mad_u64_u32 v[0:1], s[0:1], s4, v252, 0
	v_add3_u32 v1, v1, v5, v4
	v_lshl_add_u64 v[0:1], v[0:1], 4, v[2:3]
	v_lshl_add_u64 v[24:25], s[14:15], 4, v[0:1]
	v_lshlrev_b32_e32 v0, 4, v248
	v_mov_b32_e32 v1, 0
	s_add_i32 s0, s2, s2
	v_lshl_add_u64 v[8:9], v[24:25], 0, v[0:1]
	v_add_u32_e32 v0, s0, v248
	v_add_u32_e32 v16, s2, v0
	v_ashrrev_i32_e32 v17, 31, v16
	v_lshl_add_u64 v[4:5], v[16:17], 4, v[24:25]
	v_add_u32_e32 v16, s2, v16
	v_add_u32_e32 v28, s2, v16
	v_ashrrev_i32_e32 v29, 31, v28
	v_lshl_add_u64 v[20:21], v[28:29], 4, v[24:25]
	v_add_u32_e32 v28, s2, v28
	v_ashrrev_i32_e32 v29, 31, v28
	v_lshl_add_u64 v[30:31], v[28:29], 4, v[24:25]
	v_add_u32_e32 v28, s2, v28
	v_add_u32_e32 v36, s2, v28
	v_ashrrev_i32_e32 v1, 31, v0
	v_add_u32_e32 v38, s2, v36
	v_lshl_add_u64 v[2:3], v[0:1], 4, v[24:25]
	global_load_dwordx4 v[12:15], v[8:9], off
	v_add_u32_e32 v44, s2, v38
	s_ashr_i32 s3, s2, 31
	scratch_store_dwordx2 off, v[2:3], off offset:1000 ; 8-byte Folded Spill
	global_load_dwordx4 v[0:3], v[2:3], off
	v_ashrrev_i32_e32 v17, 31, v16
	v_add_u32_e32 v46, s2, v44
	scratch_store_dwordx2 off, v[4:5], off offset:1008 ; 8-byte Folded Spill
	global_load_dwordx4 v[4:7], v[4:5], off
	v_lshl_add_u64 v[10:11], s[2:3], 4, v[8:9]
	v_lshl_add_u64 v[18:19], v[16:17], 4, v[24:25]
	v_add_u32_e32 v52, s2, v46
	scratch_store_dwordx2 off, v[8:9], off offset:992 ; 8-byte Folded Spill
	scratch_store_dwordx2 off, v[10:11], off offset:1024 ; 8-byte Folded Spill
	;; [unrolled: 1-line block ×3, first 2 shown]
	global_load_dwordx4 v[16:19], v[18:19], off
	v_ashrrev_i32_e32 v53, 31, v52
	global_load_dwordx4 v[8:11], v[10:11], off
	v_lshl_add_u64 v[54:55], v[52:53], 4, v[24:25]
	v_add_u32_e32 v52, s2, v52
	scratch_store_dwordx2 off, v[20:21], off offset:1032 ; 8-byte Folded Spill
	global_load_dwordx4 v[20:23], v[20:21], off
	v_ashrrev_i32_e32 v29, 31, v28
	v_add_u32_e32 v60, s2, v52
	v_lshl_add_u64 v[32:33], v[28:29], 4, v[24:25]
	v_ashrrev_i32_e32 v37, 31, v36
	scratch_store_dwordx2 off, v[30:31], off offset:1040 ; 8-byte Folded Spill
	global_load_dwordx4 v[28:31], v[30:31], off
	v_add_u32_e32 v62, s2, v60
	scratch_store_dwordx2 off, v[32:33], off offset:1048 ; 8-byte Folded Spill
	global_load_dwordx4 v[32:35], v[32:33], off
	v_lshl_add_u64 v[36:37], v[36:37], 4, v[24:25]
	v_ashrrev_i32_e32 v39, 31, v38
	v_add_u32_e32 v68, s2, v62
	v_lshl_add_u64 v[40:41], v[38:39], 4, v[24:25]
	v_ashrrev_i32_e32 v45, 31, v44
	scratch_store_dwordx2 off, v[36:37], off offset:1056 ; 8-byte Folded Spill
	global_load_dwordx4 v[36:39], v[36:37], off
	v_ashrrev_i32_e32 v69, 31, v68
	scratch_store_dwordx2 off, v[40:41], off offset:1064 ; 8-byte Folded Spill
	global_load_dwordx4 v[40:43], v[40:41], off
	v_lshl_add_u64 v[44:45], v[44:45], 4, v[24:25]
	v_ashrrev_i32_e32 v47, 31, v46
	v_lshl_add_u64 v[70:71], v[68:69], 4, v[24:25]
	v_add_u32_e32 v68, s2, v68
	v_lshl_add_u64 v[48:49], v[46:47], 4, v[24:25]
	scratch_store_dwordx2 off, v[44:45], off offset:1072 ; 8-byte Folded Spill
	global_load_dwordx4 v[44:47], v[44:45], off
	v_add_u32_e32 v76, s2, v68
	scratch_store_dwordx2 off, v[48:49], off offset:1080 ; 8-byte Folded Spill
	global_load_dwordx4 v[48:51], v[48:49], off
	v_ashrrev_i32_e32 v53, 31, v52
	v_add_u32_e32 v84, s2, v76
	v_lshl_add_u64 v[56:57], v[52:53], 4, v[24:25]
	v_ashrrev_i32_e32 v61, 31, v60
	scratch_store_dwordx2 off, v[54:55], off offset:1088 ; 8-byte Folded Spill
	global_load_dwordx4 v[52:55], v[54:55], off
	v_ashrrev_i32_e32 v85, 31, v84
	scratch_store_dwordx2 off, v[56:57], off offset:1096 ; 8-byte Folded Spill
	global_load_dwordx4 v[56:59], v[56:57], off
	v_lshl_add_u64 v[60:61], v[60:61], 4, v[24:25]
	v_ashrrev_i32_e32 v63, 31, v62
	v_lshl_add_u64 v[80:81], v[84:85], 4, v[24:25]
	v_add_u32_e32 v84, s2, v84
	v_lshl_add_u64 v[64:65], v[62:63], 4, v[24:25]
	scratch_store_dwordx2 off, v[60:61], off offset:1104 ; 8-byte Folded Spill
	global_load_dwordx4 v[60:63], v[60:61], off
	v_add_u32_e32 v92, s2, v84
	scratch_store_dwordx2 off, v[64:65], off offset:1112 ; 8-byte Folded Spill
	global_load_dwordx4 v[64:67], v[64:65], off
	v_ashrrev_i32_e32 v69, 31, v68
	v_ashrrev_i32_e32 v93, 31, v92
	v_lshl_add_u64 v[72:73], v[68:69], 4, v[24:25]
	scratch_store_dwordx2 off, v[70:71], off offset:1120 ; 8-byte Folded Spill
	global_load_dwordx4 v[68:71], v[70:71], off
	v_ashrrev_i32_e32 v77, 31, v76
	v_lshl_add_u64 v[88:89], v[92:93], 4, v[24:25]
	v_add_u32_e32 v92, s2, v92
	scratch_store_dwordx2 off, v[72:73], off offset:1128 ; 8-byte Folded Spill
	global_load_dwordx4 v[72:75], v[72:73], off
	v_lshl_add_u64 v[78:79], v[76:77], 4, v[24:25]
	v_add_u32_e32 v100, s2, v92
	scratch_store_dwordx2 off, v[78:79], off offset:1136 ; 8-byte Folded Spill
	global_load_dwordx4 v[76:79], v[78:79], off
	v_ashrrev_i32_e32 v85, 31, v84
	v_ashrrev_i32_e32 v101, 31, v100
	scratch_store_dwordx2 off, v[80:81], off offset:1144 ; 8-byte Folded Spill
	global_load_dwordx4 v[80:83], v[80:81], off
	v_lshl_add_u64 v[86:87], v[84:85], 4, v[24:25]
	v_lshl_add_u64 v[96:97], v[100:101], 4, v[24:25]
	v_add_u32_e32 v100, s2, v100
	scratch_store_dwordx2 off, v[86:87], off offset:1152 ; 8-byte Folded Spill
	global_load_dwordx4 v[84:87], v[86:87], off
	v_ashrrev_i32_e32 v93, 31, v92
	v_add_u32_e32 v108, s2, v100
	scratch_store_dwordx2 off, v[88:89], off offset:1160 ; 8-byte Folded Spill
	global_load_dwordx4 v[88:91], v[88:89], off
	v_lshl_add_u64 v[94:95], v[92:93], 4, v[24:25]
	v_ashrrev_i32_e32 v109, 31, v108
	scratch_store_dwordx2 off, v[94:95], off offset:1168 ; 8-byte Folded Spill
	global_load_dwordx4 v[92:95], v[94:95], off
	v_ashrrev_i32_e32 v101, 31, v100
	v_lshl_add_u64 v[104:105], v[108:109], 4, v[24:25]
	v_add_u32_e32 v108, s2, v108
	scratch_store_dwordx2 off, v[96:97], off offset:1176 ; 8-byte Folded Spill
	global_load_dwordx4 v[96:99], v[96:97], off
	v_lshl_add_u64 v[102:103], v[100:101], 4, v[24:25]
	v_add_u32_e32 v116, s2, v108
	scratch_store_dwordx2 off, v[102:103], off offset:1184 ; 8-byte Folded Spill
	global_load_dwordx4 v[100:103], v[102:103], off
	v_ashrrev_i32_e32 v109, 31, v108
	v_ashrrev_i32_e32 v117, 31, v116
	scratch_store_dwordx2 off, v[104:105], off offset:1192 ; 8-byte Folded Spill
	global_load_dwordx4 v[104:107], v[104:105], off
	v_lshl_add_u64 v[110:111], v[108:109], 4, v[24:25]
	v_lshl_add_u64 v[112:113], v[116:117], 4, v[24:25]
	v_add_u32_e32 v116, s2, v116
	scratch_store_dwordx2 off, v[110:111], off offset:1200 ; 8-byte Folded Spill
	global_load_dwordx4 v[108:111], v[110:111], off
	v_ashrrev_i32_e32 v117, 31, v116
	v_add_u32_e32 v124, s2, v116
	scratch_store_dwordx2 off, v[112:113], off offset:1208 ; 8-byte Folded Spill
	global_load_dwordx4 v[112:115], v[112:113], off
	v_lshl_add_u64 v[118:119], v[116:117], 4, v[24:25]
	v_ashrrev_i32_e32 v125, 31, v124
	v_lshl_add_u64 v[120:121], v[124:125], 4, v[24:25]
	scratch_store_dwordx2 off, v[118:119], off offset:1216 ; 8-byte Folded Spill
	global_load_dwordx4 v[116:119], v[118:119], off
	v_add_u32_e32 v128, s2, v124
	scratch_store_dwordx2 off, v[120:121], off offset:1224 ; 8-byte Folded Spill
	global_load_dwordx4 v[120:123], v[120:121], off
	v_ashrrev_i32_e32 v129, 31, v128
	v_lshl_add_u64 v[124:125], v[128:129], 4, v[24:25]
	scratch_store_dwordx2 off, v[124:125], off offset:1232 ; 8-byte Folded Spill
	global_load_dwordx4 v[124:127], v[124:125], off
	s_waitcnt vmcnt(61)
	scratch_store_dwordx4 off, v[12:15], off
	s_waitcnt vmcnt(60)
	scratch_store_dwordx4 off, v[0:3], off offset:32
	s_waitcnt vmcnt(59)
	scratch_store_dwordx4 off, v[4:7], off offset:48
	;; [unrolled: 2-line block ×3, first 2 shown]
	scratch_store_dwordx4 off, v[16:19], off offset:64
	s_waitcnt vmcnt(55)
	scratch_store_dwordx4 off, v[20:23], off offset:80
	s_waitcnt vmcnt(54)
	;; [unrolled: 2-line block ×25, first 2 shown]
	scratch_store_dwordx4 off, v[120:123], off offset:464
	v_add_u32_e32 v4, s2, v128
	v_ashrrev_i32_e32 v5, 31, v4
	v_lshl_add_u64 v[0:1], v[4:5], 4, v[24:25]
	v_add_u32_e32 v4, s2, v4
	v_add_u32_e32 v12, s2, v4
	v_ashrrev_i32_e32 v13, 31, v12
	v_lshl_add_u64 v[8:9], v[12:13], 4, v[24:25]
	v_add_u32_e32 v12, s2, v12
	;; [unrolled: 4-line block ×6, first 2 shown]
	v_ashrrev_i32_e32 v5, 31, v4
	v_add_u32_e32 v56, s2, v48
	scratch_store_dwordx2 off, v[0:1], off offset:1240 ; 8-byte Folded Spill
	global_load_dwordx4 v[0:3], v[0:1], off
	v_lshl_add_u64 v[6:7], v[4:5], 4, v[24:25]
	v_ashrrev_i32_e32 v57, 31, v56
	scratch_store_dwordx2 off, v[6:7], off offset:1248 ; 8-byte Folded Spill
	global_load_dwordx4 v[4:7], v[6:7], off
	v_ashrrev_i32_e32 v13, 31, v12
	v_lshl_add_u64 v[52:53], v[56:57], 4, v[24:25]
	v_add_u32_e32 v56, s2, v56
	scratch_store_dwordx2 off, v[8:9], off offset:1256 ; 8-byte Folded Spill
	global_load_dwordx4 v[8:11], v[8:9], off
	v_lshl_add_u64 v[14:15], v[12:13], 4, v[24:25]
	v_add_u32_e32 v64, s2, v56
	scratch_store_dwordx2 off, v[14:15], off offset:1264 ; 8-byte Folded Spill
	global_load_dwordx4 v[12:15], v[14:15], off
	v_ashrrev_i32_e32 v21, 31, v20
	v_ashrrev_i32_e32 v65, 31, v64
	scratch_store_dwordx2 off, v[16:17], off offset:1272 ; 8-byte Folded Spill
	global_load_dwordx4 v[16:19], v[16:17], off
	v_lshl_add_u64 v[22:23], v[20:21], 4, v[24:25]
	v_lshl_add_u64 v[60:61], v[64:65], 4, v[24:25]
	v_add_u32_e32 v64, s2, v64
	scratch_store_dwordx2 off, v[22:23], off offset:1280 ; 8-byte Folded Spill
	global_load_dwordx4 v[20:23], v[22:23], off
	v_ashrrev_i32_e32 v33, 31, v32
	v_add_u32_e32 v72, s2, v64
	scratch_store_dwordx2 off, v[28:29], off offset:1288 ; 8-byte Folded Spill
	global_load_dwordx4 v[28:31], v[28:29], off
	v_lshl_add_u64 v[34:35], v[32:33], 4, v[24:25]
	v_ashrrev_i32_e32 v73, 31, v72
	scratch_store_dwordx2 off, v[34:35], off offset:1296 ; 8-byte Folded Spill
	global_load_dwordx4 v[32:35], v[34:35], off
	v_ashrrev_i32_e32 v41, 31, v40
	v_lshl_add_u64 v[68:69], v[72:73], 4, v[24:25]
	v_add_u32_e32 v72, s2, v72
	scratch_store_dwordx2 off, v[36:37], off offset:1304 ; 8-byte Folded Spill
	global_load_dwordx4 v[36:39], v[36:37], off
	v_lshl_add_u64 v[42:43], v[40:41], 4, v[24:25]
	v_add_u32_e32 v80, s2, v72
	scratch_store_dwordx2 off, v[42:43], off offset:1312 ; 8-byte Folded Spill
	global_load_dwordx4 v[40:43], v[42:43], off
	v_ashrrev_i32_e32 v49, 31, v48
	v_ashrrev_i32_e32 v81, 31, v80
	scratch_store_dwordx2 off, v[44:45], off offset:1320 ; 8-byte Folded Spill
	global_load_dwordx4 v[44:47], v[44:45], off
	v_lshl_add_u64 v[50:51], v[48:49], 4, v[24:25]
	v_lshl_add_u64 v[76:77], v[80:81], 4, v[24:25]
	v_add_u32_e32 v80, s2, v80
	scratch_store_dwordx2 off, v[50:51], off offset:1328 ; 8-byte Folded Spill
	global_load_dwordx4 v[48:51], v[50:51], off
	;; [unrolled: 26-line block ×4, first 2 shown]
	v_ashrrev_i32_e32 v105, 31, v104
	v_add_u32_e32 v120, s2, v112
	scratch_store_dwordx2 off, v[100:101], off offset:1432 ; 8-byte Folded Spill
	global_load_dwordx4 v[100:103], v[100:101], off
	v_lshl_add_u64 v[106:107], v[104:105], 4, v[24:25]
	v_ashrrev_i32_e32 v121, 31, v120
	scratch_store_dwordx2 off, v[106:107], off offset:1440 ; 8-byte Folded Spill
	global_load_dwordx4 v[104:107], v[106:107], off
	v_ashrrev_i32_e32 v113, 31, v112
	v_lshl_add_u64 v[116:117], v[120:121], 4, v[24:25]
	v_add_u32_e32 v120, s2, v120
	scratch_store_dwordx2 off, v[108:109], off offset:1448 ; 8-byte Folded Spill
	global_load_dwordx4 v[108:111], v[108:109], off
	v_lshl_add_u64 v[114:115], v[112:113], 4, v[24:25]
	v_ashrrev_i32_e32 v121, 31, v120
	scratch_store_dwordx2 off, v[114:115], off offset:1456 ; 8-byte Folded Spill
	global_load_dwordx4 v[112:115], v[114:115], off
	v_lshl_add_u64 v[122:123], v[120:121], 4, v[24:25]
	v_add_u32_e32 v120, s2, v120
	scratch_store_dwordx2 off, v[116:117], off offset:1464 ; 8-byte Folded Spill
	global_load_dwordx4 v[116:119], v[116:117], off
	v_ashrrev_i32_e32 v121, 31, v120
	v_lshl_add_u64 v[24:25], v[120:121], 4, v[24:25]
	scratch_store_dwordx2 off, v[122:123], off offset:1472 ; 8-byte Folded Spill
	global_load_dwordx4 v[120:123], v[122:123], off
	s_mulk_i32 s10, 0x3e0
	s_waitcnt vmcnt(62)
	scratch_store_dwordx4 off, v[124:127], off offset:480
	global_load_dwordx4 v[124:127], v[24:25], off
	s_add_i32 s0, s10, 0
	scratch_store_dwordx2 off, v[24:25], off offset:1480 ; 8-byte Folded Spill
	s_waitcnt vmcnt(61)
	scratch_store_dwordx4 off, v[0:3], off offset:496
	s_waitcnt vmcnt(60)
	scratch_store_dwordx4 off, v[4:7], off offset:512
	;; [unrolled: 2-line block ×31, first 2 shown]
	v_mul_u32_u24_e32 v20, 0x3e0, v26
	s_movk_i32 s8, 0x50
	s_movk_i32 s12, 0x60
	s_movk_i32 s13, 0x70
	s_movk_i32 s14, 0x80
	s_movk_i32 s15, 0x90
	s_movk_i32 s16, 0xa0
	s_movk_i32 s17, 0xb0
	s_movk_i32 s18, 0xc0
	s_movk_i32 s19, 0xd0
	s_movk_i32 s20, 0xe0
	s_movk_i32 s21, 0xf0
	s_movk_i32 s22, 0x100
	s_movk_i32 s23, 0x110
	s_movk_i32 s24, 0x120
	s_movk_i32 s25, 0x130
	s_movk_i32 s26, 0x140
	s_movk_i32 s27, 0x150
	s_movk_i32 s28, 0x160
	s_movk_i32 s29, 0x170
	s_movk_i32 s30, 0x180
	s_movk_i32 s31, 0x190
	s_movk_i32 s33, 0x1a0
	s_movk_i32 s34, 0x1b0
	s_movk_i32 s35, 0x1c0
	s_movk_i32 s36, 0x1d0
	s_movk_i32 s37, 0x1e0
	s_movk_i32 s38, 0x1f0
	s_movk_i32 s39, 0x200
	s_movk_i32 s42, 0x210
	s_movk_i32 s73, 0x220
	s_movk_i32 s74, 0x230
	s_movk_i32 s75, 0x240
	s_movk_i32 s76, 0x250
	s_movk_i32 s77, 0x260
	s_movk_i32 s78, 0x270
	s_movk_i32 s79, 0x280
	s_movk_i32 s80, 0x290
	s_movk_i32 s81, 0x2a0
	s_movk_i32 s82, 0x2b0
	s_movk_i32 s83, 0x2c0
	s_movk_i32 s84, 0x2d0
	s_movk_i32 s85, 0x2e0
	s_movk_i32 s86, 0x2f0
	s_movk_i32 s87, 0x300
	s_movk_i32 s88, 0x310
	s_movk_i32 s89, 0x320
	s_movk_i32 s90, 0x330
	s_movk_i32 s91, 0x340
	s_movk_i32 s92, 0x350
	s_movk_i32 s93, 0x360
	s_movk_i32 s94, 0x370
	s_movk_i32 s95, 0x380
	s_movk_i32 s96, 0x390
	s_movk_i32 s97, 0x3a0
	s_movk_i32 s48, 0x3b0
	s_movk_i32 s49, 0x3c0
	s_movk_i32 s50, 0x3d0
	v_lshl_add_u32 v249, v26, 4, s0
	v_cmp_ne_u32_e64 s[2:3], 0, v248
	v_cmp_eq_u32_e64 s[0:1], 0, v248
	v_add3_u32 v8, v20, 0, 16
	s_and_saveexec_b64 s[10:11], s[0:1]
	s_cbranch_execz .LBB123_12
; %bb.2:
	scratch_load_dwordx2 v[0:1], off, off offset:992 ; 8-byte Folded Reload
	s_movk_i32 s40, 0xfc80
	s_waitcnt vmcnt(0)
	global_load_dwordx4 v[0:3], v[0:1], off
	s_waitcnt vmcnt(0)
	ds_write2_b64 v249, v[0:1], v[2:3] offset1:1
	s_branch .LBB123_4
.LBB123_3:
                                        ; implicit-def: $sgpr40
	s_branch .LBB123_6
.LBB123_4:                              ; =>This Inner Loop Header: Depth=1
	s_add_i32 s5, s40, 0x390
	s_add_i32 s41, s40, 0x3a0
	scratch_load_dwordx4 v[2:5], off, s5
	scratch_load_dwordx4 v[10:13], off, s41
	s_add_i32 s5, s40, 0x3b0
	s_add_i32 s41, s40, 0x3c0
	scratch_load_dwordx4 v[14:17], off, s5
	scratch_load_dwordx4 v[22:25], off, s41
	s_add_i32 s5, s40, 0x3d0
	scratch_load_dwordx4 v[26:29], off, s5
	s_mov_b32 s4, s40
	v_add_u32_e32 v0, s40, v8
	s_cmp_eq_u32 s40, 0
	s_waitcnt vmcnt(4)
	ds_write2_b64 v0, v[2:3], v[4:5] offset0:112 offset1:113
	s_waitcnt vmcnt(3)
	ds_write2_b64 v0, v[10:11], v[12:13] offset0:114 offset1:115
	;; [unrolled: 2-line block ×5, first 2 shown]
	s_cbranch_scc1 .LBB123_3
; %bb.5:                                ;   in Loop: Header=BB123_4 Depth=1
	s_add_i32 s5, s4, 0x3e0
	s_add_i32 s41, s4, 0x3f0
	scratch_load_dwordx4 v[2:5], off, s5
	scratch_load_dwordx4 v[10:13], off, s41
	s_addk_i32 s4, 0x400
	scratch_load_dwordx4 v[14:17], off, s4
	s_addk_i32 s40, 0x80
	s_waitcnt vmcnt(2)
	ds_write2_b64 v0, v[2:3], v[4:5] offset0:122 offset1:123
	s_waitcnt vmcnt(1)
	ds_write2_b64 v0, v[10:11], v[12:13] offset0:124 offset1:125
	;; [unrolled: 2-line block ×3, first 2 shown]
	s_cbranch_execnz .LBB123_4
.LBB123_6:
	ds_read2_b64 v[0:3], v249 offset1:1
	s_waitcnt lgkmcnt(0)
	v_cmp_neq_f64_e32 vcc, 0, v[0:1]
	v_cmp_neq_f64_e64 s[4:5], 0, v[2:3]
	s_or_b64 s[4:5], vcc, s[4:5]
	s_and_b64 exec, exec, s[4:5]
	s_cbranch_execz .LBB123_12
; %bb.7:
	v_cmp_ngt_f64_e64 s[4:5], |v[0:1]|, |v[2:3]|
                                        ; implicit-def: $vgpr4_vgpr5
	s_and_saveexec_b64 s[40:41], s[4:5]
	s_xor_b64 s[4:5], exec, s[40:41]
                                        ; implicit-def: $vgpr6_vgpr7
	s_cbranch_execz .LBB123_9
; %bb.8:
	v_div_scale_f64 v[4:5], s[40:41], v[2:3], v[2:3], v[0:1]
	v_rcp_f64_e32 v[6:7], v[4:5]
	v_div_scale_f64 v[10:11], vcc, v[0:1], v[2:3], v[0:1]
	v_fma_f64 v[12:13], -v[4:5], v[6:7], 1.0
	v_fmac_f64_e32 v[6:7], v[6:7], v[12:13]
	v_fma_f64 v[12:13], -v[4:5], v[6:7], 1.0
	v_fmac_f64_e32 v[6:7], v[6:7], v[12:13]
	v_mul_f64 v[12:13], v[10:11], v[6:7]
	v_fma_f64 v[4:5], -v[4:5], v[12:13], v[10:11]
	v_div_fmas_f64 v[4:5], v[4:5], v[6:7], v[12:13]
	v_div_fixup_f64 v[4:5], v[4:5], v[2:3], v[0:1]
	v_fmac_f64_e32 v[2:3], v[0:1], v[4:5]
	v_div_scale_f64 v[0:1], s[40:41], v[2:3], v[2:3], 1.0
	v_rcp_f64_e32 v[6:7], v[0:1]
	s_nop 0
	v_fma_f64 v[10:11], -v[0:1], v[6:7], 1.0
	v_fmac_f64_e32 v[6:7], v[6:7], v[10:11]
	v_fma_f64 v[10:11], -v[0:1], v[6:7], 1.0
	v_fmac_f64_e32 v[6:7], v[6:7], v[10:11]
	v_div_scale_f64 v[10:11], vcc, 1.0, v[2:3], 1.0
	v_mul_f64 v[12:13], v[10:11], v[6:7]
	v_fma_f64 v[0:1], -v[0:1], v[12:13], v[10:11]
	s_nop 1
	v_div_fmas_f64 v[0:1], v[0:1], v[6:7], v[12:13]
	v_div_fixup_f64 v[6:7], v[0:1], v[2:3], 1.0
	v_mul_f64 v[4:5], v[4:5], v[6:7]
	v_xor_b32_e32 v7, 0x80000000, v7
                                        ; implicit-def: $vgpr0_vgpr1
.LBB123_9:
	s_andn2_saveexec_b64 s[4:5], s[4:5]
	s_cbranch_execz .LBB123_11
; %bb.10:
	v_div_scale_f64 v[4:5], s[40:41], v[0:1], v[0:1], v[2:3]
	v_rcp_f64_e32 v[6:7], v[4:5]
	v_div_scale_f64 v[10:11], vcc, v[2:3], v[0:1], v[2:3]
	v_fma_f64 v[12:13], -v[4:5], v[6:7], 1.0
	v_fmac_f64_e32 v[6:7], v[6:7], v[12:13]
	v_fma_f64 v[12:13], -v[4:5], v[6:7], 1.0
	v_fmac_f64_e32 v[6:7], v[6:7], v[12:13]
	v_mul_f64 v[12:13], v[10:11], v[6:7]
	v_fma_f64 v[4:5], -v[4:5], v[12:13], v[10:11]
	v_div_fmas_f64 v[4:5], v[4:5], v[6:7], v[12:13]
	v_div_fixup_f64 v[6:7], v[4:5], v[0:1], v[2:3]
	v_fmac_f64_e32 v[0:1], v[2:3], v[6:7]
	v_div_scale_f64 v[2:3], s[40:41], v[0:1], v[0:1], 1.0
	v_rcp_f64_e32 v[4:5], v[2:3]
	s_nop 0
	v_fma_f64 v[10:11], -v[2:3], v[4:5], 1.0
	v_fmac_f64_e32 v[4:5], v[4:5], v[10:11]
	v_fma_f64 v[10:11], -v[2:3], v[4:5], 1.0
	v_fmac_f64_e32 v[4:5], v[4:5], v[10:11]
	v_div_scale_f64 v[10:11], vcc, 1.0, v[0:1], 1.0
	v_mul_f64 v[12:13], v[10:11], v[4:5]
	v_fma_f64 v[2:3], -v[2:3], v[12:13], v[10:11]
	s_nop 1
	v_div_fmas_f64 v[2:3], v[2:3], v[4:5], v[12:13]
	v_div_fixup_f64 v[4:5], v[2:3], v[0:1], 1.0
	v_mul_f64 v[6:7], v[6:7], -v[4:5]
.LBB123_11:
	s_or_b64 exec, exec, s[4:5]
	ds_write2_b64 v249, v[4:5], v[6:7] offset1:1
.LBB123_12:
	s_or_b64 exec, exec, s[10:11]
	s_waitcnt lgkmcnt(0)
	s_barrier
	ds_read2_b64 v[14:17], v249 offset1:1
	s_mov_b32 s72, 16
	s_mov_b32 s71, 32
	;; [unrolled: 1-line block ×22, first 2 shown]
	s_mov_b32 vcc_lo, s29
	s_mov_b32 s11, s30
	s_mov_b32 s10, s31
	s_mov_b32 s47, s33
	s_mov_b32 s46, s34
	s_mov_b32 s45, s35
	s_mov_b32 s44, s36
	s_mov_b32 s43, s37
	s_mov_b32 s40, s38
	s_mov_b32 s41, s39
	s_mov_b32 s38, s42
	s_mov_b32 s39, s73
	s_mov_b32 s36, s74
	s_mov_b32 s37, s75
	s_mov_b32 s34, s76
	s_mov_b32 s35, s77
	s_mov_b32 s31, s78
	s_mov_b32 s33, s79
	s_mov_b32 s29, s80
	s_mov_b32 s30, s81
	s_mov_b32 s27, s82
	s_mov_b32 s28, s83
	s_mov_b32 s25, s84
	s_mov_b32 s26, s85
	s_mov_b32 s23, s86
	s_mov_b32 s24, s87
	s_mov_b32 s21, s88
	s_mov_b32 s22, s89
	s_mov_b32 s19, s90
	s_mov_b32 s20, s91
	s_mov_b32 s17, s92
	s_mov_b32 s18, s93
	s_mov_b32 s15, s94
	s_mov_b32 s16, s95
	s_mov_b32 s13, s96
	s_mov_b32 s14, s97
	s_mov_b32 s8, s48
	s_mov_b32 s12, s49
	s_mov_b32 s42, s50
	s_and_saveexec_b64 s[4:5], s[2:3]
	s_mov_b32 s85, s10
	s_mov_b32 s86, s11
	s_mov_b32 s87, vcc_lo
	s_cbranch_execz .LBB123_17
; %bb.13:
	scratch_load_dwordx4 v[10:13], off, off
	s_movk_i32 s10, 0xfc80
	s_waitcnt vmcnt(0) lgkmcnt(0)
	v_mul_f64 v[0:1], v[16:17], v[12:13]
	v_mul_f64 v[6:7], v[14:15], v[12:13]
	v_fma_f64 v[4:5], v[14:15], v[10:11], -v[0:1]
	v_fmac_f64_e32 v[6:7], v[16:17], v[10:11]
	scratch_store_dwordx4 off, v[4:7], off
	s_branch .LBB123_15
.LBB123_14:                             ;   in Loop: Header=BB123_15 Depth=1
	ds_read2_b64 v[10:13], v9 offset0:122 offset1:123
	s_add_i32 s3, s2, 0x3e0
	s_addk_i32 s10, 0x80
	s_waitcnt lgkmcnt(0)
	v_mul_f64 v[0:1], v[12:13], v[6:7]
	v_mul_f64 v[2:3], v[10:11], v[6:7]
	v_fma_f64 v[0:1], v[10:11], v[4:5], -v[0:1]
	v_fmac_f64_e32 v[2:3], v[12:13], v[4:5]
	scratch_load_dwordx4 v[10:13], off, s3
	s_waitcnt vmcnt(0)
	v_add_f64 v[10:11], v[10:11], -v[0:1]
	v_add_f64 v[12:13], v[12:13], -v[2:3]
	scratch_store_dwordx4 off, v[10:13], s3
	ds_read2_b64 v[10:13], v9 offset0:124 offset1:125
	s_add_i32 s3, s2, 0x3f0
	s_addk_i32 s2, 0x400
	s_waitcnt lgkmcnt(0)
	v_mul_f64 v[0:1], v[12:13], v[6:7]
	v_mul_f64 v[2:3], v[10:11], v[6:7]
	v_fma_f64 v[0:1], v[10:11], v[4:5], -v[0:1]
	v_fmac_f64_e32 v[2:3], v[12:13], v[4:5]
	scratch_load_dwordx4 v[10:13], off, s3
	s_waitcnt vmcnt(0)
	v_add_f64 v[10:11], v[10:11], -v[0:1]
	v_add_f64 v[12:13], v[12:13], -v[2:3]
	scratch_store_dwordx4 off, v[10:13], s3
	ds_read2_b64 v[10:13], v9 offset0:126 offset1:127
	s_waitcnt lgkmcnt(0)
	v_mul_f64 v[0:1], v[12:13], v[6:7]
	v_mul_f64 v[2:3], v[10:11], v[6:7]
	v_fma_f64 v[0:1], v[10:11], v[4:5], -v[0:1]
	v_fmac_f64_e32 v[2:3], v[12:13], v[4:5]
	scratch_load_dwordx4 v[10:13], off, s2
	s_waitcnt vmcnt(0)
	v_add_f64 v[10:11], v[10:11], -v[0:1]
	v_add_f64 v[12:13], v[12:13], -v[2:3]
	scratch_store_dwordx4 off, v[10:13], s2
	s_cbranch_execz .LBB123_17
.LBB123_15:                             ; =>This Inner Loop Header: Depth=1
	v_add_u32_e32 v9, s10, v8
	ds_read2_b64 v[10:13], v9 offset0:112 offset1:113
	s_add_i32 s3, s10, 0x390
	s_mov_b32 s2, s10
	s_waitcnt lgkmcnt(0)
	v_mul_f64 v[0:1], v[12:13], v[6:7]
	v_mul_f64 v[2:3], v[10:11], v[6:7]
	v_fma_f64 v[0:1], v[10:11], v[4:5], -v[0:1]
	v_fmac_f64_e32 v[2:3], v[12:13], v[4:5]
	scratch_load_dwordx4 v[10:13], off, s3
	s_waitcnt vmcnt(0)
	v_add_f64 v[10:11], v[10:11], -v[0:1]
	v_add_f64 v[12:13], v[12:13], -v[2:3]
	scratch_store_dwordx4 off, v[10:13], s3
	ds_read2_b64 v[10:13], v9 offset0:114 offset1:115
	s_add_i32 s3, s10, 0x3a0
	s_waitcnt lgkmcnt(0)
	v_mul_f64 v[0:1], v[12:13], v[6:7]
	v_mul_f64 v[2:3], v[10:11], v[6:7]
	v_fma_f64 v[0:1], v[10:11], v[4:5], -v[0:1]
	v_fmac_f64_e32 v[2:3], v[12:13], v[4:5]
	scratch_load_dwordx4 v[10:13], off, s3
	s_waitcnt vmcnt(0)
	v_add_f64 v[10:11], v[10:11], -v[0:1]
	v_add_f64 v[12:13], v[12:13], -v[2:3]
	scratch_store_dwordx4 off, v[10:13], s3
	ds_read2_b64 v[10:13], v9 offset0:116 offset1:117
	s_add_i32 s3, s10, 0x3b0
	;; [unrolled: 12-line block ×4, first 2 shown]
	s_cmp_eq_u32 s10, 0
	s_waitcnt lgkmcnt(0)
	v_mul_f64 v[0:1], v[12:13], v[6:7]
	v_mul_f64 v[2:3], v[10:11], v[6:7]
	v_fma_f64 v[0:1], v[10:11], v[4:5], -v[0:1]
	v_fmac_f64_e32 v[2:3], v[12:13], v[4:5]
	scratch_load_dwordx4 v[10:13], off, s3
	s_waitcnt vmcnt(0)
	v_add_f64 v[10:11], v[10:11], -v[0:1]
	v_add_f64 v[12:13], v[12:13], -v[2:3]
	scratch_store_dwordx4 off, v[10:13], s3
	s_cbranch_scc0 .LBB123_14
; %bb.16:
                                        ; implicit-def: $sgpr10
.LBB123_17:
	s_or_b64 exec, exec, s[4:5]
	v_cmp_eq_u32_e32 vcc, 1, v248
	v_add3_u32 v12, v20, 0, 32
	s_waitcnt lgkmcnt(0)
	s_barrier
	s_and_saveexec_b64 s[4:5], vcc
	s_cbranch_execz .LBB123_26
; %bb.18:
	scratch_load_dwordx4 v[4:7], off, s72
	s_movk_i32 s2, 0xfc40
	s_waitcnt vmcnt(0)
	ds_write2_b64 v249, v[4:5], v[6:7] offset1:1
.LBB123_19:                             ; =>This Inner Loop Header: Depth=1
	s_add_i32 s10, s2, 0x3e0
	scratch_load_dwordx4 v[4:7], off, s10
	v_add_u32_e32 v0, s2, v12
	s_add_i32 s10, s2, 0x3f0
	s_add_i32 s3, s2, 0x4c0
	s_waitcnt vmcnt(0)
	ds_write2_b64 v0, v[4:5], v[6:7] offset0:120 offset1:121
	scratch_load_dwordx4 v[4:7], off, s10
	s_add_i32 s10, s2, 0x400
	s_waitcnt vmcnt(0)
	ds_write2_b64 v0, v[4:5], v[6:7] offset0:122 offset1:123
	scratch_load_dwordx4 v[4:7], off, s10
	;; [unrolled: 4-line block ×12, first 2 shown]
	s_add_i32 s10, s2, 0x4b0
	s_addk_i32 s2, 0xf0
	s_cmp_lg_u32 s2, 0
	s_waitcnt vmcnt(0)
	ds_write2_b64 v0, v[4:5], v[6:7] offset0:144 offset1:145
	scratch_load_dwordx4 v[4:7], off, s10
	s_waitcnt vmcnt(0)
	ds_write2_b64 v0, v[4:5], v[6:7] offset0:146 offset1:147
	scratch_load_dwordx4 v[4:7], off, s3
	s_waitcnt vmcnt(0)
	ds_write2_b64 v0, v[4:5], v[6:7] offset0:148 offset1:149
	s_cbranch_scc1 .LBB123_19
; %bb.20:
	ds_read2_b64 v[4:7], v249 offset1:1
	s_waitcnt lgkmcnt(0)
	v_cmp_neq_f64_e32 vcc, 0, v[4:5]
	v_cmp_neq_f64_e64 s[2:3], 0, v[6:7]
	s_or_b64 s[2:3], vcc, s[2:3]
	s_and_b64 exec, exec, s[2:3]
	s_cbranch_execz .LBB123_26
; %bb.21:
	v_cmp_ngt_f64_e64 s[2:3], |v[4:5]|, |v[6:7]|
                                        ; implicit-def: $vgpr8_vgpr9
	s_and_saveexec_b64 s[10:11], s[2:3]
	s_xor_b64 s[2:3], exec, s[10:11]
                                        ; implicit-def: $vgpr10_vgpr11
	s_cbranch_execz .LBB123_23
; %bb.22:
	v_div_scale_f64 v[0:1], s[10:11], v[6:7], v[6:7], v[4:5]
	v_rcp_f64_e32 v[2:3], v[0:1]
	v_div_scale_f64 v[8:9], vcc, v[4:5], v[6:7], v[4:5]
	v_fma_f64 v[10:11], -v[0:1], v[2:3], 1.0
	v_fmac_f64_e32 v[2:3], v[2:3], v[10:11]
	v_fma_f64 v[10:11], -v[0:1], v[2:3], 1.0
	v_fmac_f64_e32 v[2:3], v[2:3], v[10:11]
	v_mul_f64 v[10:11], v[8:9], v[2:3]
	v_fma_f64 v[0:1], -v[0:1], v[10:11], v[8:9]
	v_div_fmas_f64 v[0:1], v[0:1], v[2:3], v[10:11]
	v_div_fixup_f64 v[0:1], v[0:1], v[6:7], v[4:5]
	v_fmac_f64_e32 v[6:7], v[4:5], v[0:1]
	v_div_scale_f64 v[2:3], s[10:11], v[6:7], v[6:7], 1.0
	v_rcp_f64_e32 v[4:5], v[2:3]
	s_nop 0
	v_fma_f64 v[8:9], -v[2:3], v[4:5], 1.0
	v_fmac_f64_e32 v[4:5], v[4:5], v[8:9]
	v_fma_f64 v[8:9], -v[2:3], v[4:5], 1.0
	v_fmac_f64_e32 v[4:5], v[4:5], v[8:9]
	v_div_scale_f64 v[8:9], vcc, 1.0, v[6:7], 1.0
	v_mul_f64 v[10:11], v[8:9], v[4:5]
	v_fma_f64 v[2:3], -v[2:3], v[10:11], v[8:9]
	s_nop 1
	v_div_fmas_f64 v[2:3], v[2:3], v[4:5], v[10:11]
	v_div_fixup_f64 v[10:11], v[2:3], v[6:7], 1.0
	v_mul_f64 v[8:9], v[0:1], v[10:11]
	v_xor_b32_e32 v11, 0x80000000, v11
                                        ; implicit-def: $vgpr4_vgpr5
.LBB123_23:
	s_andn2_saveexec_b64 s[2:3], s[2:3]
	s_cbranch_execz .LBB123_25
; %bb.24:
	v_div_scale_f64 v[0:1], s[10:11], v[4:5], v[4:5], v[6:7]
	v_rcp_f64_e32 v[2:3], v[0:1]
	v_div_scale_f64 v[8:9], vcc, v[6:7], v[4:5], v[6:7]
	v_fma_f64 v[10:11], -v[0:1], v[2:3], 1.0
	v_fmac_f64_e32 v[2:3], v[2:3], v[10:11]
	v_fma_f64 v[10:11], -v[0:1], v[2:3], 1.0
	v_fmac_f64_e32 v[2:3], v[2:3], v[10:11]
	v_mul_f64 v[10:11], v[8:9], v[2:3]
	v_fma_f64 v[0:1], -v[0:1], v[10:11], v[8:9]
	v_div_fmas_f64 v[0:1], v[0:1], v[2:3], v[10:11]
	v_div_fixup_f64 v[0:1], v[0:1], v[4:5], v[6:7]
	v_fmac_f64_e32 v[4:5], v[6:7], v[0:1]
	v_div_scale_f64 v[2:3], s[10:11], v[4:5], v[4:5], 1.0
	v_rcp_f64_e32 v[6:7], v[2:3]
	s_nop 0
	v_fma_f64 v[8:9], -v[2:3], v[6:7], 1.0
	v_fmac_f64_e32 v[6:7], v[6:7], v[8:9]
	v_fma_f64 v[8:9], -v[2:3], v[6:7], 1.0
	v_fmac_f64_e32 v[6:7], v[6:7], v[8:9]
	v_div_scale_f64 v[8:9], vcc, 1.0, v[4:5], 1.0
	v_mul_f64 v[10:11], v[8:9], v[6:7]
	v_fma_f64 v[2:3], -v[2:3], v[10:11], v[8:9]
	s_nop 1
	v_div_fmas_f64 v[2:3], v[2:3], v[6:7], v[10:11]
	v_div_fixup_f64 v[8:9], v[2:3], v[4:5], 1.0
	v_mul_f64 v[10:11], v[0:1], -v[8:9]
.LBB123_25:
	s_or_b64 exec, exec, s[2:3]
	ds_write2_b64 v249, v[8:9], v[10:11] offset1:1
.LBB123_26:
	s_or_b64 exec, exec, s[4:5]
	scratch_store_dwordx4 off, v[14:17], off offset:1488 ; 16-byte Folded Spill
	s_waitcnt lgkmcnt(0)
	s_barrier
	ds_read2_b64 v[4:7], v249 offset1:1
	v_cmp_lt_u32_e32 vcc, 1, v248
	s_and_saveexec_b64 s[2:3], vcc
	s_cbranch_execz .LBB123_29
; %bb.27:
	scratch_load_dwordx4 v[14:17], off, off offset:16
	s_movk_i32 s4, 0xfc40
	s_waitcnt vmcnt(0) lgkmcnt(0)
	v_mul_f64 v[0:1], v[6:7], v[16:17]
	v_mul_f64 v[10:11], v[4:5], v[16:17]
	v_fma_f64 v[8:9], v[4:5], v[14:15], -v[0:1]
	v_fmac_f64_e32 v[10:11], v[6:7], v[14:15]
	scratch_store_dwordx4 off, v[8:11], off offset:16
.LBB123_28:                             ; =>This Inner Loop Header: Depth=1
	v_add_u32_e32 v13, s4, v12
	ds_read2_b64 v[14:17], v13 offset0:120 offset1:121
	s_add_i32 s10, s4, 0x3e0
	s_add_i32 s5, s4, 0x430
	s_waitcnt lgkmcnt(0)
	v_mul_f64 v[0:1], v[16:17], v[10:11]
	v_mul_f64 v[2:3], v[14:15], v[10:11]
	v_fma_f64 v[0:1], v[14:15], v[8:9], -v[0:1]
	v_fmac_f64_e32 v[2:3], v[16:17], v[8:9]
	scratch_load_dwordx4 v[14:17], off, s10
	s_waitcnt vmcnt(0)
	v_add_f64 v[14:15], v[14:15], -v[0:1]
	v_add_f64 v[16:17], v[16:17], -v[2:3]
	scratch_store_dwordx4 off, v[14:17], s10
	ds_read2_b64 v[14:17], v13 offset0:122 offset1:123
	s_add_i32 s10, s4, 0x3f0
	s_waitcnt lgkmcnt(0)
	v_mul_f64 v[0:1], v[16:17], v[10:11]
	v_mul_f64 v[2:3], v[14:15], v[10:11]
	v_fma_f64 v[0:1], v[14:15], v[8:9], -v[0:1]
	v_fmac_f64_e32 v[2:3], v[16:17], v[8:9]
	scratch_load_dwordx4 v[14:17], off, s10
	s_waitcnt vmcnt(0)
	v_add_f64 v[14:15], v[14:15], -v[0:1]
	v_add_f64 v[16:17], v[16:17], -v[2:3]
	scratch_store_dwordx4 off, v[14:17], s10
	ds_read2_b64 v[14:17], v13 offset0:124 offset1:125
	;; [unrolled: 12-line block ×4, first 2 shown]
	s_add_i32 s10, s4, 0x420
	s_addk_i32 s4, 0x60
	s_cmp_lg_u32 s4, 0
	s_waitcnt lgkmcnt(0)
	v_mul_f64 v[0:1], v[16:17], v[10:11]
	v_mul_f64 v[2:3], v[14:15], v[10:11]
	v_fma_f64 v[0:1], v[14:15], v[8:9], -v[0:1]
	v_fmac_f64_e32 v[2:3], v[16:17], v[8:9]
	scratch_load_dwordx4 v[14:17], off, s10
	s_waitcnt vmcnt(0)
	v_add_f64 v[14:15], v[14:15], -v[0:1]
	v_add_f64 v[16:17], v[16:17], -v[2:3]
	scratch_store_dwordx4 off, v[14:17], s10
	ds_read2_b64 v[14:17], v13 offset0:130 offset1:131
	s_waitcnt lgkmcnt(0)
	v_mul_f64 v[0:1], v[16:17], v[10:11]
	v_mul_f64 v[2:3], v[14:15], v[10:11]
	v_fma_f64 v[0:1], v[14:15], v[8:9], -v[0:1]
	v_fmac_f64_e32 v[2:3], v[16:17], v[8:9]
	scratch_load_dwordx4 v[14:17], off, s5
	s_waitcnt vmcnt(0)
	v_add_f64 v[14:15], v[14:15], -v[0:1]
	v_add_f64 v[16:17], v[16:17], -v[2:3]
	scratch_store_dwordx4 off, v[14:17], s5
	s_cbranch_scc1 .LBB123_28
.LBB123_29:
	s_or_b64 exec, exec, s[2:3]
	v_cmp_eq_u32_e32 vcc, 2, v248
	v_add3_u32 v16, v20, 0, 48
	s_waitcnt lgkmcnt(0)
	s_barrier
	s_and_saveexec_b64 s[4:5], vcc
	s_cbranch_execz .LBB123_40
; %bb.30:
	scratch_load_dwordx4 v[8:11], off, s71
	s_mov_b32 s10, 0
	s_waitcnt vmcnt(0)
	ds_write2_b64 v249, v[8:9], v[10:11] offset1:1
	s_branch .LBB123_32
.LBB123_31:                             ;   in Loop: Header=BB123_32 Depth=1
	s_andn2_b64 vcc, exec, s[2:3]
	s_cbranch_vccz .LBB123_34
.LBB123_32:                             ; =>This Inner Loop Header: Depth=1
	s_add_i32 s2, s10, 48
	s_add_i32 s3, s10, 64
	scratch_load_dwordx4 v[10:13], off, s2
	scratch_load_dwordx4 v[22:25], off, s3
	s_add_i32 s2, s10, 0x50
	scratch_load_dwordx4 v[26:29], off, s2
	s_mov_b32 s11, s10
	v_add_u32_e32 v8, s10, v16
	s_cmpk_eq_i32 s10, 0x380
	s_mov_b64 s[2:3], -1
	s_waitcnt vmcnt(2)
	ds_write2_b64 v8, v[10:11], v[12:13] offset1:1
	s_waitcnt vmcnt(1)
	ds_write2_b64 v8, v[22:23], v[24:25] offset0:2 offset1:3
	s_waitcnt vmcnt(0)
	ds_write2_b64 v8, v[26:27], v[28:29] offset0:4 offset1:5
	s_cbranch_scc1 .LBB123_31
; %bb.33:                               ;   in Loop: Header=BB123_32 Depth=1
	s_add_i32 s2, s11, 0x60
	s_add_i32 s3, s11, 0x70
	scratch_load_dwordx4 v[10:13], off, s2
	scratch_load_dwordx4 v[22:25], off, s3
	s_add_i32 s2, s11, 0x80
	s_add_i32 s3, s11, 0x90
	scratch_load_dwordx4 v[26:29], off, s2
	scratch_load_dwordx4 v[30:33], off, s3
	s_addk_i32 s11, 0xa0
	scratch_load_dwordx4 v[34:37], off, s11
	s_addk_i32 s10, 0x80
	s_mov_b64 s[2:3], 0
	s_waitcnt vmcnt(4)
	ds_write2_b64 v8, v[10:11], v[12:13] offset0:6 offset1:7
	s_waitcnt vmcnt(3)
	ds_write2_b64 v8, v[22:23], v[24:25] offset0:8 offset1:9
	s_waitcnt vmcnt(2)
	ds_write2_b64 v8, v[26:27], v[28:29] offset0:10 offset1:11
	s_waitcnt vmcnt(1)
	ds_write2_b64 v8, v[30:31], v[32:33] offset0:12 offset1:13
	s_waitcnt vmcnt(0)
	ds_write2_b64 v8, v[34:35], v[36:37] offset0:14 offset1:15
	s_branch .LBB123_31
.LBB123_34:
	ds_read2_b64 v[8:11], v249 offset1:1
	s_waitcnt lgkmcnt(0)
	v_cmp_neq_f64_e32 vcc, 0, v[8:9]
	v_cmp_neq_f64_e64 s[2:3], 0, v[10:11]
	s_or_b64 s[2:3], vcc, s[2:3]
	s_and_b64 exec, exec, s[2:3]
	s_cbranch_execz .LBB123_40
; %bb.35:
	v_cmp_ngt_f64_e64 s[2:3], |v[8:9]|, |v[10:11]|
                                        ; implicit-def: $vgpr12_vgpr13
	s_and_saveexec_b64 s[10:11], s[2:3]
	s_xor_b64 s[2:3], exec, s[10:11]
                                        ; implicit-def: $vgpr14_vgpr15
	s_cbranch_execz .LBB123_37
; %bb.36:
	v_div_scale_f64 v[0:1], s[10:11], v[10:11], v[10:11], v[8:9]
	v_rcp_f64_e32 v[2:3], v[0:1]
	v_div_scale_f64 v[12:13], vcc, v[8:9], v[10:11], v[8:9]
	v_fma_f64 v[14:15], -v[0:1], v[2:3], 1.0
	v_fmac_f64_e32 v[2:3], v[2:3], v[14:15]
	v_fma_f64 v[14:15], -v[0:1], v[2:3], 1.0
	v_fmac_f64_e32 v[2:3], v[2:3], v[14:15]
	v_mul_f64 v[14:15], v[12:13], v[2:3]
	v_fma_f64 v[0:1], -v[0:1], v[14:15], v[12:13]
	v_div_fmas_f64 v[0:1], v[0:1], v[2:3], v[14:15]
	v_div_fixup_f64 v[0:1], v[0:1], v[10:11], v[8:9]
	v_fmac_f64_e32 v[10:11], v[8:9], v[0:1]
	v_div_scale_f64 v[2:3], s[10:11], v[10:11], v[10:11], 1.0
	v_rcp_f64_e32 v[8:9], v[2:3]
	s_nop 0
	v_fma_f64 v[12:13], -v[2:3], v[8:9], 1.0
	v_fmac_f64_e32 v[8:9], v[8:9], v[12:13]
	v_fma_f64 v[12:13], -v[2:3], v[8:9], 1.0
	v_fmac_f64_e32 v[8:9], v[8:9], v[12:13]
	v_div_scale_f64 v[12:13], vcc, 1.0, v[10:11], 1.0
	v_mul_f64 v[14:15], v[12:13], v[8:9]
	v_fma_f64 v[2:3], -v[2:3], v[14:15], v[12:13]
	s_nop 1
	v_div_fmas_f64 v[2:3], v[2:3], v[8:9], v[14:15]
	v_div_fixup_f64 v[14:15], v[2:3], v[10:11], 1.0
	v_mul_f64 v[12:13], v[0:1], v[14:15]
	v_xor_b32_e32 v15, 0x80000000, v15
                                        ; implicit-def: $vgpr8_vgpr9
.LBB123_37:
	s_andn2_saveexec_b64 s[2:3], s[2:3]
	s_cbranch_execz .LBB123_39
; %bb.38:
	v_div_scale_f64 v[0:1], s[10:11], v[8:9], v[8:9], v[10:11]
	v_rcp_f64_e32 v[2:3], v[0:1]
	v_div_scale_f64 v[12:13], vcc, v[10:11], v[8:9], v[10:11]
	v_fma_f64 v[14:15], -v[0:1], v[2:3], 1.0
	v_fmac_f64_e32 v[2:3], v[2:3], v[14:15]
	v_fma_f64 v[14:15], -v[0:1], v[2:3], 1.0
	v_fmac_f64_e32 v[2:3], v[2:3], v[14:15]
	v_mul_f64 v[14:15], v[12:13], v[2:3]
	v_fma_f64 v[0:1], -v[0:1], v[14:15], v[12:13]
	v_div_fmas_f64 v[0:1], v[0:1], v[2:3], v[14:15]
	v_div_fixup_f64 v[0:1], v[0:1], v[8:9], v[10:11]
	v_fmac_f64_e32 v[8:9], v[10:11], v[0:1]
	v_div_scale_f64 v[2:3], s[10:11], v[8:9], v[8:9], 1.0
	v_rcp_f64_e32 v[10:11], v[2:3]
	s_nop 0
	v_fma_f64 v[12:13], -v[2:3], v[10:11], 1.0
	v_fmac_f64_e32 v[10:11], v[10:11], v[12:13]
	v_fma_f64 v[12:13], -v[2:3], v[10:11], 1.0
	v_fmac_f64_e32 v[10:11], v[10:11], v[12:13]
	v_div_scale_f64 v[12:13], vcc, 1.0, v[8:9], 1.0
	v_mul_f64 v[14:15], v[12:13], v[10:11]
	v_fma_f64 v[2:3], -v[2:3], v[14:15], v[12:13]
	s_nop 1
	v_div_fmas_f64 v[2:3], v[2:3], v[10:11], v[14:15]
	v_div_fixup_f64 v[12:13], v[2:3], v[8:9], 1.0
	v_mul_f64 v[14:15], v[0:1], -v[12:13]
.LBB123_39:
	s_or_b64 exec, exec, s[2:3]
	ds_write2_b64 v249, v[12:13], v[14:15] offset1:1
.LBB123_40:
	s_or_b64 exec, exec, s[4:5]
	s_waitcnt lgkmcnt(0)
	s_barrier
	ds_read2_b64 v[8:11], v249 offset1:1
	v_cmp_lt_u32_e32 vcc, 2, v248
	s_and_saveexec_b64 s[2:3], vcc
	s_cbranch_execz .LBB123_45
; %bb.41:
	scratch_load_dwordx4 v[22:25], off, off offset:32
	s_mov_b32 s10, 0
	s_waitcnt vmcnt(0) lgkmcnt(0)
	v_mul_f64 v[0:1], v[10:11], v[24:25]
	v_mul_f64 v[14:15], v[8:9], v[24:25]
	v_fma_f64 v[12:13], v[8:9], v[22:23], -v[0:1]
	v_fmac_f64_e32 v[14:15], v[10:11], v[22:23]
	scratch_store_dwordx4 off, v[12:15], off offset:32
	s_branch .LBB123_43
.LBB123_42:                             ;   in Loop: Header=BB123_43 Depth=1
	s_andn2_b64 vcc, exec, s[4:5]
	s_cbranch_vccz .LBB123_45
.LBB123_43:                             ; =>This Inner Loop Header: Depth=1
	v_add_u32_e32 v17, s10, v16
	ds_read2_b64 v[22:25], v17 offset1:1
	s_add_i32 s4, s10, 48
	s_mov_b32 s11, s10
	s_waitcnt lgkmcnt(0)
	v_mul_f64 v[0:1], v[24:25], v[14:15]
	v_mul_f64 v[2:3], v[22:23], v[14:15]
	v_fma_f64 v[0:1], v[22:23], v[12:13], -v[0:1]
	v_fmac_f64_e32 v[2:3], v[24:25], v[12:13]
	scratch_load_dwordx4 v[22:25], off, s4
	s_waitcnt vmcnt(0)
	v_add_f64 v[22:23], v[22:23], -v[0:1]
	v_add_f64 v[24:25], v[24:25], -v[2:3]
	scratch_store_dwordx4 off, v[22:25], s4
	ds_read2_b64 v[22:25], v17 offset0:2 offset1:3
	s_add_i32 s4, s10, 64
	s_waitcnt lgkmcnt(0)
	v_mul_f64 v[0:1], v[24:25], v[14:15]
	v_mul_f64 v[2:3], v[22:23], v[14:15]
	v_fma_f64 v[0:1], v[22:23], v[12:13], -v[0:1]
	v_fmac_f64_e32 v[2:3], v[24:25], v[12:13]
	scratch_load_dwordx4 v[22:25], off, s4
	s_waitcnt vmcnt(0)
	v_add_f64 v[22:23], v[22:23], -v[0:1]
	v_add_f64 v[24:25], v[24:25], -v[2:3]
	scratch_store_dwordx4 off, v[22:25], s4
	ds_read2_b64 v[22:25], v17 offset0:4 offset1:5
	s_add_i32 s4, s10, 0x50
	s_cmpk_eq_i32 s10, 0x380
	s_waitcnt lgkmcnt(0)
	v_mul_f64 v[0:1], v[24:25], v[14:15]
	v_mul_f64 v[2:3], v[22:23], v[14:15]
	v_fma_f64 v[0:1], v[22:23], v[12:13], -v[0:1]
	v_fmac_f64_e32 v[2:3], v[24:25], v[12:13]
	scratch_load_dwordx4 v[22:25], off, s4
	s_waitcnt vmcnt(0)
	v_add_f64 v[22:23], v[22:23], -v[0:1]
	v_add_f64 v[24:25], v[24:25], -v[2:3]
	scratch_store_dwordx4 off, v[22:25], s4
	s_mov_b64 s[4:5], -1
	s_cbranch_scc1 .LBB123_42
; %bb.44:                               ;   in Loop: Header=BB123_43 Depth=1
	ds_read2_b64 v[22:25], v17 offset0:6 offset1:7
	s_add_i32 s4, s11, 0x60
	s_addk_i32 s10, 0x80
	s_waitcnt lgkmcnt(0)
	v_mul_f64 v[0:1], v[24:25], v[14:15]
	v_mul_f64 v[2:3], v[22:23], v[14:15]
	v_fma_f64 v[0:1], v[22:23], v[12:13], -v[0:1]
	v_fmac_f64_e32 v[2:3], v[24:25], v[12:13]
	scratch_load_dwordx4 v[22:25], off, s4
	s_waitcnt vmcnt(0)
	v_add_f64 v[22:23], v[22:23], -v[0:1]
	v_add_f64 v[24:25], v[24:25], -v[2:3]
	scratch_store_dwordx4 off, v[22:25], s4
	ds_read2_b64 v[22:25], v17 offset0:8 offset1:9
	s_add_i32 s4, s11, 0x70
	s_waitcnt lgkmcnt(0)
	v_mul_f64 v[0:1], v[24:25], v[14:15]
	v_mul_f64 v[2:3], v[22:23], v[14:15]
	v_fma_f64 v[0:1], v[22:23], v[12:13], -v[0:1]
	v_fmac_f64_e32 v[2:3], v[24:25], v[12:13]
	scratch_load_dwordx4 v[22:25], off, s4
	s_waitcnt vmcnt(0)
	v_add_f64 v[22:23], v[22:23], -v[0:1]
	v_add_f64 v[24:25], v[24:25], -v[2:3]
	scratch_store_dwordx4 off, v[22:25], s4
	ds_read2_b64 v[22:25], v17 offset0:10 offset1:11
	s_add_i32 s4, s11, 0x80
	;; [unrolled: 12-line block ×3, first 2 shown]
	s_addk_i32 s11, 0xa0
	s_waitcnt lgkmcnt(0)
	v_mul_f64 v[0:1], v[24:25], v[14:15]
	v_mul_f64 v[2:3], v[22:23], v[14:15]
	v_fma_f64 v[0:1], v[22:23], v[12:13], -v[0:1]
	v_fmac_f64_e32 v[2:3], v[24:25], v[12:13]
	scratch_load_dwordx4 v[22:25], off, s4
	s_waitcnt vmcnt(0)
	v_add_f64 v[22:23], v[22:23], -v[0:1]
	v_add_f64 v[24:25], v[24:25], -v[2:3]
	scratch_store_dwordx4 off, v[22:25], s4
	ds_read2_b64 v[22:25], v17 offset0:14 offset1:15
	s_mov_b64 s[4:5], 0
	s_waitcnt lgkmcnt(0)
	v_mul_f64 v[0:1], v[24:25], v[14:15]
	v_mul_f64 v[2:3], v[22:23], v[14:15]
	v_fma_f64 v[0:1], v[22:23], v[12:13], -v[0:1]
	v_fmac_f64_e32 v[2:3], v[24:25], v[12:13]
	scratch_load_dwordx4 v[22:25], off, s11
	s_waitcnt vmcnt(0)
	v_add_f64 v[22:23], v[22:23], -v[0:1]
	v_add_f64 v[24:25], v[24:25], -v[2:3]
	scratch_store_dwordx4 off, v[22:25], s11
	s_branch .LBB123_42
.LBB123_45:
	s_or_b64 exec, exec, s[2:3]
	v_cmp_eq_u32_e32 vcc, 3, v248
	v_add3_u32 v21, v20, 0, 64
	s_waitcnt lgkmcnt(0)
	s_barrier
	s_and_saveexec_b64 s[4:5], vcc
	s_cbranch_execz .LBB123_54
; %bb.46:
	scratch_load_dwordx4 v[12:15], off, s70
	s_mov_b32 s2, 0
	s_waitcnt vmcnt(0)
	ds_write2_b64 v249, v[12:13], v[14:15] offset1:1
.LBB123_47:                             ; =>This Inner Loop Header: Depth=1
	s_add_i32 s10, s2, 64
	s_add_i32 s3, s2, 0x50
	scratch_load_dwordx4 v[12:15], off, s10
	scratch_load_dwordx4 v[16:19], off, s3
	v_add_u32_e32 v0, s2, v21
	s_add_i32 s2, s2, 32
	s_cmpk_lg_i32 s2, 0x3a0
	s_waitcnt vmcnt(1)
	ds_write2_b64 v0, v[12:13], v[14:15] offset1:1
	s_waitcnt vmcnt(0)
	ds_write2_b64 v0, v[16:17], v[18:19] offset0:2 offset1:3
	s_cbranch_scc1 .LBB123_47
; %bb.48:
	ds_read2_b64 v[12:15], v249 offset1:1
	s_waitcnt lgkmcnt(0)
	v_cmp_neq_f64_e32 vcc, 0, v[12:13]
	v_cmp_neq_f64_e64 s[2:3], 0, v[14:15]
	s_or_b64 s[2:3], vcc, s[2:3]
	s_and_b64 exec, exec, s[2:3]
	s_cbranch_execz .LBB123_54
; %bb.49:
	v_cmp_ngt_f64_e64 s[2:3], |v[12:13]|, |v[14:15]|
                                        ; implicit-def: $vgpr16_vgpr17
	s_and_saveexec_b64 s[10:11], s[2:3]
	s_xor_b64 s[2:3], exec, s[10:11]
                                        ; implicit-def: $vgpr18_vgpr19
	s_cbranch_execz .LBB123_51
; %bb.50:
	v_div_scale_f64 v[0:1], s[10:11], v[14:15], v[14:15], v[12:13]
	v_rcp_f64_e32 v[2:3], v[0:1]
	v_div_scale_f64 v[16:17], vcc, v[12:13], v[14:15], v[12:13]
	v_fma_f64 v[18:19], -v[0:1], v[2:3], 1.0
	v_fmac_f64_e32 v[2:3], v[2:3], v[18:19]
	v_fma_f64 v[18:19], -v[0:1], v[2:3], 1.0
	v_fmac_f64_e32 v[2:3], v[2:3], v[18:19]
	v_mul_f64 v[18:19], v[16:17], v[2:3]
	v_fma_f64 v[0:1], -v[0:1], v[18:19], v[16:17]
	v_div_fmas_f64 v[0:1], v[0:1], v[2:3], v[18:19]
	v_div_fixup_f64 v[0:1], v[0:1], v[14:15], v[12:13]
	v_fmac_f64_e32 v[14:15], v[12:13], v[0:1]
	v_div_scale_f64 v[2:3], s[10:11], v[14:15], v[14:15], 1.0
	v_rcp_f64_e32 v[12:13], v[2:3]
	s_nop 0
	v_fma_f64 v[16:17], -v[2:3], v[12:13], 1.0
	v_fmac_f64_e32 v[12:13], v[12:13], v[16:17]
	v_fma_f64 v[16:17], -v[2:3], v[12:13], 1.0
	v_fmac_f64_e32 v[12:13], v[12:13], v[16:17]
	v_div_scale_f64 v[16:17], vcc, 1.0, v[14:15], 1.0
	v_mul_f64 v[18:19], v[16:17], v[12:13]
	v_fma_f64 v[2:3], -v[2:3], v[18:19], v[16:17]
	s_nop 1
	v_div_fmas_f64 v[2:3], v[2:3], v[12:13], v[18:19]
	v_div_fixup_f64 v[18:19], v[2:3], v[14:15], 1.0
	v_mul_f64 v[16:17], v[0:1], v[18:19]
	v_xor_b32_e32 v19, 0x80000000, v19
                                        ; implicit-def: $vgpr12_vgpr13
.LBB123_51:
	s_andn2_saveexec_b64 s[2:3], s[2:3]
	s_cbranch_execz .LBB123_53
; %bb.52:
	v_div_scale_f64 v[0:1], s[10:11], v[12:13], v[12:13], v[14:15]
	v_rcp_f64_e32 v[2:3], v[0:1]
	v_div_scale_f64 v[16:17], vcc, v[14:15], v[12:13], v[14:15]
	v_fma_f64 v[18:19], -v[0:1], v[2:3], 1.0
	v_fmac_f64_e32 v[2:3], v[2:3], v[18:19]
	v_fma_f64 v[18:19], -v[0:1], v[2:3], 1.0
	v_fmac_f64_e32 v[2:3], v[2:3], v[18:19]
	v_mul_f64 v[18:19], v[16:17], v[2:3]
	v_fma_f64 v[0:1], -v[0:1], v[18:19], v[16:17]
	v_div_fmas_f64 v[0:1], v[0:1], v[2:3], v[18:19]
	v_div_fixup_f64 v[0:1], v[0:1], v[12:13], v[14:15]
	v_fmac_f64_e32 v[12:13], v[14:15], v[0:1]
	v_div_scale_f64 v[2:3], s[10:11], v[12:13], v[12:13], 1.0
	v_rcp_f64_e32 v[14:15], v[2:3]
	s_nop 0
	v_fma_f64 v[16:17], -v[2:3], v[14:15], 1.0
	v_fmac_f64_e32 v[14:15], v[14:15], v[16:17]
	v_fma_f64 v[16:17], -v[2:3], v[14:15], 1.0
	v_fmac_f64_e32 v[14:15], v[14:15], v[16:17]
	v_div_scale_f64 v[16:17], vcc, 1.0, v[12:13], 1.0
	v_mul_f64 v[18:19], v[16:17], v[14:15]
	v_fma_f64 v[2:3], -v[2:3], v[18:19], v[16:17]
	s_nop 1
	v_div_fmas_f64 v[2:3], v[2:3], v[14:15], v[18:19]
	v_div_fixup_f64 v[16:17], v[2:3], v[12:13], 1.0
	v_mul_f64 v[18:19], v[0:1], -v[16:17]
.LBB123_53:
	s_or_b64 exec, exec, s[2:3]
	ds_write2_b64 v249, v[16:17], v[18:19] offset1:1
.LBB123_54:
	s_or_b64 exec, exec, s[4:5]
	s_waitcnt lgkmcnt(0)
	s_barrier
	ds_read2_b64 v[12:15], v249 offset1:1
	v_cmp_lt_u32_e32 vcc, 3, v248
	s_and_saveexec_b64 s[2:3], vcc
	s_cbranch_execz .LBB123_57
; %bb.55:
	scratch_load_dwordx4 v[22:25], off, off offset:48
	s_mov_b32 s4, 0
	s_waitcnt vmcnt(0) lgkmcnt(0)
	v_mul_f64 v[0:1], v[14:15], v[24:25]
	v_mul_f64 v[18:19], v[12:13], v[24:25]
	v_fma_f64 v[16:17], v[12:13], v[22:23], -v[0:1]
	v_fmac_f64_e32 v[18:19], v[14:15], v[22:23]
	scratch_store_dwordx4 off, v[16:19], off offset:48
.LBB123_56:                             ; =>This Inner Loop Header: Depth=1
	v_add_u32_e32 v26, s4, v21
	ds_read2_b64 v[22:25], v26 offset1:1
	s_add_i32 s10, s4, 64
	s_add_i32 s5, s4, 0x50
	;; [unrolled: 1-line block ×3, first 2 shown]
	s_cmpk_lg_i32 s4, 0x3a0
	s_waitcnt lgkmcnt(0)
	v_mul_f64 v[0:1], v[24:25], v[18:19]
	v_mul_f64 v[2:3], v[22:23], v[18:19]
	v_fma_f64 v[0:1], v[22:23], v[16:17], -v[0:1]
	v_fmac_f64_e32 v[2:3], v[24:25], v[16:17]
	scratch_load_dwordx4 v[22:25], off, s10
	s_waitcnt vmcnt(0)
	v_add_f64 v[22:23], v[22:23], -v[0:1]
	v_add_f64 v[24:25], v[24:25], -v[2:3]
	scratch_store_dwordx4 off, v[22:25], s10
	ds_read2_b64 v[22:25], v26 offset0:2 offset1:3
	s_waitcnt lgkmcnt(0)
	v_mul_f64 v[0:1], v[24:25], v[18:19]
	v_mul_f64 v[2:3], v[22:23], v[18:19]
	v_fma_f64 v[0:1], v[22:23], v[16:17], -v[0:1]
	v_fmac_f64_e32 v[2:3], v[24:25], v[16:17]
	scratch_load_dwordx4 v[22:25], off, s5
	s_waitcnt vmcnt(0)
	v_add_f64 v[22:23], v[22:23], -v[0:1]
	v_add_f64 v[24:25], v[24:25], -v[2:3]
	scratch_store_dwordx4 off, v[22:25], s5
	s_cbranch_scc1 .LBB123_56
.LBB123_57:
	s_or_b64 exec, exec, s[2:3]
	v_cmp_eq_u32_e32 vcc, 4, v248
	v_add_u32_e32 v250, 0, v20
	s_waitcnt lgkmcnt(0)
	s_barrier
	s_and_saveexec_b64 s[4:5], vcc
	s_cbranch_execz .LBB123_66
; %bb.58:
	scratch_load_dwordx4 v[16:19], off, s69
	s_mov_b32 s2, 0
	s_waitcnt vmcnt(0)
	ds_write2_b64 v249, v[16:17], v[18:19] offset1:1
	v_add_u32_e32 v16, 0x50, v250
.LBB123_59:                             ; =>This Inner Loop Header: Depth=1
	s_add_i32 s10, s2, 0x50
	s_add_i32 s11, s2, 0x60
	;; [unrolled: 1-line block ×3, first 2 shown]
	scratch_load_dwordx4 v[18:21], off, s10
	scratch_load_dwordx4 v[22:25], off, s11
	;; [unrolled: 1-line block ×3, first 2 shown]
	v_add_u32_e32 v0, s2, v16
	s_add_i32 s2, s2, 48
	s_cmpk_lg_i32 s2, 0x390
	s_waitcnt vmcnt(2)
	ds_write2_b64 v0, v[18:19], v[20:21] offset1:1
	s_waitcnt vmcnt(1)
	ds_write2_b64 v0, v[22:23], v[24:25] offset0:2 offset1:3
	s_waitcnt vmcnt(0)
	ds_write2_b64 v0, v[26:27], v[28:29] offset0:4 offset1:5
	s_cbranch_scc1 .LBB123_59
; %bb.60:
	ds_read2_b64 v[16:19], v249 offset1:1
	s_waitcnt lgkmcnt(0)
	v_cmp_neq_f64_e32 vcc, 0, v[16:17]
	v_cmp_neq_f64_e64 s[2:3], 0, v[18:19]
	s_or_b64 s[2:3], vcc, s[2:3]
	s_and_b64 exec, exec, s[2:3]
	s_cbranch_execz .LBB123_66
; %bb.61:
	v_cmp_ngt_f64_e64 s[2:3], |v[16:17]|, |v[18:19]|
                                        ; implicit-def: $vgpr20_vgpr21
	s_and_saveexec_b64 s[10:11], s[2:3]
	s_xor_b64 s[2:3], exec, s[10:11]
                                        ; implicit-def: $vgpr22_vgpr23
	s_cbranch_execz .LBB123_63
; %bb.62:
	v_div_scale_f64 v[0:1], s[10:11], v[18:19], v[18:19], v[16:17]
	v_rcp_f64_e32 v[2:3], v[0:1]
	v_div_scale_f64 v[20:21], vcc, v[16:17], v[18:19], v[16:17]
	v_fma_f64 v[22:23], -v[0:1], v[2:3], 1.0
	v_fmac_f64_e32 v[2:3], v[2:3], v[22:23]
	v_fma_f64 v[22:23], -v[0:1], v[2:3], 1.0
	v_fmac_f64_e32 v[2:3], v[2:3], v[22:23]
	v_mul_f64 v[22:23], v[20:21], v[2:3]
	v_fma_f64 v[0:1], -v[0:1], v[22:23], v[20:21]
	v_div_fmas_f64 v[0:1], v[0:1], v[2:3], v[22:23]
	v_div_fixup_f64 v[0:1], v[0:1], v[18:19], v[16:17]
	v_fmac_f64_e32 v[18:19], v[16:17], v[0:1]
	v_div_scale_f64 v[2:3], s[10:11], v[18:19], v[18:19], 1.0
	v_rcp_f64_e32 v[16:17], v[2:3]
	s_nop 0
	v_fma_f64 v[20:21], -v[2:3], v[16:17], 1.0
	v_fmac_f64_e32 v[16:17], v[16:17], v[20:21]
	v_fma_f64 v[20:21], -v[2:3], v[16:17], 1.0
	v_fmac_f64_e32 v[16:17], v[16:17], v[20:21]
	v_div_scale_f64 v[20:21], vcc, 1.0, v[18:19], 1.0
	v_mul_f64 v[22:23], v[20:21], v[16:17]
	v_fma_f64 v[2:3], -v[2:3], v[22:23], v[20:21]
	s_nop 1
	v_div_fmas_f64 v[2:3], v[2:3], v[16:17], v[22:23]
	v_div_fixup_f64 v[22:23], v[2:3], v[18:19], 1.0
	v_mul_f64 v[20:21], v[0:1], v[22:23]
	v_xor_b32_e32 v23, 0x80000000, v23
                                        ; implicit-def: $vgpr16_vgpr17
.LBB123_63:
	s_andn2_saveexec_b64 s[2:3], s[2:3]
	s_cbranch_execz .LBB123_65
; %bb.64:
	v_div_scale_f64 v[0:1], s[10:11], v[16:17], v[16:17], v[18:19]
	v_rcp_f64_e32 v[2:3], v[0:1]
	v_div_scale_f64 v[20:21], vcc, v[18:19], v[16:17], v[18:19]
	v_fma_f64 v[22:23], -v[0:1], v[2:3], 1.0
	v_fmac_f64_e32 v[2:3], v[2:3], v[22:23]
	v_fma_f64 v[22:23], -v[0:1], v[2:3], 1.0
	v_fmac_f64_e32 v[2:3], v[2:3], v[22:23]
	v_mul_f64 v[22:23], v[20:21], v[2:3]
	v_fma_f64 v[0:1], -v[0:1], v[22:23], v[20:21]
	v_div_fmas_f64 v[0:1], v[0:1], v[2:3], v[22:23]
	v_div_fixup_f64 v[0:1], v[0:1], v[16:17], v[18:19]
	v_fmac_f64_e32 v[16:17], v[18:19], v[0:1]
	v_div_scale_f64 v[2:3], s[10:11], v[16:17], v[16:17], 1.0
	v_rcp_f64_e32 v[18:19], v[2:3]
	s_nop 0
	v_fma_f64 v[20:21], -v[2:3], v[18:19], 1.0
	v_fmac_f64_e32 v[18:19], v[18:19], v[20:21]
	v_fma_f64 v[20:21], -v[2:3], v[18:19], 1.0
	v_fmac_f64_e32 v[18:19], v[18:19], v[20:21]
	v_div_scale_f64 v[20:21], vcc, 1.0, v[16:17], 1.0
	v_mul_f64 v[22:23], v[20:21], v[18:19]
	v_fma_f64 v[2:3], -v[2:3], v[22:23], v[20:21]
	s_nop 1
	v_div_fmas_f64 v[2:3], v[2:3], v[18:19], v[22:23]
	v_div_fixup_f64 v[20:21], v[2:3], v[16:17], 1.0
	v_mul_f64 v[22:23], v[0:1], -v[20:21]
.LBB123_65:
	s_or_b64 exec, exec, s[2:3]
	ds_write2_b64 v249, v[20:21], v[22:23] offset1:1
.LBB123_66:
	s_or_b64 exec, exec, s[4:5]
	s_waitcnt lgkmcnt(0)
	s_barrier
	ds_read2_b64 v[16:19], v249 offset1:1
	v_cmp_lt_u32_e32 vcc, 4, v248
	s_and_saveexec_b64 s[2:3], vcc
	s_cbranch_execz .LBB123_69
; %bb.67:
	scratch_load_dwordx4 v[22:25], off, off offset:64
	v_add_u32_e32 v20, 0x50, v250
	s_movk_i32 s4, 0xfc70
	s_waitcnt vmcnt(0) lgkmcnt(0)
	v_mul_f64 v[0:1], v[18:19], v[24:25]
	v_mul_f64 v[26:27], v[16:17], v[24:25]
	v_fma_f64 v[24:25], v[16:17], v[22:23], -v[0:1]
	v_fmac_f64_e32 v[26:27], v[18:19], v[22:23]
	scratch_store_dwordx4 off, v[24:27], off offset:64
.LBB123_68:                             ; =>This Inner Loop Header: Depth=1
	scratch_load_dwordx4 v[26:29], off, off offset:64
	v_add_u32_e32 v21, s4, v20
	ds_read2_b64 v[22:25], v21 offset0:114 offset1:115
	s_add_i32 s10, s4, 0x3e0
	s_add_i32 s5, s4, 0x400
	s_waitcnt vmcnt(0) lgkmcnt(0)
	v_mul_f64 v[0:1], v[24:25], v[28:29]
	v_mul_f64 v[2:3], v[22:23], v[28:29]
	v_fma_f64 v[0:1], v[22:23], v[26:27], -v[0:1]
	v_fmac_f64_e32 v[2:3], v[24:25], v[26:27]
	scratch_load_dwordx4 v[22:25], off, s10
	s_waitcnt vmcnt(0)
	v_add_f64 v[22:23], v[22:23], -v[0:1]
	v_add_f64 v[24:25], v[24:25], -v[2:3]
	scratch_store_dwordx4 off, v[22:25], s10
	scratch_load_dwordx4 v[26:29], off, off offset:64
	ds_read2_b64 v[22:25], v21 offset0:116 offset1:117
	s_add_i32 s10, s4, 0x3f0
	s_add_i32 s4, s4, 48
	s_cmp_lg_u32 s4, 0
	s_waitcnt vmcnt(0) lgkmcnt(0)
	v_mul_f64 v[0:1], v[24:25], v[28:29]
	v_mul_f64 v[2:3], v[22:23], v[28:29]
	v_fma_f64 v[0:1], v[22:23], v[26:27], -v[0:1]
	v_fmac_f64_e32 v[2:3], v[24:25], v[26:27]
	scratch_load_dwordx4 v[22:25], off, s10
	s_waitcnt vmcnt(0)
	v_add_f64 v[22:23], v[22:23], -v[0:1]
	v_add_f64 v[24:25], v[24:25], -v[2:3]
	scratch_store_dwordx4 off, v[22:25], s10
	scratch_load_dwordx4 v[26:29], off, off offset:64
	ds_read2_b64 v[22:25], v21 offset0:118 offset1:119
	s_waitcnt vmcnt(0) lgkmcnt(0)
	v_mul_f64 v[0:1], v[24:25], v[28:29]
	v_mul_f64 v[2:3], v[22:23], v[28:29]
	v_fma_f64 v[0:1], v[22:23], v[26:27], -v[0:1]
	v_fmac_f64_e32 v[2:3], v[24:25], v[26:27]
	scratch_load_dwordx4 v[22:25], off, s5
	s_waitcnt vmcnt(0)
	v_add_f64 v[22:23], v[22:23], -v[0:1]
	v_add_f64 v[24:25], v[24:25], -v[2:3]
	scratch_store_dwordx4 off, v[22:25], s5
	s_cbranch_scc1 .LBB123_68
.LBB123_69:
	s_or_b64 exec, exec, s[2:3]
	v_cmp_eq_u32_e32 vcc, 5, v248
	s_waitcnt lgkmcnt(0)
	s_barrier
	s_and_saveexec_b64 s[4:5], vcc
	s_cbranch_execz .LBB123_78
; %bb.70:
	scratch_load_dwordx4 v[22:25], off, s68
	v_add_u32_e32 v20, 0x60, v250
	s_movk_i32 s2, 0xfc80
	s_waitcnt vmcnt(0)
	ds_write2_b64 v249, v[22:23], v[24:25] offset1:1
.LBB123_71:                             ; =>This Inner Loop Header: Depth=1
	s_add_i32 s10, s2, 0x3e0
	scratch_load_dwordx4 v[22:25], off, s10
	v_add_u32_e32 v0, s2, v20
	s_add_i32 s10, s2, 0x3f0
	s_add_i32 s3, s2, 0x4b0
	s_waitcnt vmcnt(0)
	ds_write2_b64 v0, v[22:23], v[24:25] offset0:112 offset1:113
	scratch_load_dwordx4 v[22:25], off, s10
	s_add_i32 s10, s2, 0x400
	s_waitcnt vmcnt(0)
	ds_write2_b64 v0, v[22:23], v[24:25] offset0:114 offset1:115
	scratch_load_dwordx4 v[22:25], off, s10
	;; [unrolled: 4-line block ×11, first 2 shown]
	s_add_i32 s10, s2, 0x4a0
	s_addk_i32 s2, 0xe0
	s_cmp_lg_u32 s2, 0
	s_waitcnt vmcnt(0)
	ds_write2_b64 v0, v[22:23], v[24:25] offset0:134 offset1:135
	scratch_load_dwordx4 v[22:25], off, s10
	s_waitcnt vmcnt(0)
	ds_write2_b64 v0, v[22:23], v[24:25] offset0:136 offset1:137
	scratch_load_dwordx4 v[22:25], off, s3
	s_waitcnt vmcnt(0)
	ds_write2_b64 v0, v[22:23], v[24:25] offset0:138 offset1:139
	s_cbranch_scc1 .LBB123_71
; %bb.72:
	ds_read2_b64 v[20:23], v249 offset1:1
	s_waitcnt lgkmcnt(0)
	v_cmp_neq_f64_e32 vcc, 0, v[20:21]
	v_cmp_neq_f64_e64 s[2:3], 0, v[22:23]
	s_or_b64 s[2:3], vcc, s[2:3]
	s_and_b64 exec, exec, s[2:3]
	s_cbranch_execz .LBB123_78
; %bb.73:
	v_cmp_ngt_f64_e64 s[2:3], |v[20:21]|, |v[22:23]|
                                        ; implicit-def: $vgpr24_vgpr25
	s_and_saveexec_b64 s[10:11], s[2:3]
	s_xor_b64 s[2:3], exec, s[10:11]
                                        ; implicit-def: $vgpr26_vgpr27
	s_cbranch_execz .LBB123_75
; %bb.74:
	v_div_scale_f64 v[0:1], s[10:11], v[22:23], v[22:23], v[20:21]
	v_rcp_f64_e32 v[2:3], v[0:1]
	v_div_scale_f64 v[24:25], vcc, v[20:21], v[22:23], v[20:21]
	v_fma_f64 v[26:27], -v[0:1], v[2:3], 1.0
	v_fmac_f64_e32 v[2:3], v[2:3], v[26:27]
	v_fma_f64 v[26:27], -v[0:1], v[2:3], 1.0
	v_fmac_f64_e32 v[2:3], v[2:3], v[26:27]
	v_mul_f64 v[26:27], v[24:25], v[2:3]
	v_fma_f64 v[0:1], -v[0:1], v[26:27], v[24:25]
	v_div_fmas_f64 v[0:1], v[0:1], v[2:3], v[26:27]
	v_div_fixup_f64 v[0:1], v[0:1], v[22:23], v[20:21]
	v_fmac_f64_e32 v[22:23], v[20:21], v[0:1]
	v_div_scale_f64 v[2:3], s[10:11], v[22:23], v[22:23], 1.0
	v_rcp_f64_e32 v[20:21], v[2:3]
	s_nop 0
	v_fma_f64 v[24:25], -v[2:3], v[20:21], 1.0
	v_fmac_f64_e32 v[20:21], v[20:21], v[24:25]
	v_fma_f64 v[24:25], -v[2:3], v[20:21], 1.0
	v_fmac_f64_e32 v[20:21], v[20:21], v[24:25]
	v_div_scale_f64 v[24:25], vcc, 1.0, v[22:23], 1.0
	v_mul_f64 v[26:27], v[24:25], v[20:21]
	v_fma_f64 v[2:3], -v[2:3], v[26:27], v[24:25]
	s_nop 1
	v_div_fmas_f64 v[2:3], v[2:3], v[20:21], v[26:27]
	v_div_fixup_f64 v[26:27], v[2:3], v[22:23], 1.0
	v_mul_f64 v[24:25], v[0:1], v[26:27]
	v_xor_b32_e32 v27, 0x80000000, v27
                                        ; implicit-def: $vgpr20_vgpr21
.LBB123_75:
	s_andn2_saveexec_b64 s[2:3], s[2:3]
	s_cbranch_execz .LBB123_77
; %bb.76:
	v_div_scale_f64 v[0:1], s[10:11], v[20:21], v[20:21], v[22:23]
	v_rcp_f64_e32 v[2:3], v[0:1]
	v_div_scale_f64 v[24:25], vcc, v[22:23], v[20:21], v[22:23]
	v_fma_f64 v[26:27], -v[0:1], v[2:3], 1.0
	v_fmac_f64_e32 v[2:3], v[2:3], v[26:27]
	v_fma_f64 v[26:27], -v[0:1], v[2:3], 1.0
	v_fmac_f64_e32 v[2:3], v[2:3], v[26:27]
	v_mul_f64 v[26:27], v[24:25], v[2:3]
	v_fma_f64 v[0:1], -v[0:1], v[26:27], v[24:25]
	v_div_fmas_f64 v[0:1], v[0:1], v[2:3], v[26:27]
	v_div_fixup_f64 v[0:1], v[0:1], v[20:21], v[22:23]
	v_fmac_f64_e32 v[20:21], v[22:23], v[0:1]
	v_div_scale_f64 v[2:3], s[10:11], v[20:21], v[20:21], 1.0
	v_rcp_f64_e32 v[22:23], v[2:3]
	s_nop 0
	v_fma_f64 v[24:25], -v[2:3], v[22:23], 1.0
	v_fmac_f64_e32 v[22:23], v[22:23], v[24:25]
	v_fma_f64 v[24:25], -v[2:3], v[22:23], 1.0
	v_fmac_f64_e32 v[22:23], v[22:23], v[24:25]
	v_div_scale_f64 v[24:25], vcc, 1.0, v[20:21], 1.0
	v_mul_f64 v[26:27], v[24:25], v[22:23]
	v_fma_f64 v[2:3], -v[2:3], v[26:27], v[24:25]
	s_nop 1
	v_div_fmas_f64 v[2:3], v[2:3], v[22:23], v[26:27]
	v_div_fixup_f64 v[24:25], v[2:3], v[20:21], 1.0
	v_mul_f64 v[26:27], v[0:1], -v[24:25]
.LBB123_77:
	s_or_b64 exec, exec, s[2:3]
	ds_write2_b64 v249, v[24:25], v[26:27] offset1:1
.LBB123_78:
	s_or_b64 exec, exec, s[4:5]
	s_waitcnt lgkmcnt(0)
	s_barrier
	ds_read2_b64 v[20:23], v249 offset1:1
	v_cmp_lt_u32_e32 vcc, 5, v248
	s_and_saveexec_b64 s[2:3], vcc
	s_cbranch_execz .LBB123_81
; %bb.79:
	scratch_load_dwordx4 v[30:33], off, off offset:80
	v_add_u32_e32 v28, 0x60, v250
	s_movk_i32 s4, 0xfc80
	s_waitcnt vmcnt(0) lgkmcnt(0)
	v_mul_f64 v[0:1], v[22:23], v[32:33]
	v_mul_f64 v[26:27], v[20:21], v[32:33]
	v_fma_f64 v[24:25], v[20:21], v[30:31], -v[0:1]
	v_fmac_f64_e32 v[26:27], v[22:23], v[30:31]
	scratch_store_dwordx4 off, v[24:27], off offset:80
.LBB123_80:                             ; =>This Inner Loop Header: Depth=1
	s_add_i32 s10, s4, 0x3e0
	scratch_load_dwordx4 v[30:33], off, s10
	v_add_u32_e32 v29, s4, v28
	ds_read2_b64 v[34:37], v29 offset0:112 offset1:113
	ds_read2_b64 v[38:41], v29 offset0:114 offset1:115
	s_add_i32 s11, s4, 0x3f0
	scratch_load_dwordx4 v[42:45], off, s11
	s_add_i32 s48, s4, 0x430
	s_waitcnt lgkmcnt(1)
	v_mul_f64 v[0:1], v[36:37], v[26:27]
	v_mul_f64 v[2:3], v[34:35], v[26:27]
	v_fma_f64 v[0:1], v[34:35], v[24:25], -v[0:1]
	v_fmac_f64_e32 v[2:3], v[36:37], v[24:25]
	s_add_i32 s49, s4, 0x440
	s_add_i32 s5, s4, 0x450
	s_waitcnt vmcnt(1)
	v_add_f64 v[24:25], v[30:31], -v[0:1]
	v_add_f64 v[26:27], v[32:33], -v[2:3]
	scratch_store_dwordx4 off, v[24:27], s10
	scratch_load_dwordx4 v[24:27], off, off offset:80
	s_add_i32 s10, s4, 0x400
	s_waitcnt vmcnt(0) lgkmcnt(0)
	v_mul_f64 v[0:1], v[40:41], v[26:27]
	v_mul_f64 v[2:3], v[38:39], v[26:27]
	v_fma_f64 v[0:1], v[38:39], v[24:25], -v[0:1]
	v_fmac_f64_e32 v[2:3], v[40:41], v[24:25]
	v_add_f64 v[24:25], v[42:43], -v[0:1]
	v_add_f64 v[26:27], v[44:45], -v[2:3]
	scratch_store_dwordx4 off, v[24:27], s11
	scratch_load_dwordx4 v[24:27], off, off offset:80
	s_nop 0
	scratch_load_dwordx4 v[30:33], off, s10
	ds_read2_b64 v[34:37], v29 offset0:116 offset1:117
	ds_read2_b64 v[38:41], v29 offset0:118 offset1:119
	s_add_i32 s11, s4, 0x410
	scratch_load_dwordx4 v[42:45], off, s11
	s_waitcnt vmcnt(2) lgkmcnt(1)
	v_mul_f64 v[0:1], v[36:37], v[26:27]
	v_mul_f64 v[2:3], v[34:35], v[26:27]
	v_fma_f64 v[0:1], v[34:35], v[24:25], -v[0:1]
	v_fmac_f64_e32 v[2:3], v[36:37], v[24:25]
	s_waitcnt vmcnt(1)
	v_add_f64 v[24:25], v[30:31], -v[0:1]
	v_add_f64 v[26:27], v[32:33], -v[2:3]
	scratch_store_dwordx4 off, v[24:27], s10
	scratch_load_dwordx4 v[24:27], off, off offset:80
	s_add_i32 s10, s4, 0x420
	scratch_load_dwordx4 v[30:33], off, s10
	scratch_load_dwordx4 v[34:37], off, s48
	;; [unrolled: 1-line block ×3, first 2 shown]
	s_addk_i32 s4, 0x80
	s_cmp_lg_u32 s4, 0
	s_waitcnt vmcnt(3) lgkmcnt(0)
	v_mul_f64 v[0:1], v[40:41], v[26:27]
	v_mul_f64 v[2:3], v[38:39], v[26:27]
	v_fma_f64 v[0:1], v[38:39], v[24:25], -v[0:1]
	v_fmac_f64_e32 v[2:3], v[40:41], v[24:25]
	v_add_f64 v[24:25], v[42:43], -v[0:1]
	v_add_f64 v[26:27], v[44:45], -v[2:3]
	scratch_store_dwordx4 off, v[24:27], s11
	scratch_load_dwordx4 v[24:27], off, off offset:80
	s_nop 0
	scratch_load_dwordx4 v[38:41], off, s5
	ds_read2_b64 v[42:45], v29 offset0:120 offset1:121
	ds_read2_b64 v[50:53], v29 offset0:122 offset1:123
	;; [unrolled: 1-line block ×4, first 2 shown]
	s_waitcnt vmcnt(1) lgkmcnt(3)
	v_mul_f64 v[0:1], v[44:45], v[26:27]
	v_mul_f64 v[2:3], v[42:43], v[26:27]
	s_waitcnt lgkmcnt(2)
	v_mul_f64 v[62:63], v[52:53], v[26:27]
	v_mul_f64 v[64:65], v[50:51], v[26:27]
	s_waitcnt lgkmcnt(1)
	;; [unrolled: 3-line block ×3, first 2 shown]
	v_mul_f64 v[70:71], v[60:61], v[26:27]
	v_mul_f64 v[72:73], v[58:59], v[26:27]
	v_fma_f64 v[0:1], v[42:43], v[24:25], -v[0:1]
	v_fmac_f64_e32 v[2:3], v[44:45], v[24:25]
	v_fma_f64 v[42:43], v[50:51], v[24:25], -v[62:63]
	v_fmac_f64_e32 v[64:65], v[52:53], v[24:25]
	;; [unrolled: 2-line block ×4, first 2 shown]
	v_add_f64 v[30:31], v[30:31], -v[0:1]
	v_add_f64 v[32:33], v[32:33], -v[2:3]
	;; [unrolled: 1-line block ×6, first 2 shown]
	s_waitcnt vmcnt(0)
	v_add_f64 v[38:39], v[38:39], -v[50:51]
	v_add_f64 v[40:41], v[40:41], -v[72:73]
	scratch_store_dwordx4 off, v[30:33], s10
	scratch_store_dwordx4 off, v[34:37], s48
	;; [unrolled: 1-line block ×4, first 2 shown]
	s_cbranch_scc1 .LBB123_80
.LBB123_81:
	s_or_b64 exec, exec, s[2:3]
	v_cmp_eq_u32_e32 vcc, 6, v248
	s_waitcnt lgkmcnt(0)
	s_barrier
	s_and_saveexec_b64 s[4:5], vcc
	s_cbranch_execz .LBB123_90
; %bb.82:
	scratch_load_dwordx4 v[26:29], off, s67
	v_add_u32_e32 v24, 0x70, v250
	s_movk_i32 s2, 0xfc90
	s_waitcnt vmcnt(0)
	ds_write2_b64 v249, v[26:27], v[28:29] offset1:1
.LBB123_83:                             ; =>This Inner Loop Header: Depth=1
	s_add_i32 s10, s2, 0x3e0
	s_add_i32 s11, s2, 0x3f0
	s_add_i32 s48, s2, 0x400
	s_add_i32 s49, s2, 0x410
	s_add_i32 s50, s2, 0x420
	s_add_i32 s73, s2, 0x430
	s_add_i32 s74, s2, 0x440
	s_add_i32 s75, s2, 0x450
	s_add_i32 s76, s2, 0x460
	s_add_i32 s77, s2, 0x470
	s_add_i32 s3, s2, 0x480
	scratch_load_dwordx4 v[26:29], off, s10
	scratch_load_dwordx4 v[30:33], off, s11
	;; [unrolled: 1-line block ×11, first 2 shown]
	v_add_u32_e32 v0, s2, v24
	s_addk_i32 s2, 0xb0
	s_cmp_lg_u32 s2, 0
	s_waitcnt vmcnt(10)
	ds_write2_b64 v0, v[26:27], v[28:29] offset0:110 offset1:111
	s_waitcnt vmcnt(9)
	ds_write2_b64 v0, v[30:31], v[32:33] offset0:112 offset1:113
	;; [unrolled: 2-line block ×11, first 2 shown]
	s_cbranch_scc1 .LBB123_83
; %bb.84:
	ds_read2_b64 v[24:27], v249 offset1:1
	s_waitcnt lgkmcnt(0)
	v_cmp_neq_f64_e32 vcc, 0, v[24:25]
	v_cmp_neq_f64_e64 s[2:3], 0, v[26:27]
	s_or_b64 s[2:3], vcc, s[2:3]
	s_and_b64 exec, exec, s[2:3]
	s_cbranch_execz .LBB123_90
; %bb.85:
	v_cmp_ngt_f64_e64 s[2:3], |v[24:25]|, |v[26:27]|
                                        ; implicit-def: $vgpr28_vgpr29
	s_and_saveexec_b64 s[10:11], s[2:3]
	s_xor_b64 s[2:3], exec, s[10:11]
                                        ; implicit-def: $vgpr30_vgpr31
	s_cbranch_execz .LBB123_87
; %bb.86:
	v_div_scale_f64 v[0:1], s[10:11], v[26:27], v[26:27], v[24:25]
	v_rcp_f64_e32 v[2:3], v[0:1]
	v_div_scale_f64 v[28:29], vcc, v[24:25], v[26:27], v[24:25]
	v_fma_f64 v[30:31], -v[0:1], v[2:3], 1.0
	v_fmac_f64_e32 v[2:3], v[2:3], v[30:31]
	v_fma_f64 v[30:31], -v[0:1], v[2:3], 1.0
	v_fmac_f64_e32 v[2:3], v[2:3], v[30:31]
	v_mul_f64 v[30:31], v[28:29], v[2:3]
	v_fma_f64 v[0:1], -v[0:1], v[30:31], v[28:29]
	v_div_fmas_f64 v[0:1], v[0:1], v[2:3], v[30:31]
	v_div_fixup_f64 v[0:1], v[0:1], v[26:27], v[24:25]
	v_fmac_f64_e32 v[26:27], v[24:25], v[0:1]
	v_div_scale_f64 v[2:3], s[10:11], v[26:27], v[26:27], 1.0
	v_rcp_f64_e32 v[24:25], v[2:3]
	s_nop 0
	v_fma_f64 v[28:29], -v[2:3], v[24:25], 1.0
	v_fmac_f64_e32 v[24:25], v[24:25], v[28:29]
	v_fma_f64 v[28:29], -v[2:3], v[24:25], 1.0
	v_fmac_f64_e32 v[24:25], v[24:25], v[28:29]
	v_div_scale_f64 v[28:29], vcc, 1.0, v[26:27], 1.0
	v_mul_f64 v[30:31], v[28:29], v[24:25]
	v_fma_f64 v[2:3], -v[2:3], v[30:31], v[28:29]
	s_nop 1
	v_div_fmas_f64 v[2:3], v[2:3], v[24:25], v[30:31]
	v_div_fixup_f64 v[30:31], v[2:3], v[26:27], 1.0
	v_mul_f64 v[28:29], v[0:1], v[30:31]
	v_xor_b32_e32 v31, 0x80000000, v31
                                        ; implicit-def: $vgpr24_vgpr25
.LBB123_87:
	s_andn2_saveexec_b64 s[2:3], s[2:3]
	s_cbranch_execz .LBB123_89
; %bb.88:
	v_div_scale_f64 v[0:1], s[10:11], v[24:25], v[24:25], v[26:27]
	v_rcp_f64_e32 v[2:3], v[0:1]
	v_div_scale_f64 v[28:29], vcc, v[26:27], v[24:25], v[26:27]
	v_fma_f64 v[30:31], -v[0:1], v[2:3], 1.0
	v_fmac_f64_e32 v[2:3], v[2:3], v[30:31]
	v_fma_f64 v[30:31], -v[0:1], v[2:3], 1.0
	v_fmac_f64_e32 v[2:3], v[2:3], v[30:31]
	v_mul_f64 v[30:31], v[28:29], v[2:3]
	v_fma_f64 v[0:1], -v[0:1], v[30:31], v[28:29]
	v_div_fmas_f64 v[0:1], v[0:1], v[2:3], v[30:31]
	v_div_fixup_f64 v[0:1], v[0:1], v[24:25], v[26:27]
	v_fmac_f64_e32 v[24:25], v[26:27], v[0:1]
	v_div_scale_f64 v[2:3], s[10:11], v[24:25], v[24:25], 1.0
	v_rcp_f64_e32 v[26:27], v[2:3]
	s_nop 0
	v_fma_f64 v[28:29], -v[2:3], v[26:27], 1.0
	v_fmac_f64_e32 v[26:27], v[26:27], v[28:29]
	v_fma_f64 v[28:29], -v[2:3], v[26:27], 1.0
	v_fmac_f64_e32 v[26:27], v[26:27], v[28:29]
	v_div_scale_f64 v[28:29], vcc, 1.0, v[24:25], 1.0
	v_mul_f64 v[30:31], v[28:29], v[26:27]
	v_fma_f64 v[2:3], -v[2:3], v[30:31], v[28:29]
	s_nop 1
	v_div_fmas_f64 v[2:3], v[2:3], v[26:27], v[30:31]
	v_div_fixup_f64 v[28:29], v[2:3], v[24:25], 1.0
	v_mul_f64 v[30:31], v[0:1], -v[28:29]
.LBB123_89:
	s_or_b64 exec, exec, s[2:3]
	ds_write2_b64 v249, v[28:29], v[30:31] offset1:1
.LBB123_90:
	s_or_b64 exec, exec, s[4:5]
	s_waitcnt lgkmcnt(0)
	s_barrier
	ds_read2_b64 v[24:27], v249 offset1:1
	v_cmp_lt_u32_e32 vcc, 6, v248
	s_and_saveexec_b64 s[2:3], vcc
	s_cbranch_execz .LBB123_93
; %bb.91:
	scratch_load_dwordx4 v[30:33], off, off offset:96
	v_add_u32_e32 v28, 0x70, v250
	s_movk_i32 s4, 0xfc90
	s_waitcnt vmcnt(0) lgkmcnt(0)
	v_mul_f64 v[0:1], v[26:27], v[32:33]
	v_mul_f64 v[34:35], v[24:25], v[32:33]
	v_fma_f64 v[32:33], v[24:25], v[30:31], -v[0:1]
	v_fmac_f64_e32 v[34:35], v[26:27], v[30:31]
	scratch_store_dwordx4 off, v[32:35], off offset:96
.LBB123_92:                             ; =>This Inner Loop Header: Depth=1
	scratch_load_dwordx4 v[30:33], off, off offset:96
	s_add_i32 s10, s4, 0x3e0
	scratch_load_dwordx4 v[34:37], off, s10
	v_add_u32_e32 v29, s4, v28
	ds_read2_b64 v[38:41], v29 offset0:110 offset1:111
	ds_read2_b64 v[42:45], v29 offset0:112 offset1:113
	s_add_i32 s11, s4, 0x3f0
	s_add_i32 s48, s4, 0x420
	scratch_load_dwordx4 v[46:49], off, s11
	scratch_load_dwordx4 v[50:53], off, s48
	s_add_i32 s5, s4, 0x410
	s_waitcnt vmcnt(3) lgkmcnt(1)
	v_mul_f64 v[0:1], v[40:41], v[32:33]
	v_mul_f64 v[2:3], v[38:39], v[32:33]
	v_fma_f64 v[0:1], v[38:39], v[30:31], -v[0:1]
	v_fmac_f64_e32 v[2:3], v[40:41], v[30:31]
	s_waitcnt vmcnt(2)
	v_add_f64 v[30:31], v[34:35], -v[0:1]
	v_add_f64 v[32:33], v[36:37], -v[2:3]
	scratch_store_dwordx4 off, v[30:33], s10
	scratch_load_dwordx4 v[30:33], off, off offset:96
	s_add_i32 s10, s4, 0x400
	s_addk_i32 s4, 0x50
	s_cmp_lg_u32 s4, 0
	s_waitcnt vmcnt(0) lgkmcnt(0)
	v_mul_f64 v[0:1], v[44:45], v[32:33]
	v_mul_f64 v[2:3], v[42:43], v[32:33]
	v_fma_f64 v[0:1], v[42:43], v[30:31], -v[0:1]
	v_fmac_f64_e32 v[2:3], v[44:45], v[30:31]
	v_add_f64 v[30:31], v[46:47], -v[0:1]
	v_add_f64 v[32:33], v[48:49], -v[2:3]
	scratch_store_dwordx4 off, v[30:33], s11
	scratch_load_dwordx4 v[30:33], off, off offset:96
	s_nop 0
	scratch_load_dwordx4 v[34:37], off, s10
	ds_read2_b64 v[38:41], v29 offset0:114 offset1:115
	ds_read2_b64 v[42:45], v29 offset0:116 offset1:117
	scratch_load_dwordx4 v[46:49], off, s5
	s_waitcnt vmcnt(2) lgkmcnt(1)
	v_mul_f64 v[0:1], v[40:41], v[32:33]
	v_mul_f64 v[2:3], v[38:39], v[32:33]
	v_fma_f64 v[0:1], v[38:39], v[30:31], -v[0:1]
	v_fmac_f64_e32 v[2:3], v[40:41], v[30:31]
	s_waitcnt vmcnt(1)
	v_add_f64 v[30:31], v[34:35], -v[0:1]
	v_add_f64 v[32:33], v[36:37], -v[2:3]
	scratch_store_dwordx4 off, v[30:33], s10
	scratch_load_dwordx4 v[30:33], off, off offset:96
	ds_read2_b64 v[34:37], v29 offset0:118 offset1:119
	s_waitcnt vmcnt(0) lgkmcnt(1)
	v_mul_f64 v[0:1], v[44:45], v[32:33]
	v_mul_f64 v[2:3], v[42:43], v[32:33]
	v_fma_f64 v[0:1], v[42:43], v[30:31], -v[0:1]
	v_fmac_f64_e32 v[2:3], v[44:45], v[30:31]
	v_add_f64 v[30:31], v[46:47], -v[0:1]
	v_add_f64 v[32:33], v[48:49], -v[2:3]
	scratch_store_dwordx4 off, v[30:33], s5
	scratch_load_dwordx4 v[30:33], off, off offset:96
	s_waitcnt vmcnt(0) lgkmcnt(0)
	v_mul_f64 v[0:1], v[36:37], v[32:33]
	v_mul_f64 v[2:3], v[34:35], v[32:33]
	v_fma_f64 v[0:1], v[34:35], v[30:31], -v[0:1]
	v_fmac_f64_e32 v[2:3], v[36:37], v[30:31]
	v_add_f64 v[30:31], v[50:51], -v[0:1]
	v_add_f64 v[32:33], v[52:53], -v[2:3]
	scratch_store_dwordx4 off, v[30:33], s48
	s_cbranch_scc1 .LBB123_92
.LBB123_93:
	s_or_b64 exec, exec, s[2:3]
	v_cmp_eq_u32_e32 vcc, 7, v248
	s_waitcnt lgkmcnt(0)
	s_barrier
	s_and_saveexec_b64 s[4:5], vcc
	s_cbranch_execz .LBB123_102
; %bb.94:
	scratch_load_dwordx4 v[30:33], off, s66
	v_add_u32_e32 v28, 0x80, v250
	s_movk_i32 s2, 0xfca0
	s_waitcnt vmcnt(0)
	ds_write2_b64 v249, v[30:31], v[32:33] offset1:1
.LBB123_95:                             ; =>This Inner Loop Header: Depth=1
	s_add_i32 s10, s2, 0x3e0
	s_add_i32 s11, s2, 0x3f0
	;; [unrolled: 1-line block ×18, first 2 shown]
	scratch_load_dwordx4 v[30:33], off, s10
	scratch_load_dwordx4 v[34:37], off, s11
	;; [unrolled: 1-line block ×18, first 2 shown]
	v_add_u32_e32 v0, s2, v28
	s_addk_i32 s2, 0x120
	s_cmp_lg_u32 s2, 0
	s_waitcnt vmcnt(17)
	ds_write2_b64 v0, v[30:31], v[32:33] offset0:108 offset1:109
	s_waitcnt vmcnt(16)
	ds_write2_b64 v0, v[34:35], v[36:37] offset0:110 offset1:111
	;; [unrolled: 2-line block ×18, first 2 shown]
	s_cbranch_scc1 .LBB123_95
; %bb.96:
	ds_read2_b64 v[28:31], v249 offset1:1
	s_waitcnt lgkmcnt(0)
	v_cmp_neq_f64_e32 vcc, 0, v[28:29]
	v_cmp_neq_f64_e64 s[2:3], 0, v[30:31]
	s_or_b64 s[2:3], vcc, s[2:3]
	s_and_b64 exec, exec, s[2:3]
	s_cbranch_execz .LBB123_102
; %bb.97:
	v_cmp_ngt_f64_e64 s[2:3], |v[28:29]|, |v[30:31]|
                                        ; implicit-def: $vgpr32_vgpr33
	s_and_saveexec_b64 s[10:11], s[2:3]
	s_xor_b64 s[2:3], exec, s[10:11]
                                        ; implicit-def: $vgpr34_vgpr35
	s_cbranch_execz .LBB123_99
; %bb.98:
	v_div_scale_f64 v[0:1], s[10:11], v[30:31], v[30:31], v[28:29]
	v_rcp_f64_e32 v[2:3], v[0:1]
	v_div_scale_f64 v[32:33], vcc, v[28:29], v[30:31], v[28:29]
	v_fma_f64 v[34:35], -v[0:1], v[2:3], 1.0
	v_fmac_f64_e32 v[2:3], v[2:3], v[34:35]
	v_fma_f64 v[34:35], -v[0:1], v[2:3], 1.0
	v_fmac_f64_e32 v[2:3], v[2:3], v[34:35]
	v_mul_f64 v[34:35], v[32:33], v[2:3]
	v_fma_f64 v[0:1], -v[0:1], v[34:35], v[32:33]
	v_div_fmas_f64 v[0:1], v[0:1], v[2:3], v[34:35]
	v_div_fixup_f64 v[0:1], v[0:1], v[30:31], v[28:29]
	v_fmac_f64_e32 v[30:31], v[28:29], v[0:1]
	v_div_scale_f64 v[2:3], s[10:11], v[30:31], v[30:31], 1.0
	v_rcp_f64_e32 v[28:29], v[2:3]
	s_nop 0
	v_fma_f64 v[32:33], -v[2:3], v[28:29], 1.0
	v_fmac_f64_e32 v[28:29], v[28:29], v[32:33]
	v_fma_f64 v[32:33], -v[2:3], v[28:29], 1.0
	v_fmac_f64_e32 v[28:29], v[28:29], v[32:33]
	v_div_scale_f64 v[32:33], vcc, 1.0, v[30:31], 1.0
	v_mul_f64 v[34:35], v[32:33], v[28:29]
	v_fma_f64 v[2:3], -v[2:3], v[34:35], v[32:33]
	s_nop 1
	v_div_fmas_f64 v[2:3], v[2:3], v[28:29], v[34:35]
	v_div_fixup_f64 v[34:35], v[2:3], v[30:31], 1.0
	v_mul_f64 v[32:33], v[0:1], v[34:35]
	v_xor_b32_e32 v35, 0x80000000, v35
                                        ; implicit-def: $vgpr28_vgpr29
.LBB123_99:
	s_andn2_saveexec_b64 s[2:3], s[2:3]
	s_cbranch_execz .LBB123_101
; %bb.100:
	v_div_scale_f64 v[0:1], s[10:11], v[28:29], v[28:29], v[30:31]
	v_rcp_f64_e32 v[2:3], v[0:1]
	v_div_scale_f64 v[32:33], vcc, v[30:31], v[28:29], v[30:31]
	v_fma_f64 v[34:35], -v[0:1], v[2:3], 1.0
	v_fmac_f64_e32 v[2:3], v[2:3], v[34:35]
	v_fma_f64 v[34:35], -v[0:1], v[2:3], 1.0
	v_fmac_f64_e32 v[2:3], v[2:3], v[34:35]
	v_mul_f64 v[34:35], v[32:33], v[2:3]
	v_fma_f64 v[0:1], -v[0:1], v[34:35], v[32:33]
	v_div_fmas_f64 v[0:1], v[0:1], v[2:3], v[34:35]
	v_div_fixup_f64 v[0:1], v[0:1], v[28:29], v[30:31]
	v_fmac_f64_e32 v[28:29], v[30:31], v[0:1]
	v_div_scale_f64 v[2:3], s[10:11], v[28:29], v[28:29], 1.0
	v_rcp_f64_e32 v[30:31], v[2:3]
	s_nop 0
	v_fma_f64 v[32:33], -v[2:3], v[30:31], 1.0
	v_fmac_f64_e32 v[30:31], v[30:31], v[32:33]
	v_fma_f64 v[32:33], -v[2:3], v[30:31], 1.0
	v_fmac_f64_e32 v[30:31], v[30:31], v[32:33]
	v_div_scale_f64 v[32:33], vcc, 1.0, v[28:29], 1.0
	v_mul_f64 v[34:35], v[32:33], v[30:31]
	v_fma_f64 v[2:3], -v[2:3], v[34:35], v[32:33]
	s_nop 1
	v_div_fmas_f64 v[2:3], v[2:3], v[30:31], v[34:35]
	v_div_fixup_f64 v[32:33], v[2:3], v[28:29], 1.0
	v_mul_f64 v[34:35], v[0:1], -v[32:33]
.LBB123_101:
	s_or_b64 exec, exec, s[2:3]
	ds_write2_b64 v249, v[32:33], v[34:35] offset1:1
.LBB123_102:
	s_or_b64 exec, exec, s[4:5]
	s_waitcnt lgkmcnt(0)
	s_barrier
	ds_read2_b64 v[28:31], v249 offset1:1
	v_cmp_lt_u32_e32 vcc, 7, v248
	s_and_saveexec_b64 s[2:3], vcc
	s_cbranch_execz .LBB123_105
; %bb.103:
	scratch_load_dwordx4 v[38:41], off, off offset:112
	v_add_u32_e32 v36, 0x80, v250
	s_movk_i32 s4, 0xfca0
	s_waitcnt vmcnt(0) lgkmcnt(0)
	v_mul_f64 v[0:1], v[30:31], v[40:41]
	v_mul_f64 v[34:35], v[28:29], v[40:41]
	v_fma_f64 v[32:33], v[28:29], v[38:39], -v[0:1]
	v_fmac_f64_e32 v[34:35], v[30:31], v[38:39]
	scratch_store_dwordx4 off, v[32:35], off offset:112
.LBB123_104:                            ; =>This Inner Loop Header: Depth=1
	s_add_i32 s11, s4, 0x3e0
	scratch_load_dwordx4 v[38:41], off, s11
	v_add_u32_e32 v37, s4, v36
	ds_read2_b64 v[42:45], v37 offset0:108 offset1:109
	ds_read2_b64 v[46:49], v37 offset0:110 offset1:111
	s_add_i32 s10, s4, 0x3f0
	scratch_load_dwordx4 v[50:53], off, s10
	s_add_i32 s48, s4, 0x460
	s_waitcnt lgkmcnt(1)
	v_mul_f64 v[0:1], v[44:45], v[34:35]
	v_mul_f64 v[2:3], v[42:43], v[34:35]
	v_fma_f64 v[0:1], v[42:43], v[32:33], -v[0:1]
	v_fmac_f64_e32 v[2:3], v[44:45], v[32:33]
	s_add_i32 s5, s4, 0x450
	s_waitcnt vmcnt(1)
	v_add_f64 v[32:33], v[38:39], -v[0:1]
	v_add_f64 v[34:35], v[40:41], -v[2:3]
	scratch_store_dwordx4 off, v[32:35], s11
	scratch_load_dwordx4 v[32:35], off, off offset:112
	s_add_i32 s11, s4, 0x400
	scratch_load_dwordx4 v[38:41], off, s48
	s_waitcnt vmcnt(1) lgkmcnt(0)
	v_mul_f64 v[0:1], v[48:49], v[34:35]
	v_mul_f64 v[2:3], v[46:47], v[34:35]
	v_fma_f64 v[0:1], v[46:47], v[32:33], -v[0:1]
	v_fmac_f64_e32 v[2:3], v[48:49], v[32:33]
	v_add_f64 v[32:33], v[50:51], -v[0:1]
	v_add_f64 v[34:35], v[52:53], -v[2:3]
	scratch_store_dwordx4 off, v[32:35], s10
	scratch_load_dwordx4 v[32:35], off, off offset:112
	s_nop 0
	scratch_load_dwordx4 v[42:45], off, s11
	ds_read2_b64 v[46:49], v37 offset0:112 offset1:113
	ds_read2_b64 v[50:53], v37 offset0:114 offset1:115
	s_add_i32 s10, s4, 0x410
	scratch_load_dwordx4 v[54:57], off, s10
	s_waitcnt vmcnt(2) lgkmcnt(1)
	v_mul_f64 v[0:1], v[48:49], v[34:35]
	v_mul_f64 v[2:3], v[46:47], v[34:35]
	v_fma_f64 v[0:1], v[46:47], v[32:33], -v[0:1]
	v_fmac_f64_e32 v[2:3], v[48:49], v[32:33]
	s_waitcnt vmcnt(1)
	v_add_f64 v[32:33], v[42:43], -v[0:1]
	v_add_f64 v[34:35], v[44:45], -v[2:3]
	scratch_store_dwordx4 off, v[32:35], s11
	scratch_load_dwordx4 v[32:35], off, off offset:112
	s_add_i32 s11, s4, 0x420
	s_waitcnt vmcnt(0) lgkmcnt(0)
	v_mul_f64 v[0:1], v[52:53], v[34:35]
	v_mul_f64 v[2:3], v[50:51], v[34:35]
	v_fma_f64 v[0:1], v[50:51], v[32:33], -v[0:1]
	v_fmac_f64_e32 v[2:3], v[52:53], v[32:33]
	v_add_f64 v[32:33], v[54:55], -v[0:1]
	v_add_f64 v[34:35], v[56:57], -v[2:3]
	scratch_store_dwordx4 off, v[32:35], s10
	scratch_load_dwordx4 v[32:35], off, off offset:112
	s_nop 0
	scratch_load_dwordx4 v[42:45], off, s11
	ds_read2_b64 v[46:49], v37 offset0:116 offset1:117
	ds_read2_b64 v[50:53], v37 offset0:118 offset1:119
	s_add_i32 s10, s4, 0x430
	scratch_load_dwordx4 v[54:57], off, s10
	s_waitcnt vmcnt(2) lgkmcnt(1)
	v_mul_f64 v[0:1], v[48:49], v[34:35]
	v_mul_f64 v[2:3], v[46:47], v[34:35]
	v_fma_f64 v[0:1], v[46:47], v[32:33], -v[0:1]
	v_fmac_f64_e32 v[2:3], v[48:49], v[32:33]
	s_waitcnt vmcnt(1)
	v_add_f64 v[32:33], v[42:43], -v[0:1]
	v_add_f64 v[34:35], v[44:45], -v[2:3]
	scratch_store_dwordx4 off, v[32:35], s11
	scratch_load_dwordx4 v[32:35], off, off offset:112
	s_add_i32 s11, s4, 0x440
	scratch_load_dwordx4 v[42:45], off, s11
	s_addk_i32 s4, 0x90
	s_cmp_lg_u32 s4, 0
	s_waitcnt vmcnt(1) lgkmcnt(0)
	v_mul_f64 v[0:1], v[52:53], v[34:35]
	v_mul_f64 v[2:3], v[50:51], v[34:35]
	v_fma_f64 v[0:1], v[50:51], v[32:33], -v[0:1]
	v_fmac_f64_e32 v[2:3], v[52:53], v[32:33]
	v_add_f64 v[32:33], v[54:55], -v[0:1]
	v_add_f64 v[34:35], v[56:57], -v[2:3]
	scratch_store_dwordx4 off, v[32:35], s10
	scratch_load_dwordx4 v[32:35], off, off offset:112
	s_nop 0
	scratch_load_dwordx4 v[46:49], off, s5
	ds_read2_b64 v[50:53], v37 offset0:120 offset1:121
	ds_read2_b64 v[54:57], v37 offset0:122 offset1:123
	;; [unrolled: 1-line block ×3, first 2 shown]
	s_waitcnt vmcnt(1) lgkmcnt(2)
	v_mul_f64 v[0:1], v[52:53], v[34:35]
	v_mul_f64 v[2:3], v[50:51], v[34:35]
	s_waitcnt lgkmcnt(1)
	v_mul_f64 v[62:63], v[56:57], v[34:35]
	v_mul_f64 v[64:65], v[54:55], v[34:35]
	s_waitcnt lgkmcnt(0)
	v_mul_f64 v[66:67], v[60:61], v[34:35]
	v_mul_f64 v[68:69], v[58:59], v[34:35]
	v_fma_f64 v[0:1], v[50:51], v[32:33], -v[0:1]
	v_fmac_f64_e32 v[2:3], v[52:53], v[32:33]
	v_fma_f64 v[50:51], v[54:55], v[32:33], -v[62:63]
	v_fmac_f64_e32 v[64:65], v[56:57], v[32:33]
	;; [unrolled: 2-line block ×3, first 2 shown]
	v_add_f64 v[42:43], v[42:43], -v[0:1]
	v_add_f64 v[44:45], v[44:45], -v[2:3]
	s_waitcnt vmcnt(0)
	v_add_f64 v[46:47], v[46:47], -v[50:51]
	v_add_f64 v[48:49], v[48:49], -v[64:65]
	v_add_f64 v[38:39], v[38:39], -v[52:53]
	v_add_f64 v[40:41], v[40:41], -v[68:69]
	scratch_store_dwordx4 off, v[42:45], s11
	scratch_store_dwordx4 off, v[46:49], s5
	;; [unrolled: 1-line block ×3, first 2 shown]
	s_cbranch_scc1 .LBB123_104
.LBB123_105:
	s_or_b64 exec, exec, s[2:3]
	v_cmp_eq_u32_e32 vcc, 8, v248
	s_waitcnt lgkmcnt(0)
	s_barrier
	s_and_saveexec_b64 s[4:5], vcc
	s_cbranch_execz .LBB123_116
; %bb.106:
	scratch_load_dwordx4 v[34:37], off, s65
	v_add_u32_e32 v32, 0x90, v250
	s_movk_i32 s10, 0xfd00
	s_waitcnt vmcnt(0)
	ds_write2_b64 v249, v[34:35], v[36:37] offset1:1
	s_branch .LBB123_108
.LBB123_107:                            ;   in Loop: Header=BB123_108 Depth=1
	s_add_i32 s3, s2, 0x3e0
	s_add_i32 s11, s2, 0x3f0
	scratch_load_dwordx4 v[34:37], off, s3
	scratch_load_dwordx4 v[38:41], off, s11
	s_addk_i32 s2, 0x400
	scratch_load_dwordx4 v[42:45], off, s2
	s_addk_i32 s10, 0x80
	s_waitcnt vmcnt(2)
	ds_write2_b64 v33, v[34:35], v[36:37] offset0:106 offset1:107
	s_waitcnt vmcnt(1)
	ds_write2_b64 v33, v[38:39], v[40:41] offset0:108 offset1:109
	;; [unrolled: 2-line block ×3, first 2 shown]
	s_cbranch_execz .LBB123_110
.LBB123_108:                            ; =>This Inner Loop Header: Depth=1
	s_add_i32 s3, s10, 0x390
	s_add_i32 s11, s10, 0x3a0
	scratch_load_dwordx4 v[34:37], off, s3
	scratch_load_dwordx4 v[38:41], off, s11
	s_add_i32 s3, s10, 0x3b0
	s_add_i32 s11, s10, 0x3c0
	scratch_load_dwordx4 v[42:45], off, s3
	scratch_load_dwordx4 v[46:49], off, s11
	s_add_i32 s3, s10, 0x3d0
	scratch_load_dwordx4 v[50:53], off, s3
	s_mov_b32 s2, s10
	v_add_u32_e32 v33, s10, v32
	s_cmp_eq_u32 s10, 0
	s_waitcnt vmcnt(4)
	ds_write2_b64 v33, v[34:35], v[36:37] offset0:96 offset1:97
	s_waitcnt vmcnt(3)
	ds_write2_b64 v33, v[38:39], v[40:41] offset0:98 offset1:99
	;; [unrolled: 2-line block ×5, first 2 shown]
	s_cbranch_scc0 .LBB123_107
; %bb.109:
                                        ; implicit-def: $sgpr10
.LBB123_110:
	ds_read2_b64 v[32:35], v249 offset1:1
	s_waitcnt lgkmcnt(0)
	v_cmp_neq_f64_e32 vcc, 0, v[32:33]
	v_cmp_neq_f64_e64 s[2:3], 0, v[34:35]
	s_or_b64 s[2:3], vcc, s[2:3]
	s_and_b64 exec, exec, s[2:3]
	s_cbranch_execz .LBB123_116
; %bb.111:
	v_cmp_ngt_f64_e64 s[2:3], |v[32:33]|, |v[34:35]|
                                        ; implicit-def: $vgpr36_vgpr37
	s_and_saveexec_b64 s[10:11], s[2:3]
	s_xor_b64 s[2:3], exec, s[10:11]
                                        ; implicit-def: $vgpr38_vgpr39
	s_cbranch_execz .LBB123_113
; %bb.112:
	v_div_scale_f64 v[0:1], s[10:11], v[34:35], v[34:35], v[32:33]
	v_rcp_f64_e32 v[2:3], v[0:1]
	v_div_scale_f64 v[36:37], vcc, v[32:33], v[34:35], v[32:33]
	v_fma_f64 v[38:39], -v[0:1], v[2:3], 1.0
	v_fmac_f64_e32 v[2:3], v[2:3], v[38:39]
	v_fma_f64 v[38:39], -v[0:1], v[2:3], 1.0
	v_fmac_f64_e32 v[2:3], v[2:3], v[38:39]
	v_mul_f64 v[38:39], v[36:37], v[2:3]
	v_fma_f64 v[0:1], -v[0:1], v[38:39], v[36:37]
	v_div_fmas_f64 v[0:1], v[0:1], v[2:3], v[38:39]
	v_div_fixup_f64 v[0:1], v[0:1], v[34:35], v[32:33]
	v_fmac_f64_e32 v[34:35], v[32:33], v[0:1]
	v_div_scale_f64 v[2:3], s[10:11], v[34:35], v[34:35], 1.0
	v_rcp_f64_e32 v[32:33], v[2:3]
	s_nop 0
	v_fma_f64 v[36:37], -v[2:3], v[32:33], 1.0
	v_fmac_f64_e32 v[32:33], v[32:33], v[36:37]
	v_fma_f64 v[36:37], -v[2:3], v[32:33], 1.0
	v_fmac_f64_e32 v[32:33], v[32:33], v[36:37]
	v_div_scale_f64 v[36:37], vcc, 1.0, v[34:35], 1.0
	v_mul_f64 v[38:39], v[36:37], v[32:33]
	v_fma_f64 v[2:3], -v[2:3], v[38:39], v[36:37]
	s_nop 1
	v_div_fmas_f64 v[2:3], v[2:3], v[32:33], v[38:39]
	v_div_fixup_f64 v[38:39], v[2:3], v[34:35], 1.0
	v_mul_f64 v[36:37], v[0:1], v[38:39]
	v_xor_b32_e32 v39, 0x80000000, v39
                                        ; implicit-def: $vgpr32_vgpr33
.LBB123_113:
	s_andn2_saveexec_b64 s[2:3], s[2:3]
	s_cbranch_execz .LBB123_115
; %bb.114:
	v_div_scale_f64 v[0:1], s[10:11], v[32:33], v[32:33], v[34:35]
	v_rcp_f64_e32 v[2:3], v[0:1]
	v_div_scale_f64 v[36:37], vcc, v[34:35], v[32:33], v[34:35]
	v_fma_f64 v[38:39], -v[0:1], v[2:3], 1.0
	v_fmac_f64_e32 v[2:3], v[2:3], v[38:39]
	v_fma_f64 v[38:39], -v[0:1], v[2:3], 1.0
	v_fmac_f64_e32 v[2:3], v[2:3], v[38:39]
	v_mul_f64 v[38:39], v[36:37], v[2:3]
	v_fma_f64 v[0:1], -v[0:1], v[38:39], v[36:37]
	v_div_fmas_f64 v[0:1], v[0:1], v[2:3], v[38:39]
	v_div_fixup_f64 v[0:1], v[0:1], v[32:33], v[34:35]
	v_fmac_f64_e32 v[32:33], v[34:35], v[0:1]
	v_div_scale_f64 v[2:3], s[10:11], v[32:33], v[32:33], 1.0
	v_rcp_f64_e32 v[34:35], v[2:3]
	s_nop 0
	v_fma_f64 v[36:37], -v[2:3], v[34:35], 1.0
	v_fmac_f64_e32 v[34:35], v[34:35], v[36:37]
	v_fma_f64 v[36:37], -v[2:3], v[34:35], 1.0
	v_fmac_f64_e32 v[34:35], v[34:35], v[36:37]
	v_div_scale_f64 v[36:37], vcc, 1.0, v[32:33], 1.0
	v_mul_f64 v[38:39], v[36:37], v[34:35]
	v_fma_f64 v[2:3], -v[2:3], v[38:39], v[36:37]
	s_nop 1
	v_div_fmas_f64 v[2:3], v[2:3], v[34:35], v[38:39]
	v_div_fixup_f64 v[36:37], v[2:3], v[32:33], 1.0
	v_mul_f64 v[38:39], v[0:1], -v[36:37]
.LBB123_115:
	s_or_b64 exec, exec, s[2:3]
	ds_write2_b64 v249, v[36:37], v[38:39] offset1:1
.LBB123_116:
	s_or_b64 exec, exec, s[4:5]
	s_waitcnt lgkmcnt(0)
	s_barrier
	ds_read2_b64 v[32:35], v249 offset1:1
	v_cmp_lt_u32_e32 vcc, 8, v248
	s_and_saveexec_b64 s[2:3], vcc
	s_cbranch_execz .LBB123_121
; %bb.117:
	scratch_load_dwordx4 v[42:45], off, off offset:128
	v_add_u32_e32 v40, 0x90, v250
	s_movk_i32 s10, 0xfd00
	s_waitcnt vmcnt(0) lgkmcnt(0)
	v_mul_f64 v[0:1], v[34:35], v[44:45]
	v_mul_f64 v[38:39], v[32:33], v[44:45]
	v_fma_f64 v[36:37], v[32:33], v[42:43], -v[0:1]
	v_fmac_f64_e32 v[38:39], v[34:35], v[42:43]
	scratch_store_dwordx4 off, v[36:39], off offset:128
	s_branch .LBB123_119
.LBB123_118:                            ;   in Loop: Header=BB123_119 Depth=1
	scratch_load_dwordx4 v[36:39], off, off offset:128
	s_add_i32 s5, s4, 0x3e0
	scratch_load_dwordx4 v[42:45], off, s5
	ds_read2_b64 v[46:49], v41 offset0:106 offset1:107
	ds_read2_b64 v[50:53], v41 offset0:108 offset1:109
	s_add_i32 s11, s4, 0x3f0
	s_addk_i32 s4, 0x400
	scratch_load_dwordx4 v[54:57], off, s11
	scratch_load_dwordx4 v[58:61], off, s4
	s_addk_i32 s10, 0x80
	s_waitcnt vmcnt(3) lgkmcnt(1)
	v_mul_f64 v[0:1], v[48:49], v[38:39]
	v_mul_f64 v[2:3], v[46:47], v[38:39]
	v_fma_f64 v[0:1], v[46:47], v[36:37], -v[0:1]
	v_fmac_f64_e32 v[2:3], v[48:49], v[36:37]
	s_waitcnt vmcnt(2)
	v_add_f64 v[36:37], v[42:43], -v[0:1]
	v_add_f64 v[38:39], v[44:45], -v[2:3]
	scratch_store_dwordx4 off, v[36:39], s5
	scratch_load_dwordx4 v[36:39], off, off offset:128
	ds_read2_b64 v[42:45], v41 offset0:110 offset1:111
	s_waitcnt vmcnt(0) lgkmcnt(1)
	v_mul_f64 v[0:1], v[52:53], v[38:39]
	v_mul_f64 v[2:3], v[50:51], v[38:39]
	v_fma_f64 v[0:1], v[50:51], v[36:37], -v[0:1]
	v_fmac_f64_e32 v[2:3], v[52:53], v[36:37]
	v_add_f64 v[36:37], v[54:55], -v[0:1]
	v_add_f64 v[38:39], v[56:57], -v[2:3]
	scratch_store_dwordx4 off, v[36:39], s11
	scratch_load_dwordx4 v[36:39], off, off offset:128
	s_waitcnt vmcnt(0) lgkmcnt(0)
	v_mul_f64 v[0:1], v[44:45], v[38:39]
	v_mul_f64 v[2:3], v[42:43], v[38:39]
	v_fma_f64 v[0:1], v[42:43], v[36:37], -v[0:1]
	v_fmac_f64_e32 v[2:3], v[44:45], v[36:37]
	v_add_f64 v[42:43], v[58:59], -v[0:1]
	v_add_f64 v[44:45], v[60:61], -v[2:3]
	scratch_store_dwordx4 off, v[42:45], s4
	s_cbranch_execz .LBB123_121
.LBB123_119:                            ; =>This Inner Loop Header: Depth=1
	s_add_i32 s5, s10, 0x390
	scratch_load_dwordx4 v[42:45], off, s5
	v_add_u32_e32 v41, s10, v40
	ds_read2_b64 v[46:49], v41 offset0:96 offset1:97
	ds_read2_b64 v[50:53], v41 offset0:98 offset1:99
	s_add_i32 s11, s10, 0x3a0
	scratch_load_dwordx4 v[54:57], off, s11
	s_add_i32 s48, s10, 0x3c0
	s_waitcnt lgkmcnt(1)
	v_mul_f64 v[0:1], v[48:49], v[38:39]
	v_mul_f64 v[2:3], v[46:47], v[38:39]
	v_fma_f64 v[0:1], v[46:47], v[36:37], -v[0:1]
	v_fmac_f64_e32 v[2:3], v[48:49], v[36:37]
	s_mov_b32 s4, s10
	s_waitcnt vmcnt(1)
	v_add_f64 v[36:37], v[42:43], -v[0:1]
	v_add_f64 v[38:39], v[44:45], -v[2:3]
	scratch_store_dwordx4 off, v[36:39], s5
	scratch_load_dwordx4 v[36:39], off, off offset:128
	s_add_i32 s5, s10, 0x3d0
	scratch_load_dwordx4 v[42:45], off, s5
	s_waitcnt vmcnt(1) lgkmcnt(0)
	v_mul_f64 v[0:1], v[52:53], v[38:39]
	v_mul_f64 v[2:3], v[50:51], v[38:39]
	v_fma_f64 v[0:1], v[50:51], v[36:37], -v[0:1]
	v_fmac_f64_e32 v[2:3], v[52:53], v[36:37]
	v_add_f64 v[36:37], v[54:55], -v[0:1]
	v_add_f64 v[38:39], v[56:57], -v[2:3]
	scratch_store_dwordx4 off, v[36:39], s11
	scratch_load_dwordx4 v[36:39], off, off offset:128
	s_add_i32 s11, s10, 0x3b0
	scratch_load_dwordx4 v[46:49], off, s11
	ds_read2_b64 v[50:53], v41 offset0:100 offset1:101
	ds_read2_b64 v[54:57], v41 offset0:102 offset1:103
	scratch_load_dwordx4 v[58:61], off, s48
	s_cmp_eq_u32 s10, 0
	s_waitcnt vmcnt(2) lgkmcnt(1)
	v_mul_f64 v[0:1], v[52:53], v[38:39]
	v_mul_f64 v[2:3], v[50:51], v[38:39]
	v_fma_f64 v[0:1], v[50:51], v[36:37], -v[0:1]
	v_fmac_f64_e32 v[2:3], v[52:53], v[36:37]
	s_waitcnt vmcnt(1)
	v_add_f64 v[36:37], v[46:47], -v[0:1]
	v_add_f64 v[38:39], v[48:49], -v[2:3]
	scratch_store_dwordx4 off, v[36:39], s11
	scratch_load_dwordx4 v[36:39], off, off offset:128
	ds_read2_b64 v[46:49], v41 offset0:104 offset1:105
	s_waitcnt vmcnt(0) lgkmcnt(1)
	v_mul_f64 v[0:1], v[56:57], v[38:39]
	v_mul_f64 v[2:3], v[54:55], v[38:39]
	v_fma_f64 v[0:1], v[54:55], v[36:37], -v[0:1]
	v_fmac_f64_e32 v[2:3], v[56:57], v[36:37]
	v_add_f64 v[36:37], v[58:59], -v[0:1]
	v_add_f64 v[38:39], v[60:61], -v[2:3]
	scratch_store_dwordx4 off, v[36:39], s48
	scratch_load_dwordx4 v[36:39], off, off offset:128
	s_waitcnt vmcnt(0) lgkmcnt(0)
	v_mul_f64 v[0:1], v[48:49], v[38:39]
	v_mul_f64 v[2:3], v[46:47], v[38:39]
	v_fma_f64 v[0:1], v[46:47], v[36:37], -v[0:1]
	v_fmac_f64_e32 v[2:3], v[48:49], v[36:37]
	v_add_f64 v[36:37], v[42:43], -v[0:1]
	v_add_f64 v[38:39], v[44:45], -v[2:3]
	scratch_store_dwordx4 off, v[36:39], s5
	s_cbranch_scc0 .LBB123_118
; %bb.120:
                                        ; implicit-def: $vgpr36_vgpr37
                                        ; implicit-def: $sgpr10
.LBB123_121:
	s_or_b64 exec, exec, s[2:3]
	v_cmp_eq_u32_e32 vcc, 9, v248
	s_waitcnt lgkmcnt(0)
	s_barrier
	s_and_saveexec_b64 s[4:5], vcc
	s_cbranch_execz .LBB123_130
; %bb.122:
	scratch_load_dwordx4 v[38:41], off, s64
	v_add_u32_e32 v36, 0xa0, v250
	s_movk_i32 s2, 0xfcc0
	s_waitcnt vmcnt(0)
	ds_write2_b64 v249, v[38:39], v[40:41] offset1:1
.LBB123_123:                            ; =>This Inner Loop Header: Depth=1
	s_add_i32 s10, s2, 0x3e0
	s_add_i32 s11, s2, 0x3f0
	;; [unrolled: 1-line block ×13, first 2 shown]
	scratch_load_dwordx4 v[38:41], off, s10
	scratch_load_dwordx4 v[42:45], off, s11
	;; [unrolled: 1-line block ×13, first 2 shown]
	v_add_u32_e32 v0, s2, v36
	s_addk_i32 s2, 0xd0
	s_cmp_lg_u32 s2, 0
	s_waitcnt vmcnt(12)
	ds_write2_b64 v0, v[38:39], v[40:41] offset0:104 offset1:105
	s_waitcnt vmcnt(11)
	ds_write2_b64 v0, v[42:43], v[44:45] offset0:106 offset1:107
	;; [unrolled: 2-line block ×13, first 2 shown]
	s_cbranch_scc1 .LBB123_123
; %bb.124:
	ds_read2_b64 v[36:39], v249 offset1:1
	s_waitcnt lgkmcnt(0)
	v_cmp_neq_f64_e32 vcc, 0, v[36:37]
	v_cmp_neq_f64_e64 s[2:3], 0, v[38:39]
	s_or_b64 s[2:3], vcc, s[2:3]
	s_and_b64 exec, exec, s[2:3]
	s_cbranch_execz .LBB123_130
; %bb.125:
	v_cmp_ngt_f64_e64 s[2:3], |v[36:37]|, |v[38:39]|
                                        ; implicit-def: $vgpr40_vgpr41
	s_and_saveexec_b64 s[10:11], s[2:3]
	s_xor_b64 s[2:3], exec, s[10:11]
                                        ; implicit-def: $vgpr42_vgpr43
	s_cbranch_execz .LBB123_127
; %bb.126:
	v_div_scale_f64 v[0:1], s[10:11], v[38:39], v[38:39], v[36:37]
	v_rcp_f64_e32 v[2:3], v[0:1]
	v_div_scale_f64 v[40:41], vcc, v[36:37], v[38:39], v[36:37]
	v_fma_f64 v[42:43], -v[0:1], v[2:3], 1.0
	v_fmac_f64_e32 v[2:3], v[2:3], v[42:43]
	v_fma_f64 v[42:43], -v[0:1], v[2:3], 1.0
	v_fmac_f64_e32 v[2:3], v[2:3], v[42:43]
	v_mul_f64 v[42:43], v[40:41], v[2:3]
	v_fma_f64 v[0:1], -v[0:1], v[42:43], v[40:41]
	v_div_fmas_f64 v[0:1], v[0:1], v[2:3], v[42:43]
	v_div_fixup_f64 v[0:1], v[0:1], v[38:39], v[36:37]
	v_fmac_f64_e32 v[38:39], v[36:37], v[0:1]
	v_div_scale_f64 v[2:3], s[10:11], v[38:39], v[38:39], 1.0
	v_rcp_f64_e32 v[36:37], v[2:3]
	s_nop 0
	v_fma_f64 v[40:41], -v[2:3], v[36:37], 1.0
	v_fmac_f64_e32 v[36:37], v[36:37], v[40:41]
	v_fma_f64 v[40:41], -v[2:3], v[36:37], 1.0
	v_fmac_f64_e32 v[36:37], v[36:37], v[40:41]
	v_div_scale_f64 v[40:41], vcc, 1.0, v[38:39], 1.0
	v_mul_f64 v[42:43], v[40:41], v[36:37]
	v_fma_f64 v[2:3], -v[2:3], v[42:43], v[40:41]
	s_nop 1
	v_div_fmas_f64 v[2:3], v[2:3], v[36:37], v[42:43]
	v_div_fixup_f64 v[42:43], v[2:3], v[38:39], 1.0
	v_mul_f64 v[40:41], v[0:1], v[42:43]
	v_xor_b32_e32 v43, 0x80000000, v43
                                        ; implicit-def: $vgpr36_vgpr37
.LBB123_127:
	s_andn2_saveexec_b64 s[2:3], s[2:3]
	s_cbranch_execz .LBB123_129
; %bb.128:
	v_div_scale_f64 v[0:1], s[10:11], v[36:37], v[36:37], v[38:39]
	v_rcp_f64_e32 v[2:3], v[0:1]
	v_div_scale_f64 v[40:41], vcc, v[38:39], v[36:37], v[38:39]
	v_fma_f64 v[42:43], -v[0:1], v[2:3], 1.0
	v_fmac_f64_e32 v[2:3], v[2:3], v[42:43]
	v_fma_f64 v[42:43], -v[0:1], v[2:3], 1.0
	v_fmac_f64_e32 v[2:3], v[2:3], v[42:43]
	v_mul_f64 v[42:43], v[40:41], v[2:3]
	v_fma_f64 v[0:1], -v[0:1], v[42:43], v[40:41]
	v_div_fmas_f64 v[0:1], v[0:1], v[2:3], v[42:43]
	v_div_fixup_f64 v[0:1], v[0:1], v[36:37], v[38:39]
	v_fmac_f64_e32 v[36:37], v[38:39], v[0:1]
	v_div_scale_f64 v[2:3], s[10:11], v[36:37], v[36:37], 1.0
	v_rcp_f64_e32 v[38:39], v[2:3]
	s_nop 0
	v_fma_f64 v[40:41], -v[2:3], v[38:39], 1.0
	v_fmac_f64_e32 v[38:39], v[38:39], v[40:41]
	v_fma_f64 v[40:41], -v[2:3], v[38:39], 1.0
	v_fmac_f64_e32 v[38:39], v[38:39], v[40:41]
	v_div_scale_f64 v[40:41], vcc, 1.0, v[36:37], 1.0
	v_mul_f64 v[42:43], v[40:41], v[38:39]
	v_fma_f64 v[2:3], -v[2:3], v[42:43], v[40:41]
	s_nop 1
	v_div_fmas_f64 v[2:3], v[2:3], v[38:39], v[42:43]
	v_div_fixup_f64 v[40:41], v[2:3], v[36:37], 1.0
	v_mul_f64 v[42:43], v[0:1], -v[40:41]
.LBB123_129:
	s_or_b64 exec, exec, s[2:3]
	ds_write2_b64 v249, v[40:41], v[42:43] offset1:1
.LBB123_130:
	s_or_b64 exec, exec, s[4:5]
	s_waitcnt lgkmcnt(0)
	s_barrier
	ds_read2_b64 v[36:39], v249 offset1:1
	v_cmp_lt_u32_e32 vcc, 9, v248
	s_and_saveexec_b64 s[2:3], vcc
	s_cbranch_execz .LBB123_133
; %bb.131:
	scratch_load_dwordx4 v[42:45], off, off offset:144
	v_add_u32_e32 v40, 0xa0, v250
	s_movk_i32 s4, 0xfcc0
	s_waitcnt vmcnt(0) lgkmcnt(0)
	v_mul_f64 v[0:1], v[38:39], v[44:45]
	v_mul_f64 v[46:47], v[36:37], v[44:45]
	v_fma_f64 v[44:45], v[36:37], v[42:43], -v[0:1]
	v_fmac_f64_e32 v[46:47], v[38:39], v[42:43]
	scratch_store_dwordx4 off, v[44:47], off offset:144
.LBB123_132:                            ; =>This Inner Loop Header: Depth=1
	scratch_load_dwordx4 v[42:45], off, off offset:144
	s_add_i32 s10, s4, 0x3e0
	scratch_load_dwordx4 v[46:49], off, s10
	v_add_u32_e32 v41, s4, v40
	ds_read2_b64 v[50:53], v41 offset0:104 offset1:105
	ds_read2_b64 v[54:57], v41 offset0:106 offset1:107
	s_add_i32 s11, s4, 0x3f0
	scratch_load_dwordx4 v[58:61], off, s11
	s_add_i32 s5, s4, 0x410
	s_waitcnt vmcnt(2) lgkmcnt(1)
	v_mul_f64 v[0:1], v[52:53], v[44:45]
	v_mul_f64 v[2:3], v[50:51], v[44:45]
	v_fma_f64 v[0:1], v[50:51], v[42:43], -v[0:1]
	v_fmac_f64_e32 v[2:3], v[52:53], v[42:43]
	s_waitcnt vmcnt(1)
	v_add_f64 v[42:43], v[46:47], -v[0:1]
	v_add_f64 v[44:45], v[48:49], -v[2:3]
	scratch_store_dwordx4 off, v[42:45], s10
	scratch_load_dwordx4 v[42:45], off, off offset:144
	s_add_i32 s10, s4, 0x400
	s_add_i32 s4, s4, 64
	s_cmp_lg_u32 s4, 0
	s_waitcnt vmcnt(0) lgkmcnt(0)
	v_mul_f64 v[0:1], v[56:57], v[44:45]
	v_mul_f64 v[2:3], v[54:55], v[44:45]
	v_fma_f64 v[0:1], v[54:55], v[42:43], -v[0:1]
	v_fmac_f64_e32 v[2:3], v[56:57], v[42:43]
	v_add_f64 v[42:43], v[58:59], -v[0:1]
	v_add_f64 v[44:45], v[60:61], -v[2:3]
	scratch_store_dwordx4 off, v[42:45], s11
	scratch_load_dwordx4 v[42:45], off, off offset:144
	s_nop 0
	scratch_load_dwordx4 v[46:49], off, s10
	ds_read2_b64 v[50:53], v41 offset0:108 offset1:109
	ds_read2_b64 v[54:57], v41 offset0:110 offset1:111
	scratch_load_dwordx4 v[58:61], off, s5
	s_waitcnt vmcnt(2) lgkmcnt(1)
	v_mul_f64 v[0:1], v[52:53], v[44:45]
	v_mul_f64 v[2:3], v[50:51], v[44:45]
	v_fma_f64 v[0:1], v[50:51], v[42:43], -v[0:1]
	v_fmac_f64_e32 v[2:3], v[52:53], v[42:43]
	s_waitcnt vmcnt(1)
	v_add_f64 v[42:43], v[46:47], -v[0:1]
	v_add_f64 v[44:45], v[48:49], -v[2:3]
	scratch_store_dwordx4 off, v[42:45], s10
	scratch_load_dwordx4 v[42:45], off, off offset:144
	s_waitcnt vmcnt(0) lgkmcnt(0)
	v_mul_f64 v[0:1], v[56:57], v[44:45]
	v_mul_f64 v[2:3], v[54:55], v[44:45]
	v_fma_f64 v[0:1], v[54:55], v[42:43], -v[0:1]
	v_fmac_f64_e32 v[2:3], v[56:57], v[42:43]
	v_add_f64 v[42:43], v[58:59], -v[0:1]
	v_add_f64 v[44:45], v[60:61], -v[2:3]
	scratch_store_dwordx4 off, v[42:45], s5
	s_cbranch_scc1 .LBB123_132
.LBB123_133:
	s_or_b64 exec, exec, s[2:3]
	v_cmp_eq_u32_e32 vcc, 10, v248
	s_waitcnt lgkmcnt(0)
	s_barrier
	s_and_saveexec_b64 s[4:5], vcc
	s_cbranch_execz .LBB123_142
; %bb.134:
	scratch_load_dwordx4 v[42:45], off, s63
	v_add_u32_e32 v40, 0xb0, v250
	s_movk_i32 s2, 0xfcd0
	s_waitcnt vmcnt(0)
	ds_write2_b64 v249, v[42:43], v[44:45] offset1:1
.LBB123_135:                            ; =>This Inner Loop Header: Depth=1
	s_add_i32 s10, s2, 0x3e0
	s_add_i32 s11, s2, 0x3f0
	;; [unrolled: 1-line block ×17, first 2 shown]
	scratch_load_dwordx4 v[42:45], off, s10
	scratch_load_dwordx4 v[46:49], off, s11
	;; [unrolled: 1-line block ×17, first 2 shown]
	v_add_u32_e32 v0, s2, v40
	s_addk_i32 s2, 0x110
	s_cmp_lg_u32 s2, 0
	s_waitcnt vmcnt(16)
	ds_write2_b64 v0, v[42:43], v[44:45] offset0:102 offset1:103
	s_waitcnt vmcnt(15)
	ds_write2_b64 v0, v[46:47], v[48:49] offset0:104 offset1:105
	s_waitcnt vmcnt(14)
	ds_write2_b64 v0, v[50:51], v[52:53] offset0:106 offset1:107
	s_waitcnt vmcnt(13)
	ds_write2_b64 v0, v[54:55], v[56:57] offset0:108 offset1:109
	s_waitcnt vmcnt(12)
	ds_write2_b64 v0, v[58:59], v[60:61] offset0:110 offset1:111
	s_waitcnt vmcnt(11)
	ds_write2_b64 v0, v[62:63], v[64:65] offset0:112 offset1:113
	s_waitcnt vmcnt(10)
	ds_write2_b64 v0, v[66:67], v[68:69] offset0:114 offset1:115
	s_waitcnt vmcnt(9)
	ds_write2_b64 v0, v[70:71], v[72:73] offset0:116 offset1:117
	s_waitcnt vmcnt(8)
	ds_write2_b64 v0, v[74:75], v[76:77] offset0:118 offset1:119
	s_waitcnt vmcnt(7)
	ds_write2_b64 v0, v[78:79], v[80:81] offset0:120 offset1:121
	s_waitcnt vmcnt(6)
	ds_write2_b64 v0, v[82:83], v[84:85] offset0:122 offset1:123
	s_waitcnt vmcnt(5)
	ds_write2_b64 v0, v[86:87], v[88:89] offset0:124 offset1:125
	s_waitcnt vmcnt(4)
	ds_write2_b64 v0, v[90:91], v[92:93] offset0:126 offset1:127
	s_waitcnt vmcnt(3)
	ds_write2_b64 v0, v[94:95], v[96:97] offset0:128 offset1:129
	s_waitcnt vmcnt(2)
	ds_write2_b64 v0, v[98:99], v[100:101] offset0:130 offset1:131
	s_waitcnt vmcnt(1)
	ds_write2_b64 v0, v[102:103], v[104:105] offset0:132 offset1:133
	s_waitcnt vmcnt(0)
	ds_write2_b64 v0, v[106:107], v[108:109] offset0:134 offset1:135
	s_cbranch_scc1 .LBB123_135
; %bb.136:
	ds_read2_b64 v[40:43], v249 offset1:1
	s_waitcnt lgkmcnt(0)
	v_cmp_neq_f64_e32 vcc, 0, v[40:41]
	v_cmp_neq_f64_e64 s[2:3], 0, v[42:43]
	s_or_b64 s[2:3], vcc, s[2:3]
	s_and_b64 exec, exec, s[2:3]
	s_cbranch_execz .LBB123_142
; %bb.137:
	v_cmp_ngt_f64_e64 s[2:3], |v[40:41]|, |v[42:43]|
                                        ; implicit-def: $vgpr44_vgpr45
	s_and_saveexec_b64 s[10:11], s[2:3]
	s_xor_b64 s[2:3], exec, s[10:11]
                                        ; implicit-def: $vgpr46_vgpr47
	s_cbranch_execz .LBB123_139
; %bb.138:
	v_div_scale_f64 v[0:1], s[10:11], v[42:43], v[42:43], v[40:41]
	v_rcp_f64_e32 v[2:3], v[0:1]
	v_div_scale_f64 v[44:45], vcc, v[40:41], v[42:43], v[40:41]
	v_fma_f64 v[46:47], -v[0:1], v[2:3], 1.0
	v_fmac_f64_e32 v[2:3], v[2:3], v[46:47]
	v_fma_f64 v[46:47], -v[0:1], v[2:3], 1.0
	v_fmac_f64_e32 v[2:3], v[2:3], v[46:47]
	v_mul_f64 v[46:47], v[44:45], v[2:3]
	v_fma_f64 v[0:1], -v[0:1], v[46:47], v[44:45]
	v_div_fmas_f64 v[0:1], v[0:1], v[2:3], v[46:47]
	v_div_fixup_f64 v[0:1], v[0:1], v[42:43], v[40:41]
	v_fmac_f64_e32 v[42:43], v[40:41], v[0:1]
	v_div_scale_f64 v[2:3], s[10:11], v[42:43], v[42:43], 1.0
	v_rcp_f64_e32 v[40:41], v[2:3]
	s_nop 0
	v_fma_f64 v[44:45], -v[2:3], v[40:41], 1.0
	v_fmac_f64_e32 v[40:41], v[40:41], v[44:45]
	v_fma_f64 v[44:45], -v[2:3], v[40:41], 1.0
	v_fmac_f64_e32 v[40:41], v[40:41], v[44:45]
	v_div_scale_f64 v[44:45], vcc, 1.0, v[42:43], 1.0
	v_mul_f64 v[46:47], v[44:45], v[40:41]
	v_fma_f64 v[2:3], -v[2:3], v[46:47], v[44:45]
	s_nop 1
	v_div_fmas_f64 v[2:3], v[2:3], v[40:41], v[46:47]
	v_div_fixup_f64 v[46:47], v[2:3], v[42:43], 1.0
	v_mul_f64 v[44:45], v[0:1], v[46:47]
	v_xor_b32_e32 v47, 0x80000000, v47
                                        ; implicit-def: $vgpr40_vgpr41
.LBB123_139:
	s_andn2_saveexec_b64 s[2:3], s[2:3]
	s_cbranch_execz .LBB123_141
; %bb.140:
	v_div_scale_f64 v[0:1], s[10:11], v[40:41], v[40:41], v[42:43]
	v_rcp_f64_e32 v[2:3], v[0:1]
	v_div_scale_f64 v[44:45], vcc, v[42:43], v[40:41], v[42:43]
	v_fma_f64 v[46:47], -v[0:1], v[2:3], 1.0
	v_fmac_f64_e32 v[2:3], v[2:3], v[46:47]
	v_fma_f64 v[46:47], -v[0:1], v[2:3], 1.0
	v_fmac_f64_e32 v[2:3], v[2:3], v[46:47]
	v_mul_f64 v[46:47], v[44:45], v[2:3]
	v_fma_f64 v[0:1], -v[0:1], v[46:47], v[44:45]
	v_div_fmas_f64 v[0:1], v[0:1], v[2:3], v[46:47]
	v_div_fixup_f64 v[0:1], v[0:1], v[40:41], v[42:43]
	v_fmac_f64_e32 v[40:41], v[42:43], v[0:1]
	v_div_scale_f64 v[2:3], s[10:11], v[40:41], v[40:41], 1.0
	v_rcp_f64_e32 v[42:43], v[2:3]
	s_nop 0
	v_fma_f64 v[44:45], -v[2:3], v[42:43], 1.0
	v_fmac_f64_e32 v[42:43], v[42:43], v[44:45]
	v_fma_f64 v[44:45], -v[2:3], v[42:43], 1.0
	v_fmac_f64_e32 v[42:43], v[42:43], v[44:45]
	v_div_scale_f64 v[44:45], vcc, 1.0, v[40:41], 1.0
	v_mul_f64 v[46:47], v[44:45], v[42:43]
	v_fma_f64 v[2:3], -v[2:3], v[46:47], v[44:45]
	s_nop 1
	v_div_fmas_f64 v[2:3], v[2:3], v[42:43], v[46:47]
	v_div_fixup_f64 v[44:45], v[2:3], v[40:41], 1.0
	v_mul_f64 v[46:47], v[0:1], -v[44:45]
.LBB123_141:
	s_or_b64 exec, exec, s[2:3]
	ds_write2_b64 v249, v[44:45], v[46:47] offset1:1
.LBB123_142:
	s_or_b64 exec, exec, s[4:5]
	s_waitcnt lgkmcnt(0)
	s_barrier
	ds_read2_b64 v[40:43], v249 offset1:1
	v_cmp_lt_u32_e32 vcc, 10, v248
	s_and_saveexec_b64 s[2:3], vcc
	s_cbranch_execz .LBB123_145
; %bb.143:
	scratch_load_dwordx4 v[46:49], off, off offset:160
	v_add_u32_e32 v44, 0xb0, v250
	s_movk_i32 s4, 0xfcd0
	s_waitcnt vmcnt(0) lgkmcnt(0)
	v_mul_f64 v[0:1], v[42:43], v[48:49]
	v_mul_f64 v[50:51], v[40:41], v[48:49]
	v_fma_f64 v[48:49], v[40:41], v[46:47], -v[0:1]
	v_fmac_f64_e32 v[50:51], v[42:43], v[46:47]
	scratch_store_dwordx4 off, v[48:51], off offset:160
.LBB123_144:                            ; =>This Inner Loop Header: Depth=1
	scratch_load_dwordx4 v[46:49], off, off offset:160
	s_add_i32 s10, s4, 0x3e0
	scratch_load_dwordx4 v[50:53], off, s10
	v_add_u32_e32 v45, s4, v44
	ds_read2_b64 v[54:57], v45 offset0:102 offset1:103
	ds_read2_b64 v[58:61], v45 offset0:104 offset1:105
	s_add_i32 s11, s4, 0x3f0
	s_add_i32 s5, s4, 0x400
	scratch_load_dwordx4 v[62:65], off, s11
	scratch_load_dwordx4 v[66:69], off, s5
	s_add_i32 s4, s4, 48
	s_cmp_lg_u32 s4, 0
	s_waitcnt vmcnt(3) lgkmcnt(1)
	v_mul_f64 v[0:1], v[56:57], v[48:49]
	v_mul_f64 v[2:3], v[54:55], v[48:49]
	v_fma_f64 v[0:1], v[54:55], v[46:47], -v[0:1]
	v_fmac_f64_e32 v[2:3], v[56:57], v[46:47]
	s_waitcnt vmcnt(2)
	v_add_f64 v[46:47], v[50:51], -v[0:1]
	v_add_f64 v[48:49], v[52:53], -v[2:3]
	scratch_store_dwordx4 off, v[46:49], s10
	scratch_load_dwordx4 v[46:49], off, off offset:160
	ds_read2_b64 v[50:53], v45 offset0:106 offset1:107
	s_waitcnt vmcnt(0) lgkmcnt(1)
	v_mul_f64 v[0:1], v[60:61], v[48:49]
	v_mul_f64 v[2:3], v[58:59], v[48:49]
	v_fma_f64 v[0:1], v[58:59], v[46:47], -v[0:1]
	v_fmac_f64_e32 v[2:3], v[60:61], v[46:47]
	v_add_f64 v[46:47], v[62:63], -v[0:1]
	v_add_f64 v[48:49], v[64:65], -v[2:3]
	scratch_store_dwordx4 off, v[46:49], s11
	scratch_load_dwordx4 v[46:49], off, off offset:160
	s_waitcnt vmcnt(0) lgkmcnt(0)
	v_mul_f64 v[0:1], v[52:53], v[48:49]
	v_mul_f64 v[2:3], v[50:51], v[48:49]
	v_fma_f64 v[0:1], v[50:51], v[46:47], -v[0:1]
	v_fmac_f64_e32 v[2:3], v[52:53], v[46:47]
	v_add_f64 v[46:47], v[66:67], -v[0:1]
	v_add_f64 v[48:49], v[68:69], -v[2:3]
	scratch_store_dwordx4 off, v[46:49], s5
	s_cbranch_scc1 .LBB123_144
.LBB123_145:
	s_or_b64 exec, exec, s[2:3]
	v_cmp_eq_u32_e32 vcc, 11, v248
	s_waitcnt lgkmcnt(0)
	s_barrier
	s_and_saveexec_b64 s[4:5], vcc
	s_cbranch_execz .LBB123_154
; %bb.146:
	scratch_load_dwordx4 v[46:49], off, s62
	v_add_u32_e32 v44, 0xc0, v250
	s_movk_i32 s2, 0xfce0
	s_waitcnt vmcnt(0)
	ds_write2_b64 v249, v[46:47], v[48:49] offset1:1
.LBB123_147:                            ; =>This Inner Loop Header: Depth=1
	s_add_i32 s10, s2, 0x3e0
	s_add_i32 s11, s2, 0x3f0
	s_add_i32 s48, s2, 0x400
	s_add_i32 s49, s2, 0x410
	s_add_i32 s50, s2, 0x420
	s_add_i32 s73, s2, 0x430
	s_add_i32 s74, s2, 0x440
	s_add_i32 s75, s2, 0x450
	s_add_i32 s76, s2, 0x460
	s_add_i32 s3, s2, 0x470
	scratch_load_dwordx4 v[46:49], off, s10
	scratch_load_dwordx4 v[50:53], off, s11
	;; [unrolled: 1-line block ×10, first 2 shown]
	v_add_u32_e32 v0, s2, v44
	s_addk_i32 s2, 0xa0
	s_cmp_lg_u32 s2, 0
	s_waitcnt vmcnt(9)
	ds_write2_b64 v0, v[46:47], v[48:49] offset0:100 offset1:101
	s_waitcnt vmcnt(8)
	ds_write2_b64 v0, v[50:51], v[52:53] offset0:102 offset1:103
	s_waitcnt vmcnt(7)
	ds_write2_b64 v0, v[54:55], v[56:57] offset0:104 offset1:105
	s_waitcnt vmcnt(6)
	ds_write2_b64 v0, v[58:59], v[60:61] offset0:106 offset1:107
	s_waitcnt vmcnt(5)
	ds_write2_b64 v0, v[62:63], v[64:65] offset0:108 offset1:109
	s_waitcnt vmcnt(4)
	ds_write2_b64 v0, v[66:67], v[68:69] offset0:110 offset1:111
	s_waitcnt vmcnt(3)
	ds_write2_b64 v0, v[70:71], v[72:73] offset0:112 offset1:113
	s_waitcnt vmcnt(2)
	ds_write2_b64 v0, v[74:75], v[76:77] offset0:114 offset1:115
	s_waitcnt vmcnt(1)
	ds_write2_b64 v0, v[78:79], v[80:81] offset0:116 offset1:117
	s_waitcnt vmcnt(0)
	ds_write2_b64 v0, v[82:83], v[84:85] offset0:118 offset1:119
	s_cbranch_scc1 .LBB123_147
; %bb.148:
	ds_read2_b64 v[44:47], v249 offset1:1
	s_waitcnt lgkmcnt(0)
	v_cmp_neq_f64_e32 vcc, 0, v[44:45]
	v_cmp_neq_f64_e64 s[2:3], 0, v[46:47]
	s_or_b64 s[2:3], vcc, s[2:3]
	s_and_b64 exec, exec, s[2:3]
	s_cbranch_execz .LBB123_154
; %bb.149:
	v_cmp_ngt_f64_e64 s[2:3], |v[44:45]|, |v[46:47]|
                                        ; implicit-def: $vgpr48_vgpr49
	s_and_saveexec_b64 s[10:11], s[2:3]
	s_xor_b64 s[2:3], exec, s[10:11]
                                        ; implicit-def: $vgpr50_vgpr51
	s_cbranch_execz .LBB123_151
; %bb.150:
	v_div_scale_f64 v[0:1], s[10:11], v[46:47], v[46:47], v[44:45]
	v_rcp_f64_e32 v[2:3], v[0:1]
	v_div_scale_f64 v[48:49], vcc, v[44:45], v[46:47], v[44:45]
	v_fma_f64 v[50:51], -v[0:1], v[2:3], 1.0
	v_fmac_f64_e32 v[2:3], v[2:3], v[50:51]
	v_fma_f64 v[50:51], -v[0:1], v[2:3], 1.0
	v_fmac_f64_e32 v[2:3], v[2:3], v[50:51]
	v_mul_f64 v[50:51], v[48:49], v[2:3]
	v_fma_f64 v[0:1], -v[0:1], v[50:51], v[48:49]
	v_div_fmas_f64 v[0:1], v[0:1], v[2:3], v[50:51]
	v_div_fixup_f64 v[0:1], v[0:1], v[46:47], v[44:45]
	v_fmac_f64_e32 v[46:47], v[44:45], v[0:1]
	v_div_scale_f64 v[2:3], s[10:11], v[46:47], v[46:47], 1.0
	v_rcp_f64_e32 v[44:45], v[2:3]
	s_nop 0
	v_fma_f64 v[48:49], -v[2:3], v[44:45], 1.0
	v_fmac_f64_e32 v[44:45], v[44:45], v[48:49]
	v_fma_f64 v[48:49], -v[2:3], v[44:45], 1.0
	v_fmac_f64_e32 v[44:45], v[44:45], v[48:49]
	v_div_scale_f64 v[48:49], vcc, 1.0, v[46:47], 1.0
	v_mul_f64 v[50:51], v[48:49], v[44:45]
	v_fma_f64 v[2:3], -v[2:3], v[50:51], v[48:49]
	s_nop 1
	v_div_fmas_f64 v[2:3], v[2:3], v[44:45], v[50:51]
	v_div_fixup_f64 v[50:51], v[2:3], v[46:47], 1.0
	v_mul_f64 v[48:49], v[0:1], v[50:51]
	v_xor_b32_e32 v51, 0x80000000, v51
                                        ; implicit-def: $vgpr44_vgpr45
.LBB123_151:
	s_andn2_saveexec_b64 s[2:3], s[2:3]
	s_cbranch_execz .LBB123_153
; %bb.152:
	v_div_scale_f64 v[0:1], s[10:11], v[44:45], v[44:45], v[46:47]
	v_rcp_f64_e32 v[2:3], v[0:1]
	v_div_scale_f64 v[48:49], vcc, v[46:47], v[44:45], v[46:47]
	v_fma_f64 v[50:51], -v[0:1], v[2:3], 1.0
	v_fmac_f64_e32 v[2:3], v[2:3], v[50:51]
	v_fma_f64 v[50:51], -v[0:1], v[2:3], 1.0
	v_fmac_f64_e32 v[2:3], v[2:3], v[50:51]
	v_mul_f64 v[50:51], v[48:49], v[2:3]
	v_fma_f64 v[0:1], -v[0:1], v[50:51], v[48:49]
	v_div_fmas_f64 v[0:1], v[0:1], v[2:3], v[50:51]
	v_div_fixup_f64 v[0:1], v[0:1], v[44:45], v[46:47]
	v_fmac_f64_e32 v[44:45], v[46:47], v[0:1]
	v_div_scale_f64 v[2:3], s[10:11], v[44:45], v[44:45], 1.0
	v_rcp_f64_e32 v[46:47], v[2:3]
	s_nop 0
	v_fma_f64 v[48:49], -v[2:3], v[46:47], 1.0
	v_fmac_f64_e32 v[46:47], v[46:47], v[48:49]
	v_fma_f64 v[48:49], -v[2:3], v[46:47], 1.0
	v_fmac_f64_e32 v[46:47], v[46:47], v[48:49]
	v_div_scale_f64 v[48:49], vcc, 1.0, v[44:45], 1.0
	v_mul_f64 v[50:51], v[48:49], v[46:47]
	v_fma_f64 v[2:3], -v[2:3], v[50:51], v[48:49]
	s_nop 1
	v_div_fmas_f64 v[2:3], v[2:3], v[46:47], v[50:51]
	v_div_fixup_f64 v[48:49], v[2:3], v[44:45], 1.0
	v_mul_f64 v[50:51], v[0:1], -v[48:49]
.LBB123_153:
	s_or_b64 exec, exec, s[2:3]
	ds_write2_b64 v249, v[48:49], v[50:51] offset1:1
.LBB123_154:
	s_or_b64 exec, exec, s[4:5]
	s_waitcnt lgkmcnt(0)
	s_barrier
	ds_read2_b64 v[44:47], v249 offset1:1
	v_cmp_lt_u32_e32 vcc, 11, v248
	s_and_saveexec_b64 s[2:3], vcc
	s_cbranch_execz .LBB123_157
; %bb.155:
	scratch_load_dwordx4 v[50:53], off, off offset:176
	v_add_u32_e32 v48, 0xc0, v250
	s_movk_i32 s4, 0xfce0
	s_waitcnt vmcnt(0) lgkmcnt(0)
	v_mul_f64 v[0:1], v[46:47], v[52:53]
	v_mul_f64 v[54:55], v[44:45], v[52:53]
	v_fma_f64 v[52:53], v[44:45], v[50:51], -v[0:1]
	v_fmac_f64_e32 v[54:55], v[46:47], v[50:51]
	scratch_store_dwordx4 off, v[52:55], off offset:176
.LBB123_156:                            ; =>This Inner Loop Header: Depth=1
	scratch_load_dwordx4 v[50:53], off, off offset:176
	s_add_i32 s10, s4, 0x3e0
	scratch_load_dwordx4 v[54:57], off, s10
	v_add_u32_e32 v49, s4, v48
	ds_read2_b64 v[58:61], v49 offset0:100 offset1:101
	ds_read2_b64 v[62:65], v49 offset0:102 offset1:103
	s_add_i32 s11, s4, 0x3f0
	s_add_i32 s48, s4, 0x420
	scratch_load_dwordx4 v[66:69], off, s11
	scratch_load_dwordx4 v[70:73], off, s48
	s_add_i32 s5, s4, 0x410
	s_waitcnt vmcnt(3) lgkmcnt(1)
	v_mul_f64 v[0:1], v[60:61], v[52:53]
	v_mul_f64 v[2:3], v[58:59], v[52:53]
	v_fma_f64 v[0:1], v[58:59], v[50:51], -v[0:1]
	v_fmac_f64_e32 v[2:3], v[60:61], v[50:51]
	s_waitcnt vmcnt(2)
	v_add_f64 v[50:51], v[54:55], -v[0:1]
	v_add_f64 v[52:53], v[56:57], -v[2:3]
	scratch_store_dwordx4 off, v[50:53], s10
	scratch_load_dwordx4 v[50:53], off, off offset:176
	s_add_i32 s10, s4, 0x400
	s_addk_i32 s4, 0x50
	s_cmp_lg_u32 s4, 0
	s_waitcnt vmcnt(0) lgkmcnt(0)
	v_mul_f64 v[0:1], v[64:65], v[52:53]
	v_mul_f64 v[2:3], v[62:63], v[52:53]
	v_fma_f64 v[0:1], v[62:63], v[50:51], -v[0:1]
	v_fmac_f64_e32 v[2:3], v[64:65], v[50:51]
	v_add_f64 v[50:51], v[66:67], -v[0:1]
	v_add_f64 v[52:53], v[68:69], -v[2:3]
	scratch_store_dwordx4 off, v[50:53], s11
	scratch_load_dwordx4 v[50:53], off, off offset:176
	s_nop 0
	scratch_load_dwordx4 v[54:57], off, s10
	ds_read2_b64 v[58:61], v49 offset0:104 offset1:105
	ds_read2_b64 v[62:65], v49 offset0:106 offset1:107
	scratch_load_dwordx4 v[66:69], off, s5
	s_waitcnt vmcnt(2) lgkmcnt(1)
	v_mul_f64 v[0:1], v[60:61], v[52:53]
	v_mul_f64 v[2:3], v[58:59], v[52:53]
	v_fma_f64 v[0:1], v[58:59], v[50:51], -v[0:1]
	v_fmac_f64_e32 v[2:3], v[60:61], v[50:51]
	s_waitcnt vmcnt(1)
	v_add_f64 v[50:51], v[54:55], -v[0:1]
	v_add_f64 v[52:53], v[56:57], -v[2:3]
	scratch_store_dwordx4 off, v[50:53], s10
	scratch_load_dwordx4 v[50:53], off, off offset:176
	ds_read2_b64 v[54:57], v49 offset0:108 offset1:109
	s_waitcnt vmcnt(0) lgkmcnt(1)
	v_mul_f64 v[0:1], v[64:65], v[52:53]
	v_mul_f64 v[2:3], v[62:63], v[52:53]
	v_fma_f64 v[0:1], v[62:63], v[50:51], -v[0:1]
	v_fmac_f64_e32 v[2:3], v[64:65], v[50:51]
	v_add_f64 v[50:51], v[66:67], -v[0:1]
	v_add_f64 v[52:53], v[68:69], -v[2:3]
	scratch_store_dwordx4 off, v[50:53], s5
	scratch_load_dwordx4 v[50:53], off, off offset:176
	s_waitcnt vmcnt(0) lgkmcnt(0)
	v_mul_f64 v[0:1], v[56:57], v[52:53]
	v_mul_f64 v[2:3], v[54:55], v[52:53]
	v_fma_f64 v[0:1], v[54:55], v[50:51], -v[0:1]
	v_fmac_f64_e32 v[2:3], v[56:57], v[50:51]
	v_add_f64 v[50:51], v[70:71], -v[0:1]
	v_add_f64 v[52:53], v[72:73], -v[2:3]
	scratch_store_dwordx4 off, v[50:53], s48
	s_cbranch_scc1 .LBB123_156
.LBB123_157:
	s_or_b64 exec, exec, s[2:3]
	v_cmp_eq_u32_e32 vcc, 12, v248
	s_waitcnt lgkmcnt(0)
	s_barrier
	s_and_saveexec_b64 s[4:5], vcc
	s_cbranch_execz .LBB123_166
; %bb.158:
	scratch_load_dwordx4 v[50:53], off, s61
	v_add_u32_e32 v48, 0xd0, v250
	s_movk_i32 s2, 0xfcf0
	s_waitcnt vmcnt(0)
	ds_write2_b64 v249, v[50:51], v[52:53] offset1:1
.LBB123_159:                            ; =>This Inner Loop Header: Depth=1
	s_add_i32 s10, s2, 0x3e0
	s_add_i32 s11, s2, 0x3f0
	;; [unrolled: 1-line block ×7, first 2 shown]
	scratch_load_dwordx4 v[50:53], off, s10
	scratch_load_dwordx4 v[54:57], off, s11
	;; [unrolled: 1-line block ×7, first 2 shown]
	v_add_u32_e32 v0, s2, v48
	s_addk_i32 s2, 0x70
	s_cmp_lg_u32 s2, 0
	s_waitcnt vmcnt(6)
	ds_write2_b64 v0, v[50:51], v[52:53] offset0:98 offset1:99
	s_waitcnt vmcnt(5)
	ds_write2_b64 v0, v[54:55], v[56:57] offset0:100 offset1:101
	;; [unrolled: 2-line block ×7, first 2 shown]
	s_cbranch_scc1 .LBB123_159
; %bb.160:
	ds_read2_b64 v[48:51], v249 offset1:1
	s_waitcnt lgkmcnt(0)
	v_cmp_neq_f64_e32 vcc, 0, v[48:49]
	v_cmp_neq_f64_e64 s[2:3], 0, v[50:51]
	s_or_b64 s[2:3], vcc, s[2:3]
	s_and_b64 exec, exec, s[2:3]
	s_cbranch_execz .LBB123_166
; %bb.161:
	v_cmp_ngt_f64_e64 s[2:3], |v[48:49]|, |v[50:51]|
                                        ; implicit-def: $vgpr52_vgpr53
	s_and_saveexec_b64 s[10:11], s[2:3]
	s_xor_b64 s[2:3], exec, s[10:11]
                                        ; implicit-def: $vgpr54_vgpr55
	s_cbranch_execz .LBB123_163
; %bb.162:
	v_div_scale_f64 v[0:1], s[10:11], v[50:51], v[50:51], v[48:49]
	v_rcp_f64_e32 v[2:3], v[0:1]
	v_div_scale_f64 v[52:53], vcc, v[48:49], v[50:51], v[48:49]
	v_fma_f64 v[54:55], -v[0:1], v[2:3], 1.0
	v_fmac_f64_e32 v[2:3], v[2:3], v[54:55]
	v_fma_f64 v[54:55], -v[0:1], v[2:3], 1.0
	v_fmac_f64_e32 v[2:3], v[2:3], v[54:55]
	v_mul_f64 v[54:55], v[52:53], v[2:3]
	v_fma_f64 v[0:1], -v[0:1], v[54:55], v[52:53]
	v_div_fmas_f64 v[0:1], v[0:1], v[2:3], v[54:55]
	v_div_fixup_f64 v[0:1], v[0:1], v[50:51], v[48:49]
	v_fmac_f64_e32 v[50:51], v[48:49], v[0:1]
	v_div_scale_f64 v[2:3], s[10:11], v[50:51], v[50:51], 1.0
	v_rcp_f64_e32 v[48:49], v[2:3]
	s_nop 0
	v_fma_f64 v[52:53], -v[2:3], v[48:49], 1.0
	v_fmac_f64_e32 v[48:49], v[48:49], v[52:53]
	v_fma_f64 v[52:53], -v[2:3], v[48:49], 1.0
	v_fmac_f64_e32 v[48:49], v[48:49], v[52:53]
	v_div_scale_f64 v[52:53], vcc, 1.0, v[50:51], 1.0
	v_mul_f64 v[54:55], v[52:53], v[48:49]
	v_fma_f64 v[2:3], -v[2:3], v[54:55], v[52:53]
	s_nop 1
	v_div_fmas_f64 v[2:3], v[2:3], v[48:49], v[54:55]
	v_div_fixup_f64 v[54:55], v[2:3], v[50:51], 1.0
	v_mul_f64 v[52:53], v[0:1], v[54:55]
	v_xor_b32_e32 v55, 0x80000000, v55
                                        ; implicit-def: $vgpr48_vgpr49
.LBB123_163:
	s_andn2_saveexec_b64 s[2:3], s[2:3]
	s_cbranch_execz .LBB123_165
; %bb.164:
	v_div_scale_f64 v[0:1], s[10:11], v[48:49], v[48:49], v[50:51]
	v_rcp_f64_e32 v[2:3], v[0:1]
	v_div_scale_f64 v[52:53], vcc, v[50:51], v[48:49], v[50:51]
	v_fma_f64 v[54:55], -v[0:1], v[2:3], 1.0
	v_fmac_f64_e32 v[2:3], v[2:3], v[54:55]
	v_fma_f64 v[54:55], -v[0:1], v[2:3], 1.0
	v_fmac_f64_e32 v[2:3], v[2:3], v[54:55]
	v_mul_f64 v[54:55], v[52:53], v[2:3]
	v_fma_f64 v[0:1], -v[0:1], v[54:55], v[52:53]
	v_div_fmas_f64 v[0:1], v[0:1], v[2:3], v[54:55]
	v_div_fixup_f64 v[0:1], v[0:1], v[48:49], v[50:51]
	v_fmac_f64_e32 v[48:49], v[50:51], v[0:1]
	v_div_scale_f64 v[2:3], s[10:11], v[48:49], v[48:49], 1.0
	v_rcp_f64_e32 v[50:51], v[2:3]
	s_nop 0
	v_fma_f64 v[52:53], -v[2:3], v[50:51], 1.0
	v_fmac_f64_e32 v[50:51], v[50:51], v[52:53]
	v_fma_f64 v[52:53], -v[2:3], v[50:51], 1.0
	v_fmac_f64_e32 v[50:51], v[50:51], v[52:53]
	v_div_scale_f64 v[52:53], vcc, 1.0, v[48:49], 1.0
	v_mul_f64 v[54:55], v[52:53], v[50:51]
	v_fma_f64 v[2:3], -v[2:3], v[54:55], v[52:53]
	s_nop 1
	v_div_fmas_f64 v[2:3], v[2:3], v[50:51], v[54:55]
	v_div_fixup_f64 v[52:53], v[2:3], v[48:49], 1.0
	v_mul_f64 v[54:55], v[0:1], -v[52:53]
.LBB123_165:
	s_or_b64 exec, exec, s[2:3]
	ds_write2_b64 v249, v[52:53], v[54:55] offset1:1
.LBB123_166:
	s_or_b64 exec, exec, s[4:5]
	s_waitcnt lgkmcnt(0)
	s_barrier
	ds_read2_b64 v[48:51], v249 offset1:1
	v_cmp_lt_u32_e32 vcc, 12, v248
	s_and_saveexec_b64 s[2:3], vcc
	s_cbranch_execz .LBB123_169
; %bb.167:
	scratch_load_dwordx4 v[54:57], off, off offset:192
	v_add_u32_e32 v52, 0xd0, v250
	s_movk_i32 s4, 0xfcf0
	s_waitcnt vmcnt(0) lgkmcnt(0)
	v_mul_f64 v[0:1], v[50:51], v[56:57]
	v_mul_f64 v[58:59], v[48:49], v[56:57]
	v_fma_f64 v[56:57], v[48:49], v[54:55], -v[0:1]
	v_fmac_f64_e32 v[58:59], v[50:51], v[54:55]
	scratch_store_dwordx4 off, v[56:59], off offset:192
.LBB123_168:                            ; =>This Inner Loop Header: Depth=1
	scratch_load_dwordx4 v[54:57], off, off offset:192
	s_add_i32 s10, s4, 0x3e0
	scratch_load_dwordx4 v[58:61], off, s10
	v_add_u32_e32 v53, s4, v52
	ds_read2_b64 v[62:65], v53 offset0:98 offset1:99
	ds_read2_b64 v[66:69], v53 offset0:100 offset1:101
	s_add_i32 s11, s4, 0x3f0
	s_add_i32 s48, s4, 0x440
	scratch_load_dwordx4 v[70:73], off, s11
	scratch_load_dwordx4 v[74:77], off, s48
	s_add_i32 s5, s4, 0x430
	s_waitcnt vmcnt(3) lgkmcnt(1)
	v_mul_f64 v[0:1], v[64:65], v[56:57]
	v_mul_f64 v[2:3], v[62:63], v[56:57]
	v_fma_f64 v[0:1], v[62:63], v[54:55], -v[0:1]
	v_fmac_f64_e32 v[2:3], v[64:65], v[54:55]
	s_waitcnt vmcnt(2)
	v_add_f64 v[54:55], v[58:59], -v[0:1]
	v_add_f64 v[56:57], v[60:61], -v[2:3]
	scratch_store_dwordx4 off, v[54:57], s10
	scratch_load_dwordx4 v[54:57], off, off offset:192
	s_add_i32 s10, s4, 0x400
	s_waitcnt vmcnt(0) lgkmcnt(0)
	v_mul_f64 v[0:1], v[68:69], v[56:57]
	v_mul_f64 v[2:3], v[66:67], v[56:57]
	v_fma_f64 v[0:1], v[66:67], v[54:55], -v[0:1]
	v_fmac_f64_e32 v[2:3], v[68:69], v[54:55]
	v_add_f64 v[54:55], v[70:71], -v[0:1]
	v_add_f64 v[56:57], v[72:73], -v[2:3]
	scratch_store_dwordx4 off, v[54:57], s11
	scratch_load_dwordx4 v[54:57], off, off offset:192
	s_nop 0
	scratch_load_dwordx4 v[58:61], off, s10
	ds_read2_b64 v[62:65], v53 offset0:102 offset1:103
	ds_read2_b64 v[66:69], v53 offset0:104 offset1:105
	s_add_i32 s11, s4, 0x410
	scratch_load_dwordx4 v[70:73], off, s11
	s_waitcnt vmcnt(2) lgkmcnt(1)
	v_mul_f64 v[0:1], v[64:65], v[56:57]
	v_mul_f64 v[2:3], v[62:63], v[56:57]
	v_fma_f64 v[0:1], v[62:63], v[54:55], -v[0:1]
	v_fmac_f64_e32 v[2:3], v[64:65], v[54:55]
	s_waitcnt vmcnt(1)
	v_add_f64 v[54:55], v[58:59], -v[0:1]
	v_add_f64 v[56:57], v[60:61], -v[2:3]
	scratch_store_dwordx4 off, v[54:57], s10
	scratch_load_dwordx4 v[54:57], off, off offset:192
	s_add_i32 s10, s4, 0x420
	s_addk_i32 s4, 0x70
	s_cmp_lg_u32 s4, 0
	s_waitcnt vmcnt(0) lgkmcnt(0)
	v_mul_f64 v[0:1], v[68:69], v[56:57]
	v_mul_f64 v[2:3], v[66:67], v[56:57]
	v_fma_f64 v[0:1], v[66:67], v[54:55], -v[0:1]
	v_fmac_f64_e32 v[2:3], v[68:69], v[54:55]
	v_add_f64 v[54:55], v[70:71], -v[0:1]
	v_add_f64 v[56:57], v[72:73], -v[2:3]
	scratch_store_dwordx4 off, v[54:57], s11
	scratch_load_dwordx4 v[54:57], off, off offset:192
	s_nop 0
	scratch_load_dwordx4 v[58:61], off, s10
	ds_read2_b64 v[62:65], v53 offset0:106 offset1:107
	ds_read2_b64 v[66:69], v53 offset0:108 offset1:109
	scratch_load_dwordx4 v[70:73], off, s5
	s_waitcnt vmcnt(2) lgkmcnt(1)
	v_mul_f64 v[0:1], v[64:65], v[56:57]
	v_mul_f64 v[2:3], v[62:63], v[56:57]
	v_fma_f64 v[0:1], v[62:63], v[54:55], -v[0:1]
	v_fmac_f64_e32 v[2:3], v[64:65], v[54:55]
	s_waitcnt vmcnt(1)
	v_add_f64 v[54:55], v[58:59], -v[0:1]
	v_add_f64 v[56:57], v[60:61], -v[2:3]
	scratch_store_dwordx4 off, v[54:57], s10
	scratch_load_dwordx4 v[54:57], off, off offset:192
	ds_read2_b64 v[58:61], v53 offset0:110 offset1:111
	s_waitcnt vmcnt(0) lgkmcnt(1)
	v_mul_f64 v[0:1], v[68:69], v[56:57]
	v_mul_f64 v[2:3], v[66:67], v[56:57]
	v_fma_f64 v[0:1], v[66:67], v[54:55], -v[0:1]
	v_fmac_f64_e32 v[2:3], v[68:69], v[54:55]
	v_add_f64 v[54:55], v[70:71], -v[0:1]
	v_add_f64 v[56:57], v[72:73], -v[2:3]
	scratch_store_dwordx4 off, v[54:57], s5
	scratch_load_dwordx4 v[54:57], off, off offset:192
	s_waitcnt vmcnt(0) lgkmcnt(0)
	v_mul_f64 v[0:1], v[60:61], v[56:57]
	v_mul_f64 v[2:3], v[58:59], v[56:57]
	v_fma_f64 v[0:1], v[58:59], v[54:55], -v[0:1]
	v_fmac_f64_e32 v[2:3], v[60:61], v[54:55]
	v_add_f64 v[54:55], v[74:75], -v[0:1]
	v_add_f64 v[56:57], v[76:77], -v[2:3]
	scratch_store_dwordx4 off, v[54:57], s48
	s_cbranch_scc1 .LBB123_168
.LBB123_169:
	s_or_b64 exec, exec, s[2:3]
	v_cmp_eq_u32_e32 vcc, 13, v248
	s_waitcnt lgkmcnt(0)
	s_barrier
	s_and_saveexec_b64 s[4:5], vcc
	s_cbranch_execz .LBB123_178
; %bb.170:
	scratch_load_dwordx4 v[54:57], off, s60
	v_add_u32_e32 v52, 0xe0, v250
	s_movk_i32 s2, 0xfd00
	s_waitcnt vmcnt(0)
	ds_write2_b64 v249, v[54:55], v[56:57] offset1:1
.LBB123_171:                            ; =>This Inner Loop Header: Depth=1
	s_add_i32 s10, s2, 0x3e0
	s_add_i32 s11, s2, 0x3f0
	;; [unrolled: 1-line block ×16, first 2 shown]
	scratch_load_dwordx4 v[54:57], off, s10
	scratch_load_dwordx4 v[58:61], off, s11
	;; [unrolled: 1-line block ×16, first 2 shown]
	v_add_u32_e32 v0, s2, v52
	s_addk_i32 s2, 0x100
	s_cmp_lg_u32 s2, 0
	s_waitcnt vmcnt(15)
	ds_write2_b64 v0, v[54:55], v[56:57] offset0:96 offset1:97
	s_waitcnt vmcnt(14)
	ds_write2_b64 v0, v[58:59], v[60:61] offset0:98 offset1:99
	;; [unrolled: 2-line block ×16, first 2 shown]
	s_cbranch_scc1 .LBB123_171
; %bb.172:
	ds_read2_b64 v[52:55], v249 offset1:1
	s_waitcnt lgkmcnt(0)
	v_cmp_neq_f64_e32 vcc, 0, v[52:53]
	v_cmp_neq_f64_e64 s[2:3], 0, v[54:55]
	s_or_b64 s[2:3], vcc, s[2:3]
	s_and_b64 exec, exec, s[2:3]
	s_cbranch_execz .LBB123_178
; %bb.173:
	v_cmp_ngt_f64_e64 s[2:3], |v[52:53]|, |v[54:55]|
                                        ; implicit-def: $vgpr56_vgpr57
	s_and_saveexec_b64 s[10:11], s[2:3]
	s_xor_b64 s[2:3], exec, s[10:11]
                                        ; implicit-def: $vgpr58_vgpr59
	s_cbranch_execz .LBB123_175
; %bb.174:
	v_div_scale_f64 v[0:1], s[10:11], v[54:55], v[54:55], v[52:53]
	v_rcp_f64_e32 v[2:3], v[0:1]
	v_div_scale_f64 v[56:57], vcc, v[52:53], v[54:55], v[52:53]
	v_fma_f64 v[58:59], -v[0:1], v[2:3], 1.0
	v_fmac_f64_e32 v[2:3], v[2:3], v[58:59]
	v_fma_f64 v[58:59], -v[0:1], v[2:3], 1.0
	v_fmac_f64_e32 v[2:3], v[2:3], v[58:59]
	v_mul_f64 v[58:59], v[56:57], v[2:3]
	v_fma_f64 v[0:1], -v[0:1], v[58:59], v[56:57]
	v_div_fmas_f64 v[0:1], v[0:1], v[2:3], v[58:59]
	v_div_fixup_f64 v[0:1], v[0:1], v[54:55], v[52:53]
	v_fmac_f64_e32 v[54:55], v[52:53], v[0:1]
	v_div_scale_f64 v[2:3], s[10:11], v[54:55], v[54:55], 1.0
	v_rcp_f64_e32 v[52:53], v[2:3]
	s_nop 0
	v_fma_f64 v[56:57], -v[2:3], v[52:53], 1.0
	v_fmac_f64_e32 v[52:53], v[52:53], v[56:57]
	v_fma_f64 v[56:57], -v[2:3], v[52:53], 1.0
	v_fmac_f64_e32 v[52:53], v[52:53], v[56:57]
	v_div_scale_f64 v[56:57], vcc, 1.0, v[54:55], 1.0
	v_mul_f64 v[58:59], v[56:57], v[52:53]
	v_fma_f64 v[2:3], -v[2:3], v[58:59], v[56:57]
	s_nop 1
	v_div_fmas_f64 v[2:3], v[2:3], v[52:53], v[58:59]
	v_div_fixup_f64 v[58:59], v[2:3], v[54:55], 1.0
	v_mul_f64 v[56:57], v[0:1], v[58:59]
	v_xor_b32_e32 v59, 0x80000000, v59
                                        ; implicit-def: $vgpr52_vgpr53
.LBB123_175:
	s_andn2_saveexec_b64 s[2:3], s[2:3]
	s_cbranch_execz .LBB123_177
; %bb.176:
	v_div_scale_f64 v[0:1], s[10:11], v[52:53], v[52:53], v[54:55]
	v_rcp_f64_e32 v[2:3], v[0:1]
	v_div_scale_f64 v[56:57], vcc, v[54:55], v[52:53], v[54:55]
	v_fma_f64 v[58:59], -v[0:1], v[2:3], 1.0
	v_fmac_f64_e32 v[2:3], v[2:3], v[58:59]
	v_fma_f64 v[58:59], -v[0:1], v[2:3], 1.0
	v_fmac_f64_e32 v[2:3], v[2:3], v[58:59]
	v_mul_f64 v[58:59], v[56:57], v[2:3]
	v_fma_f64 v[0:1], -v[0:1], v[58:59], v[56:57]
	v_div_fmas_f64 v[0:1], v[0:1], v[2:3], v[58:59]
	v_div_fixup_f64 v[0:1], v[0:1], v[52:53], v[54:55]
	v_fmac_f64_e32 v[52:53], v[54:55], v[0:1]
	v_div_scale_f64 v[2:3], s[10:11], v[52:53], v[52:53], 1.0
	v_rcp_f64_e32 v[54:55], v[2:3]
	s_nop 0
	v_fma_f64 v[56:57], -v[2:3], v[54:55], 1.0
	v_fmac_f64_e32 v[54:55], v[54:55], v[56:57]
	v_fma_f64 v[56:57], -v[2:3], v[54:55], 1.0
	v_fmac_f64_e32 v[54:55], v[54:55], v[56:57]
	v_div_scale_f64 v[56:57], vcc, 1.0, v[52:53], 1.0
	v_mul_f64 v[58:59], v[56:57], v[54:55]
	v_fma_f64 v[2:3], -v[2:3], v[58:59], v[56:57]
	s_nop 1
	v_div_fmas_f64 v[2:3], v[2:3], v[54:55], v[58:59]
	v_div_fixup_f64 v[56:57], v[2:3], v[52:53], 1.0
	v_mul_f64 v[58:59], v[0:1], -v[56:57]
.LBB123_177:
	s_or_b64 exec, exec, s[2:3]
	ds_write2_b64 v249, v[56:57], v[58:59] offset1:1
.LBB123_178:
	s_or_b64 exec, exec, s[4:5]
	s_waitcnt lgkmcnt(0)
	s_barrier
	ds_read2_b64 v[52:55], v249 offset1:1
	v_cmp_lt_u32_e32 vcc, 13, v248
	s_and_saveexec_b64 s[2:3], vcc
	s_cbranch_execz .LBB123_181
; %bb.179:
	scratch_load_dwordx4 v[58:61], off, off offset:208
	v_add_u32_e32 v56, 0xe0, v250
	s_movk_i32 s4, 0xfd00
	s_waitcnt vmcnt(0) lgkmcnt(0)
	v_mul_f64 v[0:1], v[54:55], v[60:61]
	v_mul_f64 v[62:63], v[52:53], v[60:61]
	v_fma_f64 v[60:61], v[52:53], v[58:59], -v[0:1]
	v_fmac_f64_e32 v[62:63], v[54:55], v[58:59]
	scratch_store_dwordx4 off, v[60:63], off offset:208
.LBB123_180:                            ; =>This Inner Loop Header: Depth=1
	scratch_load_dwordx4 v[58:61], off, off offset:208
	s_add_i32 s10, s4, 0x3e0
	scratch_load_dwordx4 v[62:65], off, s10
	v_add_u32_e32 v57, s4, v56
	ds_read2_b64 v[66:69], v57 offset0:96 offset1:97
	ds_read2_b64 v[70:73], v57 offset0:98 offset1:99
	s_add_i32 s11, s4, 0x3f0
	scratch_load_dwordx4 v[74:77], off, s11
	s_add_i32 s5, s4, 0x450
	s_waitcnt vmcnt(2) lgkmcnt(1)
	v_mul_f64 v[0:1], v[68:69], v[60:61]
	v_mul_f64 v[2:3], v[66:67], v[60:61]
	v_fma_f64 v[0:1], v[66:67], v[58:59], -v[0:1]
	v_fmac_f64_e32 v[2:3], v[68:69], v[58:59]
	s_waitcnt vmcnt(1)
	v_add_f64 v[58:59], v[62:63], -v[0:1]
	v_add_f64 v[60:61], v[64:65], -v[2:3]
	scratch_store_dwordx4 off, v[58:61], s10
	scratch_load_dwordx4 v[58:61], off, off offset:208
	s_add_i32 s10, s4, 0x400
	s_waitcnt vmcnt(0) lgkmcnt(0)
	v_mul_f64 v[0:1], v[72:73], v[60:61]
	v_mul_f64 v[2:3], v[70:71], v[60:61]
	v_fma_f64 v[0:1], v[70:71], v[58:59], -v[0:1]
	v_fmac_f64_e32 v[2:3], v[72:73], v[58:59]
	v_add_f64 v[58:59], v[74:75], -v[0:1]
	v_add_f64 v[60:61], v[76:77], -v[2:3]
	scratch_store_dwordx4 off, v[58:61], s11
	scratch_load_dwordx4 v[58:61], off, off offset:208
	s_nop 0
	scratch_load_dwordx4 v[62:65], off, s10
	ds_read2_b64 v[66:69], v57 offset0:100 offset1:101
	ds_read2_b64 v[70:73], v57 offset0:102 offset1:103
	s_add_i32 s11, s4, 0x410
	scratch_load_dwordx4 v[74:77], off, s11
	s_waitcnt vmcnt(2) lgkmcnt(1)
	v_mul_f64 v[0:1], v[68:69], v[60:61]
	v_mul_f64 v[2:3], v[66:67], v[60:61]
	v_fma_f64 v[0:1], v[66:67], v[58:59], -v[0:1]
	v_fmac_f64_e32 v[2:3], v[68:69], v[58:59]
	s_waitcnt vmcnt(1)
	v_add_f64 v[58:59], v[62:63], -v[0:1]
	v_add_f64 v[60:61], v[64:65], -v[2:3]
	scratch_store_dwordx4 off, v[58:61], s10
	scratch_load_dwordx4 v[58:61], off, off offset:208
	s_add_i32 s10, s4, 0x420
	s_waitcnt vmcnt(0) lgkmcnt(0)
	v_mul_f64 v[0:1], v[72:73], v[60:61]
	v_mul_f64 v[2:3], v[70:71], v[60:61]
	v_fma_f64 v[0:1], v[70:71], v[58:59], -v[0:1]
	v_fmac_f64_e32 v[2:3], v[72:73], v[58:59]
	v_add_f64 v[58:59], v[74:75], -v[0:1]
	v_add_f64 v[60:61], v[76:77], -v[2:3]
	scratch_store_dwordx4 off, v[58:61], s11
	scratch_load_dwordx4 v[58:61], off, off offset:208
	s_nop 0
	scratch_load_dwordx4 v[62:65], off, s10
	ds_read2_b64 v[66:69], v57 offset0:104 offset1:105
	ds_read2_b64 v[70:73], v57 offset0:106 offset1:107
	s_add_i32 s11, s4, 0x430
	scratch_load_dwordx4 v[74:77], off, s11
	s_waitcnt vmcnt(2) lgkmcnt(1)
	v_mul_f64 v[0:1], v[68:69], v[60:61]
	v_mul_f64 v[2:3], v[66:67], v[60:61]
	v_fma_f64 v[0:1], v[66:67], v[58:59], -v[0:1]
	v_fmac_f64_e32 v[2:3], v[68:69], v[58:59]
	s_waitcnt vmcnt(1)
	v_add_f64 v[58:59], v[62:63], -v[0:1]
	v_add_f64 v[60:61], v[64:65], -v[2:3]
	scratch_store_dwordx4 off, v[58:61], s10
	scratch_load_dwordx4 v[58:61], off, off offset:208
	s_add_i32 s10, s4, 0x440
	s_addk_i32 s4, 0x80
	s_cmp_lg_u32 s4, 0
	s_waitcnt vmcnt(0) lgkmcnt(0)
	v_mul_f64 v[0:1], v[72:73], v[60:61]
	v_mul_f64 v[2:3], v[70:71], v[60:61]
	v_fma_f64 v[0:1], v[70:71], v[58:59], -v[0:1]
	v_fmac_f64_e32 v[2:3], v[72:73], v[58:59]
	v_add_f64 v[58:59], v[74:75], -v[0:1]
	v_add_f64 v[60:61], v[76:77], -v[2:3]
	scratch_store_dwordx4 off, v[58:61], s11
	scratch_load_dwordx4 v[58:61], off, off offset:208
	s_nop 0
	scratch_load_dwordx4 v[62:65], off, s10
	ds_read2_b64 v[66:69], v57 offset0:108 offset1:109
	ds_read2_b64 v[70:73], v57 offset0:110 offset1:111
	scratch_load_dwordx4 v[74:77], off, s5
	s_waitcnt vmcnt(2) lgkmcnt(1)
	v_mul_f64 v[0:1], v[68:69], v[60:61]
	v_mul_f64 v[2:3], v[66:67], v[60:61]
	v_fma_f64 v[0:1], v[66:67], v[58:59], -v[0:1]
	v_fmac_f64_e32 v[2:3], v[68:69], v[58:59]
	s_waitcnt vmcnt(1)
	v_add_f64 v[58:59], v[62:63], -v[0:1]
	v_add_f64 v[60:61], v[64:65], -v[2:3]
	scratch_store_dwordx4 off, v[58:61], s10
	scratch_load_dwordx4 v[58:61], off, off offset:208
	s_waitcnt vmcnt(0) lgkmcnt(0)
	v_mul_f64 v[0:1], v[72:73], v[60:61]
	v_mul_f64 v[2:3], v[70:71], v[60:61]
	v_fma_f64 v[0:1], v[70:71], v[58:59], -v[0:1]
	v_fmac_f64_e32 v[2:3], v[72:73], v[58:59]
	v_add_f64 v[58:59], v[74:75], -v[0:1]
	v_add_f64 v[60:61], v[76:77], -v[2:3]
	scratch_store_dwordx4 off, v[58:61], s5
	s_cbranch_scc1 .LBB123_180
.LBB123_181:
	s_or_b64 exec, exec, s[2:3]
	v_cmp_eq_u32_e32 vcc, 14, v248
	s_waitcnt lgkmcnt(0)
	s_barrier
	s_and_saveexec_b64 s[4:5], vcc
	s_cbranch_execz .LBB123_192
; %bb.182:
	scratch_load_dwordx4 v[56:59], off, s59
	s_mov_b32 s10, 0
	s_waitcnt vmcnt(0)
	ds_write2_b64 v249, v[56:57], v[58:59] offset1:1
	v_add_u32_e32 v56, 0xf0, v250
	s_branch .LBB123_184
.LBB123_183:                            ;   in Loop: Header=BB123_184 Depth=1
	s_andn2_b64 vcc, exec, s[2:3]
	s_cbranch_vccz .LBB123_186
.LBB123_184:                            ; =>This Inner Loop Header: Depth=1
	s_add_i32 s2, s10, 0xf0
	s_add_i32 s3, s10, 0x100
	scratch_load_dwordx4 v[58:61], off, s2
	scratch_load_dwordx4 v[62:65], off, s3
	s_add_i32 s2, s10, 0x110
	s_add_i32 s3, s10, 0x120
	scratch_load_dwordx4 v[66:69], off, s2
	scratch_load_dwordx4 v[70:73], off, s3
	;; [unrolled: 4-line block ×3, first 2 shown]
	s_add_i32 s2, s10, 0x150
	scratch_load_dwordx4 v[82:85], off, s2
	s_mov_b32 s11, s10
	v_add_u32_e32 v57, s10, v56
	s_cmpk_eq_i32 s10, 0x280
	s_mov_b64 s[2:3], -1
	s_waitcnt vmcnt(6)
	ds_write2_b64 v57, v[58:59], v[60:61] offset1:1
	s_waitcnt vmcnt(5)
	ds_write2_b64 v57, v[62:63], v[64:65] offset0:2 offset1:3
	s_waitcnt vmcnt(4)
	ds_write2_b64 v57, v[66:67], v[68:69] offset0:4 offset1:5
	;; [unrolled: 2-line block ×6, first 2 shown]
	s_cbranch_scc1 .LBB123_183
; %bb.185:                              ;   in Loop: Header=BB123_184 Depth=1
	s_addk_i32 s11, 0x160
	scratch_load_dwordx4 v[58:61], off, s11
	s_addk_i32 s10, 0x80
	s_mov_b64 s[2:3], 0
	s_waitcnt vmcnt(0)
	ds_write2_b64 v57, v[58:59], v[60:61] offset0:14 offset1:15
	s_branch .LBB123_183
.LBB123_186:
	ds_read2_b64 v[56:59], v249 offset1:1
	s_waitcnt lgkmcnt(0)
	v_cmp_neq_f64_e32 vcc, 0, v[56:57]
	v_cmp_neq_f64_e64 s[2:3], 0, v[58:59]
	s_or_b64 s[2:3], vcc, s[2:3]
	s_and_b64 exec, exec, s[2:3]
	s_cbranch_execz .LBB123_192
; %bb.187:
	v_cmp_ngt_f64_e64 s[2:3], |v[56:57]|, |v[58:59]|
                                        ; implicit-def: $vgpr60_vgpr61
	s_and_saveexec_b64 s[10:11], s[2:3]
	s_xor_b64 s[2:3], exec, s[10:11]
                                        ; implicit-def: $vgpr62_vgpr63
	s_cbranch_execz .LBB123_189
; %bb.188:
	v_div_scale_f64 v[0:1], s[10:11], v[58:59], v[58:59], v[56:57]
	v_rcp_f64_e32 v[2:3], v[0:1]
	v_div_scale_f64 v[60:61], vcc, v[56:57], v[58:59], v[56:57]
	v_fma_f64 v[62:63], -v[0:1], v[2:3], 1.0
	v_fmac_f64_e32 v[2:3], v[2:3], v[62:63]
	v_fma_f64 v[62:63], -v[0:1], v[2:3], 1.0
	v_fmac_f64_e32 v[2:3], v[2:3], v[62:63]
	v_mul_f64 v[62:63], v[60:61], v[2:3]
	v_fma_f64 v[0:1], -v[0:1], v[62:63], v[60:61]
	v_div_fmas_f64 v[0:1], v[0:1], v[2:3], v[62:63]
	v_div_fixup_f64 v[0:1], v[0:1], v[58:59], v[56:57]
	v_fmac_f64_e32 v[58:59], v[56:57], v[0:1]
	v_div_scale_f64 v[2:3], s[10:11], v[58:59], v[58:59], 1.0
	v_rcp_f64_e32 v[56:57], v[2:3]
	s_nop 0
	v_fma_f64 v[60:61], -v[2:3], v[56:57], 1.0
	v_fmac_f64_e32 v[56:57], v[56:57], v[60:61]
	v_fma_f64 v[60:61], -v[2:3], v[56:57], 1.0
	v_fmac_f64_e32 v[56:57], v[56:57], v[60:61]
	v_div_scale_f64 v[60:61], vcc, 1.0, v[58:59], 1.0
	v_mul_f64 v[62:63], v[60:61], v[56:57]
	v_fma_f64 v[2:3], -v[2:3], v[62:63], v[60:61]
	s_nop 1
	v_div_fmas_f64 v[2:3], v[2:3], v[56:57], v[62:63]
	v_div_fixup_f64 v[62:63], v[2:3], v[58:59], 1.0
	v_mul_f64 v[60:61], v[0:1], v[62:63]
	v_xor_b32_e32 v63, 0x80000000, v63
                                        ; implicit-def: $vgpr56_vgpr57
.LBB123_189:
	s_andn2_saveexec_b64 s[2:3], s[2:3]
	s_cbranch_execz .LBB123_191
; %bb.190:
	v_div_scale_f64 v[0:1], s[10:11], v[56:57], v[56:57], v[58:59]
	v_rcp_f64_e32 v[2:3], v[0:1]
	v_div_scale_f64 v[60:61], vcc, v[58:59], v[56:57], v[58:59]
	v_fma_f64 v[62:63], -v[0:1], v[2:3], 1.0
	v_fmac_f64_e32 v[2:3], v[2:3], v[62:63]
	v_fma_f64 v[62:63], -v[0:1], v[2:3], 1.0
	v_fmac_f64_e32 v[2:3], v[2:3], v[62:63]
	v_mul_f64 v[62:63], v[60:61], v[2:3]
	v_fma_f64 v[0:1], -v[0:1], v[62:63], v[60:61]
	v_div_fmas_f64 v[0:1], v[0:1], v[2:3], v[62:63]
	v_div_fixup_f64 v[0:1], v[0:1], v[56:57], v[58:59]
	v_fmac_f64_e32 v[56:57], v[58:59], v[0:1]
	v_div_scale_f64 v[2:3], s[10:11], v[56:57], v[56:57], 1.0
	v_rcp_f64_e32 v[58:59], v[2:3]
	s_nop 0
	v_fma_f64 v[60:61], -v[2:3], v[58:59], 1.0
	v_fmac_f64_e32 v[58:59], v[58:59], v[60:61]
	v_fma_f64 v[60:61], -v[2:3], v[58:59], 1.0
	v_fmac_f64_e32 v[58:59], v[58:59], v[60:61]
	v_div_scale_f64 v[60:61], vcc, 1.0, v[56:57], 1.0
	v_mul_f64 v[62:63], v[60:61], v[58:59]
	v_fma_f64 v[2:3], -v[2:3], v[62:63], v[60:61]
	s_nop 1
	v_div_fmas_f64 v[2:3], v[2:3], v[58:59], v[62:63]
	v_div_fixup_f64 v[60:61], v[2:3], v[56:57], 1.0
	v_mul_f64 v[62:63], v[0:1], -v[60:61]
.LBB123_191:
	s_or_b64 exec, exec, s[2:3]
	ds_write2_b64 v249, v[60:61], v[62:63] offset1:1
.LBB123_192:
	s_or_b64 exec, exec, s[4:5]
	s_waitcnt lgkmcnt(0)
	s_barrier
	ds_read2_b64 v[56:59], v249 offset1:1
	v_cmp_lt_u32_e32 vcc, 14, v248
	s_and_saveexec_b64 s[2:3], vcc
	s_cbranch_execz .LBB123_197
; %bb.193:
	scratch_load_dwordx4 v[64:67], off, off offset:224
	s_mov_b32 s10, 0
	s_waitcnt vmcnt(0) lgkmcnt(0)
	v_mul_f64 v[0:1], v[58:59], v[66:67]
	v_mul_f64 v[62:63], v[56:57], v[66:67]
	v_fma_f64 v[60:61], v[56:57], v[64:65], -v[0:1]
	v_fmac_f64_e32 v[62:63], v[58:59], v[64:65]
	v_add_u32_e32 v64, 0xf0, v250
	scratch_store_dwordx4 off, v[60:63], off offset:224
	s_branch .LBB123_195
.LBB123_194:                            ;   in Loop: Header=BB123_195 Depth=1
	s_andn2_b64 vcc, exec, s[4:5]
	s_cbranch_vccz .LBB123_197
.LBB123_195:                            ; =>This Inner Loop Header: Depth=1
	v_add_u32_e32 v65, s10, v64
	ds_read2_b64 v[66:69], v65 offset1:1
	s_add_i32 s4, s10, 0xf0
	s_mov_b32 s11, s10
	s_waitcnt lgkmcnt(0)
	v_mul_f64 v[0:1], v[68:69], v[62:63]
	v_mul_f64 v[2:3], v[66:67], v[62:63]
	v_fma_f64 v[0:1], v[66:67], v[60:61], -v[0:1]
	v_fmac_f64_e32 v[2:3], v[68:69], v[60:61]
	scratch_load_dwordx4 v[66:69], off, s4
	s_waitcnt vmcnt(0)
	v_add_f64 v[66:67], v[66:67], -v[0:1]
	v_add_f64 v[68:69], v[68:69], -v[2:3]
	scratch_store_dwordx4 off, v[66:69], s4
	ds_read2_b64 v[66:69], v65 offset0:2 offset1:3
	s_add_i32 s4, s10, 0x100
	s_waitcnt lgkmcnt(0)
	v_mul_f64 v[0:1], v[68:69], v[62:63]
	v_mul_f64 v[2:3], v[66:67], v[62:63]
	v_fma_f64 v[0:1], v[66:67], v[60:61], -v[0:1]
	v_fmac_f64_e32 v[2:3], v[68:69], v[60:61]
	scratch_load_dwordx4 v[66:69], off, s4
	s_waitcnt vmcnt(0)
	v_add_f64 v[66:67], v[66:67], -v[0:1]
	v_add_f64 v[68:69], v[68:69], -v[2:3]
	scratch_store_dwordx4 off, v[66:69], s4
	ds_read2_b64 v[66:69], v65 offset0:4 offset1:5
	s_add_i32 s4, s10, 0x110
	;; [unrolled: 12-line block ×5, first 2 shown]
	s_waitcnt lgkmcnt(0)
	v_mul_f64 v[0:1], v[68:69], v[62:63]
	v_mul_f64 v[2:3], v[66:67], v[62:63]
	v_fma_f64 v[0:1], v[66:67], v[60:61], -v[0:1]
	v_fmac_f64_e32 v[2:3], v[68:69], v[60:61]
	scratch_load_dwordx4 v[60:63], off, s4
	ds_read2_b64 v[66:69], v65 offset0:12 offset1:13
	s_waitcnt vmcnt(0)
	v_add_f64 v[60:61], v[60:61], -v[0:1]
	v_add_f64 v[62:63], v[62:63], -v[2:3]
	scratch_store_dwordx4 off, v[60:63], s4
	scratch_load_dwordx4 v[60:63], off, off offset:224
	s_add_i32 s4, s10, 0x150
	s_cmpk_eq_i32 s10, 0x280
	s_waitcnt vmcnt(0) lgkmcnt(0)
	v_mul_f64 v[0:1], v[68:69], v[62:63]
	v_mul_f64 v[2:3], v[66:67], v[62:63]
	v_fma_f64 v[0:1], v[66:67], v[60:61], -v[0:1]
	v_fmac_f64_e32 v[2:3], v[68:69], v[60:61]
	scratch_load_dwordx4 v[66:69], off, s4
	s_waitcnt vmcnt(0)
	v_add_f64 v[66:67], v[66:67], -v[0:1]
	v_add_f64 v[68:69], v[68:69], -v[2:3]
	scratch_store_dwordx4 off, v[66:69], s4
	s_mov_b64 s[4:5], -1
	s_cbranch_scc1 .LBB123_194
; %bb.196:                              ;   in Loop: Header=BB123_195 Depth=1
	s_addk_i32 s11, 0x160
	scratch_load_dwordx4 v[66:69], off, s11
	ds_read2_b64 v[70:73], v65 offset0:14 offset1:15
	s_addk_i32 s10, 0x80
	s_mov_b64 s[4:5], 0
	s_waitcnt lgkmcnt(0)
	v_mul_f64 v[0:1], v[72:73], v[62:63]
	v_mul_f64 v[2:3], v[70:71], v[62:63]
	v_fma_f64 v[0:1], v[70:71], v[60:61], -v[0:1]
	v_fmac_f64_e32 v[2:3], v[72:73], v[60:61]
	s_waitcnt vmcnt(0)
	v_add_f64 v[66:67], v[66:67], -v[0:1]
	v_add_f64 v[68:69], v[68:69], -v[2:3]
	scratch_store_dwordx4 off, v[66:69], s11
	s_branch .LBB123_194
.LBB123_197:
	s_or_b64 exec, exec, s[2:3]
	v_cmp_eq_u32_e32 vcc, 15, v248
	s_waitcnt lgkmcnt(0)
	s_barrier
	s_and_saveexec_b64 s[4:5], vcc
	s_cbranch_execz .LBB123_206
; %bb.198:
	scratch_load_dwordx4 v[60:63], off, s58
	s_mov_b32 s2, 0
	s_waitcnt vmcnt(0)
	ds_write2_b64 v249, v[60:61], v[62:63] offset1:1
	v_add_u32_e32 v60, 0x100, v250
.LBB123_199:                            ; =>This Inner Loop Header: Depth=1
	s_add_i32 s10, s2, 0x100
	s_add_i32 s3, s2, 0x110
	scratch_load_dwordx4 v[62:65], off, s10
	scratch_load_dwordx4 v[66:69], off, s3
	v_add_u32_e32 v0, s2, v60
	s_add_i32 s2, s2, 32
	s_cmpk_lg_i32 s2, 0x2e0
	s_waitcnt vmcnt(1)
	ds_write2_b64 v0, v[62:63], v[64:65] offset1:1
	s_waitcnt vmcnt(0)
	ds_write2_b64 v0, v[66:67], v[68:69] offset0:2 offset1:3
	s_cbranch_scc1 .LBB123_199
; %bb.200:
	ds_read2_b64 v[60:63], v249 offset1:1
	s_waitcnt lgkmcnt(0)
	v_cmp_neq_f64_e32 vcc, 0, v[60:61]
	v_cmp_neq_f64_e64 s[2:3], 0, v[62:63]
	s_or_b64 s[2:3], vcc, s[2:3]
	s_and_b64 exec, exec, s[2:3]
	s_cbranch_execz .LBB123_206
; %bb.201:
	v_cmp_ngt_f64_e64 s[2:3], |v[60:61]|, |v[62:63]|
                                        ; implicit-def: $vgpr64_vgpr65
	s_and_saveexec_b64 s[10:11], s[2:3]
	s_xor_b64 s[2:3], exec, s[10:11]
                                        ; implicit-def: $vgpr66_vgpr67
	s_cbranch_execz .LBB123_203
; %bb.202:
	v_div_scale_f64 v[0:1], s[10:11], v[62:63], v[62:63], v[60:61]
	v_rcp_f64_e32 v[2:3], v[0:1]
	v_div_scale_f64 v[64:65], vcc, v[60:61], v[62:63], v[60:61]
	v_fma_f64 v[66:67], -v[0:1], v[2:3], 1.0
	v_fmac_f64_e32 v[2:3], v[2:3], v[66:67]
	v_fma_f64 v[66:67], -v[0:1], v[2:3], 1.0
	v_fmac_f64_e32 v[2:3], v[2:3], v[66:67]
	v_mul_f64 v[66:67], v[64:65], v[2:3]
	v_fma_f64 v[0:1], -v[0:1], v[66:67], v[64:65]
	v_div_fmas_f64 v[0:1], v[0:1], v[2:3], v[66:67]
	v_div_fixup_f64 v[0:1], v[0:1], v[62:63], v[60:61]
	v_fmac_f64_e32 v[62:63], v[60:61], v[0:1]
	v_div_scale_f64 v[2:3], s[10:11], v[62:63], v[62:63], 1.0
	v_rcp_f64_e32 v[60:61], v[2:3]
	s_nop 0
	v_fma_f64 v[64:65], -v[2:3], v[60:61], 1.0
	v_fmac_f64_e32 v[60:61], v[60:61], v[64:65]
	v_fma_f64 v[64:65], -v[2:3], v[60:61], 1.0
	v_fmac_f64_e32 v[60:61], v[60:61], v[64:65]
	v_div_scale_f64 v[64:65], vcc, 1.0, v[62:63], 1.0
	v_mul_f64 v[66:67], v[64:65], v[60:61]
	v_fma_f64 v[2:3], -v[2:3], v[66:67], v[64:65]
	s_nop 1
	v_div_fmas_f64 v[2:3], v[2:3], v[60:61], v[66:67]
	v_div_fixup_f64 v[66:67], v[2:3], v[62:63], 1.0
	v_mul_f64 v[64:65], v[0:1], v[66:67]
	v_xor_b32_e32 v67, 0x80000000, v67
                                        ; implicit-def: $vgpr60_vgpr61
.LBB123_203:
	s_andn2_saveexec_b64 s[2:3], s[2:3]
	s_cbranch_execz .LBB123_205
; %bb.204:
	v_div_scale_f64 v[0:1], s[10:11], v[60:61], v[60:61], v[62:63]
	v_rcp_f64_e32 v[2:3], v[0:1]
	v_div_scale_f64 v[64:65], vcc, v[62:63], v[60:61], v[62:63]
	v_fma_f64 v[66:67], -v[0:1], v[2:3], 1.0
	v_fmac_f64_e32 v[2:3], v[2:3], v[66:67]
	v_fma_f64 v[66:67], -v[0:1], v[2:3], 1.0
	v_fmac_f64_e32 v[2:3], v[2:3], v[66:67]
	v_mul_f64 v[66:67], v[64:65], v[2:3]
	v_fma_f64 v[0:1], -v[0:1], v[66:67], v[64:65]
	v_div_fmas_f64 v[0:1], v[0:1], v[2:3], v[66:67]
	v_div_fixup_f64 v[0:1], v[0:1], v[60:61], v[62:63]
	v_fmac_f64_e32 v[60:61], v[62:63], v[0:1]
	v_div_scale_f64 v[2:3], s[10:11], v[60:61], v[60:61], 1.0
	v_rcp_f64_e32 v[62:63], v[2:3]
	s_nop 0
	v_fma_f64 v[64:65], -v[2:3], v[62:63], 1.0
	v_fmac_f64_e32 v[62:63], v[62:63], v[64:65]
	v_fma_f64 v[64:65], -v[2:3], v[62:63], 1.0
	v_fmac_f64_e32 v[62:63], v[62:63], v[64:65]
	v_div_scale_f64 v[64:65], vcc, 1.0, v[60:61], 1.0
	v_mul_f64 v[66:67], v[64:65], v[62:63]
	v_fma_f64 v[2:3], -v[2:3], v[66:67], v[64:65]
	s_nop 1
	v_div_fmas_f64 v[2:3], v[2:3], v[62:63], v[66:67]
	v_div_fixup_f64 v[64:65], v[2:3], v[60:61], 1.0
	v_mul_f64 v[66:67], v[0:1], -v[64:65]
.LBB123_205:
	s_or_b64 exec, exec, s[2:3]
	ds_write2_b64 v249, v[64:65], v[66:67] offset1:1
.LBB123_206:
	s_or_b64 exec, exec, s[4:5]
	s_waitcnt lgkmcnt(0)
	s_barrier
	ds_read2_b64 v[60:63], v249 offset1:1
	v_cmp_lt_u32_e32 vcc, 15, v248
	s_and_saveexec_b64 s[2:3], vcc
	s_cbranch_execz .LBB123_209
; %bb.207:
	scratch_load_dwordx4 v[68:71], off, off offset:240
	s_mov_b32 s4, 0
	s_waitcnt vmcnt(0) lgkmcnt(0)
	v_mul_f64 v[0:1], v[62:63], v[70:71]
	v_mul_f64 v[66:67], v[60:61], v[70:71]
	v_fma_f64 v[64:65], v[60:61], v[68:69], -v[0:1]
	v_fmac_f64_e32 v[66:67], v[62:63], v[68:69]
	v_add_u32_e32 v68, 0x100, v250
	scratch_store_dwordx4 off, v[64:67], off offset:240
.LBB123_208:                            ; =>This Inner Loop Header: Depth=1
	s_add_i32 s10, s4, 0x100
	s_add_i32 s5, s4, 0x110
	scratch_load_dwordx4 v[70:73], off, s10
	scratch_load_dwordx4 v[74:77], off, s5
	v_add_u32_e32 v0, s4, v68
	ds_read2_b64 v[78:81], v0 offset1:1
	ds_read2_b64 v[82:85], v0 offset0:2 offset1:3
	s_add_i32 s4, s4, 32
	s_cmpk_lg_i32 s4, 0x2e0
	s_waitcnt lgkmcnt(1)
	v_mul_f64 v[0:1], v[80:81], v[66:67]
	v_mul_f64 v[2:3], v[78:79], v[66:67]
	s_waitcnt lgkmcnt(0)
	v_mul_f64 v[86:87], v[84:85], v[66:67]
	v_mul_f64 v[88:89], v[82:83], v[66:67]
	v_fma_f64 v[0:1], v[78:79], v[64:65], -v[0:1]
	v_fmac_f64_e32 v[2:3], v[80:81], v[64:65]
	v_fma_f64 v[78:79], v[82:83], v[64:65], -v[86:87]
	v_fmac_f64_e32 v[88:89], v[84:85], v[64:65]
	s_waitcnt vmcnt(1)
	v_add_f64 v[70:71], v[70:71], -v[0:1]
	v_add_f64 v[72:73], v[72:73], -v[2:3]
	s_waitcnt vmcnt(0)
	v_add_f64 v[74:75], v[74:75], -v[78:79]
	v_add_f64 v[76:77], v[76:77], -v[88:89]
	scratch_store_dwordx4 off, v[70:73], s10
	scratch_store_dwordx4 off, v[74:77], s5
	s_cbranch_scc1 .LBB123_208
.LBB123_209:
	s_or_b64 exec, exec, s[2:3]
	v_cmp_eq_u32_e32 vcc, 16, v248
	s_waitcnt lgkmcnt(0)
	s_barrier
	s_and_saveexec_b64 s[4:5], vcc
	s_cbranch_execz .LBB123_218
; %bb.210:
	scratch_load_dwordx4 v[66:69], off, s57
	v_add_u32_e32 v64, 0x110, v250
	s_movk_i32 s2, 0xfd30
	s_waitcnt vmcnt(0)
	ds_write2_b64 v249, v[66:67], v[68:69] offset1:1
.LBB123_211:                            ; =>This Inner Loop Header: Depth=1
	s_add_i32 s10, s2, 0x3e0
	s_add_i32 s11, s2, 0x3f0
	;; [unrolled: 1-line block ×15, first 2 shown]
	scratch_load_dwordx4 v[66:69], off, s10
	scratch_load_dwordx4 v[70:73], off, s11
	;; [unrolled: 1-line block ×15, first 2 shown]
	v_add_u32_e32 v0, s2, v64
	s_addk_i32 s2, 0xf0
	s_cmp_lg_u32 s2, 0
	s_waitcnt vmcnt(14)
	ds_write2_b64 v0, v[66:67], v[68:69] offset0:90 offset1:91
	s_waitcnt vmcnt(13)
	ds_write2_b64 v0, v[70:71], v[72:73] offset0:92 offset1:93
	;; [unrolled: 2-line block ×15, first 2 shown]
	s_cbranch_scc1 .LBB123_211
; %bb.212:
	ds_read2_b64 v[64:67], v249 offset1:1
	s_waitcnt lgkmcnt(0)
	v_cmp_neq_f64_e32 vcc, 0, v[64:65]
	v_cmp_neq_f64_e64 s[2:3], 0, v[66:67]
	s_or_b64 s[2:3], vcc, s[2:3]
	s_and_b64 exec, exec, s[2:3]
	s_cbranch_execz .LBB123_218
; %bb.213:
	v_cmp_ngt_f64_e64 s[2:3], |v[64:65]|, |v[66:67]|
                                        ; implicit-def: $vgpr68_vgpr69
	s_and_saveexec_b64 s[10:11], s[2:3]
	s_xor_b64 s[2:3], exec, s[10:11]
                                        ; implicit-def: $vgpr70_vgpr71
	s_cbranch_execz .LBB123_215
; %bb.214:
	v_div_scale_f64 v[0:1], s[10:11], v[66:67], v[66:67], v[64:65]
	v_rcp_f64_e32 v[2:3], v[0:1]
	v_div_scale_f64 v[68:69], vcc, v[64:65], v[66:67], v[64:65]
	v_fma_f64 v[70:71], -v[0:1], v[2:3], 1.0
	v_fmac_f64_e32 v[2:3], v[2:3], v[70:71]
	v_fma_f64 v[70:71], -v[0:1], v[2:3], 1.0
	v_fmac_f64_e32 v[2:3], v[2:3], v[70:71]
	v_mul_f64 v[70:71], v[68:69], v[2:3]
	v_fma_f64 v[0:1], -v[0:1], v[70:71], v[68:69]
	v_div_fmas_f64 v[0:1], v[0:1], v[2:3], v[70:71]
	v_div_fixup_f64 v[0:1], v[0:1], v[66:67], v[64:65]
	v_fmac_f64_e32 v[66:67], v[64:65], v[0:1]
	v_div_scale_f64 v[2:3], s[10:11], v[66:67], v[66:67], 1.0
	v_rcp_f64_e32 v[64:65], v[2:3]
	s_nop 0
	v_fma_f64 v[68:69], -v[2:3], v[64:65], 1.0
	v_fmac_f64_e32 v[64:65], v[64:65], v[68:69]
	v_fma_f64 v[68:69], -v[2:3], v[64:65], 1.0
	v_fmac_f64_e32 v[64:65], v[64:65], v[68:69]
	v_div_scale_f64 v[68:69], vcc, 1.0, v[66:67], 1.0
	v_mul_f64 v[70:71], v[68:69], v[64:65]
	v_fma_f64 v[2:3], -v[2:3], v[70:71], v[68:69]
	s_nop 1
	v_div_fmas_f64 v[2:3], v[2:3], v[64:65], v[70:71]
	v_div_fixup_f64 v[70:71], v[2:3], v[66:67], 1.0
	v_mul_f64 v[68:69], v[0:1], v[70:71]
	v_xor_b32_e32 v71, 0x80000000, v71
                                        ; implicit-def: $vgpr64_vgpr65
.LBB123_215:
	s_andn2_saveexec_b64 s[2:3], s[2:3]
	s_cbranch_execz .LBB123_217
; %bb.216:
	v_div_scale_f64 v[0:1], s[10:11], v[64:65], v[64:65], v[66:67]
	v_rcp_f64_e32 v[2:3], v[0:1]
	v_div_scale_f64 v[68:69], vcc, v[66:67], v[64:65], v[66:67]
	v_fma_f64 v[70:71], -v[0:1], v[2:3], 1.0
	v_fmac_f64_e32 v[2:3], v[2:3], v[70:71]
	v_fma_f64 v[70:71], -v[0:1], v[2:3], 1.0
	v_fmac_f64_e32 v[2:3], v[2:3], v[70:71]
	v_mul_f64 v[70:71], v[68:69], v[2:3]
	v_fma_f64 v[0:1], -v[0:1], v[70:71], v[68:69]
	v_div_fmas_f64 v[0:1], v[0:1], v[2:3], v[70:71]
	v_div_fixup_f64 v[0:1], v[0:1], v[64:65], v[66:67]
	v_fmac_f64_e32 v[64:65], v[66:67], v[0:1]
	v_div_scale_f64 v[2:3], s[10:11], v[64:65], v[64:65], 1.0
	v_rcp_f64_e32 v[66:67], v[2:3]
	s_nop 0
	v_fma_f64 v[68:69], -v[2:3], v[66:67], 1.0
	v_fmac_f64_e32 v[66:67], v[66:67], v[68:69]
	v_fma_f64 v[68:69], -v[2:3], v[66:67], 1.0
	v_fmac_f64_e32 v[66:67], v[66:67], v[68:69]
	v_div_scale_f64 v[68:69], vcc, 1.0, v[64:65], 1.0
	v_mul_f64 v[70:71], v[68:69], v[66:67]
	v_fma_f64 v[2:3], -v[2:3], v[70:71], v[68:69]
	s_nop 1
	v_div_fmas_f64 v[2:3], v[2:3], v[66:67], v[70:71]
	v_div_fixup_f64 v[68:69], v[2:3], v[64:65], 1.0
	v_mul_f64 v[70:71], v[0:1], -v[68:69]
.LBB123_217:
	s_or_b64 exec, exec, s[2:3]
	ds_write2_b64 v249, v[68:69], v[70:71] offset1:1
.LBB123_218:
	s_or_b64 exec, exec, s[4:5]
	s_waitcnt lgkmcnt(0)
	s_barrier
	ds_read2_b64 v[64:67], v249 offset1:1
	v_cmp_lt_u32_e32 vcc, 16, v248
	s_and_saveexec_b64 s[2:3], vcc
	s_cbranch_execz .LBB123_221
; %bb.219:
	scratch_load_dwordx4 v[70:73], off, off offset:256
	v_add_u32_e32 v68, 0x110, v250
	s_movk_i32 s4, 0xfd30
	s_waitcnt vmcnt(0) lgkmcnt(0)
	v_mul_f64 v[0:1], v[66:67], v[72:73]
	v_mul_f64 v[74:75], v[64:65], v[72:73]
	v_fma_f64 v[72:73], v[64:65], v[70:71], -v[0:1]
	v_fmac_f64_e32 v[74:75], v[66:67], v[70:71]
	scratch_store_dwordx4 off, v[72:75], off offset:256
.LBB123_220:                            ; =>This Inner Loop Header: Depth=1
	scratch_load_dwordx4 v[70:73], off, off offset:256
	s_add_i32 s10, s4, 0x3e0
	scratch_load_dwordx4 v[74:77], off, s10
	v_add_u32_e32 v69, s4, v68
	ds_read2_b64 v[78:81], v69 offset0:90 offset1:91
	ds_read2_b64 v[82:85], v69 offset0:92 offset1:93
	s_add_i32 s11, s4, 0x3f0
	s_add_i32 s48, s4, 0x460
	scratch_load_dwordx4 v[86:89], off, s11
	scratch_load_dwordx4 v[90:93], off, s48
	s_add_i32 s5, s4, 0x450
	s_waitcnt vmcnt(3) lgkmcnt(1)
	v_mul_f64 v[0:1], v[80:81], v[72:73]
	v_mul_f64 v[2:3], v[78:79], v[72:73]
	v_fma_f64 v[0:1], v[78:79], v[70:71], -v[0:1]
	v_fmac_f64_e32 v[2:3], v[80:81], v[70:71]
	s_waitcnt vmcnt(2)
	v_add_f64 v[70:71], v[74:75], -v[0:1]
	v_add_f64 v[72:73], v[76:77], -v[2:3]
	scratch_store_dwordx4 off, v[70:73], s10
	scratch_load_dwordx4 v[70:73], off, off offset:256
	s_add_i32 s10, s4, 0x400
	s_waitcnt vmcnt(0) lgkmcnt(0)
	v_mul_f64 v[0:1], v[84:85], v[72:73]
	v_mul_f64 v[2:3], v[82:83], v[72:73]
	v_fma_f64 v[0:1], v[82:83], v[70:71], -v[0:1]
	v_fmac_f64_e32 v[2:3], v[84:85], v[70:71]
	v_add_f64 v[70:71], v[86:87], -v[0:1]
	v_add_f64 v[72:73], v[88:89], -v[2:3]
	scratch_store_dwordx4 off, v[70:73], s11
	scratch_load_dwordx4 v[70:73], off, off offset:256
	s_nop 0
	scratch_load_dwordx4 v[74:77], off, s10
	ds_read2_b64 v[78:81], v69 offset0:94 offset1:95
	ds_read2_b64 v[82:85], v69 offset0:96 offset1:97
	s_add_i32 s11, s4, 0x410
	scratch_load_dwordx4 v[86:89], off, s11
	s_waitcnt vmcnt(2) lgkmcnt(1)
	v_mul_f64 v[0:1], v[80:81], v[72:73]
	v_mul_f64 v[2:3], v[78:79], v[72:73]
	v_fma_f64 v[0:1], v[78:79], v[70:71], -v[0:1]
	v_fmac_f64_e32 v[2:3], v[80:81], v[70:71]
	s_waitcnt vmcnt(1)
	v_add_f64 v[70:71], v[74:75], -v[0:1]
	v_add_f64 v[72:73], v[76:77], -v[2:3]
	scratch_store_dwordx4 off, v[70:73], s10
	scratch_load_dwordx4 v[70:73], off, off offset:256
	s_add_i32 s10, s4, 0x420
	s_waitcnt vmcnt(0) lgkmcnt(0)
	v_mul_f64 v[0:1], v[84:85], v[72:73]
	v_mul_f64 v[2:3], v[82:83], v[72:73]
	v_fma_f64 v[0:1], v[82:83], v[70:71], -v[0:1]
	v_fmac_f64_e32 v[2:3], v[84:85], v[70:71]
	v_add_f64 v[70:71], v[86:87], -v[0:1]
	v_add_f64 v[72:73], v[88:89], -v[2:3]
	scratch_store_dwordx4 off, v[70:73], s11
	scratch_load_dwordx4 v[70:73], off, off offset:256
	s_nop 0
	scratch_load_dwordx4 v[74:77], off, s10
	ds_read2_b64 v[78:81], v69 offset0:98 offset1:99
	ds_read2_b64 v[82:85], v69 offset0:100 offset1:101
	s_add_i32 s11, s4, 0x430
	scratch_load_dwordx4 v[86:89], off, s11
	s_waitcnt vmcnt(2) lgkmcnt(1)
	v_mul_f64 v[0:1], v[80:81], v[72:73]
	v_mul_f64 v[2:3], v[78:79], v[72:73]
	v_fma_f64 v[0:1], v[78:79], v[70:71], -v[0:1]
	v_fmac_f64_e32 v[2:3], v[80:81], v[70:71]
	s_waitcnt vmcnt(1)
	v_add_f64 v[70:71], v[74:75], -v[0:1]
	v_add_f64 v[72:73], v[76:77], -v[2:3]
	scratch_store_dwordx4 off, v[70:73], s10
	scratch_load_dwordx4 v[70:73], off, off offset:256
	s_add_i32 s10, s4, 0x440
	s_addk_i32 s4, 0x90
	s_cmp_lg_u32 s4, 0
	s_waitcnt vmcnt(0) lgkmcnt(0)
	v_mul_f64 v[0:1], v[84:85], v[72:73]
	v_mul_f64 v[2:3], v[82:83], v[72:73]
	v_fma_f64 v[0:1], v[82:83], v[70:71], -v[0:1]
	v_fmac_f64_e32 v[2:3], v[84:85], v[70:71]
	v_add_f64 v[70:71], v[86:87], -v[0:1]
	v_add_f64 v[72:73], v[88:89], -v[2:3]
	scratch_store_dwordx4 off, v[70:73], s11
	scratch_load_dwordx4 v[70:73], off, off offset:256
	s_nop 0
	scratch_load_dwordx4 v[74:77], off, s10
	ds_read2_b64 v[78:81], v69 offset0:102 offset1:103
	ds_read2_b64 v[82:85], v69 offset0:104 offset1:105
	scratch_load_dwordx4 v[86:89], off, s5
	s_waitcnt vmcnt(2) lgkmcnt(1)
	v_mul_f64 v[0:1], v[80:81], v[72:73]
	v_mul_f64 v[2:3], v[78:79], v[72:73]
	v_fma_f64 v[0:1], v[78:79], v[70:71], -v[0:1]
	v_fmac_f64_e32 v[2:3], v[80:81], v[70:71]
	s_waitcnt vmcnt(1)
	v_add_f64 v[70:71], v[74:75], -v[0:1]
	v_add_f64 v[72:73], v[76:77], -v[2:3]
	scratch_store_dwordx4 off, v[70:73], s10
	scratch_load_dwordx4 v[70:73], off, off offset:256
	ds_read2_b64 v[74:77], v69 offset0:106 offset1:107
	s_waitcnt vmcnt(0) lgkmcnt(1)
	v_mul_f64 v[0:1], v[84:85], v[72:73]
	v_mul_f64 v[2:3], v[82:83], v[72:73]
	v_fma_f64 v[0:1], v[82:83], v[70:71], -v[0:1]
	v_fmac_f64_e32 v[2:3], v[84:85], v[70:71]
	v_add_f64 v[70:71], v[86:87], -v[0:1]
	v_add_f64 v[72:73], v[88:89], -v[2:3]
	scratch_store_dwordx4 off, v[70:73], s5
	scratch_load_dwordx4 v[70:73], off, off offset:256
	s_waitcnt vmcnt(0) lgkmcnt(0)
	v_mul_f64 v[0:1], v[76:77], v[72:73]
	v_mul_f64 v[2:3], v[74:75], v[72:73]
	v_fma_f64 v[0:1], v[74:75], v[70:71], -v[0:1]
	v_fmac_f64_e32 v[2:3], v[76:77], v[70:71]
	v_add_f64 v[70:71], v[90:91], -v[0:1]
	v_add_f64 v[72:73], v[92:93], -v[2:3]
	scratch_store_dwordx4 off, v[70:73], s48
	s_cbranch_scc1 .LBB123_220
.LBB123_221:
	s_or_b64 exec, exec, s[2:3]
	v_cmp_eq_u32_e32 vcc, 17, v248
	s_waitcnt lgkmcnt(0)
	s_barrier
	s_and_saveexec_b64 s[4:5], vcc
	s_cbranch_execz .LBB123_230
; %bb.222:
	scratch_load_dwordx4 v[70:73], off, s56
	v_add_u32_e32 v68, 0x120, v250
	s_movk_i32 s2, 0xfd40
	s_waitcnt vmcnt(0)
	ds_write2_b64 v249, v[70:71], v[72:73] offset1:1
.LBB123_223:                            ; =>This Inner Loop Header: Depth=1
	s_add_i32 s10, s2, 0x3e0
	s_add_i32 s11, s2, 0x3f0
	;; [unrolled: 1-line block ×11, first 2 shown]
	scratch_load_dwordx4 v[70:73], off, s10
	scratch_load_dwordx4 v[74:77], off, s11
	;; [unrolled: 1-line block ×11, first 2 shown]
	v_add_u32_e32 v0, s2, v68
	s_addk_i32 s2, 0xb0
	s_cmp_lg_u32 s2, 0
	s_waitcnt vmcnt(10)
	ds_write2_b64 v0, v[70:71], v[72:73] offset0:88 offset1:89
	s_waitcnt vmcnt(9)
	ds_write2_b64 v0, v[74:75], v[76:77] offset0:90 offset1:91
	;; [unrolled: 2-line block ×11, first 2 shown]
	s_cbranch_scc1 .LBB123_223
; %bb.224:
	ds_read2_b64 v[68:71], v249 offset1:1
	s_waitcnt lgkmcnt(0)
	v_cmp_neq_f64_e32 vcc, 0, v[68:69]
	v_cmp_neq_f64_e64 s[2:3], 0, v[70:71]
	s_or_b64 s[2:3], vcc, s[2:3]
	s_and_b64 exec, exec, s[2:3]
	s_cbranch_execz .LBB123_230
; %bb.225:
	v_cmp_ngt_f64_e64 s[2:3], |v[68:69]|, |v[70:71]|
                                        ; implicit-def: $vgpr72_vgpr73
	s_and_saveexec_b64 s[10:11], s[2:3]
	s_xor_b64 s[2:3], exec, s[10:11]
                                        ; implicit-def: $vgpr74_vgpr75
	s_cbranch_execz .LBB123_227
; %bb.226:
	v_div_scale_f64 v[0:1], s[10:11], v[70:71], v[70:71], v[68:69]
	v_rcp_f64_e32 v[2:3], v[0:1]
	v_div_scale_f64 v[72:73], vcc, v[68:69], v[70:71], v[68:69]
	v_fma_f64 v[74:75], -v[0:1], v[2:3], 1.0
	v_fmac_f64_e32 v[2:3], v[2:3], v[74:75]
	v_fma_f64 v[74:75], -v[0:1], v[2:3], 1.0
	v_fmac_f64_e32 v[2:3], v[2:3], v[74:75]
	v_mul_f64 v[74:75], v[72:73], v[2:3]
	v_fma_f64 v[0:1], -v[0:1], v[74:75], v[72:73]
	v_div_fmas_f64 v[0:1], v[0:1], v[2:3], v[74:75]
	v_div_fixup_f64 v[0:1], v[0:1], v[70:71], v[68:69]
	v_fmac_f64_e32 v[70:71], v[68:69], v[0:1]
	v_div_scale_f64 v[2:3], s[10:11], v[70:71], v[70:71], 1.0
	v_rcp_f64_e32 v[68:69], v[2:3]
	s_nop 0
	v_fma_f64 v[72:73], -v[2:3], v[68:69], 1.0
	v_fmac_f64_e32 v[68:69], v[68:69], v[72:73]
	v_fma_f64 v[72:73], -v[2:3], v[68:69], 1.0
	v_fmac_f64_e32 v[68:69], v[68:69], v[72:73]
	v_div_scale_f64 v[72:73], vcc, 1.0, v[70:71], 1.0
	v_mul_f64 v[74:75], v[72:73], v[68:69]
	v_fma_f64 v[2:3], -v[2:3], v[74:75], v[72:73]
	s_nop 1
	v_div_fmas_f64 v[2:3], v[2:3], v[68:69], v[74:75]
	v_div_fixup_f64 v[74:75], v[2:3], v[70:71], 1.0
	v_mul_f64 v[72:73], v[0:1], v[74:75]
	v_xor_b32_e32 v75, 0x80000000, v75
                                        ; implicit-def: $vgpr68_vgpr69
.LBB123_227:
	s_andn2_saveexec_b64 s[2:3], s[2:3]
	s_cbranch_execz .LBB123_229
; %bb.228:
	v_div_scale_f64 v[0:1], s[10:11], v[68:69], v[68:69], v[70:71]
	v_rcp_f64_e32 v[2:3], v[0:1]
	v_div_scale_f64 v[72:73], vcc, v[70:71], v[68:69], v[70:71]
	v_fma_f64 v[74:75], -v[0:1], v[2:3], 1.0
	v_fmac_f64_e32 v[2:3], v[2:3], v[74:75]
	v_fma_f64 v[74:75], -v[0:1], v[2:3], 1.0
	v_fmac_f64_e32 v[2:3], v[2:3], v[74:75]
	v_mul_f64 v[74:75], v[72:73], v[2:3]
	v_fma_f64 v[0:1], -v[0:1], v[74:75], v[72:73]
	v_div_fmas_f64 v[0:1], v[0:1], v[2:3], v[74:75]
	v_div_fixup_f64 v[0:1], v[0:1], v[68:69], v[70:71]
	v_fmac_f64_e32 v[68:69], v[70:71], v[0:1]
	v_div_scale_f64 v[2:3], s[10:11], v[68:69], v[68:69], 1.0
	v_rcp_f64_e32 v[70:71], v[2:3]
	s_nop 0
	v_fma_f64 v[72:73], -v[2:3], v[70:71], 1.0
	v_fmac_f64_e32 v[70:71], v[70:71], v[72:73]
	v_fma_f64 v[72:73], -v[2:3], v[70:71], 1.0
	v_fmac_f64_e32 v[70:71], v[70:71], v[72:73]
	v_div_scale_f64 v[72:73], vcc, 1.0, v[68:69], 1.0
	v_mul_f64 v[74:75], v[72:73], v[70:71]
	v_fma_f64 v[2:3], -v[2:3], v[74:75], v[72:73]
	s_nop 1
	v_div_fmas_f64 v[2:3], v[2:3], v[70:71], v[74:75]
	v_div_fixup_f64 v[72:73], v[2:3], v[68:69], 1.0
	v_mul_f64 v[74:75], v[0:1], -v[72:73]
.LBB123_229:
	s_or_b64 exec, exec, s[2:3]
	ds_write2_b64 v249, v[72:73], v[74:75] offset1:1
.LBB123_230:
	s_or_b64 exec, exec, s[4:5]
	s_waitcnt lgkmcnt(0)
	s_barrier
	ds_read2_b64 v[68:71], v249 offset1:1
	v_cmp_lt_u32_e32 vcc, 17, v248
	s_and_saveexec_b64 s[2:3], vcc
	s_cbranch_execz .LBB123_233
; %bb.231:
	scratch_load_dwordx4 v[74:77], off, off offset:272
	v_add_u32_e32 v72, 0x120, v250
	s_movk_i32 s4, 0xfd40
	s_waitcnt vmcnt(0) lgkmcnt(0)
	v_mul_f64 v[0:1], v[70:71], v[76:77]
	v_mul_f64 v[78:79], v[68:69], v[76:77]
	v_fma_f64 v[76:77], v[68:69], v[74:75], -v[0:1]
	v_fmac_f64_e32 v[78:79], v[70:71], v[74:75]
	scratch_store_dwordx4 off, v[76:79], off offset:272
.LBB123_232:                            ; =>This Inner Loop Header: Depth=1
	scratch_load_dwordx4 v[74:77], off, off offset:272
	s_add_i32 s10, s4, 0x3e0
	scratch_load_dwordx4 v[78:81], off, s10
	v_add_u32_e32 v73, s4, v72
	ds_read2_b64 v[82:85], v73 offset0:88 offset1:89
	ds_read2_b64 v[86:89], v73 offset0:90 offset1:91
	s_add_i32 s11, s4, 0x3f0
	scratch_load_dwordx4 v[90:93], off, s11
	s_add_i32 s5, s4, 0x410
	s_waitcnt vmcnt(2) lgkmcnt(1)
	v_mul_f64 v[0:1], v[84:85], v[76:77]
	v_mul_f64 v[2:3], v[82:83], v[76:77]
	v_fma_f64 v[0:1], v[82:83], v[74:75], -v[0:1]
	v_fmac_f64_e32 v[2:3], v[84:85], v[74:75]
	s_waitcnt vmcnt(1)
	v_add_f64 v[74:75], v[78:79], -v[0:1]
	v_add_f64 v[76:77], v[80:81], -v[2:3]
	scratch_store_dwordx4 off, v[74:77], s10
	scratch_load_dwordx4 v[74:77], off, off offset:272
	s_add_i32 s10, s4, 0x400
	s_add_i32 s4, s4, 64
	s_cmp_lg_u32 s4, 0
	s_waitcnt vmcnt(0) lgkmcnt(0)
	v_mul_f64 v[0:1], v[88:89], v[76:77]
	v_mul_f64 v[2:3], v[86:87], v[76:77]
	v_fma_f64 v[0:1], v[86:87], v[74:75], -v[0:1]
	v_fmac_f64_e32 v[2:3], v[88:89], v[74:75]
	v_add_f64 v[74:75], v[90:91], -v[0:1]
	v_add_f64 v[76:77], v[92:93], -v[2:3]
	scratch_store_dwordx4 off, v[74:77], s11
	scratch_load_dwordx4 v[74:77], off, off offset:272
	s_nop 0
	scratch_load_dwordx4 v[78:81], off, s10
	ds_read2_b64 v[82:85], v73 offset0:92 offset1:93
	ds_read2_b64 v[86:89], v73 offset0:94 offset1:95
	scratch_load_dwordx4 v[90:93], off, s5
	s_waitcnt vmcnt(2) lgkmcnt(1)
	v_mul_f64 v[0:1], v[84:85], v[76:77]
	v_mul_f64 v[2:3], v[82:83], v[76:77]
	v_fma_f64 v[0:1], v[82:83], v[74:75], -v[0:1]
	v_fmac_f64_e32 v[2:3], v[84:85], v[74:75]
	s_waitcnt vmcnt(1)
	v_add_f64 v[74:75], v[78:79], -v[0:1]
	v_add_f64 v[76:77], v[80:81], -v[2:3]
	scratch_store_dwordx4 off, v[74:77], s10
	scratch_load_dwordx4 v[74:77], off, off offset:272
	s_waitcnt vmcnt(0) lgkmcnt(0)
	v_mul_f64 v[0:1], v[88:89], v[76:77]
	v_mul_f64 v[2:3], v[86:87], v[76:77]
	v_fma_f64 v[0:1], v[86:87], v[74:75], -v[0:1]
	v_fmac_f64_e32 v[2:3], v[88:89], v[74:75]
	v_add_f64 v[74:75], v[90:91], -v[0:1]
	v_add_f64 v[76:77], v[92:93], -v[2:3]
	scratch_store_dwordx4 off, v[74:77], s5
	s_cbranch_scc1 .LBB123_232
.LBB123_233:
	s_or_b64 exec, exec, s[2:3]
	v_cmp_eq_u32_e32 vcc, 18, v248
	s_waitcnt lgkmcnt(0)
	s_barrier
	s_and_saveexec_b64 s[4:5], vcc
	s_cbranch_execz .LBB123_244
; %bb.234:
	scratch_load_dwordx4 v[72:75], off, s55
	s_mov_b32 s10, 0
	s_waitcnt vmcnt(0)
	ds_write2_b64 v249, v[72:73], v[74:75] offset1:1
	v_add_u32_e32 v72, 0x130, v250
	s_branch .LBB123_236
.LBB123_235:                            ;   in Loop: Header=BB123_236 Depth=1
	s_andn2_b64 vcc, exec, s[2:3]
	s_cbranch_vccz .LBB123_238
.LBB123_236:                            ; =>This Inner Loop Header: Depth=1
	s_add_i32 s2, s10, 0x130
	s_add_i32 s3, s10, 0x140
	scratch_load_dwordx4 v[74:77], off, s2
	scratch_load_dwordx4 v[78:81], off, s3
	s_add_i32 s2, s10, 0x150
	scratch_load_dwordx4 v[82:85], off, s2
	s_mov_b32 s11, s10
	v_add_u32_e32 v73, s10, v72
	s_cmpk_eq_i32 s10, 0x280
	s_mov_b64 s[2:3], -1
	s_waitcnt vmcnt(2)
	ds_write2_b64 v73, v[74:75], v[76:77] offset1:1
	s_waitcnt vmcnt(1)
	ds_write2_b64 v73, v[78:79], v[80:81] offset0:2 offset1:3
	s_waitcnt vmcnt(0)
	ds_write2_b64 v73, v[82:83], v[84:85] offset0:4 offset1:5
	s_cbranch_scc1 .LBB123_235
; %bb.237:                              ;   in Loop: Header=BB123_236 Depth=1
	s_add_i32 s2, s11, 0x160
	s_add_i32 s3, s11, 0x170
	scratch_load_dwordx4 v[74:77], off, s2
	scratch_load_dwordx4 v[78:81], off, s3
	s_add_i32 s2, s11, 0x180
	s_add_i32 s3, s11, 0x190
	scratch_load_dwordx4 v[82:85], off, s2
	scratch_load_dwordx4 v[86:89], off, s3
	s_addk_i32 s11, 0x1a0
	scratch_load_dwordx4 v[90:93], off, s11
	s_addk_i32 s10, 0x80
	s_mov_b64 s[2:3], 0
	s_waitcnt vmcnt(4)
	ds_write2_b64 v73, v[74:75], v[76:77] offset0:6 offset1:7
	s_waitcnt vmcnt(3)
	ds_write2_b64 v73, v[78:79], v[80:81] offset0:8 offset1:9
	;; [unrolled: 2-line block ×5, first 2 shown]
	s_branch .LBB123_235
.LBB123_238:
	ds_read2_b64 v[72:75], v249 offset1:1
	s_waitcnt lgkmcnt(0)
	v_cmp_neq_f64_e32 vcc, 0, v[72:73]
	v_cmp_neq_f64_e64 s[2:3], 0, v[74:75]
	s_or_b64 s[2:3], vcc, s[2:3]
	s_and_b64 exec, exec, s[2:3]
	s_cbranch_execz .LBB123_244
; %bb.239:
	v_cmp_ngt_f64_e64 s[2:3], |v[72:73]|, |v[74:75]|
                                        ; implicit-def: $vgpr76_vgpr77
	s_and_saveexec_b64 s[10:11], s[2:3]
	s_xor_b64 s[2:3], exec, s[10:11]
                                        ; implicit-def: $vgpr78_vgpr79
	s_cbranch_execz .LBB123_241
; %bb.240:
	v_div_scale_f64 v[0:1], s[10:11], v[74:75], v[74:75], v[72:73]
	v_rcp_f64_e32 v[2:3], v[0:1]
	v_div_scale_f64 v[76:77], vcc, v[72:73], v[74:75], v[72:73]
	v_fma_f64 v[78:79], -v[0:1], v[2:3], 1.0
	v_fmac_f64_e32 v[2:3], v[2:3], v[78:79]
	v_fma_f64 v[78:79], -v[0:1], v[2:3], 1.0
	v_fmac_f64_e32 v[2:3], v[2:3], v[78:79]
	v_mul_f64 v[78:79], v[76:77], v[2:3]
	v_fma_f64 v[0:1], -v[0:1], v[78:79], v[76:77]
	v_div_fmas_f64 v[0:1], v[0:1], v[2:3], v[78:79]
	v_div_fixup_f64 v[0:1], v[0:1], v[74:75], v[72:73]
	v_fmac_f64_e32 v[74:75], v[72:73], v[0:1]
	v_div_scale_f64 v[2:3], s[10:11], v[74:75], v[74:75], 1.0
	v_rcp_f64_e32 v[72:73], v[2:3]
	s_nop 0
	v_fma_f64 v[76:77], -v[2:3], v[72:73], 1.0
	v_fmac_f64_e32 v[72:73], v[72:73], v[76:77]
	v_fma_f64 v[76:77], -v[2:3], v[72:73], 1.0
	v_fmac_f64_e32 v[72:73], v[72:73], v[76:77]
	v_div_scale_f64 v[76:77], vcc, 1.0, v[74:75], 1.0
	v_mul_f64 v[78:79], v[76:77], v[72:73]
	v_fma_f64 v[2:3], -v[2:3], v[78:79], v[76:77]
	s_nop 1
	v_div_fmas_f64 v[2:3], v[2:3], v[72:73], v[78:79]
	v_div_fixup_f64 v[78:79], v[2:3], v[74:75], 1.0
	v_mul_f64 v[76:77], v[0:1], v[78:79]
	v_xor_b32_e32 v79, 0x80000000, v79
                                        ; implicit-def: $vgpr72_vgpr73
.LBB123_241:
	s_andn2_saveexec_b64 s[2:3], s[2:3]
	s_cbranch_execz .LBB123_243
; %bb.242:
	v_div_scale_f64 v[0:1], s[10:11], v[72:73], v[72:73], v[74:75]
	v_rcp_f64_e32 v[2:3], v[0:1]
	v_div_scale_f64 v[76:77], vcc, v[74:75], v[72:73], v[74:75]
	v_fma_f64 v[78:79], -v[0:1], v[2:3], 1.0
	v_fmac_f64_e32 v[2:3], v[2:3], v[78:79]
	v_fma_f64 v[78:79], -v[0:1], v[2:3], 1.0
	v_fmac_f64_e32 v[2:3], v[2:3], v[78:79]
	v_mul_f64 v[78:79], v[76:77], v[2:3]
	v_fma_f64 v[0:1], -v[0:1], v[78:79], v[76:77]
	v_div_fmas_f64 v[0:1], v[0:1], v[2:3], v[78:79]
	v_div_fixup_f64 v[0:1], v[0:1], v[72:73], v[74:75]
	v_fmac_f64_e32 v[72:73], v[74:75], v[0:1]
	v_div_scale_f64 v[2:3], s[10:11], v[72:73], v[72:73], 1.0
	v_rcp_f64_e32 v[74:75], v[2:3]
	s_nop 0
	v_fma_f64 v[76:77], -v[2:3], v[74:75], 1.0
	v_fmac_f64_e32 v[74:75], v[74:75], v[76:77]
	v_fma_f64 v[76:77], -v[2:3], v[74:75], 1.0
	v_fmac_f64_e32 v[74:75], v[74:75], v[76:77]
	v_div_scale_f64 v[76:77], vcc, 1.0, v[72:73], 1.0
	v_mul_f64 v[78:79], v[76:77], v[74:75]
	v_fma_f64 v[2:3], -v[2:3], v[78:79], v[76:77]
	s_nop 1
	v_div_fmas_f64 v[2:3], v[2:3], v[74:75], v[78:79]
	v_div_fixup_f64 v[76:77], v[2:3], v[72:73], 1.0
	v_mul_f64 v[78:79], v[0:1], -v[76:77]
.LBB123_243:
	s_or_b64 exec, exec, s[2:3]
	ds_write2_b64 v249, v[76:77], v[78:79] offset1:1
.LBB123_244:
	s_or_b64 exec, exec, s[4:5]
	s_waitcnt lgkmcnt(0)
	s_barrier
	ds_read2_b64 v[72:75], v249 offset1:1
	v_cmp_lt_u32_e32 vcc, 18, v248
	s_and_saveexec_b64 s[2:3], vcc
	s_cbranch_execz .LBB123_249
; %bb.245:
	scratch_load_dwordx4 v[80:83], off, off offset:288
	s_mov_b32 s10, 0
	s_waitcnt vmcnt(0) lgkmcnt(0)
	v_mul_f64 v[0:1], v[74:75], v[82:83]
	v_mul_f64 v[78:79], v[72:73], v[82:83]
	v_fma_f64 v[76:77], v[72:73], v[80:81], -v[0:1]
	v_fmac_f64_e32 v[78:79], v[74:75], v[80:81]
	v_add_u32_e32 v80, 0x130, v250
	scratch_store_dwordx4 off, v[76:79], off offset:288
	s_branch .LBB123_247
.LBB123_246:                            ;   in Loop: Header=BB123_247 Depth=1
	s_andn2_b64 vcc, exec, s[4:5]
	s_cbranch_vccz .LBB123_249
.LBB123_247:                            ; =>This Inner Loop Header: Depth=1
	s_add_i32 s4, s10, 0x130
	scratch_load_dwordx4 v[82:85], off, s4
	s_add_i32 s5, s10, 0x140
	s_add_i32 s48, s10, 0x150
	scratch_load_dwordx4 v[86:89], off, s5
	scratch_load_dwordx4 v[90:93], off, s48
	v_add_u32_e32 v81, s10, v80
	ds_read2_b64 v[94:97], v81 offset1:1
	ds_read2_b64 v[98:101], v81 offset0:2 offset1:3
	ds_read2_b64 v[102:105], v81 offset0:4 offset1:5
	s_mov_b32 s11, s10
	s_cmpk_eq_i32 s10, 0x280
	s_waitcnt lgkmcnt(2)
	v_mul_f64 v[0:1], v[96:97], v[78:79]
	v_mul_f64 v[2:3], v[94:95], v[78:79]
	s_waitcnt lgkmcnt(1)
	v_mul_f64 v[106:107], v[100:101], v[78:79]
	v_mul_f64 v[108:109], v[98:99], v[78:79]
	;; [unrolled: 3-line block ×3, first 2 shown]
	v_fma_f64 v[0:1], v[94:95], v[76:77], -v[0:1]
	v_fmac_f64_e32 v[2:3], v[96:97], v[76:77]
	v_fma_f64 v[94:95], v[98:99], v[76:77], -v[106:107]
	v_fmac_f64_e32 v[108:109], v[100:101], v[76:77]
	v_fma_f64 v[96:97], v[102:103], v[76:77], -v[110:111]
	v_fmac_f64_e32 v[112:113], v[104:105], v[76:77]
	s_waitcnt vmcnt(2)
	v_add_f64 v[82:83], v[82:83], -v[0:1]
	v_add_f64 v[84:85], v[84:85], -v[2:3]
	s_waitcnt vmcnt(1)
	v_add_f64 v[86:87], v[86:87], -v[94:95]
	v_add_f64 v[88:89], v[88:89], -v[108:109]
	;; [unrolled: 3-line block ×3, first 2 shown]
	scratch_store_dwordx4 off, v[82:85], s4
	scratch_store_dwordx4 off, v[86:89], s5
	scratch_store_dwordx4 off, v[90:93], s48
	s_mov_b64 s[4:5], -1
	s_cbranch_scc1 .LBB123_246
; %bb.248:                              ;   in Loop: Header=BB123_247 Depth=1
	ds_read2_b64 v[82:85], v81 offset0:6 offset1:7
	s_add_i32 s4, s11, 0x160
	s_addk_i32 s10, 0x80
	s_waitcnt lgkmcnt(0)
	v_mul_f64 v[0:1], v[84:85], v[78:79]
	v_mul_f64 v[2:3], v[82:83], v[78:79]
	v_fma_f64 v[0:1], v[82:83], v[76:77], -v[0:1]
	v_fmac_f64_e32 v[2:3], v[84:85], v[76:77]
	scratch_load_dwordx4 v[82:85], off, s4
	s_waitcnt vmcnt(0)
	v_add_f64 v[82:83], v[82:83], -v[0:1]
	v_add_f64 v[84:85], v[84:85], -v[2:3]
	scratch_store_dwordx4 off, v[82:85], s4
	ds_read2_b64 v[82:85], v81 offset0:8 offset1:9
	s_add_i32 s4, s11, 0x170
	s_waitcnt lgkmcnt(0)
	v_mul_f64 v[0:1], v[84:85], v[78:79]
	v_mul_f64 v[2:3], v[82:83], v[78:79]
	v_fma_f64 v[0:1], v[82:83], v[76:77], -v[0:1]
	v_fmac_f64_e32 v[2:3], v[84:85], v[76:77]
	scratch_load_dwordx4 v[82:85], off, s4
	s_waitcnt vmcnt(0)
	v_add_f64 v[82:83], v[82:83], -v[0:1]
	v_add_f64 v[84:85], v[84:85], -v[2:3]
	scratch_store_dwordx4 off, v[82:85], s4
	ds_read2_b64 v[82:85], v81 offset0:10 offset1:11
	s_add_i32 s4, s11, 0x180
	;; [unrolled: 12-line block ×3, first 2 shown]
	s_addk_i32 s11, 0x1a0
	s_waitcnt lgkmcnt(0)
	v_mul_f64 v[0:1], v[84:85], v[78:79]
	v_mul_f64 v[2:3], v[82:83], v[78:79]
	v_fma_f64 v[0:1], v[82:83], v[76:77], -v[0:1]
	v_fmac_f64_e32 v[2:3], v[84:85], v[76:77]
	scratch_load_dwordx4 v[82:85], off, s4
	s_waitcnt vmcnt(0)
	v_add_f64 v[82:83], v[82:83], -v[0:1]
	v_add_f64 v[84:85], v[84:85], -v[2:3]
	scratch_store_dwordx4 off, v[82:85], s4
	ds_read2_b64 v[82:85], v81 offset0:14 offset1:15
	s_mov_b64 s[4:5], 0
	s_waitcnt lgkmcnt(0)
	v_mul_f64 v[0:1], v[84:85], v[78:79]
	v_mul_f64 v[2:3], v[82:83], v[78:79]
	v_fma_f64 v[0:1], v[82:83], v[76:77], -v[0:1]
	v_fmac_f64_e32 v[2:3], v[84:85], v[76:77]
	scratch_load_dwordx4 v[82:85], off, s11
	s_waitcnt vmcnt(0)
	v_add_f64 v[82:83], v[82:83], -v[0:1]
	v_add_f64 v[84:85], v[84:85], -v[2:3]
	scratch_store_dwordx4 off, v[82:85], s11
	s_branch .LBB123_246
.LBB123_249:
	s_or_b64 exec, exec, s[2:3]
	v_cmp_eq_u32_e32 vcc, 19, v248
	s_waitcnt lgkmcnt(0)
	s_barrier
	s_and_saveexec_b64 s[4:5], vcc
	s_cbranch_execz .LBB123_258
; %bb.250:
	scratch_load_dwordx4 v[78:81], off, s54
	v_add_u32_e32 v76, 0x140, v250
	s_movk_i32 s2, 0xfd60
	s_waitcnt vmcnt(0)
	ds_write2_b64 v249, v[78:79], v[80:81] offset1:1
.LBB123_251:                            ; =>This Inner Loop Header: Depth=1
	s_add_i32 s10, s2, 0x3e0
	scratch_load_dwordx4 v[78:81], off, s10
	v_add_u32_e32 v0, s2, v76
	s_add_i32 s10, s2, 0x3f0
	s_add_i32 s3, s2, 0x4b0
	s_waitcnt vmcnt(0)
	ds_write2_b64 v0, v[78:79], v[80:81] offset0:84 offset1:85
	scratch_load_dwordx4 v[78:81], off, s10
	s_add_i32 s10, s2, 0x400
	s_waitcnt vmcnt(0)
	ds_write2_b64 v0, v[78:79], v[80:81] offset0:86 offset1:87
	scratch_load_dwordx4 v[78:81], off, s10
	;; [unrolled: 4-line block ×11, first 2 shown]
	s_add_i32 s10, s2, 0x4a0
	s_addk_i32 s2, 0xe0
	s_cmp_lg_u32 s2, 0
	s_waitcnt vmcnt(0)
	ds_write2_b64 v0, v[78:79], v[80:81] offset0:106 offset1:107
	scratch_load_dwordx4 v[78:81], off, s10
	s_waitcnt vmcnt(0)
	ds_write2_b64 v0, v[78:79], v[80:81] offset0:108 offset1:109
	scratch_load_dwordx4 v[78:81], off, s3
	s_waitcnt vmcnt(0)
	ds_write2_b64 v0, v[78:79], v[80:81] offset0:110 offset1:111
	s_cbranch_scc1 .LBB123_251
; %bb.252:
	ds_read2_b64 v[76:79], v249 offset1:1
	s_waitcnt lgkmcnt(0)
	v_cmp_neq_f64_e32 vcc, 0, v[76:77]
	v_cmp_neq_f64_e64 s[2:3], 0, v[78:79]
	s_or_b64 s[2:3], vcc, s[2:3]
	s_and_b64 exec, exec, s[2:3]
	s_cbranch_execz .LBB123_258
; %bb.253:
	v_cmp_ngt_f64_e64 s[2:3], |v[76:77]|, |v[78:79]|
                                        ; implicit-def: $vgpr80_vgpr81
	s_and_saveexec_b64 s[10:11], s[2:3]
	s_xor_b64 s[2:3], exec, s[10:11]
                                        ; implicit-def: $vgpr82_vgpr83
	s_cbranch_execz .LBB123_255
; %bb.254:
	v_div_scale_f64 v[0:1], s[10:11], v[78:79], v[78:79], v[76:77]
	v_rcp_f64_e32 v[2:3], v[0:1]
	v_div_scale_f64 v[80:81], vcc, v[76:77], v[78:79], v[76:77]
	v_fma_f64 v[82:83], -v[0:1], v[2:3], 1.0
	v_fmac_f64_e32 v[2:3], v[2:3], v[82:83]
	v_fma_f64 v[82:83], -v[0:1], v[2:3], 1.0
	v_fmac_f64_e32 v[2:3], v[2:3], v[82:83]
	v_mul_f64 v[82:83], v[80:81], v[2:3]
	v_fma_f64 v[0:1], -v[0:1], v[82:83], v[80:81]
	v_div_fmas_f64 v[0:1], v[0:1], v[2:3], v[82:83]
	v_div_fixup_f64 v[0:1], v[0:1], v[78:79], v[76:77]
	v_fmac_f64_e32 v[78:79], v[76:77], v[0:1]
	v_div_scale_f64 v[2:3], s[10:11], v[78:79], v[78:79], 1.0
	v_rcp_f64_e32 v[76:77], v[2:3]
	s_nop 0
	v_fma_f64 v[80:81], -v[2:3], v[76:77], 1.0
	v_fmac_f64_e32 v[76:77], v[76:77], v[80:81]
	v_fma_f64 v[80:81], -v[2:3], v[76:77], 1.0
	v_fmac_f64_e32 v[76:77], v[76:77], v[80:81]
	v_div_scale_f64 v[80:81], vcc, 1.0, v[78:79], 1.0
	v_mul_f64 v[82:83], v[80:81], v[76:77]
	v_fma_f64 v[2:3], -v[2:3], v[82:83], v[80:81]
	s_nop 1
	v_div_fmas_f64 v[2:3], v[2:3], v[76:77], v[82:83]
	v_div_fixup_f64 v[82:83], v[2:3], v[78:79], 1.0
	v_mul_f64 v[80:81], v[0:1], v[82:83]
	v_xor_b32_e32 v83, 0x80000000, v83
                                        ; implicit-def: $vgpr76_vgpr77
.LBB123_255:
	s_andn2_saveexec_b64 s[2:3], s[2:3]
	s_cbranch_execz .LBB123_257
; %bb.256:
	v_div_scale_f64 v[0:1], s[10:11], v[76:77], v[76:77], v[78:79]
	v_rcp_f64_e32 v[2:3], v[0:1]
	v_div_scale_f64 v[80:81], vcc, v[78:79], v[76:77], v[78:79]
	v_fma_f64 v[82:83], -v[0:1], v[2:3], 1.0
	v_fmac_f64_e32 v[2:3], v[2:3], v[82:83]
	v_fma_f64 v[82:83], -v[0:1], v[2:3], 1.0
	v_fmac_f64_e32 v[2:3], v[2:3], v[82:83]
	v_mul_f64 v[82:83], v[80:81], v[2:3]
	v_fma_f64 v[0:1], -v[0:1], v[82:83], v[80:81]
	v_div_fmas_f64 v[0:1], v[0:1], v[2:3], v[82:83]
	v_div_fixup_f64 v[0:1], v[0:1], v[76:77], v[78:79]
	v_fmac_f64_e32 v[76:77], v[78:79], v[0:1]
	v_div_scale_f64 v[2:3], s[10:11], v[76:77], v[76:77], 1.0
	v_rcp_f64_e32 v[78:79], v[2:3]
	s_nop 0
	v_fma_f64 v[80:81], -v[2:3], v[78:79], 1.0
	v_fmac_f64_e32 v[78:79], v[78:79], v[80:81]
	v_fma_f64 v[80:81], -v[2:3], v[78:79], 1.0
	v_fmac_f64_e32 v[78:79], v[78:79], v[80:81]
	v_div_scale_f64 v[80:81], vcc, 1.0, v[76:77], 1.0
	v_mul_f64 v[82:83], v[80:81], v[78:79]
	v_fma_f64 v[2:3], -v[2:3], v[82:83], v[80:81]
	s_nop 1
	v_div_fmas_f64 v[2:3], v[2:3], v[78:79], v[82:83]
	v_div_fixup_f64 v[80:81], v[2:3], v[76:77], 1.0
	v_mul_f64 v[82:83], v[0:1], -v[80:81]
.LBB123_257:
	s_or_b64 exec, exec, s[2:3]
	ds_write2_b64 v249, v[80:81], v[82:83] offset1:1
.LBB123_258:
	s_or_b64 exec, exec, s[4:5]
	s_waitcnt lgkmcnt(0)
	s_barrier
	ds_read2_b64 v[76:79], v249 offset1:1
	v_cmp_lt_u32_e32 vcc, 19, v248
	s_and_saveexec_b64 s[2:3], vcc
	s_cbranch_execz .LBB123_261
; %bb.259:
	scratch_load_dwordx4 v[82:85], off, off offset:304
	v_add_u32_e32 v80, 0x140, v250
	s_movk_i32 s4, 0xfd60
	s_waitcnt vmcnt(0) lgkmcnt(0)
	v_mul_f64 v[0:1], v[78:79], v[84:85]
	v_mul_f64 v[86:87], v[76:77], v[84:85]
	v_fma_f64 v[84:85], v[76:77], v[82:83], -v[0:1]
	v_fmac_f64_e32 v[86:87], v[78:79], v[82:83]
	scratch_store_dwordx4 off, v[84:87], off offset:304
.LBB123_260:                            ; =>This Inner Loop Header: Depth=1
	scratch_load_dwordx4 v[82:85], off, off offset:304
	s_add_i32 s10, s4, 0x3e0
	scratch_load_dwordx4 v[86:89], off, s10
	v_add_u32_e32 v81, s4, v80
	ds_read2_b64 v[90:93], v81 offset0:84 offset1:85
	ds_read2_b64 v[94:97], v81 offset0:86 offset1:87
	s_add_i32 s11, s4, 0x3f0
	s_add_i32 s48, s4, 0x440
	scratch_load_dwordx4 v[98:101], off, s11
	scratch_load_dwordx4 v[102:105], off, s48
	s_add_i32 s5, s4, 0x430
	s_waitcnt vmcnt(3) lgkmcnt(1)
	v_mul_f64 v[0:1], v[92:93], v[84:85]
	v_mul_f64 v[2:3], v[90:91], v[84:85]
	v_fma_f64 v[0:1], v[90:91], v[82:83], -v[0:1]
	v_fmac_f64_e32 v[2:3], v[92:93], v[82:83]
	s_waitcnt vmcnt(2)
	v_add_f64 v[82:83], v[86:87], -v[0:1]
	v_add_f64 v[84:85], v[88:89], -v[2:3]
	scratch_store_dwordx4 off, v[82:85], s10
	scratch_load_dwordx4 v[82:85], off, off offset:304
	s_add_i32 s10, s4, 0x400
	s_waitcnt vmcnt(0) lgkmcnt(0)
	v_mul_f64 v[0:1], v[96:97], v[84:85]
	v_mul_f64 v[2:3], v[94:95], v[84:85]
	v_fma_f64 v[0:1], v[94:95], v[82:83], -v[0:1]
	v_fmac_f64_e32 v[2:3], v[96:97], v[82:83]
	v_add_f64 v[82:83], v[98:99], -v[0:1]
	v_add_f64 v[84:85], v[100:101], -v[2:3]
	scratch_store_dwordx4 off, v[82:85], s11
	scratch_load_dwordx4 v[82:85], off, off offset:304
	s_nop 0
	scratch_load_dwordx4 v[86:89], off, s10
	ds_read2_b64 v[90:93], v81 offset0:88 offset1:89
	ds_read2_b64 v[94:97], v81 offset0:90 offset1:91
	s_add_i32 s11, s4, 0x410
	scratch_load_dwordx4 v[98:101], off, s11
	s_waitcnt vmcnt(2) lgkmcnt(1)
	v_mul_f64 v[0:1], v[92:93], v[84:85]
	v_mul_f64 v[2:3], v[90:91], v[84:85]
	v_fma_f64 v[0:1], v[90:91], v[82:83], -v[0:1]
	v_fmac_f64_e32 v[2:3], v[92:93], v[82:83]
	s_waitcnt vmcnt(1)
	v_add_f64 v[82:83], v[86:87], -v[0:1]
	v_add_f64 v[84:85], v[88:89], -v[2:3]
	scratch_store_dwordx4 off, v[82:85], s10
	scratch_load_dwordx4 v[82:85], off, off offset:304
	s_add_i32 s10, s4, 0x420
	s_addk_i32 s4, 0x70
	s_cmp_lg_u32 s4, 0
	s_waitcnt vmcnt(0) lgkmcnt(0)
	v_mul_f64 v[0:1], v[96:97], v[84:85]
	v_mul_f64 v[2:3], v[94:95], v[84:85]
	v_fma_f64 v[0:1], v[94:95], v[82:83], -v[0:1]
	v_fmac_f64_e32 v[2:3], v[96:97], v[82:83]
	v_add_f64 v[82:83], v[98:99], -v[0:1]
	v_add_f64 v[84:85], v[100:101], -v[2:3]
	scratch_store_dwordx4 off, v[82:85], s11
	scratch_load_dwordx4 v[82:85], off, off offset:304
	s_nop 0
	scratch_load_dwordx4 v[86:89], off, s10
	ds_read2_b64 v[90:93], v81 offset0:92 offset1:93
	ds_read2_b64 v[94:97], v81 offset0:94 offset1:95
	scratch_load_dwordx4 v[98:101], off, s5
	s_waitcnt vmcnt(2) lgkmcnt(1)
	v_mul_f64 v[0:1], v[92:93], v[84:85]
	v_mul_f64 v[2:3], v[90:91], v[84:85]
	v_fma_f64 v[0:1], v[90:91], v[82:83], -v[0:1]
	v_fmac_f64_e32 v[2:3], v[92:93], v[82:83]
	s_waitcnt vmcnt(1)
	v_add_f64 v[82:83], v[86:87], -v[0:1]
	v_add_f64 v[84:85], v[88:89], -v[2:3]
	scratch_store_dwordx4 off, v[82:85], s10
	scratch_load_dwordx4 v[82:85], off, off offset:304
	ds_read2_b64 v[86:89], v81 offset0:96 offset1:97
	s_waitcnt vmcnt(0) lgkmcnt(1)
	v_mul_f64 v[0:1], v[96:97], v[84:85]
	v_mul_f64 v[2:3], v[94:95], v[84:85]
	v_fma_f64 v[0:1], v[94:95], v[82:83], -v[0:1]
	v_fmac_f64_e32 v[2:3], v[96:97], v[82:83]
	v_add_f64 v[82:83], v[98:99], -v[0:1]
	v_add_f64 v[84:85], v[100:101], -v[2:3]
	scratch_store_dwordx4 off, v[82:85], s5
	scratch_load_dwordx4 v[82:85], off, off offset:304
	s_waitcnt vmcnt(0) lgkmcnt(0)
	v_mul_f64 v[0:1], v[88:89], v[84:85]
	v_mul_f64 v[2:3], v[86:87], v[84:85]
	v_fma_f64 v[0:1], v[86:87], v[82:83], -v[0:1]
	v_fmac_f64_e32 v[2:3], v[88:89], v[82:83]
	v_add_f64 v[82:83], v[102:103], -v[0:1]
	v_add_f64 v[84:85], v[104:105], -v[2:3]
	scratch_store_dwordx4 off, v[82:85], s48
	s_cbranch_scc1 .LBB123_260
.LBB123_261:
	s_or_b64 exec, exec, s[2:3]
	v_cmp_eq_u32_e32 vcc, 20, v248
	s_waitcnt lgkmcnt(0)
	s_barrier
	s_and_saveexec_b64 s[4:5], vcc
	s_cbranch_execz .LBB123_272
; %bb.262:
	scratch_load_dwordx4 v[82:85], off, s53
	v_add_u32_e32 v80, 0x150, v250
	s_movk_i32 s10, 0xfd80
	s_waitcnt vmcnt(0)
	ds_write2_b64 v249, v[82:83], v[84:85] offset1:1
	s_branch .LBB123_264
.LBB123_263:                            ;   in Loop: Header=BB123_264 Depth=1
	s_add_i32 s3, s2, 0x3e0
	s_add_i32 s11, s2, 0x3f0
	scratch_load_dwordx4 v[82:85], off, s3
	scratch_load_dwordx4 v[86:89], off, s11
	s_add_i32 s3, s2, 0x400
	s_add_i32 s11, s2, 0x410
	scratch_load_dwordx4 v[90:93], off, s3
	scratch_load_dwordx4 v[94:97], off, s11
	;; [unrolled: 4-line block ×3, first 2 shown]
	s_addk_i32 s2, 0x440
	scratch_load_dwordx4 v[106:109], off, s2
	s_addk_i32 s10, 0x80
	s_waitcnt vmcnt(6)
	ds_write2_b64 v81, v[82:83], v[84:85] offset0:82 offset1:83
	s_waitcnt vmcnt(5)
	ds_write2_b64 v81, v[86:87], v[88:89] offset0:84 offset1:85
	;; [unrolled: 2-line block ×7, first 2 shown]
	s_cbranch_execz .LBB123_266
.LBB123_264:                            ; =>This Inner Loop Header: Depth=1
	s_add_i32 s3, s10, 0x3d0
	scratch_load_dwordx4 v[82:85], off, s3
	s_mov_b32 s2, s10
	v_add_u32_e32 v81, s10, v80
	s_cmp_eq_u32 s10, 0
	s_waitcnt vmcnt(0)
	ds_write2_b64 v81, v[82:83], v[84:85] offset0:80 offset1:81
	s_cbranch_scc0 .LBB123_263
; %bb.265:
                                        ; implicit-def: $sgpr10
.LBB123_266:
	ds_read2_b64 v[80:83], v249 offset1:1
	s_waitcnt lgkmcnt(0)
	v_cmp_neq_f64_e32 vcc, 0, v[80:81]
	v_cmp_neq_f64_e64 s[2:3], 0, v[82:83]
	s_or_b64 s[2:3], vcc, s[2:3]
	s_and_b64 exec, exec, s[2:3]
	s_cbranch_execz .LBB123_272
; %bb.267:
	v_cmp_ngt_f64_e64 s[2:3], |v[80:81]|, |v[82:83]|
                                        ; implicit-def: $vgpr84_vgpr85
	s_and_saveexec_b64 s[10:11], s[2:3]
	s_xor_b64 s[2:3], exec, s[10:11]
                                        ; implicit-def: $vgpr86_vgpr87
	s_cbranch_execz .LBB123_269
; %bb.268:
	v_div_scale_f64 v[0:1], s[10:11], v[82:83], v[82:83], v[80:81]
	v_rcp_f64_e32 v[2:3], v[0:1]
	v_div_scale_f64 v[84:85], vcc, v[80:81], v[82:83], v[80:81]
	v_fma_f64 v[86:87], -v[0:1], v[2:3], 1.0
	v_fmac_f64_e32 v[2:3], v[2:3], v[86:87]
	v_fma_f64 v[86:87], -v[0:1], v[2:3], 1.0
	v_fmac_f64_e32 v[2:3], v[2:3], v[86:87]
	v_mul_f64 v[86:87], v[84:85], v[2:3]
	v_fma_f64 v[0:1], -v[0:1], v[86:87], v[84:85]
	v_div_fmas_f64 v[0:1], v[0:1], v[2:3], v[86:87]
	v_div_fixup_f64 v[0:1], v[0:1], v[82:83], v[80:81]
	v_fmac_f64_e32 v[82:83], v[80:81], v[0:1]
	v_div_scale_f64 v[2:3], s[10:11], v[82:83], v[82:83], 1.0
	v_rcp_f64_e32 v[80:81], v[2:3]
	s_nop 0
	v_fma_f64 v[84:85], -v[2:3], v[80:81], 1.0
	v_fmac_f64_e32 v[80:81], v[80:81], v[84:85]
	v_fma_f64 v[84:85], -v[2:3], v[80:81], 1.0
	v_fmac_f64_e32 v[80:81], v[80:81], v[84:85]
	v_div_scale_f64 v[84:85], vcc, 1.0, v[82:83], 1.0
	v_mul_f64 v[86:87], v[84:85], v[80:81]
	v_fma_f64 v[2:3], -v[2:3], v[86:87], v[84:85]
	s_nop 1
	v_div_fmas_f64 v[2:3], v[2:3], v[80:81], v[86:87]
	v_div_fixup_f64 v[86:87], v[2:3], v[82:83], 1.0
	v_mul_f64 v[84:85], v[0:1], v[86:87]
	v_xor_b32_e32 v87, 0x80000000, v87
                                        ; implicit-def: $vgpr80_vgpr81
.LBB123_269:
	s_andn2_saveexec_b64 s[2:3], s[2:3]
	s_cbranch_execz .LBB123_271
; %bb.270:
	v_div_scale_f64 v[0:1], s[10:11], v[80:81], v[80:81], v[82:83]
	v_rcp_f64_e32 v[2:3], v[0:1]
	v_div_scale_f64 v[84:85], vcc, v[82:83], v[80:81], v[82:83]
	v_fma_f64 v[86:87], -v[0:1], v[2:3], 1.0
	v_fmac_f64_e32 v[2:3], v[2:3], v[86:87]
	v_fma_f64 v[86:87], -v[0:1], v[2:3], 1.0
	v_fmac_f64_e32 v[2:3], v[2:3], v[86:87]
	v_mul_f64 v[86:87], v[84:85], v[2:3]
	v_fma_f64 v[0:1], -v[0:1], v[86:87], v[84:85]
	v_div_fmas_f64 v[0:1], v[0:1], v[2:3], v[86:87]
	v_div_fixup_f64 v[0:1], v[0:1], v[80:81], v[82:83]
	v_fmac_f64_e32 v[80:81], v[82:83], v[0:1]
	v_div_scale_f64 v[2:3], s[10:11], v[80:81], v[80:81], 1.0
	v_rcp_f64_e32 v[82:83], v[2:3]
	s_nop 0
	v_fma_f64 v[84:85], -v[2:3], v[82:83], 1.0
	v_fmac_f64_e32 v[82:83], v[82:83], v[84:85]
	v_fma_f64 v[84:85], -v[2:3], v[82:83], 1.0
	v_fmac_f64_e32 v[82:83], v[82:83], v[84:85]
	v_div_scale_f64 v[84:85], vcc, 1.0, v[80:81], 1.0
	v_mul_f64 v[86:87], v[84:85], v[82:83]
	v_fma_f64 v[2:3], -v[2:3], v[86:87], v[84:85]
	s_nop 1
	v_div_fmas_f64 v[2:3], v[2:3], v[82:83], v[86:87]
	v_div_fixup_f64 v[84:85], v[2:3], v[80:81], 1.0
	v_mul_f64 v[86:87], v[0:1], -v[84:85]
.LBB123_271:
	s_or_b64 exec, exec, s[2:3]
	ds_write2_b64 v249, v[84:85], v[86:87] offset1:1
.LBB123_272:
	s_or_b64 exec, exec, s[4:5]
	s_waitcnt lgkmcnt(0)
	s_barrier
	ds_read2_b64 v[80:83], v249 offset1:1
	v_cmp_lt_u32_e32 vcc, 20, v248
	s_and_saveexec_b64 s[2:3], vcc
	s_cbranch_execz .LBB123_277
; %bb.273:
	scratch_load_dwordx4 v[90:93], off, off offset:320
	v_add_u32_e32 v88, 0x150, v250
	s_movk_i32 s10, 0xfd80
	s_waitcnt vmcnt(0) lgkmcnt(0)
	v_mul_f64 v[0:1], v[82:83], v[92:93]
	v_mul_f64 v[86:87], v[80:81], v[92:93]
	v_fma_f64 v[84:85], v[80:81], v[90:91], -v[0:1]
	v_fmac_f64_e32 v[86:87], v[82:83], v[90:91]
	scratch_store_dwordx4 off, v[84:87], off offset:320
	s_branch .LBB123_275
.LBB123_274:                            ;   in Loop: Header=BB123_275 Depth=1
	scratch_load_dwordx4 v[84:87], off, off offset:320
	s_add_i32 s5, s4, 0x3e0
	scratch_load_dwordx4 v[90:93], off, s5
	ds_read2_b64 v[94:97], v89 offset0:82 offset1:83
	ds_read2_b64 v[98:101], v89 offset0:84 offset1:85
	s_add_i32 s11, s4, 0x3f0
	s_add_i32 s48, s4, 0x440
	scratch_load_dwordx4 v[102:105], off, s11
	scratch_load_dwordx4 v[106:109], off, s48
	s_addk_i32 s10, 0x80
	s_waitcnt vmcnt(3) lgkmcnt(1)
	v_mul_f64 v[0:1], v[96:97], v[86:87]
	v_mul_f64 v[2:3], v[94:95], v[86:87]
	v_fma_f64 v[0:1], v[94:95], v[84:85], -v[0:1]
	v_fmac_f64_e32 v[2:3], v[96:97], v[84:85]
	s_waitcnt vmcnt(2)
	v_add_f64 v[84:85], v[90:91], -v[0:1]
	v_add_f64 v[86:87], v[92:93], -v[2:3]
	scratch_store_dwordx4 off, v[84:87], s5
	scratch_load_dwordx4 v[84:87], off, off offset:320
	s_add_i32 s5, s4, 0x400
	scratch_load_dwordx4 v[90:93], off, s5
	s_waitcnt vmcnt(1) lgkmcnt(0)
	v_mul_f64 v[0:1], v[100:101], v[86:87]
	v_mul_f64 v[2:3], v[98:99], v[86:87]
	v_fma_f64 v[0:1], v[98:99], v[84:85], -v[0:1]
	v_fmac_f64_e32 v[2:3], v[100:101], v[84:85]
	v_add_f64 v[84:85], v[102:103], -v[0:1]
	v_add_f64 v[86:87], v[104:105], -v[2:3]
	scratch_store_dwordx4 off, v[84:87], s11
	scratch_load_dwordx4 v[84:87], off, off offset:320
	ds_read2_b64 v[94:97], v89 offset0:86 offset1:87
	ds_read2_b64 v[98:101], v89 offset0:88 offset1:89
	s_add_i32 s11, s4, 0x410
	scratch_load_dwordx4 v[102:105], off, s11
	s_waitcnt vmcnt(1) lgkmcnt(1)
	v_mul_f64 v[0:1], v[96:97], v[86:87]
	v_mul_f64 v[2:3], v[94:95], v[86:87]
	v_fma_f64 v[0:1], v[94:95], v[84:85], -v[0:1]
	v_fmac_f64_e32 v[2:3], v[96:97], v[84:85]
	v_add_f64 v[84:85], v[90:91], -v[0:1]
	v_add_f64 v[86:87], v[92:93], -v[2:3]
	scratch_store_dwordx4 off, v[84:87], s5
	scratch_load_dwordx4 v[84:87], off, off offset:320
	s_add_i32 s5, s4, 0x420
	scratch_load_dwordx4 v[90:93], off, s5
	s_addk_i32 s4, 0x430
	s_waitcnt vmcnt(1) lgkmcnt(0)
	v_mul_f64 v[0:1], v[100:101], v[86:87]
	v_mul_f64 v[2:3], v[98:99], v[86:87]
	v_fma_f64 v[0:1], v[98:99], v[84:85], -v[0:1]
	v_fmac_f64_e32 v[2:3], v[100:101], v[84:85]
	v_add_f64 v[84:85], v[102:103], -v[0:1]
	v_add_f64 v[86:87], v[104:105], -v[2:3]
	scratch_store_dwordx4 off, v[84:87], s11
	scratch_load_dwordx4 v[84:87], off, off offset:320
	ds_read2_b64 v[94:97], v89 offset0:90 offset1:91
	ds_read2_b64 v[98:101], v89 offset0:92 offset1:93
	scratch_load_dwordx4 v[102:105], off, s4
	s_waitcnt vmcnt(1) lgkmcnt(1)
	v_mul_f64 v[0:1], v[96:97], v[86:87]
	v_mul_f64 v[2:3], v[94:95], v[86:87]
	v_fma_f64 v[0:1], v[94:95], v[84:85], -v[0:1]
	v_fmac_f64_e32 v[2:3], v[96:97], v[84:85]
	v_add_f64 v[84:85], v[90:91], -v[0:1]
	v_add_f64 v[86:87], v[92:93], -v[2:3]
	scratch_store_dwordx4 off, v[84:87], s5
	scratch_load_dwordx4 v[84:87], off, off offset:320
	ds_read2_b64 v[90:93], v89 offset0:94 offset1:95
	s_waitcnt vmcnt(0) lgkmcnt(1)
	v_mul_f64 v[0:1], v[100:101], v[86:87]
	v_mul_f64 v[2:3], v[98:99], v[86:87]
	v_fma_f64 v[0:1], v[98:99], v[84:85], -v[0:1]
	v_fmac_f64_e32 v[2:3], v[100:101], v[84:85]
	v_add_f64 v[84:85], v[102:103], -v[0:1]
	v_add_f64 v[86:87], v[104:105], -v[2:3]
	scratch_store_dwordx4 off, v[84:87], s4
	scratch_load_dwordx4 v[84:87], off, off offset:320
	s_waitcnt vmcnt(0) lgkmcnt(0)
	v_mul_f64 v[0:1], v[92:93], v[86:87]
	v_mul_f64 v[2:3], v[90:91], v[86:87]
	v_fma_f64 v[0:1], v[90:91], v[84:85], -v[0:1]
	v_fmac_f64_e32 v[2:3], v[92:93], v[84:85]
	v_add_f64 v[84:85], v[106:107], -v[0:1]
	v_add_f64 v[86:87], v[108:109], -v[2:3]
	scratch_store_dwordx4 off, v[84:87], s48
	scratch_load_dwordx4 v[84:87], off, off offset:320
	s_cbranch_execz .LBB123_277
.LBB123_275:                            ; =>This Inner Loop Header: Depth=1
	s_add_i32 s5, s10, 0x3d0
	scratch_load_dwordx4 v[90:93], off, s5
	v_add_u32_e32 v89, s10, v88
	ds_read2_b64 v[94:97], v89 offset0:80 offset1:81
	s_mov_b32 s4, s10
	s_cmp_eq_u32 s10, 0
	s_waitcnt vmcnt(1) lgkmcnt(0)
	v_mul_f64 v[0:1], v[96:97], v[86:87]
	v_mul_f64 v[2:3], v[94:95], v[86:87]
	v_fma_f64 v[0:1], v[94:95], v[84:85], -v[0:1]
	v_fmac_f64_e32 v[2:3], v[96:97], v[84:85]
	s_waitcnt vmcnt(0)
	v_add_f64 v[84:85], v[90:91], -v[0:1]
	v_add_f64 v[86:87], v[92:93], -v[2:3]
	scratch_store_dwordx4 off, v[84:87], s5
	s_cbranch_scc0 .LBB123_274
; %bb.276:
                                        ; implicit-def: $vgpr84_vgpr85
                                        ; implicit-def: $sgpr10
.LBB123_277:
	s_or_b64 exec, exec, s[2:3]
	v_cmp_eq_u32_e32 vcc, 21, v248
	s_waitcnt lgkmcnt(0)
	s_barrier
	s_and_saveexec_b64 s[4:5], vcc
	s_cbranch_execz .LBB123_286
; %bb.278:
	scratch_load_dwordx4 v[86:89], off, s52
	s_waitcnt vmcnt(1)
	v_add_u32_e32 v84, 0x160, v250
	s_movk_i32 s2, 0xfd80
	s_waitcnt vmcnt(0)
	ds_write2_b64 v249, v[86:87], v[88:89] offset1:1
.LBB123_279:                            ; =>This Inner Loop Header: Depth=1
	s_add_i32 s10, s2, 0x3e0
	s_add_i32 s11, s2, 0x3f0
	;; [unrolled: 1-line block ×10, first 2 shown]
	scratch_load_dwordx4 v[86:89], off, s10
	scratch_load_dwordx4 v[90:93], off, s11
	;; [unrolled: 1-line block ×10, first 2 shown]
	v_add_u32_e32 v0, s2, v84
	s_addk_i32 s2, 0xa0
	s_cmp_lg_u32 s2, 0
	s_waitcnt vmcnt(9)
	ds_write2_b64 v0, v[86:87], v[88:89] offset0:80 offset1:81
	s_waitcnt vmcnt(8)
	ds_write2_b64 v0, v[90:91], v[92:93] offset0:82 offset1:83
	;; [unrolled: 2-line block ×10, first 2 shown]
	s_cbranch_scc1 .LBB123_279
; %bb.280:
	ds_read2_b64 v[84:87], v249 offset1:1
	s_waitcnt lgkmcnt(0)
	v_cmp_neq_f64_e32 vcc, 0, v[84:85]
	v_cmp_neq_f64_e64 s[2:3], 0, v[86:87]
	s_or_b64 s[2:3], vcc, s[2:3]
	s_and_b64 exec, exec, s[2:3]
	s_cbranch_execz .LBB123_286
; %bb.281:
	v_cmp_ngt_f64_e64 s[2:3], |v[84:85]|, |v[86:87]|
                                        ; implicit-def: $vgpr88_vgpr89
	s_and_saveexec_b64 s[10:11], s[2:3]
	s_xor_b64 s[2:3], exec, s[10:11]
                                        ; implicit-def: $vgpr90_vgpr91
	s_cbranch_execz .LBB123_283
; %bb.282:
	v_div_scale_f64 v[0:1], s[10:11], v[86:87], v[86:87], v[84:85]
	v_rcp_f64_e32 v[2:3], v[0:1]
	v_div_scale_f64 v[88:89], vcc, v[84:85], v[86:87], v[84:85]
	v_fma_f64 v[90:91], -v[0:1], v[2:3], 1.0
	v_fmac_f64_e32 v[2:3], v[2:3], v[90:91]
	v_fma_f64 v[90:91], -v[0:1], v[2:3], 1.0
	v_fmac_f64_e32 v[2:3], v[2:3], v[90:91]
	v_mul_f64 v[90:91], v[88:89], v[2:3]
	v_fma_f64 v[0:1], -v[0:1], v[90:91], v[88:89]
	v_div_fmas_f64 v[0:1], v[0:1], v[2:3], v[90:91]
	v_div_fixup_f64 v[0:1], v[0:1], v[86:87], v[84:85]
	v_fmac_f64_e32 v[86:87], v[84:85], v[0:1]
	v_div_scale_f64 v[2:3], s[10:11], v[86:87], v[86:87], 1.0
	v_rcp_f64_e32 v[84:85], v[2:3]
	s_nop 0
	v_fma_f64 v[88:89], -v[2:3], v[84:85], 1.0
	v_fmac_f64_e32 v[84:85], v[84:85], v[88:89]
	v_fma_f64 v[88:89], -v[2:3], v[84:85], 1.0
	v_fmac_f64_e32 v[84:85], v[84:85], v[88:89]
	v_div_scale_f64 v[88:89], vcc, 1.0, v[86:87], 1.0
	v_mul_f64 v[90:91], v[88:89], v[84:85]
	v_fma_f64 v[2:3], -v[2:3], v[90:91], v[88:89]
	s_nop 1
	v_div_fmas_f64 v[2:3], v[2:3], v[84:85], v[90:91]
	v_div_fixup_f64 v[90:91], v[2:3], v[86:87], 1.0
	v_mul_f64 v[88:89], v[0:1], v[90:91]
	v_xor_b32_e32 v91, 0x80000000, v91
                                        ; implicit-def: $vgpr84_vgpr85
.LBB123_283:
	s_andn2_saveexec_b64 s[2:3], s[2:3]
	s_cbranch_execz .LBB123_285
; %bb.284:
	v_div_scale_f64 v[0:1], s[10:11], v[84:85], v[84:85], v[86:87]
	v_rcp_f64_e32 v[2:3], v[0:1]
	v_div_scale_f64 v[88:89], vcc, v[86:87], v[84:85], v[86:87]
	v_fma_f64 v[90:91], -v[0:1], v[2:3], 1.0
	v_fmac_f64_e32 v[2:3], v[2:3], v[90:91]
	v_fma_f64 v[90:91], -v[0:1], v[2:3], 1.0
	v_fmac_f64_e32 v[2:3], v[2:3], v[90:91]
	v_mul_f64 v[90:91], v[88:89], v[2:3]
	v_fma_f64 v[0:1], -v[0:1], v[90:91], v[88:89]
	v_div_fmas_f64 v[0:1], v[0:1], v[2:3], v[90:91]
	v_div_fixup_f64 v[0:1], v[0:1], v[84:85], v[86:87]
	v_fmac_f64_e32 v[84:85], v[86:87], v[0:1]
	v_div_scale_f64 v[2:3], s[10:11], v[84:85], v[84:85], 1.0
	v_rcp_f64_e32 v[86:87], v[2:3]
	s_nop 0
	v_fma_f64 v[88:89], -v[2:3], v[86:87], 1.0
	v_fmac_f64_e32 v[86:87], v[86:87], v[88:89]
	v_fma_f64 v[88:89], -v[2:3], v[86:87], 1.0
	v_fmac_f64_e32 v[86:87], v[86:87], v[88:89]
	v_div_scale_f64 v[88:89], vcc, 1.0, v[84:85], 1.0
	v_mul_f64 v[90:91], v[88:89], v[86:87]
	v_fma_f64 v[2:3], -v[2:3], v[90:91], v[88:89]
	s_nop 1
	v_div_fmas_f64 v[2:3], v[2:3], v[86:87], v[90:91]
	v_div_fixup_f64 v[88:89], v[2:3], v[84:85], 1.0
	v_mul_f64 v[90:91], v[0:1], -v[88:89]
.LBB123_285:
	s_or_b64 exec, exec, s[2:3]
	ds_write2_b64 v249, v[88:89], v[90:91] offset1:1
.LBB123_286:
	s_or_b64 exec, exec, s[4:5]
	s_waitcnt lgkmcnt(0)
	s_barrier
	s_waitcnt vmcnt(0)
	ds_read2_b64 v[84:87], v249 offset1:1
	v_cmp_lt_u32_e32 vcc, 21, v248
	s_and_saveexec_b64 s[2:3], vcc
	s_cbranch_execz .LBB123_289
; %bb.287:
	scratch_load_dwordx4 v[90:93], off, off offset:336
	v_add_u32_e32 v88, 0x160, v250
	s_movk_i32 s4, 0xfd80
	s_waitcnt vmcnt(0) lgkmcnt(0)
	v_mul_f64 v[0:1], v[86:87], v[92:93]
	v_mul_f64 v[94:95], v[84:85], v[92:93]
	v_fma_f64 v[92:93], v[84:85], v[90:91], -v[0:1]
	v_fmac_f64_e32 v[94:95], v[86:87], v[90:91]
	scratch_store_dwordx4 off, v[92:95], off offset:336
.LBB123_288:                            ; =>This Inner Loop Header: Depth=1
	scratch_load_dwordx4 v[90:93], off, off offset:336
	s_add_i32 s10, s4, 0x3e0
	scratch_load_dwordx4 v[94:97], off, s10
	v_add_u32_e32 v89, s4, v88
	ds_read2_b64 v[98:101], v89 offset0:80 offset1:81
	ds_read2_b64 v[102:105], v89 offset0:82 offset1:83
	s_add_i32 s11, s4, 0x3f0
	scratch_load_dwordx4 v[106:109], off, s11
	s_add_i32 s5, s4, 0x450
	s_waitcnt vmcnt(2) lgkmcnt(1)
	v_mul_f64 v[0:1], v[100:101], v[92:93]
	v_mul_f64 v[2:3], v[98:99], v[92:93]
	v_fma_f64 v[0:1], v[98:99], v[90:91], -v[0:1]
	v_fmac_f64_e32 v[2:3], v[100:101], v[90:91]
	s_waitcnt vmcnt(1)
	v_add_f64 v[90:91], v[94:95], -v[0:1]
	v_add_f64 v[92:93], v[96:97], -v[2:3]
	scratch_store_dwordx4 off, v[90:93], s10
	scratch_load_dwordx4 v[90:93], off, off offset:336
	s_add_i32 s10, s4, 0x400
	s_waitcnt vmcnt(0) lgkmcnt(0)
	v_mul_f64 v[0:1], v[104:105], v[92:93]
	v_mul_f64 v[2:3], v[102:103], v[92:93]
	v_fma_f64 v[0:1], v[102:103], v[90:91], -v[0:1]
	v_fmac_f64_e32 v[2:3], v[104:105], v[90:91]
	v_add_f64 v[90:91], v[106:107], -v[0:1]
	v_add_f64 v[92:93], v[108:109], -v[2:3]
	scratch_store_dwordx4 off, v[90:93], s11
	scratch_load_dwordx4 v[90:93], off, off offset:336
	s_nop 0
	scratch_load_dwordx4 v[94:97], off, s10
	ds_read2_b64 v[98:101], v89 offset0:84 offset1:85
	ds_read2_b64 v[102:105], v89 offset0:86 offset1:87
	s_add_i32 s11, s4, 0x410
	scratch_load_dwordx4 v[106:109], off, s11
	s_waitcnt vmcnt(2) lgkmcnt(1)
	v_mul_f64 v[0:1], v[100:101], v[92:93]
	v_mul_f64 v[2:3], v[98:99], v[92:93]
	v_fma_f64 v[0:1], v[98:99], v[90:91], -v[0:1]
	v_fmac_f64_e32 v[2:3], v[100:101], v[90:91]
	s_waitcnt vmcnt(1)
	v_add_f64 v[90:91], v[94:95], -v[0:1]
	v_add_f64 v[92:93], v[96:97], -v[2:3]
	scratch_store_dwordx4 off, v[90:93], s10
	scratch_load_dwordx4 v[90:93], off, off offset:336
	s_add_i32 s10, s4, 0x420
	s_waitcnt vmcnt(0) lgkmcnt(0)
	v_mul_f64 v[0:1], v[104:105], v[92:93]
	v_mul_f64 v[2:3], v[102:103], v[92:93]
	v_fma_f64 v[0:1], v[102:103], v[90:91], -v[0:1]
	v_fmac_f64_e32 v[2:3], v[104:105], v[90:91]
	v_add_f64 v[90:91], v[106:107], -v[0:1]
	v_add_f64 v[92:93], v[108:109], -v[2:3]
	scratch_store_dwordx4 off, v[90:93], s11
	scratch_load_dwordx4 v[90:93], off, off offset:336
	s_nop 0
	scratch_load_dwordx4 v[94:97], off, s10
	ds_read2_b64 v[98:101], v89 offset0:88 offset1:89
	ds_read2_b64 v[102:105], v89 offset0:90 offset1:91
	s_add_i32 s11, s4, 0x430
	scratch_load_dwordx4 v[106:109], off, s11
	s_waitcnt vmcnt(2) lgkmcnt(1)
	v_mul_f64 v[0:1], v[100:101], v[92:93]
	v_mul_f64 v[2:3], v[98:99], v[92:93]
	v_fma_f64 v[0:1], v[98:99], v[90:91], -v[0:1]
	v_fmac_f64_e32 v[2:3], v[100:101], v[90:91]
	s_waitcnt vmcnt(1)
	v_add_f64 v[90:91], v[94:95], -v[0:1]
	v_add_f64 v[92:93], v[96:97], -v[2:3]
	scratch_store_dwordx4 off, v[90:93], s10
	scratch_load_dwordx4 v[90:93], off, off offset:336
	s_add_i32 s10, s4, 0x440
	s_addk_i32 s4, 0x80
	s_cmp_lg_u32 s4, 0
	s_waitcnt vmcnt(0) lgkmcnt(0)
	v_mul_f64 v[0:1], v[104:105], v[92:93]
	v_mul_f64 v[2:3], v[102:103], v[92:93]
	v_fma_f64 v[0:1], v[102:103], v[90:91], -v[0:1]
	v_fmac_f64_e32 v[2:3], v[104:105], v[90:91]
	v_add_f64 v[90:91], v[106:107], -v[0:1]
	v_add_f64 v[92:93], v[108:109], -v[2:3]
	scratch_store_dwordx4 off, v[90:93], s11
	scratch_load_dwordx4 v[90:93], off, off offset:336
	s_nop 0
	scratch_load_dwordx4 v[94:97], off, s10
	ds_read2_b64 v[98:101], v89 offset0:92 offset1:93
	ds_read2_b64 v[102:105], v89 offset0:94 offset1:95
	scratch_load_dwordx4 v[106:109], off, s5
	s_waitcnt vmcnt(2) lgkmcnt(1)
	v_mul_f64 v[0:1], v[100:101], v[92:93]
	v_mul_f64 v[2:3], v[98:99], v[92:93]
	v_fma_f64 v[0:1], v[98:99], v[90:91], -v[0:1]
	v_fmac_f64_e32 v[2:3], v[100:101], v[90:91]
	s_waitcnt vmcnt(1)
	v_add_f64 v[90:91], v[94:95], -v[0:1]
	v_add_f64 v[92:93], v[96:97], -v[2:3]
	scratch_store_dwordx4 off, v[90:93], s10
	scratch_load_dwordx4 v[90:93], off, off offset:336
	s_waitcnt vmcnt(0) lgkmcnt(0)
	v_mul_f64 v[0:1], v[104:105], v[92:93]
	v_mul_f64 v[2:3], v[102:103], v[92:93]
	v_fma_f64 v[0:1], v[102:103], v[90:91], -v[0:1]
	v_fmac_f64_e32 v[2:3], v[104:105], v[90:91]
	v_add_f64 v[90:91], v[106:107], -v[0:1]
	v_add_f64 v[92:93], v[108:109], -v[2:3]
	scratch_store_dwordx4 off, v[90:93], s5
	s_cbranch_scc1 .LBB123_288
.LBB123_289:
	s_or_b64 exec, exec, s[2:3]
	v_cmp_eq_u32_e32 vcc, 22, v248
	s_waitcnt lgkmcnt(0)
	s_barrier
	s_and_saveexec_b64 s[4:5], vcc
	s_cbranch_execz .LBB123_298
; %bb.290:
	scratch_load_dwordx4 v[90:93], off, s51
	v_add_u32_e32 v88, 0x170, v250
	s_movk_i32 s2, 0xfd90
	s_waitcnt vmcnt(0)
	ds_write2_b64 v249, v[90:91], v[92:93] offset1:1
.LBB123_291:                            ; =>This Inner Loop Header: Depth=1
	s_add_i32 s10, s2, 0x3e0
	scratch_load_dwordx4 v[90:93], off, s10
	v_add_u32_e32 v0, s2, v88
	s_add_i32 s10, s2, 0x3f0
	s_add_i32 s3, s2, 0x4a0
	s_waitcnt vmcnt(0)
	ds_write2_b64 v0, v[90:91], v[92:93] offset0:78 offset1:79
	scratch_load_dwordx4 v[90:93], off, s10
	s_add_i32 s10, s2, 0x400
	s_waitcnt vmcnt(0)
	ds_write2_b64 v0, v[90:91], v[92:93] offset0:80 offset1:81
	scratch_load_dwordx4 v[90:93], off, s10
	;; [unrolled: 4-line block ×10, first 2 shown]
	s_add_i32 s10, s2, 0x490
	s_addk_i32 s2, 0xd0
	s_cmp_lg_u32 s2, 0
	s_waitcnt vmcnt(0)
	ds_write2_b64 v0, v[90:91], v[92:93] offset0:98 offset1:99
	scratch_load_dwordx4 v[90:93], off, s10
	s_waitcnt vmcnt(0)
	ds_write2_b64 v0, v[90:91], v[92:93] offset0:100 offset1:101
	scratch_load_dwordx4 v[90:93], off, s3
	s_waitcnt vmcnt(0)
	ds_write2_b64 v0, v[90:91], v[92:93] offset0:102 offset1:103
	s_cbranch_scc1 .LBB123_291
; %bb.292:
	ds_read2_b64 v[88:91], v249 offset1:1
	s_waitcnt lgkmcnt(0)
	v_cmp_neq_f64_e32 vcc, 0, v[88:89]
	v_cmp_neq_f64_e64 s[2:3], 0, v[90:91]
	s_or_b64 s[2:3], vcc, s[2:3]
	s_and_b64 exec, exec, s[2:3]
	s_cbranch_execz .LBB123_298
; %bb.293:
	v_cmp_ngt_f64_e64 s[2:3], |v[88:89]|, |v[90:91]|
                                        ; implicit-def: $vgpr92_vgpr93
	s_and_saveexec_b64 s[10:11], s[2:3]
	s_xor_b64 s[2:3], exec, s[10:11]
                                        ; implicit-def: $vgpr94_vgpr95
	s_cbranch_execz .LBB123_295
; %bb.294:
	v_div_scale_f64 v[0:1], s[10:11], v[90:91], v[90:91], v[88:89]
	v_rcp_f64_e32 v[2:3], v[0:1]
	v_div_scale_f64 v[92:93], vcc, v[88:89], v[90:91], v[88:89]
	v_fma_f64 v[94:95], -v[0:1], v[2:3], 1.0
	v_fmac_f64_e32 v[2:3], v[2:3], v[94:95]
	v_fma_f64 v[94:95], -v[0:1], v[2:3], 1.0
	v_fmac_f64_e32 v[2:3], v[2:3], v[94:95]
	v_mul_f64 v[94:95], v[92:93], v[2:3]
	v_fma_f64 v[0:1], -v[0:1], v[94:95], v[92:93]
	v_div_fmas_f64 v[0:1], v[0:1], v[2:3], v[94:95]
	v_div_fixup_f64 v[0:1], v[0:1], v[90:91], v[88:89]
	v_fmac_f64_e32 v[90:91], v[88:89], v[0:1]
	v_div_scale_f64 v[2:3], s[10:11], v[90:91], v[90:91], 1.0
	v_rcp_f64_e32 v[88:89], v[2:3]
	s_nop 0
	v_fma_f64 v[92:93], -v[2:3], v[88:89], 1.0
	v_fmac_f64_e32 v[88:89], v[88:89], v[92:93]
	v_fma_f64 v[92:93], -v[2:3], v[88:89], 1.0
	v_fmac_f64_e32 v[88:89], v[88:89], v[92:93]
	v_div_scale_f64 v[92:93], vcc, 1.0, v[90:91], 1.0
	v_mul_f64 v[94:95], v[92:93], v[88:89]
	v_fma_f64 v[2:3], -v[2:3], v[94:95], v[92:93]
	s_nop 1
	v_div_fmas_f64 v[2:3], v[2:3], v[88:89], v[94:95]
	v_div_fixup_f64 v[94:95], v[2:3], v[90:91], 1.0
	v_mul_f64 v[92:93], v[0:1], v[94:95]
	v_xor_b32_e32 v95, 0x80000000, v95
                                        ; implicit-def: $vgpr88_vgpr89
.LBB123_295:
	s_andn2_saveexec_b64 s[2:3], s[2:3]
	s_cbranch_execz .LBB123_297
; %bb.296:
	v_div_scale_f64 v[0:1], s[10:11], v[88:89], v[88:89], v[90:91]
	v_rcp_f64_e32 v[2:3], v[0:1]
	v_div_scale_f64 v[92:93], vcc, v[90:91], v[88:89], v[90:91]
	v_fma_f64 v[94:95], -v[0:1], v[2:3], 1.0
	v_fmac_f64_e32 v[2:3], v[2:3], v[94:95]
	v_fma_f64 v[94:95], -v[0:1], v[2:3], 1.0
	v_fmac_f64_e32 v[2:3], v[2:3], v[94:95]
	v_mul_f64 v[94:95], v[92:93], v[2:3]
	v_fma_f64 v[0:1], -v[0:1], v[94:95], v[92:93]
	v_div_fmas_f64 v[0:1], v[0:1], v[2:3], v[94:95]
	v_div_fixup_f64 v[0:1], v[0:1], v[88:89], v[90:91]
	v_fmac_f64_e32 v[88:89], v[90:91], v[0:1]
	v_div_scale_f64 v[2:3], s[10:11], v[88:89], v[88:89], 1.0
	v_rcp_f64_e32 v[90:91], v[2:3]
	s_nop 0
	v_fma_f64 v[92:93], -v[2:3], v[90:91], 1.0
	v_fmac_f64_e32 v[90:91], v[90:91], v[92:93]
	v_fma_f64 v[92:93], -v[2:3], v[90:91], 1.0
	v_fmac_f64_e32 v[90:91], v[90:91], v[92:93]
	v_div_scale_f64 v[92:93], vcc, 1.0, v[88:89], 1.0
	v_mul_f64 v[94:95], v[92:93], v[90:91]
	v_fma_f64 v[2:3], -v[2:3], v[94:95], v[92:93]
	s_nop 1
	v_div_fmas_f64 v[2:3], v[2:3], v[90:91], v[94:95]
	v_div_fixup_f64 v[92:93], v[2:3], v[88:89], 1.0
	v_mul_f64 v[94:95], v[0:1], -v[92:93]
.LBB123_297:
	s_or_b64 exec, exec, s[2:3]
	ds_write2_b64 v249, v[92:93], v[94:95] offset1:1
.LBB123_298:
	s_or_b64 exec, exec, s[4:5]
	s_waitcnt lgkmcnt(0)
	s_barrier
	ds_read2_b64 v[88:91], v249 offset1:1
	v_cmp_lt_u32_e32 vcc, 22, v248
	s_and_saveexec_b64 s[2:3], vcc
	s_cbranch_execz .LBB123_301
; %bb.299:
	scratch_load_dwordx4 v[94:97], off, off offset:352
	v_add_u32_e32 v92, 0x170, v250
	s_movk_i32 s4, 0xfd90
	s_waitcnt vmcnt(0) lgkmcnt(0)
	v_mul_f64 v[0:1], v[90:91], v[96:97]
	v_mul_f64 v[98:99], v[88:89], v[96:97]
	v_fma_f64 v[96:97], v[88:89], v[94:95], -v[0:1]
	v_fmac_f64_e32 v[98:99], v[90:91], v[94:95]
	scratch_store_dwordx4 off, v[96:99], off offset:352
.LBB123_300:                            ; =>This Inner Loop Header: Depth=1
	scratch_load_dwordx4 v[94:97], off, off offset:352
	s_add_i32 s10, s4, 0x3e0
	scratch_load_dwordx4 v[98:101], off, s10
	v_add_u32_e32 v93, s4, v92
	ds_read2_b64 v[102:105], v93 offset0:78 offset1:79
	ds_read2_b64 v[106:109], v93 offset0:80 offset1:81
	s_add_i32 s11, s4, 0x3f0
	s_add_i32 s5, s4, 0x400
	scratch_load_dwordx4 v[110:113], off, s11
	scratch_load_dwordx4 v[114:117], off, s5
	s_add_i32 s4, s4, 48
	s_cmp_lg_u32 s4, 0
	s_waitcnt vmcnt(3) lgkmcnt(1)
	v_mul_f64 v[0:1], v[104:105], v[96:97]
	v_mul_f64 v[2:3], v[102:103], v[96:97]
	v_fma_f64 v[0:1], v[102:103], v[94:95], -v[0:1]
	v_fmac_f64_e32 v[2:3], v[104:105], v[94:95]
	s_waitcnt vmcnt(2)
	v_add_f64 v[94:95], v[98:99], -v[0:1]
	v_add_f64 v[96:97], v[100:101], -v[2:3]
	scratch_store_dwordx4 off, v[94:97], s10
	scratch_load_dwordx4 v[94:97], off, off offset:352
	ds_read2_b64 v[98:101], v93 offset0:82 offset1:83
	s_waitcnt vmcnt(0) lgkmcnt(1)
	v_mul_f64 v[0:1], v[108:109], v[96:97]
	v_mul_f64 v[2:3], v[106:107], v[96:97]
	v_fma_f64 v[0:1], v[106:107], v[94:95], -v[0:1]
	v_fmac_f64_e32 v[2:3], v[108:109], v[94:95]
	v_add_f64 v[94:95], v[110:111], -v[0:1]
	v_add_f64 v[96:97], v[112:113], -v[2:3]
	scratch_store_dwordx4 off, v[94:97], s11
	scratch_load_dwordx4 v[94:97], off, off offset:352
	s_waitcnt vmcnt(0) lgkmcnt(0)
	v_mul_f64 v[0:1], v[100:101], v[96:97]
	v_mul_f64 v[2:3], v[98:99], v[96:97]
	v_fma_f64 v[0:1], v[98:99], v[94:95], -v[0:1]
	v_fmac_f64_e32 v[2:3], v[100:101], v[94:95]
	v_add_f64 v[94:95], v[114:115], -v[0:1]
	v_add_f64 v[96:97], v[116:117], -v[2:3]
	scratch_store_dwordx4 off, v[94:97], s5
	s_cbranch_scc1 .LBB123_300
.LBB123_301:
	s_or_b64 exec, exec, s[2:3]
	v_cmp_eq_u32_e32 vcc, 23, v248
	s_waitcnt lgkmcnt(0)
	s_barrier
	s_and_saveexec_b64 s[4:5], vcc
	s_cbranch_execz .LBB123_310
; %bb.302:
	scratch_load_dwordx4 v[92:95], off, s87
	s_mov_b32 s2, 0
	s_waitcnt vmcnt(0)
	ds_write2_b64 v249, v[92:93], v[94:95] offset1:1
	v_add_u32_e32 v92, 0x180, v250
.LBB123_303:                            ; =>This Inner Loop Header: Depth=1
	s_add_i32 s10, s2, 0x180
	s_add_i32 s3, s2, 0x190
	scratch_load_dwordx4 v[94:97], off, s10
	scratch_load_dwordx4 v[98:101], off, s3
	v_add_u32_e32 v0, s2, v92
	s_add_i32 s2, s2, 32
	s_cmpk_lg_i32 s2, 0x260
	s_waitcnt vmcnt(1)
	ds_write2_b64 v0, v[94:95], v[96:97] offset1:1
	s_waitcnt vmcnt(0)
	ds_write2_b64 v0, v[98:99], v[100:101] offset0:2 offset1:3
	s_cbranch_scc1 .LBB123_303
; %bb.304:
	ds_read2_b64 v[92:95], v249 offset1:1
	s_waitcnt lgkmcnt(0)
	v_cmp_neq_f64_e32 vcc, 0, v[92:93]
	v_cmp_neq_f64_e64 s[2:3], 0, v[94:95]
	s_or_b64 s[2:3], vcc, s[2:3]
	s_and_b64 exec, exec, s[2:3]
	s_cbranch_execz .LBB123_310
; %bb.305:
	v_cmp_ngt_f64_e64 s[2:3], |v[92:93]|, |v[94:95]|
                                        ; implicit-def: $vgpr96_vgpr97
	s_and_saveexec_b64 s[10:11], s[2:3]
	s_xor_b64 s[2:3], exec, s[10:11]
                                        ; implicit-def: $vgpr98_vgpr99
	s_cbranch_execz .LBB123_307
; %bb.306:
	v_div_scale_f64 v[0:1], s[10:11], v[94:95], v[94:95], v[92:93]
	v_rcp_f64_e32 v[2:3], v[0:1]
	v_div_scale_f64 v[96:97], vcc, v[92:93], v[94:95], v[92:93]
	v_fma_f64 v[98:99], -v[0:1], v[2:3], 1.0
	v_fmac_f64_e32 v[2:3], v[2:3], v[98:99]
	v_fma_f64 v[98:99], -v[0:1], v[2:3], 1.0
	v_fmac_f64_e32 v[2:3], v[2:3], v[98:99]
	v_mul_f64 v[98:99], v[96:97], v[2:3]
	v_fma_f64 v[0:1], -v[0:1], v[98:99], v[96:97]
	v_div_fmas_f64 v[0:1], v[0:1], v[2:3], v[98:99]
	v_div_fixup_f64 v[0:1], v[0:1], v[94:95], v[92:93]
	v_fmac_f64_e32 v[94:95], v[92:93], v[0:1]
	v_div_scale_f64 v[2:3], s[10:11], v[94:95], v[94:95], 1.0
	v_rcp_f64_e32 v[92:93], v[2:3]
	s_nop 0
	v_fma_f64 v[96:97], -v[2:3], v[92:93], 1.0
	v_fmac_f64_e32 v[92:93], v[92:93], v[96:97]
	v_fma_f64 v[96:97], -v[2:3], v[92:93], 1.0
	v_fmac_f64_e32 v[92:93], v[92:93], v[96:97]
	v_div_scale_f64 v[96:97], vcc, 1.0, v[94:95], 1.0
	v_mul_f64 v[98:99], v[96:97], v[92:93]
	v_fma_f64 v[2:3], -v[2:3], v[98:99], v[96:97]
	s_nop 1
	v_div_fmas_f64 v[2:3], v[2:3], v[92:93], v[98:99]
	v_div_fixup_f64 v[98:99], v[2:3], v[94:95], 1.0
	v_mul_f64 v[96:97], v[0:1], v[98:99]
	v_xor_b32_e32 v99, 0x80000000, v99
                                        ; implicit-def: $vgpr92_vgpr93
.LBB123_307:
	s_andn2_saveexec_b64 s[2:3], s[2:3]
	s_cbranch_execz .LBB123_309
; %bb.308:
	v_div_scale_f64 v[0:1], s[10:11], v[92:93], v[92:93], v[94:95]
	v_rcp_f64_e32 v[2:3], v[0:1]
	v_div_scale_f64 v[96:97], vcc, v[94:95], v[92:93], v[94:95]
	v_fma_f64 v[98:99], -v[0:1], v[2:3], 1.0
	v_fmac_f64_e32 v[2:3], v[2:3], v[98:99]
	v_fma_f64 v[98:99], -v[0:1], v[2:3], 1.0
	v_fmac_f64_e32 v[2:3], v[2:3], v[98:99]
	v_mul_f64 v[98:99], v[96:97], v[2:3]
	v_fma_f64 v[0:1], -v[0:1], v[98:99], v[96:97]
	v_div_fmas_f64 v[0:1], v[0:1], v[2:3], v[98:99]
	v_div_fixup_f64 v[0:1], v[0:1], v[92:93], v[94:95]
	v_fmac_f64_e32 v[92:93], v[94:95], v[0:1]
	v_div_scale_f64 v[2:3], s[10:11], v[92:93], v[92:93], 1.0
	v_rcp_f64_e32 v[94:95], v[2:3]
	s_nop 0
	v_fma_f64 v[96:97], -v[2:3], v[94:95], 1.0
	v_fmac_f64_e32 v[94:95], v[94:95], v[96:97]
	v_fma_f64 v[96:97], -v[2:3], v[94:95], 1.0
	v_fmac_f64_e32 v[94:95], v[94:95], v[96:97]
	v_div_scale_f64 v[96:97], vcc, 1.0, v[92:93], 1.0
	v_mul_f64 v[98:99], v[96:97], v[94:95]
	v_fma_f64 v[2:3], -v[2:3], v[98:99], v[96:97]
	s_nop 1
	v_div_fmas_f64 v[2:3], v[2:3], v[94:95], v[98:99]
	v_div_fixup_f64 v[96:97], v[2:3], v[92:93], 1.0
	v_mul_f64 v[98:99], v[0:1], -v[96:97]
.LBB123_309:
	s_or_b64 exec, exec, s[2:3]
	ds_write2_b64 v249, v[96:97], v[98:99] offset1:1
.LBB123_310:
	s_or_b64 exec, exec, s[4:5]
	s_waitcnt lgkmcnt(0)
	s_barrier
	ds_read2_b64 v[92:95], v249 offset1:1
	v_cmp_lt_u32_e32 vcc, 23, v248
	s_and_saveexec_b64 s[2:3], vcc
	s_cbranch_execz .LBB123_313
; %bb.311:
	scratch_load_dwordx4 v[100:103], off, off offset:368
	s_mov_b32 s4, 0
	s_waitcnt vmcnt(0) lgkmcnt(0)
	v_mul_f64 v[0:1], v[94:95], v[102:103]
	v_mul_f64 v[98:99], v[92:93], v[102:103]
	v_fma_f64 v[96:97], v[92:93], v[100:101], -v[0:1]
	v_fmac_f64_e32 v[98:99], v[94:95], v[100:101]
	v_add_u32_e32 v100, 0x180, v250
	scratch_store_dwordx4 off, v[96:99], off offset:368
.LBB123_312:                            ; =>This Inner Loop Header: Depth=1
	s_add_i32 s10, s4, 0x180
	s_add_i32 s5, s4, 0x190
	scratch_load_dwordx4 v[102:105], off, s10
	scratch_load_dwordx4 v[106:109], off, s5
	v_add_u32_e32 v0, s4, v100
	ds_read2_b64 v[110:113], v0 offset1:1
	ds_read2_b64 v[114:117], v0 offset0:2 offset1:3
	s_add_i32 s4, s4, 32
	s_cmpk_lg_i32 s4, 0x260
	s_waitcnt lgkmcnt(1)
	v_mul_f64 v[0:1], v[112:113], v[98:99]
	v_mul_f64 v[2:3], v[110:111], v[98:99]
	s_waitcnt lgkmcnt(0)
	v_mul_f64 v[118:119], v[116:117], v[98:99]
	v_mul_f64 v[120:121], v[114:115], v[98:99]
	v_fma_f64 v[0:1], v[110:111], v[96:97], -v[0:1]
	v_fmac_f64_e32 v[2:3], v[112:113], v[96:97]
	v_fma_f64 v[110:111], v[114:115], v[96:97], -v[118:119]
	v_fmac_f64_e32 v[120:121], v[116:117], v[96:97]
	s_waitcnt vmcnt(1)
	v_add_f64 v[102:103], v[102:103], -v[0:1]
	v_add_f64 v[104:105], v[104:105], -v[2:3]
	s_waitcnt vmcnt(0)
	v_add_f64 v[106:107], v[106:107], -v[110:111]
	v_add_f64 v[108:109], v[108:109], -v[120:121]
	scratch_store_dwordx4 off, v[102:105], s10
	scratch_store_dwordx4 off, v[106:109], s5
	s_cbranch_scc1 .LBB123_312
.LBB123_313:
	s_or_b64 exec, exec, s[2:3]
	v_cmp_eq_u32_e32 vcc, 24, v248
	s_waitcnt lgkmcnt(0)
	s_barrier
	s_and_saveexec_b64 s[4:5], vcc
	s_cbranch_execz .LBB123_324
; %bb.314:
	scratch_load_dwordx4 v[98:101], off, s86
	v_add_u32_e32 v96, 0x190, v250
	s_movk_i32 s10, 0xfe00
	s_waitcnt vmcnt(0)
	ds_write2_b64 v249, v[98:99], v[100:101] offset1:1
	s_branch .LBB123_316
.LBB123_315:                            ;   in Loop: Header=BB123_316 Depth=1
	s_add_i32 s3, s2, 0x3e0
	s_add_i32 s11, s2, 0x3f0
	scratch_load_dwordx4 v[98:101], off, s3
	scratch_load_dwordx4 v[102:105], off, s11
	s_addk_i32 s2, 0x400
	scratch_load_dwordx4 v[106:109], off, s2
	s_addk_i32 s10, 0x80
	s_waitcnt vmcnt(2)
	ds_write2_b64 v97, v[98:99], v[100:101] offset0:74 offset1:75
	s_waitcnt vmcnt(1)
	ds_write2_b64 v97, v[102:103], v[104:105] offset0:76 offset1:77
	;; [unrolled: 2-line block ×3, first 2 shown]
	s_cbranch_execz .LBB123_318
.LBB123_316:                            ; =>This Inner Loop Header: Depth=1
	s_add_i32 s3, s10, 0x390
	s_add_i32 s11, s10, 0x3a0
	scratch_load_dwordx4 v[98:101], off, s3
	scratch_load_dwordx4 v[102:105], off, s11
	s_add_i32 s3, s10, 0x3b0
	s_add_i32 s11, s10, 0x3c0
	scratch_load_dwordx4 v[106:109], off, s3
	scratch_load_dwordx4 v[110:113], off, s11
	s_add_i32 s3, s10, 0x3d0
	scratch_load_dwordx4 v[114:117], off, s3
	s_mov_b32 s2, s10
	v_add_u32_e32 v97, s10, v96
	s_cmp_eq_u32 s10, 0
	s_waitcnt vmcnt(4)
	ds_write2_b64 v97, v[98:99], v[100:101] offset0:64 offset1:65
	s_waitcnt vmcnt(3)
	ds_write2_b64 v97, v[102:103], v[104:105] offset0:66 offset1:67
	s_waitcnt vmcnt(2)
	ds_write2_b64 v97, v[106:107], v[108:109] offset0:68 offset1:69
	s_waitcnt vmcnt(1)
	ds_write2_b64 v97, v[110:111], v[112:113] offset0:70 offset1:71
	s_waitcnt vmcnt(0)
	ds_write2_b64 v97, v[114:115], v[116:117] offset0:72 offset1:73
	s_cbranch_scc0 .LBB123_315
; %bb.317:
                                        ; implicit-def: $sgpr10
.LBB123_318:
	ds_read2_b64 v[96:99], v249 offset1:1
	s_waitcnt lgkmcnt(0)
	v_cmp_neq_f64_e32 vcc, 0, v[96:97]
	v_cmp_neq_f64_e64 s[2:3], 0, v[98:99]
	s_or_b64 s[2:3], vcc, s[2:3]
	s_and_b64 exec, exec, s[2:3]
	s_cbranch_execz .LBB123_324
; %bb.319:
	v_cmp_ngt_f64_e64 s[2:3], |v[96:97]|, |v[98:99]|
                                        ; implicit-def: $vgpr100_vgpr101
	s_and_saveexec_b64 s[10:11], s[2:3]
	s_xor_b64 s[2:3], exec, s[10:11]
                                        ; implicit-def: $vgpr102_vgpr103
	s_cbranch_execz .LBB123_321
; %bb.320:
	v_div_scale_f64 v[0:1], s[10:11], v[98:99], v[98:99], v[96:97]
	v_rcp_f64_e32 v[2:3], v[0:1]
	v_div_scale_f64 v[100:101], vcc, v[96:97], v[98:99], v[96:97]
	v_fma_f64 v[102:103], -v[0:1], v[2:3], 1.0
	v_fmac_f64_e32 v[2:3], v[2:3], v[102:103]
	v_fma_f64 v[102:103], -v[0:1], v[2:3], 1.0
	v_fmac_f64_e32 v[2:3], v[2:3], v[102:103]
	v_mul_f64 v[102:103], v[100:101], v[2:3]
	v_fma_f64 v[0:1], -v[0:1], v[102:103], v[100:101]
	v_div_fmas_f64 v[0:1], v[0:1], v[2:3], v[102:103]
	v_div_fixup_f64 v[0:1], v[0:1], v[98:99], v[96:97]
	v_fmac_f64_e32 v[98:99], v[96:97], v[0:1]
	v_div_scale_f64 v[2:3], s[10:11], v[98:99], v[98:99], 1.0
	v_rcp_f64_e32 v[96:97], v[2:3]
	s_nop 0
	v_fma_f64 v[100:101], -v[2:3], v[96:97], 1.0
	v_fmac_f64_e32 v[96:97], v[96:97], v[100:101]
	v_fma_f64 v[100:101], -v[2:3], v[96:97], 1.0
	v_fmac_f64_e32 v[96:97], v[96:97], v[100:101]
	v_div_scale_f64 v[100:101], vcc, 1.0, v[98:99], 1.0
	v_mul_f64 v[102:103], v[100:101], v[96:97]
	v_fma_f64 v[2:3], -v[2:3], v[102:103], v[100:101]
	s_nop 1
	v_div_fmas_f64 v[2:3], v[2:3], v[96:97], v[102:103]
	v_div_fixup_f64 v[102:103], v[2:3], v[98:99], 1.0
	v_mul_f64 v[100:101], v[0:1], v[102:103]
	v_xor_b32_e32 v103, 0x80000000, v103
                                        ; implicit-def: $vgpr96_vgpr97
.LBB123_321:
	s_andn2_saveexec_b64 s[2:3], s[2:3]
	s_cbranch_execz .LBB123_323
; %bb.322:
	v_div_scale_f64 v[0:1], s[10:11], v[96:97], v[96:97], v[98:99]
	v_rcp_f64_e32 v[2:3], v[0:1]
	v_div_scale_f64 v[100:101], vcc, v[98:99], v[96:97], v[98:99]
	v_fma_f64 v[102:103], -v[0:1], v[2:3], 1.0
	v_fmac_f64_e32 v[2:3], v[2:3], v[102:103]
	v_fma_f64 v[102:103], -v[0:1], v[2:3], 1.0
	v_fmac_f64_e32 v[2:3], v[2:3], v[102:103]
	v_mul_f64 v[102:103], v[100:101], v[2:3]
	v_fma_f64 v[0:1], -v[0:1], v[102:103], v[100:101]
	v_div_fmas_f64 v[0:1], v[0:1], v[2:3], v[102:103]
	v_div_fixup_f64 v[0:1], v[0:1], v[96:97], v[98:99]
	v_fmac_f64_e32 v[96:97], v[98:99], v[0:1]
	v_div_scale_f64 v[2:3], s[10:11], v[96:97], v[96:97], 1.0
	v_rcp_f64_e32 v[98:99], v[2:3]
	s_nop 0
	v_fma_f64 v[100:101], -v[2:3], v[98:99], 1.0
	v_fmac_f64_e32 v[98:99], v[98:99], v[100:101]
	v_fma_f64 v[100:101], -v[2:3], v[98:99], 1.0
	v_fmac_f64_e32 v[98:99], v[98:99], v[100:101]
	v_div_scale_f64 v[100:101], vcc, 1.0, v[96:97], 1.0
	v_mul_f64 v[102:103], v[100:101], v[98:99]
	v_fma_f64 v[2:3], -v[2:3], v[102:103], v[100:101]
	s_nop 1
	v_div_fmas_f64 v[2:3], v[2:3], v[98:99], v[102:103]
	v_div_fixup_f64 v[100:101], v[2:3], v[96:97], 1.0
	v_mul_f64 v[102:103], v[0:1], -v[100:101]
.LBB123_323:
	s_or_b64 exec, exec, s[2:3]
	ds_write2_b64 v249, v[100:101], v[102:103] offset1:1
.LBB123_324:
	s_or_b64 exec, exec, s[4:5]
	s_waitcnt lgkmcnt(0)
	s_barrier
	ds_read2_b64 v[96:99], v249 offset1:1
	v_cmp_lt_u32_e32 vcc, 24, v248
	s_and_saveexec_b64 s[2:3], vcc
	s_cbranch_execz .LBB123_329
; %bb.325:
	scratch_load_dwordx4 v[106:109], off, off offset:384
	v_add_u32_e32 v104, 0x190, v250
	s_movk_i32 s10, 0xfe00
	s_waitcnt vmcnt(0) lgkmcnt(0)
	v_mul_f64 v[0:1], v[98:99], v[108:109]
	v_mul_f64 v[102:103], v[96:97], v[108:109]
	v_fma_f64 v[100:101], v[96:97], v[106:107], -v[0:1]
	v_fmac_f64_e32 v[102:103], v[98:99], v[106:107]
	scratch_store_dwordx4 off, v[100:103], off offset:384
	s_branch .LBB123_327
.LBB123_326:                            ;   in Loop: Header=BB123_327 Depth=1
	scratch_load_dwordx4 v[106:109], off, off offset:384
	ds_read2_b64 v[100:103], v105 offset0:74 offset1:75
	s_add_i32 s5, s4, 0x3e0
	s_addk_i32 s10, 0x80
	s_waitcnt vmcnt(0) lgkmcnt(0)
	v_mul_f64 v[0:1], v[102:103], v[108:109]
	v_mul_f64 v[2:3], v[100:101], v[108:109]
	v_fma_f64 v[0:1], v[100:101], v[106:107], -v[0:1]
	v_fmac_f64_e32 v[2:3], v[102:103], v[106:107]
	scratch_load_dwordx4 v[100:103], off, s5
	s_waitcnt vmcnt(0)
	v_add_f64 v[100:101], v[100:101], -v[0:1]
	v_add_f64 v[102:103], v[102:103], -v[2:3]
	scratch_store_dwordx4 off, v[100:103], s5
	scratch_load_dwordx4 v[106:109], off, off offset:384
	ds_read2_b64 v[100:103], v105 offset0:76 offset1:77
	s_add_i32 s5, s4, 0x3f0
	s_addk_i32 s4, 0x400
	s_waitcnt vmcnt(0) lgkmcnt(0)
	v_mul_f64 v[0:1], v[102:103], v[108:109]
	v_mul_f64 v[2:3], v[100:101], v[108:109]
	v_fma_f64 v[0:1], v[100:101], v[106:107], -v[0:1]
	v_fmac_f64_e32 v[2:3], v[102:103], v[106:107]
	scratch_load_dwordx4 v[100:103], off, s5
	s_waitcnt vmcnt(0)
	v_add_f64 v[100:101], v[100:101], -v[0:1]
	v_add_f64 v[102:103], v[102:103], -v[2:3]
	scratch_store_dwordx4 off, v[100:103], s5
	scratch_load_dwordx4 v[106:109], off, off offset:384
	ds_read2_b64 v[100:103], v105 offset0:78 offset1:79
	s_waitcnt vmcnt(0) lgkmcnt(0)
	v_mul_f64 v[0:1], v[102:103], v[108:109]
	v_mul_f64 v[2:3], v[100:101], v[108:109]
	v_fma_f64 v[0:1], v[100:101], v[106:107], -v[0:1]
	v_fmac_f64_e32 v[2:3], v[102:103], v[106:107]
	scratch_load_dwordx4 v[100:103], off, s4
	s_waitcnt vmcnt(0)
	v_add_f64 v[100:101], v[100:101], -v[0:1]
	v_add_f64 v[102:103], v[102:103], -v[2:3]
	scratch_store_dwordx4 off, v[100:103], s4
	scratch_load_dwordx4 v[100:103], off, off offset:384
	s_cbranch_execz .LBB123_329
.LBB123_327:                            ; =>This Inner Loop Header: Depth=1
	v_add_u32_e32 v105, s10, v104
	ds_read2_b64 v[106:109], v105 offset0:64 offset1:65
	s_add_i32 s5, s10, 0x390
	s_mov_b32 s4, s10
	s_waitcnt vmcnt(0) lgkmcnt(0)
	v_mul_f64 v[0:1], v[108:109], v[102:103]
	v_mul_f64 v[2:3], v[106:107], v[102:103]
	v_fma_f64 v[0:1], v[106:107], v[100:101], -v[0:1]
	v_fmac_f64_e32 v[2:3], v[108:109], v[100:101]
	scratch_load_dwordx4 v[100:103], off, s5
	s_waitcnt vmcnt(0)
	v_add_f64 v[100:101], v[100:101], -v[0:1]
	v_add_f64 v[102:103], v[102:103], -v[2:3]
	scratch_store_dwordx4 off, v[100:103], s5
	scratch_load_dwordx4 v[106:109], off, off offset:384
	ds_read2_b64 v[100:103], v105 offset0:66 offset1:67
	s_add_i32 s5, s10, 0x3a0
	s_waitcnt vmcnt(0) lgkmcnt(0)
	v_mul_f64 v[0:1], v[102:103], v[108:109]
	v_mul_f64 v[2:3], v[100:101], v[108:109]
	v_fma_f64 v[0:1], v[100:101], v[106:107], -v[0:1]
	v_fmac_f64_e32 v[2:3], v[102:103], v[106:107]
	scratch_load_dwordx4 v[100:103], off, s5
	s_waitcnt vmcnt(0)
	v_add_f64 v[100:101], v[100:101], -v[0:1]
	v_add_f64 v[102:103], v[102:103], -v[2:3]
	scratch_store_dwordx4 off, v[100:103], s5
	scratch_load_dwordx4 v[106:109], off, off offset:384
	ds_read2_b64 v[100:103], v105 offset0:68 offset1:69
	s_add_i32 s5, s10, 0x3b0
	;; [unrolled: 13-line block ×4, first 2 shown]
	s_cmp_eq_u32 s10, 0
	s_waitcnt vmcnt(0) lgkmcnt(0)
	v_mul_f64 v[0:1], v[102:103], v[108:109]
	v_mul_f64 v[2:3], v[100:101], v[108:109]
	v_fma_f64 v[0:1], v[100:101], v[106:107], -v[0:1]
	v_fmac_f64_e32 v[2:3], v[102:103], v[106:107]
	scratch_load_dwordx4 v[100:103], off, s5
	s_waitcnt vmcnt(0)
	v_add_f64 v[100:101], v[100:101], -v[0:1]
	v_add_f64 v[102:103], v[102:103], -v[2:3]
	scratch_store_dwordx4 off, v[100:103], s5
	s_cbranch_scc0 .LBB123_326
; %bb.328:
                                        ; implicit-def: $vgpr100_vgpr101
                                        ; implicit-def: $sgpr10
.LBB123_329:
	s_or_b64 exec, exec, s[2:3]
	v_cmp_eq_u32_e32 vcc, 25, v248
	s_waitcnt lgkmcnt(0)
	s_barrier
	s_and_saveexec_b64 s[4:5], vcc
	s_cbranch_execz .LBB123_336
; %bb.330:
	scratch_load_dwordx4 v[100:103], off, s85
	s_waitcnt vmcnt(0)
	ds_write2_b64 v249, v[100:101], v[102:103] offset1:1
	scratch_load_dwordx4 v[100:103], off, s47
	s_waitcnt vmcnt(0)
	ds_write2_b64 v250, v[100:101], v[102:103] offset0:52 offset1:53
	scratch_load_dwordx4 v[100:103], off, s46
	s_waitcnt vmcnt(0)
	ds_write2_b64 v250, v[100:101], v[102:103] offset0:54 offset1:55
	;; [unrolled: 3-line block ×36, first 2 shown]
	ds_read2_b64 v[100:103], v249 offset1:1
	s_waitcnt lgkmcnt(0)
	v_cmp_neq_f64_e32 vcc, 0, v[100:101]
	v_cmp_neq_f64_e64 s[2:3], 0, v[102:103]
	s_or_b64 s[2:3], vcc, s[2:3]
	s_and_b64 exec, exec, s[2:3]
	s_cbranch_execz .LBB123_336
; %bb.331:
	v_cmp_ngt_f64_e64 s[2:3], |v[100:101]|, |v[102:103]|
                                        ; implicit-def: $vgpr104_vgpr105
	s_and_saveexec_b64 s[10:11], s[2:3]
	s_xor_b64 s[2:3], exec, s[10:11]
                                        ; implicit-def: $vgpr106_vgpr107
	s_cbranch_execz .LBB123_333
; %bb.332:
	v_div_scale_f64 v[0:1], s[10:11], v[102:103], v[102:103], v[100:101]
	v_rcp_f64_e32 v[2:3], v[0:1]
	v_div_scale_f64 v[104:105], vcc, v[100:101], v[102:103], v[100:101]
	v_fma_f64 v[106:107], -v[0:1], v[2:3], 1.0
	v_fmac_f64_e32 v[2:3], v[2:3], v[106:107]
	v_fma_f64 v[106:107], -v[0:1], v[2:3], 1.0
	v_fmac_f64_e32 v[2:3], v[2:3], v[106:107]
	v_mul_f64 v[106:107], v[104:105], v[2:3]
	v_fma_f64 v[0:1], -v[0:1], v[106:107], v[104:105]
	v_div_fmas_f64 v[0:1], v[0:1], v[2:3], v[106:107]
	v_div_fixup_f64 v[0:1], v[0:1], v[102:103], v[100:101]
	v_fmac_f64_e32 v[102:103], v[100:101], v[0:1]
	v_div_scale_f64 v[2:3], s[10:11], v[102:103], v[102:103], 1.0
	v_rcp_f64_e32 v[100:101], v[2:3]
	s_nop 0
	v_fma_f64 v[104:105], -v[2:3], v[100:101], 1.0
	v_fmac_f64_e32 v[100:101], v[100:101], v[104:105]
	v_fma_f64 v[104:105], -v[2:3], v[100:101], 1.0
	v_fmac_f64_e32 v[100:101], v[100:101], v[104:105]
	v_div_scale_f64 v[104:105], vcc, 1.0, v[102:103], 1.0
	v_mul_f64 v[106:107], v[104:105], v[100:101]
	v_fma_f64 v[2:3], -v[2:3], v[106:107], v[104:105]
	s_nop 1
	v_div_fmas_f64 v[2:3], v[2:3], v[100:101], v[106:107]
	v_div_fixup_f64 v[106:107], v[2:3], v[102:103], 1.0
	v_mul_f64 v[104:105], v[0:1], v[106:107]
	v_xor_b32_e32 v107, 0x80000000, v107
                                        ; implicit-def: $vgpr100_vgpr101
.LBB123_333:
	s_andn2_saveexec_b64 s[2:3], s[2:3]
	s_cbranch_execz .LBB123_335
; %bb.334:
	v_div_scale_f64 v[0:1], s[10:11], v[100:101], v[100:101], v[102:103]
	v_rcp_f64_e32 v[2:3], v[0:1]
	v_div_scale_f64 v[104:105], vcc, v[102:103], v[100:101], v[102:103]
	v_fma_f64 v[106:107], -v[0:1], v[2:3], 1.0
	v_fmac_f64_e32 v[2:3], v[2:3], v[106:107]
	v_fma_f64 v[106:107], -v[0:1], v[2:3], 1.0
	v_fmac_f64_e32 v[2:3], v[2:3], v[106:107]
	v_mul_f64 v[106:107], v[104:105], v[2:3]
	v_fma_f64 v[0:1], -v[0:1], v[106:107], v[104:105]
	v_div_fmas_f64 v[0:1], v[0:1], v[2:3], v[106:107]
	v_div_fixup_f64 v[0:1], v[0:1], v[100:101], v[102:103]
	v_fmac_f64_e32 v[100:101], v[102:103], v[0:1]
	v_div_scale_f64 v[2:3], s[10:11], v[100:101], v[100:101], 1.0
	v_rcp_f64_e32 v[102:103], v[2:3]
	s_nop 0
	v_fma_f64 v[104:105], -v[2:3], v[102:103], 1.0
	v_fmac_f64_e32 v[102:103], v[102:103], v[104:105]
	v_fma_f64 v[104:105], -v[2:3], v[102:103], 1.0
	v_fmac_f64_e32 v[102:103], v[102:103], v[104:105]
	v_div_scale_f64 v[104:105], vcc, 1.0, v[100:101], 1.0
	v_mul_f64 v[106:107], v[104:105], v[102:103]
	v_fma_f64 v[2:3], -v[2:3], v[106:107], v[104:105]
	s_nop 1
	v_div_fmas_f64 v[2:3], v[2:3], v[102:103], v[106:107]
	v_div_fixup_f64 v[104:105], v[2:3], v[100:101], 1.0
	v_mul_f64 v[106:107], v[0:1], -v[104:105]
.LBB123_335:
	s_or_b64 exec, exec, s[2:3]
	ds_write2_b64 v249, v[104:105], v[106:107] offset1:1
.LBB123_336:
	s_or_b64 exec, exec, s[4:5]
	s_waitcnt lgkmcnt(0)
	s_barrier
	s_waitcnt vmcnt(0)
	ds_read2_b64 v[100:103], v249 offset1:1
	v_cmp_lt_u32_e32 vcc, 25, v248
	s_and_saveexec_b64 s[2:3], vcc
	s_cbranch_execz .LBB123_339
; %bb.337:
	scratch_load_dwordx4 v[104:107], off, off offset:400
	v_add_u32_e32 v108, 0x1a0, v250
	s_movk_i32 s4, 0xfdc0
	s_waitcnt vmcnt(0) lgkmcnt(0)
	v_mul_f64 v[0:1], v[102:103], v[106:107]
	v_mul_f64 v[112:113], v[100:101], v[106:107]
	v_fma_f64 v[110:111], v[100:101], v[104:105], -v[0:1]
	v_fmac_f64_e32 v[112:113], v[102:103], v[104:105]
	scratch_store_dwordx4 off, v[110:113], off offset:400
.LBB123_338:                            ; =>This Inner Loop Header: Depth=1
	scratch_load_dwordx4 v[110:113], off, off offset:400
	v_add_u32_e32 v109, s4, v108
	ds_read2_b64 v[104:107], v109 offset0:72 offset1:73
	s_add_i32 s10, s4, 0x3e0
	s_add_i32 s5, s4, 0x460
	s_waitcnt vmcnt(0) lgkmcnt(0)
	v_mul_f64 v[0:1], v[106:107], v[112:113]
	v_mul_f64 v[2:3], v[104:105], v[112:113]
	v_fma_f64 v[0:1], v[104:105], v[110:111], -v[0:1]
	v_fmac_f64_e32 v[2:3], v[106:107], v[110:111]
	scratch_load_dwordx4 v[104:107], off, s10
	s_waitcnt vmcnt(0)
	v_add_f64 v[104:105], v[104:105], -v[0:1]
	v_add_f64 v[106:107], v[106:107], -v[2:3]
	scratch_store_dwordx4 off, v[104:107], s10
	scratch_load_dwordx4 v[110:113], off, off offset:400
	ds_read2_b64 v[104:107], v109 offset0:74 offset1:75
	s_add_i32 s10, s4, 0x3f0
	s_waitcnt vmcnt(0) lgkmcnt(0)
	v_mul_f64 v[0:1], v[106:107], v[112:113]
	v_mul_f64 v[2:3], v[104:105], v[112:113]
	v_fma_f64 v[0:1], v[104:105], v[110:111], -v[0:1]
	v_fmac_f64_e32 v[2:3], v[106:107], v[110:111]
	scratch_load_dwordx4 v[104:107], off, s10
	s_waitcnt vmcnt(0)
	v_add_f64 v[104:105], v[104:105], -v[0:1]
	v_add_f64 v[106:107], v[106:107], -v[2:3]
	scratch_store_dwordx4 off, v[104:107], s10
	scratch_load_dwordx4 v[110:113], off, off offset:400
	ds_read2_b64 v[104:107], v109 offset0:76 offset1:77
	;; [unrolled: 13-line block ×7, first 2 shown]
	s_add_i32 s10, s4, 0x450
	s_addk_i32 s4, 0x90
	s_cmp_lg_u32 s4, 0
	s_waitcnt vmcnt(0) lgkmcnt(0)
	v_mul_f64 v[0:1], v[106:107], v[112:113]
	v_mul_f64 v[2:3], v[104:105], v[112:113]
	v_fma_f64 v[0:1], v[104:105], v[110:111], -v[0:1]
	v_fmac_f64_e32 v[2:3], v[106:107], v[110:111]
	scratch_load_dwordx4 v[104:107], off, s10
	ds_read2_b64 v[110:113], v109 offset0:88 offset1:89
	s_waitcnt vmcnt(0)
	v_add_f64 v[104:105], v[104:105], -v[0:1]
	v_add_f64 v[106:107], v[106:107], -v[2:3]
	scratch_store_dwordx4 off, v[104:107], s10
	scratch_load_dwordx4 v[114:117], off, off offset:400
	s_waitcnt vmcnt(0) lgkmcnt(0)
	v_mul_f64 v[0:1], v[112:113], v[116:117]
	v_mul_f64 v[106:107], v[110:111], v[116:117]
	v_fma_f64 v[104:105], v[110:111], v[114:115], -v[0:1]
	v_fmac_f64_e32 v[106:107], v[112:113], v[114:115]
	scratch_load_dwordx4 v[110:113], off, s5
	s_waitcnt vmcnt(0)
	v_add_f64 v[104:105], v[110:111], -v[104:105]
	v_add_f64 v[106:107], v[112:113], -v[106:107]
	scratch_store_dwordx4 off, v[104:107], s5
	s_cbranch_scc1 .LBB123_338
.LBB123_339:
	s_or_b64 exec, exec, s[2:3]
	v_cmp_eq_u32_e32 vcc, 26, v248
	s_waitcnt lgkmcnt(0)
	s_barrier
	s_and_saveexec_b64 s[4:5], vcc
	s_cbranch_execz .LBB123_346
; %bb.340:
	scratch_load_dwordx4 v[104:107], off, s47
	s_waitcnt vmcnt(0)
	ds_write2_b64 v249, v[104:105], v[106:107] offset1:1
	scratch_load_dwordx4 v[104:107], off, s46
	s_waitcnt vmcnt(0)
	ds_write2_b64 v250, v[104:105], v[106:107] offset0:54 offset1:55
	scratch_load_dwordx4 v[104:107], off, s45
	s_waitcnt vmcnt(0)
	ds_write2_b64 v250, v[104:105], v[106:107] offset0:56 offset1:57
	;; [unrolled: 3-line block ×35, first 2 shown]
	ds_read2_b64 v[104:107], v249 offset1:1
	s_waitcnt lgkmcnt(0)
	v_cmp_neq_f64_e32 vcc, 0, v[104:105]
	v_cmp_neq_f64_e64 s[2:3], 0, v[106:107]
	s_or_b64 s[2:3], vcc, s[2:3]
	s_and_b64 exec, exec, s[2:3]
	s_cbranch_execz .LBB123_346
; %bb.341:
	v_cmp_ngt_f64_e64 s[2:3], |v[104:105]|, |v[106:107]|
                                        ; implicit-def: $vgpr108_vgpr109
	s_and_saveexec_b64 s[10:11], s[2:3]
	s_xor_b64 s[2:3], exec, s[10:11]
                                        ; implicit-def: $vgpr110_vgpr111
	s_cbranch_execz .LBB123_343
; %bb.342:
	v_div_scale_f64 v[0:1], s[10:11], v[106:107], v[106:107], v[104:105]
	v_rcp_f64_e32 v[2:3], v[0:1]
	v_div_scale_f64 v[108:109], vcc, v[104:105], v[106:107], v[104:105]
	v_fma_f64 v[110:111], -v[0:1], v[2:3], 1.0
	v_fmac_f64_e32 v[2:3], v[2:3], v[110:111]
	v_fma_f64 v[110:111], -v[0:1], v[2:3], 1.0
	v_fmac_f64_e32 v[2:3], v[2:3], v[110:111]
	v_mul_f64 v[110:111], v[108:109], v[2:3]
	v_fma_f64 v[0:1], -v[0:1], v[110:111], v[108:109]
	v_div_fmas_f64 v[0:1], v[0:1], v[2:3], v[110:111]
	v_div_fixup_f64 v[0:1], v[0:1], v[106:107], v[104:105]
	v_fmac_f64_e32 v[106:107], v[104:105], v[0:1]
	v_div_scale_f64 v[2:3], s[10:11], v[106:107], v[106:107], 1.0
	v_rcp_f64_e32 v[104:105], v[2:3]
	s_nop 0
	v_fma_f64 v[108:109], -v[2:3], v[104:105], 1.0
	v_fmac_f64_e32 v[104:105], v[104:105], v[108:109]
	v_fma_f64 v[108:109], -v[2:3], v[104:105], 1.0
	v_fmac_f64_e32 v[104:105], v[104:105], v[108:109]
	v_div_scale_f64 v[108:109], vcc, 1.0, v[106:107], 1.0
	v_mul_f64 v[110:111], v[108:109], v[104:105]
	v_fma_f64 v[2:3], -v[2:3], v[110:111], v[108:109]
	s_nop 1
	v_div_fmas_f64 v[2:3], v[2:3], v[104:105], v[110:111]
	v_div_fixup_f64 v[110:111], v[2:3], v[106:107], 1.0
	v_mul_f64 v[108:109], v[0:1], v[110:111]
	v_xor_b32_e32 v111, 0x80000000, v111
                                        ; implicit-def: $vgpr104_vgpr105
.LBB123_343:
	s_andn2_saveexec_b64 s[2:3], s[2:3]
	s_cbranch_execz .LBB123_345
; %bb.344:
	v_div_scale_f64 v[0:1], s[10:11], v[104:105], v[104:105], v[106:107]
	v_rcp_f64_e32 v[2:3], v[0:1]
	v_div_scale_f64 v[108:109], vcc, v[106:107], v[104:105], v[106:107]
	v_fma_f64 v[110:111], -v[0:1], v[2:3], 1.0
	v_fmac_f64_e32 v[2:3], v[2:3], v[110:111]
	v_fma_f64 v[110:111], -v[0:1], v[2:3], 1.0
	v_fmac_f64_e32 v[2:3], v[2:3], v[110:111]
	v_mul_f64 v[110:111], v[108:109], v[2:3]
	v_fma_f64 v[0:1], -v[0:1], v[110:111], v[108:109]
	v_div_fmas_f64 v[0:1], v[0:1], v[2:3], v[110:111]
	v_div_fixup_f64 v[0:1], v[0:1], v[104:105], v[106:107]
	v_fmac_f64_e32 v[104:105], v[106:107], v[0:1]
	v_div_scale_f64 v[2:3], s[10:11], v[104:105], v[104:105], 1.0
	v_rcp_f64_e32 v[106:107], v[2:3]
	s_nop 0
	v_fma_f64 v[108:109], -v[2:3], v[106:107], 1.0
	v_fmac_f64_e32 v[106:107], v[106:107], v[108:109]
	v_fma_f64 v[108:109], -v[2:3], v[106:107], 1.0
	v_fmac_f64_e32 v[106:107], v[106:107], v[108:109]
	v_div_scale_f64 v[108:109], vcc, 1.0, v[104:105], 1.0
	v_mul_f64 v[110:111], v[108:109], v[106:107]
	v_fma_f64 v[2:3], -v[2:3], v[110:111], v[108:109]
	s_nop 1
	v_div_fmas_f64 v[2:3], v[2:3], v[106:107], v[110:111]
	v_div_fixup_f64 v[108:109], v[2:3], v[104:105], 1.0
	v_mul_f64 v[110:111], v[0:1], -v[108:109]
.LBB123_345:
	s_or_b64 exec, exec, s[2:3]
	ds_write2_b64 v249, v[108:109], v[110:111] offset1:1
.LBB123_346:
	s_or_b64 exec, exec, s[4:5]
	s_waitcnt lgkmcnt(0)
	s_barrier
	ds_read2_b64 v[104:107], v249 offset1:1
	v_cmp_lt_u32_e32 vcc, 26, v248
	s_and_saveexec_b64 s[2:3], vcc
	s_cbranch_execz .LBB123_349
; %bb.347:
	scratch_load_dwordx4 v[108:111], off, off offset:416
	v_add_u32_e32 v112, 0x1b0, v250
	s_movk_i32 s4, 0xfdd0
	s_waitcnt vmcnt(0) lgkmcnt(0)
	v_mul_f64 v[0:1], v[106:107], v[110:111]
	v_mul_f64 v[116:117], v[104:105], v[110:111]
	v_fma_f64 v[114:115], v[104:105], v[108:109], -v[0:1]
	v_fmac_f64_e32 v[116:117], v[106:107], v[108:109]
	scratch_store_dwordx4 off, v[114:117], off offset:416
.LBB123_348:                            ; =>This Inner Loop Header: Depth=1
	scratch_load_dwordx4 v[114:117], off, off offset:416
	v_add_u32_e32 v113, s4, v112
	ds_read2_b64 v[108:111], v113 offset0:70 offset1:71
	s_add_i32 s10, s4, 0x3e0
	s_add_i32 s5, s4, 0x440
	s_waitcnt vmcnt(0) lgkmcnt(0)
	v_mul_f64 v[0:1], v[110:111], v[116:117]
	v_mul_f64 v[2:3], v[108:109], v[116:117]
	v_fma_f64 v[0:1], v[108:109], v[114:115], -v[0:1]
	v_fmac_f64_e32 v[2:3], v[110:111], v[114:115]
	scratch_load_dwordx4 v[108:111], off, s10
	s_waitcnt vmcnt(0)
	v_add_f64 v[108:109], v[108:109], -v[0:1]
	v_add_f64 v[110:111], v[110:111], -v[2:3]
	scratch_store_dwordx4 off, v[108:111], s10
	scratch_load_dwordx4 v[114:117], off, off offset:416
	ds_read2_b64 v[108:111], v113 offset0:72 offset1:73
	s_add_i32 s10, s4, 0x3f0
	s_waitcnt vmcnt(0) lgkmcnt(0)
	v_mul_f64 v[0:1], v[110:111], v[116:117]
	v_mul_f64 v[2:3], v[108:109], v[116:117]
	v_fma_f64 v[0:1], v[108:109], v[114:115], -v[0:1]
	v_fmac_f64_e32 v[2:3], v[110:111], v[114:115]
	scratch_load_dwordx4 v[108:111], off, s10
	s_waitcnt vmcnt(0)
	v_add_f64 v[108:109], v[108:109], -v[0:1]
	v_add_f64 v[110:111], v[110:111], -v[2:3]
	scratch_store_dwordx4 off, v[108:111], s10
	scratch_load_dwordx4 v[114:117], off, off offset:416
	ds_read2_b64 v[108:111], v113 offset0:74 offset1:75
	;; [unrolled: 13-line block ×5, first 2 shown]
	s_add_i32 s10, s4, 0x430
	s_addk_i32 s4, 0x70
	s_cmp_lg_u32 s4, 0
	s_waitcnt vmcnt(0) lgkmcnt(0)
	v_mul_f64 v[0:1], v[110:111], v[116:117]
	v_mul_f64 v[2:3], v[108:109], v[116:117]
	v_fma_f64 v[0:1], v[108:109], v[114:115], -v[0:1]
	v_fmac_f64_e32 v[2:3], v[110:111], v[114:115]
	scratch_load_dwordx4 v[108:111], off, s10
	ds_read2_b64 v[114:117], v113 offset0:82 offset1:83
	s_waitcnt vmcnt(0)
	v_add_f64 v[108:109], v[108:109], -v[0:1]
	v_add_f64 v[110:111], v[110:111], -v[2:3]
	scratch_store_dwordx4 off, v[108:111], s10
	scratch_load_dwordx4 v[118:121], off, off offset:416
	s_waitcnt vmcnt(0) lgkmcnt(0)
	v_mul_f64 v[0:1], v[116:117], v[120:121]
	v_mul_f64 v[110:111], v[114:115], v[120:121]
	v_fma_f64 v[108:109], v[114:115], v[118:119], -v[0:1]
	v_fmac_f64_e32 v[110:111], v[116:117], v[118:119]
	scratch_load_dwordx4 v[114:117], off, s5
	s_waitcnt vmcnt(0)
	v_add_f64 v[108:109], v[114:115], -v[108:109]
	v_add_f64 v[110:111], v[116:117], -v[110:111]
	scratch_store_dwordx4 off, v[108:111], s5
	s_cbranch_scc1 .LBB123_348
.LBB123_349:
	s_or_b64 exec, exec, s[2:3]
	v_cmp_eq_u32_e32 vcc, 27, v248
	s_waitcnt lgkmcnt(0)
	s_barrier
	s_and_saveexec_b64 s[4:5], vcc
	s_cbranch_execz .LBB123_356
; %bb.350:
	scratch_load_dwordx4 v[108:111], off, s46
	s_waitcnt vmcnt(0)
	ds_write2_b64 v249, v[108:109], v[110:111] offset1:1
	scratch_load_dwordx4 v[108:111], off, s45
	s_waitcnt vmcnt(0)
	ds_write2_b64 v250, v[108:109], v[110:111] offset0:56 offset1:57
	scratch_load_dwordx4 v[108:111], off, s44
	s_waitcnt vmcnt(0)
	ds_write2_b64 v250, v[108:109], v[110:111] offset0:58 offset1:59
	;; [unrolled: 3-line block ×34, first 2 shown]
	ds_read2_b64 v[108:111], v249 offset1:1
	s_waitcnt lgkmcnt(0)
	v_cmp_neq_f64_e32 vcc, 0, v[108:109]
	v_cmp_neq_f64_e64 s[2:3], 0, v[110:111]
	s_or_b64 s[2:3], vcc, s[2:3]
	s_and_b64 exec, exec, s[2:3]
	s_cbranch_execz .LBB123_356
; %bb.351:
	v_cmp_ngt_f64_e64 s[2:3], |v[108:109]|, |v[110:111]|
                                        ; implicit-def: $vgpr112_vgpr113
	s_and_saveexec_b64 s[10:11], s[2:3]
	s_xor_b64 s[2:3], exec, s[10:11]
                                        ; implicit-def: $vgpr114_vgpr115
	s_cbranch_execz .LBB123_353
; %bb.352:
	v_div_scale_f64 v[0:1], s[10:11], v[110:111], v[110:111], v[108:109]
	v_rcp_f64_e32 v[2:3], v[0:1]
	v_div_scale_f64 v[112:113], vcc, v[108:109], v[110:111], v[108:109]
	v_fma_f64 v[114:115], -v[0:1], v[2:3], 1.0
	v_fmac_f64_e32 v[2:3], v[2:3], v[114:115]
	v_fma_f64 v[114:115], -v[0:1], v[2:3], 1.0
	v_fmac_f64_e32 v[2:3], v[2:3], v[114:115]
	v_mul_f64 v[114:115], v[112:113], v[2:3]
	v_fma_f64 v[0:1], -v[0:1], v[114:115], v[112:113]
	v_div_fmas_f64 v[0:1], v[0:1], v[2:3], v[114:115]
	v_div_fixup_f64 v[0:1], v[0:1], v[110:111], v[108:109]
	v_fmac_f64_e32 v[110:111], v[108:109], v[0:1]
	v_div_scale_f64 v[2:3], s[10:11], v[110:111], v[110:111], 1.0
	v_rcp_f64_e32 v[108:109], v[2:3]
	s_nop 0
	v_fma_f64 v[112:113], -v[2:3], v[108:109], 1.0
	v_fmac_f64_e32 v[108:109], v[108:109], v[112:113]
	v_fma_f64 v[112:113], -v[2:3], v[108:109], 1.0
	v_fmac_f64_e32 v[108:109], v[108:109], v[112:113]
	v_div_scale_f64 v[112:113], vcc, 1.0, v[110:111], 1.0
	v_mul_f64 v[114:115], v[112:113], v[108:109]
	v_fma_f64 v[2:3], -v[2:3], v[114:115], v[112:113]
	s_nop 1
	v_div_fmas_f64 v[2:3], v[2:3], v[108:109], v[114:115]
	v_div_fixup_f64 v[114:115], v[2:3], v[110:111], 1.0
	v_mul_f64 v[112:113], v[0:1], v[114:115]
	v_xor_b32_e32 v115, 0x80000000, v115
                                        ; implicit-def: $vgpr108_vgpr109
.LBB123_353:
	s_andn2_saveexec_b64 s[2:3], s[2:3]
	s_cbranch_execz .LBB123_355
; %bb.354:
	v_div_scale_f64 v[0:1], s[10:11], v[108:109], v[108:109], v[110:111]
	v_rcp_f64_e32 v[2:3], v[0:1]
	v_div_scale_f64 v[112:113], vcc, v[110:111], v[108:109], v[110:111]
	v_fma_f64 v[114:115], -v[0:1], v[2:3], 1.0
	v_fmac_f64_e32 v[2:3], v[2:3], v[114:115]
	v_fma_f64 v[114:115], -v[0:1], v[2:3], 1.0
	v_fmac_f64_e32 v[2:3], v[2:3], v[114:115]
	v_mul_f64 v[114:115], v[112:113], v[2:3]
	v_fma_f64 v[0:1], -v[0:1], v[114:115], v[112:113]
	v_div_fmas_f64 v[0:1], v[0:1], v[2:3], v[114:115]
	v_div_fixup_f64 v[0:1], v[0:1], v[108:109], v[110:111]
	v_fmac_f64_e32 v[108:109], v[110:111], v[0:1]
	v_div_scale_f64 v[2:3], s[10:11], v[108:109], v[108:109], 1.0
	v_rcp_f64_e32 v[110:111], v[2:3]
	s_nop 0
	v_fma_f64 v[112:113], -v[2:3], v[110:111], 1.0
	v_fmac_f64_e32 v[110:111], v[110:111], v[112:113]
	v_fma_f64 v[112:113], -v[2:3], v[110:111], 1.0
	v_fmac_f64_e32 v[110:111], v[110:111], v[112:113]
	v_div_scale_f64 v[112:113], vcc, 1.0, v[108:109], 1.0
	v_mul_f64 v[114:115], v[112:113], v[110:111]
	v_fma_f64 v[2:3], -v[2:3], v[114:115], v[112:113]
	s_nop 1
	v_div_fmas_f64 v[2:3], v[2:3], v[110:111], v[114:115]
	v_div_fixup_f64 v[112:113], v[2:3], v[108:109], 1.0
	v_mul_f64 v[114:115], v[0:1], -v[112:113]
.LBB123_355:
	s_or_b64 exec, exec, s[2:3]
	ds_write2_b64 v249, v[112:113], v[114:115] offset1:1
.LBB123_356:
	s_or_b64 exec, exec, s[4:5]
	s_waitcnt lgkmcnt(0)
	s_barrier
	ds_read2_b64 v[108:111], v249 offset1:1
	v_cmp_lt_u32_e32 vcc, 27, v248
	s_and_saveexec_b64 s[2:3], vcc
	s_cbranch_execz .LBB123_359
; %bb.357:
	scratch_load_dwordx4 v[116:119], off, off offset:432
	s_mov_b32 s4, 0
	s_waitcnt vmcnt(0) lgkmcnt(0)
	v_mul_f64 v[0:1], v[110:111], v[118:119]
	v_mul_f64 v[114:115], v[108:109], v[118:119]
	v_fma_f64 v[112:113], v[108:109], v[116:117], -v[0:1]
	v_fmac_f64_e32 v[114:115], v[110:111], v[116:117]
	scratch_store_dwordx4 off, v[112:115], off offset:432
.LBB123_358:                            ; =>This Inner Loop Header: Depth=1
	v_add_u32_e32 v0, 0x1c0, v250
	v_add_u32_e32 v120, s4, v0
	ds_read2_b64 v[116:119], v120 offset1:1
	s_add_i32 s10, s4, 0x1c0
	s_add_i32 s5, s4, 0x1d0
	;; [unrolled: 1-line block ×3, first 2 shown]
	s_cmpk_lg_i32 s4, 0x220
	s_waitcnt lgkmcnt(0)
	v_mul_f64 v[0:1], v[118:119], v[114:115]
	v_mul_f64 v[2:3], v[116:117], v[114:115]
	v_fma_f64 v[0:1], v[116:117], v[112:113], -v[0:1]
	v_fmac_f64_e32 v[2:3], v[118:119], v[112:113]
	scratch_load_dwordx4 v[116:119], off, s10
	s_waitcnt vmcnt(0)
	v_add_f64 v[116:117], v[116:117], -v[0:1]
	v_add_f64 v[118:119], v[118:119], -v[2:3]
	scratch_store_dwordx4 off, v[116:119], s10
	ds_read2_b64 v[116:119], v120 offset0:2 offset1:3
	s_waitcnt lgkmcnt(0)
	v_mul_f64 v[0:1], v[118:119], v[114:115]
	v_mul_f64 v[2:3], v[116:117], v[114:115]
	v_fma_f64 v[0:1], v[116:117], v[112:113], -v[0:1]
	v_fmac_f64_e32 v[2:3], v[118:119], v[112:113]
	scratch_load_dwordx4 v[116:119], off, s5
	s_waitcnt vmcnt(0)
	v_add_f64 v[116:117], v[116:117], -v[0:1]
	v_add_f64 v[118:119], v[118:119], -v[2:3]
	scratch_store_dwordx4 off, v[116:119], s5
	s_cbranch_scc1 .LBB123_358
.LBB123_359:
	s_or_b64 exec, exec, s[2:3]
	v_cmp_eq_u32_e32 vcc, 28, v248
	s_waitcnt lgkmcnt(0)
	s_barrier
	s_and_saveexec_b64 s[4:5], vcc
	s_cbranch_execz .LBB123_366
; %bb.360:
	scratch_load_dwordx4 v[112:115], off, s45
	s_waitcnt vmcnt(0)
	ds_write2_b64 v249, v[112:113], v[114:115] offset1:1
	scratch_load_dwordx4 v[112:115], off, s44
	s_waitcnt vmcnt(0)
	ds_write2_b64 v250, v[112:113], v[114:115] offset0:58 offset1:59
	scratch_load_dwordx4 v[112:115], off, s43
	s_waitcnt vmcnt(0)
	ds_write2_b64 v250, v[112:113], v[114:115] offset0:60 offset1:61
	;; [unrolled: 3-line block ×33, first 2 shown]
	ds_read2_b64 v[112:115], v249 offset1:1
	s_waitcnt lgkmcnt(0)
	v_cmp_neq_f64_e32 vcc, 0, v[112:113]
	v_cmp_neq_f64_e64 s[2:3], 0, v[114:115]
	s_or_b64 s[2:3], vcc, s[2:3]
	s_and_b64 exec, exec, s[2:3]
	s_cbranch_execz .LBB123_366
; %bb.361:
	v_cmp_ngt_f64_e64 s[2:3], |v[112:113]|, |v[114:115]|
                                        ; implicit-def: $vgpr116_vgpr117
	s_and_saveexec_b64 s[10:11], s[2:3]
	s_xor_b64 s[2:3], exec, s[10:11]
                                        ; implicit-def: $vgpr118_vgpr119
	s_cbranch_execz .LBB123_363
; %bb.362:
	v_div_scale_f64 v[0:1], s[10:11], v[114:115], v[114:115], v[112:113]
	v_rcp_f64_e32 v[2:3], v[0:1]
	v_div_scale_f64 v[116:117], vcc, v[112:113], v[114:115], v[112:113]
	v_fma_f64 v[118:119], -v[0:1], v[2:3], 1.0
	v_fmac_f64_e32 v[2:3], v[2:3], v[118:119]
	v_fma_f64 v[118:119], -v[0:1], v[2:3], 1.0
	v_fmac_f64_e32 v[2:3], v[2:3], v[118:119]
	v_mul_f64 v[118:119], v[116:117], v[2:3]
	v_fma_f64 v[0:1], -v[0:1], v[118:119], v[116:117]
	v_div_fmas_f64 v[0:1], v[0:1], v[2:3], v[118:119]
	v_div_fixup_f64 v[0:1], v[0:1], v[114:115], v[112:113]
	v_fmac_f64_e32 v[114:115], v[112:113], v[0:1]
	v_div_scale_f64 v[2:3], s[10:11], v[114:115], v[114:115], 1.0
	v_rcp_f64_e32 v[112:113], v[2:3]
	s_nop 0
	v_fma_f64 v[116:117], -v[2:3], v[112:113], 1.0
	v_fmac_f64_e32 v[112:113], v[112:113], v[116:117]
	v_fma_f64 v[116:117], -v[2:3], v[112:113], 1.0
	v_fmac_f64_e32 v[112:113], v[112:113], v[116:117]
	v_div_scale_f64 v[116:117], vcc, 1.0, v[114:115], 1.0
	v_mul_f64 v[118:119], v[116:117], v[112:113]
	v_fma_f64 v[2:3], -v[2:3], v[118:119], v[116:117]
	s_nop 1
	v_div_fmas_f64 v[2:3], v[2:3], v[112:113], v[118:119]
	v_div_fixup_f64 v[118:119], v[2:3], v[114:115], 1.0
	v_mul_f64 v[116:117], v[0:1], v[118:119]
	v_xor_b32_e32 v119, 0x80000000, v119
                                        ; implicit-def: $vgpr112_vgpr113
.LBB123_363:
	s_andn2_saveexec_b64 s[2:3], s[2:3]
	s_cbranch_execz .LBB123_365
; %bb.364:
	v_div_scale_f64 v[0:1], s[10:11], v[112:113], v[112:113], v[114:115]
	v_rcp_f64_e32 v[2:3], v[0:1]
	v_div_scale_f64 v[116:117], vcc, v[114:115], v[112:113], v[114:115]
	v_fma_f64 v[118:119], -v[0:1], v[2:3], 1.0
	v_fmac_f64_e32 v[2:3], v[2:3], v[118:119]
	v_fma_f64 v[118:119], -v[0:1], v[2:3], 1.0
	v_fmac_f64_e32 v[2:3], v[2:3], v[118:119]
	v_mul_f64 v[118:119], v[116:117], v[2:3]
	v_fma_f64 v[0:1], -v[0:1], v[118:119], v[116:117]
	v_div_fmas_f64 v[0:1], v[0:1], v[2:3], v[118:119]
	v_div_fixup_f64 v[0:1], v[0:1], v[112:113], v[114:115]
	v_fmac_f64_e32 v[112:113], v[114:115], v[0:1]
	v_div_scale_f64 v[2:3], s[10:11], v[112:113], v[112:113], 1.0
	v_rcp_f64_e32 v[114:115], v[2:3]
	s_nop 0
	v_fma_f64 v[116:117], -v[2:3], v[114:115], 1.0
	v_fmac_f64_e32 v[114:115], v[114:115], v[116:117]
	v_fma_f64 v[116:117], -v[2:3], v[114:115], 1.0
	v_fmac_f64_e32 v[114:115], v[114:115], v[116:117]
	v_div_scale_f64 v[116:117], vcc, 1.0, v[112:113], 1.0
	v_mul_f64 v[118:119], v[116:117], v[114:115]
	v_fma_f64 v[2:3], -v[2:3], v[118:119], v[116:117]
	s_nop 1
	v_div_fmas_f64 v[2:3], v[2:3], v[114:115], v[118:119]
	v_div_fixup_f64 v[116:117], v[2:3], v[112:113], 1.0
	v_mul_f64 v[118:119], v[0:1], -v[116:117]
.LBB123_365:
	s_or_b64 exec, exec, s[2:3]
	ds_write2_b64 v249, v[116:117], v[118:119] offset1:1
.LBB123_366:
	s_or_b64 exec, exec, s[4:5]
	s_waitcnt lgkmcnt(0)
	s_barrier
	ds_read2_b64 v[112:115], v249 offset1:1
	v_cmp_lt_u32_e32 vcc, 28, v248
	s_and_saveexec_b64 s[2:3], vcc
	s_cbranch_execz .LBB123_369
; %bb.367:
	scratch_load_dwordx4 v[116:119], off, off offset:448
	s_movk_i32 s4, 0xfdf0
	s_waitcnt vmcnt(0) lgkmcnt(0)
	v_mul_f64 v[0:1], v[114:115], v[118:119]
	v_mul_f64 v[120:121], v[112:113], v[118:119]
	v_fma_f64 v[118:119], v[112:113], v[116:117], -v[0:1]
	v_fmac_f64_e32 v[120:121], v[114:115], v[116:117]
	scratch_store_dwordx4 off, v[118:121], off offset:448
.LBB123_368:                            ; =>This Inner Loop Header: Depth=1
	scratch_load_dwordx4 v[120:123], off, off offset:448
	v_add_u32_e32 v0, 0x1d0, v250
	v_add_u32_e32 v124, s4, v0
	ds_read2_b64 v[116:119], v124 offset0:66 offset1:67
	s_add_i32 s10, s4, 0x3e0
	s_add_i32 s5, s4, 0x400
	s_waitcnt vmcnt(0) lgkmcnt(0)
	v_mul_f64 v[0:1], v[118:119], v[122:123]
	v_mul_f64 v[2:3], v[116:117], v[122:123]
	v_fma_f64 v[0:1], v[116:117], v[120:121], -v[0:1]
	v_fmac_f64_e32 v[2:3], v[118:119], v[120:121]
	scratch_load_dwordx4 v[116:119], off, s10
	s_waitcnt vmcnt(0)
	v_add_f64 v[116:117], v[116:117], -v[0:1]
	v_add_f64 v[118:119], v[118:119], -v[2:3]
	scratch_store_dwordx4 off, v[116:119], s10
	scratch_load_dwordx4 v[120:123], off, off offset:448
	ds_read2_b64 v[116:119], v124 offset0:68 offset1:69
	s_add_i32 s10, s4, 0x3f0
	s_add_i32 s4, s4, 48
	s_cmp_lg_u32 s4, 0
	s_waitcnt vmcnt(0) lgkmcnt(0)
	v_mul_f64 v[0:1], v[118:119], v[122:123]
	v_mul_f64 v[2:3], v[116:117], v[122:123]
	v_fma_f64 v[0:1], v[116:117], v[120:121], -v[0:1]
	v_fmac_f64_e32 v[2:3], v[118:119], v[120:121]
	scratch_load_dwordx4 v[116:119], off, s10
	s_waitcnt vmcnt(0)
	v_add_f64 v[116:117], v[116:117], -v[0:1]
	v_add_f64 v[118:119], v[118:119], -v[2:3]
	scratch_store_dwordx4 off, v[116:119], s10
	scratch_load_dwordx4 v[120:123], off, off offset:448
	ds_read2_b64 v[116:119], v124 offset0:70 offset1:71
	s_waitcnt vmcnt(0) lgkmcnt(0)
	v_mul_f64 v[0:1], v[118:119], v[122:123]
	v_mul_f64 v[2:3], v[116:117], v[122:123]
	v_fma_f64 v[0:1], v[116:117], v[120:121], -v[0:1]
	v_fmac_f64_e32 v[2:3], v[118:119], v[120:121]
	scratch_load_dwordx4 v[116:119], off, s5
	s_waitcnt vmcnt(0)
	v_add_f64 v[116:117], v[116:117], -v[0:1]
	v_add_f64 v[118:119], v[118:119], -v[2:3]
	scratch_store_dwordx4 off, v[116:119], s5
	s_cbranch_scc1 .LBB123_368
.LBB123_369:
	s_or_b64 exec, exec, s[2:3]
	v_cmp_eq_u32_e32 vcc, 29, v248
	s_waitcnt lgkmcnt(0)
	s_barrier
	s_and_saveexec_b64 s[4:5], vcc
	s_cbranch_execz .LBB123_376
; %bb.370:
	scratch_load_dwordx4 v[116:119], off, s44
	s_waitcnt vmcnt(0)
	ds_write2_b64 v249, v[116:117], v[118:119] offset1:1
	scratch_load_dwordx4 v[116:119], off, s43
	s_waitcnt vmcnt(0)
	ds_write2_b64 v250, v[116:117], v[118:119] offset0:60 offset1:61
	scratch_load_dwordx4 v[116:119], off, s40
	s_waitcnt vmcnt(0)
	ds_write2_b64 v250, v[116:117], v[118:119] offset0:62 offset1:63
	;; [unrolled: 3-line block ×32, first 2 shown]
	ds_read2_b64 v[116:119], v249 offset1:1
	s_waitcnt lgkmcnt(0)
	v_cmp_neq_f64_e32 vcc, 0, v[116:117]
	v_cmp_neq_f64_e64 s[2:3], 0, v[118:119]
	s_or_b64 s[2:3], vcc, s[2:3]
	s_and_b64 exec, exec, s[2:3]
	s_cbranch_execz .LBB123_376
; %bb.371:
	v_cmp_ngt_f64_e64 s[2:3], |v[116:117]|, |v[118:119]|
                                        ; implicit-def: $vgpr120_vgpr121
	s_and_saveexec_b64 s[10:11], s[2:3]
	s_xor_b64 s[2:3], exec, s[10:11]
                                        ; implicit-def: $vgpr122_vgpr123
	s_cbranch_execz .LBB123_373
; %bb.372:
	v_div_scale_f64 v[0:1], s[10:11], v[118:119], v[118:119], v[116:117]
	v_rcp_f64_e32 v[2:3], v[0:1]
	v_div_scale_f64 v[120:121], vcc, v[116:117], v[118:119], v[116:117]
	v_fma_f64 v[122:123], -v[0:1], v[2:3], 1.0
	v_fmac_f64_e32 v[2:3], v[2:3], v[122:123]
	v_fma_f64 v[122:123], -v[0:1], v[2:3], 1.0
	v_fmac_f64_e32 v[2:3], v[2:3], v[122:123]
	v_mul_f64 v[122:123], v[120:121], v[2:3]
	v_fma_f64 v[0:1], -v[0:1], v[122:123], v[120:121]
	v_div_fmas_f64 v[0:1], v[0:1], v[2:3], v[122:123]
	v_div_fixup_f64 v[0:1], v[0:1], v[118:119], v[116:117]
	v_fmac_f64_e32 v[118:119], v[116:117], v[0:1]
	v_div_scale_f64 v[2:3], s[10:11], v[118:119], v[118:119], 1.0
	v_rcp_f64_e32 v[116:117], v[2:3]
	s_nop 0
	v_fma_f64 v[120:121], -v[2:3], v[116:117], 1.0
	v_fmac_f64_e32 v[116:117], v[116:117], v[120:121]
	v_fma_f64 v[120:121], -v[2:3], v[116:117], 1.0
	v_fmac_f64_e32 v[116:117], v[116:117], v[120:121]
	v_div_scale_f64 v[120:121], vcc, 1.0, v[118:119], 1.0
	v_mul_f64 v[122:123], v[120:121], v[116:117]
	v_fma_f64 v[2:3], -v[2:3], v[122:123], v[120:121]
	s_nop 1
	v_div_fmas_f64 v[2:3], v[2:3], v[116:117], v[122:123]
	v_div_fixup_f64 v[122:123], v[2:3], v[118:119], 1.0
	v_mul_f64 v[120:121], v[0:1], v[122:123]
	v_xor_b32_e32 v123, 0x80000000, v123
                                        ; implicit-def: $vgpr116_vgpr117
.LBB123_373:
	s_andn2_saveexec_b64 s[2:3], s[2:3]
	s_cbranch_execz .LBB123_375
; %bb.374:
	v_div_scale_f64 v[0:1], s[10:11], v[116:117], v[116:117], v[118:119]
	v_rcp_f64_e32 v[2:3], v[0:1]
	v_div_scale_f64 v[120:121], vcc, v[118:119], v[116:117], v[118:119]
	v_fma_f64 v[122:123], -v[0:1], v[2:3], 1.0
	v_fmac_f64_e32 v[2:3], v[2:3], v[122:123]
	v_fma_f64 v[122:123], -v[0:1], v[2:3], 1.0
	v_fmac_f64_e32 v[2:3], v[2:3], v[122:123]
	v_mul_f64 v[122:123], v[120:121], v[2:3]
	v_fma_f64 v[0:1], -v[0:1], v[122:123], v[120:121]
	v_div_fmas_f64 v[0:1], v[0:1], v[2:3], v[122:123]
	v_div_fixup_f64 v[0:1], v[0:1], v[116:117], v[118:119]
	v_fmac_f64_e32 v[116:117], v[118:119], v[0:1]
	v_div_scale_f64 v[2:3], s[10:11], v[116:117], v[116:117], 1.0
	v_rcp_f64_e32 v[118:119], v[2:3]
	s_nop 0
	v_fma_f64 v[120:121], -v[2:3], v[118:119], 1.0
	v_fmac_f64_e32 v[118:119], v[118:119], v[120:121]
	v_fma_f64 v[120:121], -v[2:3], v[118:119], 1.0
	v_fmac_f64_e32 v[118:119], v[118:119], v[120:121]
	v_div_scale_f64 v[120:121], vcc, 1.0, v[116:117], 1.0
	v_mul_f64 v[122:123], v[120:121], v[118:119]
	v_fma_f64 v[2:3], -v[2:3], v[122:123], v[120:121]
	s_nop 1
	v_div_fmas_f64 v[2:3], v[2:3], v[118:119], v[122:123]
	v_div_fixup_f64 v[120:121], v[2:3], v[116:117], 1.0
	v_mul_f64 v[122:123], v[0:1], -v[120:121]
.LBB123_375:
	s_or_b64 exec, exec, s[2:3]
	ds_write2_b64 v249, v[120:121], v[122:123] offset1:1
.LBB123_376:
	s_or_b64 exec, exec, s[4:5]
	s_waitcnt lgkmcnt(0)
	s_barrier
	ds_read2_b64 v[116:119], v249 offset1:1
	v_cmp_lt_u32_e32 vcc, 29, v248
	s_and_saveexec_b64 s[2:3], vcc
	s_cbranch_execz .LBB123_378
; %bb.377:
	scratch_load_dwordx4 v[120:123], off, off offset:464
	s_waitcnt vmcnt(0) lgkmcnt(0)
	v_mul_f64 v[0:1], v[118:119], v[122:123]
	v_mul_f64 v[126:127], v[116:117], v[122:123]
	v_fma_f64 v[124:125], v[116:117], v[120:121], -v[0:1]
	v_fmac_f64_e32 v[126:127], v[118:119], v[120:121]
	ds_read2_b64 v[120:123], v250 offset0:60 offset1:61
	scratch_store_dwordx4 off, v[124:127], off offset:464
	s_waitcnt lgkmcnt(0)
	v_mul_f64 v[0:1], v[122:123], v[126:127]
	v_mul_f64 v[2:3], v[120:121], v[126:127]
	v_fma_f64 v[0:1], v[120:121], v[124:125], -v[0:1]
	v_fmac_f64_e32 v[2:3], v[122:123], v[124:125]
	scratch_load_dwordx4 v[120:123], off, off offset:480
	s_waitcnt vmcnt(0)
	v_add_f64 v[120:121], v[120:121], -v[0:1]
	v_add_f64 v[122:123], v[122:123], -v[2:3]
	scratch_store_dwordx4 off, v[120:123], off offset:480
	ds_read2_b64 v[120:123], v250 offset0:62 offset1:63
	s_waitcnt lgkmcnt(0)
	v_mul_f64 v[0:1], v[122:123], v[126:127]
	v_mul_f64 v[2:3], v[120:121], v[126:127]
	v_fma_f64 v[0:1], v[120:121], v[124:125], -v[0:1]
	v_fmac_f64_e32 v[2:3], v[122:123], v[124:125]
	scratch_load_dwordx4 v[120:123], off, off offset:496
	s_waitcnt vmcnt(0)
	v_add_f64 v[120:121], v[120:121], -v[0:1]
	v_add_f64 v[122:123], v[122:123], -v[2:3]
	scratch_store_dwordx4 off, v[120:123], off offset:496
	ds_read2_b64 v[120:123], v250 offset0:64 offset1:65
	;; [unrolled: 11-line block ×5, first 2 shown]
	s_waitcnt lgkmcnt(0)
	v_mul_f64 v[0:1], v[122:123], v[126:127]
	v_mul_f64 v[2:3], v[120:121], v[126:127]
	v_fma_f64 v[0:1], v[120:121], v[124:125], -v[0:1]
	v_fmac_f64_e32 v[2:3], v[122:123], v[124:125]
	scratch_load_dwordx4 v[120:123], off, off offset:560
	ds_read2_b64 v[124:127], v250 offset0:72 offset1:73
	s_waitcnt vmcnt(0)
	v_add_f64 v[120:121], v[120:121], -v[0:1]
	v_add_f64 v[122:123], v[122:123], -v[2:3]
	scratch_store_dwordx4 off, v[120:123], off offset:560
	scratch_load_dwordx2 v[0:1], off, off offset:464
	s_nop 0
	scratch_load_dwordx4 v[120:123], off, off offset:464
	s_waitcnt vmcnt(0) lgkmcnt(0)
	v_mul_f64 v[2:3], v[126:127], v[122:123]
	v_mul_f64 v[128:129], v[124:125], v[122:123]
	v_fma_f64 v[2:3], v[124:125], v[0:1], -v[2:3]
	v_fmac_f64_e32 v[128:129], v[126:127], v[0:1]
	scratch_load_dwordx4 v[124:127], off, off offset:576
	s_waitcnt vmcnt(0)
	v_add_f64 v[124:125], v[124:125], -v[2:3]
	v_add_f64 v[126:127], v[126:127], -v[128:129]
	scratch_store_dwordx4 off, v[124:127], off offset:576
	ds_read2_b64 v[124:127], v250 offset0:74 offset1:75
	s_waitcnt lgkmcnt(0)
	v_mul_f64 v[2:3], v[126:127], v[122:123]
	v_mul_f64 v[128:129], v[124:125], v[122:123]
	v_fma_f64 v[2:3], v[124:125], v[0:1], -v[2:3]
	v_fmac_f64_e32 v[128:129], v[126:127], v[0:1]
	scratch_load_dwordx4 v[124:127], off, off offset:592
	s_waitcnt vmcnt(0)
	v_add_f64 v[124:125], v[124:125], -v[2:3]
	v_add_f64 v[126:127], v[126:127], -v[128:129]
	scratch_store_dwordx4 off, v[124:127], off offset:592
	ds_read2_b64 v[124:127], v250 offset0:76 offset1:77
	s_waitcnt lgkmcnt(0)
	;; [unrolled: 11-line block ×5, first 2 shown]
	v_mul_f64 v[2:3], v[126:127], v[122:123]
	v_fma_f64 v[2:3], v[124:125], v[0:1], -v[2:3]
	v_mul_f64 v[128:129], v[124:125], v[122:123]
	scratch_load_dwordx4 v[122:125], off, off offset:656
	v_fmac_f64_e32 v[128:129], v[126:127], v[0:1]
	s_waitcnt vmcnt(0)
	v_add_f64 v[122:123], v[122:123], -v[2:3]
	v_add_f64 v[124:125], v[124:125], -v[128:129]
	scratch_store_dwordx4 off, v[122:125], off offset:656
	ds_read2_b64 v[124:127], v250 offset0:84 offset1:85
	scratch_load_dwordx2 v[122:123], off, off offset:464
	scratch_load_dwordx2 v[0:1], off, off offset:472
	s_waitcnt vmcnt(0) lgkmcnt(0)
	v_mul_f64 v[2:3], v[126:127], v[0:1]
	v_mul_f64 v[128:129], v[124:125], v[0:1]
	v_fma_f64 v[2:3], v[124:125], v[122:123], -v[2:3]
	v_fmac_f64_e32 v[128:129], v[126:127], v[122:123]
	scratch_load_dwordx4 v[124:127], off, off offset:672
	s_waitcnt vmcnt(0)
	v_add_f64 v[124:125], v[124:125], -v[2:3]
	v_add_f64 v[126:127], v[126:127], -v[128:129]
	scratch_store_dwordx4 off, v[124:127], off offset:672
	ds_read2_b64 v[124:127], v250 offset0:86 offset1:87
	s_waitcnt lgkmcnt(0)
	v_mul_f64 v[2:3], v[126:127], v[0:1]
	v_mul_f64 v[128:129], v[124:125], v[0:1]
	v_fma_f64 v[2:3], v[124:125], v[122:123], -v[2:3]
	v_fmac_f64_e32 v[128:129], v[126:127], v[122:123]
	scratch_load_dwordx4 v[124:127], off, off offset:688
	s_waitcnt vmcnt(0)
	v_add_f64 v[124:125], v[124:125], -v[2:3]
	v_add_f64 v[126:127], v[126:127], -v[128:129]
	scratch_store_dwordx4 off, v[124:127], off offset:688
	ds_read2_b64 v[124:127], v250 offset0:88 offset1:89
	s_waitcnt lgkmcnt(0)
	;; [unrolled: 11-line block ×5, first 2 shown]
	v_mul_f64 v[2:3], v[126:127], v[0:1]
	v_mul_f64 v[0:1], v[124:125], v[0:1]
	v_fma_f64 v[2:3], v[124:125], v[122:123], -v[2:3]
	v_fmac_f64_e32 v[0:1], v[126:127], v[122:123]
	scratch_load_dwordx4 v[122:125], off, off offset:752
	s_waitcnt vmcnt(0)
	v_add_f64 v[122:123], v[122:123], -v[2:3]
	v_add_f64 v[124:125], v[124:125], -v[0:1]
	scratch_store_dwordx4 off, v[122:125], off offset:752
	ds_read2_b64 v[122:125], v250 offset0:96 offset1:97
	scratch_load_dwordx2 v[0:1], off, off offset:464
	scratch_load_dwordx2 v[2:3], off, off offset:472
	s_waitcnt vmcnt(0) lgkmcnt(0)
	v_mul_f64 v[126:127], v[124:125], v[2:3]
	v_mul_f64 v[128:129], v[122:123], v[2:3]
	v_fma_f64 v[126:127], v[122:123], v[0:1], -v[126:127]
	v_fmac_f64_e32 v[128:129], v[124:125], v[0:1]
	scratch_load_dwordx4 v[122:125], off, off offset:768
	s_waitcnt vmcnt(0)
	v_add_f64 v[122:123], v[122:123], -v[126:127]
	v_add_f64 v[124:125], v[124:125], -v[128:129]
	scratch_store_dwordx4 off, v[122:125], off offset:768
	ds_read2_b64 v[122:125], v250 offset0:98 offset1:99
	s_waitcnt lgkmcnt(0)
	v_mul_f64 v[126:127], v[124:125], v[2:3]
	v_mul_f64 v[128:129], v[122:123], v[2:3]
	v_fma_f64 v[126:127], v[122:123], v[0:1], -v[126:127]
	v_fmac_f64_e32 v[128:129], v[124:125], v[0:1]
	scratch_load_dwordx4 v[122:125], off, off offset:784
	s_waitcnt vmcnt(0)
	v_add_f64 v[122:123], v[122:123], -v[126:127]
	v_add_f64 v[124:125], v[124:125], -v[128:129]
	scratch_store_dwordx4 off, v[122:125], off offset:784
	ds_read2_b64 v[122:125], v250 offset0:100 offset1:101
	s_waitcnt lgkmcnt(0)
	;; [unrolled: 11-line block ×5, first 2 shown]
	v_mul_f64 v[126:127], v[124:125], v[2:3]
	v_mul_f64 v[2:3], v[122:123], v[2:3]
	v_fma_f64 v[126:127], v[122:123], v[0:1], -v[126:127]
	v_fmac_f64_e32 v[2:3], v[124:125], v[0:1]
	scratch_load_dwordx4 v[122:125], off, off offset:848
	s_waitcnt vmcnt(0)
	v_add_f64 v[122:123], v[122:123], -v[126:127]
	v_add_f64 v[124:125], v[124:125], -v[2:3]
	scratch_store_dwordx4 off, v[122:125], off offset:848
	ds_read2_b64 v[126:129], v250 offset0:108 offset1:109
	scratch_load_dwordx2 v[122:123], off, off offset:464
	scratch_load_dwordx2 v[124:125], off, off offset:472
	s_waitcnt vmcnt(0) lgkmcnt(0)
	v_mul_f64 v[0:1], v[128:129], v[124:125]
	v_mul_f64 v[2:3], v[126:127], v[124:125]
	v_fma_f64 v[0:1], v[126:127], v[122:123], -v[0:1]
	v_fmac_f64_e32 v[2:3], v[128:129], v[122:123]
	scratch_load_dwordx4 v[126:129], off, off offset:864
	s_waitcnt vmcnt(0)
	v_add_f64 v[126:127], v[126:127], -v[0:1]
	v_add_f64 v[128:129], v[128:129], -v[2:3]
	scratch_store_dwordx4 off, v[126:129], off offset:864
	ds_read2_b64 v[128:131], v250 offset0:110 offset1:111
	s_waitcnt lgkmcnt(0)
	v_mul_f64 v[0:1], v[130:131], v[124:125]
	v_fma_f64 v[126:127], v[128:129], v[122:123], -v[0:1]
	v_mul_f64 v[128:129], v[128:129], v[124:125]
	v_fmac_f64_e32 v[128:129], v[130:131], v[122:123]
	scratch_load_dwordx4 v[130:133], off, off offset:880
	s_waitcnt vmcnt(0)
	v_add_f64 v[126:127], v[130:131], -v[126:127]
	v_add_f64 v[128:129], v[132:133], -v[128:129]
	scratch_store_dwordx4 off, v[126:129], off offset:880
	ds_read2_b64 v[126:129], v250 offset0:112 offset1:113
	s_waitcnt lgkmcnt(0)
	v_mul_f64 v[0:1], v[128:129], v[124:125]
	v_mul_f64 v[2:3], v[126:127], v[124:125]
	v_fma_f64 v[0:1], v[126:127], v[122:123], -v[0:1]
	v_fmac_f64_e32 v[2:3], v[128:129], v[122:123]
	scratch_load_dwordx4 v[126:129], off, off offset:896
	s_waitcnt vmcnt(0)
	v_add_f64 v[126:127], v[126:127], -v[0:1]
	v_add_f64 v[128:129], v[128:129], -v[2:3]
	scratch_store_dwordx4 off, v[126:129], off offset:896
	ds_read2_b64 v[126:129], v250 offset0:114 offset1:115
	s_waitcnt lgkmcnt(0)
	v_mul_f64 v[0:1], v[128:129], v[124:125]
	v_mul_f64 v[2:3], v[126:127], v[124:125]
	v_fma_f64 v[0:1], v[126:127], v[122:123], -v[0:1]
	v_fmac_f64_e32 v[2:3], v[128:129], v[122:123]
	scratch_load_dwordx4 v[126:129], off, off offset:912
	s_waitcnt vmcnt(0)
	v_add_f64 v[126:127], v[126:127], -v[0:1]
	v_add_f64 v[128:129], v[128:129], -v[2:3]
	scratch_store_dwordx4 off, v[126:129], off offset:912
	ds_read2_b64 v[126:129], v250 offset0:116 offset1:117
	s_waitcnt lgkmcnt(0)
	v_mul_f64 v[0:1], v[128:129], v[124:125]
	v_mul_f64 v[2:3], v[126:127], v[124:125]
	v_fma_f64 v[0:1], v[126:127], v[122:123], -v[0:1]
	v_fmac_f64_e32 v[2:3], v[128:129], v[122:123]
	scratch_load_dwordx4 v[126:129], off, off offset:928
	s_waitcnt vmcnt(0)
	v_add_f64 v[126:127], v[126:127], -v[0:1]
	v_add_f64 v[128:129], v[128:129], -v[2:3]
	scratch_store_dwordx4 off, v[126:129], off offset:928
	ds_read2_b64 v[126:129], v250 offset0:118 offset1:119
	s_waitcnt lgkmcnt(0)
	v_mul_f64 v[0:1], v[128:129], v[124:125]
	v_mul_f64 v[2:3], v[126:127], v[124:125]
	v_fma_f64 v[0:1], v[126:127], v[122:123], -v[0:1]
	v_fmac_f64_e32 v[2:3], v[128:129], v[122:123]
	scratch_load_dwordx4 v[122:125], off, off offset:944
	s_waitcnt vmcnt(0)
	v_add_f64 v[122:123], v[122:123], -v[0:1]
	scratch_load_dwordx2 v[0:1], off, off offset:472
	v_add_f64 v[124:125], v[124:125], -v[2:3]
	scratch_store_dwordx4 off, v[122:125], off offset:944
	ds_read2_b64 v[122:125], v250 offset0:120 offset1:121
	s_waitcnt vmcnt(1) lgkmcnt(0)
	v_mul_f64 v[2:3], v[124:125], v[0:1]
	v_mul_f64 v[126:127], v[122:123], v[0:1]
	v_fma_f64 v[2:3], v[122:123], v[120:121], -v[2:3]
	v_fmac_f64_e32 v[126:127], v[124:125], v[120:121]
	scratch_load_dwordx4 v[122:125], off, off offset:960
	s_waitcnt vmcnt(0)
	v_add_f64 v[122:123], v[122:123], -v[2:3]
	v_add_f64 v[124:125], v[124:125], -v[126:127]
	scratch_store_dwordx4 off, v[122:125], off offset:960
	ds_read2_b64 v[124:127], v250 offset0:122 offset1:123
	s_waitcnt lgkmcnt(0)
	v_mul_f64 v[2:3], v[126:127], v[0:1]
	v_fma_f64 v[122:123], v[124:125], v[120:121], -v[2:3]
	v_mul_f64 v[124:125], v[124:125], v[0:1]
	v_fmac_f64_e32 v[124:125], v[126:127], v[120:121]
	scratch_load_dwordx4 v[126:129], off, off offset:976
	s_waitcnt vmcnt(0)
	v_add_f64 v[120:121], v[126:127], -v[122:123]
	v_add_f64 v[122:123], v[128:129], -v[124:125]
	scratch_store_dwordx4 off, v[120:123], off offset:976
.LBB123_378:
	s_or_b64 exec, exec, s[2:3]
	v_cmp_eq_u32_e32 vcc, 30, v248
	s_waitcnt lgkmcnt(0)
	s_barrier
	s_and_saveexec_b64 s[4:5], vcc
	s_cbranch_execz .LBB123_385
; %bb.379:
	scratch_load_dwordx4 v[120:123], off, s43
	s_waitcnt vmcnt(0)
	ds_write2_b64 v249, v[120:121], v[122:123] offset1:1
	scratch_load_dwordx4 v[120:123], off, s40
	s_waitcnt vmcnt(0)
	ds_write2_b64 v250, v[120:121], v[122:123] offset0:62 offset1:63
	scratch_load_dwordx4 v[120:123], off, s41
	s_waitcnt vmcnt(0)
	ds_write2_b64 v250, v[120:121], v[122:123] offset0:64 offset1:65
	scratch_load_dwordx4 v[120:123], off, s38
	s_waitcnt vmcnt(0)
	ds_write2_b64 v250, v[120:121], v[122:123] offset0:66 offset1:67
	scratch_load_dwordx4 v[120:123], off, s39
	s_waitcnt vmcnt(0)
	ds_write2_b64 v250, v[120:121], v[122:123] offset0:68 offset1:69
	scratch_load_dwordx4 v[120:123], off, s36
	s_waitcnt vmcnt(0)
	ds_write2_b64 v250, v[120:121], v[122:123] offset0:70 offset1:71
	scratch_load_dwordx4 v[120:123], off, s37
	s_waitcnt vmcnt(0)
	ds_write2_b64 v250, v[120:121], v[122:123] offset0:72 offset1:73
	scratch_load_dwordx4 v[120:123], off, s34
	s_waitcnt vmcnt(0)
	ds_write2_b64 v250, v[120:121], v[122:123] offset0:74 offset1:75
	scratch_load_dwordx4 v[120:123], off, s35
	s_waitcnt vmcnt(0)
	ds_write2_b64 v250, v[120:121], v[122:123] offset0:76 offset1:77
	scratch_load_dwordx4 v[120:123], off, s31
	s_waitcnt vmcnt(0)
	ds_write2_b64 v250, v[120:121], v[122:123] offset0:78 offset1:79
	scratch_load_dwordx4 v[120:123], off, s33
	s_waitcnt vmcnt(0)
	ds_write2_b64 v250, v[120:121], v[122:123] offset0:80 offset1:81
	scratch_load_dwordx4 v[120:123], off, s29
	s_waitcnt vmcnt(0)
	ds_write2_b64 v250, v[120:121], v[122:123] offset0:82 offset1:83
	scratch_load_dwordx4 v[120:123], off, s30
	s_waitcnt vmcnt(0)
	ds_write2_b64 v250, v[120:121], v[122:123] offset0:84 offset1:85
	scratch_load_dwordx4 v[120:123], off, s27
	s_waitcnt vmcnt(0)
	ds_write2_b64 v250, v[120:121], v[122:123] offset0:86 offset1:87
	scratch_load_dwordx4 v[120:123], off, s28
	s_waitcnt vmcnt(0)
	ds_write2_b64 v250, v[120:121], v[122:123] offset0:88 offset1:89
	scratch_load_dwordx4 v[120:123], off, s25
	s_waitcnt vmcnt(0)
	ds_write2_b64 v250, v[120:121], v[122:123] offset0:90 offset1:91
	scratch_load_dwordx4 v[120:123], off, s26
	s_waitcnt vmcnt(0)
	ds_write2_b64 v250, v[120:121], v[122:123] offset0:92 offset1:93
	scratch_load_dwordx4 v[120:123], off, s23
	s_waitcnt vmcnt(0)
	ds_write2_b64 v250, v[120:121], v[122:123] offset0:94 offset1:95
	scratch_load_dwordx4 v[120:123], off, s24
	s_waitcnt vmcnt(0)
	ds_write2_b64 v250, v[120:121], v[122:123] offset0:96 offset1:97
	scratch_load_dwordx4 v[120:123], off, s21
	s_waitcnt vmcnt(0)
	ds_write2_b64 v250, v[120:121], v[122:123] offset0:98 offset1:99
	scratch_load_dwordx4 v[120:123], off, s22
	s_waitcnt vmcnt(0)
	ds_write2_b64 v250, v[120:121], v[122:123] offset0:100 offset1:101
	scratch_load_dwordx4 v[120:123], off, s19
	s_waitcnt vmcnt(0)
	ds_write2_b64 v250, v[120:121], v[122:123] offset0:102 offset1:103
	scratch_load_dwordx4 v[120:123], off, s20
	s_waitcnt vmcnt(0)
	ds_write2_b64 v250, v[120:121], v[122:123] offset0:104 offset1:105
	scratch_load_dwordx4 v[120:123], off, s17
	s_waitcnt vmcnt(0)
	ds_write2_b64 v250, v[120:121], v[122:123] offset0:106 offset1:107
	scratch_load_dwordx4 v[120:123], off, s18
	s_waitcnt vmcnt(0)
	ds_write2_b64 v250, v[120:121], v[122:123] offset0:108 offset1:109
	scratch_load_dwordx4 v[120:123], off, s15
	s_waitcnt vmcnt(0)
	ds_write2_b64 v250, v[120:121], v[122:123] offset0:110 offset1:111
	scratch_load_dwordx4 v[120:123], off, s16
	s_waitcnt vmcnt(0)
	ds_write2_b64 v250, v[120:121], v[122:123] offset0:112 offset1:113
	scratch_load_dwordx4 v[120:123], off, s13
	s_waitcnt vmcnt(0)
	ds_write2_b64 v250, v[120:121], v[122:123] offset0:114 offset1:115
	scratch_load_dwordx4 v[120:123], off, s14
	s_waitcnt vmcnt(0)
	ds_write2_b64 v250, v[120:121], v[122:123] offset0:116 offset1:117
	scratch_load_dwordx4 v[120:123], off, s8
	s_waitcnt vmcnt(0)
	ds_write2_b64 v250, v[120:121], v[122:123] offset0:118 offset1:119
	scratch_load_dwordx4 v[120:123], off, s12
	s_waitcnt vmcnt(0)
	ds_write2_b64 v250, v[120:121], v[122:123] offset0:120 offset1:121
	scratch_load_dwordx4 v[120:123], off, s42
	s_waitcnt vmcnt(0)
	ds_write2_b64 v250, v[120:121], v[122:123] offset0:122 offset1:123
	ds_read2_b64 v[120:123], v249 offset1:1
	s_waitcnt lgkmcnt(0)
	v_cmp_neq_f64_e32 vcc, 0, v[120:121]
	v_cmp_neq_f64_e64 s[2:3], 0, v[122:123]
	s_or_b64 s[2:3], vcc, s[2:3]
	s_and_b64 exec, exec, s[2:3]
	s_cbranch_execz .LBB123_385
; %bb.380:
	v_cmp_ngt_f64_e64 s[2:3], |v[120:121]|, |v[122:123]|
                                        ; implicit-def: $vgpr124_vgpr125
	s_and_saveexec_b64 s[10:11], s[2:3]
	s_xor_b64 s[2:3], exec, s[10:11]
                                        ; implicit-def: $vgpr126_vgpr127
	s_cbranch_execz .LBB123_382
; %bb.381:
	v_div_scale_f64 v[0:1], s[10:11], v[122:123], v[122:123], v[120:121]
	v_rcp_f64_e32 v[2:3], v[0:1]
	v_div_scale_f64 v[124:125], vcc, v[120:121], v[122:123], v[120:121]
	v_fma_f64 v[126:127], -v[0:1], v[2:3], 1.0
	v_fmac_f64_e32 v[2:3], v[2:3], v[126:127]
	v_fma_f64 v[126:127], -v[0:1], v[2:3], 1.0
	v_fmac_f64_e32 v[2:3], v[2:3], v[126:127]
	v_mul_f64 v[126:127], v[124:125], v[2:3]
	v_fma_f64 v[0:1], -v[0:1], v[126:127], v[124:125]
	v_div_fmas_f64 v[0:1], v[0:1], v[2:3], v[126:127]
	v_div_fixup_f64 v[0:1], v[0:1], v[122:123], v[120:121]
	v_fmac_f64_e32 v[122:123], v[120:121], v[0:1]
	v_div_scale_f64 v[2:3], s[10:11], v[122:123], v[122:123], 1.0
	v_rcp_f64_e32 v[120:121], v[2:3]
	s_nop 0
	v_fma_f64 v[124:125], -v[2:3], v[120:121], 1.0
	v_fmac_f64_e32 v[120:121], v[120:121], v[124:125]
	v_fma_f64 v[124:125], -v[2:3], v[120:121], 1.0
	v_fmac_f64_e32 v[120:121], v[120:121], v[124:125]
	v_div_scale_f64 v[124:125], vcc, 1.0, v[122:123], 1.0
	v_mul_f64 v[126:127], v[124:125], v[120:121]
	v_fma_f64 v[2:3], -v[2:3], v[126:127], v[124:125]
	s_nop 1
	v_div_fmas_f64 v[2:3], v[2:3], v[120:121], v[126:127]
	v_div_fixup_f64 v[126:127], v[2:3], v[122:123], 1.0
	v_mul_f64 v[124:125], v[0:1], v[126:127]
	v_xor_b32_e32 v127, 0x80000000, v127
                                        ; implicit-def: $vgpr120_vgpr121
.LBB123_382:
	s_andn2_saveexec_b64 s[2:3], s[2:3]
	s_cbranch_execz .LBB123_384
; %bb.383:
	v_div_scale_f64 v[0:1], s[10:11], v[120:121], v[120:121], v[122:123]
	v_rcp_f64_e32 v[2:3], v[0:1]
	v_div_scale_f64 v[124:125], vcc, v[122:123], v[120:121], v[122:123]
	v_fma_f64 v[126:127], -v[0:1], v[2:3], 1.0
	v_fmac_f64_e32 v[2:3], v[2:3], v[126:127]
	v_fma_f64 v[126:127], -v[0:1], v[2:3], 1.0
	v_fmac_f64_e32 v[2:3], v[2:3], v[126:127]
	v_mul_f64 v[126:127], v[124:125], v[2:3]
	v_fma_f64 v[0:1], -v[0:1], v[126:127], v[124:125]
	v_div_fmas_f64 v[0:1], v[0:1], v[2:3], v[126:127]
	v_div_fixup_f64 v[0:1], v[0:1], v[120:121], v[122:123]
	v_fmac_f64_e32 v[120:121], v[122:123], v[0:1]
	v_div_scale_f64 v[2:3], s[10:11], v[120:121], v[120:121], 1.0
	v_rcp_f64_e32 v[122:123], v[2:3]
	s_nop 0
	v_fma_f64 v[124:125], -v[2:3], v[122:123], 1.0
	v_fmac_f64_e32 v[122:123], v[122:123], v[124:125]
	v_fma_f64 v[124:125], -v[2:3], v[122:123], 1.0
	v_fmac_f64_e32 v[122:123], v[122:123], v[124:125]
	v_div_scale_f64 v[124:125], vcc, 1.0, v[120:121], 1.0
	v_mul_f64 v[126:127], v[124:125], v[122:123]
	v_fma_f64 v[2:3], -v[2:3], v[126:127], v[124:125]
	s_nop 1
	v_div_fmas_f64 v[2:3], v[2:3], v[122:123], v[126:127]
	v_div_fixup_f64 v[124:125], v[2:3], v[120:121], 1.0
	v_mul_f64 v[126:127], v[0:1], -v[124:125]
.LBB123_384:
	s_or_b64 exec, exec, s[2:3]
	ds_write2_b64 v249, v[124:125], v[126:127] offset1:1
.LBB123_385:
	s_or_b64 exec, exec, s[4:5]
	s_waitcnt lgkmcnt(0)
	s_barrier
	ds_read2_b64 v[120:123], v249 offset1:1
	v_cmp_lt_u32_e32 vcc, 30, v248
	s_and_saveexec_b64 s[2:3], vcc
	s_cbranch_execz .LBB123_387
; %bb.386:
	scratch_load_dwordx4 v[124:127], off, off offset:480
	s_waitcnt vmcnt(0) lgkmcnt(0)
	v_mul_f64 v[0:1], v[122:123], v[126:127]
	v_mul_f64 v[130:131], v[120:121], v[126:127]
	v_fma_f64 v[128:129], v[120:121], v[124:125], -v[0:1]
	v_fmac_f64_e32 v[130:131], v[122:123], v[124:125]
	ds_read2_b64 v[124:127], v250 offset0:62 offset1:63
	scratch_store_dwordx4 off, v[128:131], off offset:480
	s_waitcnt lgkmcnt(0)
	v_mul_f64 v[0:1], v[126:127], v[130:131]
	v_mul_f64 v[2:3], v[124:125], v[130:131]
	v_fma_f64 v[0:1], v[124:125], v[128:129], -v[0:1]
	v_fmac_f64_e32 v[2:3], v[126:127], v[128:129]
	scratch_load_dwordx4 v[124:127], off, off offset:496
	s_waitcnt vmcnt(0)
	v_add_f64 v[124:125], v[124:125], -v[0:1]
	v_add_f64 v[126:127], v[126:127], -v[2:3]
	scratch_store_dwordx4 off, v[124:127], off offset:496
	ds_read2_b64 v[124:127], v250 offset0:64 offset1:65
	s_waitcnt lgkmcnt(0)
	v_mul_f64 v[0:1], v[126:127], v[130:131]
	v_mul_f64 v[2:3], v[124:125], v[130:131]
	v_fma_f64 v[0:1], v[124:125], v[128:129], -v[0:1]
	v_fmac_f64_e32 v[2:3], v[126:127], v[128:129]
	scratch_load_dwordx4 v[124:127], off, off offset:512
	s_waitcnt vmcnt(0)
	v_add_f64 v[124:125], v[124:125], -v[0:1]
	v_add_f64 v[126:127], v[126:127], -v[2:3]
	scratch_store_dwordx4 off, v[124:127], off offset:512
	ds_read2_b64 v[124:127], v250 offset0:66 offset1:67
	;; [unrolled: 11-line block ×5, first 2 shown]
	s_waitcnt lgkmcnt(0)
	v_mul_f64 v[0:1], v[126:127], v[130:131]
	v_mul_f64 v[2:3], v[124:125], v[130:131]
	v_fma_f64 v[0:1], v[124:125], v[128:129], -v[0:1]
	v_fmac_f64_e32 v[2:3], v[126:127], v[128:129]
	scratch_load_dwordx4 v[124:127], off, off offset:576
	ds_read2_b64 v[128:131], v250 offset0:74 offset1:75
	s_waitcnt vmcnt(0)
	v_add_f64 v[124:125], v[124:125], -v[0:1]
	v_add_f64 v[126:127], v[126:127], -v[2:3]
	scratch_store_dwordx4 off, v[124:127], off offset:576
	scratch_load_dwordx2 v[0:1], off, off offset:480
	s_nop 0
	scratch_load_dwordx4 v[124:127], off, off offset:480
	s_waitcnt vmcnt(0) lgkmcnt(0)
	v_mul_f64 v[2:3], v[130:131], v[126:127]
	v_mul_f64 v[132:133], v[128:129], v[126:127]
	v_fma_f64 v[2:3], v[128:129], v[0:1], -v[2:3]
	v_fmac_f64_e32 v[132:133], v[130:131], v[0:1]
	scratch_load_dwordx4 v[128:131], off, off offset:592
	s_waitcnt vmcnt(0)
	v_add_f64 v[128:129], v[128:129], -v[2:3]
	v_add_f64 v[130:131], v[130:131], -v[132:133]
	scratch_store_dwordx4 off, v[128:131], off offset:592
	ds_read2_b64 v[128:131], v250 offset0:76 offset1:77
	s_waitcnt lgkmcnt(0)
	v_mul_f64 v[2:3], v[130:131], v[126:127]
	v_mul_f64 v[132:133], v[128:129], v[126:127]
	v_fma_f64 v[2:3], v[128:129], v[0:1], -v[2:3]
	v_fmac_f64_e32 v[132:133], v[130:131], v[0:1]
	scratch_load_dwordx4 v[128:131], off, off offset:608
	s_waitcnt vmcnt(0)
	v_add_f64 v[128:129], v[128:129], -v[2:3]
	v_add_f64 v[130:131], v[130:131], -v[132:133]
	scratch_store_dwordx4 off, v[128:131], off offset:608
	ds_read2_b64 v[128:131], v250 offset0:78 offset1:79
	s_waitcnt lgkmcnt(0)
	;; [unrolled: 11-line block ×5, first 2 shown]
	v_mul_f64 v[2:3], v[130:131], v[126:127]
	v_fma_f64 v[2:3], v[128:129], v[0:1], -v[2:3]
	v_mul_f64 v[132:133], v[128:129], v[126:127]
	scratch_load_dwordx4 v[126:129], off, off offset:672
	v_fmac_f64_e32 v[132:133], v[130:131], v[0:1]
	s_waitcnt vmcnt(0)
	v_add_f64 v[126:127], v[126:127], -v[2:3]
	v_add_f64 v[128:129], v[128:129], -v[132:133]
	scratch_store_dwordx4 off, v[126:129], off offset:672
	ds_read2_b64 v[128:131], v250 offset0:86 offset1:87
	scratch_load_dwordx2 v[126:127], off, off offset:480
	scratch_load_dwordx2 v[0:1], off, off offset:488
	s_waitcnt vmcnt(0) lgkmcnt(0)
	v_mul_f64 v[2:3], v[130:131], v[0:1]
	v_mul_f64 v[132:133], v[128:129], v[0:1]
	v_fma_f64 v[2:3], v[128:129], v[126:127], -v[2:3]
	v_fmac_f64_e32 v[132:133], v[130:131], v[126:127]
	scratch_load_dwordx4 v[128:131], off, off offset:688
	s_waitcnt vmcnt(0)
	v_add_f64 v[128:129], v[128:129], -v[2:3]
	v_add_f64 v[130:131], v[130:131], -v[132:133]
	scratch_store_dwordx4 off, v[128:131], off offset:688
	ds_read2_b64 v[128:131], v250 offset0:88 offset1:89
	s_waitcnt lgkmcnt(0)
	v_mul_f64 v[2:3], v[130:131], v[0:1]
	v_mul_f64 v[132:133], v[128:129], v[0:1]
	v_fma_f64 v[2:3], v[128:129], v[126:127], -v[2:3]
	v_fmac_f64_e32 v[132:133], v[130:131], v[126:127]
	scratch_load_dwordx4 v[128:131], off, off offset:704
	s_waitcnt vmcnt(0)
	v_add_f64 v[128:129], v[128:129], -v[2:3]
	v_add_f64 v[130:131], v[130:131], -v[132:133]
	scratch_store_dwordx4 off, v[128:131], off offset:704
	ds_read2_b64 v[128:131], v250 offset0:90 offset1:91
	s_waitcnt lgkmcnt(0)
	;; [unrolled: 11-line block ×5, first 2 shown]
	v_mul_f64 v[2:3], v[130:131], v[0:1]
	v_mul_f64 v[0:1], v[128:129], v[0:1]
	v_fma_f64 v[2:3], v[128:129], v[126:127], -v[2:3]
	v_fmac_f64_e32 v[0:1], v[130:131], v[126:127]
	scratch_load_dwordx4 v[126:129], off, off offset:768
	s_waitcnt vmcnt(0)
	v_add_f64 v[126:127], v[126:127], -v[2:3]
	v_add_f64 v[128:129], v[128:129], -v[0:1]
	scratch_store_dwordx4 off, v[126:129], off offset:768
	ds_read2_b64 v[126:129], v250 offset0:98 offset1:99
	scratch_load_dwordx2 v[0:1], off, off offset:480
	scratch_load_dwordx2 v[2:3], off, off offset:488
	s_waitcnt vmcnt(0) lgkmcnt(0)
	v_mul_f64 v[130:131], v[128:129], v[2:3]
	v_mul_f64 v[132:133], v[126:127], v[2:3]
	v_fma_f64 v[130:131], v[126:127], v[0:1], -v[130:131]
	v_fmac_f64_e32 v[132:133], v[128:129], v[0:1]
	scratch_load_dwordx4 v[126:129], off, off offset:784
	s_waitcnt vmcnt(0)
	v_add_f64 v[126:127], v[126:127], -v[130:131]
	v_add_f64 v[128:129], v[128:129], -v[132:133]
	scratch_store_dwordx4 off, v[126:129], off offset:784
	ds_read2_b64 v[126:129], v250 offset0:100 offset1:101
	s_waitcnt lgkmcnt(0)
	v_mul_f64 v[130:131], v[128:129], v[2:3]
	v_mul_f64 v[132:133], v[126:127], v[2:3]
	v_fma_f64 v[130:131], v[126:127], v[0:1], -v[130:131]
	v_fmac_f64_e32 v[132:133], v[128:129], v[0:1]
	scratch_load_dwordx4 v[126:129], off, off offset:800
	s_waitcnt vmcnt(0)
	v_add_f64 v[126:127], v[126:127], -v[130:131]
	v_add_f64 v[128:129], v[128:129], -v[132:133]
	scratch_store_dwordx4 off, v[126:129], off offset:800
	ds_read2_b64 v[126:129], v250 offset0:102 offset1:103
	s_waitcnt lgkmcnt(0)
	;; [unrolled: 11-line block ×5, first 2 shown]
	v_mul_f64 v[130:131], v[128:129], v[2:3]
	v_mul_f64 v[2:3], v[126:127], v[2:3]
	v_fma_f64 v[130:131], v[126:127], v[0:1], -v[130:131]
	v_fmac_f64_e32 v[2:3], v[128:129], v[0:1]
	scratch_load_dwordx4 v[126:129], off, off offset:864
	s_waitcnt vmcnt(0)
	v_add_f64 v[126:127], v[126:127], -v[130:131]
	v_add_f64 v[128:129], v[128:129], -v[2:3]
	scratch_store_dwordx4 off, v[126:129], off offset:864
	ds_read2_b64 v[130:133], v250 offset0:110 offset1:111
	scratch_load_dwordx2 v[126:127], off, off offset:480
	scratch_load_dwordx2 v[128:129], off, off offset:488
	s_waitcnt vmcnt(0) lgkmcnt(0)
	v_mul_f64 v[0:1], v[132:133], v[128:129]
	v_mul_f64 v[2:3], v[130:131], v[128:129]
	v_fma_f64 v[0:1], v[130:131], v[126:127], -v[0:1]
	v_fmac_f64_e32 v[2:3], v[132:133], v[126:127]
	scratch_load_dwordx4 v[130:133], off, off offset:880
	s_waitcnt vmcnt(0)
	v_add_f64 v[130:131], v[130:131], -v[0:1]
	v_add_f64 v[132:133], v[132:133], -v[2:3]
	scratch_store_dwordx4 off, v[130:133], off offset:880
	ds_read2_b64 v[132:135], v250 offset0:112 offset1:113
	s_waitcnt lgkmcnt(0)
	v_mul_f64 v[0:1], v[134:135], v[128:129]
	v_fma_f64 v[130:131], v[132:133], v[126:127], -v[0:1]
	v_mul_f64 v[132:133], v[132:133], v[128:129]
	v_fmac_f64_e32 v[132:133], v[134:135], v[126:127]
	scratch_load_dwordx4 v[134:137], off, off offset:896
	s_waitcnt vmcnt(0)
	v_add_f64 v[130:131], v[134:135], -v[130:131]
	v_add_f64 v[132:133], v[136:137], -v[132:133]
	scratch_store_dwordx4 off, v[130:133], off offset:896
	ds_read2_b64 v[130:133], v250 offset0:114 offset1:115
	s_waitcnt lgkmcnt(0)
	v_mul_f64 v[0:1], v[132:133], v[128:129]
	v_mul_f64 v[2:3], v[130:131], v[128:129]
	v_fma_f64 v[0:1], v[130:131], v[126:127], -v[0:1]
	v_fmac_f64_e32 v[2:3], v[132:133], v[126:127]
	scratch_load_dwordx4 v[130:133], off, off offset:912
	s_waitcnt vmcnt(0)
	v_add_f64 v[130:131], v[130:131], -v[0:1]
	v_add_f64 v[132:133], v[132:133], -v[2:3]
	scratch_store_dwordx4 off, v[130:133], off offset:912
	ds_read2_b64 v[130:133], v250 offset0:116 offset1:117
	s_waitcnt lgkmcnt(0)
	v_mul_f64 v[0:1], v[132:133], v[128:129]
	v_mul_f64 v[2:3], v[130:131], v[128:129]
	v_fma_f64 v[0:1], v[130:131], v[126:127], -v[0:1]
	;; [unrolled: 11-line block ×4, first 2 shown]
	v_fmac_f64_e32 v[2:3], v[132:133], v[126:127]
	scratch_load_dwordx4 v[126:129], off, off offset:960
	s_waitcnt vmcnt(0)
	v_add_f64 v[126:127], v[126:127], -v[0:1]
	scratch_load_dwordx2 v[0:1], off, off offset:488
	v_add_f64 v[128:129], v[128:129], -v[2:3]
	scratch_store_dwordx4 off, v[126:129], off offset:960
	ds_read2_b64 v[128:131], v250 offset0:122 offset1:123
	s_waitcnt vmcnt(1) lgkmcnt(0)
	v_mul_f64 v[2:3], v[130:131], v[0:1]
	v_fma_f64 v[126:127], v[128:129], v[124:125], -v[2:3]
	v_mul_f64 v[128:129], v[128:129], v[0:1]
	v_fmac_f64_e32 v[128:129], v[130:131], v[124:125]
	scratch_load_dwordx4 v[130:133], off, off offset:976
	s_waitcnt vmcnt(0)
	v_add_f64 v[124:125], v[130:131], -v[126:127]
	v_add_f64 v[126:127], v[132:133], -v[128:129]
	scratch_store_dwordx4 off, v[124:127], off offset:976
.LBB123_387:
	s_or_b64 exec, exec, s[2:3]
	v_cmp_eq_u32_e32 vcc, 31, v248
	s_waitcnt lgkmcnt(0)
	s_barrier
	s_and_saveexec_b64 s[4:5], vcc
	s_cbranch_execz .LBB123_394
; %bb.388:
	scratch_load_dwordx4 v[124:127], off, s40
	s_waitcnt vmcnt(0)
	ds_write2_b64 v249, v[124:125], v[126:127] offset1:1
	scratch_load_dwordx4 v[124:127], off, s41
	s_waitcnt vmcnt(0)
	ds_write2_b64 v250, v[124:125], v[126:127] offset0:64 offset1:65
	scratch_load_dwordx4 v[124:127], off, s38
	s_waitcnt vmcnt(0)
	ds_write2_b64 v250, v[124:125], v[126:127] offset0:66 offset1:67
	;; [unrolled: 3-line block ×30, first 2 shown]
	ds_read2_b64 v[124:127], v249 offset1:1
	s_waitcnt lgkmcnt(0)
	v_cmp_neq_f64_e32 vcc, 0, v[124:125]
	v_cmp_neq_f64_e64 s[2:3], 0, v[126:127]
	s_or_b64 s[2:3], vcc, s[2:3]
	s_and_b64 exec, exec, s[2:3]
	s_cbranch_execz .LBB123_394
; %bb.389:
	v_cmp_ngt_f64_e64 s[2:3], |v[124:125]|, |v[126:127]|
                                        ; implicit-def: $vgpr128_vgpr129
	s_and_saveexec_b64 s[10:11], s[2:3]
	s_xor_b64 s[2:3], exec, s[10:11]
                                        ; implicit-def: $vgpr130_vgpr131
	s_cbranch_execz .LBB123_391
; %bb.390:
	v_div_scale_f64 v[0:1], s[10:11], v[126:127], v[126:127], v[124:125]
	v_rcp_f64_e32 v[2:3], v[0:1]
	v_div_scale_f64 v[128:129], vcc, v[124:125], v[126:127], v[124:125]
	v_fma_f64 v[130:131], -v[0:1], v[2:3], 1.0
	v_fmac_f64_e32 v[2:3], v[2:3], v[130:131]
	v_fma_f64 v[130:131], -v[0:1], v[2:3], 1.0
	v_fmac_f64_e32 v[2:3], v[2:3], v[130:131]
	v_mul_f64 v[130:131], v[128:129], v[2:3]
	v_fma_f64 v[0:1], -v[0:1], v[130:131], v[128:129]
	v_div_fmas_f64 v[0:1], v[0:1], v[2:3], v[130:131]
	v_div_fixup_f64 v[0:1], v[0:1], v[126:127], v[124:125]
	v_fmac_f64_e32 v[126:127], v[124:125], v[0:1]
	v_div_scale_f64 v[2:3], s[10:11], v[126:127], v[126:127], 1.0
	v_rcp_f64_e32 v[124:125], v[2:3]
	s_nop 0
	v_fma_f64 v[128:129], -v[2:3], v[124:125], 1.0
	v_fmac_f64_e32 v[124:125], v[124:125], v[128:129]
	v_fma_f64 v[128:129], -v[2:3], v[124:125], 1.0
	v_fmac_f64_e32 v[124:125], v[124:125], v[128:129]
	v_div_scale_f64 v[128:129], vcc, 1.0, v[126:127], 1.0
	v_mul_f64 v[130:131], v[128:129], v[124:125]
	v_fma_f64 v[2:3], -v[2:3], v[130:131], v[128:129]
	s_nop 1
	v_div_fmas_f64 v[2:3], v[2:3], v[124:125], v[130:131]
	v_div_fixup_f64 v[130:131], v[2:3], v[126:127], 1.0
	v_mul_f64 v[128:129], v[0:1], v[130:131]
	v_xor_b32_e32 v131, 0x80000000, v131
                                        ; implicit-def: $vgpr124_vgpr125
.LBB123_391:
	s_andn2_saveexec_b64 s[2:3], s[2:3]
	s_cbranch_execz .LBB123_393
; %bb.392:
	v_div_scale_f64 v[0:1], s[10:11], v[124:125], v[124:125], v[126:127]
	v_rcp_f64_e32 v[2:3], v[0:1]
	v_div_scale_f64 v[128:129], vcc, v[126:127], v[124:125], v[126:127]
	v_fma_f64 v[130:131], -v[0:1], v[2:3], 1.0
	v_fmac_f64_e32 v[2:3], v[2:3], v[130:131]
	v_fma_f64 v[130:131], -v[0:1], v[2:3], 1.0
	v_fmac_f64_e32 v[2:3], v[2:3], v[130:131]
	v_mul_f64 v[130:131], v[128:129], v[2:3]
	v_fma_f64 v[0:1], -v[0:1], v[130:131], v[128:129]
	v_div_fmas_f64 v[0:1], v[0:1], v[2:3], v[130:131]
	v_div_fixup_f64 v[0:1], v[0:1], v[124:125], v[126:127]
	v_fmac_f64_e32 v[124:125], v[126:127], v[0:1]
	v_div_scale_f64 v[2:3], s[10:11], v[124:125], v[124:125], 1.0
	v_rcp_f64_e32 v[126:127], v[2:3]
	s_nop 0
	v_fma_f64 v[128:129], -v[2:3], v[126:127], 1.0
	v_fmac_f64_e32 v[126:127], v[126:127], v[128:129]
	v_fma_f64 v[128:129], -v[2:3], v[126:127], 1.0
	v_fmac_f64_e32 v[126:127], v[126:127], v[128:129]
	v_div_scale_f64 v[128:129], vcc, 1.0, v[124:125], 1.0
	v_mul_f64 v[130:131], v[128:129], v[126:127]
	v_fma_f64 v[2:3], -v[2:3], v[130:131], v[128:129]
	s_nop 1
	v_div_fmas_f64 v[2:3], v[2:3], v[126:127], v[130:131]
	v_div_fixup_f64 v[128:129], v[2:3], v[124:125], 1.0
	v_mul_f64 v[130:131], v[0:1], -v[128:129]
.LBB123_393:
	s_or_b64 exec, exec, s[2:3]
	ds_write2_b64 v249, v[128:129], v[130:131] offset1:1
.LBB123_394:
	s_or_b64 exec, exec, s[4:5]
	s_waitcnt lgkmcnt(0)
	s_barrier
	ds_read2_b64 v[124:127], v249 offset1:1
	v_cmp_lt_u32_e32 vcc, 31, v248
	s_and_saveexec_b64 s[2:3], vcc
	s_cbranch_execz .LBB123_396
; %bb.395:
	scratch_load_dwordx4 v[128:131], off, off offset:496
	s_waitcnt vmcnt(0) lgkmcnt(0)
	v_mul_f64 v[0:1], v[126:127], v[130:131]
	v_mul_f64 v[134:135], v[124:125], v[130:131]
	v_fma_f64 v[132:133], v[124:125], v[128:129], -v[0:1]
	v_fmac_f64_e32 v[134:135], v[126:127], v[128:129]
	ds_read2_b64 v[128:131], v250 offset0:64 offset1:65
	scratch_store_dwordx4 off, v[132:135], off offset:496
	s_waitcnt lgkmcnt(0)
	v_mul_f64 v[0:1], v[130:131], v[134:135]
	v_mul_f64 v[2:3], v[128:129], v[134:135]
	v_fma_f64 v[0:1], v[128:129], v[132:133], -v[0:1]
	v_fmac_f64_e32 v[2:3], v[130:131], v[132:133]
	scratch_load_dwordx4 v[128:131], off, off offset:512
	s_waitcnt vmcnt(0)
	v_add_f64 v[128:129], v[128:129], -v[0:1]
	v_add_f64 v[130:131], v[130:131], -v[2:3]
	scratch_store_dwordx4 off, v[128:131], off offset:512
	ds_read2_b64 v[128:131], v250 offset0:66 offset1:67
	s_waitcnt lgkmcnt(0)
	v_mul_f64 v[0:1], v[130:131], v[134:135]
	v_mul_f64 v[2:3], v[128:129], v[134:135]
	v_fma_f64 v[0:1], v[128:129], v[132:133], -v[0:1]
	v_fmac_f64_e32 v[2:3], v[130:131], v[132:133]
	scratch_load_dwordx4 v[128:131], off, off offset:528
	s_waitcnt vmcnt(0)
	v_add_f64 v[128:129], v[128:129], -v[0:1]
	v_add_f64 v[130:131], v[130:131], -v[2:3]
	scratch_store_dwordx4 off, v[128:131], off offset:528
	ds_read2_b64 v[128:131], v250 offset0:68 offset1:69
	;; [unrolled: 11-line block ×5, first 2 shown]
	s_waitcnt lgkmcnt(0)
	v_mul_f64 v[0:1], v[130:131], v[134:135]
	v_mul_f64 v[2:3], v[128:129], v[134:135]
	v_fma_f64 v[0:1], v[128:129], v[132:133], -v[0:1]
	v_fmac_f64_e32 v[2:3], v[130:131], v[132:133]
	scratch_load_dwordx4 v[128:131], off, off offset:592
	ds_read2_b64 v[132:135], v250 offset0:76 offset1:77
	s_waitcnt vmcnt(0)
	v_add_f64 v[128:129], v[128:129], -v[0:1]
	v_add_f64 v[130:131], v[130:131], -v[2:3]
	scratch_store_dwordx4 off, v[128:131], off offset:592
	scratch_load_dwordx2 v[0:1], off, off offset:496
	s_nop 0
	scratch_load_dwordx4 v[128:131], off, off offset:496
	s_waitcnt vmcnt(0) lgkmcnt(0)
	v_mul_f64 v[2:3], v[134:135], v[130:131]
	v_mul_f64 v[136:137], v[132:133], v[130:131]
	v_fma_f64 v[2:3], v[132:133], v[0:1], -v[2:3]
	v_fmac_f64_e32 v[136:137], v[134:135], v[0:1]
	scratch_load_dwordx4 v[132:135], off, off offset:608
	s_waitcnt vmcnt(0)
	v_add_f64 v[132:133], v[132:133], -v[2:3]
	v_add_f64 v[134:135], v[134:135], -v[136:137]
	scratch_store_dwordx4 off, v[132:135], off offset:608
	ds_read2_b64 v[132:135], v250 offset0:78 offset1:79
	s_waitcnt lgkmcnt(0)
	v_mul_f64 v[2:3], v[134:135], v[130:131]
	v_mul_f64 v[136:137], v[132:133], v[130:131]
	v_fma_f64 v[2:3], v[132:133], v[0:1], -v[2:3]
	v_fmac_f64_e32 v[136:137], v[134:135], v[0:1]
	scratch_load_dwordx4 v[132:135], off, off offset:624
	s_waitcnt vmcnt(0)
	v_add_f64 v[132:133], v[132:133], -v[2:3]
	v_add_f64 v[134:135], v[134:135], -v[136:137]
	scratch_store_dwordx4 off, v[132:135], off offset:624
	ds_read2_b64 v[132:135], v250 offset0:80 offset1:81
	s_waitcnt lgkmcnt(0)
	;; [unrolled: 11-line block ×5, first 2 shown]
	v_mul_f64 v[2:3], v[134:135], v[130:131]
	v_fma_f64 v[2:3], v[132:133], v[0:1], -v[2:3]
	v_mul_f64 v[136:137], v[132:133], v[130:131]
	scratch_load_dwordx4 v[130:133], off, off offset:688
	v_fmac_f64_e32 v[136:137], v[134:135], v[0:1]
	s_waitcnt vmcnt(0)
	v_add_f64 v[130:131], v[130:131], -v[2:3]
	v_add_f64 v[132:133], v[132:133], -v[136:137]
	scratch_store_dwordx4 off, v[130:133], off offset:688
	ds_read2_b64 v[132:135], v250 offset0:88 offset1:89
	scratch_load_dwordx2 v[130:131], off, off offset:496
	scratch_load_dwordx2 v[0:1], off, off offset:504
	s_waitcnt vmcnt(0) lgkmcnt(0)
	v_mul_f64 v[2:3], v[134:135], v[0:1]
	v_mul_f64 v[136:137], v[132:133], v[0:1]
	v_fma_f64 v[2:3], v[132:133], v[130:131], -v[2:3]
	v_fmac_f64_e32 v[136:137], v[134:135], v[130:131]
	scratch_load_dwordx4 v[132:135], off, off offset:704
	s_waitcnt vmcnt(0)
	v_add_f64 v[132:133], v[132:133], -v[2:3]
	v_add_f64 v[134:135], v[134:135], -v[136:137]
	scratch_store_dwordx4 off, v[132:135], off offset:704
	ds_read2_b64 v[132:135], v250 offset0:90 offset1:91
	s_waitcnt lgkmcnt(0)
	v_mul_f64 v[2:3], v[134:135], v[0:1]
	v_mul_f64 v[136:137], v[132:133], v[0:1]
	v_fma_f64 v[2:3], v[132:133], v[130:131], -v[2:3]
	v_fmac_f64_e32 v[136:137], v[134:135], v[130:131]
	scratch_load_dwordx4 v[132:135], off, off offset:720
	s_waitcnt vmcnt(0)
	v_add_f64 v[132:133], v[132:133], -v[2:3]
	v_add_f64 v[134:135], v[134:135], -v[136:137]
	scratch_store_dwordx4 off, v[132:135], off offset:720
	ds_read2_b64 v[132:135], v250 offset0:92 offset1:93
	s_waitcnt lgkmcnt(0)
	;; [unrolled: 11-line block ×5, first 2 shown]
	v_mul_f64 v[2:3], v[134:135], v[0:1]
	v_mul_f64 v[0:1], v[132:133], v[0:1]
	v_fma_f64 v[2:3], v[132:133], v[130:131], -v[2:3]
	v_fmac_f64_e32 v[0:1], v[134:135], v[130:131]
	scratch_load_dwordx4 v[130:133], off, off offset:784
	s_waitcnt vmcnt(0)
	v_add_f64 v[130:131], v[130:131], -v[2:3]
	v_add_f64 v[132:133], v[132:133], -v[0:1]
	scratch_store_dwordx4 off, v[130:133], off offset:784
	ds_read2_b64 v[130:133], v250 offset0:100 offset1:101
	scratch_load_dwordx2 v[0:1], off, off offset:496
	scratch_load_dwordx2 v[2:3], off, off offset:504
	s_waitcnt vmcnt(0) lgkmcnt(0)
	v_mul_f64 v[134:135], v[132:133], v[2:3]
	v_mul_f64 v[136:137], v[130:131], v[2:3]
	v_fma_f64 v[134:135], v[130:131], v[0:1], -v[134:135]
	v_fmac_f64_e32 v[136:137], v[132:133], v[0:1]
	scratch_load_dwordx4 v[130:133], off, off offset:800
	s_waitcnt vmcnt(0)
	v_add_f64 v[130:131], v[130:131], -v[134:135]
	v_add_f64 v[132:133], v[132:133], -v[136:137]
	scratch_store_dwordx4 off, v[130:133], off offset:800
	ds_read2_b64 v[130:133], v250 offset0:102 offset1:103
	s_waitcnt lgkmcnt(0)
	v_mul_f64 v[134:135], v[132:133], v[2:3]
	v_mul_f64 v[136:137], v[130:131], v[2:3]
	v_fma_f64 v[134:135], v[130:131], v[0:1], -v[134:135]
	v_fmac_f64_e32 v[136:137], v[132:133], v[0:1]
	scratch_load_dwordx4 v[130:133], off, off offset:816
	s_waitcnt vmcnt(0)
	v_add_f64 v[130:131], v[130:131], -v[134:135]
	v_add_f64 v[132:133], v[132:133], -v[136:137]
	scratch_store_dwordx4 off, v[130:133], off offset:816
	ds_read2_b64 v[130:133], v250 offset0:104 offset1:105
	s_waitcnt lgkmcnt(0)
	;; [unrolled: 11-line block ×5, first 2 shown]
	v_mul_f64 v[134:135], v[132:133], v[2:3]
	v_mul_f64 v[2:3], v[130:131], v[2:3]
	v_fma_f64 v[134:135], v[130:131], v[0:1], -v[134:135]
	v_fmac_f64_e32 v[2:3], v[132:133], v[0:1]
	scratch_load_dwordx4 v[130:133], off, off offset:880
	s_waitcnt vmcnt(0)
	v_add_f64 v[130:131], v[130:131], -v[134:135]
	v_add_f64 v[132:133], v[132:133], -v[2:3]
	scratch_store_dwordx4 off, v[130:133], off offset:880
	scratch_load_dwordx2 v[130:131], off, off offset:504
	ds_read2_b64 v[132:135], v250 offset0:112 offset1:113
	s_waitcnt vmcnt(0) lgkmcnt(0)
	v_mul_f64 v[0:1], v[134:135], v[130:131]
	v_mul_f64 v[2:3], v[132:133], v[130:131]
	v_fma_f64 v[0:1], v[132:133], v[128:129], -v[0:1]
	v_fmac_f64_e32 v[2:3], v[134:135], v[128:129]
	scratch_load_dwordx4 v[132:135], off, off offset:896
	s_waitcnt vmcnt(0)
	v_add_f64 v[132:133], v[132:133], -v[0:1]
	v_add_f64 v[134:135], v[134:135], -v[2:3]
	scratch_store_dwordx4 off, v[132:135], off offset:896
	ds_read2_b64 v[134:137], v250 offset0:114 offset1:115
	s_waitcnt lgkmcnt(0)
	v_mul_f64 v[0:1], v[136:137], v[130:131]
	v_fma_f64 v[132:133], v[134:135], v[128:129], -v[0:1]
	v_mul_f64 v[134:135], v[134:135], v[130:131]
	v_fmac_f64_e32 v[134:135], v[136:137], v[128:129]
	scratch_load_dwordx4 v[136:139], off, off offset:912
	s_waitcnt vmcnt(0)
	v_add_f64 v[132:133], v[136:137], -v[132:133]
	v_add_f64 v[134:135], v[138:139], -v[134:135]
	scratch_store_dwordx4 off, v[132:135], off offset:912
	ds_read2_b64 v[132:135], v250 offset0:116 offset1:117
	s_waitcnt lgkmcnt(0)
	v_mul_f64 v[0:1], v[134:135], v[130:131]
	v_mul_f64 v[2:3], v[132:133], v[130:131]
	v_fma_f64 v[0:1], v[132:133], v[128:129], -v[0:1]
	v_fmac_f64_e32 v[2:3], v[134:135], v[128:129]
	scratch_load_dwordx4 v[132:135], off, off offset:928
	s_waitcnt vmcnt(0)
	v_add_f64 v[132:133], v[132:133], -v[0:1]
	v_add_f64 v[134:135], v[134:135], -v[2:3]
	scratch_store_dwordx4 off, v[132:135], off offset:928
	ds_read2_b64 v[132:135], v250 offset0:118 offset1:119
	s_waitcnt lgkmcnt(0)
	v_mul_f64 v[0:1], v[134:135], v[130:131]
	v_mul_f64 v[2:3], v[132:133], v[130:131]
	v_fma_f64 v[0:1], v[132:133], v[128:129], -v[0:1]
	;; [unrolled: 11-line block ×4, first 2 shown]
	v_fmac_f64_e32 v[130:131], v[136:137], v[128:129]
	scratch_load_dwordx4 v[134:137], off, off offset:976
	s_waitcnt vmcnt(0)
	v_add_f64 v[128:129], v[134:135], -v[132:133]
	v_add_f64 v[130:131], v[136:137], -v[130:131]
	scratch_store_dwordx4 off, v[128:131], off offset:976
.LBB123_396:
	s_or_b64 exec, exec, s[2:3]
	v_cmp_eq_u32_e32 vcc, 32, v248
	s_waitcnt lgkmcnt(0)
	s_barrier
	s_and_saveexec_b64 s[4:5], vcc
	s_cbranch_execz .LBB123_403
; %bb.397:
	scratch_load_dwordx4 v[128:131], off, s41
	s_waitcnt vmcnt(0)
	ds_write2_b64 v249, v[128:129], v[130:131] offset1:1
	scratch_load_dwordx4 v[128:131], off, s38
	s_waitcnt vmcnt(0)
	ds_write2_b64 v250, v[128:129], v[130:131] offset0:66 offset1:67
	scratch_load_dwordx4 v[128:131], off, s39
	s_waitcnt vmcnt(0)
	ds_write2_b64 v250, v[128:129], v[130:131] offset0:68 offset1:69
	;; [unrolled: 3-line block ×29, first 2 shown]
	ds_read2_b64 v[128:131], v249 offset1:1
	s_waitcnt lgkmcnt(0)
	v_cmp_neq_f64_e32 vcc, 0, v[128:129]
	v_cmp_neq_f64_e64 s[2:3], 0, v[130:131]
	s_or_b64 s[2:3], vcc, s[2:3]
	s_and_b64 exec, exec, s[2:3]
	s_cbranch_execz .LBB123_403
; %bb.398:
	v_cmp_ngt_f64_e64 s[2:3], |v[128:129]|, |v[130:131]|
                                        ; implicit-def: $vgpr132_vgpr133
	s_and_saveexec_b64 s[10:11], s[2:3]
	s_xor_b64 s[2:3], exec, s[10:11]
                                        ; implicit-def: $vgpr134_vgpr135
	s_cbranch_execz .LBB123_400
; %bb.399:
	v_div_scale_f64 v[0:1], s[10:11], v[130:131], v[130:131], v[128:129]
	v_rcp_f64_e32 v[2:3], v[0:1]
	v_div_scale_f64 v[132:133], vcc, v[128:129], v[130:131], v[128:129]
	v_fma_f64 v[134:135], -v[0:1], v[2:3], 1.0
	v_fmac_f64_e32 v[2:3], v[2:3], v[134:135]
	v_fma_f64 v[134:135], -v[0:1], v[2:3], 1.0
	v_fmac_f64_e32 v[2:3], v[2:3], v[134:135]
	v_mul_f64 v[134:135], v[132:133], v[2:3]
	v_fma_f64 v[0:1], -v[0:1], v[134:135], v[132:133]
	v_div_fmas_f64 v[0:1], v[0:1], v[2:3], v[134:135]
	v_div_fixup_f64 v[0:1], v[0:1], v[130:131], v[128:129]
	v_fmac_f64_e32 v[130:131], v[128:129], v[0:1]
	v_div_scale_f64 v[2:3], s[10:11], v[130:131], v[130:131], 1.0
	v_rcp_f64_e32 v[128:129], v[2:3]
	s_nop 0
	v_fma_f64 v[132:133], -v[2:3], v[128:129], 1.0
	v_fmac_f64_e32 v[128:129], v[128:129], v[132:133]
	v_fma_f64 v[132:133], -v[2:3], v[128:129], 1.0
	v_fmac_f64_e32 v[128:129], v[128:129], v[132:133]
	v_div_scale_f64 v[132:133], vcc, 1.0, v[130:131], 1.0
	v_mul_f64 v[134:135], v[132:133], v[128:129]
	v_fma_f64 v[2:3], -v[2:3], v[134:135], v[132:133]
	s_nop 1
	v_div_fmas_f64 v[2:3], v[2:3], v[128:129], v[134:135]
	v_div_fixup_f64 v[134:135], v[2:3], v[130:131], 1.0
	v_mul_f64 v[132:133], v[0:1], v[134:135]
	v_xor_b32_e32 v135, 0x80000000, v135
                                        ; implicit-def: $vgpr128_vgpr129
.LBB123_400:
	s_andn2_saveexec_b64 s[2:3], s[2:3]
	s_cbranch_execz .LBB123_402
; %bb.401:
	v_div_scale_f64 v[0:1], s[10:11], v[128:129], v[128:129], v[130:131]
	v_rcp_f64_e32 v[2:3], v[0:1]
	v_div_scale_f64 v[132:133], vcc, v[130:131], v[128:129], v[130:131]
	v_fma_f64 v[134:135], -v[0:1], v[2:3], 1.0
	v_fmac_f64_e32 v[2:3], v[2:3], v[134:135]
	v_fma_f64 v[134:135], -v[0:1], v[2:3], 1.0
	v_fmac_f64_e32 v[2:3], v[2:3], v[134:135]
	v_mul_f64 v[134:135], v[132:133], v[2:3]
	v_fma_f64 v[0:1], -v[0:1], v[134:135], v[132:133]
	v_div_fmas_f64 v[0:1], v[0:1], v[2:3], v[134:135]
	v_div_fixup_f64 v[0:1], v[0:1], v[128:129], v[130:131]
	v_fmac_f64_e32 v[128:129], v[130:131], v[0:1]
	v_div_scale_f64 v[2:3], s[10:11], v[128:129], v[128:129], 1.0
	v_rcp_f64_e32 v[130:131], v[2:3]
	s_nop 0
	v_fma_f64 v[132:133], -v[2:3], v[130:131], 1.0
	v_fmac_f64_e32 v[130:131], v[130:131], v[132:133]
	v_fma_f64 v[132:133], -v[2:3], v[130:131], 1.0
	v_fmac_f64_e32 v[130:131], v[130:131], v[132:133]
	v_div_scale_f64 v[132:133], vcc, 1.0, v[128:129], 1.0
	v_mul_f64 v[134:135], v[132:133], v[130:131]
	v_fma_f64 v[2:3], -v[2:3], v[134:135], v[132:133]
	s_nop 1
	v_div_fmas_f64 v[2:3], v[2:3], v[130:131], v[134:135]
	v_div_fixup_f64 v[132:133], v[2:3], v[128:129], 1.0
	v_mul_f64 v[134:135], v[0:1], -v[132:133]
.LBB123_402:
	s_or_b64 exec, exec, s[2:3]
	ds_write2_b64 v249, v[132:133], v[134:135] offset1:1
.LBB123_403:
	s_or_b64 exec, exec, s[4:5]
	s_waitcnt lgkmcnt(0)
	s_barrier
	ds_read2_b64 v[128:131], v249 offset1:1
	v_cmp_lt_u32_e32 vcc, 32, v248
	s_and_saveexec_b64 s[2:3], vcc
	s_cbranch_execz .LBB123_405
; %bb.404:
	scratch_load_dwordx4 v[132:135], off, off offset:512
	s_waitcnt vmcnt(0) lgkmcnt(0)
	v_mul_f64 v[0:1], v[130:131], v[134:135]
	v_mul_f64 v[138:139], v[128:129], v[134:135]
	v_fma_f64 v[136:137], v[128:129], v[132:133], -v[0:1]
	v_fmac_f64_e32 v[138:139], v[130:131], v[132:133]
	ds_read2_b64 v[132:135], v250 offset0:66 offset1:67
	scratch_store_dwordx4 off, v[136:139], off offset:512
	s_waitcnt lgkmcnt(0)
	v_mul_f64 v[0:1], v[134:135], v[138:139]
	v_mul_f64 v[2:3], v[132:133], v[138:139]
	v_fma_f64 v[0:1], v[132:133], v[136:137], -v[0:1]
	v_fmac_f64_e32 v[2:3], v[134:135], v[136:137]
	scratch_load_dwordx4 v[132:135], off, off offset:528
	s_waitcnt vmcnt(0)
	v_add_f64 v[132:133], v[132:133], -v[0:1]
	v_add_f64 v[134:135], v[134:135], -v[2:3]
	scratch_store_dwordx4 off, v[132:135], off offset:528
	ds_read2_b64 v[132:135], v250 offset0:68 offset1:69
	s_waitcnt lgkmcnt(0)
	v_mul_f64 v[0:1], v[134:135], v[138:139]
	v_mul_f64 v[2:3], v[132:133], v[138:139]
	v_fma_f64 v[0:1], v[132:133], v[136:137], -v[0:1]
	v_fmac_f64_e32 v[2:3], v[134:135], v[136:137]
	scratch_load_dwordx4 v[132:135], off, off offset:544
	s_waitcnt vmcnt(0)
	v_add_f64 v[132:133], v[132:133], -v[0:1]
	v_add_f64 v[134:135], v[134:135], -v[2:3]
	scratch_store_dwordx4 off, v[132:135], off offset:544
	ds_read2_b64 v[132:135], v250 offset0:70 offset1:71
	;; [unrolled: 11-line block ×5, first 2 shown]
	s_waitcnt lgkmcnt(0)
	v_mul_f64 v[0:1], v[134:135], v[138:139]
	v_mul_f64 v[2:3], v[132:133], v[138:139]
	v_fma_f64 v[0:1], v[132:133], v[136:137], -v[0:1]
	v_fmac_f64_e32 v[2:3], v[134:135], v[136:137]
	scratch_load_dwordx4 v[132:135], off, off offset:608
	ds_read2_b64 v[136:139], v250 offset0:78 offset1:79
	s_waitcnt vmcnt(0)
	v_add_f64 v[132:133], v[132:133], -v[0:1]
	v_add_f64 v[134:135], v[134:135], -v[2:3]
	scratch_store_dwordx4 off, v[132:135], off offset:608
	scratch_load_dwordx2 v[0:1], off, off offset:512
	s_nop 0
	scratch_load_dwordx4 v[132:135], off, off offset:512
	s_waitcnt vmcnt(0) lgkmcnt(0)
	v_mul_f64 v[2:3], v[138:139], v[134:135]
	v_mul_f64 v[140:141], v[136:137], v[134:135]
	v_fma_f64 v[2:3], v[136:137], v[0:1], -v[2:3]
	v_fmac_f64_e32 v[140:141], v[138:139], v[0:1]
	scratch_load_dwordx4 v[136:139], off, off offset:624
	s_waitcnt vmcnt(0)
	v_add_f64 v[136:137], v[136:137], -v[2:3]
	v_add_f64 v[138:139], v[138:139], -v[140:141]
	scratch_store_dwordx4 off, v[136:139], off offset:624
	ds_read2_b64 v[136:139], v250 offset0:80 offset1:81
	s_waitcnt lgkmcnt(0)
	v_mul_f64 v[2:3], v[138:139], v[134:135]
	v_mul_f64 v[140:141], v[136:137], v[134:135]
	v_fma_f64 v[2:3], v[136:137], v[0:1], -v[2:3]
	v_fmac_f64_e32 v[140:141], v[138:139], v[0:1]
	scratch_load_dwordx4 v[136:139], off, off offset:640
	s_waitcnt vmcnt(0)
	v_add_f64 v[136:137], v[136:137], -v[2:3]
	v_add_f64 v[138:139], v[138:139], -v[140:141]
	scratch_store_dwordx4 off, v[136:139], off offset:640
	ds_read2_b64 v[136:139], v250 offset0:82 offset1:83
	s_waitcnt lgkmcnt(0)
	;; [unrolled: 11-line block ×5, first 2 shown]
	v_mul_f64 v[2:3], v[138:139], v[134:135]
	v_fma_f64 v[2:3], v[136:137], v[0:1], -v[2:3]
	v_mul_f64 v[140:141], v[136:137], v[134:135]
	scratch_load_dwordx4 v[134:137], off, off offset:704
	v_fmac_f64_e32 v[140:141], v[138:139], v[0:1]
	s_waitcnt vmcnt(0)
	v_add_f64 v[134:135], v[134:135], -v[2:3]
	v_add_f64 v[136:137], v[136:137], -v[140:141]
	scratch_store_dwordx4 off, v[134:137], off offset:704
	ds_read2_b64 v[136:139], v250 offset0:90 offset1:91
	scratch_load_dwordx2 v[134:135], off, off offset:512
	scratch_load_dwordx2 v[0:1], off, off offset:520
	s_waitcnt vmcnt(0) lgkmcnt(0)
	v_mul_f64 v[2:3], v[138:139], v[0:1]
	v_mul_f64 v[140:141], v[136:137], v[0:1]
	v_fma_f64 v[2:3], v[136:137], v[134:135], -v[2:3]
	v_fmac_f64_e32 v[140:141], v[138:139], v[134:135]
	scratch_load_dwordx4 v[136:139], off, off offset:720
	s_waitcnt vmcnt(0)
	v_add_f64 v[136:137], v[136:137], -v[2:3]
	v_add_f64 v[138:139], v[138:139], -v[140:141]
	scratch_store_dwordx4 off, v[136:139], off offset:720
	ds_read2_b64 v[136:139], v250 offset0:92 offset1:93
	s_waitcnt lgkmcnt(0)
	v_mul_f64 v[2:3], v[138:139], v[0:1]
	v_mul_f64 v[140:141], v[136:137], v[0:1]
	v_fma_f64 v[2:3], v[136:137], v[134:135], -v[2:3]
	v_fmac_f64_e32 v[140:141], v[138:139], v[134:135]
	scratch_load_dwordx4 v[136:139], off, off offset:736
	s_waitcnt vmcnt(0)
	v_add_f64 v[136:137], v[136:137], -v[2:3]
	v_add_f64 v[138:139], v[138:139], -v[140:141]
	scratch_store_dwordx4 off, v[136:139], off offset:736
	ds_read2_b64 v[136:139], v250 offset0:94 offset1:95
	s_waitcnt lgkmcnt(0)
	;; [unrolled: 11-line block ×5, first 2 shown]
	v_mul_f64 v[2:3], v[138:139], v[0:1]
	v_mul_f64 v[0:1], v[136:137], v[0:1]
	v_fma_f64 v[2:3], v[136:137], v[134:135], -v[2:3]
	v_fmac_f64_e32 v[0:1], v[138:139], v[134:135]
	scratch_load_dwordx4 v[134:137], off, off offset:800
	s_waitcnt vmcnt(0)
	v_add_f64 v[134:135], v[134:135], -v[2:3]
	v_add_f64 v[136:137], v[136:137], -v[0:1]
	scratch_store_dwordx4 off, v[134:137], off offset:800
	ds_read2_b64 v[134:137], v250 offset0:102 offset1:103
	scratch_load_dwordx2 v[0:1], off, off offset:512
	scratch_load_dwordx2 v[2:3], off, off offset:520
	s_waitcnt vmcnt(0) lgkmcnt(0)
	v_mul_f64 v[138:139], v[136:137], v[2:3]
	v_mul_f64 v[140:141], v[134:135], v[2:3]
	v_fma_f64 v[138:139], v[134:135], v[0:1], -v[138:139]
	v_fmac_f64_e32 v[140:141], v[136:137], v[0:1]
	scratch_load_dwordx4 v[134:137], off, off offset:816
	s_waitcnt vmcnt(0)
	v_add_f64 v[134:135], v[134:135], -v[138:139]
	v_add_f64 v[136:137], v[136:137], -v[140:141]
	scratch_store_dwordx4 off, v[134:137], off offset:816
	ds_read2_b64 v[134:137], v250 offset0:104 offset1:105
	s_waitcnt lgkmcnt(0)
	v_mul_f64 v[138:139], v[136:137], v[2:3]
	v_mul_f64 v[140:141], v[134:135], v[2:3]
	v_fma_f64 v[138:139], v[134:135], v[0:1], -v[138:139]
	v_fmac_f64_e32 v[140:141], v[136:137], v[0:1]
	scratch_load_dwordx4 v[134:137], off, off offset:832
	s_waitcnt vmcnt(0)
	v_add_f64 v[134:135], v[134:135], -v[138:139]
	v_add_f64 v[136:137], v[136:137], -v[140:141]
	scratch_store_dwordx4 off, v[134:137], off offset:832
	ds_read2_b64 v[134:137], v250 offset0:106 offset1:107
	s_waitcnt lgkmcnt(0)
	;; [unrolled: 11-line block ×5, first 2 shown]
	v_mul_f64 v[138:139], v[136:137], v[2:3]
	v_mul_f64 v[2:3], v[134:135], v[2:3]
	v_fma_f64 v[138:139], v[134:135], v[0:1], -v[138:139]
	v_fmac_f64_e32 v[2:3], v[136:137], v[0:1]
	scratch_load_dwordx4 v[134:137], off, off offset:896
	s_waitcnt vmcnt(0)
	v_add_f64 v[134:135], v[134:135], -v[138:139]
	v_add_f64 v[136:137], v[136:137], -v[2:3]
	scratch_store_dwordx4 off, v[134:137], off offset:896
	scratch_load_dwordx2 v[134:135], off, off offset:520
	ds_read2_b64 v[136:139], v250 offset0:114 offset1:115
	s_waitcnt vmcnt(0) lgkmcnt(0)
	v_mul_f64 v[0:1], v[138:139], v[134:135]
	v_mul_f64 v[2:3], v[136:137], v[134:135]
	v_fma_f64 v[0:1], v[136:137], v[132:133], -v[0:1]
	v_fmac_f64_e32 v[2:3], v[138:139], v[132:133]
	scratch_load_dwordx4 v[136:139], off, off offset:912
	s_waitcnt vmcnt(0)
	v_add_f64 v[136:137], v[136:137], -v[0:1]
	v_add_f64 v[138:139], v[138:139], -v[2:3]
	scratch_store_dwordx4 off, v[136:139], off offset:912
	ds_read2_b64 v[138:141], v250 offset0:116 offset1:117
	s_waitcnt lgkmcnt(0)
	v_mul_f64 v[0:1], v[140:141], v[134:135]
	v_fma_f64 v[136:137], v[138:139], v[132:133], -v[0:1]
	v_mul_f64 v[138:139], v[138:139], v[134:135]
	v_fmac_f64_e32 v[138:139], v[140:141], v[132:133]
	scratch_load_dwordx4 v[140:143], off, off offset:928
	s_waitcnt vmcnt(0)
	v_add_f64 v[136:137], v[140:141], -v[136:137]
	v_add_f64 v[138:139], v[142:143], -v[138:139]
	scratch_store_dwordx4 off, v[136:139], off offset:928
	ds_read2_b64 v[136:139], v250 offset0:118 offset1:119
	s_waitcnt lgkmcnt(0)
	v_mul_f64 v[0:1], v[138:139], v[134:135]
	v_mul_f64 v[2:3], v[136:137], v[134:135]
	v_fma_f64 v[0:1], v[136:137], v[132:133], -v[0:1]
	v_fmac_f64_e32 v[2:3], v[138:139], v[132:133]
	scratch_load_dwordx4 v[136:139], off, off offset:944
	s_waitcnt vmcnt(0)
	v_add_f64 v[136:137], v[136:137], -v[0:1]
	v_add_f64 v[138:139], v[138:139], -v[2:3]
	scratch_store_dwordx4 off, v[136:139], off offset:944
	ds_read2_b64 v[136:139], v250 offset0:120 offset1:121
	s_waitcnt lgkmcnt(0)
	v_mul_f64 v[0:1], v[138:139], v[134:135]
	v_mul_f64 v[2:3], v[136:137], v[134:135]
	v_fma_f64 v[0:1], v[136:137], v[132:133], -v[0:1]
	;; [unrolled: 11-line block ×3, first 2 shown]
	v_fmac_f64_e32 v[134:135], v[140:141], v[132:133]
	scratch_load_dwordx4 v[138:141], off, off offset:976
	s_waitcnt vmcnt(0)
	v_add_f64 v[132:133], v[138:139], -v[136:137]
	v_add_f64 v[134:135], v[140:141], -v[134:135]
	scratch_store_dwordx4 off, v[132:135], off offset:976
.LBB123_405:
	s_or_b64 exec, exec, s[2:3]
	v_cmp_eq_u32_e32 vcc, 33, v248
	s_waitcnt lgkmcnt(0)
	s_barrier
	s_and_saveexec_b64 s[4:5], vcc
	s_cbranch_execz .LBB123_412
; %bb.406:
	scratch_load_dwordx4 v[132:135], off, s38
	s_waitcnt vmcnt(0)
	ds_write2_b64 v249, v[132:133], v[134:135] offset1:1
	scratch_load_dwordx4 v[132:135], off, s39
	s_waitcnt vmcnt(0)
	ds_write2_b64 v250, v[132:133], v[134:135] offset0:68 offset1:69
	scratch_load_dwordx4 v[132:135], off, s36
	s_waitcnt vmcnt(0)
	ds_write2_b64 v250, v[132:133], v[134:135] offset0:70 offset1:71
	;; [unrolled: 3-line block ×28, first 2 shown]
	ds_read2_b64 v[132:135], v249 offset1:1
	s_waitcnt lgkmcnt(0)
	v_cmp_neq_f64_e32 vcc, 0, v[132:133]
	v_cmp_neq_f64_e64 s[2:3], 0, v[134:135]
	s_or_b64 s[2:3], vcc, s[2:3]
	s_and_b64 exec, exec, s[2:3]
	s_cbranch_execz .LBB123_412
; %bb.407:
	v_cmp_ngt_f64_e64 s[2:3], |v[132:133]|, |v[134:135]|
                                        ; implicit-def: $vgpr136_vgpr137
	s_and_saveexec_b64 s[10:11], s[2:3]
	s_xor_b64 s[2:3], exec, s[10:11]
                                        ; implicit-def: $vgpr138_vgpr139
	s_cbranch_execz .LBB123_409
; %bb.408:
	v_div_scale_f64 v[0:1], s[10:11], v[134:135], v[134:135], v[132:133]
	v_rcp_f64_e32 v[2:3], v[0:1]
	v_div_scale_f64 v[136:137], vcc, v[132:133], v[134:135], v[132:133]
	v_fma_f64 v[138:139], -v[0:1], v[2:3], 1.0
	v_fmac_f64_e32 v[2:3], v[2:3], v[138:139]
	v_fma_f64 v[138:139], -v[0:1], v[2:3], 1.0
	v_fmac_f64_e32 v[2:3], v[2:3], v[138:139]
	v_mul_f64 v[138:139], v[136:137], v[2:3]
	v_fma_f64 v[0:1], -v[0:1], v[138:139], v[136:137]
	v_div_fmas_f64 v[0:1], v[0:1], v[2:3], v[138:139]
	v_div_fixup_f64 v[0:1], v[0:1], v[134:135], v[132:133]
	v_fmac_f64_e32 v[134:135], v[132:133], v[0:1]
	v_div_scale_f64 v[2:3], s[10:11], v[134:135], v[134:135], 1.0
	v_rcp_f64_e32 v[132:133], v[2:3]
	s_nop 0
	v_fma_f64 v[136:137], -v[2:3], v[132:133], 1.0
	v_fmac_f64_e32 v[132:133], v[132:133], v[136:137]
	v_fma_f64 v[136:137], -v[2:3], v[132:133], 1.0
	v_fmac_f64_e32 v[132:133], v[132:133], v[136:137]
	v_div_scale_f64 v[136:137], vcc, 1.0, v[134:135], 1.0
	v_mul_f64 v[138:139], v[136:137], v[132:133]
	v_fma_f64 v[2:3], -v[2:3], v[138:139], v[136:137]
	s_nop 1
	v_div_fmas_f64 v[2:3], v[2:3], v[132:133], v[138:139]
	v_div_fixup_f64 v[138:139], v[2:3], v[134:135], 1.0
	v_mul_f64 v[136:137], v[0:1], v[138:139]
	v_xor_b32_e32 v139, 0x80000000, v139
                                        ; implicit-def: $vgpr132_vgpr133
.LBB123_409:
	s_andn2_saveexec_b64 s[2:3], s[2:3]
	s_cbranch_execz .LBB123_411
; %bb.410:
	v_div_scale_f64 v[0:1], s[10:11], v[132:133], v[132:133], v[134:135]
	v_rcp_f64_e32 v[2:3], v[0:1]
	v_div_scale_f64 v[136:137], vcc, v[134:135], v[132:133], v[134:135]
	v_fma_f64 v[138:139], -v[0:1], v[2:3], 1.0
	v_fmac_f64_e32 v[2:3], v[2:3], v[138:139]
	v_fma_f64 v[138:139], -v[0:1], v[2:3], 1.0
	v_fmac_f64_e32 v[2:3], v[2:3], v[138:139]
	v_mul_f64 v[138:139], v[136:137], v[2:3]
	v_fma_f64 v[0:1], -v[0:1], v[138:139], v[136:137]
	v_div_fmas_f64 v[0:1], v[0:1], v[2:3], v[138:139]
	v_div_fixup_f64 v[0:1], v[0:1], v[132:133], v[134:135]
	v_fmac_f64_e32 v[132:133], v[134:135], v[0:1]
	v_div_scale_f64 v[2:3], s[10:11], v[132:133], v[132:133], 1.0
	v_rcp_f64_e32 v[134:135], v[2:3]
	s_nop 0
	v_fma_f64 v[136:137], -v[2:3], v[134:135], 1.0
	v_fmac_f64_e32 v[134:135], v[134:135], v[136:137]
	v_fma_f64 v[136:137], -v[2:3], v[134:135], 1.0
	v_fmac_f64_e32 v[134:135], v[134:135], v[136:137]
	v_div_scale_f64 v[136:137], vcc, 1.0, v[132:133], 1.0
	v_mul_f64 v[138:139], v[136:137], v[134:135]
	v_fma_f64 v[2:3], -v[2:3], v[138:139], v[136:137]
	s_nop 1
	v_div_fmas_f64 v[2:3], v[2:3], v[134:135], v[138:139]
	v_div_fixup_f64 v[136:137], v[2:3], v[132:133], 1.0
	v_mul_f64 v[138:139], v[0:1], -v[136:137]
.LBB123_411:
	s_or_b64 exec, exec, s[2:3]
	ds_write2_b64 v249, v[136:137], v[138:139] offset1:1
.LBB123_412:
	s_or_b64 exec, exec, s[4:5]
	s_waitcnt lgkmcnt(0)
	s_barrier
	ds_read2_b64 v[132:135], v249 offset1:1
	v_cmp_lt_u32_e32 vcc, 33, v248
	s_and_saveexec_b64 s[2:3], vcc
	s_cbranch_execz .LBB123_414
; %bb.413:
	scratch_load_dwordx4 v[136:139], off, off offset:528
	s_waitcnt vmcnt(0) lgkmcnt(0)
	v_mul_f64 v[0:1], v[134:135], v[138:139]
	v_mul_f64 v[142:143], v[132:133], v[138:139]
	v_fma_f64 v[140:141], v[132:133], v[136:137], -v[0:1]
	v_fmac_f64_e32 v[142:143], v[134:135], v[136:137]
	ds_read2_b64 v[136:139], v250 offset0:68 offset1:69
	scratch_store_dwordx4 off, v[140:143], off offset:528
	s_waitcnt lgkmcnt(0)
	v_mul_f64 v[0:1], v[138:139], v[142:143]
	v_mul_f64 v[2:3], v[136:137], v[142:143]
	v_fma_f64 v[0:1], v[136:137], v[140:141], -v[0:1]
	v_fmac_f64_e32 v[2:3], v[138:139], v[140:141]
	scratch_load_dwordx4 v[136:139], off, off offset:544
	s_waitcnt vmcnt(0)
	v_add_f64 v[136:137], v[136:137], -v[0:1]
	v_add_f64 v[138:139], v[138:139], -v[2:3]
	scratch_store_dwordx4 off, v[136:139], off offset:544
	ds_read2_b64 v[136:139], v250 offset0:70 offset1:71
	s_waitcnt lgkmcnt(0)
	v_mul_f64 v[0:1], v[138:139], v[142:143]
	v_mul_f64 v[2:3], v[136:137], v[142:143]
	v_fma_f64 v[0:1], v[136:137], v[140:141], -v[0:1]
	v_fmac_f64_e32 v[2:3], v[138:139], v[140:141]
	scratch_load_dwordx4 v[136:139], off, off offset:560
	s_waitcnt vmcnt(0)
	v_add_f64 v[136:137], v[136:137], -v[0:1]
	v_add_f64 v[138:139], v[138:139], -v[2:3]
	scratch_store_dwordx4 off, v[136:139], off offset:560
	ds_read2_b64 v[136:139], v250 offset0:72 offset1:73
	;; [unrolled: 11-line block ×5, first 2 shown]
	s_waitcnt lgkmcnt(0)
	v_mul_f64 v[0:1], v[138:139], v[142:143]
	v_mul_f64 v[2:3], v[136:137], v[142:143]
	v_fma_f64 v[0:1], v[136:137], v[140:141], -v[0:1]
	v_fmac_f64_e32 v[2:3], v[138:139], v[140:141]
	scratch_load_dwordx4 v[136:139], off, off offset:624
	ds_read2_b64 v[140:143], v250 offset0:80 offset1:81
	s_waitcnt vmcnt(0)
	v_add_f64 v[136:137], v[136:137], -v[0:1]
	v_add_f64 v[138:139], v[138:139], -v[2:3]
	scratch_store_dwordx4 off, v[136:139], off offset:624
	scratch_load_dwordx2 v[0:1], off, off offset:528
	s_nop 0
	scratch_load_dwordx4 v[136:139], off, off offset:528
	s_waitcnt vmcnt(0) lgkmcnt(0)
	v_mul_f64 v[2:3], v[142:143], v[138:139]
	v_mul_f64 v[144:145], v[140:141], v[138:139]
	v_fma_f64 v[2:3], v[140:141], v[0:1], -v[2:3]
	v_fmac_f64_e32 v[144:145], v[142:143], v[0:1]
	scratch_load_dwordx4 v[140:143], off, off offset:640
	s_waitcnt vmcnt(0)
	v_add_f64 v[140:141], v[140:141], -v[2:3]
	v_add_f64 v[142:143], v[142:143], -v[144:145]
	scratch_store_dwordx4 off, v[140:143], off offset:640
	ds_read2_b64 v[140:143], v250 offset0:82 offset1:83
	s_waitcnt lgkmcnt(0)
	v_mul_f64 v[2:3], v[142:143], v[138:139]
	v_mul_f64 v[144:145], v[140:141], v[138:139]
	v_fma_f64 v[2:3], v[140:141], v[0:1], -v[2:3]
	v_fmac_f64_e32 v[144:145], v[142:143], v[0:1]
	scratch_load_dwordx4 v[140:143], off, off offset:656
	s_waitcnt vmcnt(0)
	v_add_f64 v[140:141], v[140:141], -v[2:3]
	v_add_f64 v[142:143], v[142:143], -v[144:145]
	scratch_store_dwordx4 off, v[140:143], off offset:656
	ds_read2_b64 v[140:143], v250 offset0:84 offset1:85
	s_waitcnt lgkmcnt(0)
	;; [unrolled: 11-line block ×5, first 2 shown]
	v_mul_f64 v[2:3], v[142:143], v[138:139]
	v_fma_f64 v[2:3], v[140:141], v[0:1], -v[2:3]
	v_mul_f64 v[144:145], v[140:141], v[138:139]
	scratch_load_dwordx4 v[138:141], off, off offset:720
	v_fmac_f64_e32 v[144:145], v[142:143], v[0:1]
	s_waitcnt vmcnt(0)
	v_add_f64 v[138:139], v[138:139], -v[2:3]
	v_add_f64 v[140:141], v[140:141], -v[144:145]
	scratch_store_dwordx4 off, v[138:141], off offset:720
	ds_read2_b64 v[140:143], v250 offset0:92 offset1:93
	scratch_load_dwordx2 v[138:139], off, off offset:528
	scratch_load_dwordx2 v[0:1], off, off offset:536
	s_waitcnt vmcnt(0) lgkmcnt(0)
	v_mul_f64 v[2:3], v[142:143], v[0:1]
	v_mul_f64 v[144:145], v[140:141], v[0:1]
	v_fma_f64 v[2:3], v[140:141], v[138:139], -v[2:3]
	v_fmac_f64_e32 v[144:145], v[142:143], v[138:139]
	scratch_load_dwordx4 v[140:143], off, off offset:736
	s_waitcnt vmcnt(0)
	v_add_f64 v[140:141], v[140:141], -v[2:3]
	v_add_f64 v[142:143], v[142:143], -v[144:145]
	scratch_store_dwordx4 off, v[140:143], off offset:736
	ds_read2_b64 v[140:143], v250 offset0:94 offset1:95
	s_waitcnt lgkmcnt(0)
	v_mul_f64 v[2:3], v[142:143], v[0:1]
	v_mul_f64 v[144:145], v[140:141], v[0:1]
	v_fma_f64 v[2:3], v[140:141], v[138:139], -v[2:3]
	v_fmac_f64_e32 v[144:145], v[142:143], v[138:139]
	scratch_load_dwordx4 v[140:143], off, off offset:752
	s_waitcnt vmcnt(0)
	v_add_f64 v[140:141], v[140:141], -v[2:3]
	v_add_f64 v[142:143], v[142:143], -v[144:145]
	scratch_store_dwordx4 off, v[140:143], off offset:752
	ds_read2_b64 v[140:143], v250 offset0:96 offset1:97
	s_waitcnt lgkmcnt(0)
	;; [unrolled: 11-line block ×5, first 2 shown]
	v_mul_f64 v[2:3], v[142:143], v[0:1]
	v_mul_f64 v[0:1], v[140:141], v[0:1]
	v_fma_f64 v[2:3], v[140:141], v[138:139], -v[2:3]
	v_fmac_f64_e32 v[0:1], v[142:143], v[138:139]
	scratch_load_dwordx4 v[138:141], off, off offset:816
	s_waitcnt vmcnt(0)
	v_add_f64 v[138:139], v[138:139], -v[2:3]
	v_add_f64 v[140:141], v[140:141], -v[0:1]
	scratch_store_dwordx4 off, v[138:141], off offset:816
	ds_read2_b64 v[138:141], v250 offset0:104 offset1:105
	scratch_load_dwordx2 v[0:1], off, off offset:528
	scratch_load_dwordx2 v[2:3], off, off offset:536
	s_waitcnt vmcnt(0) lgkmcnt(0)
	v_mul_f64 v[142:143], v[140:141], v[2:3]
	v_mul_f64 v[144:145], v[138:139], v[2:3]
	v_fma_f64 v[142:143], v[138:139], v[0:1], -v[142:143]
	v_fmac_f64_e32 v[144:145], v[140:141], v[0:1]
	scratch_load_dwordx4 v[138:141], off, off offset:832
	s_waitcnt vmcnt(0)
	v_add_f64 v[138:139], v[138:139], -v[142:143]
	v_add_f64 v[140:141], v[140:141], -v[144:145]
	scratch_store_dwordx4 off, v[138:141], off offset:832
	ds_read2_b64 v[138:141], v250 offset0:106 offset1:107
	s_waitcnt lgkmcnt(0)
	v_mul_f64 v[142:143], v[140:141], v[2:3]
	v_mul_f64 v[144:145], v[138:139], v[2:3]
	v_fma_f64 v[142:143], v[138:139], v[0:1], -v[142:143]
	v_fmac_f64_e32 v[144:145], v[140:141], v[0:1]
	scratch_load_dwordx4 v[138:141], off, off offset:848
	s_waitcnt vmcnt(0)
	v_add_f64 v[138:139], v[138:139], -v[142:143]
	v_add_f64 v[140:141], v[140:141], -v[144:145]
	scratch_store_dwordx4 off, v[138:141], off offset:848
	ds_read2_b64 v[138:141], v250 offset0:108 offset1:109
	s_waitcnt lgkmcnt(0)
	;; [unrolled: 11-line block ×5, first 2 shown]
	v_mul_f64 v[142:143], v[140:141], v[2:3]
	v_mul_f64 v[2:3], v[138:139], v[2:3]
	v_fma_f64 v[142:143], v[138:139], v[0:1], -v[142:143]
	v_fmac_f64_e32 v[2:3], v[140:141], v[0:1]
	scratch_load_dwordx4 v[138:141], off, off offset:912
	s_waitcnt vmcnt(0)
	v_add_f64 v[138:139], v[138:139], -v[142:143]
	v_add_f64 v[140:141], v[140:141], -v[2:3]
	scratch_store_dwordx4 off, v[138:141], off offset:912
	scratch_load_dwordx2 v[138:139], off, off offset:536
	ds_read2_b64 v[140:143], v250 offset0:116 offset1:117
	s_waitcnt vmcnt(0) lgkmcnt(0)
	v_mul_f64 v[0:1], v[142:143], v[138:139]
	v_mul_f64 v[2:3], v[140:141], v[138:139]
	v_fma_f64 v[0:1], v[140:141], v[136:137], -v[0:1]
	v_fmac_f64_e32 v[2:3], v[142:143], v[136:137]
	scratch_load_dwordx4 v[140:143], off, off offset:928
	s_waitcnt vmcnt(0)
	v_add_f64 v[140:141], v[140:141], -v[0:1]
	v_add_f64 v[142:143], v[142:143], -v[2:3]
	scratch_store_dwordx4 off, v[140:143], off offset:928
	ds_read2_b64 v[142:145], v250 offset0:118 offset1:119
	s_waitcnt lgkmcnt(0)
	v_mul_f64 v[0:1], v[144:145], v[138:139]
	v_fma_f64 v[140:141], v[142:143], v[136:137], -v[0:1]
	v_mul_f64 v[142:143], v[142:143], v[138:139]
	v_fmac_f64_e32 v[142:143], v[144:145], v[136:137]
	scratch_load_dwordx4 v[144:147], off, off offset:944
	s_waitcnt vmcnt(0)
	v_add_f64 v[140:141], v[144:145], -v[140:141]
	v_add_f64 v[142:143], v[146:147], -v[142:143]
	scratch_store_dwordx4 off, v[140:143], off offset:944
	ds_read2_b64 v[140:143], v250 offset0:120 offset1:121
	s_waitcnt lgkmcnt(0)
	v_mul_f64 v[0:1], v[142:143], v[138:139]
	v_mul_f64 v[2:3], v[140:141], v[138:139]
	v_fma_f64 v[0:1], v[140:141], v[136:137], -v[0:1]
	v_fmac_f64_e32 v[2:3], v[142:143], v[136:137]
	scratch_load_dwordx4 v[140:143], off, off offset:960
	s_waitcnt vmcnt(0)
	v_add_f64 v[140:141], v[140:141], -v[0:1]
	v_add_f64 v[142:143], v[142:143], -v[2:3]
	scratch_store_dwordx4 off, v[140:143], off offset:960
	ds_read2_b64 v[142:145], v250 offset0:122 offset1:123
	s_waitcnt lgkmcnt(0)
	v_mul_f64 v[0:1], v[144:145], v[138:139]
	v_mul_f64 v[138:139], v[142:143], v[138:139]
	v_fma_f64 v[140:141], v[142:143], v[136:137], -v[0:1]
	v_fmac_f64_e32 v[138:139], v[144:145], v[136:137]
	scratch_load_dwordx4 v[142:145], off, off offset:976
	s_waitcnt vmcnt(0)
	v_add_f64 v[136:137], v[142:143], -v[140:141]
	v_add_f64 v[138:139], v[144:145], -v[138:139]
	scratch_store_dwordx4 off, v[136:139], off offset:976
.LBB123_414:
	s_or_b64 exec, exec, s[2:3]
	v_cmp_eq_u32_e32 vcc, 34, v248
	s_waitcnt lgkmcnt(0)
	s_barrier
	s_and_saveexec_b64 s[4:5], vcc
	s_cbranch_execz .LBB123_421
; %bb.415:
	scratch_load_dwordx4 v[136:139], off, s39
	s_waitcnt vmcnt(0)
	ds_write2_b64 v249, v[136:137], v[138:139] offset1:1
	scratch_load_dwordx4 v[136:139], off, s36
	s_waitcnt vmcnt(0)
	ds_write2_b64 v250, v[136:137], v[138:139] offset0:70 offset1:71
	scratch_load_dwordx4 v[136:139], off, s37
	s_waitcnt vmcnt(0)
	ds_write2_b64 v250, v[136:137], v[138:139] offset0:72 offset1:73
	scratch_load_dwordx4 v[136:139], off, s34
	s_waitcnt vmcnt(0)
	ds_write2_b64 v250, v[136:137], v[138:139] offset0:74 offset1:75
	scratch_load_dwordx4 v[136:139], off, s35
	s_waitcnt vmcnt(0)
	ds_write2_b64 v250, v[136:137], v[138:139] offset0:76 offset1:77
	scratch_load_dwordx4 v[136:139], off, s31
	s_waitcnt vmcnt(0)
	ds_write2_b64 v250, v[136:137], v[138:139] offset0:78 offset1:79
	scratch_load_dwordx4 v[136:139], off, s33
	s_waitcnt vmcnt(0)
	ds_write2_b64 v250, v[136:137], v[138:139] offset0:80 offset1:81
	scratch_load_dwordx4 v[136:139], off, s29
	s_waitcnt vmcnt(0)
	ds_write2_b64 v250, v[136:137], v[138:139] offset0:82 offset1:83
	scratch_load_dwordx4 v[136:139], off, s30
	s_waitcnt vmcnt(0)
	ds_write2_b64 v250, v[136:137], v[138:139] offset0:84 offset1:85
	scratch_load_dwordx4 v[136:139], off, s27
	s_waitcnt vmcnt(0)
	ds_write2_b64 v250, v[136:137], v[138:139] offset0:86 offset1:87
	scratch_load_dwordx4 v[136:139], off, s28
	s_waitcnt vmcnt(0)
	ds_write2_b64 v250, v[136:137], v[138:139] offset0:88 offset1:89
	scratch_load_dwordx4 v[136:139], off, s25
	s_waitcnt vmcnt(0)
	ds_write2_b64 v250, v[136:137], v[138:139] offset0:90 offset1:91
	scratch_load_dwordx4 v[136:139], off, s26
	s_waitcnt vmcnt(0)
	ds_write2_b64 v250, v[136:137], v[138:139] offset0:92 offset1:93
	scratch_load_dwordx4 v[136:139], off, s23
	s_waitcnt vmcnt(0)
	ds_write2_b64 v250, v[136:137], v[138:139] offset0:94 offset1:95
	scratch_load_dwordx4 v[136:139], off, s24
	s_waitcnt vmcnt(0)
	ds_write2_b64 v250, v[136:137], v[138:139] offset0:96 offset1:97
	scratch_load_dwordx4 v[136:139], off, s21
	s_waitcnt vmcnt(0)
	ds_write2_b64 v250, v[136:137], v[138:139] offset0:98 offset1:99
	scratch_load_dwordx4 v[136:139], off, s22
	s_waitcnt vmcnt(0)
	ds_write2_b64 v250, v[136:137], v[138:139] offset0:100 offset1:101
	scratch_load_dwordx4 v[136:139], off, s19
	s_waitcnt vmcnt(0)
	ds_write2_b64 v250, v[136:137], v[138:139] offset0:102 offset1:103
	scratch_load_dwordx4 v[136:139], off, s20
	s_waitcnt vmcnt(0)
	ds_write2_b64 v250, v[136:137], v[138:139] offset0:104 offset1:105
	scratch_load_dwordx4 v[136:139], off, s17
	s_waitcnt vmcnt(0)
	ds_write2_b64 v250, v[136:137], v[138:139] offset0:106 offset1:107
	scratch_load_dwordx4 v[136:139], off, s18
	s_waitcnt vmcnt(0)
	ds_write2_b64 v250, v[136:137], v[138:139] offset0:108 offset1:109
	scratch_load_dwordx4 v[136:139], off, s15
	s_waitcnt vmcnt(0)
	ds_write2_b64 v250, v[136:137], v[138:139] offset0:110 offset1:111
	scratch_load_dwordx4 v[136:139], off, s16
	s_waitcnt vmcnt(0)
	ds_write2_b64 v250, v[136:137], v[138:139] offset0:112 offset1:113
	scratch_load_dwordx4 v[136:139], off, s13
	s_waitcnt vmcnt(0)
	ds_write2_b64 v250, v[136:137], v[138:139] offset0:114 offset1:115
	scratch_load_dwordx4 v[136:139], off, s14
	s_waitcnt vmcnt(0)
	ds_write2_b64 v250, v[136:137], v[138:139] offset0:116 offset1:117
	scratch_load_dwordx4 v[136:139], off, s8
	s_waitcnt vmcnt(0)
	ds_write2_b64 v250, v[136:137], v[138:139] offset0:118 offset1:119
	scratch_load_dwordx4 v[136:139], off, s12
	s_waitcnt vmcnt(0)
	ds_write2_b64 v250, v[136:137], v[138:139] offset0:120 offset1:121
	scratch_load_dwordx4 v[136:139], off, s42
	s_waitcnt vmcnt(0)
	ds_write2_b64 v250, v[136:137], v[138:139] offset0:122 offset1:123
	ds_read2_b64 v[136:139], v249 offset1:1
	s_waitcnt lgkmcnt(0)
	v_cmp_neq_f64_e32 vcc, 0, v[136:137]
	v_cmp_neq_f64_e64 s[2:3], 0, v[138:139]
	s_or_b64 s[2:3], vcc, s[2:3]
	s_and_b64 exec, exec, s[2:3]
	s_cbranch_execz .LBB123_421
; %bb.416:
	v_cmp_ngt_f64_e64 s[2:3], |v[136:137]|, |v[138:139]|
                                        ; implicit-def: $vgpr140_vgpr141
	s_and_saveexec_b64 s[10:11], s[2:3]
	s_xor_b64 s[2:3], exec, s[10:11]
                                        ; implicit-def: $vgpr142_vgpr143
	s_cbranch_execz .LBB123_418
; %bb.417:
	v_div_scale_f64 v[0:1], s[10:11], v[138:139], v[138:139], v[136:137]
	v_rcp_f64_e32 v[2:3], v[0:1]
	v_div_scale_f64 v[140:141], vcc, v[136:137], v[138:139], v[136:137]
	v_fma_f64 v[142:143], -v[0:1], v[2:3], 1.0
	v_fmac_f64_e32 v[2:3], v[2:3], v[142:143]
	v_fma_f64 v[142:143], -v[0:1], v[2:3], 1.0
	v_fmac_f64_e32 v[2:3], v[2:3], v[142:143]
	v_mul_f64 v[142:143], v[140:141], v[2:3]
	v_fma_f64 v[0:1], -v[0:1], v[142:143], v[140:141]
	v_div_fmas_f64 v[0:1], v[0:1], v[2:3], v[142:143]
	v_div_fixup_f64 v[0:1], v[0:1], v[138:139], v[136:137]
	v_fmac_f64_e32 v[138:139], v[136:137], v[0:1]
	v_div_scale_f64 v[2:3], s[10:11], v[138:139], v[138:139], 1.0
	v_rcp_f64_e32 v[136:137], v[2:3]
	s_nop 0
	v_fma_f64 v[140:141], -v[2:3], v[136:137], 1.0
	v_fmac_f64_e32 v[136:137], v[136:137], v[140:141]
	v_fma_f64 v[140:141], -v[2:3], v[136:137], 1.0
	v_fmac_f64_e32 v[136:137], v[136:137], v[140:141]
	v_div_scale_f64 v[140:141], vcc, 1.0, v[138:139], 1.0
	v_mul_f64 v[142:143], v[140:141], v[136:137]
	v_fma_f64 v[2:3], -v[2:3], v[142:143], v[140:141]
	s_nop 1
	v_div_fmas_f64 v[2:3], v[2:3], v[136:137], v[142:143]
	v_div_fixup_f64 v[142:143], v[2:3], v[138:139], 1.0
	v_mul_f64 v[140:141], v[0:1], v[142:143]
	v_xor_b32_e32 v143, 0x80000000, v143
                                        ; implicit-def: $vgpr136_vgpr137
.LBB123_418:
	s_andn2_saveexec_b64 s[2:3], s[2:3]
	s_cbranch_execz .LBB123_420
; %bb.419:
	v_div_scale_f64 v[0:1], s[10:11], v[136:137], v[136:137], v[138:139]
	v_rcp_f64_e32 v[2:3], v[0:1]
	v_div_scale_f64 v[140:141], vcc, v[138:139], v[136:137], v[138:139]
	v_fma_f64 v[142:143], -v[0:1], v[2:3], 1.0
	v_fmac_f64_e32 v[2:3], v[2:3], v[142:143]
	v_fma_f64 v[142:143], -v[0:1], v[2:3], 1.0
	v_fmac_f64_e32 v[2:3], v[2:3], v[142:143]
	v_mul_f64 v[142:143], v[140:141], v[2:3]
	v_fma_f64 v[0:1], -v[0:1], v[142:143], v[140:141]
	v_div_fmas_f64 v[0:1], v[0:1], v[2:3], v[142:143]
	v_div_fixup_f64 v[0:1], v[0:1], v[136:137], v[138:139]
	v_fmac_f64_e32 v[136:137], v[138:139], v[0:1]
	v_div_scale_f64 v[2:3], s[10:11], v[136:137], v[136:137], 1.0
	v_rcp_f64_e32 v[138:139], v[2:3]
	s_nop 0
	v_fma_f64 v[140:141], -v[2:3], v[138:139], 1.0
	v_fmac_f64_e32 v[138:139], v[138:139], v[140:141]
	v_fma_f64 v[140:141], -v[2:3], v[138:139], 1.0
	v_fmac_f64_e32 v[138:139], v[138:139], v[140:141]
	v_div_scale_f64 v[140:141], vcc, 1.0, v[136:137], 1.0
	v_mul_f64 v[142:143], v[140:141], v[138:139]
	v_fma_f64 v[2:3], -v[2:3], v[142:143], v[140:141]
	s_nop 1
	v_div_fmas_f64 v[2:3], v[2:3], v[138:139], v[142:143]
	v_div_fixup_f64 v[140:141], v[2:3], v[136:137], 1.0
	v_mul_f64 v[142:143], v[0:1], -v[140:141]
.LBB123_420:
	s_or_b64 exec, exec, s[2:3]
	ds_write2_b64 v249, v[140:141], v[142:143] offset1:1
.LBB123_421:
	s_or_b64 exec, exec, s[4:5]
	s_waitcnt lgkmcnt(0)
	s_barrier
	ds_read2_b64 v[136:139], v249 offset1:1
	v_cmp_lt_u32_e32 vcc, 34, v248
	s_and_saveexec_b64 s[2:3], vcc
	s_cbranch_execz .LBB123_423
; %bb.422:
	scratch_load_dwordx4 v[140:143], off, off offset:544
	s_waitcnt vmcnt(0) lgkmcnt(0)
	v_mul_f64 v[0:1], v[138:139], v[142:143]
	v_mul_f64 v[146:147], v[136:137], v[142:143]
	v_fma_f64 v[144:145], v[136:137], v[140:141], -v[0:1]
	v_fmac_f64_e32 v[146:147], v[138:139], v[140:141]
	ds_read2_b64 v[140:143], v250 offset0:70 offset1:71
	scratch_store_dwordx4 off, v[144:147], off offset:544
	s_waitcnt lgkmcnt(0)
	v_mul_f64 v[0:1], v[142:143], v[146:147]
	v_mul_f64 v[2:3], v[140:141], v[146:147]
	v_fma_f64 v[0:1], v[140:141], v[144:145], -v[0:1]
	v_fmac_f64_e32 v[2:3], v[142:143], v[144:145]
	scratch_load_dwordx4 v[140:143], off, off offset:560
	s_waitcnt vmcnt(0)
	v_add_f64 v[140:141], v[140:141], -v[0:1]
	v_add_f64 v[142:143], v[142:143], -v[2:3]
	scratch_store_dwordx4 off, v[140:143], off offset:560
	ds_read2_b64 v[140:143], v250 offset0:72 offset1:73
	s_waitcnt lgkmcnt(0)
	v_mul_f64 v[0:1], v[142:143], v[146:147]
	v_mul_f64 v[2:3], v[140:141], v[146:147]
	v_fma_f64 v[0:1], v[140:141], v[144:145], -v[0:1]
	v_fmac_f64_e32 v[2:3], v[142:143], v[144:145]
	scratch_load_dwordx4 v[140:143], off, off offset:576
	s_waitcnt vmcnt(0)
	v_add_f64 v[140:141], v[140:141], -v[0:1]
	v_add_f64 v[142:143], v[142:143], -v[2:3]
	scratch_store_dwordx4 off, v[140:143], off offset:576
	ds_read2_b64 v[140:143], v250 offset0:74 offset1:75
	;; [unrolled: 11-line block ×5, first 2 shown]
	s_waitcnt lgkmcnt(0)
	v_mul_f64 v[0:1], v[142:143], v[146:147]
	v_mul_f64 v[2:3], v[140:141], v[146:147]
	v_fma_f64 v[0:1], v[140:141], v[144:145], -v[0:1]
	v_fmac_f64_e32 v[2:3], v[142:143], v[144:145]
	scratch_load_dwordx4 v[140:143], off, off offset:640
	ds_read2_b64 v[146:149], v250 offset0:82 offset1:83
	s_waitcnt vmcnt(0)
	v_add_f64 v[140:141], v[140:141], -v[0:1]
	v_add_f64 v[142:143], v[142:143], -v[2:3]
	scratch_store_dwordx4 off, v[140:143], off offset:640
	scratch_load_dwordx2 v[144:145], off, off offset:544
	s_nop 0
	scratch_load_dwordx4 v[140:143], off, off offset:544
	s_waitcnt vmcnt(0) lgkmcnt(0)
	v_mul_f64 v[0:1], v[148:149], v[142:143]
	v_mul_f64 v[2:3], v[146:147], v[142:143]
	v_fma_f64 v[0:1], v[146:147], v[144:145], -v[0:1]
	v_fmac_f64_e32 v[2:3], v[148:149], v[144:145]
	scratch_load_dwordx4 v[146:149], off, off offset:656
	s_waitcnt vmcnt(0)
	v_add_f64 v[146:147], v[146:147], -v[0:1]
	v_add_f64 v[148:149], v[148:149], -v[2:3]
	scratch_store_dwordx4 off, v[146:149], off offset:656
	ds_read2_b64 v[146:149], v250 offset0:84 offset1:85
	s_waitcnt lgkmcnt(0)
	v_mul_f64 v[0:1], v[148:149], v[142:143]
	v_mul_f64 v[2:3], v[146:147], v[142:143]
	v_fma_f64 v[0:1], v[146:147], v[144:145], -v[0:1]
	v_fmac_f64_e32 v[2:3], v[148:149], v[144:145]
	scratch_load_dwordx4 v[146:149], off, off offset:672
	s_waitcnt vmcnt(0)
	v_add_f64 v[146:147], v[146:147], -v[0:1]
	v_add_f64 v[148:149], v[148:149], -v[2:3]
	scratch_store_dwordx4 off, v[146:149], off offset:672
	ds_read2_b64 v[146:149], v250 offset0:86 offset1:87
	s_waitcnt lgkmcnt(0)
	v_mul_f64 v[0:1], v[148:149], v[142:143]
	v_mul_f64 v[2:3], v[146:147], v[142:143]
	v_fma_f64 v[0:1], v[146:147], v[144:145], -v[0:1]
	v_fmac_f64_e32 v[2:3], v[148:149], v[144:145]
	scratch_load_dwordx4 v[146:149], off, off offset:688
	s_waitcnt vmcnt(0)
	v_add_f64 v[146:147], v[146:147], -v[0:1]
	v_add_f64 v[148:149], v[148:149], -v[2:3]
	scratch_store_dwordx4 off, v[146:149], off offset:688
	ds_read2_b64 v[146:149], v250 offset0:88 offset1:89
	s_waitcnt lgkmcnt(0)
	v_mul_f64 v[0:1], v[148:149], v[142:143]
	v_mul_f64 v[2:3], v[146:147], v[142:143]
	v_fma_f64 v[0:1], v[146:147], v[144:145], -v[0:1]
	v_fmac_f64_e32 v[2:3], v[148:149], v[144:145]
	scratch_load_dwordx4 v[146:149], off, off offset:704
	s_waitcnt vmcnt(0)
	v_add_f64 v[146:147], v[146:147], -v[0:1]
	v_add_f64 v[148:149], v[148:149], -v[2:3]
	scratch_store_dwordx4 off, v[146:149], off offset:704
	ds_read2_b64 v[146:149], v250 offset0:90 offset1:91
	s_waitcnt lgkmcnt(0)
	v_mul_f64 v[0:1], v[148:149], v[142:143]
	v_mul_f64 v[2:3], v[146:147], v[142:143]
	v_fma_f64 v[0:1], v[146:147], v[144:145], -v[0:1]
	v_fmac_f64_e32 v[2:3], v[148:149], v[144:145]
	scratch_load_dwordx4 v[146:149], off, off offset:720
	s_waitcnt vmcnt(0)
	v_add_f64 v[146:147], v[146:147], -v[0:1]
	v_add_f64 v[148:149], v[148:149], -v[2:3]
	scratch_store_dwordx4 off, v[146:149], off offset:720
	ds_read2_b64 v[146:149], v250 offset0:92 offset1:93
	s_waitcnt lgkmcnt(0)
	v_mul_f64 v[0:1], v[148:149], v[142:143]
	v_mul_f64 v[2:3], v[146:147], v[142:143]
	v_fma_f64 v[0:1], v[146:147], v[144:145], -v[0:1]
	v_fmac_f64_e32 v[2:3], v[148:149], v[144:145]
	scratch_load_dwordx4 v[142:145], off, off offset:736
	s_waitcnt vmcnt(0)
	v_add_f64 v[142:143], v[142:143], -v[0:1]
	v_add_f64 v[144:145], v[144:145], -v[2:3]
	scratch_store_dwordx4 off, v[142:145], off offset:736
	ds_read2_b64 v[144:147], v250 offset0:94 offset1:95
	scratch_load_dwordx2 v[142:143], off, off offset:544
	scratch_load_dwordx2 v[0:1], off, off offset:552
	s_waitcnt vmcnt(0) lgkmcnt(0)
	v_mul_f64 v[2:3], v[146:147], v[0:1]
	v_mul_f64 v[148:149], v[144:145], v[0:1]
	v_fma_f64 v[2:3], v[144:145], v[142:143], -v[2:3]
	v_fmac_f64_e32 v[148:149], v[146:147], v[142:143]
	scratch_load_dwordx4 v[144:147], off, off offset:752
	s_waitcnt vmcnt(0)
	v_add_f64 v[144:145], v[144:145], -v[2:3]
	v_add_f64 v[146:147], v[146:147], -v[148:149]
	scratch_store_dwordx4 off, v[144:147], off offset:752
	ds_read2_b64 v[144:147], v250 offset0:96 offset1:97
	s_waitcnt lgkmcnt(0)
	v_mul_f64 v[2:3], v[146:147], v[0:1]
	v_mul_f64 v[148:149], v[144:145], v[0:1]
	v_fma_f64 v[2:3], v[144:145], v[142:143], -v[2:3]
	v_fmac_f64_e32 v[148:149], v[146:147], v[142:143]
	scratch_load_dwordx4 v[144:147], off, off offset:768
	s_waitcnt vmcnt(0)
	v_add_f64 v[144:145], v[144:145], -v[2:3]
	v_add_f64 v[146:147], v[146:147], -v[148:149]
	scratch_store_dwordx4 off, v[144:147], off offset:768
	ds_read2_b64 v[144:147], v250 offset0:98 offset1:99
	s_waitcnt lgkmcnt(0)
	;; [unrolled: 11-line block ×5, first 2 shown]
	v_mul_f64 v[2:3], v[146:147], v[0:1]
	v_mul_f64 v[0:1], v[144:145], v[0:1]
	v_fma_f64 v[2:3], v[144:145], v[142:143], -v[2:3]
	v_fmac_f64_e32 v[0:1], v[146:147], v[142:143]
	scratch_load_dwordx4 v[142:145], off, off offset:832
	s_waitcnt vmcnt(0)
	v_add_f64 v[142:143], v[142:143], -v[2:3]
	v_add_f64 v[144:145], v[144:145], -v[0:1]
	scratch_store_dwordx4 off, v[142:145], off offset:832
	ds_read2_b64 v[142:145], v250 offset0:106 offset1:107
	scratch_load_dwordx2 v[0:1], off, off offset:544
	scratch_load_dwordx2 v[2:3], off, off offset:552
	s_waitcnt vmcnt(0) lgkmcnt(0)
	v_mul_f64 v[146:147], v[144:145], v[2:3]
	v_mul_f64 v[148:149], v[142:143], v[2:3]
	v_fma_f64 v[146:147], v[142:143], v[0:1], -v[146:147]
	v_fmac_f64_e32 v[148:149], v[144:145], v[0:1]
	scratch_load_dwordx4 v[142:145], off, off offset:848
	s_waitcnt vmcnt(0)
	v_add_f64 v[142:143], v[142:143], -v[146:147]
	v_add_f64 v[144:145], v[144:145], -v[148:149]
	scratch_store_dwordx4 off, v[142:145], off offset:848
	ds_read2_b64 v[142:145], v250 offset0:108 offset1:109
	s_waitcnt lgkmcnt(0)
	v_mul_f64 v[146:147], v[144:145], v[2:3]
	v_mul_f64 v[148:149], v[142:143], v[2:3]
	v_fma_f64 v[146:147], v[142:143], v[0:1], -v[146:147]
	v_fmac_f64_e32 v[148:149], v[144:145], v[0:1]
	scratch_load_dwordx4 v[142:145], off, off offset:864
	s_waitcnt vmcnt(0)
	v_add_f64 v[142:143], v[142:143], -v[146:147]
	v_add_f64 v[144:145], v[144:145], -v[148:149]
	scratch_store_dwordx4 off, v[142:145], off offset:864
	ds_read2_b64 v[142:145], v250 offset0:110 offset1:111
	s_waitcnt lgkmcnt(0)
	;; [unrolled: 11-line block ×5, first 2 shown]
	v_mul_f64 v[146:147], v[144:145], v[2:3]
	v_mul_f64 v[2:3], v[142:143], v[2:3]
	v_fma_f64 v[146:147], v[142:143], v[0:1], -v[146:147]
	v_fmac_f64_e32 v[2:3], v[144:145], v[0:1]
	scratch_load_dwordx4 v[142:145], off, off offset:928
	scratch_load_dwordx2 v[0:1], off, off offset:552
	s_waitcnt vmcnt(1)
	v_add_f64 v[142:143], v[142:143], -v[146:147]
	v_add_f64 v[144:145], v[144:145], -v[2:3]
	scratch_store_dwordx4 off, v[142:145], off offset:928
	ds_read2_b64 v[142:145], v250 offset0:118 offset1:119
	s_waitcnt vmcnt(1) lgkmcnt(0)
	v_mul_f64 v[2:3], v[144:145], v[0:1]
	v_mul_f64 v[146:147], v[142:143], v[0:1]
	v_fma_f64 v[2:3], v[142:143], v[140:141], -v[2:3]
	v_fmac_f64_e32 v[146:147], v[144:145], v[140:141]
	scratch_load_dwordx4 v[142:145], off, off offset:944
	s_waitcnt vmcnt(0)
	v_add_f64 v[142:143], v[142:143], -v[2:3]
	v_add_f64 v[144:145], v[144:145], -v[146:147]
	scratch_store_dwordx4 off, v[142:145], off offset:944
	ds_read2_b64 v[142:145], v250 offset0:120 offset1:121
	s_waitcnt lgkmcnt(0)
	v_mul_f64 v[2:3], v[144:145], v[0:1]
	v_mul_f64 v[146:147], v[142:143], v[0:1]
	v_fma_f64 v[2:3], v[142:143], v[140:141], -v[2:3]
	v_fmac_f64_e32 v[146:147], v[144:145], v[140:141]
	scratch_load_dwordx4 v[142:145], off, off offset:960
	s_waitcnt vmcnt(0)
	v_add_f64 v[142:143], v[142:143], -v[2:3]
	v_add_f64 v[144:145], v[144:145], -v[146:147]
	scratch_store_dwordx4 off, v[142:145], off offset:960
	ds_read2_b64 v[144:147], v250 offset0:122 offset1:123
	s_waitcnt lgkmcnt(0)
	v_mul_f64 v[2:3], v[146:147], v[0:1]
	v_fma_f64 v[142:143], v[144:145], v[140:141], -v[2:3]
	v_mul_f64 v[144:145], v[144:145], v[0:1]
	v_fmac_f64_e32 v[144:145], v[146:147], v[140:141]
	scratch_load_dwordx4 v[146:149], off, off offset:976
	s_waitcnt vmcnt(0)
	v_add_f64 v[140:141], v[146:147], -v[142:143]
	v_add_f64 v[142:143], v[148:149], -v[144:145]
	scratch_store_dwordx4 off, v[140:143], off offset:976
.LBB123_423:
	s_or_b64 exec, exec, s[2:3]
	v_cmp_eq_u32_e32 vcc, 35, v248
	s_waitcnt lgkmcnt(0)
	s_barrier
	s_and_saveexec_b64 s[4:5], vcc
	s_cbranch_execz .LBB123_430
; %bb.424:
	scratch_load_dwordx4 v[140:143], off, s36
	s_waitcnt vmcnt(0)
	ds_write2_b64 v249, v[140:141], v[142:143] offset1:1
	scratch_load_dwordx4 v[140:143], off, s37
	s_waitcnt vmcnt(0)
	ds_write2_b64 v250, v[140:141], v[142:143] offset0:72 offset1:73
	scratch_load_dwordx4 v[140:143], off, s34
	s_waitcnt vmcnt(0)
	ds_write2_b64 v250, v[140:141], v[142:143] offset0:74 offset1:75
	;; [unrolled: 3-line block ×26, first 2 shown]
	ds_read2_b64 v[140:143], v249 offset1:1
	s_waitcnt lgkmcnt(0)
	v_cmp_neq_f64_e32 vcc, 0, v[140:141]
	v_cmp_neq_f64_e64 s[2:3], 0, v[142:143]
	s_or_b64 s[2:3], vcc, s[2:3]
	s_and_b64 exec, exec, s[2:3]
	s_cbranch_execz .LBB123_430
; %bb.425:
	v_cmp_ngt_f64_e64 s[2:3], |v[140:141]|, |v[142:143]|
                                        ; implicit-def: $vgpr144_vgpr145
	s_and_saveexec_b64 s[10:11], s[2:3]
	s_xor_b64 s[2:3], exec, s[10:11]
                                        ; implicit-def: $vgpr146_vgpr147
	s_cbranch_execz .LBB123_427
; %bb.426:
	v_div_scale_f64 v[0:1], s[10:11], v[142:143], v[142:143], v[140:141]
	v_rcp_f64_e32 v[2:3], v[0:1]
	v_div_scale_f64 v[144:145], vcc, v[140:141], v[142:143], v[140:141]
	v_fma_f64 v[146:147], -v[0:1], v[2:3], 1.0
	v_fmac_f64_e32 v[2:3], v[2:3], v[146:147]
	v_fma_f64 v[146:147], -v[0:1], v[2:3], 1.0
	v_fmac_f64_e32 v[2:3], v[2:3], v[146:147]
	v_mul_f64 v[146:147], v[144:145], v[2:3]
	v_fma_f64 v[0:1], -v[0:1], v[146:147], v[144:145]
	v_div_fmas_f64 v[0:1], v[0:1], v[2:3], v[146:147]
	v_div_fixup_f64 v[0:1], v[0:1], v[142:143], v[140:141]
	v_fmac_f64_e32 v[142:143], v[140:141], v[0:1]
	v_div_scale_f64 v[2:3], s[10:11], v[142:143], v[142:143], 1.0
	v_rcp_f64_e32 v[140:141], v[2:3]
	s_nop 0
	v_fma_f64 v[144:145], -v[2:3], v[140:141], 1.0
	v_fmac_f64_e32 v[140:141], v[140:141], v[144:145]
	v_fma_f64 v[144:145], -v[2:3], v[140:141], 1.0
	v_fmac_f64_e32 v[140:141], v[140:141], v[144:145]
	v_div_scale_f64 v[144:145], vcc, 1.0, v[142:143], 1.0
	v_mul_f64 v[146:147], v[144:145], v[140:141]
	v_fma_f64 v[2:3], -v[2:3], v[146:147], v[144:145]
	s_nop 1
	v_div_fmas_f64 v[2:3], v[2:3], v[140:141], v[146:147]
	v_div_fixup_f64 v[146:147], v[2:3], v[142:143], 1.0
	v_mul_f64 v[144:145], v[0:1], v[146:147]
	v_xor_b32_e32 v147, 0x80000000, v147
                                        ; implicit-def: $vgpr140_vgpr141
.LBB123_427:
	s_andn2_saveexec_b64 s[2:3], s[2:3]
	s_cbranch_execz .LBB123_429
; %bb.428:
	v_div_scale_f64 v[0:1], s[10:11], v[140:141], v[140:141], v[142:143]
	v_rcp_f64_e32 v[2:3], v[0:1]
	v_div_scale_f64 v[144:145], vcc, v[142:143], v[140:141], v[142:143]
	v_fma_f64 v[146:147], -v[0:1], v[2:3], 1.0
	v_fmac_f64_e32 v[2:3], v[2:3], v[146:147]
	v_fma_f64 v[146:147], -v[0:1], v[2:3], 1.0
	v_fmac_f64_e32 v[2:3], v[2:3], v[146:147]
	v_mul_f64 v[146:147], v[144:145], v[2:3]
	v_fma_f64 v[0:1], -v[0:1], v[146:147], v[144:145]
	v_div_fmas_f64 v[0:1], v[0:1], v[2:3], v[146:147]
	v_div_fixup_f64 v[0:1], v[0:1], v[140:141], v[142:143]
	v_fmac_f64_e32 v[140:141], v[142:143], v[0:1]
	v_div_scale_f64 v[2:3], s[10:11], v[140:141], v[140:141], 1.0
	v_rcp_f64_e32 v[142:143], v[2:3]
	s_nop 0
	v_fma_f64 v[144:145], -v[2:3], v[142:143], 1.0
	v_fmac_f64_e32 v[142:143], v[142:143], v[144:145]
	v_fma_f64 v[144:145], -v[2:3], v[142:143], 1.0
	v_fmac_f64_e32 v[142:143], v[142:143], v[144:145]
	v_div_scale_f64 v[144:145], vcc, 1.0, v[140:141], 1.0
	v_mul_f64 v[146:147], v[144:145], v[142:143]
	v_fma_f64 v[2:3], -v[2:3], v[146:147], v[144:145]
	s_nop 1
	v_div_fmas_f64 v[2:3], v[2:3], v[142:143], v[146:147]
	v_div_fixup_f64 v[144:145], v[2:3], v[140:141], 1.0
	v_mul_f64 v[146:147], v[0:1], -v[144:145]
.LBB123_429:
	s_or_b64 exec, exec, s[2:3]
	ds_write2_b64 v249, v[144:145], v[146:147] offset1:1
.LBB123_430:
	s_or_b64 exec, exec, s[4:5]
	s_waitcnt lgkmcnt(0)
	s_barrier
	ds_read2_b64 v[140:143], v249 offset1:1
	v_cmp_lt_u32_e32 vcc, 35, v248
	s_and_saveexec_b64 s[2:3], vcc
	s_cbranch_execz .LBB123_432
; %bb.431:
	scratch_load_dwordx4 v[144:147], off, off offset:560
	s_waitcnt vmcnt(0) lgkmcnt(0)
	v_mul_f64 v[0:1], v[142:143], v[146:147]
	v_mul_f64 v[150:151], v[140:141], v[146:147]
	v_fma_f64 v[148:149], v[140:141], v[144:145], -v[0:1]
	v_fmac_f64_e32 v[150:151], v[142:143], v[144:145]
	ds_read2_b64 v[144:147], v250 offset0:72 offset1:73
	scratch_store_dwordx4 off, v[148:151], off offset:560
	s_waitcnt lgkmcnt(0)
	v_mul_f64 v[0:1], v[146:147], v[150:151]
	v_mul_f64 v[2:3], v[144:145], v[150:151]
	v_fma_f64 v[0:1], v[144:145], v[148:149], -v[0:1]
	v_fmac_f64_e32 v[2:3], v[146:147], v[148:149]
	scratch_load_dwordx4 v[144:147], off, off offset:576
	s_waitcnt vmcnt(0)
	v_add_f64 v[144:145], v[144:145], -v[0:1]
	v_add_f64 v[146:147], v[146:147], -v[2:3]
	scratch_store_dwordx4 off, v[144:147], off offset:576
	ds_read2_b64 v[144:147], v250 offset0:74 offset1:75
	s_waitcnt lgkmcnt(0)
	v_mul_f64 v[0:1], v[146:147], v[150:151]
	v_mul_f64 v[2:3], v[144:145], v[150:151]
	v_fma_f64 v[0:1], v[144:145], v[148:149], -v[0:1]
	v_fmac_f64_e32 v[2:3], v[146:147], v[148:149]
	scratch_load_dwordx4 v[144:147], off, off offset:592
	s_waitcnt vmcnt(0)
	v_add_f64 v[144:145], v[144:145], -v[0:1]
	v_add_f64 v[146:147], v[146:147], -v[2:3]
	scratch_store_dwordx4 off, v[144:147], off offset:592
	ds_read2_b64 v[144:147], v250 offset0:76 offset1:77
	;; [unrolled: 11-line block ×5, first 2 shown]
	s_waitcnt lgkmcnt(0)
	v_mul_f64 v[0:1], v[146:147], v[150:151]
	v_mul_f64 v[2:3], v[144:145], v[150:151]
	v_fma_f64 v[0:1], v[144:145], v[148:149], -v[0:1]
	v_fmac_f64_e32 v[2:3], v[146:147], v[148:149]
	scratch_load_dwordx4 v[144:147], off, off offset:656
	ds_read2_b64 v[150:153], v250 offset0:84 offset1:85
	s_waitcnt vmcnt(0)
	v_add_f64 v[144:145], v[144:145], -v[0:1]
	v_add_f64 v[146:147], v[146:147], -v[2:3]
	scratch_store_dwordx4 off, v[144:147], off offset:656
	scratch_load_dwordx2 v[148:149], off, off offset:560
	s_nop 0
	scratch_load_dwordx4 v[144:147], off, off offset:560
	s_waitcnt vmcnt(0) lgkmcnt(0)
	v_mul_f64 v[0:1], v[152:153], v[146:147]
	v_mul_f64 v[2:3], v[150:151], v[146:147]
	v_fma_f64 v[0:1], v[150:151], v[148:149], -v[0:1]
	v_fmac_f64_e32 v[2:3], v[152:153], v[148:149]
	scratch_load_dwordx4 v[150:153], off, off offset:672
	s_waitcnt vmcnt(0)
	v_add_f64 v[150:151], v[150:151], -v[0:1]
	v_add_f64 v[152:153], v[152:153], -v[2:3]
	scratch_store_dwordx4 off, v[150:153], off offset:672
	ds_read2_b64 v[150:153], v250 offset0:86 offset1:87
	s_waitcnt lgkmcnt(0)
	v_mul_f64 v[0:1], v[152:153], v[146:147]
	v_mul_f64 v[2:3], v[150:151], v[146:147]
	v_fma_f64 v[0:1], v[150:151], v[148:149], -v[0:1]
	v_fmac_f64_e32 v[2:3], v[152:153], v[148:149]
	scratch_load_dwordx4 v[150:153], off, off offset:688
	s_waitcnt vmcnt(0)
	v_add_f64 v[150:151], v[150:151], -v[0:1]
	v_add_f64 v[152:153], v[152:153], -v[2:3]
	scratch_store_dwordx4 off, v[150:153], off offset:688
	ds_read2_b64 v[150:153], v250 offset0:88 offset1:89
	s_waitcnt lgkmcnt(0)
	;; [unrolled: 11-line block ×5, first 2 shown]
	v_mul_f64 v[0:1], v[152:153], v[146:147]
	v_mul_f64 v[2:3], v[150:151], v[146:147]
	v_fma_f64 v[0:1], v[150:151], v[148:149], -v[0:1]
	v_fmac_f64_e32 v[2:3], v[152:153], v[148:149]
	scratch_load_dwordx4 v[146:149], off, off offset:752
	s_waitcnt vmcnt(0)
	v_add_f64 v[146:147], v[146:147], -v[0:1]
	v_add_f64 v[148:149], v[148:149], -v[2:3]
	scratch_store_dwordx4 off, v[146:149], off offset:752
	ds_read2_b64 v[148:151], v250 offset0:96 offset1:97
	scratch_load_dwordx2 v[146:147], off, off offset:560
	scratch_load_dwordx2 v[0:1], off, off offset:568
	s_waitcnt vmcnt(0) lgkmcnt(0)
	v_mul_f64 v[2:3], v[150:151], v[0:1]
	v_mul_f64 v[152:153], v[148:149], v[0:1]
	v_fma_f64 v[2:3], v[148:149], v[146:147], -v[2:3]
	v_fmac_f64_e32 v[152:153], v[150:151], v[146:147]
	scratch_load_dwordx4 v[148:151], off, off offset:768
	s_waitcnt vmcnt(0)
	v_add_f64 v[148:149], v[148:149], -v[2:3]
	v_add_f64 v[150:151], v[150:151], -v[152:153]
	scratch_store_dwordx4 off, v[148:151], off offset:768
	ds_read2_b64 v[148:151], v250 offset0:98 offset1:99
	s_waitcnt lgkmcnt(0)
	v_mul_f64 v[2:3], v[150:151], v[0:1]
	v_mul_f64 v[152:153], v[148:149], v[0:1]
	v_fma_f64 v[2:3], v[148:149], v[146:147], -v[2:3]
	v_fmac_f64_e32 v[152:153], v[150:151], v[146:147]
	scratch_load_dwordx4 v[148:151], off, off offset:784
	s_waitcnt vmcnt(0)
	v_add_f64 v[148:149], v[148:149], -v[2:3]
	v_add_f64 v[150:151], v[150:151], -v[152:153]
	scratch_store_dwordx4 off, v[148:151], off offset:784
	ds_read2_b64 v[148:151], v250 offset0:100 offset1:101
	s_waitcnt lgkmcnt(0)
	;; [unrolled: 11-line block ×5, first 2 shown]
	v_mul_f64 v[2:3], v[150:151], v[0:1]
	v_mul_f64 v[0:1], v[148:149], v[0:1]
	v_fma_f64 v[2:3], v[148:149], v[146:147], -v[2:3]
	v_fmac_f64_e32 v[0:1], v[150:151], v[146:147]
	scratch_load_dwordx4 v[146:149], off, off offset:848
	s_waitcnt vmcnt(0)
	v_add_f64 v[146:147], v[146:147], -v[2:3]
	v_add_f64 v[148:149], v[148:149], -v[0:1]
	scratch_store_dwordx4 off, v[146:149], off offset:848
	ds_read2_b64 v[146:149], v250 offset0:108 offset1:109
	scratch_load_dwordx2 v[0:1], off, off offset:560
	scratch_load_dwordx2 v[2:3], off, off offset:568
	s_waitcnt vmcnt(0) lgkmcnt(0)
	v_mul_f64 v[150:151], v[148:149], v[2:3]
	v_mul_f64 v[152:153], v[146:147], v[2:3]
	v_fma_f64 v[150:151], v[146:147], v[0:1], -v[150:151]
	v_fmac_f64_e32 v[152:153], v[148:149], v[0:1]
	scratch_load_dwordx4 v[146:149], off, off offset:864
	s_waitcnt vmcnt(0)
	v_add_f64 v[146:147], v[146:147], -v[150:151]
	v_add_f64 v[148:149], v[148:149], -v[152:153]
	scratch_store_dwordx4 off, v[146:149], off offset:864
	ds_read2_b64 v[146:149], v250 offset0:110 offset1:111
	s_waitcnt lgkmcnt(0)
	v_mul_f64 v[150:151], v[148:149], v[2:3]
	v_mul_f64 v[152:153], v[146:147], v[2:3]
	v_fma_f64 v[150:151], v[146:147], v[0:1], -v[150:151]
	v_fmac_f64_e32 v[152:153], v[148:149], v[0:1]
	scratch_load_dwordx4 v[146:149], off, off offset:880
	s_waitcnt vmcnt(0)
	v_add_f64 v[146:147], v[146:147], -v[150:151]
	v_add_f64 v[148:149], v[148:149], -v[152:153]
	scratch_store_dwordx4 off, v[146:149], off offset:880
	ds_read2_b64 v[146:149], v250 offset0:112 offset1:113
	s_waitcnt lgkmcnt(0)
	;; [unrolled: 11-line block ×5, first 2 shown]
	v_mul_f64 v[150:151], v[148:149], v[2:3]
	v_mul_f64 v[2:3], v[146:147], v[2:3]
	v_fma_f64 v[150:151], v[146:147], v[0:1], -v[150:151]
	v_fmac_f64_e32 v[2:3], v[148:149], v[0:1]
	scratch_load_dwordx4 v[146:149], off, off offset:944
	scratch_load_dwordx2 v[0:1], off, off offset:568
	s_waitcnt vmcnt(1)
	v_add_f64 v[146:147], v[146:147], -v[150:151]
	v_add_f64 v[148:149], v[148:149], -v[2:3]
	scratch_store_dwordx4 off, v[146:149], off offset:944
	ds_read2_b64 v[146:149], v250 offset0:120 offset1:121
	s_waitcnt vmcnt(1) lgkmcnt(0)
	v_mul_f64 v[2:3], v[148:149], v[0:1]
	v_mul_f64 v[150:151], v[146:147], v[0:1]
	v_fma_f64 v[2:3], v[146:147], v[144:145], -v[2:3]
	v_fmac_f64_e32 v[150:151], v[148:149], v[144:145]
	scratch_load_dwordx4 v[146:149], off, off offset:960
	s_waitcnt vmcnt(0)
	v_add_f64 v[148:149], v[148:149], -v[150:151]
	ds_read2_b64 v[150:153], v250 offset0:122 offset1:123
	v_add_f64 v[146:147], v[146:147], -v[2:3]
	scratch_store_dwordx4 off, v[146:149], off offset:960
	s_waitcnt lgkmcnt(0)
	v_mul_f64 v[2:3], v[152:153], v[0:1]
	v_fma_f64 v[148:149], v[150:151], v[144:145], -v[2:3]
	v_mul_f64 v[150:151], v[150:151], v[0:1]
	v_fmac_f64_e32 v[150:151], v[152:153], v[144:145]
	scratch_load_dwordx4 v[144:147], off, off offset:976
	s_waitcnt vmcnt(0)
	v_add_f64 v[144:145], v[144:145], -v[148:149]
	v_add_f64 v[146:147], v[146:147], -v[150:151]
	scratch_store_dwordx4 off, v[144:147], off offset:976
.LBB123_432:
	s_or_b64 exec, exec, s[2:3]
	v_cmp_eq_u32_e32 vcc, 36, v248
	s_waitcnt lgkmcnt(0)
	s_barrier
	s_and_saveexec_b64 s[4:5], vcc
	s_cbranch_execz .LBB123_439
; %bb.433:
	scratch_load_dwordx4 v[144:147], off, s37
	s_waitcnt vmcnt(0)
	ds_write2_b64 v249, v[144:145], v[146:147] offset1:1
	scratch_load_dwordx4 v[144:147], off, s34
	s_waitcnt vmcnt(0)
	ds_write2_b64 v250, v[144:145], v[146:147] offset0:74 offset1:75
	scratch_load_dwordx4 v[144:147], off, s35
	s_waitcnt vmcnt(0)
	ds_write2_b64 v250, v[144:145], v[146:147] offset0:76 offset1:77
	;; [unrolled: 3-line block ×25, first 2 shown]
	ds_read2_b64 v[144:147], v249 offset1:1
	s_waitcnt lgkmcnt(0)
	v_cmp_neq_f64_e32 vcc, 0, v[144:145]
	v_cmp_neq_f64_e64 s[2:3], 0, v[146:147]
	s_or_b64 s[2:3], vcc, s[2:3]
	s_and_b64 exec, exec, s[2:3]
	s_cbranch_execz .LBB123_439
; %bb.434:
	v_cmp_ngt_f64_e64 s[2:3], |v[144:145]|, |v[146:147]|
                                        ; implicit-def: $vgpr148_vgpr149
	s_and_saveexec_b64 s[10:11], s[2:3]
	s_xor_b64 s[2:3], exec, s[10:11]
                                        ; implicit-def: $vgpr150_vgpr151
	s_cbranch_execz .LBB123_436
; %bb.435:
	v_div_scale_f64 v[0:1], s[10:11], v[146:147], v[146:147], v[144:145]
	v_rcp_f64_e32 v[2:3], v[0:1]
	v_div_scale_f64 v[148:149], vcc, v[144:145], v[146:147], v[144:145]
	v_fma_f64 v[150:151], -v[0:1], v[2:3], 1.0
	v_fmac_f64_e32 v[2:3], v[2:3], v[150:151]
	v_fma_f64 v[150:151], -v[0:1], v[2:3], 1.0
	v_fmac_f64_e32 v[2:3], v[2:3], v[150:151]
	v_mul_f64 v[150:151], v[148:149], v[2:3]
	v_fma_f64 v[0:1], -v[0:1], v[150:151], v[148:149]
	v_div_fmas_f64 v[0:1], v[0:1], v[2:3], v[150:151]
	v_div_fixup_f64 v[0:1], v[0:1], v[146:147], v[144:145]
	v_fmac_f64_e32 v[146:147], v[144:145], v[0:1]
	v_div_scale_f64 v[2:3], s[10:11], v[146:147], v[146:147], 1.0
	v_rcp_f64_e32 v[144:145], v[2:3]
	s_nop 0
	v_fma_f64 v[148:149], -v[2:3], v[144:145], 1.0
	v_fmac_f64_e32 v[144:145], v[144:145], v[148:149]
	v_fma_f64 v[148:149], -v[2:3], v[144:145], 1.0
	v_fmac_f64_e32 v[144:145], v[144:145], v[148:149]
	v_div_scale_f64 v[148:149], vcc, 1.0, v[146:147], 1.0
	v_mul_f64 v[150:151], v[148:149], v[144:145]
	v_fma_f64 v[2:3], -v[2:3], v[150:151], v[148:149]
	s_nop 1
	v_div_fmas_f64 v[2:3], v[2:3], v[144:145], v[150:151]
	v_div_fixup_f64 v[150:151], v[2:3], v[146:147], 1.0
	v_mul_f64 v[148:149], v[0:1], v[150:151]
	v_xor_b32_e32 v151, 0x80000000, v151
                                        ; implicit-def: $vgpr144_vgpr145
.LBB123_436:
	s_andn2_saveexec_b64 s[2:3], s[2:3]
	s_cbranch_execz .LBB123_438
; %bb.437:
	v_div_scale_f64 v[0:1], s[10:11], v[144:145], v[144:145], v[146:147]
	v_rcp_f64_e32 v[2:3], v[0:1]
	v_div_scale_f64 v[148:149], vcc, v[146:147], v[144:145], v[146:147]
	v_fma_f64 v[150:151], -v[0:1], v[2:3], 1.0
	v_fmac_f64_e32 v[2:3], v[2:3], v[150:151]
	v_fma_f64 v[150:151], -v[0:1], v[2:3], 1.0
	v_fmac_f64_e32 v[2:3], v[2:3], v[150:151]
	v_mul_f64 v[150:151], v[148:149], v[2:3]
	v_fma_f64 v[0:1], -v[0:1], v[150:151], v[148:149]
	v_div_fmas_f64 v[0:1], v[0:1], v[2:3], v[150:151]
	v_div_fixup_f64 v[0:1], v[0:1], v[144:145], v[146:147]
	v_fmac_f64_e32 v[144:145], v[146:147], v[0:1]
	v_div_scale_f64 v[2:3], s[10:11], v[144:145], v[144:145], 1.0
	v_rcp_f64_e32 v[146:147], v[2:3]
	s_nop 0
	v_fma_f64 v[148:149], -v[2:3], v[146:147], 1.0
	v_fmac_f64_e32 v[146:147], v[146:147], v[148:149]
	v_fma_f64 v[148:149], -v[2:3], v[146:147], 1.0
	v_fmac_f64_e32 v[146:147], v[146:147], v[148:149]
	v_div_scale_f64 v[148:149], vcc, 1.0, v[144:145], 1.0
	v_mul_f64 v[150:151], v[148:149], v[146:147]
	v_fma_f64 v[2:3], -v[2:3], v[150:151], v[148:149]
	s_nop 1
	v_div_fmas_f64 v[2:3], v[2:3], v[146:147], v[150:151]
	v_div_fixup_f64 v[148:149], v[2:3], v[144:145], 1.0
	v_mul_f64 v[150:151], v[0:1], -v[148:149]
.LBB123_438:
	s_or_b64 exec, exec, s[2:3]
	ds_write2_b64 v249, v[148:149], v[150:151] offset1:1
.LBB123_439:
	s_or_b64 exec, exec, s[4:5]
	s_waitcnt lgkmcnt(0)
	s_barrier
	ds_read2_b64 v[144:147], v249 offset1:1
	v_cmp_lt_u32_e32 vcc, 36, v248
	s_and_saveexec_b64 s[2:3], vcc
	s_cbranch_execz .LBB123_441
; %bb.440:
	scratch_load_dwordx4 v[148:151], off, off offset:576
	s_waitcnt vmcnt(0) lgkmcnt(0)
	v_mul_f64 v[0:1], v[146:147], v[150:151]
	v_mul_f64 v[154:155], v[144:145], v[150:151]
	v_fma_f64 v[152:153], v[144:145], v[148:149], -v[0:1]
	v_fmac_f64_e32 v[154:155], v[146:147], v[148:149]
	ds_read2_b64 v[148:151], v250 offset0:74 offset1:75
	scratch_store_dwordx4 off, v[152:155], off offset:576
	s_waitcnt lgkmcnt(0)
	v_mul_f64 v[0:1], v[150:151], v[154:155]
	v_mul_f64 v[2:3], v[148:149], v[154:155]
	v_fma_f64 v[0:1], v[148:149], v[152:153], -v[0:1]
	v_fmac_f64_e32 v[2:3], v[150:151], v[152:153]
	scratch_load_dwordx4 v[148:151], off, off offset:592
	s_waitcnt vmcnt(0)
	v_add_f64 v[148:149], v[148:149], -v[0:1]
	v_add_f64 v[150:151], v[150:151], -v[2:3]
	scratch_store_dwordx4 off, v[148:151], off offset:592
	ds_read2_b64 v[148:151], v250 offset0:76 offset1:77
	s_waitcnt lgkmcnt(0)
	v_mul_f64 v[0:1], v[150:151], v[154:155]
	v_mul_f64 v[2:3], v[148:149], v[154:155]
	v_fma_f64 v[0:1], v[148:149], v[152:153], -v[0:1]
	v_fmac_f64_e32 v[2:3], v[150:151], v[152:153]
	scratch_load_dwordx4 v[148:151], off, off offset:608
	s_waitcnt vmcnt(0)
	v_add_f64 v[148:149], v[148:149], -v[0:1]
	v_add_f64 v[150:151], v[150:151], -v[2:3]
	scratch_store_dwordx4 off, v[148:151], off offset:608
	ds_read2_b64 v[148:151], v250 offset0:78 offset1:79
	s_waitcnt lgkmcnt(0)
	v_mul_f64 v[0:1], v[150:151], v[154:155]
	v_mul_f64 v[2:3], v[148:149], v[154:155]
	v_fma_f64 v[0:1], v[148:149], v[152:153], -v[0:1]
	v_fmac_f64_e32 v[2:3], v[150:151], v[152:153]
	scratch_load_dwordx4 v[148:151], off, off offset:624
	s_waitcnt vmcnt(0)
	v_add_f64 v[148:149], v[148:149], -v[0:1]
	v_add_f64 v[150:151], v[150:151], -v[2:3]
	scratch_store_dwordx4 off, v[148:151], off offset:624
	ds_read2_b64 v[148:151], v250 offset0:80 offset1:81
	s_waitcnt lgkmcnt(0)
	v_mul_f64 v[0:1], v[150:151], v[154:155]
	v_mul_f64 v[2:3], v[148:149], v[154:155]
	v_fma_f64 v[0:1], v[148:149], v[152:153], -v[0:1]
	v_fmac_f64_e32 v[2:3], v[150:151], v[152:153]
	scratch_load_dwordx4 v[148:151], off, off offset:640
	s_waitcnt vmcnt(0)
	v_add_f64 v[148:149], v[148:149], -v[0:1]
	v_add_f64 v[150:151], v[150:151], -v[2:3]
	scratch_store_dwordx4 off, v[148:151], off offset:640
	ds_read2_b64 v[148:151], v250 offset0:82 offset1:83
	s_waitcnt lgkmcnt(0)
	v_mul_f64 v[0:1], v[150:151], v[154:155]
	v_mul_f64 v[2:3], v[148:149], v[154:155]
	v_fma_f64 v[0:1], v[148:149], v[152:153], -v[0:1]
	v_fmac_f64_e32 v[2:3], v[150:151], v[152:153]
	scratch_load_dwordx4 v[148:151], off, off offset:656
	s_waitcnt vmcnt(0)
	v_add_f64 v[148:149], v[148:149], -v[0:1]
	v_add_f64 v[150:151], v[150:151], -v[2:3]
	scratch_store_dwordx4 off, v[148:151], off offset:656
	ds_read2_b64 v[148:151], v250 offset0:84 offset1:85
	s_waitcnt lgkmcnt(0)
	v_mul_f64 v[0:1], v[150:151], v[154:155]
	v_mul_f64 v[2:3], v[148:149], v[154:155]
	v_fma_f64 v[0:1], v[148:149], v[152:153], -v[0:1]
	v_fmac_f64_e32 v[2:3], v[150:151], v[152:153]
	scratch_load_dwordx4 v[148:151], off, off offset:672
	ds_read2_b64 v[152:155], v250 offset0:86 offset1:87
	s_waitcnt vmcnt(0)
	v_add_f64 v[148:149], v[148:149], -v[0:1]
	v_add_f64 v[150:151], v[150:151], -v[2:3]
	scratch_store_dwordx4 off, v[148:151], off offset:672
	scratch_load_dwordx2 v[0:1], off, off offset:576
	s_nop 0
	scratch_load_dwordx4 v[148:151], off, off offset:576
	s_waitcnt vmcnt(0) lgkmcnt(0)
	v_mul_f64 v[2:3], v[154:155], v[150:151]
	v_mul_f64 v[156:157], v[152:153], v[150:151]
	v_fma_f64 v[2:3], v[152:153], v[0:1], -v[2:3]
	v_fmac_f64_e32 v[156:157], v[154:155], v[0:1]
	scratch_load_dwordx4 v[152:155], off, off offset:688
	s_waitcnt vmcnt(0)
	v_add_f64 v[152:153], v[152:153], -v[2:3]
	v_add_f64 v[154:155], v[154:155], -v[156:157]
	scratch_store_dwordx4 off, v[152:155], off offset:688
	ds_read2_b64 v[152:155], v250 offset0:88 offset1:89
	s_waitcnt lgkmcnt(0)
	v_mul_f64 v[2:3], v[154:155], v[150:151]
	v_mul_f64 v[156:157], v[152:153], v[150:151]
	v_fma_f64 v[2:3], v[152:153], v[0:1], -v[2:3]
	v_fmac_f64_e32 v[156:157], v[154:155], v[0:1]
	scratch_load_dwordx4 v[152:155], off, off offset:704
	s_waitcnt vmcnt(0)
	v_add_f64 v[152:153], v[152:153], -v[2:3]
	v_add_f64 v[154:155], v[154:155], -v[156:157]
	scratch_store_dwordx4 off, v[152:155], off offset:704
	ds_read2_b64 v[152:155], v250 offset0:90 offset1:91
	s_waitcnt lgkmcnt(0)
	;; [unrolled: 11-line block ×5, first 2 shown]
	v_mul_f64 v[2:3], v[154:155], v[150:151]
	v_fma_f64 v[2:3], v[152:153], v[0:1], -v[2:3]
	v_mul_f64 v[156:157], v[152:153], v[150:151]
	scratch_load_dwordx4 v[150:153], off, off offset:768
	v_fmac_f64_e32 v[156:157], v[154:155], v[0:1]
	s_waitcnt vmcnt(0)
	v_add_f64 v[150:151], v[150:151], -v[2:3]
	v_add_f64 v[152:153], v[152:153], -v[156:157]
	scratch_store_dwordx4 off, v[150:153], off offset:768
	ds_read2_b64 v[152:155], v250 offset0:98 offset1:99
	scratch_load_dwordx2 v[150:151], off, off offset:576
	scratch_load_dwordx2 v[0:1], off, off offset:584
	s_waitcnt vmcnt(0) lgkmcnt(0)
	v_mul_f64 v[2:3], v[154:155], v[0:1]
	v_mul_f64 v[156:157], v[152:153], v[0:1]
	v_fma_f64 v[2:3], v[152:153], v[150:151], -v[2:3]
	v_fmac_f64_e32 v[156:157], v[154:155], v[150:151]
	scratch_load_dwordx4 v[152:155], off, off offset:784
	s_waitcnt vmcnt(0)
	v_add_f64 v[152:153], v[152:153], -v[2:3]
	v_add_f64 v[154:155], v[154:155], -v[156:157]
	scratch_store_dwordx4 off, v[152:155], off offset:784
	ds_read2_b64 v[152:155], v250 offset0:100 offset1:101
	s_waitcnt lgkmcnt(0)
	v_mul_f64 v[2:3], v[154:155], v[0:1]
	v_mul_f64 v[156:157], v[152:153], v[0:1]
	v_fma_f64 v[2:3], v[152:153], v[150:151], -v[2:3]
	v_fmac_f64_e32 v[156:157], v[154:155], v[150:151]
	scratch_load_dwordx4 v[152:155], off, off offset:800
	s_waitcnt vmcnt(0)
	v_add_f64 v[152:153], v[152:153], -v[2:3]
	v_add_f64 v[154:155], v[154:155], -v[156:157]
	scratch_store_dwordx4 off, v[152:155], off offset:800
	ds_read2_b64 v[152:155], v250 offset0:102 offset1:103
	s_waitcnt lgkmcnt(0)
	;; [unrolled: 11-line block ×5, first 2 shown]
	v_mul_f64 v[2:3], v[154:155], v[0:1]
	v_mul_f64 v[0:1], v[152:153], v[0:1]
	v_fma_f64 v[2:3], v[152:153], v[150:151], -v[2:3]
	v_fmac_f64_e32 v[0:1], v[154:155], v[150:151]
	scratch_load_dwordx4 v[150:153], off, off offset:864
	s_waitcnt vmcnt(0)
	v_add_f64 v[150:151], v[150:151], -v[2:3]
	v_add_f64 v[152:153], v[152:153], -v[0:1]
	scratch_store_dwordx4 off, v[150:153], off offset:864
	ds_read2_b64 v[150:153], v250 offset0:110 offset1:111
	scratch_load_dwordx2 v[0:1], off, off offset:576
	scratch_load_dwordx2 v[2:3], off, off offset:584
	s_waitcnt vmcnt(0) lgkmcnt(0)
	v_mul_f64 v[154:155], v[152:153], v[2:3]
	v_mul_f64 v[156:157], v[150:151], v[2:3]
	v_fma_f64 v[154:155], v[150:151], v[0:1], -v[154:155]
	v_fmac_f64_e32 v[156:157], v[152:153], v[0:1]
	scratch_load_dwordx4 v[150:153], off, off offset:880
	s_waitcnt vmcnt(0)
	v_add_f64 v[150:151], v[150:151], -v[154:155]
	v_add_f64 v[152:153], v[152:153], -v[156:157]
	scratch_store_dwordx4 off, v[150:153], off offset:880
	ds_read2_b64 v[150:153], v250 offset0:112 offset1:113
	s_waitcnt lgkmcnt(0)
	v_mul_f64 v[154:155], v[152:153], v[2:3]
	v_mul_f64 v[156:157], v[150:151], v[2:3]
	v_fma_f64 v[154:155], v[150:151], v[0:1], -v[154:155]
	v_fmac_f64_e32 v[156:157], v[152:153], v[0:1]
	scratch_load_dwordx4 v[150:153], off, off offset:896
	s_waitcnt vmcnt(0)
	v_add_f64 v[150:151], v[150:151], -v[154:155]
	v_add_f64 v[152:153], v[152:153], -v[156:157]
	scratch_store_dwordx4 off, v[150:153], off offset:896
	ds_read2_b64 v[150:153], v250 offset0:114 offset1:115
	s_waitcnt lgkmcnt(0)
	;; [unrolled: 11-line block ×5, first 2 shown]
	v_mul_f64 v[154:155], v[152:153], v[2:3]
	v_mul_f64 v[2:3], v[150:151], v[2:3]
	v_fma_f64 v[154:155], v[150:151], v[0:1], -v[154:155]
	v_fmac_f64_e32 v[2:3], v[152:153], v[0:1]
	scratch_load_dwordx4 v[150:153], off, off offset:960
	scratch_load_dwordx2 v[0:1], off, off offset:584
	s_waitcnt vmcnt(1)
	v_add_f64 v[150:151], v[150:151], -v[154:155]
	ds_read2_b64 v[154:157], v250 offset0:122 offset1:123
	v_add_f64 v[152:153], v[152:153], -v[2:3]
	scratch_store_dwordx4 off, v[150:153], off offset:960
	s_waitcnt vmcnt(1) lgkmcnt(0)
	v_mul_f64 v[2:3], v[156:157], v[0:1]
	v_fma_f64 v[152:153], v[154:155], v[148:149], -v[2:3]
	v_mul_f64 v[154:155], v[154:155], v[0:1]
	v_fmac_f64_e32 v[154:155], v[156:157], v[148:149]
	scratch_load_dwordx4 v[148:151], off, off offset:976
	s_waitcnt vmcnt(0)
	v_add_f64 v[148:149], v[148:149], -v[152:153]
	v_add_f64 v[150:151], v[150:151], -v[154:155]
	scratch_store_dwordx4 off, v[148:151], off offset:976
.LBB123_441:
	s_or_b64 exec, exec, s[2:3]
	v_cmp_eq_u32_e32 vcc, 37, v248
	s_waitcnt lgkmcnt(0)
	s_barrier
	s_and_saveexec_b64 s[4:5], vcc
	s_cbranch_execz .LBB123_448
; %bb.442:
	scratch_load_dwordx4 v[148:151], off, s34
	s_waitcnt vmcnt(0)
	ds_write2_b64 v249, v[148:149], v[150:151] offset1:1
	scratch_load_dwordx4 v[148:151], off, s35
	s_waitcnt vmcnt(0)
	ds_write2_b64 v250, v[148:149], v[150:151] offset0:76 offset1:77
	scratch_load_dwordx4 v[148:151], off, s31
	s_waitcnt vmcnt(0)
	ds_write2_b64 v250, v[148:149], v[150:151] offset0:78 offset1:79
	;; [unrolled: 3-line block ×24, first 2 shown]
	ds_read2_b64 v[148:151], v249 offset1:1
	s_waitcnt lgkmcnt(0)
	v_cmp_neq_f64_e32 vcc, 0, v[148:149]
	v_cmp_neq_f64_e64 s[2:3], 0, v[150:151]
	s_or_b64 s[2:3], vcc, s[2:3]
	s_and_b64 exec, exec, s[2:3]
	s_cbranch_execz .LBB123_448
; %bb.443:
	v_cmp_ngt_f64_e64 s[2:3], |v[148:149]|, |v[150:151]|
                                        ; implicit-def: $vgpr152_vgpr153
	s_and_saveexec_b64 s[10:11], s[2:3]
	s_xor_b64 s[2:3], exec, s[10:11]
                                        ; implicit-def: $vgpr154_vgpr155
	s_cbranch_execz .LBB123_445
; %bb.444:
	v_div_scale_f64 v[0:1], s[10:11], v[150:151], v[150:151], v[148:149]
	v_rcp_f64_e32 v[2:3], v[0:1]
	v_div_scale_f64 v[152:153], vcc, v[148:149], v[150:151], v[148:149]
	v_fma_f64 v[154:155], -v[0:1], v[2:3], 1.0
	v_fmac_f64_e32 v[2:3], v[2:3], v[154:155]
	v_fma_f64 v[154:155], -v[0:1], v[2:3], 1.0
	v_fmac_f64_e32 v[2:3], v[2:3], v[154:155]
	v_mul_f64 v[154:155], v[152:153], v[2:3]
	v_fma_f64 v[0:1], -v[0:1], v[154:155], v[152:153]
	v_div_fmas_f64 v[0:1], v[0:1], v[2:3], v[154:155]
	v_div_fixup_f64 v[0:1], v[0:1], v[150:151], v[148:149]
	v_fmac_f64_e32 v[150:151], v[148:149], v[0:1]
	v_div_scale_f64 v[2:3], s[10:11], v[150:151], v[150:151], 1.0
	v_rcp_f64_e32 v[148:149], v[2:3]
	s_nop 0
	v_fma_f64 v[152:153], -v[2:3], v[148:149], 1.0
	v_fmac_f64_e32 v[148:149], v[148:149], v[152:153]
	v_fma_f64 v[152:153], -v[2:3], v[148:149], 1.0
	v_fmac_f64_e32 v[148:149], v[148:149], v[152:153]
	v_div_scale_f64 v[152:153], vcc, 1.0, v[150:151], 1.0
	v_mul_f64 v[154:155], v[152:153], v[148:149]
	v_fma_f64 v[2:3], -v[2:3], v[154:155], v[152:153]
	s_nop 1
	v_div_fmas_f64 v[2:3], v[2:3], v[148:149], v[154:155]
	v_div_fixup_f64 v[154:155], v[2:3], v[150:151], 1.0
	v_mul_f64 v[152:153], v[0:1], v[154:155]
	v_xor_b32_e32 v155, 0x80000000, v155
                                        ; implicit-def: $vgpr148_vgpr149
.LBB123_445:
	s_andn2_saveexec_b64 s[2:3], s[2:3]
	s_cbranch_execz .LBB123_447
; %bb.446:
	v_div_scale_f64 v[0:1], s[10:11], v[148:149], v[148:149], v[150:151]
	v_rcp_f64_e32 v[2:3], v[0:1]
	v_div_scale_f64 v[152:153], vcc, v[150:151], v[148:149], v[150:151]
	v_fma_f64 v[154:155], -v[0:1], v[2:3], 1.0
	v_fmac_f64_e32 v[2:3], v[2:3], v[154:155]
	v_fma_f64 v[154:155], -v[0:1], v[2:3], 1.0
	v_fmac_f64_e32 v[2:3], v[2:3], v[154:155]
	v_mul_f64 v[154:155], v[152:153], v[2:3]
	v_fma_f64 v[0:1], -v[0:1], v[154:155], v[152:153]
	v_div_fmas_f64 v[0:1], v[0:1], v[2:3], v[154:155]
	v_div_fixup_f64 v[0:1], v[0:1], v[148:149], v[150:151]
	v_fmac_f64_e32 v[148:149], v[150:151], v[0:1]
	v_div_scale_f64 v[2:3], s[10:11], v[148:149], v[148:149], 1.0
	v_rcp_f64_e32 v[150:151], v[2:3]
	s_nop 0
	v_fma_f64 v[152:153], -v[2:3], v[150:151], 1.0
	v_fmac_f64_e32 v[150:151], v[150:151], v[152:153]
	v_fma_f64 v[152:153], -v[2:3], v[150:151], 1.0
	v_fmac_f64_e32 v[150:151], v[150:151], v[152:153]
	v_div_scale_f64 v[152:153], vcc, 1.0, v[148:149], 1.0
	v_mul_f64 v[154:155], v[152:153], v[150:151]
	v_fma_f64 v[2:3], -v[2:3], v[154:155], v[152:153]
	s_nop 1
	v_div_fmas_f64 v[2:3], v[2:3], v[150:151], v[154:155]
	v_div_fixup_f64 v[152:153], v[2:3], v[148:149], 1.0
	v_mul_f64 v[154:155], v[0:1], -v[152:153]
.LBB123_447:
	s_or_b64 exec, exec, s[2:3]
	ds_write2_b64 v249, v[152:153], v[154:155] offset1:1
.LBB123_448:
	s_or_b64 exec, exec, s[4:5]
	s_waitcnt lgkmcnt(0)
	s_barrier
	ds_read2_b64 v[148:151], v249 offset1:1
	v_cmp_lt_u32_e32 vcc, 37, v248
	s_and_saveexec_b64 s[2:3], vcc
	s_cbranch_execz .LBB123_450
; %bb.449:
	scratch_load_dwordx4 v[152:155], off, off offset:592
	s_waitcnt vmcnt(0) lgkmcnt(0)
	v_mul_f64 v[0:1], v[150:151], v[154:155]
	v_mul_f64 v[158:159], v[148:149], v[154:155]
	v_fma_f64 v[156:157], v[148:149], v[152:153], -v[0:1]
	v_fmac_f64_e32 v[158:159], v[150:151], v[152:153]
	ds_read2_b64 v[152:155], v250 offset0:76 offset1:77
	scratch_store_dwordx4 off, v[156:159], off offset:592
	s_waitcnt lgkmcnt(0)
	v_mul_f64 v[0:1], v[154:155], v[158:159]
	v_mul_f64 v[2:3], v[152:153], v[158:159]
	v_fma_f64 v[0:1], v[152:153], v[156:157], -v[0:1]
	v_fmac_f64_e32 v[2:3], v[154:155], v[156:157]
	scratch_load_dwordx4 v[152:155], off, off offset:608
	s_waitcnt vmcnt(0)
	v_add_f64 v[152:153], v[152:153], -v[0:1]
	v_add_f64 v[154:155], v[154:155], -v[2:3]
	scratch_store_dwordx4 off, v[152:155], off offset:608
	ds_read2_b64 v[152:155], v250 offset0:78 offset1:79
	s_waitcnt lgkmcnt(0)
	v_mul_f64 v[0:1], v[154:155], v[158:159]
	v_mul_f64 v[2:3], v[152:153], v[158:159]
	v_fma_f64 v[0:1], v[152:153], v[156:157], -v[0:1]
	v_fmac_f64_e32 v[2:3], v[154:155], v[156:157]
	scratch_load_dwordx4 v[152:155], off, off offset:624
	s_waitcnt vmcnt(0)
	v_add_f64 v[152:153], v[152:153], -v[0:1]
	v_add_f64 v[154:155], v[154:155], -v[2:3]
	scratch_store_dwordx4 off, v[152:155], off offset:624
	ds_read2_b64 v[152:155], v250 offset0:80 offset1:81
	;; [unrolled: 11-line block ×5, first 2 shown]
	s_waitcnt lgkmcnt(0)
	v_mul_f64 v[0:1], v[154:155], v[158:159]
	v_mul_f64 v[2:3], v[152:153], v[158:159]
	v_fma_f64 v[0:1], v[152:153], v[156:157], -v[0:1]
	v_fmac_f64_e32 v[2:3], v[154:155], v[156:157]
	scratch_load_dwordx4 v[152:155], off, off offset:688
	ds_read2_b64 v[156:159], v250 offset0:88 offset1:89
	s_waitcnt vmcnt(0)
	v_add_f64 v[152:153], v[152:153], -v[0:1]
	v_add_f64 v[154:155], v[154:155], -v[2:3]
	scratch_store_dwordx4 off, v[152:155], off offset:688
	scratch_load_dwordx2 v[0:1], off, off offset:592
	s_nop 0
	scratch_load_dwordx4 v[152:155], off, off offset:592
	s_waitcnt vmcnt(0) lgkmcnt(0)
	v_mul_f64 v[2:3], v[158:159], v[154:155]
	v_mul_f64 v[160:161], v[156:157], v[154:155]
	v_fma_f64 v[2:3], v[156:157], v[0:1], -v[2:3]
	v_fmac_f64_e32 v[160:161], v[158:159], v[0:1]
	scratch_load_dwordx4 v[156:159], off, off offset:704
	s_waitcnt vmcnt(0)
	v_add_f64 v[156:157], v[156:157], -v[2:3]
	v_add_f64 v[158:159], v[158:159], -v[160:161]
	scratch_store_dwordx4 off, v[156:159], off offset:704
	ds_read2_b64 v[156:159], v250 offset0:90 offset1:91
	s_waitcnt lgkmcnt(0)
	v_mul_f64 v[2:3], v[158:159], v[154:155]
	v_mul_f64 v[160:161], v[156:157], v[154:155]
	v_fma_f64 v[2:3], v[156:157], v[0:1], -v[2:3]
	v_fmac_f64_e32 v[160:161], v[158:159], v[0:1]
	scratch_load_dwordx4 v[156:159], off, off offset:720
	s_waitcnt vmcnt(0)
	v_add_f64 v[156:157], v[156:157], -v[2:3]
	v_add_f64 v[158:159], v[158:159], -v[160:161]
	scratch_store_dwordx4 off, v[156:159], off offset:720
	ds_read2_b64 v[156:159], v250 offset0:92 offset1:93
	s_waitcnt lgkmcnt(0)
	;; [unrolled: 11-line block ×5, first 2 shown]
	v_mul_f64 v[2:3], v[158:159], v[154:155]
	v_fma_f64 v[2:3], v[156:157], v[0:1], -v[2:3]
	v_mul_f64 v[160:161], v[156:157], v[154:155]
	scratch_load_dwordx4 v[154:157], off, off offset:784
	v_fmac_f64_e32 v[160:161], v[158:159], v[0:1]
	s_waitcnt vmcnt(0)
	v_add_f64 v[154:155], v[154:155], -v[2:3]
	v_add_f64 v[156:157], v[156:157], -v[160:161]
	scratch_store_dwordx4 off, v[154:157], off offset:784
	ds_read2_b64 v[156:159], v250 offset0:100 offset1:101
	scratch_load_dwordx2 v[154:155], off, off offset:592
	scratch_load_dwordx2 v[0:1], off, off offset:600
	s_waitcnt vmcnt(0) lgkmcnt(0)
	v_mul_f64 v[2:3], v[158:159], v[0:1]
	v_mul_f64 v[160:161], v[156:157], v[0:1]
	v_fma_f64 v[2:3], v[156:157], v[154:155], -v[2:3]
	v_fmac_f64_e32 v[160:161], v[158:159], v[154:155]
	scratch_load_dwordx4 v[156:159], off, off offset:800
	s_waitcnt vmcnt(0)
	v_add_f64 v[156:157], v[156:157], -v[2:3]
	v_add_f64 v[158:159], v[158:159], -v[160:161]
	scratch_store_dwordx4 off, v[156:159], off offset:800
	ds_read2_b64 v[156:159], v250 offset0:102 offset1:103
	s_waitcnt lgkmcnt(0)
	v_mul_f64 v[2:3], v[158:159], v[0:1]
	v_mul_f64 v[160:161], v[156:157], v[0:1]
	v_fma_f64 v[2:3], v[156:157], v[154:155], -v[2:3]
	v_fmac_f64_e32 v[160:161], v[158:159], v[154:155]
	scratch_load_dwordx4 v[156:159], off, off offset:816
	s_waitcnt vmcnt(0)
	v_add_f64 v[156:157], v[156:157], -v[2:3]
	v_add_f64 v[158:159], v[158:159], -v[160:161]
	scratch_store_dwordx4 off, v[156:159], off offset:816
	ds_read2_b64 v[156:159], v250 offset0:104 offset1:105
	s_waitcnt lgkmcnt(0)
	;; [unrolled: 11-line block ×5, first 2 shown]
	v_mul_f64 v[2:3], v[158:159], v[0:1]
	v_mul_f64 v[0:1], v[156:157], v[0:1]
	v_fma_f64 v[2:3], v[156:157], v[154:155], -v[2:3]
	v_fmac_f64_e32 v[0:1], v[158:159], v[154:155]
	scratch_load_dwordx4 v[154:157], off, off offset:880
	s_waitcnt vmcnt(0)
	v_add_f64 v[156:157], v[156:157], -v[0:1]
	scratch_load_dwordx2 v[0:1], off, off offset:600
	v_add_f64 v[154:155], v[154:155], -v[2:3]
	scratch_store_dwordx4 off, v[154:157], off offset:880
	ds_read2_b64 v[154:157], v250 offset0:112 offset1:113
	s_waitcnt vmcnt(1) lgkmcnt(0)
	v_mul_f64 v[2:3], v[156:157], v[0:1]
	v_mul_f64 v[158:159], v[154:155], v[0:1]
	v_fma_f64 v[2:3], v[154:155], v[152:153], -v[2:3]
	v_fmac_f64_e32 v[158:159], v[156:157], v[152:153]
	scratch_load_dwordx4 v[154:157], off, off offset:896
	s_waitcnt vmcnt(0)
	v_add_f64 v[154:155], v[154:155], -v[2:3]
	v_add_f64 v[156:157], v[156:157], -v[158:159]
	scratch_store_dwordx4 off, v[154:157], off offset:896
	ds_read2_b64 v[154:157], v250 offset0:114 offset1:115
	s_waitcnt lgkmcnt(0)
	v_mul_f64 v[2:3], v[156:157], v[0:1]
	v_mul_f64 v[158:159], v[154:155], v[0:1]
	v_fma_f64 v[2:3], v[154:155], v[152:153], -v[2:3]
	v_fmac_f64_e32 v[158:159], v[156:157], v[152:153]
	scratch_load_dwordx4 v[154:157], off, off offset:912
	s_waitcnt vmcnt(0)
	v_add_f64 v[154:155], v[154:155], -v[2:3]
	v_add_f64 v[156:157], v[156:157], -v[158:159]
	scratch_store_dwordx4 off, v[154:157], off offset:912
	ds_read2_b64 v[154:157], v250 offset0:116 offset1:117
	s_waitcnt lgkmcnt(0)
	;; [unrolled: 11-line block ×4, first 2 shown]
	v_mul_f64 v[2:3], v[156:157], v[0:1]
	v_mul_f64 v[158:159], v[154:155], v[0:1]
	v_fma_f64 v[2:3], v[154:155], v[152:153], -v[2:3]
	v_fmac_f64_e32 v[158:159], v[156:157], v[152:153]
	scratch_load_dwordx4 v[154:157], off, off offset:960
	s_waitcnt vmcnt(0)
	v_add_f64 v[156:157], v[156:157], -v[158:159]
	ds_read2_b64 v[158:161], v250 offset0:122 offset1:123
	v_add_f64 v[154:155], v[154:155], -v[2:3]
	scratch_store_dwordx4 off, v[154:157], off offset:960
	s_waitcnt lgkmcnt(0)
	v_mul_f64 v[2:3], v[160:161], v[0:1]
	v_fma_f64 v[156:157], v[158:159], v[152:153], -v[2:3]
	v_mul_f64 v[158:159], v[158:159], v[0:1]
	v_fmac_f64_e32 v[158:159], v[160:161], v[152:153]
	scratch_load_dwordx4 v[152:155], off, off offset:976
	s_waitcnt vmcnt(0)
	v_add_f64 v[152:153], v[152:153], -v[156:157]
	v_add_f64 v[154:155], v[154:155], -v[158:159]
	scratch_store_dwordx4 off, v[152:155], off offset:976
.LBB123_450:
	s_or_b64 exec, exec, s[2:3]
	v_cmp_eq_u32_e32 vcc, 38, v248
	s_waitcnt lgkmcnt(0)
	s_barrier
	s_and_saveexec_b64 s[4:5], vcc
	s_cbranch_execz .LBB123_457
; %bb.451:
	scratch_load_dwordx4 v[152:155], off, s35
	s_waitcnt vmcnt(0)
	ds_write2_b64 v249, v[152:153], v[154:155] offset1:1
	scratch_load_dwordx4 v[152:155], off, s31
	s_waitcnt vmcnt(0)
	ds_write2_b64 v250, v[152:153], v[154:155] offset0:78 offset1:79
	scratch_load_dwordx4 v[152:155], off, s33
	s_waitcnt vmcnt(0)
	ds_write2_b64 v250, v[152:153], v[154:155] offset0:80 offset1:81
	;; [unrolled: 3-line block ×23, first 2 shown]
	ds_read2_b64 v[152:155], v249 offset1:1
	s_waitcnt lgkmcnt(0)
	v_cmp_neq_f64_e32 vcc, 0, v[152:153]
	v_cmp_neq_f64_e64 s[2:3], 0, v[154:155]
	s_or_b64 s[2:3], vcc, s[2:3]
	s_and_b64 exec, exec, s[2:3]
	s_cbranch_execz .LBB123_457
; %bb.452:
	v_cmp_ngt_f64_e64 s[2:3], |v[152:153]|, |v[154:155]|
                                        ; implicit-def: $vgpr156_vgpr157
	s_and_saveexec_b64 s[10:11], s[2:3]
	s_xor_b64 s[2:3], exec, s[10:11]
                                        ; implicit-def: $vgpr158_vgpr159
	s_cbranch_execz .LBB123_454
; %bb.453:
	v_div_scale_f64 v[0:1], s[10:11], v[154:155], v[154:155], v[152:153]
	v_rcp_f64_e32 v[2:3], v[0:1]
	v_div_scale_f64 v[156:157], vcc, v[152:153], v[154:155], v[152:153]
	v_fma_f64 v[158:159], -v[0:1], v[2:3], 1.0
	v_fmac_f64_e32 v[2:3], v[2:3], v[158:159]
	v_fma_f64 v[158:159], -v[0:1], v[2:3], 1.0
	v_fmac_f64_e32 v[2:3], v[2:3], v[158:159]
	v_mul_f64 v[158:159], v[156:157], v[2:3]
	v_fma_f64 v[0:1], -v[0:1], v[158:159], v[156:157]
	v_div_fmas_f64 v[0:1], v[0:1], v[2:3], v[158:159]
	v_div_fixup_f64 v[0:1], v[0:1], v[154:155], v[152:153]
	v_fmac_f64_e32 v[154:155], v[152:153], v[0:1]
	v_div_scale_f64 v[2:3], s[10:11], v[154:155], v[154:155], 1.0
	v_rcp_f64_e32 v[152:153], v[2:3]
	s_nop 0
	v_fma_f64 v[156:157], -v[2:3], v[152:153], 1.0
	v_fmac_f64_e32 v[152:153], v[152:153], v[156:157]
	v_fma_f64 v[156:157], -v[2:3], v[152:153], 1.0
	v_fmac_f64_e32 v[152:153], v[152:153], v[156:157]
	v_div_scale_f64 v[156:157], vcc, 1.0, v[154:155], 1.0
	v_mul_f64 v[158:159], v[156:157], v[152:153]
	v_fma_f64 v[2:3], -v[2:3], v[158:159], v[156:157]
	s_nop 1
	v_div_fmas_f64 v[2:3], v[2:3], v[152:153], v[158:159]
	v_div_fixup_f64 v[158:159], v[2:3], v[154:155], 1.0
	v_mul_f64 v[156:157], v[0:1], v[158:159]
	v_xor_b32_e32 v159, 0x80000000, v159
                                        ; implicit-def: $vgpr152_vgpr153
.LBB123_454:
	s_andn2_saveexec_b64 s[2:3], s[2:3]
	s_cbranch_execz .LBB123_456
; %bb.455:
	v_div_scale_f64 v[0:1], s[10:11], v[152:153], v[152:153], v[154:155]
	v_rcp_f64_e32 v[2:3], v[0:1]
	v_div_scale_f64 v[156:157], vcc, v[154:155], v[152:153], v[154:155]
	v_fma_f64 v[158:159], -v[0:1], v[2:3], 1.0
	v_fmac_f64_e32 v[2:3], v[2:3], v[158:159]
	v_fma_f64 v[158:159], -v[0:1], v[2:3], 1.0
	v_fmac_f64_e32 v[2:3], v[2:3], v[158:159]
	v_mul_f64 v[158:159], v[156:157], v[2:3]
	v_fma_f64 v[0:1], -v[0:1], v[158:159], v[156:157]
	v_div_fmas_f64 v[0:1], v[0:1], v[2:3], v[158:159]
	v_div_fixup_f64 v[0:1], v[0:1], v[152:153], v[154:155]
	v_fmac_f64_e32 v[152:153], v[154:155], v[0:1]
	v_div_scale_f64 v[2:3], s[10:11], v[152:153], v[152:153], 1.0
	v_rcp_f64_e32 v[154:155], v[2:3]
	s_nop 0
	v_fma_f64 v[156:157], -v[2:3], v[154:155], 1.0
	v_fmac_f64_e32 v[154:155], v[154:155], v[156:157]
	v_fma_f64 v[156:157], -v[2:3], v[154:155], 1.0
	v_fmac_f64_e32 v[154:155], v[154:155], v[156:157]
	v_div_scale_f64 v[156:157], vcc, 1.0, v[152:153], 1.0
	v_mul_f64 v[158:159], v[156:157], v[154:155]
	v_fma_f64 v[2:3], -v[2:3], v[158:159], v[156:157]
	s_nop 1
	v_div_fmas_f64 v[2:3], v[2:3], v[154:155], v[158:159]
	v_div_fixup_f64 v[156:157], v[2:3], v[152:153], 1.0
	v_mul_f64 v[158:159], v[0:1], -v[156:157]
.LBB123_456:
	s_or_b64 exec, exec, s[2:3]
	ds_write2_b64 v249, v[156:157], v[158:159] offset1:1
.LBB123_457:
	s_or_b64 exec, exec, s[4:5]
	s_waitcnt lgkmcnt(0)
	s_barrier
	ds_read2_b64 v[152:155], v249 offset1:1
	v_cmp_lt_u32_e32 vcc, 38, v248
	s_and_saveexec_b64 s[2:3], vcc
	s_cbranch_execz .LBB123_459
; %bb.458:
	scratch_load_dwordx4 v[156:159], off, off offset:608
	s_waitcnt vmcnt(0) lgkmcnt(0)
	v_mul_f64 v[0:1], v[154:155], v[158:159]
	v_mul_f64 v[162:163], v[152:153], v[158:159]
	v_fma_f64 v[160:161], v[152:153], v[156:157], -v[0:1]
	v_fmac_f64_e32 v[162:163], v[154:155], v[156:157]
	ds_read2_b64 v[156:159], v250 offset0:78 offset1:79
	scratch_store_dwordx4 off, v[160:163], off offset:608
	s_waitcnt lgkmcnt(0)
	v_mul_f64 v[0:1], v[158:159], v[162:163]
	v_mul_f64 v[2:3], v[156:157], v[162:163]
	v_fma_f64 v[0:1], v[156:157], v[160:161], -v[0:1]
	v_fmac_f64_e32 v[2:3], v[158:159], v[160:161]
	scratch_load_dwordx4 v[156:159], off, off offset:624
	s_waitcnt vmcnt(0)
	v_add_f64 v[156:157], v[156:157], -v[0:1]
	v_add_f64 v[158:159], v[158:159], -v[2:3]
	scratch_store_dwordx4 off, v[156:159], off offset:624
	ds_read2_b64 v[156:159], v250 offset0:80 offset1:81
	s_waitcnt lgkmcnt(0)
	v_mul_f64 v[0:1], v[158:159], v[162:163]
	v_mul_f64 v[2:3], v[156:157], v[162:163]
	v_fma_f64 v[0:1], v[156:157], v[160:161], -v[0:1]
	v_fmac_f64_e32 v[2:3], v[158:159], v[160:161]
	scratch_load_dwordx4 v[156:159], off, off offset:640
	s_waitcnt vmcnt(0)
	v_add_f64 v[156:157], v[156:157], -v[0:1]
	v_add_f64 v[158:159], v[158:159], -v[2:3]
	scratch_store_dwordx4 off, v[156:159], off offset:640
	ds_read2_b64 v[156:159], v250 offset0:82 offset1:83
	;; [unrolled: 11-line block ×5, first 2 shown]
	s_waitcnt lgkmcnt(0)
	v_mul_f64 v[0:1], v[158:159], v[162:163]
	v_mul_f64 v[2:3], v[156:157], v[162:163]
	v_fma_f64 v[0:1], v[156:157], v[160:161], -v[0:1]
	v_fmac_f64_e32 v[2:3], v[158:159], v[160:161]
	scratch_load_dwordx4 v[156:159], off, off offset:704
	ds_read2_b64 v[160:163], v250 offset0:90 offset1:91
	s_waitcnt vmcnt(0)
	v_add_f64 v[156:157], v[156:157], -v[0:1]
	v_add_f64 v[158:159], v[158:159], -v[2:3]
	scratch_store_dwordx4 off, v[156:159], off offset:704
	scratch_load_dwordx2 v[0:1], off, off offset:608
	s_nop 0
	scratch_load_dwordx4 v[156:159], off, off offset:608
	s_waitcnt vmcnt(0) lgkmcnt(0)
	v_mul_f64 v[2:3], v[162:163], v[158:159]
	v_mul_f64 v[164:165], v[160:161], v[158:159]
	v_fma_f64 v[2:3], v[160:161], v[0:1], -v[2:3]
	v_fmac_f64_e32 v[164:165], v[162:163], v[0:1]
	scratch_load_dwordx4 v[160:163], off, off offset:720
	s_waitcnt vmcnt(0)
	v_add_f64 v[160:161], v[160:161], -v[2:3]
	v_add_f64 v[162:163], v[162:163], -v[164:165]
	scratch_store_dwordx4 off, v[160:163], off offset:720
	ds_read2_b64 v[160:163], v250 offset0:92 offset1:93
	s_waitcnt lgkmcnt(0)
	v_mul_f64 v[2:3], v[162:163], v[158:159]
	v_mul_f64 v[164:165], v[160:161], v[158:159]
	v_fma_f64 v[2:3], v[160:161], v[0:1], -v[2:3]
	v_fmac_f64_e32 v[164:165], v[162:163], v[0:1]
	scratch_load_dwordx4 v[160:163], off, off offset:736
	s_waitcnt vmcnt(0)
	v_add_f64 v[160:161], v[160:161], -v[2:3]
	v_add_f64 v[162:163], v[162:163], -v[164:165]
	scratch_store_dwordx4 off, v[160:163], off offset:736
	ds_read2_b64 v[160:163], v250 offset0:94 offset1:95
	s_waitcnt lgkmcnt(0)
	v_mul_f64 v[2:3], v[162:163], v[158:159]
	v_mul_f64 v[164:165], v[160:161], v[158:159]
	v_fma_f64 v[2:3], v[160:161], v[0:1], -v[2:3]
	v_fmac_f64_e32 v[164:165], v[162:163], v[0:1]
	scratch_load_dwordx4 v[160:163], off, off offset:752
	s_waitcnt vmcnt(0)
	v_add_f64 v[160:161], v[160:161], -v[2:3]
	v_add_f64 v[162:163], v[162:163], -v[164:165]
	scratch_store_dwordx4 off, v[160:163], off offset:752
	ds_read2_b64 v[160:163], v250 offset0:96 offset1:97
	s_waitcnt lgkmcnt(0)
	v_mul_f64 v[2:3], v[162:163], v[158:159]
	v_mul_f64 v[164:165], v[160:161], v[158:159]
	v_fma_f64 v[2:3], v[160:161], v[0:1], -v[2:3]
	v_fmac_f64_e32 v[164:165], v[162:163], v[0:1]
	scratch_load_dwordx4 v[160:163], off, off offset:768
	s_waitcnt vmcnt(0)
	v_add_f64 v[160:161], v[160:161], -v[2:3]
	v_add_f64 v[162:163], v[162:163], -v[164:165]
	scratch_store_dwordx4 off, v[160:163], off offset:768
	ds_read2_b64 v[160:163], v250 offset0:98 offset1:99
	s_waitcnt lgkmcnt(0)
	v_mul_f64 v[2:3], v[162:163], v[158:159]
	v_mul_f64 v[164:165], v[160:161], v[158:159]
	v_fma_f64 v[2:3], v[160:161], v[0:1], -v[2:3]
	v_fmac_f64_e32 v[164:165], v[162:163], v[0:1]
	scratch_load_dwordx4 v[160:163], off, off offset:784
	s_waitcnt vmcnt(0)
	v_add_f64 v[160:161], v[160:161], -v[2:3]
	v_add_f64 v[162:163], v[162:163], -v[164:165]
	scratch_store_dwordx4 off, v[160:163], off offset:784
	ds_read2_b64 v[160:163], v250 offset0:100 offset1:101
	s_waitcnt lgkmcnt(0)
	v_mul_f64 v[2:3], v[162:163], v[158:159]
	v_fma_f64 v[2:3], v[160:161], v[0:1], -v[2:3]
	v_mul_f64 v[164:165], v[160:161], v[158:159]
	scratch_load_dwordx4 v[158:161], off, off offset:800
	v_fmac_f64_e32 v[164:165], v[162:163], v[0:1]
	s_waitcnt vmcnt(0)
	v_add_f64 v[158:159], v[158:159], -v[2:3]
	v_add_f64 v[160:161], v[160:161], -v[164:165]
	scratch_store_dwordx4 off, v[158:161], off offset:800
	ds_read2_b64 v[160:163], v250 offset0:102 offset1:103
	scratch_load_dwordx2 v[158:159], off, off offset:608
	scratch_load_dwordx2 v[0:1], off, off offset:616
	s_waitcnt vmcnt(0) lgkmcnt(0)
	v_mul_f64 v[2:3], v[162:163], v[0:1]
	v_mul_f64 v[164:165], v[160:161], v[0:1]
	v_fma_f64 v[2:3], v[160:161], v[158:159], -v[2:3]
	v_fmac_f64_e32 v[164:165], v[162:163], v[158:159]
	scratch_load_dwordx4 v[160:163], off, off offset:816
	s_waitcnt vmcnt(0)
	v_add_f64 v[160:161], v[160:161], -v[2:3]
	v_add_f64 v[162:163], v[162:163], -v[164:165]
	scratch_store_dwordx4 off, v[160:163], off offset:816
	ds_read2_b64 v[160:163], v250 offset0:104 offset1:105
	s_waitcnt lgkmcnt(0)
	v_mul_f64 v[2:3], v[162:163], v[0:1]
	v_mul_f64 v[164:165], v[160:161], v[0:1]
	v_fma_f64 v[2:3], v[160:161], v[158:159], -v[2:3]
	v_fmac_f64_e32 v[164:165], v[162:163], v[158:159]
	scratch_load_dwordx4 v[160:163], off, off offset:832
	s_waitcnt vmcnt(0)
	v_add_f64 v[160:161], v[160:161], -v[2:3]
	v_add_f64 v[162:163], v[162:163], -v[164:165]
	scratch_store_dwordx4 off, v[160:163], off offset:832
	ds_read2_b64 v[160:163], v250 offset0:106 offset1:107
	s_waitcnt lgkmcnt(0)
	;; [unrolled: 11-line block ×5, first 2 shown]
	v_mul_f64 v[2:3], v[162:163], v[0:1]
	v_mul_f64 v[0:1], v[160:161], v[0:1]
	v_fma_f64 v[2:3], v[160:161], v[158:159], -v[2:3]
	v_fmac_f64_e32 v[0:1], v[162:163], v[158:159]
	scratch_load_dwordx4 v[158:161], off, off offset:896
	s_waitcnt vmcnt(0)
	v_add_f64 v[160:161], v[160:161], -v[0:1]
	scratch_load_dwordx2 v[0:1], off, off offset:616
	v_add_f64 v[158:159], v[158:159], -v[2:3]
	scratch_store_dwordx4 off, v[158:161], off offset:896
	ds_read2_b64 v[158:161], v250 offset0:114 offset1:115
	s_waitcnt vmcnt(1) lgkmcnt(0)
	v_mul_f64 v[2:3], v[160:161], v[0:1]
	v_mul_f64 v[162:163], v[158:159], v[0:1]
	v_fma_f64 v[2:3], v[158:159], v[156:157], -v[2:3]
	v_fmac_f64_e32 v[162:163], v[160:161], v[156:157]
	scratch_load_dwordx4 v[158:161], off, off offset:912
	s_waitcnt vmcnt(0)
	v_add_f64 v[158:159], v[158:159], -v[2:3]
	v_add_f64 v[160:161], v[160:161], -v[162:163]
	scratch_store_dwordx4 off, v[158:161], off offset:912
	ds_read2_b64 v[158:161], v250 offset0:116 offset1:117
	s_waitcnt lgkmcnt(0)
	v_mul_f64 v[2:3], v[160:161], v[0:1]
	v_mul_f64 v[162:163], v[158:159], v[0:1]
	v_fma_f64 v[2:3], v[158:159], v[156:157], -v[2:3]
	v_fmac_f64_e32 v[162:163], v[160:161], v[156:157]
	scratch_load_dwordx4 v[158:161], off, off offset:928
	s_waitcnt vmcnt(0)
	v_add_f64 v[158:159], v[158:159], -v[2:3]
	v_add_f64 v[160:161], v[160:161], -v[162:163]
	scratch_store_dwordx4 off, v[158:161], off offset:928
	ds_read2_b64 v[158:161], v250 offset0:118 offset1:119
	s_waitcnt lgkmcnt(0)
	;; [unrolled: 11-line block ×3, first 2 shown]
	v_mul_f64 v[2:3], v[160:161], v[0:1]
	v_mul_f64 v[162:163], v[158:159], v[0:1]
	v_fma_f64 v[2:3], v[158:159], v[156:157], -v[2:3]
	v_fmac_f64_e32 v[162:163], v[160:161], v[156:157]
	scratch_load_dwordx4 v[158:161], off, off offset:960
	s_waitcnt vmcnt(0)
	v_add_f64 v[160:161], v[160:161], -v[162:163]
	ds_read2_b64 v[162:165], v250 offset0:122 offset1:123
	v_add_f64 v[158:159], v[158:159], -v[2:3]
	scratch_store_dwordx4 off, v[158:161], off offset:960
	s_waitcnt lgkmcnt(0)
	v_mul_f64 v[2:3], v[164:165], v[0:1]
	v_fma_f64 v[160:161], v[162:163], v[156:157], -v[2:3]
	v_mul_f64 v[162:163], v[162:163], v[0:1]
	v_fmac_f64_e32 v[162:163], v[164:165], v[156:157]
	scratch_load_dwordx4 v[156:159], off, off offset:976
	s_waitcnt vmcnt(0)
	v_add_f64 v[156:157], v[156:157], -v[160:161]
	v_add_f64 v[158:159], v[158:159], -v[162:163]
	scratch_store_dwordx4 off, v[156:159], off offset:976
.LBB123_459:
	s_or_b64 exec, exec, s[2:3]
	v_cmp_eq_u32_e32 vcc, 39, v248
	s_waitcnt lgkmcnt(0)
	s_barrier
	s_and_saveexec_b64 s[4:5], vcc
	s_cbranch_execz .LBB123_466
; %bb.460:
	scratch_load_dwordx4 v[156:159], off, s31
	s_waitcnt vmcnt(0)
	ds_write2_b64 v249, v[156:157], v[158:159] offset1:1
	scratch_load_dwordx4 v[156:159], off, s33
	s_waitcnt vmcnt(0)
	ds_write2_b64 v250, v[156:157], v[158:159] offset0:80 offset1:81
	scratch_load_dwordx4 v[156:159], off, s29
	s_waitcnt vmcnt(0)
	ds_write2_b64 v250, v[156:157], v[158:159] offset0:82 offset1:83
	;; [unrolled: 3-line block ×22, first 2 shown]
	ds_read2_b64 v[156:159], v249 offset1:1
	s_waitcnt lgkmcnt(0)
	v_cmp_neq_f64_e32 vcc, 0, v[156:157]
	v_cmp_neq_f64_e64 s[2:3], 0, v[158:159]
	s_or_b64 s[2:3], vcc, s[2:3]
	s_and_b64 exec, exec, s[2:3]
	s_cbranch_execz .LBB123_466
; %bb.461:
	v_cmp_ngt_f64_e64 s[2:3], |v[156:157]|, |v[158:159]|
                                        ; implicit-def: $vgpr160_vgpr161
	s_and_saveexec_b64 s[10:11], s[2:3]
	s_xor_b64 s[2:3], exec, s[10:11]
                                        ; implicit-def: $vgpr162_vgpr163
	s_cbranch_execz .LBB123_463
; %bb.462:
	v_div_scale_f64 v[0:1], s[10:11], v[158:159], v[158:159], v[156:157]
	v_rcp_f64_e32 v[2:3], v[0:1]
	v_div_scale_f64 v[160:161], vcc, v[156:157], v[158:159], v[156:157]
	v_fma_f64 v[162:163], -v[0:1], v[2:3], 1.0
	v_fmac_f64_e32 v[2:3], v[2:3], v[162:163]
	v_fma_f64 v[162:163], -v[0:1], v[2:3], 1.0
	v_fmac_f64_e32 v[2:3], v[2:3], v[162:163]
	v_mul_f64 v[162:163], v[160:161], v[2:3]
	v_fma_f64 v[0:1], -v[0:1], v[162:163], v[160:161]
	v_div_fmas_f64 v[0:1], v[0:1], v[2:3], v[162:163]
	v_div_fixup_f64 v[0:1], v[0:1], v[158:159], v[156:157]
	v_fmac_f64_e32 v[158:159], v[156:157], v[0:1]
	v_div_scale_f64 v[2:3], s[10:11], v[158:159], v[158:159], 1.0
	v_rcp_f64_e32 v[156:157], v[2:3]
	s_nop 0
	v_fma_f64 v[160:161], -v[2:3], v[156:157], 1.0
	v_fmac_f64_e32 v[156:157], v[156:157], v[160:161]
	v_fma_f64 v[160:161], -v[2:3], v[156:157], 1.0
	v_fmac_f64_e32 v[156:157], v[156:157], v[160:161]
	v_div_scale_f64 v[160:161], vcc, 1.0, v[158:159], 1.0
	v_mul_f64 v[162:163], v[160:161], v[156:157]
	v_fma_f64 v[2:3], -v[2:3], v[162:163], v[160:161]
	s_nop 1
	v_div_fmas_f64 v[2:3], v[2:3], v[156:157], v[162:163]
	v_div_fixup_f64 v[162:163], v[2:3], v[158:159], 1.0
	v_mul_f64 v[160:161], v[0:1], v[162:163]
	v_xor_b32_e32 v163, 0x80000000, v163
                                        ; implicit-def: $vgpr156_vgpr157
.LBB123_463:
	s_andn2_saveexec_b64 s[2:3], s[2:3]
	s_cbranch_execz .LBB123_465
; %bb.464:
	v_div_scale_f64 v[0:1], s[10:11], v[156:157], v[156:157], v[158:159]
	v_rcp_f64_e32 v[2:3], v[0:1]
	v_div_scale_f64 v[160:161], vcc, v[158:159], v[156:157], v[158:159]
	v_fma_f64 v[162:163], -v[0:1], v[2:3], 1.0
	v_fmac_f64_e32 v[2:3], v[2:3], v[162:163]
	v_fma_f64 v[162:163], -v[0:1], v[2:3], 1.0
	v_fmac_f64_e32 v[2:3], v[2:3], v[162:163]
	v_mul_f64 v[162:163], v[160:161], v[2:3]
	v_fma_f64 v[0:1], -v[0:1], v[162:163], v[160:161]
	v_div_fmas_f64 v[0:1], v[0:1], v[2:3], v[162:163]
	v_div_fixup_f64 v[0:1], v[0:1], v[156:157], v[158:159]
	v_fmac_f64_e32 v[156:157], v[158:159], v[0:1]
	v_div_scale_f64 v[2:3], s[10:11], v[156:157], v[156:157], 1.0
	v_rcp_f64_e32 v[158:159], v[2:3]
	s_nop 0
	v_fma_f64 v[160:161], -v[2:3], v[158:159], 1.0
	v_fmac_f64_e32 v[158:159], v[158:159], v[160:161]
	v_fma_f64 v[160:161], -v[2:3], v[158:159], 1.0
	v_fmac_f64_e32 v[158:159], v[158:159], v[160:161]
	v_div_scale_f64 v[160:161], vcc, 1.0, v[156:157], 1.0
	v_mul_f64 v[162:163], v[160:161], v[158:159]
	v_fma_f64 v[2:3], -v[2:3], v[162:163], v[160:161]
	s_nop 1
	v_div_fmas_f64 v[2:3], v[2:3], v[158:159], v[162:163]
	v_div_fixup_f64 v[160:161], v[2:3], v[156:157], 1.0
	v_mul_f64 v[162:163], v[0:1], -v[160:161]
.LBB123_465:
	s_or_b64 exec, exec, s[2:3]
	ds_write2_b64 v249, v[160:161], v[162:163] offset1:1
.LBB123_466:
	s_or_b64 exec, exec, s[4:5]
	s_waitcnt lgkmcnt(0)
	s_barrier
	ds_read2_b64 v[156:159], v249 offset1:1
	v_cmp_lt_u32_e32 vcc, 39, v248
	s_and_saveexec_b64 s[2:3], vcc
	s_cbranch_execz .LBB123_468
; %bb.467:
	scratch_load_dwordx4 v[160:163], off, off offset:624
	s_waitcnt vmcnt(0) lgkmcnt(0)
	v_mul_f64 v[0:1], v[158:159], v[162:163]
	v_mul_f64 v[166:167], v[156:157], v[162:163]
	v_fma_f64 v[164:165], v[156:157], v[160:161], -v[0:1]
	v_fmac_f64_e32 v[166:167], v[158:159], v[160:161]
	ds_read2_b64 v[160:163], v250 offset0:80 offset1:81
	scratch_store_dwordx4 off, v[164:167], off offset:624
	s_waitcnt lgkmcnt(0)
	v_mul_f64 v[0:1], v[162:163], v[166:167]
	v_mul_f64 v[2:3], v[160:161], v[166:167]
	v_fma_f64 v[0:1], v[160:161], v[164:165], -v[0:1]
	v_fmac_f64_e32 v[2:3], v[162:163], v[164:165]
	scratch_load_dwordx4 v[160:163], off, off offset:640
	s_waitcnt vmcnt(0)
	v_add_f64 v[160:161], v[160:161], -v[0:1]
	v_add_f64 v[162:163], v[162:163], -v[2:3]
	scratch_store_dwordx4 off, v[160:163], off offset:640
	ds_read2_b64 v[160:163], v250 offset0:82 offset1:83
	s_waitcnt lgkmcnt(0)
	v_mul_f64 v[0:1], v[162:163], v[166:167]
	v_mul_f64 v[2:3], v[160:161], v[166:167]
	v_fma_f64 v[0:1], v[160:161], v[164:165], -v[0:1]
	v_fmac_f64_e32 v[2:3], v[162:163], v[164:165]
	scratch_load_dwordx4 v[160:163], off, off offset:656
	s_waitcnt vmcnt(0)
	v_add_f64 v[160:161], v[160:161], -v[0:1]
	v_add_f64 v[162:163], v[162:163], -v[2:3]
	scratch_store_dwordx4 off, v[160:163], off offset:656
	ds_read2_b64 v[160:163], v250 offset0:84 offset1:85
	s_waitcnt lgkmcnt(0)
	v_mul_f64 v[0:1], v[162:163], v[166:167]
	v_mul_f64 v[2:3], v[160:161], v[166:167]
	v_fma_f64 v[0:1], v[160:161], v[164:165], -v[0:1]
	v_fmac_f64_e32 v[2:3], v[162:163], v[164:165]
	scratch_load_dwordx4 v[160:163], off, off offset:672
	s_waitcnt vmcnt(0)
	v_add_f64 v[160:161], v[160:161], -v[0:1]
	v_add_f64 v[162:163], v[162:163], -v[2:3]
	scratch_store_dwordx4 off, v[160:163], off offset:672
	ds_read2_b64 v[160:163], v250 offset0:86 offset1:87
	s_waitcnt lgkmcnt(0)
	v_mul_f64 v[0:1], v[162:163], v[166:167]
	v_mul_f64 v[2:3], v[160:161], v[166:167]
	v_fma_f64 v[0:1], v[160:161], v[164:165], -v[0:1]
	v_fmac_f64_e32 v[2:3], v[162:163], v[164:165]
	scratch_load_dwordx4 v[160:163], off, off offset:688
	s_waitcnt vmcnt(0)
	v_add_f64 v[160:161], v[160:161], -v[0:1]
	v_add_f64 v[162:163], v[162:163], -v[2:3]
	scratch_store_dwordx4 off, v[160:163], off offset:688
	ds_read2_b64 v[160:163], v250 offset0:88 offset1:89
	s_waitcnt lgkmcnt(0)
	v_mul_f64 v[0:1], v[162:163], v[166:167]
	v_mul_f64 v[2:3], v[160:161], v[166:167]
	v_fma_f64 v[0:1], v[160:161], v[164:165], -v[0:1]
	v_fmac_f64_e32 v[2:3], v[162:163], v[164:165]
	scratch_load_dwordx4 v[160:163], off, off offset:704
	s_waitcnt vmcnt(0)
	v_add_f64 v[160:161], v[160:161], -v[0:1]
	v_add_f64 v[162:163], v[162:163], -v[2:3]
	scratch_store_dwordx4 off, v[160:163], off offset:704
	ds_read2_b64 v[160:163], v250 offset0:90 offset1:91
	s_waitcnt lgkmcnt(0)
	v_mul_f64 v[0:1], v[162:163], v[166:167]
	v_mul_f64 v[2:3], v[160:161], v[166:167]
	v_fma_f64 v[0:1], v[160:161], v[164:165], -v[0:1]
	v_fmac_f64_e32 v[2:3], v[162:163], v[164:165]
	scratch_load_dwordx4 v[160:163], off, off offset:720
	ds_read2_b64 v[164:167], v250 offset0:92 offset1:93
	s_waitcnt vmcnt(0)
	v_add_f64 v[160:161], v[160:161], -v[0:1]
	v_add_f64 v[162:163], v[162:163], -v[2:3]
	scratch_store_dwordx4 off, v[160:163], off offset:720
	scratch_load_dwordx2 v[0:1], off, off offset:624
	s_nop 0
	scratch_load_dwordx4 v[160:163], off, off offset:624
	s_waitcnt vmcnt(0) lgkmcnt(0)
	v_mul_f64 v[2:3], v[166:167], v[162:163]
	v_mul_f64 v[168:169], v[164:165], v[162:163]
	v_fma_f64 v[2:3], v[164:165], v[0:1], -v[2:3]
	v_fmac_f64_e32 v[168:169], v[166:167], v[0:1]
	scratch_load_dwordx4 v[164:167], off, off offset:736
	s_waitcnt vmcnt(0)
	v_add_f64 v[164:165], v[164:165], -v[2:3]
	v_add_f64 v[166:167], v[166:167], -v[168:169]
	scratch_store_dwordx4 off, v[164:167], off offset:736
	ds_read2_b64 v[164:167], v250 offset0:94 offset1:95
	s_waitcnt lgkmcnt(0)
	v_mul_f64 v[2:3], v[166:167], v[162:163]
	v_mul_f64 v[168:169], v[164:165], v[162:163]
	v_fma_f64 v[2:3], v[164:165], v[0:1], -v[2:3]
	v_fmac_f64_e32 v[168:169], v[166:167], v[0:1]
	scratch_load_dwordx4 v[164:167], off, off offset:752
	s_waitcnt vmcnt(0)
	v_add_f64 v[164:165], v[164:165], -v[2:3]
	v_add_f64 v[166:167], v[166:167], -v[168:169]
	scratch_store_dwordx4 off, v[164:167], off offset:752
	ds_read2_b64 v[164:167], v250 offset0:96 offset1:97
	s_waitcnt lgkmcnt(0)
	;; [unrolled: 11-line block ×5, first 2 shown]
	v_mul_f64 v[2:3], v[166:167], v[162:163]
	v_fma_f64 v[2:3], v[164:165], v[0:1], -v[2:3]
	v_mul_f64 v[168:169], v[164:165], v[162:163]
	scratch_load_dwordx4 v[162:165], off, off offset:816
	v_fmac_f64_e32 v[168:169], v[166:167], v[0:1]
	s_waitcnt vmcnt(0)
	v_add_f64 v[162:163], v[162:163], -v[2:3]
	v_add_f64 v[164:165], v[164:165], -v[168:169]
	scratch_store_dwordx4 off, v[162:165], off offset:816
	ds_read2_b64 v[164:167], v250 offset0:104 offset1:105
	scratch_load_dwordx2 v[162:163], off, off offset:624
	scratch_load_dwordx2 v[0:1], off, off offset:632
	s_waitcnt vmcnt(0) lgkmcnt(0)
	v_mul_f64 v[2:3], v[166:167], v[0:1]
	v_mul_f64 v[168:169], v[164:165], v[0:1]
	v_fma_f64 v[2:3], v[164:165], v[162:163], -v[2:3]
	v_fmac_f64_e32 v[168:169], v[166:167], v[162:163]
	scratch_load_dwordx4 v[164:167], off, off offset:832
	s_waitcnt vmcnt(0)
	v_add_f64 v[164:165], v[164:165], -v[2:3]
	v_add_f64 v[166:167], v[166:167], -v[168:169]
	scratch_store_dwordx4 off, v[164:167], off offset:832
	ds_read2_b64 v[164:167], v250 offset0:106 offset1:107
	s_waitcnt lgkmcnt(0)
	v_mul_f64 v[2:3], v[166:167], v[0:1]
	v_mul_f64 v[168:169], v[164:165], v[0:1]
	v_fma_f64 v[2:3], v[164:165], v[162:163], -v[2:3]
	v_fmac_f64_e32 v[168:169], v[166:167], v[162:163]
	scratch_load_dwordx4 v[164:167], off, off offset:848
	s_waitcnt vmcnt(0)
	v_add_f64 v[164:165], v[164:165], -v[2:3]
	v_add_f64 v[166:167], v[166:167], -v[168:169]
	scratch_store_dwordx4 off, v[164:167], off offset:848
	ds_read2_b64 v[164:167], v250 offset0:108 offset1:109
	s_waitcnt lgkmcnt(0)
	;; [unrolled: 11-line block ×5, first 2 shown]
	v_mul_f64 v[2:3], v[166:167], v[0:1]
	v_mul_f64 v[0:1], v[164:165], v[0:1]
	v_fma_f64 v[2:3], v[164:165], v[162:163], -v[2:3]
	v_fmac_f64_e32 v[0:1], v[166:167], v[162:163]
	scratch_load_dwordx4 v[162:165], off, off offset:912
	s_waitcnt vmcnt(0)
	v_add_f64 v[164:165], v[164:165], -v[0:1]
	scratch_load_dwordx2 v[0:1], off, off offset:632
	v_add_f64 v[162:163], v[162:163], -v[2:3]
	scratch_store_dwordx4 off, v[162:165], off offset:912
	ds_read2_b64 v[162:165], v250 offset0:116 offset1:117
	s_waitcnt vmcnt(1) lgkmcnt(0)
	v_mul_f64 v[2:3], v[164:165], v[0:1]
	v_mul_f64 v[166:167], v[162:163], v[0:1]
	v_fma_f64 v[2:3], v[162:163], v[160:161], -v[2:3]
	v_fmac_f64_e32 v[166:167], v[164:165], v[160:161]
	scratch_load_dwordx4 v[162:165], off, off offset:928
	s_waitcnt vmcnt(0)
	v_add_f64 v[162:163], v[162:163], -v[2:3]
	v_add_f64 v[164:165], v[164:165], -v[166:167]
	scratch_store_dwordx4 off, v[162:165], off offset:928
	ds_read2_b64 v[162:165], v250 offset0:118 offset1:119
	s_waitcnt lgkmcnt(0)
	v_mul_f64 v[2:3], v[164:165], v[0:1]
	v_mul_f64 v[166:167], v[162:163], v[0:1]
	v_fma_f64 v[2:3], v[162:163], v[160:161], -v[2:3]
	v_fmac_f64_e32 v[166:167], v[164:165], v[160:161]
	scratch_load_dwordx4 v[162:165], off, off offset:944
	s_waitcnt vmcnt(0)
	v_add_f64 v[162:163], v[162:163], -v[2:3]
	v_add_f64 v[164:165], v[164:165], -v[166:167]
	scratch_store_dwordx4 off, v[162:165], off offset:944
	ds_read2_b64 v[162:165], v250 offset0:120 offset1:121
	s_waitcnt lgkmcnt(0)
	v_mul_f64 v[2:3], v[164:165], v[0:1]
	v_mul_f64 v[166:167], v[162:163], v[0:1]
	v_fma_f64 v[2:3], v[162:163], v[160:161], -v[2:3]
	v_fmac_f64_e32 v[166:167], v[164:165], v[160:161]
	scratch_load_dwordx4 v[162:165], off, off offset:960
	s_waitcnt vmcnt(0)
	v_add_f64 v[164:165], v[164:165], -v[166:167]
	ds_read2_b64 v[166:169], v250 offset0:122 offset1:123
	v_add_f64 v[162:163], v[162:163], -v[2:3]
	scratch_store_dwordx4 off, v[162:165], off offset:960
	s_waitcnt lgkmcnt(0)
	v_mul_f64 v[2:3], v[168:169], v[0:1]
	v_fma_f64 v[164:165], v[166:167], v[160:161], -v[2:3]
	v_mul_f64 v[166:167], v[166:167], v[0:1]
	v_fmac_f64_e32 v[166:167], v[168:169], v[160:161]
	scratch_load_dwordx4 v[160:163], off, off offset:976
	s_waitcnt vmcnt(0)
	v_add_f64 v[160:161], v[160:161], -v[164:165]
	v_add_f64 v[162:163], v[162:163], -v[166:167]
	scratch_store_dwordx4 off, v[160:163], off offset:976
.LBB123_468:
	s_or_b64 exec, exec, s[2:3]
	v_cmp_eq_u32_e32 vcc, 40, v248
	s_waitcnt lgkmcnt(0)
	s_barrier
	s_and_saveexec_b64 s[4:5], vcc
	s_cbranch_execz .LBB123_475
; %bb.469:
	scratch_load_dwordx4 v[160:163], off, s33
	s_waitcnt vmcnt(0)
	ds_write2_b64 v249, v[160:161], v[162:163] offset1:1
	scratch_load_dwordx4 v[160:163], off, s29
	s_waitcnt vmcnt(0)
	ds_write2_b64 v250, v[160:161], v[162:163] offset0:82 offset1:83
	scratch_load_dwordx4 v[160:163], off, s30
	s_waitcnt vmcnt(0)
	ds_write2_b64 v250, v[160:161], v[162:163] offset0:84 offset1:85
	;; [unrolled: 3-line block ×21, first 2 shown]
	ds_read2_b64 v[160:163], v249 offset1:1
	s_waitcnt lgkmcnt(0)
	v_cmp_neq_f64_e32 vcc, 0, v[160:161]
	v_cmp_neq_f64_e64 s[2:3], 0, v[162:163]
	s_or_b64 s[2:3], vcc, s[2:3]
	s_and_b64 exec, exec, s[2:3]
	s_cbranch_execz .LBB123_475
; %bb.470:
	v_cmp_ngt_f64_e64 s[2:3], |v[160:161]|, |v[162:163]|
                                        ; implicit-def: $vgpr164_vgpr165
	s_and_saveexec_b64 s[10:11], s[2:3]
	s_xor_b64 s[2:3], exec, s[10:11]
                                        ; implicit-def: $vgpr166_vgpr167
	s_cbranch_execz .LBB123_472
; %bb.471:
	v_div_scale_f64 v[0:1], s[10:11], v[162:163], v[162:163], v[160:161]
	v_rcp_f64_e32 v[2:3], v[0:1]
	v_div_scale_f64 v[164:165], vcc, v[160:161], v[162:163], v[160:161]
	v_fma_f64 v[166:167], -v[0:1], v[2:3], 1.0
	v_fmac_f64_e32 v[2:3], v[2:3], v[166:167]
	v_fma_f64 v[166:167], -v[0:1], v[2:3], 1.0
	v_fmac_f64_e32 v[2:3], v[2:3], v[166:167]
	v_mul_f64 v[166:167], v[164:165], v[2:3]
	v_fma_f64 v[0:1], -v[0:1], v[166:167], v[164:165]
	v_div_fmas_f64 v[0:1], v[0:1], v[2:3], v[166:167]
	v_div_fixup_f64 v[0:1], v[0:1], v[162:163], v[160:161]
	v_fmac_f64_e32 v[162:163], v[160:161], v[0:1]
	v_div_scale_f64 v[2:3], s[10:11], v[162:163], v[162:163], 1.0
	v_rcp_f64_e32 v[160:161], v[2:3]
	s_nop 0
	v_fma_f64 v[164:165], -v[2:3], v[160:161], 1.0
	v_fmac_f64_e32 v[160:161], v[160:161], v[164:165]
	v_fma_f64 v[164:165], -v[2:3], v[160:161], 1.0
	v_fmac_f64_e32 v[160:161], v[160:161], v[164:165]
	v_div_scale_f64 v[164:165], vcc, 1.0, v[162:163], 1.0
	v_mul_f64 v[166:167], v[164:165], v[160:161]
	v_fma_f64 v[2:3], -v[2:3], v[166:167], v[164:165]
	s_nop 1
	v_div_fmas_f64 v[2:3], v[2:3], v[160:161], v[166:167]
	v_div_fixup_f64 v[166:167], v[2:3], v[162:163], 1.0
	v_mul_f64 v[164:165], v[0:1], v[166:167]
	v_xor_b32_e32 v167, 0x80000000, v167
                                        ; implicit-def: $vgpr160_vgpr161
.LBB123_472:
	s_andn2_saveexec_b64 s[2:3], s[2:3]
	s_cbranch_execz .LBB123_474
; %bb.473:
	v_div_scale_f64 v[0:1], s[10:11], v[160:161], v[160:161], v[162:163]
	v_rcp_f64_e32 v[2:3], v[0:1]
	v_div_scale_f64 v[164:165], vcc, v[162:163], v[160:161], v[162:163]
	v_fma_f64 v[166:167], -v[0:1], v[2:3], 1.0
	v_fmac_f64_e32 v[2:3], v[2:3], v[166:167]
	v_fma_f64 v[166:167], -v[0:1], v[2:3], 1.0
	v_fmac_f64_e32 v[2:3], v[2:3], v[166:167]
	v_mul_f64 v[166:167], v[164:165], v[2:3]
	v_fma_f64 v[0:1], -v[0:1], v[166:167], v[164:165]
	v_div_fmas_f64 v[0:1], v[0:1], v[2:3], v[166:167]
	v_div_fixup_f64 v[0:1], v[0:1], v[160:161], v[162:163]
	v_fmac_f64_e32 v[160:161], v[162:163], v[0:1]
	v_div_scale_f64 v[2:3], s[10:11], v[160:161], v[160:161], 1.0
	v_rcp_f64_e32 v[162:163], v[2:3]
	s_nop 0
	v_fma_f64 v[164:165], -v[2:3], v[162:163], 1.0
	v_fmac_f64_e32 v[162:163], v[162:163], v[164:165]
	v_fma_f64 v[164:165], -v[2:3], v[162:163], 1.0
	v_fmac_f64_e32 v[162:163], v[162:163], v[164:165]
	v_div_scale_f64 v[164:165], vcc, 1.0, v[160:161], 1.0
	v_mul_f64 v[166:167], v[164:165], v[162:163]
	v_fma_f64 v[2:3], -v[2:3], v[166:167], v[164:165]
	s_nop 1
	v_div_fmas_f64 v[2:3], v[2:3], v[162:163], v[166:167]
	v_div_fixup_f64 v[164:165], v[2:3], v[160:161], 1.0
	v_mul_f64 v[166:167], v[0:1], -v[164:165]
.LBB123_474:
	s_or_b64 exec, exec, s[2:3]
	ds_write2_b64 v249, v[164:165], v[166:167] offset1:1
.LBB123_475:
	s_or_b64 exec, exec, s[4:5]
	s_waitcnt lgkmcnt(0)
	s_barrier
	ds_read2_b64 v[160:163], v249 offset1:1
	v_cmp_lt_u32_e32 vcc, 40, v248
	s_and_saveexec_b64 s[2:3], vcc
	s_cbranch_execz .LBB123_477
; %bb.476:
	scratch_load_dwordx4 v[164:167], off, off offset:640
	s_waitcnt vmcnt(0) lgkmcnt(0)
	v_mul_f64 v[0:1], v[162:163], v[166:167]
	v_mul_f64 v[170:171], v[160:161], v[166:167]
	v_fma_f64 v[168:169], v[160:161], v[164:165], -v[0:1]
	v_fmac_f64_e32 v[170:171], v[162:163], v[164:165]
	ds_read2_b64 v[164:167], v250 offset0:82 offset1:83
	scratch_store_dwordx4 off, v[168:171], off offset:640
	s_waitcnt lgkmcnt(0)
	v_mul_f64 v[0:1], v[166:167], v[170:171]
	v_mul_f64 v[2:3], v[164:165], v[170:171]
	v_fma_f64 v[0:1], v[164:165], v[168:169], -v[0:1]
	v_fmac_f64_e32 v[2:3], v[166:167], v[168:169]
	scratch_load_dwordx4 v[164:167], off, off offset:656
	s_waitcnt vmcnt(0)
	v_add_f64 v[164:165], v[164:165], -v[0:1]
	v_add_f64 v[166:167], v[166:167], -v[2:3]
	scratch_store_dwordx4 off, v[164:167], off offset:656
	ds_read2_b64 v[164:167], v250 offset0:84 offset1:85
	s_waitcnt lgkmcnt(0)
	v_mul_f64 v[0:1], v[166:167], v[170:171]
	v_mul_f64 v[2:3], v[164:165], v[170:171]
	v_fma_f64 v[0:1], v[164:165], v[168:169], -v[0:1]
	v_fmac_f64_e32 v[2:3], v[166:167], v[168:169]
	scratch_load_dwordx4 v[164:167], off, off offset:672
	s_waitcnt vmcnt(0)
	v_add_f64 v[164:165], v[164:165], -v[0:1]
	v_add_f64 v[166:167], v[166:167], -v[2:3]
	scratch_store_dwordx4 off, v[164:167], off offset:672
	ds_read2_b64 v[164:167], v250 offset0:86 offset1:87
	;; [unrolled: 11-line block ×5, first 2 shown]
	s_waitcnt lgkmcnt(0)
	v_mul_f64 v[0:1], v[166:167], v[170:171]
	v_mul_f64 v[2:3], v[164:165], v[170:171]
	v_fma_f64 v[0:1], v[164:165], v[168:169], -v[0:1]
	v_fmac_f64_e32 v[2:3], v[166:167], v[168:169]
	scratch_load_dwordx4 v[164:167], off, off offset:736
	ds_read2_b64 v[168:171], v250 offset0:94 offset1:95
	s_waitcnt vmcnt(0)
	v_add_f64 v[164:165], v[164:165], -v[0:1]
	v_add_f64 v[166:167], v[166:167], -v[2:3]
	scratch_store_dwordx4 off, v[164:167], off offset:736
	scratch_load_dwordx2 v[0:1], off, off offset:640
	s_nop 0
	scratch_load_dwordx4 v[164:167], off, off offset:640
	s_waitcnt vmcnt(0) lgkmcnt(0)
	v_mul_f64 v[2:3], v[170:171], v[166:167]
	v_mul_f64 v[172:173], v[168:169], v[166:167]
	v_fma_f64 v[2:3], v[168:169], v[0:1], -v[2:3]
	v_fmac_f64_e32 v[172:173], v[170:171], v[0:1]
	scratch_load_dwordx4 v[168:171], off, off offset:752
	s_waitcnt vmcnt(0)
	v_add_f64 v[168:169], v[168:169], -v[2:3]
	v_add_f64 v[170:171], v[170:171], -v[172:173]
	scratch_store_dwordx4 off, v[168:171], off offset:752
	ds_read2_b64 v[168:171], v250 offset0:96 offset1:97
	s_waitcnt lgkmcnt(0)
	v_mul_f64 v[2:3], v[170:171], v[166:167]
	v_mul_f64 v[172:173], v[168:169], v[166:167]
	v_fma_f64 v[2:3], v[168:169], v[0:1], -v[2:3]
	v_fmac_f64_e32 v[172:173], v[170:171], v[0:1]
	scratch_load_dwordx4 v[168:171], off, off offset:768
	s_waitcnt vmcnt(0)
	v_add_f64 v[168:169], v[168:169], -v[2:3]
	v_add_f64 v[170:171], v[170:171], -v[172:173]
	scratch_store_dwordx4 off, v[168:171], off offset:768
	ds_read2_b64 v[168:171], v250 offset0:98 offset1:99
	s_waitcnt lgkmcnt(0)
	;; [unrolled: 11-line block ×5, first 2 shown]
	v_mul_f64 v[2:3], v[170:171], v[166:167]
	v_fma_f64 v[2:3], v[168:169], v[0:1], -v[2:3]
	v_mul_f64 v[172:173], v[168:169], v[166:167]
	scratch_load_dwordx4 v[166:169], off, off offset:832
	v_fmac_f64_e32 v[172:173], v[170:171], v[0:1]
	s_waitcnt vmcnt(0)
	v_add_f64 v[166:167], v[166:167], -v[2:3]
	v_add_f64 v[168:169], v[168:169], -v[172:173]
	scratch_store_dwordx4 off, v[166:169], off offset:832
	ds_read2_b64 v[168:171], v250 offset0:106 offset1:107
	scratch_load_dwordx2 v[166:167], off, off offset:640
	scratch_load_dwordx2 v[0:1], off, off offset:648
	s_waitcnt vmcnt(0) lgkmcnt(0)
	v_mul_f64 v[2:3], v[170:171], v[0:1]
	v_mul_f64 v[172:173], v[168:169], v[0:1]
	v_fma_f64 v[2:3], v[168:169], v[166:167], -v[2:3]
	v_fmac_f64_e32 v[172:173], v[170:171], v[166:167]
	scratch_load_dwordx4 v[168:171], off, off offset:848
	s_waitcnt vmcnt(0)
	v_add_f64 v[168:169], v[168:169], -v[2:3]
	v_add_f64 v[170:171], v[170:171], -v[172:173]
	scratch_store_dwordx4 off, v[168:171], off offset:848
	ds_read2_b64 v[168:171], v250 offset0:108 offset1:109
	s_waitcnt lgkmcnt(0)
	v_mul_f64 v[2:3], v[170:171], v[0:1]
	v_mul_f64 v[172:173], v[168:169], v[0:1]
	v_fma_f64 v[2:3], v[168:169], v[166:167], -v[2:3]
	v_fmac_f64_e32 v[172:173], v[170:171], v[166:167]
	scratch_load_dwordx4 v[168:171], off, off offset:864
	s_waitcnt vmcnt(0)
	v_add_f64 v[168:169], v[168:169], -v[2:3]
	v_add_f64 v[170:171], v[170:171], -v[172:173]
	scratch_store_dwordx4 off, v[168:171], off offset:864
	ds_read2_b64 v[168:171], v250 offset0:110 offset1:111
	s_waitcnt lgkmcnt(0)
	;; [unrolled: 11-line block ×5, first 2 shown]
	v_mul_f64 v[2:3], v[170:171], v[0:1]
	v_mul_f64 v[0:1], v[168:169], v[0:1]
	v_fma_f64 v[2:3], v[168:169], v[166:167], -v[2:3]
	v_fmac_f64_e32 v[0:1], v[170:171], v[166:167]
	scratch_load_dwordx4 v[166:169], off, off offset:928
	s_waitcnt vmcnt(0)
	v_add_f64 v[168:169], v[168:169], -v[0:1]
	scratch_load_dwordx2 v[0:1], off, off offset:648
	v_add_f64 v[166:167], v[166:167], -v[2:3]
	scratch_store_dwordx4 off, v[166:169], off offset:928
	ds_read2_b64 v[166:169], v250 offset0:118 offset1:119
	s_waitcnt vmcnt(1) lgkmcnt(0)
	v_mul_f64 v[2:3], v[168:169], v[0:1]
	v_mul_f64 v[170:171], v[166:167], v[0:1]
	v_fma_f64 v[2:3], v[166:167], v[164:165], -v[2:3]
	v_fmac_f64_e32 v[170:171], v[168:169], v[164:165]
	scratch_load_dwordx4 v[166:169], off, off offset:944
	s_waitcnt vmcnt(0)
	v_add_f64 v[166:167], v[166:167], -v[2:3]
	v_add_f64 v[168:169], v[168:169], -v[170:171]
	scratch_store_dwordx4 off, v[166:169], off offset:944
	ds_read2_b64 v[166:169], v250 offset0:120 offset1:121
	s_waitcnt lgkmcnt(0)
	v_mul_f64 v[2:3], v[168:169], v[0:1]
	v_mul_f64 v[170:171], v[166:167], v[0:1]
	v_fma_f64 v[2:3], v[166:167], v[164:165], -v[2:3]
	v_fmac_f64_e32 v[170:171], v[168:169], v[164:165]
	scratch_load_dwordx4 v[166:169], off, off offset:960
	s_waitcnt vmcnt(0)
	v_add_f64 v[168:169], v[168:169], -v[170:171]
	ds_read2_b64 v[170:173], v250 offset0:122 offset1:123
	v_add_f64 v[166:167], v[166:167], -v[2:3]
	scratch_store_dwordx4 off, v[166:169], off offset:960
	s_waitcnt lgkmcnt(0)
	v_mul_f64 v[2:3], v[172:173], v[0:1]
	v_fma_f64 v[168:169], v[170:171], v[164:165], -v[2:3]
	v_mul_f64 v[170:171], v[170:171], v[0:1]
	v_fmac_f64_e32 v[170:171], v[172:173], v[164:165]
	scratch_load_dwordx4 v[164:167], off, off offset:976
	s_waitcnt vmcnt(0)
	v_add_f64 v[164:165], v[164:165], -v[168:169]
	v_add_f64 v[166:167], v[166:167], -v[170:171]
	scratch_store_dwordx4 off, v[164:167], off offset:976
.LBB123_477:
	s_or_b64 exec, exec, s[2:3]
	v_cmp_eq_u32_e32 vcc, 41, v248
	s_waitcnt lgkmcnt(0)
	s_barrier
	s_and_saveexec_b64 s[4:5], vcc
	s_cbranch_execz .LBB123_484
; %bb.478:
	scratch_load_dwordx4 v[164:167], off, s29
	s_waitcnt vmcnt(0)
	ds_write2_b64 v249, v[164:165], v[166:167] offset1:1
	scratch_load_dwordx4 v[164:167], off, s30
	s_waitcnt vmcnt(0)
	ds_write2_b64 v250, v[164:165], v[166:167] offset0:84 offset1:85
	scratch_load_dwordx4 v[164:167], off, s27
	s_waitcnt vmcnt(0)
	ds_write2_b64 v250, v[164:165], v[166:167] offset0:86 offset1:87
	;; [unrolled: 3-line block ×20, first 2 shown]
	ds_read2_b64 v[164:167], v249 offset1:1
	s_waitcnt lgkmcnt(0)
	v_cmp_neq_f64_e32 vcc, 0, v[164:165]
	v_cmp_neq_f64_e64 s[2:3], 0, v[166:167]
	s_or_b64 s[2:3], vcc, s[2:3]
	s_and_b64 exec, exec, s[2:3]
	s_cbranch_execz .LBB123_484
; %bb.479:
	v_cmp_ngt_f64_e64 s[2:3], |v[164:165]|, |v[166:167]|
                                        ; implicit-def: $vgpr168_vgpr169
	s_and_saveexec_b64 s[10:11], s[2:3]
	s_xor_b64 s[2:3], exec, s[10:11]
                                        ; implicit-def: $vgpr170_vgpr171
	s_cbranch_execz .LBB123_481
; %bb.480:
	v_div_scale_f64 v[0:1], s[10:11], v[166:167], v[166:167], v[164:165]
	v_rcp_f64_e32 v[2:3], v[0:1]
	v_div_scale_f64 v[168:169], vcc, v[164:165], v[166:167], v[164:165]
	v_fma_f64 v[170:171], -v[0:1], v[2:3], 1.0
	v_fmac_f64_e32 v[2:3], v[2:3], v[170:171]
	v_fma_f64 v[170:171], -v[0:1], v[2:3], 1.0
	v_fmac_f64_e32 v[2:3], v[2:3], v[170:171]
	v_mul_f64 v[170:171], v[168:169], v[2:3]
	v_fma_f64 v[0:1], -v[0:1], v[170:171], v[168:169]
	v_div_fmas_f64 v[0:1], v[0:1], v[2:3], v[170:171]
	v_div_fixup_f64 v[0:1], v[0:1], v[166:167], v[164:165]
	v_fmac_f64_e32 v[166:167], v[164:165], v[0:1]
	v_div_scale_f64 v[2:3], s[10:11], v[166:167], v[166:167], 1.0
	v_rcp_f64_e32 v[164:165], v[2:3]
	s_nop 0
	v_fma_f64 v[168:169], -v[2:3], v[164:165], 1.0
	v_fmac_f64_e32 v[164:165], v[164:165], v[168:169]
	v_fma_f64 v[168:169], -v[2:3], v[164:165], 1.0
	v_fmac_f64_e32 v[164:165], v[164:165], v[168:169]
	v_div_scale_f64 v[168:169], vcc, 1.0, v[166:167], 1.0
	v_mul_f64 v[170:171], v[168:169], v[164:165]
	v_fma_f64 v[2:3], -v[2:3], v[170:171], v[168:169]
	s_nop 1
	v_div_fmas_f64 v[2:3], v[2:3], v[164:165], v[170:171]
	v_div_fixup_f64 v[170:171], v[2:3], v[166:167], 1.0
	v_mul_f64 v[168:169], v[0:1], v[170:171]
	v_xor_b32_e32 v171, 0x80000000, v171
                                        ; implicit-def: $vgpr164_vgpr165
.LBB123_481:
	s_andn2_saveexec_b64 s[2:3], s[2:3]
	s_cbranch_execz .LBB123_483
; %bb.482:
	v_div_scale_f64 v[0:1], s[10:11], v[164:165], v[164:165], v[166:167]
	v_rcp_f64_e32 v[2:3], v[0:1]
	v_div_scale_f64 v[168:169], vcc, v[166:167], v[164:165], v[166:167]
	v_fma_f64 v[170:171], -v[0:1], v[2:3], 1.0
	v_fmac_f64_e32 v[2:3], v[2:3], v[170:171]
	v_fma_f64 v[170:171], -v[0:1], v[2:3], 1.0
	v_fmac_f64_e32 v[2:3], v[2:3], v[170:171]
	v_mul_f64 v[170:171], v[168:169], v[2:3]
	v_fma_f64 v[0:1], -v[0:1], v[170:171], v[168:169]
	v_div_fmas_f64 v[0:1], v[0:1], v[2:3], v[170:171]
	v_div_fixup_f64 v[0:1], v[0:1], v[164:165], v[166:167]
	v_fmac_f64_e32 v[164:165], v[166:167], v[0:1]
	v_div_scale_f64 v[2:3], s[10:11], v[164:165], v[164:165], 1.0
	v_rcp_f64_e32 v[166:167], v[2:3]
	s_nop 0
	v_fma_f64 v[168:169], -v[2:3], v[166:167], 1.0
	v_fmac_f64_e32 v[166:167], v[166:167], v[168:169]
	v_fma_f64 v[168:169], -v[2:3], v[166:167], 1.0
	v_fmac_f64_e32 v[166:167], v[166:167], v[168:169]
	v_div_scale_f64 v[168:169], vcc, 1.0, v[164:165], 1.0
	v_mul_f64 v[170:171], v[168:169], v[166:167]
	v_fma_f64 v[2:3], -v[2:3], v[170:171], v[168:169]
	s_nop 1
	v_div_fmas_f64 v[2:3], v[2:3], v[166:167], v[170:171]
	v_div_fixup_f64 v[168:169], v[2:3], v[164:165], 1.0
	v_mul_f64 v[170:171], v[0:1], -v[168:169]
.LBB123_483:
	s_or_b64 exec, exec, s[2:3]
	ds_write2_b64 v249, v[168:169], v[170:171] offset1:1
.LBB123_484:
	s_or_b64 exec, exec, s[4:5]
	s_waitcnt lgkmcnt(0)
	s_barrier
	ds_read2_b64 v[164:167], v249 offset1:1
	v_cmp_lt_u32_e32 vcc, 41, v248
	s_and_saveexec_b64 s[2:3], vcc
	s_cbranch_execz .LBB123_486
; %bb.485:
	scratch_load_dwordx4 v[168:171], off, off offset:656
	s_waitcnt vmcnt(0) lgkmcnt(0)
	v_mul_f64 v[0:1], v[166:167], v[170:171]
	v_mul_f64 v[174:175], v[164:165], v[170:171]
	v_fma_f64 v[172:173], v[164:165], v[168:169], -v[0:1]
	v_fmac_f64_e32 v[174:175], v[166:167], v[168:169]
	ds_read2_b64 v[168:171], v250 offset0:84 offset1:85
	scratch_store_dwordx4 off, v[172:175], off offset:656
	s_waitcnt lgkmcnt(0)
	v_mul_f64 v[0:1], v[170:171], v[174:175]
	v_mul_f64 v[2:3], v[168:169], v[174:175]
	v_fma_f64 v[0:1], v[168:169], v[172:173], -v[0:1]
	v_fmac_f64_e32 v[2:3], v[170:171], v[172:173]
	scratch_load_dwordx4 v[168:171], off, off offset:672
	s_waitcnt vmcnt(0)
	v_add_f64 v[168:169], v[168:169], -v[0:1]
	v_add_f64 v[170:171], v[170:171], -v[2:3]
	scratch_store_dwordx4 off, v[168:171], off offset:672
	ds_read2_b64 v[168:171], v250 offset0:86 offset1:87
	s_waitcnt lgkmcnt(0)
	v_mul_f64 v[0:1], v[170:171], v[174:175]
	v_mul_f64 v[2:3], v[168:169], v[174:175]
	v_fma_f64 v[0:1], v[168:169], v[172:173], -v[0:1]
	v_fmac_f64_e32 v[2:3], v[170:171], v[172:173]
	scratch_load_dwordx4 v[168:171], off, off offset:688
	s_waitcnt vmcnt(0)
	v_add_f64 v[168:169], v[168:169], -v[0:1]
	v_add_f64 v[170:171], v[170:171], -v[2:3]
	scratch_store_dwordx4 off, v[168:171], off offset:688
	ds_read2_b64 v[168:171], v250 offset0:88 offset1:89
	;; [unrolled: 11-line block ×5, first 2 shown]
	s_waitcnt lgkmcnt(0)
	v_mul_f64 v[0:1], v[170:171], v[174:175]
	v_mul_f64 v[2:3], v[168:169], v[174:175]
	v_fma_f64 v[0:1], v[168:169], v[172:173], -v[0:1]
	v_fmac_f64_e32 v[2:3], v[170:171], v[172:173]
	scratch_load_dwordx4 v[168:171], off, off offset:752
	ds_read2_b64 v[172:175], v250 offset0:96 offset1:97
	s_waitcnt vmcnt(0)
	v_add_f64 v[168:169], v[168:169], -v[0:1]
	v_add_f64 v[170:171], v[170:171], -v[2:3]
	scratch_store_dwordx4 off, v[168:171], off offset:752
	scratch_load_dwordx2 v[0:1], off, off offset:656
	s_nop 0
	scratch_load_dwordx4 v[168:171], off, off offset:656
	s_waitcnt vmcnt(0) lgkmcnt(0)
	v_mul_f64 v[2:3], v[174:175], v[170:171]
	v_mul_f64 v[176:177], v[172:173], v[170:171]
	v_fma_f64 v[2:3], v[172:173], v[0:1], -v[2:3]
	v_fmac_f64_e32 v[176:177], v[174:175], v[0:1]
	scratch_load_dwordx4 v[172:175], off, off offset:768
	s_waitcnt vmcnt(0)
	v_add_f64 v[172:173], v[172:173], -v[2:3]
	v_add_f64 v[174:175], v[174:175], -v[176:177]
	scratch_store_dwordx4 off, v[172:175], off offset:768
	ds_read2_b64 v[172:175], v250 offset0:98 offset1:99
	s_waitcnt lgkmcnt(0)
	v_mul_f64 v[2:3], v[174:175], v[170:171]
	v_mul_f64 v[176:177], v[172:173], v[170:171]
	v_fma_f64 v[2:3], v[172:173], v[0:1], -v[2:3]
	v_fmac_f64_e32 v[176:177], v[174:175], v[0:1]
	scratch_load_dwordx4 v[172:175], off, off offset:784
	s_waitcnt vmcnt(0)
	v_add_f64 v[172:173], v[172:173], -v[2:3]
	v_add_f64 v[174:175], v[174:175], -v[176:177]
	scratch_store_dwordx4 off, v[172:175], off offset:784
	ds_read2_b64 v[172:175], v250 offset0:100 offset1:101
	s_waitcnt lgkmcnt(0)
	;; [unrolled: 11-line block ×5, first 2 shown]
	v_mul_f64 v[2:3], v[174:175], v[170:171]
	v_fma_f64 v[2:3], v[172:173], v[0:1], -v[2:3]
	v_mul_f64 v[176:177], v[172:173], v[170:171]
	scratch_load_dwordx4 v[170:173], off, off offset:848
	v_fmac_f64_e32 v[176:177], v[174:175], v[0:1]
	s_waitcnt vmcnt(0)
	v_add_f64 v[170:171], v[170:171], -v[2:3]
	v_add_f64 v[172:173], v[172:173], -v[176:177]
	scratch_store_dwordx4 off, v[170:173], off offset:848
	ds_read2_b64 v[172:175], v250 offset0:108 offset1:109
	scratch_load_dwordx2 v[170:171], off, off offset:656
	scratch_load_dwordx2 v[0:1], off, off offset:664
	s_waitcnt vmcnt(0) lgkmcnt(0)
	v_mul_f64 v[2:3], v[174:175], v[0:1]
	v_mul_f64 v[176:177], v[172:173], v[0:1]
	v_fma_f64 v[2:3], v[172:173], v[170:171], -v[2:3]
	v_fmac_f64_e32 v[176:177], v[174:175], v[170:171]
	scratch_load_dwordx4 v[172:175], off, off offset:864
	s_waitcnt vmcnt(0)
	v_add_f64 v[172:173], v[172:173], -v[2:3]
	v_add_f64 v[174:175], v[174:175], -v[176:177]
	scratch_store_dwordx4 off, v[172:175], off offset:864
	ds_read2_b64 v[172:175], v250 offset0:110 offset1:111
	s_waitcnt lgkmcnt(0)
	v_mul_f64 v[2:3], v[174:175], v[0:1]
	v_mul_f64 v[176:177], v[172:173], v[0:1]
	v_fma_f64 v[2:3], v[172:173], v[170:171], -v[2:3]
	v_fmac_f64_e32 v[176:177], v[174:175], v[170:171]
	scratch_load_dwordx4 v[172:175], off, off offset:880
	s_waitcnt vmcnt(0)
	v_add_f64 v[172:173], v[172:173], -v[2:3]
	v_add_f64 v[174:175], v[174:175], -v[176:177]
	scratch_store_dwordx4 off, v[172:175], off offset:880
	ds_read2_b64 v[172:175], v250 offset0:112 offset1:113
	s_waitcnt lgkmcnt(0)
	;; [unrolled: 11-line block ×5, first 2 shown]
	v_mul_f64 v[2:3], v[174:175], v[0:1]
	v_mul_f64 v[0:1], v[172:173], v[0:1]
	v_fma_f64 v[2:3], v[172:173], v[170:171], -v[2:3]
	v_fmac_f64_e32 v[0:1], v[174:175], v[170:171]
	scratch_load_dwordx4 v[170:173], off, off offset:944
	s_waitcnt vmcnt(0)
	v_add_f64 v[172:173], v[172:173], -v[0:1]
	scratch_load_dwordx2 v[0:1], off, off offset:664
	v_add_f64 v[170:171], v[170:171], -v[2:3]
	scratch_store_dwordx4 off, v[170:173], off offset:944
	ds_read2_b64 v[170:173], v250 offset0:120 offset1:121
	s_waitcnt vmcnt(1) lgkmcnt(0)
	v_mul_f64 v[2:3], v[172:173], v[0:1]
	v_mul_f64 v[174:175], v[170:171], v[0:1]
	v_fma_f64 v[2:3], v[170:171], v[168:169], -v[2:3]
	v_fmac_f64_e32 v[174:175], v[172:173], v[168:169]
	scratch_load_dwordx4 v[170:173], off, off offset:960
	s_waitcnt vmcnt(0)
	v_add_f64 v[172:173], v[172:173], -v[174:175]
	ds_read2_b64 v[174:177], v250 offset0:122 offset1:123
	v_add_f64 v[170:171], v[170:171], -v[2:3]
	scratch_store_dwordx4 off, v[170:173], off offset:960
	s_waitcnt lgkmcnt(0)
	v_mul_f64 v[2:3], v[176:177], v[0:1]
	v_fma_f64 v[172:173], v[174:175], v[168:169], -v[2:3]
	v_mul_f64 v[174:175], v[174:175], v[0:1]
	v_fmac_f64_e32 v[174:175], v[176:177], v[168:169]
	scratch_load_dwordx4 v[168:171], off, off offset:976
	s_waitcnt vmcnt(0)
	v_add_f64 v[168:169], v[168:169], -v[172:173]
	v_add_f64 v[170:171], v[170:171], -v[174:175]
	scratch_store_dwordx4 off, v[168:171], off offset:976
.LBB123_486:
	s_or_b64 exec, exec, s[2:3]
	v_cmp_eq_u32_e32 vcc, 42, v248
	s_waitcnt lgkmcnt(0)
	s_barrier
	s_and_saveexec_b64 s[4:5], vcc
	s_cbranch_execz .LBB123_493
; %bb.487:
	scratch_load_dwordx4 v[168:171], off, s30
	s_waitcnt vmcnt(0)
	ds_write2_b64 v249, v[168:169], v[170:171] offset1:1
	scratch_load_dwordx4 v[168:171], off, s27
	s_waitcnt vmcnt(0)
	ds_write2_b64 v250, v[168:169], v[170:171] offset0:86 offset1:87
	scratch_load_dwordx4 v[168:171], off, s28
	s_waitcnt vmcnt(0)
	ds_write2_b64 v250, v[168:169], v[170:171] offset0:88 offset1:89
	;; [unrolled: 3-line block ×19, first 2 shown]
	ds_read2_b64 v[168:171], v249 offset1:1
	s_waitcnt lgkmcnt(0)
	v_cmp_neq_f64_e32 vcc, 0, v[168:169]
	v_cmp_neq_f64_e64 s[2:3], 0, v[170:171]
	s_or_b64 s[2:3], vcc, s[2:3]
	s_and_b64 exec, exec, s[2:3]
	s_cbranch_execz .LBB123_493
; %bb.488:
	v_cmp_ngt_f64_e64 s[2:3], |v[168:169]|, |v[170:171]|
                                        ; implicit-def: $vgpr172_vgpr173
	s_and_saveexec_b64 s[10:11], s[2:3]
	s_xor_b64 s[2:3], exec, s[10:11]
                                        ; implicit-def: $vgpr174_vgpr175
	s_cbranch_execz .LBB123_490
; %bb.489:
	v_div_scale_f64 v[0:1], s[10:11], v[170:171], v[170:171], v[168:169]
	v_rcp_f64_e32 v[2:3], v[0:1]
	v_div_scale_f64 v[172:173], vcc, v[168:169], v[170:171], v[168:169]
	v_fma_f64 v[174:175], -v[0:1], v[2:3], 1.0
	v_fmac_f64_e32 v[2:3], v[2:3], v[174:175]
	v_fma_f64 v[174:175], -v[0:1], v[2:3], 1.0
	v_fmac_f64_e32 v[2:3], v[2:3], v[174:175]
	v_mul_f64 v[174:175], v[172:173], v[2:3]
	v_fma_f64 v[0:1], -v[0:1], v[174:175], v[172:173]
	v_div_fmas_f64 v[0:1], v[0:1], v[2:3], v[174:175]
	v_div_fixup_f64 v[0:1], v[0:1], v[170:171], v[168:169]
	v_fmac_f64_e32 v[170:171], v[168:169], v[0:1]
	v_div_scale_f64 v[2:3], s[10:11], v[170:171], v[170:171], 1.0
	v_rcp_f64_e32 v[168:169], v[2:3]
	s_nop 0
	v_fma_f64 v[172:173], -v[2:3], v[168:169], 1.0
	v_fmac_f64_e32 v[168:169], v[168:169], v[172:173]
	v_fma_f64 v[172:173], -v[2:3], v[168:169], 1.0
	v_fmac_f64_e32 v[168:169], v[168:169], v[172:173]
	v_div_scale_f64 v[172:173], vcc, 1.0, v[170:171], 1.0
	v_mul_f64 v[174:175], v[172:173], v[168:169]
	v_fma_f64 v[2:3], -v[2:3], v[174:175], v[172:173]
	s_nop 1
	v_div_fmas_f64 v[2:3], v[2:3], v[168:169], v[174:175]
	v_div_fixup_f64 v[174:175], v[2:3], v[170:171], 1.0
	v_mul_f64 v[172:173], v[0:1], v[174:175]
	v_xor_b32_e32 v175, 0x80000000, v175
                                        ; implicit-def: $vgpr168_vgpr169
.LBB123_490:
	s_andn2_saveexec_b64 s[2:3], s[2:3]
	s_cbranch_execz .LBB123_492
; %bb.491:
	v_div_scale_f64 v[0:1], s[10:11], v[168:169], v[168:169], v[170:171]
	v_rcp_f64_e32 v[2:3], v[0:1]
	v_div_scale_f64 v[172:173], vcc, v[170:171], v[168:169], v[170:171]
	v_fma_f64 v[174:175], -v[0:1], v[2:3], 1.0
	v_fmac_f64_e32 v[2:3], v[2:3], v[174:175]
	v_fma_f64 v[174:175], -v[0:1], v[2:3], 1.0
	v_fmac_f64_e32 v[2:3], v[2:3], v[174:175]
	v_mul_f64 v[174:175], v[172:173], v[2:3]
	v_fma_f64 v[0:1], -v[0:1], v[174:175], v[172:173]
	v_div_fmas_f64 v[0:1], v[0:1], v[2:3], v[174:175]
	v_div_fixup_f64 v[0:1], v[0:1], v[168:169], v[170:171]
	v_fmac_f64_e32 v[168:169], v[170:171], v[0:1]
	v_div_scale_f64 v[2:3], s[10:11], v[168:169], v[168:169], 1.0
	v_rcp_f64_e32 v[170:171], v[2:3]
	s_nop 0
	v_fma_f64 v[172:173], -v[2:3], v[170:171], 1.0
	v_fmac_f64_e32 v[170:171], v[170:171], v[172:173]
	v_fma_f64 v[172:173], -v[2:3], v[170:171], 1.0
	v_fmac_f64_e32 v[170:171], v[170:171], v[172:173]
	v_div_scale_f64 v[172:173], vcc, 1.0, v[168:169], 1.0
	v_mul_f64 v[174:175], v[172:173], v[170:171]
	v_fma_f64 v[2:3], -v[2:3], v[174:175], v[172:173]
	s_nop 1
	v_div_fmas_f64 v[2:3], v[2:3], v[170:171], v[174:175]
	v_div_fixup_f64 v[172:173], v[2:3], v[168:169], 1.0
	v_mul_f64 v[174:175], v[0:1], -v[172:173]
.LBB123_492:
	s_or_b64 exec, exec, s[2:3]
	ds_write2_b64 v249, v[172:173], v[174:175] offset1:1
.LBB123_493:
	s_or_b64 exec, exec, s[4:5]
	s_waitcnt lgkmcnt(0)
	s_barrier
	ds_read2_b64 v[168:171], v249 offset1:1
	v_cmp_lt_u32_e32 vcc, 42, v248
	s_and_saveexec_b64 s[2:3], vcc
	s_cbranch_execz .LBB123_495
; %bb.494:
	scratch_load_dwordx4 v[172:175], off, off offset:672
	s_waitcnt vmcnt(0) lgkmcnt(0)
	v_mul_f64 v[0:1], v[170:171], v[174:175]
	v_mul_f64 v[178:179], v[168:169], v[174:175]
	v_fma_f64 v[176:177], v[168:169], v[172:173], -v[0:1]
	v_fmac_f64_e32 v[178:179], v[170:171], v[172:173]
	ds_read2_b64 v[172:175], v250 offset0:86 offset1:87
	scratch_store_dwordx4 off, v[176:179], off offset:672
	s_waitcnt lgkmcnt(0)
	v_mul_f64 v[0:1], v[174:175], v[178:179]
	v_mul_f64 v[2:3], v[172:173], v[178:179]
	v_fma_f64 v[0:1], v[172:173], v[176:177], -v[0:1]
	v_fmac_f64_e32 v[2:3], v[174:175], v[176:177]
	scratch_load_dwordx4 v[172:175], off, off offset:688
	s_waitcnt vmcnt(0)
	v_add_f64 v[172:173], v[172:173], -v[0:1]
	v_add_f64 v[174:175], v[174:175], -v[2:3]
	scratch_store_dwordx4 off, v[172:175], off offset:688
	ds_read2_b64 v[172:175], v250 offset0:88 offset1:89
	s_waitcnt lgkmcnt(0)
	v_mul_f64 v[0:1], v[174:175], v[178:179]
	v_mul_f64 v[2:3], v[172:173], v[178:179]
	v_fma_f64 v[0:1], v[172:173], v[176:177], -v[0:1]
	v_fmac_f64_e32 v[2:3], v[174:175], v[176:177]
	scratch_load_dwordx4 v[172:175], off, off offset:704
	s_waitcnt vmcnt(0)
	v_add_f64 v[172:173], v[172:173], -v[0:1]
	v_add_f64 v[174:175], v[174:175], -v[2:3]
	scratch_store_dwordx4 off, v[172:175], off offset:704
	ds_read2_b64 v[172:175], v250 offset0:90 offset1:91
	;; [unrolled: 11-line block ×5, first 2 shown]
	s_waitcnt lgkmcnt(0)
	v_mul_f64 v[0:1], v[174:175], v[178:179]
	v_mul_f64 v[2:3], v[172:173], v[178:179]
	v_fma_f64 v[0:1], v[172:173], v[176:177], -v[0:1]
	v_fmac_f64_e32 v[2:3], v[174:175], v[176:177]
	scratch_load_dwordx4 v[172:175], off, off offset:768
	ds_read2_b64 v[176:179], v250 offset0:98 offset1:99
	s_waitcnt vmcnt(0)
	v_add_f64 v[172:173], v[172:173], -v[0:1]
	v_add_f64 v[174:175], v[174:175], -v[2:3]
	scratch_store_dwordx4 off, v[172:175], off offset:768
	scratch_load_dwordx2 v[0:1], off, off offset:672
	s_nop 0
	scratch_load_dwordx4 v[172:175], off, off offset:672
	s_waitcnt vmcnt(0) lgkmcnt(0)
	v_mul_f64 v[2:3], v[178:179], v[174:175]
	v_mul_f64 v[180:181], v[176:177], v[174:175]
	v_fma_f64 v[2:3], v[176:177], v[0:1], -v[2:3]
	v_fmac_f64_e32 v[180:181], v[178:179], v[0:1]
	scratch_load_dwordx4 v[176:179], off, off offset:784
	s_waitcnt vmcnt(0)
	v_add_f64 v[176:177], v[176:177], -v[2:3]
	v_add_f64 v[178:179], v[178:179], -v[180:181]
	scratch_store_dwordx4 off, v[176:179], off offset:784
	ds_read2_b64 v[176:179], v250 offset0:100 offset1:101
	s_waitcnt lgkmcnt(0)
	v_mul_f64 v[2:3], v[178:179], v[174:175]
	v_mul_f64 v[180:181], v[176:177], v[174:175]
	v_fma_f64 v[2:3], v[176:177], v[0:1], -v[2:3]
	v_fmac_f64_e32 v[180:181], v[178:179], v[0:1]
	scratch_load_dwordx4 v[176:179], off, off offset:800
	s_waitcnt vmcnt(0)
	v_add_f64 v[176:177], v[176:177], -v[2:3]
	v_add_f64 v[178:179], v[178:179], -v[180:181]
	scratch_store_dwordx4 off, v[176:179], off offset:800
	ds_read2_b64 v[176:179], v250 offset0:102 offset1:103
	s_waitcnt lgkmcnt(0)
	;; [unrolled: 11-line block ×5, first 2 shown]
	v_mul_f64 v[2:3], v[178:179], v[174:175]
	v_fma_f64 v[2:3], v[176:177], v[0:1], -v[2:3]
	v_mul_f64 v[180:181], v[176:177], v[174:175]
	scratch_load_dwordx4 v[174:177], off, off offset:864
	v_fmac_f64_e32 v[180:181], v[178:179], v[0:1]
	s_waitcnt vmcnt(0)
	v_add_f64 v[174:175], v[174:175], -v[2:3]
	v_add_f64 v[176:177], v[176:177], -v[180:181]
	scratch_store_dwordx4 off, v[174:177], off offset:864
	ds_read2_b64 v[178:181], v250 offset0:110 offset1:111
	scratch_load_dwordx2 v[174:175], off, off offset:672
	scratch_load_dwordx2 v[176:177], off, off offset:680
	s_waitcnt vmcnt(0) lgkmcnt(0)
	v_mul_f64 v[0:1], v[180:181], v[176:177]
	v_mul_f64 v[2:3], v[178:179], v[176:177]
	v_fma_f64 v[0:1], v[178:179], v[174:175], -v[0:1]
	v_fmac_f64_e32 v[2:3], v[180:181], v[174:175]
	scratch_load_dwordx4 v[178:181], off, off offset:880
	s_waitcnt vmcnt(0)
	v_add_f64 v[178:179], v[178:179], -v[0:1]
	v_add_f64 v[180:181], v[180:181], -v[2:3]
	scratch_store_dwordx4 off, v[178:181], off offset:880
	ds_read2_b64 v[178:181], v250 offset0:112 offset1:113
	s_waitcnt lgkmcnt(0)
	v_mul_f64 v[0:1], v[180:181], v[176:177]
	v_mul_f64 v[2:3], v[178:179], v[176:177]
	v_fma_f64 v[0:1], v[178:179], v[174:175], -v[0:1]
	v_fmac_f64_e32 v[2:3], v[180:181], v[174:175]
	scratch_load_dwordx4 v[178:181], off, off offset:896
	s_waitcnt vmcnt(0)
	v_add_f64 v[178:179], v[178:179], -v[0:1]
	v_add_f64 v[180:181], v[180:181], -v[2:3]
	scratch_store_dwordx4 off, v[178:181], off offset:896
	ds_read2_b64 v[178:181], v250 offset0:114 offset1:115
	s_waitcnt lgkmcnt(0)
	;; [unrolled: 11-line block ×5, first 2 shown]
	v_mul_f64 v[0:1], v[180:181], v[176:177]
	v_mul_f64 v[2:3], v[178:179], v[176:177]
	v_fma_f64 v[0:1], v[178:179], v[174:175], -v[0:1]
	v_fmac_f64_e32 v[2:3], v[180:181], v[174:175]
	scratch_load_dwordx4 v[174:177], off, off offset:960
	ds_read2_b64 v[178:181], v250 offset0:122 offset1:123
	s_waitcnt vmcnt(0)
	v_add_f64 v[174:175], v[174:175], -v[0:1]
	scratch_load_dwordx2 v[0:1], off, off offset:680
	v_add_f64 v[176:177], v[176:177], -v[2:3]
	scratch_store_dwordx4 off, v[174:177], off offset:960
	s_waitcnt vmcnt(1) lgkmcnt(0)
	v_mul_f64 v[2:3], v[180:181], v[0:1]
	v_fma_f64 v[176:177], v[178:179], v[172:173], -v[2:3]
	v_mul_f64 v[178:179], v[178:179], v[0:1]
	v_fmac_f64_e32 v[178:179], v[180:181], v[172:173]
	scratch_load_dwordx4 v[172:175], off, off offset:976
	s_waitcnt vmcnt(0)
	v_add_f64 v[172:173], v[172:173], -v[176:177]
	v_add_f64 v[174:175], v[174:175], -v[178:179]
	scratch_store_dwordx4 off, v[172:175], off offset:976
.LBB123_495:
	s_or_b64 exec, exec, s[2:3]
	v_cmp_eq_u32_e32 vcc, 43, v248
	s_waitcnt lgkmcnt(0)
	s_barrier
	s_and_saveexec_b64 s[4:5], vcc
	s_cbranch_execz .LBB123_502
; %bb.496:
	scratch_load_dwordx4 v[172:175], off, s27
	s_waitcnt vmcnt(0)
	ds_write2_b64 v249, v[172:173], v[174:175] offset1:1
	scratch_load_dwordx4 v[172:175], off, s28
	s_waitcnt vmcnt(0)
	ds_write2_b64 v250, v[172:173], v[174:175] offset0:88 offset1:89
	scratch_load_dwordx4 v[172:175], off, s25
	s_waitcnt vmcnt(0)
	ds_write2_b64 v250, v[172:173], v[174:175] offset0:90 offset1:91
	;; [unrolled: 3-line block ×18, first 2 shown]
	ds_read2_b64 v[172:175], v249 offset1:1
	s_waitcnt lgkmcnt(0)
	v_cmp_neq_f64_e32 vcc, 0, v[172:173]
	v_cmp_neq_f64_e64 s[2:3], 0, v[174:175]
	s_or_b64 s[2:3], vcc, s[2:3]
	s_and_b64 exec, exec, s[2:3]
	s_cbranch_execz .LBB123_502
; %bb.497:
	v_cmp_ngt_f64_e64 s[2:3], |v[172:173]|, |v[174:175]|
                                        ; implicit-def: $vgpr176_vgpr177
	s_and_saveexec_b64 s[10:11], s[2:3]
	s_xor_b64 s[2:3], exec, s[10:11]
                                        ; implicit-def: $vgpr178_vgpr179
	s_cbranch_execz .LBB123_499
; %bb.498:
	v_div_scale_f64 v[0:1], s[10:11], v[174:175], v[174:175], v[172:173]
	v_rcp_f64_e32 v[2:3], v[0:1]
	v_div_scale_f64 v[176:177], vcc, v[172:173], v[174:175], v[172:173]
	v_fma_f64 v[178:179], -v[0:1], v[2:3], 1.0
	v_fmac_f64_e32 v[2:3], v[2:3], v[178:179]
	v_fma_f64 v[178:179], -v[0:1], v[2:3], 1.0
	v_fmac_f64_e32 v[2:3], v[2:3], v[178:179]
	v_mul_f64 v[178:179], v[176:177], v[2:3]
	v_fma_f64 v[0:1], -v[0:1], v[178:179], v[176:177]
	v_div_fmas_f64 v[0:1], v[0:1], v[2:3], v[178:179]
	v_div_fixup_f64 v[0:1], v[0:1], v[174:175], v[172:173]
	v_fmac_f64_e32 v[174:175], v[172:173], v[0:1]
	v_div_scale_f64 v[2:3], s[10:11], v[174:175], v[174:175], 1.0
	v_rcp_f64_e32 v[172:173], v[2:3]
	s_nop 0
	v_fma_f64 v[176:177], -v[2:3], v[172:173], 1.0
	v_fmac_f64_e32 v[172:173], v[172:173], v[176:177]
	v_fma_f64 v[176:177], -v[2:3], v[172:173], 1.0
	v_fmac_f64_e32 v[172:173], v[172:173], v[176:177]
	v_div_scale_f64 v[176:177], vcc, 1.0, v[174:175], 1.0
	v_mul_f64 v[178:179], v[176:177], v[172:173]
	v_fma_f64 v[2:3], -v[2:3], v[178:179], v[176:177]
	s_nop 1
	v_div_fmas_f64 v[2:3], v[2:3], v[172:173], v[178:179]
	v_div_fixup_f64 v[178:179], v[2:3], v[174:175], 1.0
	v_mul_f64 v[176:177], v[0:1], v[178:179]
	v_xor_b32_e32 v179, 0x80000000, v179
                                        ; implicit-def: $vgpr172_vgpr173
.LBB123_499:
	s_andn2_saveexec_b64 s[2:3], s[2:3]
	s_cbranch_execz .LBB123_501
; %bb.500:
	v_div_scale_f64 v[0:1], s[10:11], v[172:173], v[172:173], v[174:175]
	v_rcp_f64_e32 v[2:3], v[0:1]
	v_div_scale_f64 v[176:177], vcc, v[174:175], v[172:173], v[174:175]
	v_fma_f64 v[178:179], -v[0:1], v[2:3], 1.0
	v_fmac_f64_e32 v[2:3], v[2:3], v[178:179]
	v_fma_f64 v[178:179], -v[0:1], v[2:3], 1.0
	v_fmac_f64_e32 v[2:3], v[2:3], v[178:179]
	v_mul_f64 v[178:179], v[176:177], v[2:3]
	v_fma_f64 v[0:1], -v[0:1], v[178:179], v[176:177]
	v_div_fmas_f64 v[0:1], v[0:1], v[2:3], v[178:179]
	v_div_fixup_f64 v[0:1], v[0:1], v[172:173], v[174:175]
	v_fmac_f64_e32 v[172:173], v[174:175], v[0:1]
	v_div_scale_f64 v[2:3], s[10:11], v[172:173], v[172:173], 1.0
	v_rcp_f64_e32 v[174:175], v[2:3]
	s_nop 0
	v_fma_f64 v[176:177], -v[2:3], v[174:175], 1.0
	v_fmac_f64_e32 v[174:175], v[174:175], v[176:177]
	v_fma_f64 v[176:177], -v[2:3], v[174:175], 1.0
	v_fmac_f64_e32 v[174:175], v[174:175], v[176:177]
	v_div_scale_f64 v[176:177], vcc, 1.0, v[172:173], 1.0
	v_mul_f64 v[178:179], v[176:177], v[174:175]
	v_fma_f64 v[2:3], -v[2:3], v[178:179], v[176:177]
	s_nop 1
	v_div_fmas_f64 v[2:3], v[2:3], v[174:175], v[178:179]
	v_div_fixup_f64 v[176:177], v[2:3], v[172:173], 1.0
	v_mul_f64 v[178:179], v[0:1], -v[176:177]
.LBB123_501:
	s_or_b64 exec, exec, s[2:3]
	ds_write2_b64 v249, v[176:177], v[178:179] offset1:1
.LBB123_502:
	s_or_b64 exec, exec, s[4:5]
	s_waitcnt lgkmcnt(0)
	s_barrier
	ds_read2_b64 v[172:175], v249 offset1:1
	v_cmp_lt_u32_e32 vcc, 43, v248
	s_and_saveexec_b64 s[2:3], vcc
	s_cbranch_execz .LBB123_504
; %bb.503:
	scratch_load_dwordx4 v[176:179], off, off offset:688
	s_waitcnt vmcnt(0) lgkmcnt(0)
	v_mul_f64 v[0:1], v[174:175], v[178:179]
	v_mul_f64 v[182:183], v[172:173], v[178:179]
	v_fma_f64 v[180:181], v[172:173], v[176:177], -v[0:1]
	v_fmac_f64_e32 v[182:183], v[174:175], v[176:177]
	ds_read2_b64 v[176:179], v250 offset0:88 offset1:89
	scratch_store_dwordx4 off, v[180:183], off offset:688
	s_waitcnt lgkmcnt(0)
	v_mul_f64 v[0:1], v[178:179], v[182:183]
	v_mul_f64 v[2:3], v[176:177], v[182:183]
	v_fma_f64 v[0:1], v[176:177], v[180:181], -v[0:1]
	v_fmac_f64_e32 v[2:3], v[178:179], v[180:181]
	scratch_load_dwordx4 v[176:179], off, off offset:704
	s_waitcnt vmcnt(0)
	v_add_f64 v[176:177], v[176:177], -v[0:1]
	v_add_f64 v[178:179], v[178:179], -v[2:3]
	scratch_store_dwordx4 off, v[176:179], off offset:704
	ds_read2_b64 v[176:179], v250 offset0:90 offset1:91
	s_waitcnt lgkmcnt(0)
	v_mul_f64 v[0:1], v[178:179], v[182:183]
	v_mul_f64 v[2:3], v[176:177], v[182:183]
	v_fma_f64 v[0:1], v[176:177], v[180:181], -v[0:1]
	v_fmac_f64_e32 v[2:3], v[178:179], v[180:181]
	scratch_load_dwordx4 v[176:179], off, off offset:720
	s_waitcnt vmcnt(0)
	v_add_f64 v[176:177], v[176:177], -v[0:1]
	v_add_f64 v[178:179], v[178:179], -v[2:3]
	scratch_store_dwordx4 off, v[176:179], off offset:720
	ds_read2_b64 v[176:179], v250 offset0:92 offset1:93
	;; [unrolled: 11-line block ×5, first 2 shown]
	s_waitcnt lgkmcnt(0)
	v_mul_f64 v[0:1], v[178:179], v[182:183]
	v_mul_f64 v[2:3], v[176:177], v[182:183]
	v_fma_f64 v[0:1], v[176:177], v[180:181], -v[0:1]
	v_fmac_f64_e32 v[2:3], v[178:179], v[180:181]
	scratch_load_dwordx4 v[176:179], off, off offset:784
	ds_read2_b64 v[180:183], v250 offset0:100 offset1:101
	s_waitcnt vmcnt(0)
	v_add_f64 v[176:177], v[176:177], -v[0:1]
	v_add_f64 v[178:179], v[178:179], -v[2:3]
	scratch_store_dwordx4 off, v[176:179], off offset:784
	scratch_load_dwordx2 v[0:1], off, off offset:688
	s_nop 0
	scratch_load_dwordx4 v[176:179], off, off offset:688
	s_waitcnt vmcnt(0) lgkmcnt(0)
	v_mul_f64 v[2:3], v[182:183], v[178:179]
	v_mul_f64 v[184:185], v[180:181], v[178:179]
	v_fma_f64 v[2:3], v[180:181], v[0:1], -v[2:3]
	v_fmac_f64_e32 v[184:185], v[182:183], v[0:1]
	scratch_load_dwordx4 v[180:183], off, off offset:800
	s_waitcnt vmcnt(0)
	v_add_f64 v[180:181], v[180:181], -v[2:3]
	v_add_f64 v[182:183], v[182:183], -v[184:185]
	scratch_store_dwordx4 off, v[180:183], off offset:800
	ds_read2_b64 v[180:183], v250 offset0:102 offset1:103
	s_waitcnt lgkmcnt(0)
	v_mul_f64 v[2:3], v[182:183], v[178:179]
	v_mul_f64 v[184:185], v[180:181], v[178:179]
	v_fma_f64 v[2:3], v[180:181], v[0:1], -v[2:3]
	v_fmac_f64_e32 v[184:185], v[182:183], v[0:1]
	scratch_load_dwordx4 v[180:183], off, off offset:816
	s_waitcnt vmcnt(0)
	v_add_f64 v[180:181], v[180:181], -v[2:3]
	v_add_f64 v[182:183], v[182:183], -v[184:185]
	scratch_store_dwordx4 off, v[180:183], off offset:816
	ds_read2_b64 v[180:183], v250 offset0:104 offset1:105
	s_waitcnt lgkmcnt(0)
	;; [unrolled: 11-line block ×5, first 2 shown]
	v_mul_f64 v[2:3], v[182:183], v[178:179]
	v_fma_f64 v[2:3], v[180:181], v[0:1], -v[2:3]
	v_mul_f64 v[184:185], v[180:181], v[178:179]
	scratch_load_dwordx4 v[178:181], off, off offset:880
	v_fmac_f64_e32 v[184:185], v[182:183], v[0:1]
	scratch_load_dwordx2 v[182:183], off, off offset:696
	s_waitcnt vmcnt(1)
	v_add_f64 v[178:179], v[178:179], -v[2:3]
	v_add_f64 v[180:181], v[180:181], -v[184:185]
	scratch_store_dwordx4 off, v[178:181], off offset:880
	ds_read2_b64 v[178:181], v250 offset0:112 offset1:113
	ds_read2_b64 v[184:187], v250 offset0:122 offset1:123
	s_waitcnt vmcnt(1) lgkmcnt(1)
	v_mul_f64 v[0:1], v[180:181], v[182:183]
	v_mul_f64 v[2:3], v[178:179], v[182:183]
	v_fma_f64 v[0:1], v[178:179], v[176:177], -v[0:1]
	v_fmac_f64_e32 v[2:3], v[180:181], v[176:177]
	scratch_load_dwordx4 v[178:181], off, off offset:896
	s_waitcnt vmcnt(0)
	v_add_f64 v[178:179], v[178:179], -v[0:1]
	v_add_f64 v[180:181], v[180:181], -v[2:3]
	scratch_store_dwordx4 off, v[178:181], off offset:896
	ds_read2_b64 v[178:181], v250 offset0:114 offset1:115
	s_waitcnt lgkmcnt(0)
	v_mul_f64 v[0:1], v[180:181], v[182:183]
	v_mul_f64 v[2:3], v[178:179], v[182:183]
	v_fma_f64 v[0:1], v[178:179], v[176:177], -v[0:1]
	v_fmac_f64_e32 v[2:3], v[180:181], v[176:177]
	scratch_load_dwordx4 v[178:181], off, off offset:912
	s_waitcnt vmcnt(0)
	v_add_f64 v[178:179], v[178:179], -v[0:1]
	v_add_f64 v[180:181], v[180:181], -v[2:3]
	scratch_store_dwordx4 off, v[178:181], off offset:912
	ds_read2_b64 v[178:181], v250 offset0:116 offset1:117
	s_waitcnt lgkmcnt(0)
	;; [unrolled: 11-line block ×4, first 2 shown]
	v_mul_f64 v[0:1], v[180:181], v[182:183]
	v_mul_f64 v[2:3], v[178:179], v[182:183]
	v_fma_f64 v[0:1], v[178:179], v[176:177], -v[0:1]
	v_fmac_f64_e32 v[2:3], v[180:181], v[176:177]
	scratch_load_dwordx4 v[178:181], off, off offset:960
	s_waitcnt vmcnt(0)
	v_add_f64 v[178:179], v[178:179], -v[0:1]
	v_add_f64 v[180:181], v[180:181], -v[2:3]
	v_mul_f64 v[0:1], v[186:187], v[182:183]
	v_mul_f64 v[182:183], v[184:185], v[182:183]
	scratch_store_dwordx4 off, v[178:181], off offset:960
	v_fmac_f64_e32 v[182:183], v[186:187], v[176:177]
	s_nop 0
	v_fma_f64 v[180:181], v[184:185], v[176:177], -v[0:1]
	scratch_load_dwordx4 v[176:179], off, off offset:976
	s_waitcnt vmcnt(0)
	v_add_f64 v[176:177], v[176:177], -v[180:181]
	v_add_f64 v[178:179], v[178:179], -v[182:183]
	scratch_store_dwordx4 off, v[176:179], off offset:976
.LBB123_504:
	s_or_b64 exec, exec, s[2:3]
	v_cmp_eq_u32_e32 vcc, 44, v248
	s_waitcnt lgkmcnt(0)
	s_barrier
	s_and_saveexec_b64 s[4:5], vcc
	s_cbranch_execz .LBB123_511
; %bb.505:
	scratch_load_dwordx4 v[176:179], off, s28
	s_waitcnt vmcnt(0)
	ds_write2_b64 v249, v[176:177], v[178:179] offset1:1
	scratch_load_dwordx4 v[176:179], off, s25
	s_waitcnt vmcnt(0)
	ds_write2_b64 v250, v[176:177], v[178:179] offset0:90 offset1:91
	scratch_load_dwordx4 v[176:179], off, s26
	s_waitcnt vmcnt(0)
	ds_write2_b64 v250, v[176:177], v[178:179] offset0:92 offset1:93
	;; [unrolled: 3-line block ×17, first 2 shown]
	ds_read2_b64 v[176:179], v249 offset1:1
	s_waitcnt lgkmcnt(0)
	v_cmp_neq_f64_e32 vcc, 0, v[176:177]
	v_cmp_neq_f64_e64 s[2:3], 0, v[178:179]
	s_or_b64 s[2:3], vcc, s[2:3]
	s_and_b64 exec, exec, s[2:3]
	s_cbranch_execz .LBB123_511
; %bb.506:
	v_cmp_ngt_f64_e64 s[2:3], |v[176:177]|, |v[178:179]|
                                        ; implicit-def: $vgpr180_vgpr181
	s_and_saveexec_b64 s[10:11], s[2:3]
	s_xor_b64 s[2:3], exec, s[10:11]
                                        ; implicit-def: $vgpr182_vgpr183
	s_cbranch_execz .LBB123_508
; %bb.507:
	v_div_scale_f64 v[0:1], s[10:11], v[178:179], v[178:179], v[176:177]
	v_rcp_f64_e32 v[2:3], v[0:1]
	v_div_scale_f64 v[180:181], vcc, v[176:177], v[178:179], v[176:177]
	v_fma_f64 v[182:183], -v[0:1], v[2:3], 1.0
	v_fmac_f64_e32 v[2:3], v[2:3], v[182:183]
	v_fma_f64 v[182:183], -v[0:1], v[2:3], 1.0
	v_fmac_f64_e32 v[2:3], v[2:3], v[182:183]
	v_mul_f64 v[182:183], v[180:181], v[2:3]
	v_fma_f64 v[0:1], -v[0:1], v[182:183], v[180:181]
	v_div_fmas_f64 v[0:1], v[0:1], v[2:3], v[182:183]
	v_div_fixup_f64 v[0:1], v[0:1], v[178:179], v[176:177]
	v_fmac_f64_e32 v[178:179], v[176:177], v[0:1]
	v_div_scale_f64 v[2:3], s[10:11], v[178:179], v[178:179], 1.0
	v_rcp_f64_e32 v[176:177], v[2:3]
	s_nop 0
	v_fma_f64 v[180:181], -v[2:3], v[176:177], 1.0
	v_fmac_f64_e32 v[176:177], v[176:177], v[180:181]
	v_fma_f64 v[180:181], -v[2:3], v[176:177], 1.0
	v_fmac_f64_e32 v[176:177], v[176:177], v[180:181]
	v_div_scale_f64 v[180:181], vcc, 1.0, v[178:179], 1.0
	v_mul_f64 v[182:183], v[180:181], v[176:177]
	v_fma_f64 v[2:3], -v[2:3], v[182:183], v[180:181]
	s_nop 1
	v_div_fmas_f64 v[2:3], v[2:3], v[176:177], v[182:183]
	v_div_fixup_f64 v[182:183], v[2:3], v[178:179], 1.0
	v_mul_f64 v[180:181], v[0:1], v[182:183]
	v_xor_b32_e32 v183, 0x80000000, v183
                                        ; implicit-def: $vgpr176_vgpr177
.LBB123_508:
	s_andn2_saveexec_b64 s[2:3], s[2:3]
	s_cbranch_execz .LBB123_510
; %bb.509:
	v_div_scale_f64 v[0:1], s[10:11], v[176:177], v[176:177], v[178:179]
	v_rcp_f64_e32 v[2:3], v[0:1]
	v_div_scale_f64 v[180:181], vcc, v[178:179], v[176:177], v[178:179]
	v_fma_f64 v[182:183], -v[0:1], v[2:3], 1.0
	v_fmac_f64_e32 v[2:3], v[2:3], v[182:183]
	v_fma_f64 v[182:183], -v[0:1], v[2:3], 1.0
	v_fmac_f64_e32 v[2:3], v[2:3], v[182:183]
	v_mul_f64 v[182:183], v[180:181], v[2:3]
	v_fma_f64 v[0:1], -v[0:1], v[182:183], v[180:181]
	v_div_fmas_f64 v[0:1], v[0:1], v[2:3], v[182:183]
	v_div_fixup_f64 v[0:1], v[0:1], v[176:177], v[178:179]
	v_fmac_f64_e32 v[176:177], v[178:179], v[0:1]
	v_div_scale_f64 v[2:3], s[10:11], v[176:177], v[176:177], 1.0
	v_rcp_f64_e32 v[178:179], v[2:3]
	s_nop 0
	v_fma_f64 v[180:181], -v[2:3], v[178:179], 1.0
	v_fmac_f64_e32 v[178:179], v[178:179], v[180:181]
	v_fma_f64 v[180:181], -v[2:3], v[178:179], 1.0
	v_fmac_f64_e32 v[178:179], v[178:179], v[180:181]
	v_div_scale_f64 v[180:181], vcc, 1.0, v[176:177], 1.0
	v_mul_f64 v[182:183], v[180:181], v[178:179]
	v_fma_f64 v[2:3], -v[2:3], v[182:183], v[180:181]
	s_nop 1
	v_div_fmas_f64 v[2:3], v[2:3], v[178:179], v[182:183]
	v_div_fixup_f64 v[180:181], v[2:3], v[176:177], 1.0
	v_mul_f64 v[182:183], v[0:1], -v[180:181]
.LBB123_510:
	s_or_b64 exec, exec, s[2:3]
	ds_write2_b64 v249, v[180:181], v[182:183] offset1:1
.LBB123_511:
	s_or_b64 exec, exec, s[4:5]
	s_waitcnt lgkmcnt(0)
	s_barrier
	ds_read2_b64 v[176:179], v249 offset1:1
	v_cmp_lt_u32_e32 vcc, 44, v248
	s_and_saveexec_b64 s[2:3], vcc
	s_cbranch_execz .LBB123_513
; %bb.512:
	scratch_load_dwordx4 v[180:183], off, off offset:704
	s_waitcnt vmcnt(0) lgkmcnt(0)
	v_mul_f64 v[0:1], v[178:179], v[182:183]
	v_mul_f64 v[186:187], v[176:177], v[182:183]
	v_fma_f64 v[184:185], v[176:177], v[180:181], -v[0:1]
	v_fmac_f64_e32 v[186:187], v[178:179], v[180:181]
	ds_read2_b64 v[180:183], v250 offset0:90 offset1:91
	scratch_store_dwordx4 off, v[184:187], off offset:704
	s_waitcnt lgkmcnt(0)
	v_mul_f64 v[0:1], v[182:183], v[186:187]
	v_mul_f64 v[2:3], v[180:181], v[186:187]
	v_fma_f64 v[0:1], v[180:181], v[184:185], -v[0:1]
	v_fmac_f64_e32 v[2:3], v[182:183], v[184:185]
	scratch_load_dwordx4 v[180:183], off, off offset:720
	s_waitcnt vmcnt(0)
	v_add_f64 v[180:181], v[180:181], -v[0:1]
	v_add_f64 v[182:183], v[182:183], -v[2:3]
	scratch_store_dwordx4 off, v[180:183], off offset:720
	ds_read2_b64 v[180:183], v250 offset0:92 offset1:93
	s_waitcnt lgkmcnt(0)
	v_mul_f64 v[0:1], v[182:183], v[186:187]
	v_mul_f64 v[2:3], v[180:181], v[186:187]
	v_fma_f64 v[0:1], v[180:181], v[184:185], -v[0:1]
	v_fmac_f64_e32 v[2:3], v[182:183], v[184:185]
	scratch_load_dwordx4 v[180:183], off, off offset:736
	s_waitcnt vmcnt(0)
	v_add_f64 v[180:181], v[180:181], -v[0:1]
	v_add_f64 v[182:183], v[182:183], -v[2:3]
	scratch_store_dwordx4 off, v[180:183], off offset:736
	ds_read2_b64 v[180:183], v250 offset0:94 offset1:95
	;; [unrolled: 11-line block ×5, first 2 shown]
	s_waitcnt lgkmcnt(0)
	v_mul_f64 v[0:1], v[182:183], v[186:187]
	v_mul_f64 v[2:3], v[180:181], v[186:187]
	v_fma_f64 v[0:1], v[180:181], v[184:185], -v[0:1]
	v_fmac_f64_e32 v[2:3], v[182:183], v[184:185]
	scratch_load_dwordx4 v[180:183], off, off offset:800
	ds_read2_b64 v[184:187], v250 offset0:102 offset1:103
	s_waitcnt vmcnt(0)
	v_add_f64 v[180:181], v[180:181], -v[0:1]
	v_add_f64 v[182:183], v[182:183], -v[2:3]
	scratch_store_dwordx4 off, v[180:183], off offset:800
	scratch_load_dwordx2 v[0:1], off, off offset:704
	s_nop 0
	scratch_load_dwordx4 v[180:183], off, off offset:704
	s_waitcnt vmcnt(0) lgkmcnt(0)
	v_mul_f64 v[2:3], v[186:187], v[182:183]
	v_mul_f64 v[188:189], v[184:185], v[182:183]
	v_fma_f64 v[2:3], v[184:185], v[0:1], -v[2:3]
	v_fmac_f64_e32 v[188:189], v[186:187], v[0:1]
	scratch_load_dwordx4 v[184:187], off, off offset:816
	s_waitcnt vmcnt(0)
	v_add_f64 v[184:185], v[184:185], -v[2:3]
	v_add_f64 v[186:187], v[186:187], -v[188:189]
	scratch_store_dwordx4 off, v[184:187], off offset:816
	ds_read2_b64 v[184:187], v250 offset0:104 offset1:105
	s_waitcnt lgkmcnt(0)
	v_mul_f64 v[2:3], v[186:187], v[182:183]
	v_mul_f64 v[188:189], v[184:185], v[182:183]
	v_fma_f64 v[2:3], v[184:185], v[0:1], -v[2:3]
	v_fmac_f64_e32 v[188:189], v[186:187], v[0:1]
	scratch_load_dwordx4 v[184:187], off, off offset:832
	s_waitcnt vmcnt(0)
	v_add_f64 v[184:185], v[184:185], -v[2:3]
	v_add_f64 v[186:187], v[186:187], -v[188:189]
	scratch_store_dwordx4 off, v[184:187], off offset:832
	ds_read2_b64 v[184:187], v250 offset0:106 offset1:107
	s_waitcnt lgkmcnt(0)
	;; [unrolled: 11-line block ×5, first 2 shown]
	v_mul_f64 v[2:3], v[186:187], v[182:183]
	v_fma_f64 v[2:3], v[184:185], v[0:1], -v[2:3]
	v_mul_f64 v[188:189], v[184:185], v[182:183]
	scratch_load_dwordx4 v[182:185], off, off offset:896
	v_fmac_f64_e32 v[188:189], v[186:187], v[0:1]
	scratch_load_dwordx2 v[0:1], off, off offset:712
	s_waitcnt vmcnt(1)
	v_add_f64 v[182:183], v[182:183], -v[2:3]
	v_add_f64 v[184:185], v[184:185], -v[188:189]
	scratch_store_dwordx4 off, v[182:185], off offset:896
	ds_read2_b64 v[182:185], v250 offset0:114 offset1:115
	s_waitcnt vmcnt(1) lgkmcnt(0)
	v_mul_f64 v[2:3], v[184:185], v[0:1]
	v_mul_f64 v[186:187], v[182:183], v[0:1]
	v_fma_f64 v[2:3], v[182:183], v[180:181], -v[2:3]
	v_fmac_f64_e32 v[186:187], v[184:185], v[180:181]
	scratch_load_dwordx4 v[182:185], off, off offset:912
	s_waitcnt vmcnt(0)
	v_add_f64 v[182:183], v[182:183], -v[2:3]
	v_add_f64 v[184:185], v[184:185], -v[186:187]
	scratch_store_dwordx4 off, v[182:185], off offset:912
	ds_read2_b64 v[182:185], v250 offset0:116 offset1:117
	s_waitcnt lgkmcnt(0)
	v_mul_f64 v[2:3], v[184:185], v[0:1]
	v_mul_f64 v[186:187], v[182:183], v[0:1]
	v_fma_f64 v[2:3], v[182:183], v[180:181], -v[2:3]
	v_fmac_f64_e32 v[186:187], v[184:185], v[180:181]
	scratch_load_dwordx4 v[182:185], off, off offset:928
	s_waitcnt vmcnt(0)
	v_add_f64 v[182:183], v[182:183], -v[2:3]
	v_add_f64 v[184:185], v[184:185], -v[186:187]
	scratch_store_dwordx4 off, v[182:185], off offset:928
	ds_read2_b64 v[182:185], v250 offset0:118 offset1:119
	s_waitcnt lgkmcnt(0)
	;; [unrolled: 11-line block ×3, first 2 shown]
	v_mul_f64 v[2:3], v[184:185], v[0:1]
	v_mul_f64 v[186:187], v[182:183], v[0:1]
	v_fma_f64 v[2:3], v[182:183], v[180:181], -v[2:3]
	v_fmac_f64_e32 v[186:187], v[184:185], v[180:181]
	scratch_load_dwordx4 v[182:185], off, off offset:960
	s_waitcnt vmcnt(0)
	v_add_f64 v[184:185], v[184:185], -v[186:187]
	ds_read2_b64 v[186:189], v250 offset0:122 offset1:123
	v_add_f64 v[182:183], v[182:183], -v[2:3]
	scratch_store_dwordx4 off, v[182:185], off offset:960
	s_waitcnt lgkmcnt(0)
	v_mul_f64 v[2:3], v[188:189], v[0:1]
	v_fma_f64 v[184:185], v[186:187], v[180:181], -v[2:3]
	v_mul_f64 v[186:187], v[186:187], v[0:1]
	v_fmac_f64_e32 v[186:187], v[188:189], v[180:181]
	scratch_load_dwordx4 v[180:183], off, off offset:976
	s_waitcnt vmcnt(0)
	v_add_f64 v[180:181], v[180:181], -v[184:185]
	v_add_f64 v[182:183], v[182:183], -v[186:187]
	scratch_store_dwordx4 off, v[180:183], off offset:976
.LBB123_513:
	s_or_b64 exec, exec, s[2:3]
	v_cmp_eq_u32_e32 vcc, 45, v248
	s_waitcnt lgkmcnt(0)
	s_barrier
	s_and_saveexec_b64 s[4:5], vcc
	s_cbranch_execz .LBB123_520
; %bb.514:
	scratch_load_dwordx4 v[180:183], off, s25
	s_waitcnt vmcnt(0)
	ds_write2_b64 v249, v[180:181], v[182:183] offset1:1
	scratch_load_dwordx4 v[180:183], off, s26
	s_waitcnt vmcnt(0)
	ds_write2_b64 v250, v[180:181], v[182:183] offset0:92 offset1:93
	scratch_load_dwordx4 v[180:183], off, s23
	s_waitcnt vmcnt(0)
	ds_write2_b64 v250, v[180:181], v[182:183] offset0:94 offset1:95
	;; [unrolled: 3-line block ×16, first 2 shown]
	ds_read2_b64 v[180:183], v249 offset1:1
	s_waitcnt lgkmcnt(0)
	v_cmp_neq_f64_e32 vcc, 0, v[180:181]
	v_cmp_neq_f64_e64 s[2:3], 0, v[182:183]
	s_or_b64 s[2:3], vcc, s[2:3]
	s_and_b64 exec, exec, s[2:3]
	s_cbranch_execz .LBB123_520
; %bb.515:
	v_cmp_ngt_f64_e64 s[2:3], |v[180:181]|, |v[182:183]|
                                        ; implicit-def: $vgpr184_vgpr185
	s_and_saveexec_b64 s[10:11], s[2:3]
	s_xor_b64 s[2:3], exec, s[10:11]
                                        ; implicit-def: $vgpr186_vgpr187
	s_cbranch_execz .LBB123_517
; %bb.516:
	v_div_scale_f64 v[0:1], s[10:11], v[182:183], v[182:183], v[180:181]
	v_rcp_f64_e32 v[2:3], v[0:1]
	v_div_scale_f64 v[184:185], vcc, v[180:181], v[182:183], v[180:181]
	v_fma_f64 v[186:187], -v[0:1], v[2:3], 1.0
	v_fmac_f64_e32 v[2:3], v[2:3], v[186:187]
	v_fma_f64 v[186:187], -v[0:1], v[2:3], 1.0
	v_fmac_f64_e32 v[2:3], v[2:3], v[186:187]
	v_mul_f64 v[186:187], v[184:185], v[2:3]
	v_fma_f64 v[0:1], -v[0:1], v[186:187], v[184:185]
	v_div_fmas_f64 v[0:1], v[0:1], v[2:3], v[186:187]
	v_div_fixup_f64 v[0:1], v[0:1], v[182:183], v[180:181]
	v_fmac_f64_e32 v[182:183], v[180:181], v[0:1]
	v_div_scale_f64 v[2:3], s[10:11], v[182:183], v[182:183], 1.0
	v_rcp_f64_e32 v[180:181], v[2:3]
	s_nop 0
	v_fma_f64 v[184:185], -v[2:3], v[180:181], 1.0
	v_fmac_f64_e32 v[180:181], v[180:181], v[184:185]
	v_fma_f64 v[184:185], -v[2:3], v[180:181], 1.0
	v_fmac_f64_e32 v[180:181], v[180:181], v[184:185]
	v_div_scale_f64 v[184:185], vcc, 1.0, v[182:183], 1.0
	v_mul_f64 v[186:187], v[184:185], v[180:181]
	v_fma_f64 v[2:3], -v[2:3], v[186:187], v[184:185]
	s_nop 1
	v_div_fmas_f64 v[2:3], v[2:3], v[180:181], v[186:187]
	v_div_fixup_f64 v[186:187], v[2:3], v[182:183], 1.0
	v_mul_f64 v[184:185], v[0:1], v[186:187]
	v_xor_b32_e32 v187, 0x80000000, v187
                                        ; implicit-def: $vgpr180_vgpr181
.LBB123_517:
	s_andn2_saveexec_b64 s[2:3], s[2:3]
	s_cbranch_execz .LBB123_519
; %bb.518:
	v_div_scale_f64 v[0:1], s[10:11], v[180:181], v[180:181], v[182:183]
	v_rcp_f64_e32 v[2:3], v[0:1]
	v_div_scale_f64 v[184:185], vcc, v[182:183], v[180:181], v[182:183]
	v_fma_f64 v[186:187], -v[0:1], v[2:3], 1.0
	v_fmac_f64_e32 v[2:3], v[2:3], v[186:187]
	v_fma_f64 v[186:187], -v[0:1], v[2:3], 1.0
	v_fmac_f64_e32 v[2:3], v[2:3], v[186:187]
	v_mul_f64 v[186:187], v[184:185], v[2:3]
	v_fma_f64 v[0:1], -v[0:1], v[186:187], v[184:185]
	v_div_fmas_f64 v[0:1], v[0:1], v[2:3], v[186:187]
	v_div_fixup_f64 v[0:1], v[0:1], v[180:181], v[182:183]
	v_fmac_f64_e32 v[180:181], v[182:183], v[0:1]
	v_div_scale_f64 v[2:3], s[10:11], v[180:181], v[180:181], 1.0
	v_rcp_f64_e32 v[182:183], v[2:3]
	s_nop 0
	v_fma_f64 v[184:185], -v[2:3], v[182:183], 1.0
	v_fmac_f64_e32 v[182:183], v[182:183], v[184:185]
	v_fma_f64 v[184:185], -v[2:3], v[182:183], 1.0
	v_fmac_f64_e32 v[182:183], v[182:183], v[184:185]
	v_div_scale_f64 v[184:185], vcc, 1.0, v[180:181], 1.0
	v_mul_f64 v[186:187], v[184:185], v[182:183]
	v_fma_f64 v[2:3], -v[2:3], v[186:187], v[184:185]
	s_nop 1
	v_div_fmas_f64 v[2:3], v[2:3], v[182:183], v[186:187]
	v_div_fixup_f64 v[184:185], v[2:3], v[180:181], 1.0
	v_mul_f64 v[186:187], v[0:1], -v[184:185]
.LBB123_519:
	s_or_b64 exec, exec, s[2:3]
	ds_write2_b64 v249, v[184:185], v[186:187] offset1:1
.LBB123_520:
	s_or_b64 exec, exec, s[4:5]
	s_waitcnt lgkmcnt(0)
	s_barrier
	ds_read2_b64 v[180:183], v249 offset1:1
	v_cmp_lt_u32_e32 vcc, 45, v248
	s_and_saveexec_b64 s[2:3], vcc
	s_cbranch_execz .LBB123_522
; %bb.521:
	scratch_load_dwordx4 v[184:187], off, off offset:720
	s_waitcnt vmcnt(0) lgkmcnt(0)
	v_mul_f64 v[0:1], v[182:183], v[186:187]
	v_mul_f64 v[190:191], v[180:181], v[186:187]
	v_fma_f64 v[188:189], v[180:181], v[184:185], -v[0:1]
	v_fmac_f64_e32 v[190:191], v[182:183], v[184:185]
	ds_read2_b64 v[184:187], v250 offset0:92 offset1:93
	scratch_store_dwordx4 off, v[188:191], off offset:720
	s_waitcnt lgkmcnt(0)
	v_mul_f64 v[0:1], v[186:187], v[190:191]
	v_mul_f64 v[2:3], v[184:185], v[190:191]
	v_fma_f64 v[0:1], v[184:185], v[188:189], -v[0:1]
	v_fmac_f64_e32 v[2:3], v[186:187], v[188:189]
	scratch_load_dwordx4 v[184:187], off, off offset:736
	s_waitcnt vmcnt(0)
	v_add_f64 v[184:185], v[184:185], -v[0:1]
	v_add_f64 v[186:187], v[186:187], -v[2:3]
	scratch_store_dwordx4 off, v[184:187], off offset:736
	ds_read2_b64 v[184:187], v250 offset0:94 offset1:95
	s_waitcnt lgkmcnt(0)
	v_mul_f64 v[0:1], v[186:187], v[190:191]
	v_mul_f64 v[2:3], v[184:185], v[190:191]
	v_fma_f64 v[0:1], v[184:185], v[188:189], -v[0:1]
	v_fmac_f64_e32 v[2:3], v[186:187], v[188:189]
	scratch_load_dwordx4 v[184:187], off, off offset:752
	s_waitcnt vmcnt(0)
	v_add_f64 v[184:185], v[184:185], -v[0:1]
	v_add_f64 v[186:187], v[186:187], -v[2:3]
	scratch_store_dwordx4 off, v[184:187], off offset:752
	ds_read2_b64 v[184:187], v250 offset0:96 offset1:97
	;; [unrolled: 11-line block ×5, first 2 shown]
	s_waitcnt lgkmcnt(0)
	v_mul_f64 v[0:1], v[186:187], v[190:191]
	v_mul_f64 v[2:3], v[184:185], v[190:191]
	v_fma_f64 v[0:1], v[184:185], v[188:189], -v[0:1]
	v_fmac_f64_e32 v[2:3], v[186:187], v[188:189]
	scratch_load_dwordx4 v[184:187], off, off offset:816
	ds_read2_b64 v[188:191], v250 offset0:104 offset1:105
	s_waitcnt vmcnt(0)
	v_add_f64 v[184:185], v[184:185], -v[0:1]
	v_add_f64 v[186:187], v[186:187], -v[2:3]
	scratch_store_dwordx4 off, v[184:187], off offset:816
	scratch_load_dwordx2 v[0:1], off, off offset:720
	s_nop 0
	scratch_load_dwordx4 v[184:187], off, off offset:720
	s_waitcnt vmcnt(0) lgkmcnt(0)
	v_mul_f64 v[2:3], v[190:191], v[186:187]
	v_mul_f64 v[192:193], v[188:189], v[186:187]
	v_fma_f64 v[2:3], v[188:189], v[0:1], -v[2:3]
	v_fmac_f64_e32 v[192:193], v[190:191], v[0:1]
	scratch_load_dwordx4 v[188:191], off, off offset:832
	s_waitcnt vmcnt(0)
	v_add_f64 v[188:189], v[188:189], -v[2:3]
	v_add_f64 v[190:191], v[190:191], -v[192:193]
	scratch_store_dwordx4 off, v[188:191], off offset:832
	ds_read2_b64 v[188:191], v250 offset0:106 offset1:107
	s_waitcnt lgkmcnt(0)
	v_mul_f64 v[2:3], v[190:191], v[186:187]
	v_mul_f64 v[192:193], v[188:189], v[186:187]
	v_fma_f64 v[2:3], v[188:189], v[0:1], -v[2:3]
	v_fmac_f64_e32 v[192:193], v[190:191], v[0:1]
	scratch_load_dwordx4 v[188:191], off, off offset:848
	s_waitcnt vmcnt(0)
	v_add_f64 v[188:189], v[188:189], -v[2:3]
	v_add_f64 v[190:191], v[190:191], -v[192:193]
	scratch_store_dwordx4 off, v[188:191], off offset:848
	ds_read2_b64 v[188:191], v250 offset0:108 offset1:109
	s_waitcnt lgkmcnt(0)
	;; [unrolled: 11-line block ×5, first 2 shown]
	v_mul_f64 v[2:3], v[190:191], v[186:187]
	v_fma_f64 v[2:3], v[188:189], v[0:1], -v[2:3]
	v_mul_f64 v[192:193], v[188:189], v[186:187]
	scratch_load_dwordx4 v[186:189], off, off offset:912
	v_fmac_f64_e32 v[192:193], v[190:191], v[0:1]
	scratch_load_dwordx2 v[0:1], off, off offset:728
	s_waitcnt vmcnt(1)
	v_add_f64 v[186:187], v[186:187], -v[2:3]
	v_add_f64 v[188:189], v[188:189], -v[192:193]
	scratch_store_dwordx4 off, v[186:189], off offset:912
	ds_read2_b64 v[186:189], v250 offset0:116 offset1:117
	s_waitcnt vmcnt(1) lgkmcnt(0)
	v_mul_f64 v[2:3], v[188:189], v[0:1]
	v_mul_f64 v[190:191], v[186:187], v[0:1]
	v_fma_f64 v[2:3], v[186:187], v[184:185], -v[2:3]
	v_fmac_f64_e32 v[190:191], v[188:189], v[184:185]
	scratch_load_dwordx4 v[186:189], off, off offset:928
	s_waitcnt vmcnt(0)
	v_add_f64 v[186:187], v[186:187], -v[2:3]
	v_add_f64 v[188:189], v[188:189], -v[190:191]
	scratch_store_dwordx4 off, v[186:189], off offset:928
	ds_read2_b64 v[186:189], v250 offset0:118 offset1:119
	s_waitcnt lgkmcnt(0)
	v_mul_f64 v[2:3], v[188:189], v[0:1]
	v_mul_f64 v[190:191], v[186:187], v[0:1]
	v_fma_f64 v[2:3], v[186:187], v[184:185], -v[2:3]
	v_fmac_f64_e32 v[190:191], v[188:189], v[184:185]
	scratch_load_dwordx4 v[186:189], off, off offset:944
	s_waitcnt vmcnt(0)
	v_add_f64 v[186:187], v[186:187], -v[2:3]
	v_add_f64 v[188:189], v[188:189], -v[190:191]
	scratch_store_dwordx4 off, v[186:189], off offset:944
	ds_read2_b64 v[186:189], v250 offset0:120 offset1:121
	s_waitcnt lgkmcnt(0)
	v_mul_f64 v[2:3], v[188:189], v[0:1]
	v_mul_f64 v[190:191], v[186:187], v[0:1]
	v_fma_f64 v[2:3], v[186:187], v[184:185], -v[2:3]
	v_fmac_f64_e32 v[190:191], v[188:189], v[184:185]
	scratch_load_dwordx4 v[186:189], off, off offset:960
	s_waitcnt vmcnt(0)
	v_add_f64 v[188:189], v[188:189], -v[190:191]
	ds_read2_b64 v[190:193], v250 offset0:122 offset1:123
	v_add_f64 v[186:187], v[186:187], -v[2:3]
	scratch_store_dwordx4 off, v[186:189], off offset:960
	s_waitcnt lgkmcnt(0)
	v_mul_f64 v[2:3], v[192:193], v[0:1]
	v_fma_f64 v[188:189], v[190:191], v[184:185], -v[2:3]
	v_mul_f64 v[190:191], v[190:191], v[0:1]
	v_fmac_f64_e32 v[190:191], v[192:193], v[184:185]
	scratch_load_dwordx4 v[184:187], off, off offset:976
	s_waitcnt vmcnt(0)
	v_add_f64 v[184:185], v[184:185], -v[188:189]
	v_add_f64 v[186:187], v[186:187], -v[190:191]
	scratch_store_dwordx4 off, v[184:187], off offset:976
.LBB123_522:
	s_or_b64 exec, exec, s[2:3]
	v_cmp_eq_u32_e32 vcc, 46, v248
	s_waitcnt lgkmcnt(0)
	s_barrier
	s_and_saveexec_b64 s[4:5], vcc
	s_cbranch_execz .LBB123_529
; %bb.523:
	scratch_load_dwordx4 v[184:187], off, s26
	s_waitcnt vmcnt(0)
	ds_write2_b64 v249, v[184:185], v[186:187] offset1:1
	scratch_load_dwordx4 v[184:187], off, s23
	s_waitcnt vmcnt(0)
	ds_write2_b64 v250, v[184:185], v[186:187] offset0:94 offset1:95
	scratch_load_dwordx4 v[184:187], off, s24
	s_waitcnt vmcnt(0)
	ds_write2_b64 v250, v[184:185], v[186:187] offset0:96 offset1:97
	;; [unrolled: 3-line block ×15, first 2 shown]
	ds_read2_b64 v[184:187], v249 offset1:1
	s_waitcnt lgkmcnt(0)
	v_cmp_neq_f64_e32 vcc, 0, v[184:185]
	v_cmp_neq_f64_e64 s[2:3], 0, v[186:187]
	s_or_b64 s[2:3], vcc, s[2:3]
	s_and_b64 exec, exec, s[2:3]
	s_cbranch_execz .LBB123_529
; %bb.524:
	v_cmp_ngt_f64_e64 s[2:3], |v[184:185]|, |v[186:187]|
                                        ; implicit-def: $vgpr188_vgpr189
	s_and_saveexec_b64 s[10:11], s[2:3]
	s_xor_b64 s[2:3], exec, s[10:11]
                                        ; implicit-def: $vgpr190_vgpr191
	s_cbranch_execz .LBB123_526
; %bb.525:
	v_div_scale_f64 v[0:1], s[10:11], v[186:187], v[186:187], v[184:185]
	v_rcp_f64_e32 v[2:3], v[0:1]
	v_div_scale_f64 v[188:189], vcc, v[184:185], v[186:187], v[184:185]
	v_fma_f64 v[190:191], -v[0:1], v[2:3], 1.0
	v_fmac_f64_e32 v[2:3], v[2:3], v[190:191]
	v_fma_f64 v[190:191], -v[0:1], v[2:3], 1.0
	v_fmac_f64_e32 v[2:3], v[2:3], v[190:191]
	v_mul_f64 v[190:191], v[188:189], v[2:3]
	v_fma_f64 v[0:1], -v[0:1], v[190:191], v[188:189]
	v_div_fmas_f64 v[0:1], v[0:1], v[2:3], v[190:191]
	v_div_fixup_f64 v[0:1], v[0:1], v[186:187], v[184:185]
	v_fmac_f64_e32 v[186:187], v[184:185], v[0:1]
	v_div_scale_f64 v[2:3], s[10:11], v[186:187], v[186:187], 1.0
	v_rcp_f64_e32 v[184:185], v[2:3]
	s_nop 0
	v_fma_f64 v[188:189], -v[2:3], v[184:185], 1.0
	v_fmac_f64_e32 v[184:185], v[184:185], v[188:189]
	v_fma_f64 v[188:189], -v[2:3], v[184:185], 1.0
	v_fmac_f64_e32 v[184:185], v[184:185], v[188:189]
	v_div_scale_f64 v[188:189], vcc, 1.0, v[186:187], 1.0
	v_mul_f64 v[190:191], v[188:189], v[184:185]
	v_fma_f64 v[2:3], -v[2:3], v[190:191], v[188:189]
	s_nop 1
	v_div_fmas_f64 v[2:3], v[2:3], v[184:185], v[190:191]
	v_div_fixup_f64 v[190:191], v[2:3], v[186:187], 1.0
	v_mul_f64 v[188:189], v[0:1], v[190:191]
	v_xor_b32_e32 v191, 0x80000000, v191
                                        ; implicit-def: $vgpr184_vgpr185
.LBB123_526:
	s_andn2_saveexec_b64 s[2:3], s[2:3]
	s_cbranch_execz .LBB123_528
; %bb.527:
	v_div_scale_f64 v[0:1], s[10:11], v[184:185], v[184:185], v[186:187]
	v_rcp_f64_e32 v[2:3], v[0:1]
	v_div_scale_f64 v[188:189], vcc, v[186:187], v[184:185], v[186:187]
	v_fma_f64 v[190:191], -v[0:1], v[2:3], 1.0
	v_fmac_f64_e32 v[2:3], v[2:3], v[190:191]
	v_fma_f64 v[190:191], -v[0:1], v[2:3], 1.0
	v_fmac_f64_e32 v[2:3], v[2:3], v[190:191]
	v_mul_f64 v[190:191], v[188:189], v[2:3]
	v_fma_f64 v[0:1], -v[0:1], v[190:191], v[188:189]
	v_div_fmas_f64 v[0:1], v[0:1], v[2:3], v[190:191]
	v_div_fixup_f64 v[0:1], v[0:1], v[184:185], v[186:187]
	v_fmac_f64_e32 v[184:185], v[186:187], v[0:1]
	v_div_scale_f64 v[2:3], s[10:11], v[184:185], v[184:185], 1.0
	v_rcp_f64_e32 v[186:187], v[2:3]
	s_nop 0
	v_fma_f64 v[188:189], -v[2:3], v[186:187], 1.0
	v_fmac_f64_e32 v[186:187], v[186:187], v[188:189]
	v_fma_f64 v[188:189], -v[2:3], v[186:187], 1.0
	v_fmac_f64_e32 v[186:187], v[186:187], v[188:189]
	v_div_scale_f64 v[188:189], vcc, 1.0, v[184:185], 1.0
	v_mul_f64 v[190:191], v[188:189], v[186:187]
	v_fma_f64 v[2:3], -v[2:3], v[190:191], v[188:189]
	s_nop 1
	v_div_fmas_f64 v[2:3], v[2:3], v[186:187], v[190:191]
	v_div_fixup_f64 v[188:189], v[2:3], v[184:185], 1.0
	v_mul_f64 v[190:191], v[0:1], -v[188:189]
.LBB123_528:
	s_or_b64 exec, exec, s[2:3]
	ds_write2_b64 v249, v[188:189], v[190:191] offset1:1
.LBB123_529:
	s_or_b64 exec, exec, s[4:5]
	s_waitcnt lgkmcnt(0)
	s_barrier
	ds_read2_b64 v[184:187], v249 offset1:1
	v_cmp_lt_u32_e32 vcc, 46, v248
	s_and_saveexec_b64 s[2:3], vcc
	s_cbranch_execz .LBB123_531
; %bb.530:
	scratch_load_dwordx4 v[188:191], off, off offset:736
	s_waitcnt vmcnt(0) lgkmcnt(0)
	v_mul_f64 v[0:1], v[186:187], v[190:191]
	v_mul_f64 v[194:195], v[184:185], v[190:191]
	v_fma_f64 v[192:193], v[184:185], v[188:189], -v[0:1]
	v_fmac_f64_e32 v[194:195], v[186:187], v[188:189]
	ds_read2_b64 v[188:191], v250 offset0:94 offset1:95
	scratch_store_dwordx4 off, v[192:195], off offset:736
	s_waitcnt lgkmcnt(0)
	v_mul_f64 v[0:1], v[190:191], v[194:195]
	v_mul_f64 v[2:3], v[188:189], v[194:195]
	v_fma_f64 v[0:1], v[188:189], v[192:193], -v[0:1]
	v_fmac_f64_e32 v[2:3], v[190:191], v[192:193]
	scratch_load_dwordx4 v[188:191], off, off offset:752
	s_waitcnt vmcnt(0)
	v_add_f64 v[188:189], v[188:189], -v[0:1]
	v_add_f64 v[190:191], v[190:191], -v[2:3]
	scratch_store_dwordx4 off, v[188:191], off offset:752
	ds_read2_b64 v[188:191], v250 offset0:96 offset1:97
	s_waitcnt lgkmcnt(0)
	v_mul_f64 v[0:1], v[190:191], v[194:195]
	v_mul_f64 v[2:3], v[188:189], v[194:195]
	v_fma_f64 v[0:1], v[188:189], v[192:193], -v[0:1]
	v_fmac_f64_e32 v[2:3], v[190:191], v[192:193]
	scratch_load_dwordx4 v[188:191], off, off offset:768
	s_waitcnt vmcnt(0)
	v_add_f64 v[188:189], v[188:189], -v[0:1]
	v_add_f64 v[190:191], v[190:191], -v[2:3]
	scratch_store_dwordx4 off, v[188:191], off offset:768
	ds_read2_b64 v[188:191], v250 offset0:98 offset1:99
	s_waitcnt lgkmcnt(0)
	v_mul_f64 v[0:1], v[190:191], v[194:195]
	v_mul_f64 v[2:3], v[188:189], v[194:195]
	v_fma_f64 v[0:1], v[188:189], v[192:193], -v[0:1]
	v_fmac_f64_e32 v[2:3], v[190:191], v[192:193]
	scratch_load_dwordx4 v[188:191], off, off offset:784
	s_waitcnt vmcnt(0)
	v_add_f64 v[188:189], v[188:189], -v[0:1]
	v_add_f64 v[190:191], v[190:191], -v[2:3]
	scratch_store_dwordx4 off, v[188:191], off offset:784
	ds_read2_b64 v[188:191], v250 offset0:100 offset1:101
	s_waitcnt lgkmcnt(0)
	v_mul_f64 v[0:1], v[190:191], v[194:195]
	v_mul_f64 v[2:3], v[188:189], v[194:195]
	v_fma_f64 v[0:1], v[188:189], v[192:193], -v[0:1]
	v_fmac_f64_e32 v[2:3], v[190:191], v[192:193]
	scratch_load_dwordx4 v[188:191], off, off offset:800
	s_waitcnt vmcnt(0)
	v_add_f64 v[188:189], v[188:189], -v[0:1]
	v_add_f64 v[190:191], v[190:191], -v[2:3]
	scratch_store_dwordx4 off, v[188:191], off offset:800
	ds_read2_b64 v[188:191], v250 offset0:102 offset1:103
	s_waitcnt lgkmcnt(0)
	v_mul_f64 v[0:1], v[190:191], v[194:195]
	v_mul_f64 v[2:3], v[188:189], v[194:195]
	v_fma_f64 v[0:1], v[188:189], v[192:193], -v[0:1]
	v_fmac_f64_e32 v[2:3], v[190:191], v[192:193]
	scratch_load_dwordx4 v[188:191], off, off offset:816
	s_waitcnt vmcnt(0)
	v_add_f64 v[188:189], v[188:189], -v[0:1]
	v_add_f64 v[190:191], v[190:191], -v[2:3]
	scratch_store_dwordx4 off, v[188:191], off offset:816
	ds_read2_b64 v[188:191], v250 offset0:104 offset1:105
	s_waitcnt lgkmcnt(0)
	v_mul_f64 v[0:1], v[190:191], v[194:195]
	v_mul_f64 v[2:3], v[188:189], v[194:195]
	v_fma_f64 v[0:1], v[188:189], v[192:193], -v[0:1]
	v_fmac_f64_e32 v[2:3], v[190:191], v[192:193]
	scratch_load_dwordx4 v[188:191], off, off offset:832
	ds_read2_b64 v[192:195], v250 offset0:106 offset1:107
	s_waitcnt vmcnt(0)
	v_add_f64 v[188:189], v[188:189], -v[0:1]
	v_add_f64 v[190:191], v[190:191], -v[2:3]
	scratch_store_dwordx4 off, v[188:191], off offset:832
	scratch_load_dwordx2 v[0:1], off, off offset:736
	s_nop 0
	scratch_load_dwordx4 v[188:191], off, off offset:736
	s_waitcnt vmcnt(0) lgkmcnt(0)
	v_mul_f64 v[2:3], v[194:195], v[190:191]
	v_mul_f64 v[196:197], v[192:193], v[190:191]
	v_fma_f64 v[2:3], v[192:193], v[0:1], -v[2:3]
	v_fmac_f64_e32 v[196:197], v[194:195], v[0:1]
	scratch_load_dwordx4 v[192:195], off, off offset:848
	s_waitcnt vmcnt(0)
	v_add_f64 v[192:193], v[192:193], -v[2:3]
	v_add_f64 v[194:195], v[194:195], -v[196:197]
	scratch_store_dwordx4 off, v[192:195], off offset:848
	ds_read2_b64 v[192:195], v250 offset0:108 offset1:109
	s_waitcnt lgkmcnt(0)
	v_mul_f64 v[2:3], v[194:195], v[190:191]
	v_mul_f64 v[196:197], v[192:193], v[190:191]
	v_fma_f64 v[2:3], v[192:193], v[0:1], -v[2:3]
	v_fmac_f64_e32 v[196:197], v[194:195], v[0:1]
	scratch_load_dwordx4 v[192:195], off, off offset:864
	s_waitcnt vmcnt(0)
	v_add_f64 v[192:193], v[192:193], -v[2:3]
	v_add_f64 v[194:195], v[194:195], -v[196:197]
	scratch_store_dwordx4 off, v[192:195], off offset:864
	ds_read2_b64 v[192:195], v250 offset0:110 offset1:111
	s_waitcnt lgkmcnt(0)
	v_mul_f64 v[2:3], v[194:195], v[190:191]
	v_mul_f64 v[196:197], v[192:193], v[190:191]
	v_fma_f64 v[2:3], v[192:193], v[0:1], -v[2:3]
	v_fmac_f64_e32 v[196:197], v[194:195], v[0:1]
	scratch_load_dwordx4 v[192:195], off, off offset:880
	s_waitcnt vmcnt(0)
	v_add_f64 v[192:193], v[192:193], -v[2:3]
	v_add_f64 v[194:195], v[194:195], -v[196:197]
	scratch_store_dwordx4 off, v[192:195], off offset:880
	ds_read2_b64 v[192:195], v250 offset0:112 offset1:113
	s_waitcnt lgkmcnt(0)
	v_mul_f64 v[2:3], v[194:195], v[190:191]
	v_mul_f64 v[196:197], v[192:193], v[190:191]
	v_fma_f64 v[2:3], v[192:193], v[0:1], -v[2:3]
	v_fmac_f64_e32 v[196:197], v[194:195], v[0:1]
	scratch_load_dwordx4 v[192:195], off, off offset:896
	s_waitcnt vmcnt(0)
	v_add_f64 v[192:193], v[192:193], -v[2:3]
	v_add_f64 v[194:195], v[194:195], -v[196:197]
	scratch_store_dwordx4 off, v[192:195], off offset:896
	ds_read2_b64 v[192:195], v250 offset0:114 offset1:115
	s_waitcnt lgkmcnt(0)
	v_mul_f64 v[2:3], v[194:195], v[190:191]
	v_mul_f64 v[196:197], v[192:193], v[190:191]
	v_fma_f64 v[2:3], v[192:193], v[0:1], -v[2:3]
	v_fmac_f64_e32 v[196:197], v[194:195], v[0:1]
	scratch_load_dwordx4 v[192:195], off, off offset:912
	s_waitcnt vmcnt(0)
	v_add_f64 v[192:193], v[192:193], -v[2:3]
	v_add_f64 v[194:195], v[194:195], -v[196:197]
	scratch_store_dwordx4 off, v[192:195], off offset:912
	ds_read2_b64 v[192:195], v250 offset0:116 offset1:117
	s_waitcnt lgkmcnt(0)
	v_mul_f64 v[2:3], v[194:195], v[190:191]
	v_fma_f64 v[2:3], v[192:193], v[0:1], -v[2:3]
	v_mul_f64 v[196:197], v[192:193], v[190:191]
	scratch_load_dwordx4 v[190:193], off, off offset:928
	v_fmac_f64_e32 v[196:197], v[194:195], v[0:1]
	scratch_load_dwordx2 v[0:1], off, off offset:744
	s_waitcnt vmcnt(1)
	v_add_f64 v[190:191], v[190:191], -v[2:3]
	v_add_f64 v[192:193], v[192:193], -v[196:197]
	scratch_store_dwordx4 off, v[190:193], off offset:928
	ds_read2_b64 v[190:193], v250 offset0:118 offset1:119
	s_waitcnt vmcnt(1) lgkmcnt(0)
	v_mul_f64 v[2:3], v[192:193], v[0:1]
	v_mul_f64 v[194:195], v[190:191], v[0:1]
	v_fma_f64 v[2:3], v[190:191], v[188:189], -v[2:3]
	v_fmac_f64_e32 v[194:195], v[192:193], v[188:189]
	scratch_load_dwordx4 v[190:193], off, off offset:944
	s_waitcnt vmcnt(0)
	v_add_f64 v[190:191], v[190:191], -v[2:3]
	v_add_f64 v[192:193], v[192:193], -v[194:195]
	scratch_store_dwordx4 off, v[190:193], off offset:944
	ds_read2_b64 v[190:193], v250 offset0:120 offset1:121
	s_waitcnt lgkmcnt(0)
	v_mul_f64 v[2:3], v[192:193], v[0:1]
	v_mul_f64 v[194:195], v[190:191], v[0:1]
	v_fma_f64 v[2:3], v[190:191], v[188:189], -v[2:3]
	v_fmac_f64_e32 v[194:195], v[192:193], v[188:189]
	scratch_load_dwordx4 v[190:193], off, off offset:960
	s_waitcnt vmcnt(0)
	v_add_f64 v[192:193], v[192:193], -v[194:195]
	ds_read2_b64 v[194:197], v250 offset0:122 offset1:123
	v_add_f64 v[190:191], v[190:191], -v[2:3]
	scratch_store_dwordx4 off, v[190:193], off offset:960
	s_waitcnt lgkmcnt(0)
	v_mul_f64 v[2:3], v[196:197], v[0:1]
	v_fma_f64 v[192:193], v[194:195], v[188:189], -v[2:3]
	v_mul_f64 v[194:195], v[194:195], v[0:1]
	v_fmac_f64_e32 v[194:195], v[196:197], v[188:189]
	scratch_load_dwordx4 v[188:191], off, off offset:976
	s_waitcnt vmcnt(0)
	v_add_f64 v[188:189], v[188:189], -v[192:193]
	v_add_f64 v[190:191], v[190:191], -v[194:195]
	scratch_store_dwordx4 off, v[188:191], off offset:976
.LBB123_531:
	s_or_b64 exec, exec, s[2:3]
	v_cmp_eq_u32_e32 vcc, 47, v248
	s_waitcnt lgkmcnt(0)
	s_barrier
	s_and_saveexec_b64 s[4:5], vcc
	s_cbranch_execz .LBB123_538
; %bb.532:
	scratch_load_dwordx4 v[188:191], off, s23
	s_waitcnt vmcnt(0)
	ds_write2_b64 v249, v[188:189], v[190:191] offset1:1
	scratch_load_dwordx4 v[188:191], off, s24
	s_waitcnt vmcnt(0)
	ds_write2_b64 v250, v[188:189], v[190:191] offset0:96 offset1:97
	scratch_load_dwordx4 v[188:191], off, s21
	s_waitcnt vmcnt(0)
	ds_write2_b64 v250, v[188:189], v[190:191] offset0:98 offset1:99
	;; [unrolled: 3-line block ×14, first 2 shown]
	ds_read2_b64 v[188:191], v249 offset1:1
	s_waitcnt lgkmcnt(0)
	v_cmp_neq_f64_e32 vcc, 0, v[188:189]
	v_cmp_neq_f64_e64 s[2:3], 0, v[190:191]
	s_or_b64 s[2:3], vcc, s[2:3]
	s_and_b64 exec, exec, s[2:3]
	s_cbranch_execz .LBB123_538
; %bb.533:
	v_cmp_ngt_f64_e64 s[2:3], |v[188:189]|, |v[190:191]|
                                        ; implicit-def: $vgpr192_vgpr193
	s_and_saveexec_b64 s[10:11], s[2:3]
	s_xor_b64 s[2:3], exec, s[10:11]
                                        ; implicit-def: $vgpr194_vgpr195
	s_cbranch_execz .LBB123_535
; %bb.534:
	v_div_scale_f64 v[0:1], s[10:11], v[190:191], v[190:191], v[188:189]
	v_rcp_f64_e32 v[2:3], v[0:1]
	v_div_scale_f64 v[192:193], vcc, v[188:189], v[190:191], v[188:189]
	v_fma_f64 v[194:195], -v[0:1], v[2:3], 1.0
	v_fmac_f64_e32 v[2:3], v[2:3], v[194:195]
	v_fma_f64 v[194:195], -v[0:1], v[2:3], 1.0
	v_fmac_f64_e32 v[2:3], v[2:3], v[194:195]
	v_mul_f64 v[194:195], v[192:193], v[2:3]
	v_fma_f64 v[0:1], -v[0:1], v[194:195], v[192:193]
	v_div_fmas_f64 v[0:1], v[0:1], v[2:3], v[194:195]
	v_div_fixup_f64 v[0:1], v[0:1], v[190:191], v[188:189]
	v_fmac_f64_e32 v[190:191], v[188:189], v[0:1]
	v_div_scale_f64 v[2:3], s[10:11], v[190:191], v[190:191], 1.0
	v_rcp_f64_e32 v[188:189], v[2:3]
	s_nop 0
	v_fma_f64 v[192:193], -v[2:3], v[188:189], 1.0
	v_fmac_f64_e32 v[188:189], v[188:189], v[192:193]
	v_fma_f64 v[192:193], -v[2:3], v[188:189], 1.0
	v_fmac_f64_e32 v[188:189], v[188:189], v[192:193]
	v_div_scale_f64 v[192:193], vcc, 1.0, v[190:191], 1.0
	v_mul_f64 v[194:195], v[192:193], v[188:189]
	v_fma_f64 v[2:3], -v[2:3], v[194:195], v[192:193]
	s_nop 1
	v_div_fmas_f64 v[2:3], v[2:3], v[188:189], v[194:195]
	v_div_fixup_f64 v[194:195], v[2:3], v[190:191], 1.0
	v_mul_f64 v[192:193], v[0:1], v[194:195]
	v_xor_b32_e32 v195, 0x80000000, v195
                                        ; implicit-def: $vgpr188_vgpr189
.LBB123_535:
	s_andn2_saveexec_b64 s[2:3], s[2:3]
	s_cbranch_execz .LBB123_537
; %bb.536:
	v_div_scale_f64 v[0:1], s[10:11], v[188:189], v[188:189], v[190:191]
	v_rcp_f64_e32 v[2:3], v[0:1]
	v_div_scale_f64 v[192:193], vcc, v[190:191], v[188:189], v[190:191]
	v_fma_f64 v[194:195], -v[0:1], v[2:3], 1.0
	v_fmac_f64_e32 v[2:3], v[2:3], v[194:195]
	v_fma_f64 v[194:195], -v[0:1], v[2:3], 1.0
	v_fmac_f64_e32 v[2:3], v[2:3], v[194:195]
	v_mul_f64 v[194:195], v[192:193], v[2:3]
	v_fma_f64 v[0:1], -v[0:1], v[194:195], v[192:193]
	v_div_fmas_f64 v[0:1], v[0:1], v[2:3], v[194:195]
	v_div_fixup_f64 v[0:1], v[0:1], v[188:189], v[190:191]
	v_fmac_f64_e32 v[188:189], v[190:191], v[0:1]
	v_div_scale_f64 v[2:3], s[10:11], v[188:189], v[188:189], 1.0
	v_rcp_f64_e32 v[190:191], v[2:3]
	s_nop 0
	v_fma_f64 v[192:193], -v[2:3], v[190:191], 1.0
	v_fmac_f64_e32 v[190:191], v[190:191], v[192:193]
	v_fma_f64 v[192:193], -v[2:3], v[190:191], 1.0
	v_fmac_f64_e32 v[190:191], v[190:191], v[192:193]
	v_div_scale_f64 v[192:193], vcc, 1.0, v[188:189], 1.0
	v_mul_f64 v[194:195], v[192:193], v[190:191]
	v_fma_f64 v[2:3], -v[2:3], v[194:195], v[192:193]
	s_nop 1
	v_div_fmas_f64 v[2:3], v[2:3], v[190:191], v[194:195]
	v_div_fixup_f64 v[192:193], v[2:3], v[188:189], 1.0
	v_mul_f64 v[194:195], v[0:1], -v[192:193]
.LBB123_537:
	s_or_b64 exec, exec, s[2:3]
	ds_write2_b64 v249, v[192:193], v[194:195] offset1:1
.LBB123_538:
	s_or_b64 exec, exec, s[4:5]
	s_waitcnt lgkmcnt(0)
	s_barrier
	ds_read2_b64 v[188:191], v249 offset1:1
	v_cmp_lt_u32_e32 vcc, 47, v248
	s_and_saveexec_b64 s[2:3], vcc
	s_cbranch_execz .LBB123_540
; %bb.539:
	scratch_load_dwordx4 v[192:195], off, off offset:752
	s_waitcnt vmcnt(0) lgkmcnt(0)
	v_mul_f64 v[0:1], v[190:191], v[194:195]
	v_mul_f64 v[198:199], v[188:189], v[194:195]
	v_fma_f64 v[196:197], v[188:189], v[192:193], -v[0:1]
	v_fmac_f64_e32 v[198:199], v[190:191], v[192:193]
	ds_read2_b64 v[192:195], v250 offset0:96 offset1:97
	scratch_store_dwordx4 off, v[196:199], off offset:752
	s_waitcnt lgkmcnt(0)
	v_mul_f64 v[0:1], v[194:195], v[198:199]
	v_mul_f64 v[2:3], v[192:193], v[198:199]
	v_fma_f64 v[0:1], v[192:193], v[196:197], -v[0:1]
	v_fmac_f64_e32 v[2:3], v[194:195], v[196:197]
	scratch_load_dwordx4 v[192:195], off, off offset:768
	s_waitcnt vmcnt(0)
	v_add_f64 v[192:193], v[192:193], -v[0:1]
	v_add_f64 v[194:195], v[194:195], -v[2:3]
	scratch_store_dwordx4 off, v[192:195], off offset:768
	ds_read2_b64 v[192:195], v250 offset0:98 offset1:99
	s_waitcnt lgkmcnt(0)
	v_mul_f64 v[0:1], v[194:195], v[198:199]
	v_mul_f64 v[2:3], v[192:193], v[198:199]
	v_fma_f64 v[0:1], v[192:193], v[196:197], -v[0:1]
	v_fmac_f64_e32 v[2:3], v[194:195], v[196:197]
	scratch_load_dwordx4 v[192:195], off, off offset:784
	s_waitcnt vmcnt(0)
	v_add_f64 v[192:193], v[192:193], -v[0:1]
	v_add_f64 v[194:195], v[194:195], -v[2:3]
	scratch_store_dwordx4 off, v[192:195], off offset:784
	ds_read2_b64 v[192:195], v250 offset0:100 offset1:101
	;; [unrolled: 11-line block ×5, first 2 shown]
	s_waitcnt lgkmcnt(0)
	v_mul_f64 v[0:1], v[194:195], v[198:199]
	v_mul_f64 v[2:3], v[192:193], v[198:199]
	v_fma_f64 v[0:1], v[192:193], v[196:197], -v[0:1]
	v_fmac_f64_e32 v[2:3], v[194:195], v[196:197]
	scratch_load_dwordx4 v[192:195], off, off offset:848
	ds_read2_b64 v[196:199], v250 offset0:108 offset1:109
	s_waitcnt vmcnt(0)
	v_add_f64 v[192:193], v[192:193], -v[0:1]
	v_add_f64 v[194:195], v[194:195], -v[2:3]
	scratch_store_dwordx4 off, v[192:195], off offset:848
	scratch_load_dwordx2 v[0:1], off, off offset:752
	s_nop 0
	scratch_load_dwordx4 v[192:195], off, off offset:752
	s_waitcnt vmcnt(0) lgkmcnt(0)
	v_mul_f64 v[2:3], v[198:199], v[194:195]
	v_mul_f64 v[200:201], v[196:197], v[194:195]
	v_fma_f64 v[2:3], v[196:197], v[0:1], -v[2:3]
	v_fmac_f64_e32 v[200:201], v[198:199], v[0:1]
	scratch_load_dwordx4 v[196:199], off, off offset:864
	s_waitcnt vmcnt(0)
	v_add_f64 v[196:197], v[196:197], -v[2:3]
	v_add_f64 v[198:199], v[198:199], -v[200:201]
	scratch_store_dwordx4 off, v[196:199], off offset:864
	ds_read2_b64 v[196:199], v250 offset0:110 offset1:111
	s_waitcnt lgkmcnt(0)
	v_mul_f64 v[2:3], v[198:199], v[194:195]
	v_mul_f64 v[200:201], v[196:197], v[194:195]
	v_fma_f64 v[2:3], v[196:197], v[0:1], -v[2:3]
	v_fmac_f64_e32 v[200:201], v[198:199], v[0:1]
	scratch_load_dwordx4 v[196:199], off, off offset:880
	s_waitcnt vmcnt(0)
	v_add_f64 v[196:197], v[196:197], -v[2:3]
	v_add_f64 v[198:199], v[198:199], -v[200:201]
	scratch_store_dwordx4 off, v[196:199], off offset:880
	ds_read2_b64 v[196:199], v250 offset0:112 offset1:113
	s_waitcnt lgkmcnt(0)
	;; [unrolled: 11-line block ×5, first 2 shown]
	v_mul_f64 v[2:3], v[198:199], v[194:195]
	v_fma_f64 v[2:3], v[196:197], v[0:1], -v[2:3]
	v_mul_f64 v[200:201], v[196:197], v[194:195]
	scratch_load_dwordx4 v[194:197], off, off offset:944
	v_fmac_f64_e32 v[200:201], v[198:199], v[0:1]
	scratch_load_dwordx2 v[0:1], off, off offset:760
	s_waitcnt vmcnt(1)
	v_add_f64 v[194:195], v[194:195], -v[2:3]
	v_add_f64 v[196:197], v[196:197], -v[200:201]
	scratch_store_dwordx4 off, v[194:197], off offset:944
	ds_read2_b64 v[194:197], v250 offset0:120 offset1:121
	s_waitcnt vmcnt(1) lgkmcnt(0)
	v_mul_f64 v[2:3], v[196:197], v[0:1]
	v_mul_f64 v[198:199], v[194:195], v[0:1]
	v_fma_f64 v[2:3], v[194:195], v[192:193], -v[2:3]
	v_fmac_f64_e32 v[198:199], v[196:197], v[192:193]
	scratch_load_dwordx4 v[194:197], off, off offset:960
	s_waitcnt vmcnt(0)
	v_add_f64 v[196:197], v[196:197], -v[198:199]
	ds_read2_b64 v[198:201], v250 offset0:122 offset1:123
	v_add_f64 v[194:195], v[194:195], -v[2:3]
	scratch_store_dwordx4 off, v[194:197], off offset:960
	s_waitcnt lgkmcnt(0)
	v_mul_f64 v[2:3], v[200:201], v[0:1]
	v_fma_f64 v[196:197], v[198:199], v[192:193], -v[2:3]
	v_mul_f64 v[198:199], v[198:199], v[0:1]
	v_fmac_f64_e32 v[198:199], v[200:201], v[192:193]
	scratch_load_dwordx4 v[192:195], off, off offset:976
	s_waitcnt vmcnt(0)
	v_add_f64 v[192:193], v[192:193], -v[196:197]
	v_add_f64 v[194:195], v[194:195], -v[198:199]
	scratch_store_dwordx4 off, v[192:195], off offset:976
.LBB123_540:
	s_or_b64 exec, exec, s[2:3]
	v_cmp_eq_u32_e32 vcc, 48, v248
	s_waitcnt lgkmcnt(0)
	s_barrier
	s_and_saveexec_b64 s[4:5], vcc
	s_cbranch_execz .LBB123_547
; %bb.541:
	scratch_load_dwordx4 v[192:195], off, s24
	s_waitcnt vmcnt(0)
	ds_write2_b64 v249, v[192:193], v[194:195] offset1:1
	scratch_load_dwordx4 v[192:195], off, s21
	s_waitcnt vmcnt(0)
	ds_write2_b64 v250, v[192:193], v[194:195] offset0:98 offset1:99
	scratch_load_dwordx4 v[192:195], off, s22
	s_waitcnt vmcnt(0)
	ds_write2_b64 v250, v[192:193], v[194:195] offset0:100 offset1:101
	;; [unrolled: 3-line block ×13, first 2 shown]
	ds_read2_b64 v[192:195], v249 offset1:1
	s_waitcnt lgkmcnt(0)
	v_cmp_neq_f64_e32 vcc, 0, v[192:193]
	v_cmp_neq_f64_e64 s[2:3], 0, v[194:195]
	s_or_b64 s[2:3], vcc, s[2:3]
	s_and_b64 exec, exec, s[2:3]
	s_cbranch_execz .LBB123_547
; %bb.542:
	v_cmp_ngt_f64_e64 s[2:3], |v[192:193]|, |v[194:195]|
                                        ; implicit-def: $vgpr196_vgpr197
	s_and_saveexec_b64 s[10:11], s[2:3]
	s_xor_b64 s[2:3], exec, s[10:11]
                                        ; implicit-def: $vgpr198_vgpr199
	s_cbranch_execz .LBB123_544
; %bb.543:
	v_div_scale_f64 v[0:1], s[10:11], v[194:195], v[194:195], v[192:193]
	v_rcp_f64_e32 v[2:3], v[0:1]
	v_div_scale_f64 v[196:197], vcc, v[192:193], v[194:195], v[192:193]
	v_fma_f64 v[198:199], -v[0:1], v[2:3], 1.0
	v_fmac_f64_e32 v[2:3], v[2:3], v[198:199]
	v_fma_f64 v[198:199], -v[0:1], v[2:3], 1.0
	v_fmac_f64_e32 v[2:3], v[2:3], v[198:199]
	v_mul_f64 v[198:199], v[196:197], v[2:3]
	v_fma_f64 v[0:1], -v[0:1], v[198:199], v[196:197]
	v_div_fmas_f64 v[0:1], v[0:1], v[2:3], v[198:199]
	v_div_fixup_f64 v[0:1], v[0:1], v[194:195], v[192:193]
	v_fmac_f64_e32 v[194:195], v[192:193], v[0:1]
	v_div_scale_f64 v[2:3], s[10:11], v[194:195], v[194:195], 1.0
	v_rcp_f64_e32 v[192:193], v[2:3]
	s_nop 0
	v_fma_f64 v[196:197], -v[2:3], v[192:193], 1.0
	v_fmac_f64_e32 v[192:193], v[192:193], v[196:197]
	v_fma_f64 v[196:197], -v[2:3], v[192:193], 1.0
	v_fmac_f64_e32 v[192:193], v[192:193], v[196:197]
	v_div_scale_f64 v[196:197], vcc, 1.0, v[194:195], 1.0
	v_mul_f64 v[198:199], v[196:197], v[192:193]
	v_fma_f64 v[2:3], -v[2:3], v[198:199], v[196:197]
	s_nop 1
	v_div_fmas_f64 v[2:3], v[2:3], v[192:193], v[198:199]
	v_div_fixup_f64 v[198:199], v[2:3], v[194:195], 1.0
	v_mul_f64 v[196:197], v[0:1], v[198:199]
	v_xor_b32_e32 v199, 0x80000000, v199
                                        ; implicit-def: $vgpr192_vgpr193
.LBB123_544:
	s_andn2_saveexec_b64 s[2:3], s[2:3]
	s_cbranch_execz .LBB123_546
; %bb.545:
	v_div_scale_f64 v[0:1], s[10:11], v[192:193], v[192:193], v[194:195]
	v_rcp_f64_e32 v[2:3], v[0:1]
	v_div_scale_f64 v[196:197], vcc, v[194:195], v[192:193], v[194:195]
	v_fma_f64 v[198:199], -v[0:1], v[2:3], 1.0
	v_fmac_f64_e32 v[2:3], v[2:3], v[198:199]
	v_fma_f64 v[198:199], -v[0:1], v[2:3], 1.0
	v_fmac_f64_e32 v[2:3], v[2:3], v[198:199]
	v_mul_f64 v[198:199], v[196:197], v[2:3]
	v_fma_f64 v[0:1], -v[0:1], v[198:199], v[196:197]
	v_div_fmas_f64 v[0:1], v[0:1], v[2:3], v[198:199]
	v_div_fixup_f64 v[0:1], v[0:1], v[192:193], v[194:195]
	v_fmac_f64_e32 v[192:193], v[194:195], v[0:1]
	v_div_scale_f64 v[2:3], s[10:11], v[192:193], v[192:193], 1.0
	v_rcp_f64_e32 v[194:195], v[2:3]
	s_nop 0
	v_fma_f64 v[196:197], -v[2:3], v[194:195], 1.0
	v_fmac_f64_e32 v[194:195], v[194:195], v[196:197]
	v_fma_f64 v[196:197], -v[2:3], v[194:195], 1.0
	v_fmac_f64_e32 v[194:195], v[194:195], v[196:197]
	v_div_scale_f64 v[196:197], vcc, 1.0, v[192:193], 1.0
	v_mul_f64 v[198:199], v[196:197], v[194:195]
	v_fma_f64 v[2:3], -v[2:3], v[198:199], v[196:197]
	s_nop 1
	v_div_fmas_f64 v[2:3], v[2:3], v[194:195], v[198:199]
	v_div_fixup_f64 v[196:197], v[2:3], v[192:193], 1.0
	v_mul_f64 v[198:199], v[0:1], -v[196:197]
.LBB123_546:
	s_or_b64 exec, exec, s[2:3]
	ds_write2_b64 v249, v[196:197], v[198:199] offset1:1
.LBB123_547:
	s_or_b64 exec, exec, s[4:5]
	s_waitcnt lgkmcnt(0)
	s_barrier
	ds_read2_b64 v[192:195], v249 offset1:1
	v_cmp_lt_u32_e32 vcc, 48, v248
	s_and_saveexec_b64 s[2:3], vcc
	s_cbranch_execz .LBB123_549
; %bb.548:
	scratch_load_dwordx4 v[196:199], off, off offset:768
	s_waitcnt vmcnt(0) lgkmcnt(0)
	v_mul_f64 v[0:1], v[194:195], v[198:199]
	v_mul_f64 v[202:203], v[192:193], v[198:199]
	v_fma_f64 v[200:201], v[192:193], v[196:197], -v[0:1]
	v_fmac_f64_e32 v[202:203], v[194:195], v[196:197]
	ds_read2_b64 v[196:199], v250 offset0:98 offset1:99
	scratch_store_dwordx4 off, v[200:203], off offset:768
	s_waitcnt lgkmcnt(0)
	v_mul_f64 v[0:1], v[198:199], v[202:203]
	v_mul_f64 v[2:3], v[196:197], v[202:203]
	v_fma_f64 v[0:1], v[196:197], v[200:201], -v[0:1]
	v_fmac_f64_e32 v[2:3], v[198:199], v[200:201]
	scratch_load_dwordx4 v[196:199], off, off offset:784
	s_waitcnt vmcnt(0)
	v_add_f64 v[196:197], v[196:197], -v[0:1]
	v_add_f64 v[198:199], v[198:199], -v[2:3]
	scratch_store_dwordx4 off, v[196:199], off offset:784
	ds_read2_b64 v[196:199], v250 offset0:100 offset1:101
	s_waitcnt lgkmcnt(0)
	v_mul_f64 v[0:1], v[198:199], v[202:203]
	v_mul_f64 v[2:3], v[196:197], v[202:203]
	v_fma_f64 v[0:1], v[196:197], v[200:201], -v[0:1]
	v_fmac_f64_e32 v[2:3], v[198:199], v[200:201]
	scratch_load_dwordx4 v[196:199], off, off offset:800
	s_waitcnt vmcnt(0)
	v_add_f64 v[196:197], v[196:197], -v[0:1]
	v_add_f64 v[198:199], v[198:199], -v[2:3]
	scratch_store_dwordx4 off, v[196:199], off offset:800
	ds_read2_b64 v[196:199], v250 offset0:102 offset1:103
	;; [unrolled: 11-line block ×5, first 2 shown]
	s_waitcnt lgkmcnt(0)
	v_mul_f64 v[0:1], v[198:199], v[202:203]
	v_mul_f64 v[2:3], v[196:197], v[202:203]
	v_fma_f64 v[0:1], v[196:197], v[200:201], -v[0:1]
	v_fmac_f64_e32 v[2:3], v[198:199], v[200:201]
	scratch_load_dwordx4 v[196:199], off, off offset:864
	ds_read2_b64 v[200:203], v250 offset0:110 offset1:111
	s_waitcnt vmcnt(0)
	v_add_f64 v[196:197], v[196:197], -v[0:1]
	v_add_f64 v[198:199], v[198:199], -v[2:3]
	scratch_store_dwordx4 off, v[196:199], off offset:864
	scratch_load_dwordx2 v[0:1], off, off offset:768
	s_nop 0
	scratch_load_dwordx4 v[196:199], off, off offset:768
	s_waitcnt vmcnt(0) lgkmcnt(0)
	v_mul_f64 v[2:3], v[202:203], v[198:199]
	v_mul_f64 v[204:205], v[200:201], v[198:199]
	v_fma_f64 v[2:3], v[200:201], v[0:1], -v[2:3]
	v_fmac_f64_e32 v[204:205], v[202:203], v[0:1]
	scratch_load_dwordx4 v[200:203], off, off offset:880
	s_waitcnt vmcnt(0)
	v_add_f64 v[200:201], v[200:201], -v[2:3]
	v_add_f64 v[202:203], v[202:203], -v[204:205]
	scratch_store_dwordx4 off, v[200:203], off offset:880
	ds_read2_b64 v[200:203], v250 offset0:112 offset1:113
	s_waitcnt lgkmcnt(0)
	v_mul_f64 v[2:3], v[202:203], v[198:199]
	v_mul_f64 v[204:205], v[200:201], v[198:199]
	v_fma_f64 v[2:3], v[200:201], v[0:1], -v[2:3]
	v_fmac_f64_e32 v[204:205], v[202:203], v[0:1]
	scratch_load_dwordx4 v[200:203], off, off offset:896
	s_waitcnt vmcnt(0)
	v_add_f64 v[200:201], v[200:201], -v[2:3]
	v_add_f64 v[202:203], v[202:203], -v[204:205]
	scratch_store_dwordx4 off, v[200:203], off offset:896
	ds_read2_b64 v[200:203], v250 offset0:114 offset1:115
	s_waitcnt lgkmcnt(0)
	;; [unrolled: 11-line block ×5, first 2 shown]
	v_mul_f64 v[2:3], v[202:203], v[198:199]
	v_fma_f64 v[2:3], v[200:201], v[0:1], -v[2:3]
	v_mul_f64 v[204:205], v[200:201], v[198:199]
	scratch_load_dwordx4 v[198:201], off, off offset:960
	v_fmac_f64_e32 v[204:205], v[202:203], v[0:1]
	scratch_load_dwordx2 v[0:1], off, off offset:776
	s_waitcnt vmcnt(1)
	v_add_f64 v[198:199], v[198:199], -v[2:3]
	v_add_f64 v[200:201], v[200:201], -v[204:205]
	scratch_store_dwordx4 off, v[198:201], off offset:960
	ds_read2_b64 v[200:203], v250 offset0:122 offset1:123
	s_waitcnt vmcnt(1) lgkmcnt(0)
	v_mul_f64 v[2:3], v[202:203], v[0:1]
	v_fma_f64 v[198:199], v[200:201], v[196:197], -v[2:3]
	v_mul_f64 v[200:201], v[200:201], v[0:1]
	v_fmac_f64_e32 v[200:201], v[202:203], v[196:197]
	scratch_load_dwordx4 v[202:205], off, off offset:976
	s_waitcnt vmcnt(0)
	v_add_f64 v[196:197], v[202:203], -v[198:199]
	v_add_f64 v[198:199], v[204:205], -v[200:201]
	scratch_store_dwordx4 off, v[196:199], off offset:976
.LBB123_549:
	s_or_b64 exec, exec, s[2:3]
	v_cmp_eq_u32_e32 vcc, 49, v248
	s_waitcnt lgkmcnt(0)
	s_barrier
	s_and_saveexec_b64 s[4:5], vcc
	s_cbranch_execz .LBB123_556
; %bb.550:
	scratch_load_dwordx4 v[196:199], off, s21
	s_waitcnt vmcnt(0)
	ds_write2_b64 v249, v[196:197], v[198:199] offset1:1
	scratch_load_dwordx4 v[196:199], off, s22
	s_waitcnt vmcnt(0)
	ds_write2_b64 v250, v[196:197], v[198:199] offset0:100 offset1:101
	scratch_load_dwordx4 v[196:199], off, s19
	s_waitcnt vmcnt(0)
	ds_write2_b64 v250, v[196:197], v[198:199] offset0:102 offset1:103
	;; [unrolled: 3-line block ×12, first 2 shown]
	ds_read2_b64 v[196:199], v249 offset1:1
	s_waitcnt lgkmcnt(0)
	v_cmp_neq_f64_e32 vcc, 0, v[196:197]
	v_cmp_neq_f64_e64 s[2:3], 0, v[198:199]
	s_or_b64 s[2:3], vcc, s[2:3]
	s_and_b64 exec, exec, s[2:3]
	s_cbranch_execz .LBB123_556
; %bb.551:
	v_cmp_ngt_f64_e64 s[2:3], |v[196:197]|, |v[198:199]|
                                        ; implicit-def: $vgpr200_vgpr201
	s_and_saveexec_b64 s[10:11], s[2:3]
	s_xor_b64 s[2:3], exec, s[10:11]
                                        ; implicit-def: $vgpr202_vgpr203
	s_cbranch_execz .LBB123_553
; %bb.552:
	v_div_scale_f64 v[0:1], s[10:11], v[198:199], v[198:199], v[196:197]
	v_rcp_f64_e32 v[2:3], v[0:1]
	v_div_scale_f64 v[200:201], vcc, v[196:197], v[198:199], v[196:197]
	v_fma_f64 v[202:203], -v[0:1], v[2:3], 1.0
	v_fmac_f64_e32 v[2:3], v[2:3], v[202:203]
	v_fma_f64 v[202:203], -v[0:1], v[2:3], 1.0
	v_fmac_f64_e32 v[2:3], v[2:3], v[202:203]
	v_mul_f64 v[202:203], v[200:201], v[2:3]
	v_fma_f64 v[0:1], -v[0:1], v[202:203], v[200:201]
	v_div_fmas_f64 v[0:1], v[0:1], v[2:3], v[202:203]
	v_div_fixup_f64 v[0:1], v[0:1], v[198:199], v[196:197]
	v_fmac_f64_e32 v[198:199], v[196:197], v[0:1]
	v_div_scale_f64 v[2:3], s[10:11], v[198:199], v[198:199], 1.0
	v_rcp_f64_e32 v[196:197], v[2:3]
	s_nop 0
	v_fma_f64 v[200:201], -v[2:3], v[196:197], 1.0
	v_fmac_f64_e32 v[196:197], v[196:197], v[200:201]
	v_fma_f64 v[200:201], -v[2:3], v[196:197], 1.0
	v_fmac_f64_e32 v[196:197], v[196:197], v[200:201]
	v_div_scale_f64 v[200:201], vcc, 1.0, v[198:199], 1.0
	v_mul_f64 v[202:203], v[200:201], v[196:197]
	v_fma_f64 v[2:3], -v[2:3], v[202:203], v[200:201]
	s_nop 1
	v_div_fmas_f64 v[2:3], v[2:3], v[196:197], v[202:203]
	v_div_fixup_f64 v[202:203], v[2:3], v[198:199], 1.0
	v_mul_f64 v[200:201], v[0:1], v[202:203]
	v_xor_b32_e32 v203, 0x80000000, v203
                                        ; implicit-def: $vgpr196_vgpr197
.LBB123_553:
	s_andn2_saveexec_b64 s[2:3], s[2:3]
	s_cbranch_execz .LBB123_555
; %bb.554:
	v_div_scale_f64 v[0:1], s[10:11], v[196:197], v[196:197], v[198:199]
	v_rcp_f64_e32 v[2:3], v[0:1]
	v_div_scale_f64 v[200:201], vcc, v[198:199], v[196:197], v[198:199]
	v_fma_f64 v[202:203], -v[0:1], v[2:3], 1.0
	v_fmac_f64_e32 v[2:3], v[2:3], v[202:203]
	v_fma_f64 v[202:203], -v[0:1], v[2:3], 1.0
	v_fmac_f64_e32 v[2:3], v[2:3], v[202:203]
	v_mul_f64 v[202:203], v[200:201], v[2:3]
	v_fma_f64 v[0:1], -v[0:1], v[202:203], v[200:201]
	v_div_fmas_f64 v[0:1], v[0:1], v[2:3], v[202:203]
	v_div_fixup_f64 v[0:1], v[0:1], v[196:197], v[198:199]
	v_fmac_f64_e32 v[196:197], v[198:199], v[0:1]
	v_div_scale_f64 v[2:3], s[10:11], v[196:197], v[196:197], 1.0
	v_rcp_f64_e32 v[198:199], v[2:3]
	s_nop 0
	v_fma_f64 v[200:201], -v[2:3], v[198:199], 1.0
	v_fmac_f64_e32 v[198:199], v[198:199], v[200:201]
	v_fma_f64 v[200:201], -v[2:3], v[198:199], 1.0
	v_fmac_f64_e32 v[198:199], v[198:199], v[200:201]
	v_div_scale_f64 v[200:201], vcc, 1.0, v[196:197], 1.0
	v_mul_f64 v[202:203], v[200:201], v[198:199]
	v_fma_f64 v[2:3], -v[2:3], v[202:203], v[200:201]
	s_nop 1
	v_div_fmas_f64 v[2:3], v[2:3], v[198:199], v[202:203]
	v_div_fixup_f64 v[200:201], v[2:3], v[196:197], 1.0
	v_mul_f64 v[202:203], v[0:1], -v[200:201]
.LBB123_555:
	s_or_b64 exec, exec, s[2:3]
	ds_write2_b64 v249, v[200:201], v[202:203] offset1:1
.LBB123_556:
	s_or_b64 exec, exec, s[4:5]
	s_waitcnt lgkmcnt(0)
	s_barrier
	ds_read2_b64 v[196:199], v249 offset1:1
	v_cmp_lt_u32_e32 vcc, 49, v248
	s_and_saveexec_b64 s[2:3], vcc
	s_cbranch_execz .LBB123_558
; %bb.557:
	scratch_load_dwordx4 v[200:203], off, off offset:784
	ds_read2_b64 v[208:211], v250 offset0:122 offset1:123
	s_waitcnt vmcnt(0) lgkmcnt(1)
	v_mul_f64 v[0:1], v[198:199], v[202:203]
	v_mul_f64 v[206:207], v[196:197], v[202:203]
	v_fma_f64 v[204:205], v[196:197], v[200:201], -v[0:1]
	v_fmac_f64_e32 v[206:207], v[198:199], v[200:201]
	ds_read2_b64 v[200:203], v250 offset0:100 offset1:101
	scratch_store_dwordx4 off, v[204:207], off offset:784
	s_waitcnt lgkmcnt(0)
	v_mul_f64 v[0:1], v[202:203], v[206:207]
	v_mul_f64 v[2:3], v[200:201], v[206:207]
	v_fma_f64 v[0:1], v[200:201], v[204:205], -v[0:1]
	v_fmac_f64_e32 v[2:3], v[202:203], v[204:205]
	scratch_load_dwordx4 v[200:203], off, off offset:800
	s_waitcnt vmcnt(0)
	v_add_f64 v[200:201], v[200:201], -v[0:1]
	v_add_f64 v[202:203], v[202:203], -v[2:3]
	scratch_store_dwordx4 off, v[200:203], off offset:800
	ds_read2_b64 v[200:203], v250 offset0:102 offset1:103
	s_waitcnt lgkmcnt(0)
	v_mul_f64 v[0:1], v[202:203], v[206:207]
	v_mul_f64 v[2:3], v[200:201], v[206:207]
	v_fma_f64 v[0:1], v[200:201], v[204:205], -v[0:1]
	v_fmac_f64_e32 v[2:3], v[202:203], v[204:205]
	scratch_load_dwordx4 v[200:203], off, off offset:816
	s_waitcnt vmcnt(0)
	v_add_f64 v[200:201], v[200:201], -v[0:1]
	v_add_f64 v[202:203], v[202:203], -v[2:3]
	scratch_store_dwordx4 off, v[200:203], off offset:816
	ds_read2_b64 v[200:203], v250 offset0:104 offset1:105
	;; [unrolled: 11-line block ×5, first 2 shown]
	s_waitcnt lgkmcnt(0)
	v_mul_f64 v[0:1], v[202:203], v[206:207]
	v_mul_f64 v[2:3], v[200:201], v[206:207]
	v_fma_f64 v[0:1], v[200:201], v[204:205], -v[0:1]
	v_fmac_f64_e32 v[2:3], v[202:203], v[204:205]
	scratch_load_dwordx4 v[200:203], off, off offset:880
	scratch_load_dwordx4 v[204:207], off, off offset:784
	s_waitcnt vmcnt(1)
	v_add_f64 v[200:201], v[200:201], -v[0:1]
	v_add_f64 v[202:203], v[202:203], -v[2:3]
	scratch_store_dwordx4 off, v[200:203], off offset:880
	ds_read2_b64 v[200:203], v250 offset0:112 offset1:113
	s_waitcnt vmcnt(1) lgkmcnt(0)
	v_mul_f64 v[0:1], v[202:203], v[206:207]
	v_mul_f64 v[2:3], v[200:201], v[206:207]
	v_fma_f64 v[0:1], v[200:201], v[204:205], -v[0:1]
	v_fmac_f64_e32 v[2:3], v[202:203], v[204:205]
	scratch_load_dwordx4 v[200:203], off, off offset:896
	s_waitcnt vmcnt(0)
	v_add_f64 v[200:201], v[200:201], -v[0:1]
	v_add_f64 v[202:203], v[202:203], -v[2:3]
	scratch_store_dwordx4 off, v[200:203], off offset:896
	ds_read2_b64 v[200:203], v250 offset0:114 offset1:115
	s_waitcnt lgkmcnt(0)
	v_mul_f64 v[0:1], v[202:203], v[206:207]
	v_mul_f64 v[2:3], v[200:201], v[206:207]
	v_fma_f64 v[0:1], v[200:201], v[204:205], -v[0:1]
	v_fmac_f64_e32 v[2:3], v[202:203], v[204:205]
	scratch_load_dwordx4 v[200:203], off, off offset:912
	s_waitcnt vmcnt(0)
	v_add_f64 v[200:201], v[200:201], -v[0:1]
	v_add_f64 v[202:203], v[202:203], -v[2:3]
	scratch_store_dwordx4 off, v[200:203], off offset:912
	ds_read2_b64 v[200:203], v250 offset0:116 offset1:117
	s_waitcnt lgkmcnt(0)
	;; [unrolled: 11-line block ×4, first 2 shown]
	v_mul_f64 v[0:1], v[202:203], v[206:207]
	v_mul_f64 v[2:3], v[200:201], v[206:207]
	v_fma_f64 v[0:1], v[200:201], v[204:205], -v[0:1]
	v_fmac_f64_e32 v[2:3], v[202:203], v[204:205]
	scratch_load_dwordx4 v[200:203], off, off offset:960
	s_waitcnt vmcnt(0)
	v_add_f64 v[200:201], v[200:201], -v[0:1]
	v_add_f64 v[202:203], v[202:203], -v[2:3]
	scratch_store_dwordx4 off, v[200:203], off offset:960
	v_mul_f64 v[0:1], v[210:211], v[206:207]
	s_nop 0
	v_mul_f64 v[202:203], v[208:209], v[206:207]
	v_fma_f64 v[200:201], v[208:209], v[204:205], -v[0:1]
	v_fmac_f64_e32 v[202:203], v[210:211], v[204:205]
	scratch_load_dwordx4 v[204:207], off, off offset:976
	s_waitcnt vmcnt(0)
	v_add_f64 v[200:201], v[204:205], -v[200:201]
	v_add_f64 v[202:203], v[206:207], -v[202:203]
	scratch_store_dwordx4 off, v[200:203], off offset:976
.LBB123_558:
	s_or_b64 exec, exec, s[2:3]
	v_cmp_eq_u32_e32 vcc, 50, v248
	s_waitcnt lgkmcnt(0)
	s_barrier
	s_and_saveexec_b64 s[4:5], vcc
	s_cbranch_execz .LBB123_565
; %bb.559:
	scratch_load_dwordx4 v[200:203], off, s22
	s_waitcnt vmcnt(0)
	ds_write2_b64 v249, v[200:201], v[202:203] offset1:1
	scratch_load_dwordx4 v[200:203], off, s19
	s_waitcnt vmcnt(0)
	ds_write2_b64 v250, v[200:201], v[202:203] offset0:102 offset1:103
	scratch_load_dwordx4 v[200:203], off, s20
	s_waitcnt vmcnt(0)
	ds_write2_b64 v250, v[200:201], v[202:203] offset0:104 offset1:105
	;; [unrolled: 3-line block ×11, first 2 shown]
	ds_read2_b64 v[200:203], v249 offset1:1
	s_waitcnt lgkmcnt(0)
	v_cmp_neq_f64_e32 vcc, 0, v[200:201]
	v_cmp_neq_f64_e64 s[2:3], 0, v[202:203]
	s_or_b64 s[2:3], vcc, s[2:3]
	s_and_b64 exec, exec, s[2:3]
	s_cbranch_execz .LBB123_565
; %bb.560:
	v_cmp_ngt_f64_e64 s[2:3], |v[200:201]|, |v[202:203]|
                                        ; implicit-def: $vgpr204_vgpr205
	s_and_saveexec_b64 s[10:11], s[2:3]
	s_xor_b64 s[2:3], exec, s[10:11]
                                        ; implicit-def: $vgpr206_vgpr207
	s_cbranch_execz .LBB123_562
; %bb.561:
	v_div_scale_f64 v[0:1], s[10:11], v[202:203], v[202:203], v[200:201]
	v_rcp_f64_e32 v[2:3], v[0:1]
	v_div_scale_f64 v[204:205], vcc, v[200:201], v[202:203], v[200:201]
	v_fma_f64 v[206:207], -v[0:1], v[2:3], 1.0
	v_fmac_f64_e32 v[2:3], v[2:3], v[206:207]
	v_fma_f64 v[206:207], -v[0:1], v[2:3], 1.0
	v_fmac_f64_e32 v[2:3], v[2:3], v[206:207]
	v_mul_f64 v[206:207], v[204:205], v[2:3]
	v_fma_f64 v[0:1], -v[0:1], v[206:207], v[204:205]
	v_div_fmas_f64 v[0:1], v[0:1], v[2:3], v[206:207]
	v_div_fixup_f64 v[0:1], v[0:1], v[202:203], v[200:201]
	v_fmac_f64_e32 v[202:203], v[200:201], v[0:1]
	v_div_scale_f64 v[2:3], s[10:11], v[202:203], v[202:203], 1.0
	v_rcp_f64_e32 v[200:201], v[2:3]
	s_nop 0
	v_fma_f64 v[204:205], -v[2:3], v[200:201], 1.0
	v_fmac_f64_e32 v[200:201], v[200:201], v[204:205]
	v_fma_f64 v[204:205], -v[2:3], v[200:201], 1.0
	v_fmac_f64_e32 v[200:201], v[200:201], v[204:205]
	v_div_scale_f64 v[204:205], vcc, 1.0, v[202:203], 1.0
	v_mul_f64 v[206:207], v[204:205], v[200:201]
	v_fma_f64 v[2:3], -v[2:3], v[206:207], v[204:205]
	s_nop 1
	v_div_fmas_f64 v[2:3], v[2:3], v[200:201], v[206:207]
	v_div_fixup_f64 v[206:207], v[2:3], v[202:203], 1.0
	v_mul_f64 v[204:205], v[0:1], v[206:207]
	v_xor_b32_e32 v207, 0x80000000, v207
                                        ; implicit-def: $vgpr200_vgpr201
.LBB123_562:
	s_andn2_saveexec_b64 s[2:3], s[2:3]
	s_cbranch_execz .LBB123_564
; %bb.563:
	v_div_scale_f64 v[0:1], s[10:11], v[200:201], v[200:201], v[202:203]
	v_rcp_f64_e32 v[2:3], v[0:1]
	v_div_scale_f64 v[204:205], vcc, v[202:203], v[200:201], v[202:203]
	v_fma_f64 v[206:207], -v[0:1], v[2:3], 1.0
	v_fmac_f64_e32 v[2:3], v[2:3], v[206:207]
	v_fma_f64 v[206:207], -v[0:1], v[2:3], 1.0
	v_fmac_f64_e32 v[2:3], v[2:3], v[206:207]
	v_mul_f64 v[206:207], v[204:205], v[2:3]
	v_fma_f64 v[0:1], -v[0:1], v[206:207], v[204:205]
	v_div_fmas_f64 v[0:1], v[0:1], v[2:3], v[206:207]
	v_div_fixup_f64 v[0:1], v[0:1], v[200:201], v[202:203]
	v_fmac_f64_e32 v[200:201], v[202:203], v[0:1]
	v_div_scale_f64 v[2:3], s[10:11], v[200:201], v[200:201], 1.0
	v_rcp_f64_e32 v[202:203], v[2:3]
	s_nop 0
	v_fma_f64 v[204:205], -v[2:3], v[202:203], 1.0
	v_fmac_f64_e32 v[202:203], v[202:203], v[204:205]
	v_fma_f64 v[204:205], -v[2:3], v[202:203], 1.0
	v_fmac_f64_e32 v[202:203], v[202:203], v[204:205]
	v_div_scale_f64 v[204:205], vcc, 1.0, v[200:201], 1.0
	v_mul_f64 v[206:207], v[204:205], v[202:203]
	v_fma_f64 v[2:3], -v[2:3], v[206:207], v[204:205]
	s_nop 1
	v_div_fmas_f64 v[2:3], v[2:3], v[202:203], v[206:207]
	v_div_fixup_f64 v[204:205], v[2:3], v[200:201], 1.0
	v_mul_f64 v[206:207], v[0:1], -v[204:205]
.LBB123_564:
	s_or_b64 exec, exec, s[2:3]
	ds_write2_b64 v249, v[204:205], v[206:207] offset1:1
.LBB123_565:
	s_or_b64 exec, exec, s[4:5]
	s_waitcnt lgkmcnt(0)
	s_barrier
	ds_read2_b64 v[200:203], v249 offset1:1
	v_cmp_lt_u32_e32 vcc, 50, v248
	s_and_saveexec_b64 s[2:3], vcc
	s_cbranch_execz .LBB123_567
; %bb.566:
	scratch_load_dwordx4 v[204:207], off, off offset:800
	ds_read2_b64 v[212:215], v250 offset0:122 offset1:123
	s_waitcnt vmcnt(0) lgkmcnt(1)
	v_mul_f64 v[0:1], v[202:203], v[206:207]
	v_mul_f64 v[210:211], v[200:201], v[206:207]
	v_fma_f64 v[208:209], v[200:201], v[204:205], -v[0:1]
	v_fmac_f64_e32 v[210:211], v[202:203], v[204:205]
	ds_read2_b64 v[204:207], v250 offset0:102 offset1:103
	scratch_store_dwordx4 off, v[208:211], off offset:800
	s_waitcnt lgkmcnt(0)
	v_mul_f64 v[0:1], v[206:207], v[210:211]
	v_mul_f64 v[2:3], v[204:205], v[210:211]
	v_fma_f64 v[0:1], v[204:205], v[208:209], -v[0:1]
	v_fmac_f64_e32 v[2:3], v[206:207], v[208:209]
	scratch_load_dwordx4 v[204:207], off, off offset:816
	s_waitcnt vmcnt(0)
	v_add_f64 v[204:205], v[204:205], -v[0:1]
	v_add_f64 v[206:207], v[206:207], -v[2:3]
	scratch_store_dwordx4 off, v[204:207], off offset:816
	ds_read2_b64 v[204:207], v250 offset0:104 offset1:105
	s_waitcnt lgkmcnt(0)
	v_mul_f64 v[0:1], v[206:207], v[210:211]
	v_mul_f64 v[2:3], v[204:205], v[210:211]
	v_fma_f64 v[0:1], v[204:205], v[208:209], -v[0:1]
	v_fmac_f64_e32 v[2:3], v[206:207], v[208:209]
	scratch_load_dwordx4 v[204:207], off, off offset:832
	s_waitcnt vmcnt(0)
	v_add_f64 v[204:205], v[204:205], -v[0:1]
	v_add_f64 v[206:207], v[206:207], -v[2:3]
	scratch_store_dwordx4 off, v[204:207], off offset:832
	ds_read2_b64 v[204:207], v250 offset0:106 offset1:107
	;; [unrolled: 11-line block ×5, first 2 shown]
	s_waitcnt lgkmcnt(0)
	v_mul_f64 v[0:1], v[206:207], v[210:211]
	v_mul_f64 v[2:3], v[204:205], v[210:211]
	v_fma_f64 v[0:1], v[204:205], v[208:209], -v[0:1]
	v_fmac_f64_e32 v[2:3], v[206:207], v[208:209]
	scratch_load_dwordx4 v[204:207], off, off offset:896
	scratch_load_dwordx4 v[208:211], off, off offset:800
	s_waitcnt vmcnt(1)
	v_add_f64 v[204:205], v[204:205], -v[0:1]
	v_add_f64 v[206:207], v[206:207], -v[2:3]
	scratch_store_dwordx4 off, v[204:207], off offset:896
	ds_read2_b64 v[204:207], v250 offset0:114 offset1:115
	s_waitcnt vmcnt(1) lgkmcnt(0)
	v_mul_f64 v[0:1], v[206:207], v[210:211]
	v_mul_f64 v[2:3], v[204:205], v[210:211]
	v_fma_f64 v[0:1], v[204:205], v[208:209], -v[0:1]
	v_fmac_f64_e32 v[2:3], v[206:207], v[208:209]
	scratch_load_dwordx4 v[204:207], off, off offset:912
	s_waitcnt vmcnt(0)
	v_add_f64 v[204:205], v[204:205], -v[0:1]
	v_add_f64 v[206:207], v[206:207], -v[2:3]
	scratch_store_dwordx4 off, v[204:207], off offset:912
	ds_read2_b64 v[204:207], v250 offset0:116 offset1:117
	s_waitcnt lgkmcnt(0)
	v_mul_f64 v[0:1], v[206:207], v[210:211]
	v_mul_f64 v[2:3], v[204:205], v[210:211]
	v_fma_f64 v[0:1], v[204:205], v[208:209], -v[0:1]
	v_fmac_f64_e32 v[2:3], v[206:207], v[208:209]
	scratch_load_dwordx4 v[204:207], off, off offset:928
	s_waitcnt vmcnt(0)
	v_add_f64 v[204:205], v[204:205], -v[0:1]
	v_add_f64 v[206:207], v[206:207], -v[2:3]
	scratch_store_dwordx4 off, v[204:207], off offset:928
	ds_read2_b64 v[204:207], v250 offset0:118 offset1:119
	s_waitcnt lgkmcnt(0)
	;; [unrolled: 11-line block ×3, first 2 shown]
	v_mul_f64 v[0:1], v[206:207], v[210:211]
	v_mul_f64 v[2:3], v[204:205], v[210:211]
	v_fma_f64 v[0:1], v[204:205], v[208:209], -v[0:1]
	v_fmac_f64_e32 v[2:3], v[206:207], v[208:209]
	scratch_load_dwordx4 v[204:207], off, off offset:960
	s_waitcnt vmcnt(0)
	v_add_f64 v[204:205], v[204:205], -v[0:1]
	v_add_f64 v[206:207], v[206:207], -v[2:3]
	scratch_store_dwordx4 off, v[204:207], off offset:960
	v_mul_f64 v[0:1], v[214:215], v[210:211]
	s_nop 0
	v_mul_f64 v[206:207], v[212:213], v[210:211]
	v_fma_f64 v[204:205], v[212:213], v[208:209], -v[0:1]
	v_fmac_f64_e32 v[206:207], v[214:215], v[208:209]
	scratch_load_dwordx4 v[208:211], off, off offset:976
	s_waitcnt vmcnt(0)
	v_add_f64 v[204:205], v[208:209], -v[204:205]
	v_add_f64 v[206:207], v[210:211], -v[206:207]
	scratch_store_dwordx4 off, v[204:207], off offset:976
.LBB123_567:
	s_or_b64 exec, exec, s[2:3]
	v_cmp_eq_u32_e32 vcc, 51, v248
	s_waitcnt lgkmcnt(0)
	s_barrier
	s_and_saveexec_b64 s[4:5], vcc
	s_cbranch_execz .LBB123_574
; %bb.568:
	scratch_load_dwordx4 v[204:207], off, s19
	s_waitcnt vmcnt(0)
	ds_write2_b64 v249, v[204:205], v[206:207] offset1:1
	scratch_load_dwordx4 v[204:207], off, s20
	s_waitcnt vmcnt(0)
	ds_write2_b64 v250, v[204:205], v[206:207] offset0:104 offset1:105
	scratch_load_dwordx4 v[204:207], off, s17
	s_waitcnt vmcnt(0)
	ds_write2_b64 v250, v[204:205], v[206:207] offset0:106 offset1:107
	;; [unrolled: 3-line block ×10, first 2 shown]
	ds_read2_b64 v[204:207], v249 offset1:1
	s_waitcnt lgkmcnt(0)
	v_cmp_neq_f64_e32 vcc, 0, v[204:205]
	v_cmp_neq_f64_e64 s[2:3], 0, v[206:207]
	s_or_b64 s[2:3], vcc, s[2:3]
	s_and_b64 exec, exec, s[2:3]
	s_cbranch_execz .LBB123_574
; %bb.569:
	v_cmp_ngt_f64_e64 s[2:3], |v[204:205]|, |v[206:207]|
                                        ; implicit-def: $vgpr208_vgpr209
	s_and_saveexec_b64 s[10:11], s[2:3]
	s_xor_b64 s[2:3], exec, s[10:11]
                                        ; implicit-def: $vgpr210_vgpr211
	s_cbranch_execz .LBB123_571
; %bb.570:
	v_div_scale_f64 v[0:1], s[10:11], v[206:207], v[206:207], v[204:205]
	v_rcp_f64_e32 v[2:3], v[0:1]
	v_div_scale_f64 v[208:209], vcc, v[204:205], v[206:207], v[204:205]
	v_fma_f64 v[210:211], -v[0:1], v[2:3], 1.0
	v_fmac_f64_e32 v[2:3], v[2:3], v[210:211]
	v_fma_f64 v[210:211], -v[0:1], v[2:3], 1.0
	v_fmac_f64_e32 v[2:3], v[2:3], v[210:211]
	v_mul_f64 v[210:211], v[208:209], v[2:3]
	v_fma_f64 v[0:1], -v[0:1], v[210:211], v[208:209]
	v_div_fmas_f64 v[0:1], v[0:1], v[2:3], v[210:211]
	v_div_fixup_f64 v[0:1], v[0:1], v[206:207], v[204:205]
	v_fmac_f64_e32 v[206:207], v[204:205], v[0:1]
	v_div_scale_f64 v[2:3], s[10:11], v[206:207], v[206:207], 1.0
	v_rcp_f64_e32 v[204:205], v[2:3]
	s_nop 0
	v_fma_f64 v[208:209], -v[2:3], v[204:205], 1.0
	v_fmac_f64_e32 v[204:205], v[204:205], v[208:209]
	v_fma_f64 v[208:209], -v[2:3], v[204:205], 1.0
	v_fmac_f64_e32 v[204:205], v[204:205], v[208:209]
	v_div_scale_f64 v[208:209], vcc, 1.0, v[206:207], 1.0
	v_mul_f64 v[210:211], v[208:209], v[204:205]
	v_fma_f64 v[2:3], -v[2:3], v[210:211], v[208:209]
	s_nop 1
	v_div_fmas_f64 v[2:3], v[2:3], v[204:205], v[210:211]
	v_div_fixup_f64 v[210:211], v[2:3], v[206:207], 1.0
	v_mul_f64 v[208:209], v[0:1], v[210:211]
	v_xor_b32_e32 v211, 0x80000000, v211
                                        ; implicit-def: $vgpr204_vgpr205
.LBB123_571:
	s_andn2_saveexec_b64 s[2:3], s[2:3]
	s_cbranch_execz .LBB123_573
; %bb.572:
	v_div_scale_f64 v[0:1], s[10:11], v[204:205], v[204:205], v[206:207]
	v_rcp_f64_e32 v[2:3], v[0:1]
	v_div_scale_f64 v[208:209], vcc, v[206:207], v[204:205], v[206:207]
	v_fma_f64 v[210:211], -v[0:1], v[2:3], 1.0
	v_fmac_f64_e32 v[2:3], v[2:3], v[210:211]
	v_fma_f64 v[210:211], -v[0:1], v[2:3], 1.0
	v_fmac_f64_e32 v[2:3], v[2:3], v[210:211]
	v_mul_f64 v[210:211], v[208:209], v[2:3]
	v_fma_f64 v[0:1], -v[0:1], v[210:211], v[208:209]
	v_div_fmas_f64 v[0:1], v[0:1], v[2:3], v[210:211]
	v_div_fixup_f64 v[0:1], v[0:1], v[204:205], v[206:207]
	v_fmac_f64_e32 v[204:205], v[206:207], v[0:1]
	v_div_scale_f64 v[2:3], s[10:11], v[204:205], v[204:205], 1.0
	v_rcp_f64_e32 v[206:207], v[2:3]
	s_nop 0
	v_fma_f64 v[208:209], -v[2:3], v[206:207], 1.0
	v_fmac_f64_e32 v[206:207], v[206:207], v[208:209]
	v_fma_f64 v[208:209], -v[2:3], v[206:207], 1.0
	v_fmac_f64_e32 v[206:207], v[206:207], v[208:209]
	v_div_scale_f64 v[208:209], vcc, 1.0, v[204:205], 1.0
	v_mul_f64 v[210:211], v[208:209], v[206:207]
	v_fma_f64 v[2:3], -v[2:3], v[210:211], v[208:209]
	s_nop 1
	v_div_fmas_f64 v[2:3], v[2:3], v[206:207], v[210:211]
	v_div_fixup_f64 v[208:209], v[2:3], v[204:205], 1.0
	v_mul_f64 v[210:211], v[0:1], -v[208:209]
.LBB123_573:
	s_or_b64 exec, exec, s[2:3]
	ds_write2_b64 v249, v[208:209], v[210:211] offset1:1
.LBB123_574:
	s_or_b64 exec, exec, s[4:5]
	s_waitcnt lgkmcnt(0)
	s_barrier
	ds_read2_b64 v[204:207], v249 offset1:1
	v_cmp_lt_u32_e32 vcc, 51, v248
	s_and_saveexec_b64 s[2:3], vcc
	s_cbranch_execz .LBB123_576
; %bb.575:
	scratch_load_dwordx4 v[208:211], off, off offset:816
	ds_read2_b64 v[216:219], v250 offset0:122 offset1:123
	s_waitcnt vmcnt(0) lgkmcnt(1)
	v_mul_f64 v[0:1], v[206:207], v[210:211]
	v_mul_f64 v[214:215], v[204:205], v[210:211]
	v_fma_f64 v[212:213], v[204:205], v[208:209], -v[0:1]
	v_fmac_f64_e32 v[214:215], v[206:207], v[208:209]
	ds_read2_b64 v[208:211], v250 offset0:104 offset1:105
	scratch_store_dwordx4 off, v[212:215], off offset:816
	s_waitcnt lgkmcnt(0)
	v_mul_f64 v[0:1], v[210:211], v[214:215]
	v_mul_f64 v[2:3], v[208:209], v[214:215]
	v_fma_f64 v[0:1], v[208:209], v[212:213], -v[0:1]
	v_fmac_f64_e32 v[2:3], v[210:211], v[212:213]
	scratch_load_dwordx4 v[208:211], off, off offset:832
	s_waitcnt vmcnt(0)
	v_add_f64 v[208:209], v[208:209], -v[0:1]
	v_add_f64 v[210:211], v[210:211], -v[2:3]
	scratch_store_dwordx4 off, v[208:211], off offset:832
	ds_read2_b64 v[208:211], v250 offset0:106 offset1:107
	s_waitcnt lgkmcnt(0)
	v_mul_f64 v[0:1], v[210:211], v[214:215]
	v_mul_f64 v[2:3], v[208:209], v[214:215]
	v_fma_f64 v[0:1], v[208:209], v[212:213], -v[0:1]
	v_fmac_f64_e32 v[2:3], v[210:211], v[212:213]
	scratch_load_dwordx4 v[208:211], off, off offset:848
	s_waitcnt vmcnt(0)
	v_add_f64 v[208:209], v[208:209], -v[0:1]
	v_add_f64 v[210:211], v[210:211], -v[2:3]
	scratch_store_dwordx4 off, v[208:211], off offset:848
	ds_read2_b64 v[208:211], v250 offset0:108 offset1:109
	;; [unrolled: 11-line block ×5, first 2 shown]
	s_waitcnt lgkmcnt(0)
	v_mul_f64 v[0:1], v[210:211], v[214:215]
	v_mul_f64 v[2:3], v[208:209], v[214:215]
	v_fma_f64 v[0:1], v[208:209], v[212:213], -v[0:1]
	v_fmac_f64_e32 v[2:3], v[210:211], v[212:213]
	scratch_load_dwordx4 v[208:211], off, off offset:912
	scratch_load_dwordx4 v[212:215], off, off offset:816
	s_waitcnt vmcnt(1)
	v_add_f64 v[208:209], v[208:209], -v[0:1]
	v_add_f64 v[210:211], v[210:211], -v[2:3]
	scratch_store_dwordx4 off, v[208:211], off offset:912
	ds_read2_b64 v[208:211], v250 offset0:116 offset1:117
	s_waitcnt vmcnt(1) lgkmcnt(0)
	v_mul_f64 v[0:1], v[210:211], v[214:215]
	v_mul_f64 v[2:3], v[208:209], v[214:215]
	v_fma_f64 v[0:1], v[208:209], v[212:213], -v[0:1]
	v_fmac_f64_e32 v[2:3], v[210:211], v[212:213]
	scratch_load_dwordx4 v[208:211], off, off offset:928
	s_waitcnt vmcnt(0)
	v_add_f64 v[208:209], v[208:209], -v[0:1]
	v_add_f64 v[210:211], v[210:211], -v[2:3]
	scratch_store_dwordx4 off, v[208:211], off offset:928
	ds_read2_b64 v[208:211], v250 offset0:118 offset1:119
	s_waitcnt lgkmcnt(0)
	v_mul_f64 v[0:1], v[210:211], v[214:215]
	v_mul_f64 v[2:3], v[208:209], v[214:215]
	v_fma_f64 v[0:1], v[208:209], v[212:213], -v[0:1]
	v_fmac_f64_e32 v[2:3], v[210:211], v[212:213]
	scratch_load_dwordx4 v[208:211], off, off offset:944
	s_waitcnt vmcnt(0)
	v_add_f64 v[208:209], v[208:209], -v[0:1]
	v_add_f64 v[210:211], v[210:211], -v[2:3]
	scratch_store_dwordx4 off, v[208:211], off offset:944
	ds_read2_b64 v[208:211], v250 offset0:120 offset1:121
	s_waitcnt lgkmcnt(0)
	v_mul_f64 v[0:1], v[210:211], v[214:215]
	v_mul_f64 v[2:3], v[208:209], v[214:215]
	v_fma_f64 v[0:1], v[208:209], v[212:213], -v[0:1]
	v_fmac_f64_e32 v[2:3], v[210:211], v[212:213]
	scratch_load_dwordx4 v[208:211], off, off offset:960
	s_waitcnt vmcnt(0)
	v_add_f64 v[208:209], v[208:209], -v[0:1]
	v_add_f64 v[210:211], v[210:211], -v[2:3]
	scratch_store_dwordx4 off, v[208:211], off offset:960
	v_mul_f64 v[0:1], v[218:219], v[214:215]
	s_nop 0
	v_mul_f64 v[210:211], v[216:217], v[214:215]
	v_fma_f64 v[208:209], v[216:217], v[212:213], -v[0:1]
	v_fmac_f64_e32 v[210:211], v[218:219], v[212:213]
	scratch_load_dwordx4 v[212:215], off, off offset:976
	s_waitcnt vmcnt(0)
	v_add_f64 v[208:209], v[212:213], -v[208:209]
	v_add_f64 v[210:211], v[214:215], -v[210:211]
	scratch_store_dwordx4 off, v[208:211], off offset:976
.LBB123_576:
	s_or_b64 exec, exec, s[2:3]
	v_cmp_eq_u32_e32 vcc, 52, v248
	s_waitcnt lgkmcnt(0)
	s_barrier
	s_and_saveexec_b64 s[4:5], vcc
	s_cbranch_execz .LBB123_583
; %bb.577:
	scratch_load_dwordx4 v[208:211], off, s20
	s_waitcnt vmcnt(0)
	ds_write2_b64 v249, v[208:209], v[210:211] offset1:1
	scratch_load_dwordx4 v[208:211], off, s17
	s_waitcnt vmcnt(0)
	ds_write2_b64 v250, v[208:209], v[210:211] offset0:106 offset1:107
	scratch_load_dwordx4 v[208:211], off, s18
	s_waitcnt vmcnt(0)
	ds_write2_b64 v250, v[208:209], v[210:211] offset0:108 offset1:109
	;; [unrolled: 3-line block ×9, first 2 shown]
	ds_read2_b64 v[208:211], v249 offset1:1
	s_waitcnt lgkmcnt(0)
	v_cmp_neq_f64_e32 vcc, 0, v[208:209]
	v_cmp_neq_f64_e64 s[2:3], 0, v[210:211]
	s_or_b64 s[2:3], vcc, s[2:3]
	s_and_b64 exec, exec, s[2:3]
	s_cbranch_execz .LBB123_583
; %bb.578:
	v_cmp_ngt_f64_e64 s[2:3], |v[208:209]|, |v[210:211]|
                                        ; implicit-def: $vgpr212_vgpr213
	s_and_saveexec_b64 s[10:11], s[2:3]
	s_xor_b64 s[2:3], exec, s[10:11]
                                        ; implicit-def: $vgpr214_vgpr215
	s_cbranch_execz .LBB123_580
; %bb.579:
	v_div_scale_f64 v[0:1], s[10:11], v[210:211], v[210:211], v[208:209]
	v_rcp_f64_e32 v[2:3], v[0:1]
	v_div_scale_f64 v[212:213], vcc, v[208:209], v[210:211], v[208:209]
	v_fma_f64 v[214:215], -v[0:1], v[2:3], 1.0
	v_fmac_f64_e32 v[2:3], v[2:3], v[214:215]
	v_fma_f64 v[214:215], -v[0:1], v[2:3], 1.0
	v_fmac_f64_e32 v[2:3], v[2:3], v[214:215]
	v_mul_f64 v[214:215], v[212:213], v[2:3]
	v_fma_f64 v[0:1], -v[0:1], v[214:215], v[212:213]
	v_div_fmas_f64 v[0:1], v[0:1], v[2:3], v[214:215]
	v_div_fixup_f64 v[0:1], v[0:1], v[210:211], v[208:209]
	v_fmac_f64_e32 v[210:211], v[208:209], v[0:1]
	v_div_scale_f64 v[2:3], s[10:11], v[210:211], v[210:211], 1.0
	v_rcp_f64_e32 v[208:209], v[2:3]
	s_nop 0
	v_fma_f64 v[212:213], -v[2:3], v[208:209], 1.0
	v_fmac_f64_e32 v[208:209], v[208:209], v[212:213]
	v_fma_f64 v[212:213], -v[2:3], v[208:209], 1.0
	v_fmac_f64_e32 v[208:209], v[208:209], v[212:213]
	v_div_scale_f64 v[212:213], vcc, 1.0, v[210:211], 1.0
	v_mul_f64 v[214:215], v[212:213], v[208:209]
	v_fma_f64 v[2:3], -v[2:3], v[214:215], v[212:213]
	s_nop 1
	v_div_fmas_f64 v[2:3], v[2:3], v[208:209], v[214:215]
	v_div_fixup_f64 v[214:215], v[2:3], v[210:211], 1.0
	v_mul_f64 v[212:213], v[0:1], v[214:215]
	v_xor_b32_e32 v215, 0x80000000, v215
                                        ; implicit-def: $vgpr208_vgpr209
.LBB123_580:
	s_andn2_saveexec_b64 s[2:3], s[2:3]
	s_cbranch_execz .LBB123_582
; %bb.581:
	v_div_scale_f64 v[0:1], s[10:11], v[208:209], v[208:209], v[210:211]
	v_rcp_f64_e32 v[2:3], v[0:1]
	v_div_scale_f64 v[212:213], vcc, v[210:211], v[208:209], v[210:211]
	v_fma_f64 v[214:215], -v[0:1], v[2:3], 1.0
	v_fmac_f64_e32 v[2:3], v[2:3], v[214:215]
	v_fma_f64 v[214:215], -v[0:1], v[2:3], 1.0
	v_fmac_f64_e32 v[2:3], v[2:3], v[214:215]
	v_mul_f64 v[214:215], v[212:213], v[2:3]
	v_fma_f64 v[0:1], -v[0:1], v[214:215], v[212:213]
	v_div_fmas_f64 v[0:1], v[0:1], v[2:3], v[214:215]
	v_div_fixup_f64 v[0:1], v[0:1], v[208:209], v[210:211]
	v_fmac_f64_e32 v[208:209], v[210:211], v[0:1]
	v_div_scale_f64 v[2:3], s[10:11], v[208:209], v[208:209], 1.0
	v_rcp_f64_e32 v[210:211], v[2:3]
	s_nop 0
	v_fma_f64 v[212:213], -v[2:3], v[210:211], 1.0
	v_fmac_f64_e32 v[210:211], v[210:211], v[212:213]
	v_fma_f64 v[212:213], -v[2:3], v[210:211], 1.0
	v_fmac_f64_e32 v[210:211], v[210:211], v[212:213]
	v_div_scale_f64 v[212:213], vcc, 1.0, v[208:209], 1.0
	v_mul_f64 v[214:215], v[212:213], v[210:211]
	v_fma_f64 v[2:3], -v[2:3], v[214:215], v[212:213]
	s_nop 1
	v_div_fmas_f64 v[2:3], v[2:3], v[210:211], v[214:215]
	v_div_fixup_f64 v[212:213], v[2:3], v[208:209], 1.0
	v_mul_f64 v[214:215], v[0:1], -v[212:213]
.LBB123_582:
	s_or_b64 exec, exec, s[2:3]
	ds_write2_b64 v249, v[212:213], v[214:215] offset1:1
.LBB123_583:
	s_or_b64 exec, exec, s[4:5]
	s_waitcnt lgkmcnt(0)
	s_barrier
	ds_read2_b64 v[208:211], v249 offset1:1
	v_cmp_lt_u32_e32 vcc, 52, v248
	s_and_saveexec_b64 s[2:3], vcc
	s_cbranch_execz .LBB123_585
; %bb.584:
	scratch_load_dwordx4 v[212:215], off, off offset:832
	s_waitcnt vmcnt(0) lgkmcnt(0)
	v_mul_f64 v[0:1], v[210:211], v[214:215]
	v_mul_f64 v[218:219], v[208:209], v[214:215]
	v_fma_f64 v[216:217], v[208:209], v[212:213], -v[0:1]
	v_fmac_f64_e32 v[218:219], v[210:211], v[212:213]
	ds_read2_b64 v[212:215], v250 offset0:106 offset1:107
	scratch_store_dwordx4 off, v[216:219], off offset:832
	s_waitcnt lgkmcnt(0)
	v_mul_f64 v[0:1], v[214:215], v[218:219]
	v_mul_f64 v[2:3], v[212:213], v[218:219]
	v_fma_f64 v[0:1], v[212:213], v[216:217], -v[0:1]
	v_fmac_f64_e32 v[2:3], v[214:215], v[216:217]
	scratch_load_dwordx4 v[212:215], off, off offset:848
	s_waitcnt vmcnt(0)
	v_add_f64 v[212:213], v[212:213], -v[0:1]
	v_add_f64 v[214:215], v[214:215], -v[2:3]
	scratch_store_dwordx4 off, v[212:215], off offset:848
	ds_read2_b64 v[212:215], v250 offset0:108 offset1:109
	s_waitcnt lgkmcnt(0)
	v_mul_f64 v[0:1], v[214:215], v[218:219]
	v_mul_f64 v[2:3], v[212:213], v[218:219]
	v_fma_f64 v[0:1], v[212:213], v[216:217], -v[0:1]
	v_fmac_f64_e32 v[2:3], v[214:215], v[216:217]
	scratch_load_dwordx4 v[212:215], off, off offset:864
	s_waitcnt vmcnt(0)
	v_add_f64 v[212:213], v[212:213], -v[0:1]
	v_add_f64 v[214:215], v[214:215], -v[2:3]
	scratch_store_dwordx4 off, v[212:215], off offset:864
	ds_read2_b64 v[212:215], v250 offset0:110 offset1:111
	s_waitcnt lgkmcnt(0)
	v_mul_f64 v[0:1], v[214:215], v[218:219]
	v_mul_f64 v[2:3], v[212:213], v[218:219]
	v_fma_f64 v[0:1], v[212:213], v[216:217], -v[0:1]
	v_fmac_f64_e32 v[2:3], v[214:215], v[216:217]
	scratch_load_dwordx4 v[212:215], off, off offset:880
	s_waitcnt vmcnt(0)
	v_add_f64 v[212:213], v[212:213], -v[0:1]
	v_add_f64 v[214:215], v[214:215], -v[2:3]
	scratch_store_dwordx4 off, v[212:215], off offset:880
	ds_read2_b64 v[212:215], v250 offset0:112 offset1:113
	s_waitcnt lgkmcnt(0)
	v_mul_f64 v[0:1], v[214:215], v[218:219]
	v_mul_f64 v[2:3], v[212:213], v[218:219]
	v_fma_f64 v[0:1], v[212:213], v[216:217], -v[0:1]
	v_fmac_f64_e32 v[2:3], v[214:215], v[216:217]
	scratch_load_dwordx4 v[212:215], off, off offset:896
	s_waitcnt vmcnt(0)
	v_add_f64 v[212:213], v[212:213], -v[0:1]
	v_add_f64 v[214:215], v[214:215], -v[2:3]
	scratch_store_dwordx4 off, v[212:215], off offset:896
	ds_read2_b64 v[212:215], v250 offset0:114 offset1:115
	s_waitcnt lgkmcnt(0)
	v_mul_f64 v[0:1], v[214:215], v[218:219]
	v_mul_f64 v[2:3], v[212:213], v[218:219]
	v_fma_f64 v[0:1], v[212:213], v[216:217], -v[0:1]
	v_fmac_f64_e32 v[2:3], v[214:215], v[216:217]
	scratch_load_dwordx4 v[212:215], off, off offset:912
	s_waitcnt vmcnt(0)
	v_add_f64 v[212:213], v[212:213], -v[0:1]
	v_add_f64 v[214:215], v[214:215], -v[2:3]
	scratch_store_dwordx4 off, v[212:215], off offset:912
	ds_read2_b64 v[212:215], v250 offset0:116 offset1:117
	s_waitcnt lgkmcnt(0)
	v_mul_f64 v[0:1], v[214:215], v[218:219]
	v_mul_f64 v[2:3], v[212:213], v[218:219]
	v_fma_f64 v[0:1], v[212:213], v[216:217], -v[0:1]
	v_fmac_f64_e32 v[2:3], v[214:215], v[216:217]
	scratch_load_dwordx4 v[212:215], off, off offset:928
	scratch_load_dwordx4 v[216:219], off, off offset:832
	s_waitcnt vmcnt(1)
	v_add_f64 v[212:213], v[212:213], -v[0:1]
	v_add_f64 v[214:215], v[214:215], -v[2:3]
	scratch_store_dwordx4 off, v[212:215], off offset:928
	ds_read2_b64 v[212:215], v250 offset0:118 offset1:119
	s_waitcnt vmcnt(1) lgkmcnt(0)
	v_mul_f64 v[0:1], v[214:215], v[218:219]
	v_mul_f64 v[2:3], v[212:213], v[218:219]
	v_fma_f64 v[0:1], v[212:213], v[216:217], -v[0:1]
	v_fmac_f64_e32 v[2:3], v[214:215], v[216:217]
	scratch_load_dwordx4 v[212:215], off, off offset:944
	s_waitcnt vmcnt(0)
	v_add_f64 v[212:213], v[212:213], -v[0:1]
	v_add_f64 v[214:215], v[214:215], -v[2:3]
	scratch_store_dwordx4 off, v[212:215], off offset:944
	ds_read2_b64 v[212:215], v250 offset0:120 offset1:121
	s_waitcnt lgkmcnt(0)
	v_mul_f64 v[0:1], v[214:215], v[218:219]
	v_mul_f64 v[2:3], v[212:213], v[218:219]
	v_fma_f64 v[0:1], v[212:213], v[216:217], -v[0:1]
	v_fmac_f64_e32 v[2:3], v[214:215], v[216:217]
	scratch_load_dwordx4 v[212:215], off, off offset:960
	s_waitcnt vmcnt(0)
	v_add_f64 v[212:213], v[212:213], -v[0:1]
	v_add_f64 v[214:215], v[214:215], -v[2:3]
	scratch_store_dwordx4 off, v[212:215], off offset:960
	ds_read2_b64 v[212:215], v250 offset0:122 offset1:123
	s_waitcnt lgkmcnt(0)
	v_mul_f64 v[0:1], v[214:215], v[218:219]
	v_mul_f64 v[2:3], v[212:213], v[218:219]
	v_fma_f64 v[0:1], v[212:213], v[216:217], -v[0:1]
	v_fmac_f64_e32 v[2:3], v[214:215], v[216:217]
	scratch_load_dwordx4 v[212:215], off, off offset:976
	s_waitcnt vmcnt(0)
	v_add_f64 v[212:213], v[212:213], -v[0:1]
	v_add_f64 v[214:215], v[214:215], -v[2:3]
	scratch_store_dwordx4 off, v[212:215], off offset:976
.LBB123_585:
	s_or_b64 exec, exec, s[2:3]
	v_cmp_eq_u32_e32 vcc, 53, v248
	s_waitcnt lgkmcnt(0)
	s_barrier
	s_and_saveexec_b64 s[4:5], vcc
	s_cbranch_execz .LBB123_592
; %bb.586:
	scratch_load_dwordx4 v[212:215], off, s17
	s_waitcnt vmcnt(0)
	ds_write2_b64 v249, v[212:213], v[214:215] offset1:1
	scratch_load_dwordx4 v[212:215], off, s18
	s_waitcnt vmcnt(0)
	ds_write2_b64 v250, v[212:213], v[214:215] offset0:108 offset1:109
	scratch_load_dwordx4 v[212:215], off, s15
	s_waitcnt vmcnt(0)
	ds_write2_b64 v250, v[212:213], v[214:215] offset0:110 offset1:111
	;; [unrolled: 3-line block ×8, first 2 shown]
	ds_read2_b64 v[212:215], v249 offset1:1
	s_waitcnt lgkmcnt(0)
	v_cmp_neq_f64_e32 vcc, 0, v[212:213]
	v_cmp_neq_f64_e64 s[2:3], 0, v[214:215]
	s_or_b64 s[2:3], vcc, s[2:3]
	s_and_b64 exec, exec, s[2:3]
	s_cbranch_execz .LBB123_592
; %bb.587:
	v_cmp_ngt_f64_e64 s[2:3], |v[212:213]|, |v[214:215]|
                                        ; implicit-def: $vgpr216_vgpr217
	s_and_saveexec_b64 s[10:11], s[2:3]
	s_xor_b64 s[2:3], exec, s[10:11]
                                        ; implicit-def: $vgpr218_vgpr219
	s_cbranch_execz .LBB123_589
; %bb.588:
	v_div_scale_f64 v[0:1], s[10:11], v[214:215], v[214:215], v[212:213]
	v_rcp_f64_e32 v[2:3], v[0:1]
	v_div_scale_f64 v[216:217], vcc, v[212:213], v[214:215], v[212:213]
	v_fma_f64 v[218:219], -v[0:1], v[2:3], 1.0
	v_fmac_f64_e32 v[2:3], v[2:3], v[218:219]
	v_fma_f64 v[218:219], -v[0:1], v[2:3], 1.0
	v_fmac_f64_e32 v[2:3], v[2:3], v[218:219]
	v_mul_f64 v[218:219], v[216:217], v[2:3]
	v_fma_f64 v[0:1], -v[0:1], v[218:219], v[216:217]
	v_div_fmas_f64 v[0:1], v[0:1], v[2:3], v[218:219]
	v_div_fixup_f64 v[0:1], v[0:1], v[214:215], v[212:213]
	v_fmac_f64_e32 v[214:215], v[212:213], v[0:1]
	v_div_scale_f64 v[2:3], s[10:11], v[214:215], v[214:215], 1.0
	v_rcp_f64_e32 v[212:213], v[2:3]
	s_nop 0
	v_fma_f64 v[216:217], -v[2:3], v[212:213], 1.0
	v_fmac_f64_e32 v[212:213], v[212:213], v[216:217]
	v_fma_f64 v[216:217], -v[2:3], v[212:213], 1.0
	v_fmac_f64_e32 v[212:213], v[212:213], v[216:217]
	v_div_scale_f64 v[216:217], vcc, 1.0, v[214:215], 1.0
	v_mul_f64 v[218:219], v[216:217], v[212:213]
	v_fma_f64 v[2:3], -v[2:3], v[218:219], v[216:217]
	s_nop 1
	v_div_fmas_f64 v[2:3], v[2:3], v[212:213], v[218:219]
	v_div_fixup_f64 v[218:219], v[2:3], v[214:215], 1.0
	v_mul_f64 v[216:217], v[0:1], v[218:219]
	v_xor_b32_e32 v219, 0x80000000, v219
                                        ; implicit-def: $vgpr212_vgpr213
.LBB123_589:
	s_andn2_saveexec_b64 s[2:3], s[2:3]
	s_cbranch_execz .LBB123_591
; %bb.590:
	v_div_scale_f64 v[0:1], s[10:11], v[212:213], v[212:213], v[214:215]
	v_rcp_f64_e32 v[2:3], v[0:1]
	v_div_scale_f64 v[216:217], vcc, v[214:215], v[212:213], v[214:215]
	v_fma_f64 v[218:219], -v[0:1], v[2:3], 1.0
	v_fmac_f64_e32 v[2:3], v[2:3], v[218:219]
	v_fma_f64 v[218:219], -v[0:1], v[2:3], 1.0
	v_fmac_f64_e32 v[2:3], v[2:3], v[218:219]
	v_mul_f64 v[218:219], v[216:217], v[2:3]
	v_fma_f64 v[0:1], -v[0:1], v[218:219], v[216:217]
	v_div_fmas_f64 v[0:1], v[0:1], v[2:3], v[218:219]
	v_div_fixup_f64 v[0:1], v[0:1], v[212:213], v[214:215]
	v_fmac_f64_e32 v[212:213], v[214:215], v[0:1]
	v_div_scale_f64 v[2:3], s[10:11], v[212:213], v[212:213], 1.0
	v_rcp_f64_e32 v[214:215], v[2:3]
	s_nop 0
	v_fma_f64 v[216:217], -v[2:3], v[214:215], 1.0
	v_fmac_f64_e32 v[214:215], v[214:215], v[216:217]
	v_fma_f64 v[216:217], -v[2:3], v[214:215], 1.0
	v_fmac_f64_e32 v[214:215], v[214:215], v[216:217]
	v_div_scale_f64 v[216:217], vcc, 1.0, v[212:213], 1.0
	v_mul_f64 v[218:219], v[216:217], v[214:215]
	v_fma_f64 v[2:3], -v[2:3], v[218:219], v[216:217]
	s_nop 1
	v_div_fmas_f64 v[2:3], v[2:3], v[214:215], v[218:219]
	v_div_fixup_f64 v[216:217], v[2:3], v[212:213], 1.0
	v_mul_f64 v[218:219], v[0:1], -v[216:217]
.LBB123_591:
	s_or_b64 exec, exec, s[2:3]
	ds_write2_b64 v249, v[216:217], v[218:219] offset1:1
.LBB123_592:
	s_or_b64 exec, exec, s[4:5]
	s_waitcnt lgkmcnt(0)
	s_barrier
	ds_read2_b64 v[212:215], v249 offset1:1
	v_cmp_lt_u32_e32 vcc, 53, v248
	s_and_saveexec_b64 s[2:3], vcc
	s_cbranch_execz .LBB123_594
; %bb.593:
	scratch_load_dwordx4 v[216:219], off, off offset:848
	s_waitcnt vmcnt(0) lgkmcnt(0)
	v_mul_f64 v[0:1], v[214:215], v[218:219]
	v_mul_f64 v[222:223], v[212:213], v[218:219]
	v_fma_f64 v[220:221], v[212:213], v[216:217], -v[0:1]
	v_fmac_f64_e32 v[222:223], v[214:215], v[216:217]
	ds_read2_b64 v[216:219], v250 offset0:108 offset1:109
	scratch_store_dwordx4 off, v[220:223], off offset:848
	s_waitcnt lgkmcnt(0)
	v_mul_f64 v[0:1], v[218:219], v[222:223]
	v_mul_f64 v[2:3], v[216:217], v[222:223]
	v_fma_f64 v[0:1], v[216:217], v[220:221], -v[0:1]
	v_fmac_f64_e32 v[2:3], v[218:219], v[220:221]
	scratch_load_dwordx4 v[216:219], off, off offset:864
	s_waitcnt vmcnt(0)
	v_add_f64 v[216:217], v[216:217], -v[0:1]
	v_add_f64 v[218:219], v[218:219], -v[2:3]
	scratch_store_dwordx4 off, v[216:219], off offset:864
	ds_read2_b64 v[216:219], v250 offset0:110 offset1:111
	s_waitcnt lgkmcnt(0)
	v_mul_f64 v[0:1], v[218:219], v[222:223]
	v_mul_f64 v[2:3], v[216:217], v[222:223]
	v_fma_f64 v[0:1], v[216:217], v[220:221], -v[0:1]
	v_fmac_f64_e32 v[2:3], v[218:219], v[220:221]
	scratch_load_dwordx4 v[216:219], off, off offset:880
	s_waitcnt vmcnt(0)
	v_add_f64 v[216:217], v[216:217], -v[0:1]
	v_add_f64 v[218:219], v[218:219], -v[2:3]
	scratch_store_dwordx4 off, v[216:219], off offset:880
	ds_read2_b64 v[216:219], v250 offset0:112 offset1:113
	;; [unrolled: 11-line block ×5, first 2 shown]
	s_waitcnt lgkmcnt(0)
	v_mul_f64 v[0:1], v[218:219], v[222:223]
	v_mul_f64 v[2:3], v[216:217], v[222:223]
	v_fma_f64 v[0:1], v[216:217], v[220:221], -v[0:1]
	v_fmac_f64_e32 v[2:3], v[218:219], v[220:221]
	scratch_load_dwordx4 v[216:219], off, off offset:944
	scratch_load_dwordx4 v[220:223], off, off offset:848
	s_waitcnt vmcnt(1)
	v_add_f64 v[216:217], v[216:217], -v[0:1]
	v_add_f64 v[218:219], v[218:219], -v[2:3]
	scratch_store_dwordx4 off, v[216:219], off offset:944
	ds_read2_b64 v[216:219], v250 offset0:120 offset1:121
	s_waitcnt vmcnt(1) lgkmcnt(0)
	v_mul_f64 v[0:1], v[218:219], v[222:223]
	v_mul_f64 v[2:3], v[216:217], v[222:223]
	v_fma_f64 v[0:1], v[216:217], v[220:221], -v[0:1]
	v_fmac_f64_e32 v[2:3], v[218:219], v[220:221]
	scratch_load_dwordx4 v[216:219], off, off offset:960
	s_waitcnt vmcnt(0)
	v_add_f64 v[216:217], v[216:217], -v[0:1]
	v_add_f64 v[218:219], v[218:219], -v[2:3]
	scratch_store_dwordx4 off, v[216:219], off offset:960
	ds_read2_b64 v[216:219], v250 offset0:122 offset1:123
	s_waitcnt lgkmcnt(0)
	v_mul_f64 v[0:1], v[218:219], v[222:223]
	v_mul_f64 v[2:3], v[216:217], v[222:223]
	v_fma_f64 v[0:1], v[216:217], v[220:221], -v[0:1]
	v_fmac_f64_e32 v[2:3], v[218:219], v[220:221]
	scratch_load_dwordx4 v[216:219], off, off offset:976
	s_waitcnt vmcnt(0)
	v_add_f64 v[216:217], v[216:217], -v[0:1]
	v_add_f64 v[218:219], v[218:219], -v[2:3]
	scratch_store_dwordx4 off, v[216:219], off offset:976
.LBB123_594:
	s_or_b64 exec, exec, s[2:3]
	v_cmp_eq_u32_e32 vcc, 54, v248
	s_waitcnt lgkmcnt(0)
	s_barrier
	s_and_saveexec_b64 s[4:5], vcc
	s_cbranch_execz .LBB123_601
; %bb.595:
	scratch_load_dwordx4 v[216:219], off, s18
	s_waitcnt vmcnt(0)
	ds_write2_b64 v249, v[216:217], v[218:219] offset1:1
	scratch_load_dwordx4 v[216:219], off, s15
	s_waitcnt vmcnt(0)
	ds_write2_b64 v250, v[216:217], v[218:219] offset0:110 offset1:111
	scratch_load_dwordx4 v[216:219], off, s16
	s_waitcnt vmcnt(0)
	ds_write2_b64 v250, v[216:217], v[218:219] offset0:112 offset1:113
	;; [unrolled: 3-line block ×7, first 2 shown]
	ds_read2_b64 v[216:219], v249 offset1:1
	s_waitcnt lgkmcnt(0)
	v_cmp_neq_f64_e32 vcc, 0, v[216:217]
	v_cmp_neq_f64_e64 s[2:3], 0, v[218:219]
	s_or_b64 s[2:3], vcc, s[2:3]
	s_and_b64 exec, exec, s[2:3]
	s_cbranch_execz .LBB123_601
; %bb.596:
	v_cmp_ngt_f64_e64 s[2:3], |v[216:217]|, |v[218:219]|
                                        ; implicit-def: $vgpr220_vgpr221
	s_and_saveexec_b64 s[10:11], s[2:3]
	s_xor_b64 s[2:3], exec, s[10:11]
                                        ; implicit-def: $vgpr222_vgpr223
	s_cbranch_execz .LBB123_598
; %bb.597:
	v_div_scale_f64 v[0:1], s[10:11], v[218:219], v[218:219], v[216:217]
	v_rcp_f64_e32 v[2:3], v[0:1]
	v_div_scale_f64 v[220:221], vcc, v[216:217], v[218:219], v[216:217]
	v_fma_f64 v[222:223], -v[0:1], v[2:3], 1.0
	v_fmac_f64_e32 v[2:3], v[2:3], v[222:223]
	v_fma_f64 v[222:223], -v[0:1], v[2:3], 1.0
	v_fmac_f64_e32 v[2:3], v[2:3], v[222:223]
	v_mul_f64 v[222:223], v[220:221], v[2:3]
	v_fma_f64 v[0:1], -v[0:1], v[222:223], v[220:221]
	v_div_fmas_f64 v[0:1], v[0:1], v[2:3], v[222:223]
	v_div_fixup_f64 v[0:1], v[0:1], v[218:219], v[216:217]
	v_fmac_f64_e32 v[218:219], v[216:217], v[0:1]
	v_div_scale_f64 v[2:3], s[10:11], v[218:219], v[218:219], 1.0
	v_rcp_f64_e32 v[216:217], v[2:3]
	s_nop 0
	v_fma_f64 v[220:221], -v[2:3], v[216:217], 1.0
	v_fmac_f64_e32 v[216:217], v[216:217], v[220:221]
	v_fma_f64 v[220:221], -v[2:3], v[216:217], 1.0
	v_fmac_f64_e32 v[216:217], v[216:217], v[220:221]
	v_div_scale_f64 v[220:221], vcc, 1.0, v[218:219], 1.0
	v_mul_f64 v[222:223], v[220:221], v[216:217]
	v_fma_f64 v[2:3], -v[2:3], v[222:223], v[220:221]
	s_nop 1
	v_div_fmas_f64 v[2:3], v[2:3], v[216:217], v[222:223]
	v_div_fixup_f64 v[222:223], v[2:3], v[218:219], 1.0
	v_mul_f64 v[220:221], v[0:1], v[222:223]
	v_xor_b32_e32 v223, 0x80000000, v223
                                        ; implicit-def: $vgpr216_vgpr217
.LBB123_598:
	s_andn2_saveexec_b64 s[2:3], s[2:3]
	s_cbranch_execz .LBB123_600
; %bb.599:
	v_div_scale_f64 v[0:1], s[10:11], v[216:217], v[216:217], v[218:219]
	v_rcp_f64_e32 v[2:3], v[0:1]
	v_div_scale_f64 v[220:221], vcc, v[218:219], v[216:217], v[218:219]
	v_fma_f64 v[222:223], -v[0:1], v[2:3], 1.0
	v_fmac_f64_e32 v[2:3], v[2:3], v[222:223]
	v_fma_f64 v[222:223], -v[0:1], v[2:3], 1.0
	v_fmac_f64_e32 v[2:3], v[2:3], v[222:223]
	v_mul_f64 v[222:223], v[220:221], v[2:3]
	v_fma_f64 v[0:1], -v[0:1], v[222:223], v[220:221]
	v_div_fmas_f64 v[0:1], v[0:1], v[2:3], v[222:223]
	v_div_fixup_f64 v[0:1], v[0:1], v[216:217], v[218:219]
	v_fmac_f64_e32 v[216:217], v[218:219], v[0:1]
	v_div_scale_f64 v[2:3], s[10:11], v[216:217], v[216:217], 1.0
	v_rcp_f64_e32 v[218:219], v[2:3]
	s_nop 0
	v_fma_f64 v[220:221], -v[2:3], v[218:219], 1.0
	v_fmac_f64_e32 v[218:219], v[218:219], v[220:221]
	v_fma_f64 v[220:221], -v[2:3], v[218:219], 1.0
	v_fmac_f64_e32 v[218:219], v[218:219], v[220:221]
	v_div_scale_f64 v[220:221], vcc, 1.0, v[216:217], 1.0
	v_mul_f64 v[222:223], v[220:221], v[218:219]
	v_fma_f64 v[2:3], -v[2:3], v[222:223], v[220:221]
	s_nop 1
	v_div_fmas_f64 v[2:3], v[2:3], v[218:219], v[222:223]
	v_div_fixup_f64 v[220:221], v[2:3], v[216:217], 1.0
	v_mul_f64 v[222:223], v[0:1], -v[220:221]
.LBB123_600:
	s_or_b64 exec, exec, s[2:3]
	ds_write2_b64 v249, v[220:221], v[222:223] offset1:1
.LBB123_601:
	s_or_b64 exec, exec, s[4:5]
	s_waitcnt lgkmcnt(0)
	s_barrier
	ds_read2_b64 v[216:219], v249 offset1:1
	v_cmp_lt_u32_e32 vcc, 54, v248
	s_and_saveexec_b64 s[2:3], vcc
	s_cbranch_execz .LBB123_603
; %bb.602:
	scratch_load_dwordx4 v[220:223], off, off offset:864
	s_waitcnt vmcnt(0) lgkmcnt(0)
	v_mul_f64 v[0:1], v[218:219], v[222:223]
	v_mul_f64 v[226:227], v[216:217], v[222:223]
	v_fma_f64 v[224:225], v[216:217], v[220:221], -v[0:1]
	v_fmac_f64_e32 v[226:227], v[218:219], v[220:221]
	ds_read2_b64 v[220:223], v250 offset0:110 offset1:111
	scratch_store_dwordx4 off, v[224:227], off offset:864
	s_waitcnt lgkmcnt(0)
	v_mul_f64 v[0:1], v[222:223], v[226:227]
	v_mul_f64 v[2:3], v[220:221], v[226:227]
	v_fma_f64 v[0:1], v[220:221], v[224:225], -v[0:1]
	v_fmac_f64_e32 v[2:3], v[222:223], v[224:225]
	scratch_load_dwordx4 v[220:223], off, off offset:880
	s_waitcnt vmcnt(0)
	v_add_f64 v[220:221], v[220:221], -v[0:1]
	v_add_f64 v[222:223], v[222:223], -v[2:3]
	scratch_store_dwordx4 off, v[220:223], off offset:880
	ds_read2_b64 v[220:223], v250 offset0:112 offset1:113
	s_waitcnt lgkmcnt(0)
	v_mul_f64 v[0:1], v[222:223], v[226:227]
	v_mul_f64 v[2:3], v[220:221], v[226:227]
	v_fma_f64 v[0:1], v[220:221], v[224:225], -v[0:1]
	v_fmac_f64_e32 v[2:3], v[222:223], v[224:225]
	scratch_load_dwordx4 v[220:223], off, off offset:896
	s_waitcnt vmcnt(0)
	v_add_f64 v[220:221], v[220:221], -v[0:1]
	v_add_f64 v[222:223], v[222:223], -v[2:3]
	scratch_store_dwordx4 off, v[220:223], off offset:896
	ds_read2_b64 v[220:223], v250 offset0:114 offset1:115
	;; [unrolled: 11-line block ×5, first 2 shown]
	s_waitcnt lgkmcnt(0)
	v_mul_f64 v[0:1], v[222:223], v[226:227]
	v_mul_f64 v[2:3], v[220:221], v[226:227]
	v_fma_f64 v[0:1], v[220:221], v[224:225], -v[0:1]
	v_fmac_f64_e32 v[2:3], v[222:223], v[224:225]
	scratch_load_dwordx4 v[220:223], off, off offset:960
	scratch_load_dwordx4 v[224:227], off, off offset:864
	s_waitcnt vmcnt(1)
	v_add_f64 v[220:221], v[220:221], -v[0:1]
	v_add_f64 v[222:223], v[222:223], -v[2:3]
	scratch_store_dwordx4 off, v[220:223], off offset:960
	ds_read2_b64 v[220:223], v250 offset0:122 offset1:123
	s_waitcnt vmcnt(1) lgkmcnt(0)
	v_mul_f64 v[0:1], v[222:223], v[226:227]
	v_mul_f64 v[2:3], v[220:221], v[226:227]
	v_fma_f64 v[0:1], v[220:221], v[224:225], -v[0:1]
	v_fmac_f64_e32 v[2:3], v[222:223], v[224:225]
	scratch_load_dwordx4 v[220:223], off, off offset:976
	s_waitcnt vmcnt(0)
	v_add_f64 v[220:221], v[220:221], -v[0:1]
	v_add_f64 v[222:223], v[222:223], -v[2:3]
	scratch_store_dwordx4 off, v[220:223], off offset:976
.LBB123_603:
	s_or_b64 exec, exec, s[2:3]
	v_cmp_eq_u32_e32 vcc, 55, v248
	s_waitcnt lgkmcnt(0)
	s_barrier
	s_and_saveexec_b64 s[4:5], vcc
	s_cbranch_execz .LBB123_610
; %bb.604:
	scratch_load_dwordx4 v[220:223], off, s15
	s_waitcnt vmcnt(0)
	ds_write2_b64 v249, v[220:221], v[222:223] offset1:1
	scratch_load_dwordx4 v[220:223], off, s16
	s_waitcnt vmcnt(0)
	ds_write2_b64 v250, v[220:221], v[222:223] offset0:112 offset1:113
	scratch_load_dwordx4 v[220:223], off, s13
	s_waitcnt vmcnt(0)
	ds_write2_b64 v250, v[220:221], v[222:223] offset0:114 offset1:115
	;; [unrolled: 3-line block ×6, first 2 shown]
	ds_read2_b64 v[220:223], v249 offset1:1
	s_waitcnt lgkmcnt(0)
	v_cmp_neq_f64_e32 vcc, 0, v[220:221]
	v_cmp_neq_f64_e64 s[2:3], 0, v[222:223]
	s_or_b64 s[2:3], vcc, s[2:3]
	s_and_b64 exec, exec, s[2:3]
	s_cbranch_execz .LBB123_610
; %bb.605:
	v_cmp_ngt_f64_e64 s[2:3], |v[220:221]|, |v[222:223]|
                                        ; implicit-def: $vgpr224_vgpr225
	s_and_saveexec_b64 s[10:11], s[2:3]
	s_xor_b64 s[2:3], exec, s[10:11]
                                        ; implicit-def: $vgpr226_vgpr227
	s_cbranch_execz .LBB123_607
; %bb.606:
	v_div_scale_f64 v[0:1], s[10:11], v[222:223], v[222:223], v[220:221]
	v_rcp_f64_e32 v[2:3], v[0:1]
	v_div_scale_f64 v[224:225], vcc, v[220:221], v[222:223], v[220:221]
	v_fma_f64 v[226:227], -v[0:1], v[2:3], 1.0
	v_fmac_f64_e32 v[2:3], v[2:3], v[226:227]
	v_fma_f64 v[226:227], -v[0:1], v[2:3], 1.0
	v_fmac_f64_e32 v[2:3], v[2:3], v[226:227]
	v_mul_f64 v[226:227], v[224:225], v[2:3]
	v_fma_f64 v[0:1], -v[0:1], v[226:227], v[224:225]
	v_div_fmas_f64 v[0:1], v[0:1], v[2:3], v[226:227]
	v_div_fixup_f64 v[0:1], v[0:1], v[222:223], v[220:221]
	v_fmac_f64_e32 v[222:223], v[220:221], v[0:1]
	v_div_scale_f64 v[2:3], s[10:11], v[222:223], v[222:223], 1.0
	v_rcp_f64_e32 v[220:221], v[2:3]
	s_nop 0
	v_fma_f64 v[224:225], -v[2:3], v[220:221], 1.0
	v_fmac_f64_e32 v[220:221], v[220:221], v[224:225]
	v_fma_f64 v[224:225], -v[2:3], v[220:221], 1.0
	v_fmac_f64_e32 v[220:221], v[220:221], v[224:225]
	v_div_scale_f64 v[224:225], vcc, 1.0, v[222:223], 1.0
	v_mul_f64 v[226:227], v[224:225], v[220:221]
	v_fma_f64 v[2:3], -v[2:3], v[226:227], v[224:225]
	s_nop 1
	v_div_fmas_f64 v[2:3], v[2:3], v[220:221], v[226:227]
	v_div_fixup_f64 v[226:227], v[2:3], v[222:223], 1.0
	v_mul_f64 v[224:225], v[0:1], v[226:227]
	v_xor_b32_e32 v227, 0x80000000, v227
                                        ; implicit-def: $vgpr220_vgpr221
.LBB123_607:
	s_andn2_saveexec_b64 s[2:3], s[2:3]
	s_cbranch_execz .LBB123_609
; %bb.608:
	v_div_scale_f64 v[0:1], s[10:11], v[220:221], v[220:221], v[222:223]
	v_rcp_f64_e32 v[2:3], v[0:1]
	v_div_scale_f64 v[224:225], vcc, v[222:223], v[220:221], v[222:223]
	v_fma_f64 v[226:227], -v[0:1], v[2:3], 1.0
	v_fmac_f64_e32 v[2:3], v[2:3], v[226:227]
	v_fma_f64 v[226:227], -v[0:1], v[2:3], 1.0
	v_fmac_f64_e32 v[2:3], v[2:3], v[226:227]
	v_mul_f64 v[226:227], v[224:225], v[2:3]
	v_fma_f64 v[0:1], -v[0:1], v[226:227], v[224:225]
	v_div_fmas_f64 v[0:1], v[0:1], v[2:3], v[226:227]
	v_div_fixup_f64 v[0:1], v[0:1], v[220:221], v[222:223]
	v_fmac_f64_e32 v[220:221], v[222:223], v[0:1]
	v_div_scale_f64 v[2:3], s[10:11], v[220:221], v[220:221], 1.0
	v_rcp_f64_e32 v[222:223], v[2:3]
	s_nop 0
	v_fma_f64 v[224:225], -v[2:3], v[222:223], 1.0
	v_fmac_f64_e32 v[222:223], v[222:223], v[224:225]
	v_fma_f64 v[224:225], -v[2:3], v[222:223], 1.0
	v_fmac_f64_e32 v[222:223], v[222:223], v[224:225]
	v_div_scale_f64 v[224:225], vcc, 1.0, v[220:221], 1.0
	v_mul_f64 v[226:227], v[224:225], v[222:223]
	v_fma_f64 v[2:3], -v[2:3], v[226:227], v[224:225]
	s_nop 1
	v_div_fmas_f64 v[2:3], v[2:3], v[222:223], v[226:227]
	v_div_fixup_f64 v[224:225], v[2:3], v[220:221], 1.0
	v_mul_f64 v[226:227], v[0:1], -v[224:225]
.LBB123_609:
	s_or_b64 exec, exec, s[2:3]
	ds_write2_b64 v249, v[224:225], v[226:227] offset1:1
.LBB123_610:
	s_or_b64 exec, exec, s[4:5]
	s_waitcnt lgkmcnt(0)
	s_barrier
	ds_read2_b64 v[220:223], v249 offset1:1
	v_cmp_lt_u32_e32 vcc, 55, v248
	s_and_saveexec_b64 s[2:3], vcc
	s_cbranch_execz .LBB123_612
; %bb.611:
	scratch_load_dwordx4 v[224:227], off, off offset:880
	s_waitcnt vmcnt(0) lgkmcnt(0)
	v_mul_f64 v[0:1], v[222:223], v[226:227]
	v_mul_f64 v[230:231], v[220:221], v[226:227]
	v_fma_f64 v[228:229], v[220:221], v[224:225], -v[0:1]
	v_fmac_f64_e32 v[230:231], v[222:223], v[224:225]
	ds_read2_b64 v[224:227], v250 offset0:112 offset1:113
	scratch_store_dwordx4 off, v[228:231], off offset:880
	s_waitcnt lgkmcnt(0)
	v_mul_f64 v[0:1], v[226:227], v[230:231]
	v_mul_f64 v[2:3], v[224:225], v[230:231]
	v_fma_f64 v[0:1], v[224:225], v[228:229], -v[0:1]
	v_fmac_f64_e32 v[2:3], v[226:227], v[228:229]
	scratch_load_dwordx4 v[224:227], off, off offset:896
	s_waitcnt vmcnt(0)
	v_add_f64 v[224:225], v[224:225], -v[0:1]
	v_add_f64 v[226:227], v[226:227], -v[2:3]
	scratch_store_dwordx4 off, v[224:227], off offset:896
	ds_read2_b64 v[224:227], v250 offset0:114 offset1:115
	s_waitcnt lgkmcnt(0)
	v_mul_f64 v[0:1], v[226:227], v[230:231]
	v_mul_f64 v[2:3], v[224:225], v[230:231]
	v_fma_f64 v[0:1], v[224:225], v[228:229], -v[0:1]
	v_fmac_f64_e32 v[2:3], v[226:227], v[228:229]
	scratch_load_dwordx4 v[224:227], off, off offset:912
	s_waitcnt vmcnt(0)
	v_add_f64 v[224:225], v[224:225], -v[0:1]
	v_add_f64 v[226:227], v[226:227], -v[2:3]
	scratch_store_dwordx4 off, v[224:227], off offset:912
	ds_read2_b64 v[224:227], v250 offset0:116 offset1:117
	;; [unrolled: 11-line block ×5, first 2 shown]
	s_waitcnt lgkmcnt(0)
	v_mul_f64 v[0:1], v[226:227], v[230:231]
	v_mul_f64 v[2:3], v[224:225], v[230:231]
	v_fma_f64 v[0:1], v[224:225], v[228:229], -v[0:1]
	v_fmac_f64_e32 v[2:3], v[226:227], v[228:229]
	scratch_load_dwordx4 v[224:227], off, off offset:976
	s_waitcnt vmcnt(0)
	v_add_f64 v[224:225], v[224:225], -v[0:1]
	v_add_f64 v[226:227], v[226:227], -v[2:3]
	scratch_store_dwordx4 off, v[224:227], off offset:976
.LBB123_612:
	s_or_b64 exec, exec, s[2:3]
	v_cmp_eq_u32_e32 vcc, 56, v248
	s_waitcnt lgkmcnt(0)
	s_barrier
	s_and_saveexec_b64 s[4:5], vcc
	s_cbranch_execz .LBB123_619
; %bb.613:
	scratch_load_dwordx4 v[224:227], off, s16
	s_waitcnt vmcnt(0)
	ds_write2_b64 v249, v[224:225], v[226:227] offset1:1
	scratch_load_dwordx4 v[224:227], off, s13
	s_waitcnt vmcnt(0)
	ds_write2_b64 v250, v[224:225], v[226:227] offset0:114 offset1:115
	scratch_load_dwordx4 v[224:227], off, s14
	s_waitcnt vmcnt(0)
	ds_write2_b64 v250, v[224:225], v[226:227] offset0:116 offset1:117
	;; [unrolled: 3-line block ×5, first 2 shown]
	ds_read2_b64 v[224:227], v249 offset1:1
	s_waitcnt lgkmcnt(0)
	v_cmp_neq_f64_e32 vcc, 0, v[224:225]
	v_cmp_neq_f64_e64 s[2:3], 0, v[226:227]
	s_or_b64 s[2:3], vcc, s[2:3]
	s_and_b64 exec, exec, s[2:3]
	s_cbranch_execz .LBB123_619
; %bb.614:
	v_cmp_ngt_f64_e64 s[2:3], |v[224:225]|, |v[226:227]|
                                        ; implicit-def: $vgpr228_vgpr229
	s_and_saveexec_b64 s[10:11], s[2:3]
	s_xor_b64 s[2:3], exec, s[10:11]
                                        ; implicit-def: $vgpr230_vgpr231
	s_cbranch_execz .LBB123_616
; %bb.615:
	v_div_scale_f64 v[0:1], s[10:11], v[226:227], v[226:227], v[224:225]
	v_rcp_f64_e32 v[2:3], v[0:1]
	v_div_scale_f64 v[228:229], vcc, v[224:225], v[226:227], v[224:225]
	v_fma_f64 v[230:231], -v[0:1], v[2:3], 1.0
	v_fmac_f64_e32 v[2:3], v[2:3], v[230:231]
	v_fma_f64 v[230:231], -v[0:1], v[2:3], 1.0
	v_fmac_f64_e32 v[2:3], v[2:3], v[230:231]
	v_mul_f64 v[230:231], v[228:229], v[2:3]
	v_fma_f64 v[0:1], -v[0:1], v[230:231], v[228:229]
	v_div_fmas_f64 v[0:1], v[0:1], v[2:3], v[230:231]
	v_div_fixup_f64 v[0:1], v[0:1], v[226:227], v[224:225]
	v_fmac_f64_e32 v[226:227], v[224:225], v[0:1]
	v_div_scale_f64 v[2:3], s[10:11], v[226:227], v[226:227], 1.0
	v_rcp_f64_e32 v[224:225], v[2:3]
	s_nop 0
	v_fma_f64 v[228:229], -v[2:3], v[224:225], 1.0
	v_fmac_f64_e32 v[224:225], v[224:225], v[228:229]
	v_fma_f64 v[228:229], -v[2:3], v[224:225], 1.0
	v_fmac_f64_e32 v[224:225], v[224:225], v[228:229]
	v_div_scale_f64 v[228:229], vcc, 1.0, v[226:227], 1.0
	v_mul_f64 v[230:231], v[228:229], v[224:225]
	v_fma_f64 v[2:3], -v[2:3], v[230:231], v[228:229]
	s_nop 1
	v_div_fmas_f64 v[2:3], v[2:3], v[224:225], v[230:231]
	v_div_fixup_f64 v[230:231], v[2:3], v[226:227], 1.0
	v_mul_f64 v[228:229], v[0:1], v[230:231]
	v_xor_b32_e32 v231, 0x80000000, v231
                                        ; implicit-def: $vgpr224_vgpr225
.LBB123_616:
	s_andn2_saveexec_b64 s[2:3], s[2:3]
	s_cbranch_execz .LBB123_618
; %bb.617:
	v_div_scale_f64 v[0:1], s[10:11], v[224:225], v[224:225], v[226:227]
	v_rcp_f64_e32 v[2:3], v[0:1]
	v_div_scale_f64 v[228:229], vcc, v[226:227], v[224:225], v[226:227]
	v_fma_f64 v[230:231], -v[0:1], v[2:3], 1.0
	v_fmac_f64_e32 v[2:3], v[2:3], v[230:231]
	v_fma_f64 v[230:231], -v[0:1], v[2:3], 1.0
	v_fmac_f64_e32 v[2:3], v[2:3], v[230:231]
	v_mul_f64 v[230:231], v[228:229], v[2:3]
	v_fma_f64 v[0:1], -v[0:1], v[230:231], v[228:229]
	v_div_fmas_f64 v[0:1], v[0:1], v[2:3], v[230:231]
	v_div_fixup_f64 v[0:1], v[0:1], v[224:225], v[226:227]
	v_fmac_f64_e32 v[224:225], v[226:227], v[0:1]
	v_div_scale_f64 v[2:3], s[10:11], v[224:225], v[224:225], 1.0
	v_rcp_f64_e32 v[226:227], v[2:3]
	s_nop 0
	v_fma_f64 v[228:229], -v[2:3], v[226:227], 1.0
	v_fmac_f64_e32 v[226:227], v[226:227], v[228:229]
	v_fma_f64 v[228:229], -v[2:3], v[226:227], 1.0
	v_fmac_f64_e32 v[226:227], v[226:227], v[228:229]
	v_div_scale_f64 v[228:229], vcc, 1.0, v[224:225], 1.0
	v_mul_f64 v[230:231], v[228:229], v[226:227]
	v_fma_f64 v[2:3], -v[2:3], v[230:231], v[228:229]
	s_nop 1
	v_div_fmas_f64 v[2:3], v[2:3], v[226:227], v[230:231]
	v_div_fixup_f64 v[228:229], v[2:3], v[224:225], 1.0
	v_mul_f64 v[230:231], v[0:1], -v[228:229]
.LBB123_618:
	s_or_b64 exec, exec, s[2:3]
	ds_write2_b64 v249, v[228:229], v[230:231] offset1:1
.LBB123_619:
	s_or_b64 exec, exec, s[4:5]
	s_waitcnt lgkmcnt(0)
	s_barrier
	ds_read2_b64 v[224:227], v249 offset1:1
	v_cmp_lt_u32_e32 vcc, 56, v248
	s_and_saveexec_b64 s[2:3], vcc
	s_cbranch_execz .LBB123_621
; %bb.620:
	scratch_load_dwordx4 v[228:231], off, off offset:896
	s_waitcnt vmcnt(0) lgkmcnt(0)
	v_mul_f64 v[0:1], v[226:227], v[230:231]
	v_mul_f64 v[234:235], v[224:225], v[230:231]
	v_fma_f64 v[232:233], v[224:225], v[228:229], -v[0:1]
	v_fmac_f64_e32 v[234:235], v[226:227], v[228:229]
	ds_read2_b64 v[228:231], v250 offset0:114 offset1:115
	scratch_store_dwordx4 off, v[232:235], off offset:896
	s_waitcnt lgkmcnt(0)
	v_mul_f64 v[0:1], v[230:231], v[234:235]
	v_mul_f64 v[2:3], v[228:229], v[234:235]
	v_fma_f64 v[0:1], v[228:229], v[232:233], -v[0:1]
	v_fmac_f64_e32 v[2:3], v[230:231], v[232:233]
	scratch_load_dwordx4 v[228:231], off, off offset:912
	s_waitcnt vmcnt(0)
	v_add_f64 v[228:229], v[228:229], -v[0:1]
	v_add_f64 v[230:231], v[230:231], -v[2:3]
	scratch_store_dwordx4 off, v[228:231], off offset:912
	ds_read2_b64 v[228:231], v250 offset0:116 offset1:117
	s_waitcnt lgkmcnt(0)
	v_mul_f64 v[0:1], v[230:231], v[234:235]
	v_mul_f64 v[2:3], v[228:229], v[234:235]
	v_fma_f64 v[0:1], v[228:229], v[232:233], -v[0:1]
	v_fmac_f64_e32 v[2:3], v[230:231], v[232:233]
	scratch_load_dwordx4 v[228:231], off, off offset:928
	s_waitcnt vmcnt(0)
	v_add_f64 v[228:229], v[228:229], -v[0:1]
	v_add_f64 v[230:231], v[230:231], -v[2:3]
	scratch_store_dwordx4 off, v[228:231], off offset:928
	ds_read2_b64 v[228:231], v250 offset0:118 offset1:119
	;; [unrolled: 11-line block ×4, first 2 shown]
	s_waitcnt lgkmcnt(0)
	v_mul_f64 v[0:1], v[230:231], v[234:235]
	v_mul_f64 v[2:3], v[228:229], v[234:235]
	v_fma_f64 v[0:1], v[228:229], v[232:233], -v[0:1]
	v_fmac_f64_e32 v[2:3], v[230:231], v[232:233]
	scratch_load_dwordx4 v[228:231], off, off offset:976
	s_waitcnt vmcnt(0)
	v_add_f64 v[228:229], v[228:229], -v[0:1]
	v_add_f64 v[230:231], v[230:231], -v[2:3]
	scratch_store_dwordx4 off, v[228:231], off offset:976
.LBB123_621:
	s_or_b64 exec, exec, s[2:3]
	v_cmp_eq_u32_e32 vcc, 57, v248
	s_waitcnt lgkmcnt(0)
	s_barrier
	s_and_saveexec_b64 s[4:5], vcc
	s_cbranch_execz .LBB123_628
; %bb.622:
	scratch_load_dwordx4 v[228:231], off, s13
	s_waitcnt vmcnt(0)
	ds_write2_b64 v249, v[228:229], v[230:231] offset1:1
	scratch_load_dwordx4 v[228:231], off, s14
	s_waitcnt vmcnt(0)
	ds_write2_b64 v250, v[228:229], v[230:231] offset0:116 offset1:117
	scratch_load_dwordx4 v[228:231], off, s8
	s_waitcnt vmcnt(0)
	ds_write2_b64 v250, v[228:229], v[230:231] offset0:118 offset1:119
	scratch_load_dwordx4 v[228:231], off, s12
	s_waitcnt vmcnt(0)
	ds_write2_b64 v250, v[228:229], v[230:231] offset0:120 offset1:121
	scratch_load_dwordx4 v[228:231], off, s42
	s_waitcnt vmcnt(0)
	ds_write2_b64 v250, v[228:229], v[230:231] offset0:122 offset1:123
	ds_read2_b64 v[228:231], v249 offset1:1
	s_waitcnt lgkmcnt(0)
	v_cmp_neq_f64_e32 vcc, 0, v[228:229]
	v_cmp_neq_f64_e64 s[2:3], 0, v[230:231]
	s_or_b64 s[2:3], vcc, s[2:3]
	s_and_b64 exec, exec, s[2:3]
	s_cbranch_execz .LBB123_628
; %bb.623:
	v_cmp_ngt_f64_e64 s[2:3], |v[228:229]|, |v[230:231]|
                                        ; implicit-def: $vgpr232_vgpr233
	s_and_saveexec_b64 s[10:11], s[2:3]
	s_xor_b64 s[2:3], exec, s[10:11]
                                        ; implicit-def: $vgpr234_vgpr235
	s_cbranch_execz .LBB123_625
; %bb.624:
	v_div_scale_f64 v[0:1], s[10:11], v[230:231], v[230:231], v[228:229]
	v_rcp_f64_e32 v[2:3], v[0:1]
	v_div_scale_f64 v[232:233], vcc, v[228:229], v[230:231], v[228:229]
	v_fma_f64 v[234:235], -v[0:1], v[2:3], 1.0
	v_fmac_f64_e32 v[2:3], v[2:3], v[234:235]
	v_fma_f64 v[234:235], -v[0:1], v[2:3], 1.0
	v_fmac_f64_e32 v[2:3], v[2:3], v[234:235]
	v_mul_f64 v[234:235], v[232:233], v[2:3]
	v_fma_f64 v[0:1], -v[0:1], v[234:235], v[232:233]
	v_div_fmas_f64 v[0:1], v[0:1], v[2:3], v[234:235]
	v_div_fixup_f64 v[0:1], v[0:1], v[230:231], v[228:229]
	v_fmac_f64_e32 v[230:231], v[228:229], v[0:1]
	v_div_scale_f64 v[2:3], s[10:11], v[230:231], v[230:231], 1.0
	v_rcp_f64_e32 v[228:229], v[2:3]
	s_nop 0
	v_fma_f64 v[232:233], -v[2:3], v[228:229], 1.0
	v_fmac_f64_e32 v[228:229], v[228:229], v[232:233]
	v_fma_f64 v[232:233], -v[2:3], v[228:229], 1.0
	v_fmac_f64_e32 v[228:229], v[228:229], v[232:233]
	v_div_scale_f64 v[232:233], vcc, 1.0, v[230:231], 1.0
	v_mul_f64 v[234:235], v[232:233], v[228:229]
	v_fma_f64 v[2:3], -v[2:3], v[234:235], v[232:233]
	s_nop 1
	v_div_fmas_f64 v[2:3], v[2:3], v[228:229], v[234:235]
	v_div_fixup_f64 v[234:235], v[2:3], v[230:231], 1.0
	v_mul_f64 v[232:233], v[0:1], v[234:235]
	v_xor_b32_e32 v235, 0x80000000, v235
                                        ; implicit-def: $vgpr228_vgpr229
.LBB123_625:
	s_andn2_saveexec_b64 s[2:3], s[2:3]
	s_cbranch_execz .LBB123_627
; %bb.626:
	v_div_scale_f64 v[0:1], s[10:11], v[228:229], v[228:229], v[230:231]
	v_rcp_f64_e32 v[2:3], v[0:1]
	v_div_scale_f64 v[232:233], vcc, v[230:231], v[228:229], v[230:231]
	v_fma_f64 v[234:235], -v[0:1], v[2:3], 1.0
	v_fmac_f64_e32 v[2:3], v[2:3], v[234:235]
	v_fma_f64 v[234:235], -v[0:1], v[2:3], 1.0
	v_fmac_f64_e32 v[2:3], v[2:3], v[234:235]
	v_mul_f64 v[234:235], v[232:233], v[2:3]
	v_fma_f64 v[0:1], -v[0:1], v[234:235], v[232:233]
	v_div_fmas_f64 v[0:1], v[0:1], v[2:3], v[234:235]
	v_div_fixup_f64 v[0:1], v[0:1], v[228:229], v[230:231]
	v_fmac_f64_e32 v[228:229], v[230:231], v[0:1]
	v_div_scale_f64 v[2:3], s[10:11], v[228:229], v[228:229], 1.0
	v_rcp_f64_e32 v[230:231], v[2:3]
	s_nop 0
	v_fma_f64 v[232:233], -v[2:3], v[230:231], 1.0
	v_fmac_f64_e32 v[230:231], v[230:231], v[232:233]
	v_fma_f64 v[232:233], -v[2:3], v[230:231], 1.0
	v_fmac_f64_e32 v[230:231], v[230:231], v[232:233]
	v_div_scale_f64 v[232:233], vcc, 1.0, v[228:229], 1.0
	v_mul_f64 v[234:235], v[232:233], v[230:231]
	v_fma_f64 v[2:3], -v[2:3], v[234:235], v[232:233]
	s_nop 1
	v_div_fmas_f64 v[2:3], v[2:3], v[230:231], v[234:235]
	v_div_fixup_f64 v[232:233], v[2:3], v[228:229], 1.0
	v_mul_f64 v[234:235], v[0:1], -v[232:233]
.LBB123_627:
	s_or_b64 exec, exec, s[2:3]
	ds_write2_b64 v249, v[232:233], v[234:235] offset1:1
.LBB123_628:
	s_or_b64 exec, exec, s[4:5]
	s_waitcnt lgkmcnt(0)
	s_barrier
	ds_read2_b64 v[228:231], v249 offset1:1
	v_cmp_lt_u32_e32 vcc, 57, v248
	s_and_saveexec_b64 s[2:3], vcc
	s_cbranch_execz .LBB123_630
; %bb.629:
	scratch_load_dwordx4 v[232:235], off, off offset:912
	s_waitcnt vmcnt(0) lgkmcnt(0)
	v_mul_f64 v[0:1], v[230:231], v[234:235]
	v_mul_f64 v[238:239], v[228:229], v[234:235]
	v_fma_f64 v[236:237], v[228:229], v[232:233], -v[0:1]
	v_fmac_f64_e32 v[238:239], v[230:231], v[232:233]
	ds_read2_b64 v[232:235], v250 offset0:116 offset1:117
	scratch_store_dwordx4 off, v[236:239], off offset:912
	s_waitcnt lgkmcnt(0)
	v_mul_f64 v[0:1], v[234:235], v[238:239]
	v_mul_f64 v[2:3], v[232:233], v[238:239]
	v_fma_f64 v[0:1], v[232:233], v[236:237], -v[0:1]
	v_fmac_f64_e32 v[2:3], v[234:235], v[236:237]
	scratch_load_dwordx4 v[232:235], off, off offset:928
	s_waitcnt vmcnt(0)
	v_add_f64 v[232:233], v[232:233], -v[0:1]
	v_add_f64 v[234:235], v[234:235], -v[2:3]
	scratch_store_dwordx4 off, v[232:235], off offset:928
	ds_read2_b64 v[232:235], v250 offset0:118 offset1:119
	s_waitcnt lgkmcnt(0)
	v_mul_f64 v[0:1], v[234:235], v[238:239]
	v_mul_f64 v[2:3], v[232:233], v[238:239]
	v_fma_f64 v[0:1], v[232:233], v[236:237], -v[0:1]
	v_fmac_f64_e32 v[2:3], v[234:235], v[236:237]
	scratch_load_dwordx4 v[232:235], off, off offset:944
	s_waitcnt vmcnt(0)
	v_add_f64 v[232:233], v[232:233], -v[0:1]
	v_add_f64 v[234:235], v[234:235], -v[2:3]
	scratch_store_dwordx4 off, v[232:235], off offset:944
	ds_read2_b64 v[232:235], v250 offset0:120 offset1:121
	;; [unrolled: 11-line block ×3, first 2 shown]
	s_waitcnt lgkmcnt(0)
	v_mul_f64 v[0:1], v[234:235], v[238:239]
	v_mul_f64 v[2:3], v[232:233], v[238:239]
	v_fma_f64 v[0:1], v[232:233], v[236:237], -v[0:1]
	v_fmac_f64_e32 v[2:3], v[234:235], v[236:237]
	scratch_load_dwordx4 v[232:235], off, off offset:976
	s_waitcnt vmcnt(0)
	v_add_f64 v[232:233], v[232:233], -v[0:1]
	v_add_f64 v[234:235], v[234:235], -v[2:3]
	scratch_store_dwordx4 off, v[232:235], off offset:976
.LBB123_630:
	s_or_b64 exec, exec, s[2:3]
	v_cmp_eq_u32_e32 vcc, 58, v248
	s_waitcnt lgkmcnt(0)
	s_barrier
	s_and_saveexec_b64 s[4:5], vcc
	s_cbranch_execz .LBB123_637
; %bb.631:
	scratch_load_dwordx4 v[232:235], off, s14
	s_waitcnt vmcnt(0)
	ds_write2_b64 v249, v[232:233], v[234:235] offset1:1
	scratch_load_dwordx4 v[232:235], off, s8
	s_waitcnt vmcnt(0)
	ds_write2_b64 v250, v[232:233], v[234:235] offset0:118 offset1:119
	scratch_load_dwordx4 v[232:235], off, s12
	s_waitcnt vmcnt(0)
	ds_write2_b64 v250, v[232:233], v[234:235] offset0:120 offset1:121
	scratch_load_dwordx4 v[232:235], off, s42
	s_waitcnt vmcnt(0)
	ds_write2_b64 v250, v[232:233], v[234:235] offset0:122 offset1:123
	ds_read2_b64 v[232:235], v249 offset1:1
	s_waitcnt lgkmcnt(0)
	v_cmp_neq_f64_e32 vcc, 0, v[232:233]
	v_cmp_neq_f64_e64 s[2:3], 0, v[234:235]
	s_or_b64 s[2:3], vcc, s[2:3]
	s_and_b64 exec, exec, s[2:3]
	s_cbranch_execz .LBB123_637
; %bb.632:
	v_cmp_ngt_f64_e64 s[2:3], |v[232:233]|, |v[234:235]|
                                        ; implicit-def: $vgpr236_vgpr237
	s_and_saveexec_b64 s[10:11], s[2:3]
	s_xor_b64 s[2:3], exec, s[10:11]
                                        ; implicit-def: $vgpr238_vgpr239
	s_cbranch_execz .LBB123_634
; %bb.633:
	v_div_scale_f64 v[0:1], s[10:11], v[234:235], v[234:235], v[232:233]
	v_rcp_f64_e32 v[2:3], v[0:1]
	v_div_scale_f64 v[236:237], vcc, v[232:233], v[234:235], v[232:233]
	v_fma_f64 v[238:239], -v[0:1], v[2:3], 1.0
	v_fmac_f64_e32 v[2:3], v[2:3], v[238:239]
	v_fma_f64 v[238:239], -v[0:1], v[2:3], 1.0
	v_fmac_f64_e32 v[2:3], v[2:3], v[238:239]
	v_mul_f64 v[238:239], v[236:237], v[2:3]
	v_fma_f64 v[0:1], -v[0:1], v[238:239], v[236:237]
	v_div_fmas_f64 v[0:1], v[0:1], v[2:3], v[238:239]
	v_div_fixup_f64 v[0:1], v[0:1], v[234:235], v[232:233]
	v_fmac_f64_e32 v[234:235], v[232:233], v[0:1]
	v_div_scale_f64 v[2:3], s[10:11], v[234:235], v[234:235], 1.0
	v_rcp_f64_e32 v[232:233], v[2:3]
	s_nop 0
	v_fma_f64 v[236:237], -v[2:3], v[232:233], 1.0
	v_fmac_f64_e32 v[232:233], v[232:233], v[236:237]
	v_fma_f64 v[236:237], -v[2:3], v[232:233], 1.0
	v_fmac_f64_e32 v[232:233], v[232:233], v[236:237]
	v_div_scale_f64 v[236:237], vcc, 1.0, v[234:235], 1.0
	v_mul_f64 v[238:239], v[236:237], v[232:233]
	v_fma_f64 v[2:3], -v[2:3], v[238:239], v[236:237]
	s_nop 1
	v_div_fmas_f64 v[2:3], v[2:3], v[232:233], v[238:239]
	v_div_fixup_f64 v[238:239], v[2:3], v[234:235], 1.0
	v_mul_f64 v[236:237], v[0:1], v[238:239]
	v_xor_b32_e32 v239, 0x80000000, v239
                                        ; implicit-def: $vgpr232_vgpr233
.LBB123_634:
	s_andn2_saveexec_b64 s[2:3], s[2:3]
	s_cbranch_execz .LBB123_636
; %bb.635:
	v_div_scale_f64 v[0:1], s[10:11], v[232:233], v[232:233], v[234:235]
	v_rcp_f64_e32 v[2:3], v[0:1]
	v_div_scale_f64 v[236:237], vcc, v[234:235], v[232:233], v[234:235]
	v_fma_f64 v[238:239], -v[0:1], v[2:3], 1.0
	v_fmac_f64_e32 v[2:3], v[2:3], v[238:239]
	v_fma_f64 v[238:239], -v[0:1], v[2:3], 1.0
	v_fmac_f64_e32 v[2:3], v[2:3], v[238:239]
	v_mul_f64 v[238:239], v[236:237], v[2:3]
	v_fma_f64 v[0:1], -v[0:1], v[238:239], v[236:237]
	v_div_fmas_f64 v[0:1], v[0:1], v[2:3], v[238:239]
	v_div_fixup_f64 v[0:1], v[0:1], v[232:233], v[234:235]
	v_fmac_f64_e32 v[232:233], v[234:235], v[0:1]
	v_div_scale_f64 v[2:3], s[10:11], v[232:233], v[232:233], 1.0
	v_rcp_f64_e32 v[234:235], v[2:3]
	s_nop 0
	v_fma_f64 v[236:237], -v[2:3], v[234:235], 1.0
	v_fmac_f64_e32 v[234:235], v[234:235], v[236:237]
	v_fma_f64 v[236:237], -v[2:3], v[234:235], 1.0
	v_fmac_f64_e32 v[234:235], v[234:235], v[236:237]
	v_div_scale_f64 v[236:237], vcc, 1.0, v[232:233], 1.0
	v_mul_f64 v[238:239], v[236:237], v[234:235]
	v_fma_f64 v[2:3], -v[2:3], v[238:239], v[236:237]
	s_nop 1
	v_div_fmas_f64 v[2:3], v[2:3], v[234:235], v[238:239]
	v_div_fixup_f64 v[236:237], v[2:3], v[232:233], 1.0
	v_mul_f64 v[238:239], v[0:1], -v[236:237]
.LBB123_636:
	s_or_b64 exec, exec, s[2:3]
	ds_write2_b64 v249, v[236:237], v[238:239] offset1:1
.LBB123_637:
	s_or_b64 exec, exec, s[4:5]
	s_waitcnt lgkmcnt(0)
	s_barrier
	ds_read2_b64 v[232:235], v249 offset1:1
	v_cmp_lt_u32_e32 vcc, 58, v248
	s_and_saveexec_b64 s[2:3], vcc
	s_cbranch_execz .LBB123_639
; %bb.638:
	scratch_load_dwordx4 v[236:239], off, off offset:928
	s_waitcnt vmcnt(0) lgkmcnt(0)
	v_mul_f64 v[0:1], v[234:235], v[238:239]
	v_mul_f64 v[242:243], v[232:233], v[238:239]
	v_fma_f64 v[240:241], v[232:233], v[236:237], -v[0:1]
	v_fmac_f64_e32 v[242:243], v[234:235], v[236:237]
	ds_read2_b64 v[236:239], v250 offset0:118 offset1:119
	scratch_store_dwordx4 off, v[240:243], off offset:928
	s_waitcnt lgkmcnt(0)
	v_mul_f64 v[0:1], v[238:239], v[242:243]
	v_mul_f64 v[2:3], v[236:237], v[242:243]
	v_fma_f64 v[0:1], v[236:237], v[240:241], -v[0:1]
	v_fmac_f64_e32 v[2:3], v[238:239], v[240:241]
	scratch_load_dwordx4 v[236:239], off, off offset:944
	s_waitcnt vmcnt(0)
	v_add_f64 v[236:237], v[236:237], -v[0:1]
	v_add_f64 v[238:239], v[238:239], -v[2:3]
	scratch_store_dwordx4 off, v[236:239], off offset:944
	ds_read2_b64 v[236:239], v250 offset0:120 offset1:121
	s_waitcnt lgkmcnt(0)
	v_mul_f64 v[0:1], v[238:239], v[242:243]
	v_mul_f64 v[2:3], v[236:237], v[242:243]
	v_fma_f64 v[0:1], v[236:237], v[240:241], -v[0:1]
	v_fmac_f64_e32 v[2:3], v[238:239], v[240:241]
	scratch_load_dwordx4 v[236:239], off, off offset:960
	s_waitcnt vmcnt(0)
	v_add_f64 v[236:237], v[236:237], -v[0:1]
	v_add_f64 v[238:239], v[238:239], -v[2:3]
	scratch_store_dwordx4 off, v[236:239], off offset:960
	ds_read2_b64 v[236:239], v250 offset0:122 offset1:123
	s_waitcnt lgkmcnt(0)
	v_mul_f64 v[0:1], v[238:239], v[242:243]
	v_mul_f64 v[2:3], v[236:237], v[242:243]
	v_fma_f64 v[0:1], v[236:237], v[240:241], -v[0:1]
	v_fmac_f64_e32 v[2:3], v[238:239], v[240:241]
	scratch_load_dwordx4 v[236:239], off, off offset:976
	s_waitcnt vmcnt(0)
	v_add_f64 v[236:237], v[236:237], -v[0:1]
	v_add_f64 v[238:239], v[238:239], -v[2:3]
	scratch_store_dwordx4 off, v[236:239], off offset:976
.LBB123_639:
	s_or_b64 exec, exec, s[2:3]
	v_cmp_eq_u32_e32 vcc, 59, v248
	s_waitcnt lgkmcnt(0)
	s_barrier
	s_and_saveexec_b64 s[4:5], vcc
	s_cbranch_execz .LBB123_646
; %bb.640:
	scratch_load_dwordx4 v[236:239], off, s8
	s_waitcnt vmcnt(0)
	ds_write2_b64 v249, v[236:237], v[238:239] offset1:1
	scratch_load_dwordx4 v[236:239], off, s12
	s_waitcnt vmcnt(0)
	ds_write2_b64 v250, v[236:237], v[238:239] offset0:120 offset1:121
	scratch_load_dwordx4 v[236:239], off, s42
	s_waitcnt vmcnt(0)
	ds_write2_b64 v250, v[236:237], v[238:239] offset0:122 offset1:123
	ds_read2_b64 v[236:239], v249 offset1:1
	s_waitcnt lgkmcnt(0)
	v_cmp_neq_f64_e32 vcc, 0, v[236:237]
	v_cmp_neq_f64_e64 s[2:3], 0, v[238:239]
	s_or_b64 s[2:3], vcc, s[2:3]
	s_and_b64 exec, exec, s[2:3]
	s_cbranch_execz .LBB123_646
; %bb.641:
	v_cmp_ngt_f64_e64 s[2:3], |v[236:237]|, |v[238:239]|
                                        ; implicit-def: $vgpr240_vgpr241
	s_and_saveexec_b64 s[10:11], s[2:3]
	s_xor_b64 s[2:3], exec, s[10:11]
                                        ; implicit-def: $vgpr242_vgpr243
	s_cbranch_execz .LBB123_643
; %bb.642:
	v_div_scale_f64 v[0:1], s[10:11], v[238:239], v[238:239], v[236:237]
	v_rcp_f64_e32 v[2:3], v[0:1]
	v_div_scale_f64 v[240:241], vcc, v[236:237], v[238:239], v[236:237]
	v_fma_f64 v[242:243], -v[0:1], v[2:3], 1.0
	v_fmac_f64_e32 v[2:3], v[2:3], v[242:243]
	v_fma_f64 v[242:243], -v[0:1], v[2:3], 1.0
	v_fmac_f64_e32 v[2:3], v[2:3], v[242:243]
	v_mul_f64 v[242:243], v[240:241], v[2:3]
	v_fma_f64 v[0:1], -v[0:1], v[242:243], v[240:241]
	v_div_fmas_f64 v[0:1], v[0:1], v[2:3], v[242:243]
	v_div_fixup_f64 v[0:1], v[0:1], v[238:239], v[236:237]
	v_fmac_f64_e32 v[238:239], v[236:237], v[0:1]
	v_div_scale_f64 v[2:3], s[10:11], v[238:239], v[238:239], 1.0
	v_rcp_f64_e32 v[236:237], v[2:3]
	s_nop 0
	v_fma_f64 v[240:241], -v[2:3], v[236:237], 1.0
	v_fmac_f64_e32 v[236:237], v[236:237], v[240:241]
	v_fma_f64 v[240:241], -v[2:3], v[236:237], 1.0
	v_fmac_f64_e32 v[236:237], v[236:237], v[240:241]
	v_div_scale_f64 v[240:241], vcc, 1.0, v[238:239], 1.0
	v_mul_f64 v[242:243], v[240:241], v[236:237]
	v_fma_f64 v[2:3], -v[2:3], v[242:243], v[240:241]
	s_nop 1
	v_div_fmas_f64 v[2:3], v[2:3], v[236:237], v[242:243]
	v_div_fixup_f64 v[242:243], v[2:3], v[238:239], 1.0
	v_mul_f64 v[240:241], v[0:1], v[242:243]
	v_xor_b32_e32 v243, 0x80000000, v243
                                        ; implicit-def: $vgpr236_vgpr237
.LBB123_643:
	s_andn2_saveexec_b64 s[2:3], s[2:3]
	s_cbranch_execz .LBB123_645
; %bb.644:
	v_div_scale_f64 v[0:1], s[10:11], v[236:237], v[236:237], v[238:239]
	v_rcp_f64_e32 v[2:3], v[0:1]
	v_div_scale_f64 v[240:241], vcc, v[238:239], v[236:237], v[238:239]
	v_fma_f64 v[242:243], -v[0:1], v[2:3], 1.0
	v_fmac_f64_e32 v[2:3], v[2:3], v[242:243]
	v_fma_f64 v[242:243], -v[0:1], v[2:3], 1.0
	v_fmac_f64_e32 v[2:3], v[2:3], v[242:243]
	v_mul_f64 v[242:243], v[240:241], v[2:3]
	v_fma_f64 v[0:1], -v[0:1], v[242:243], v[240:241]
	v_div_fmas_f64 v[0:1], v[0:1], v[2:3], v[242:243]
	v_div_fixup_f64 v[0:1], v[0:1], v[236:237], v[238:239]
	v_fmac_f64_e32 v[236:237], v[238:239], v[0:1]
	v_div_scale_f64 v[2:3], s[10:11], v[236:237], v[236:237], 1.0
	v_rcp_f64_e32 v[238:239], v[2:3]
	s_nop 0
	v_fma_f64 v[240:241], -v[2:3], v[238:239], 1.0
	v_fmac_f64_e32 v[238:239], v[238:239], v[240:241]
	v_fma_f64 v[240:241], -v[2:3], v[238:239], 1.0
	v_fmac_f64_e32 v[238:239], v[238:239], v[240:241]
	v_div_scale_f64 v[240:241], vcc, 1.0, v[236:237], 1.0
	v_mul_f64 v[242:243], v[240:241], v[238:239]
	v_fma_f64 v[2:3], -v[2:3], v[242:243], v[240:241]
	s_nop 1
	v_div_fmas_f64 v[2:3], v[2:3], v[238:239], v[242:243]
	v_div_fixup_f64 v[240:241], v[2:3], v[236:237], 1.0
	v_mul_f64 v[242:243], v[0:1], -v[240:241]
.LBB123_645:
	s_or_b64 exec, exec, s[2:3]
	ds_write2_b64 v249, v[240:241], v[242:243] offset1:1
.LBB123_646:
	s_or_b64 exec, exec, s[4:5]
	s_waitcnt lgkmcnt(0)
	s_barrier
	ds_read2_b64 v[236:239], v249 offset1:1
	v_cmp_lt_u32_e32 vcc, 59, v248
	s_and_saveexec_b64 s[2:3], vcc
	s_cbranch_execz .LBB123_648
; %bb.647:
	scratch_load_dwordx4 v[240:243], off, off offset:944
	s_waitcnt vmcnt(0) lgkmcnt(0)
	v_mul_f64 v[0:1], v[238:239], v[242:243]
	v_mul_f64 v[246:247], v[236:237], v[242:243]
	v_fma_f64 v[244:245], v[236:237], v[240:241], -v[0:1]
	v_fmac_f64_e32 v[246:247], v[238:239], v[240:241]
	ds_read2_b64 v[240:243], v250 offset0:120 offset1:121
	scratch_store_dwordx4 off, v[244:247], off offset:944
	s_waitcnt lgkmcnt(0)
	v_mul_f64 v[0:1], v[242:243], v[246:247]
	v_mul_f64 v[2:3], v[240:241], v[246:247]
	v_fma_f64 v[0:1], v[240:241], v[244:245], -v[0:1]
	v_fmac_f64_e32 v[2:3], v[242:243], v[244:245]
	scratch_load_dwordx4 v[240:243], off, off offset:960
	s_waitcnt vmcnt(0)
	v_add_f64 v[240:241], v[240:241], -v[0:1]
	v_add_f64 v[242:243], v[242:243], -v[2:3]
	scratch_store_dwordx4 off, v[240:243], off offset:960
	ds_read2_b64 v[240:243], v250 offset0:122 offset1:123
	s_waitcnt lgkmcnt(0)
	v_mul_f64 v[0:1], v[242:243], v[246:247]
	v_mul_f64 v[2:3], v[240:241], v[246:247]
	v_fma_f64 v[0:1], v[240:241], v[244:245], -v[0:1]
	v_fmac_f64_e32 v[2:3], v[242:243], v[244:245]
	scratch_load_dwordx4 v[240:243], off, off offset:976
	s_waitcnt vmcnt(0)
	v_add_f64 v[240:241], v[240:241], -v[0:1]
	v_add_f64 v[242:243], v[242:243], -v[2:3]
	scratch_store_dwordx4 off, v[240:243], off offset:976
.LBB123_648:
	s_or_b64 exec, exec, s[2:3]
	v_cmp_eq_u32_e32 vcc, 60, v248
	s_waitcnt lgkmcnt(0)
	s_barrier
	s_and_saveexec_b64 s[4:5], vcc
	s_cbranch_execz .LBB123_655
; %bb.649:
	scratch_load_dwordx4 v[240:243], off, s12
	s_waitcnt vmcnt(0)
	ds_write2_b64 v249, v[240:241], v[242:243] offset1:1
	scratch_load_dwordx4 v[240:243], off, s42
	s_waitcnt vmcnt(0)
	ds_write2_b64 v250, v[240:241], v[242:243] offset0:122 offset1:123
	ds_read2_b64 v[240:243], v249 offset1:1
	s_waitcnt lgkmcnt(0)
	v_cmp_neq_f64_e32 vcc, 0, v[240:241]
	v_cmp_neq_f64_e64 s[2:3], 0, v[242:243]
	s_or_b64 s[2:3], vcc, s[2:3]
	s_and_b64 exec, exec, s[2:3]
	s_cbranch_execz .LBB123_655
; %bb.650:
	v_cmp_ngt_f64_e64 s[2:3], |v[240:241]|, |v[242:243]|
                                        ; implicit-def: $vgpr244_vgpr245
	s_and_saveexec_b64 s[10:11], s[2:3]
	s_xor_b64 s[2:3], exec, s[10:11]
                                        ; implicit-def: $vgpr246_vgpr247
	s_cbranch_execz .LBB123_652
; %bb.651:
	v_div_scale_f64 v[0:1], s[10:11], v[242:243], v[242:243], v[240:241]
	v_rcp_f64_e32 v[2:3], v[0:1]
	v_div_scale_f64 v[244:245], vcc, v[240:241], v[242:243], v[240:241]
	v_fma_f64 v[246:247], -v[0:1], v[2:3], 1.0
	v_fmac_f64_e32 v[2:3], v[2:3], v[246:247]
	v_fma_f64 v[246:247], -v[0:1], v[2:3], 1.0
	v_fmac_f64_e32 v[2:3], v[2:3], v[246:247]
	v_mul_f64 v[246:247], v[244:245], v[2:3]
	v_fma_f64 v[0:1], -v[0:1], v[246:247], v[244:245]
	v_div_fmas_f64 v[0:1], v[0:1], v[2:3], v[246:247]
	v_div_fixup_f64 v[0:1], v[0:1], v[242:243], v[240:241]
	v_fmac_f64_e32 v[242:243], v[240:241], v[0:1]
	v_div_scale_f64 v[2:3], s[10:11], v[242:243], v[242:243], 1.0
	v_rcp_f64_e32 v[240:241], v[2:3]
	s_nop 0
	v_fma_f64 v[244:245], -v[2:3], v[240:241], 1.0
	v_fmac_f64_e32 v[240:241], v[240:241], v[244:245]
	v_fma_f64 v[244:245], -v[2:3], v[240:241], 1.0
	v_fmac_f64_e32 v[240:241], v[240:241], v[244:245]
	v_div_scale_f64 v[244:245], vcc, 1.0, v[242:243], 1.0
	v_mul_f64 v[246:247], v[244:245], v[240:241]
	v_fma_f64 v[2:3], -v[2:3], v[246:247], v[244:245]
	s_nop 1
	v_div_fmas_f64 v[2:3], v[2:3], v[240:241], v[246:247]
	v_div_fixup_f64 v[246:247], v[2:3], v[242:243], 1.0
	v_mul_f64 v[244:245], v[0:1], v[246:247]
	v_xor_b32_e32 v247, 0x80000000, v247
                                        ; implicit-def: $vgpr240_vgpr241
.LBB123_652:
	s_andn2_saveexec_b64 s[2:3], s[2:3]
	s_cbranch_execz .LBB123_654
; %bb.653:
	v_div_scale_f64 v[0:1], s[10:11], v[240:241], v[240:241], v[242:243]
	v_rcp_f64_e32 v[2:3], v[0:1]
	v_div_scale_f64 v[244:245], vcc, v[242:243], v[240:241], v[242:243]
	v_fma_f64 v[246:247], -v[0:1], v[2:3], 1.0
	v_fmac_f64_e32 v[2:3], v[2:3], v[246:247]
	v_fma_f64 v[246:247], -v[0:1], v[2:3], 1.0
	v_fmac_f64_e32 v[2:3], v[2:3], v[246:247]
	v_mul_f64 v[246:247], v[244:245], v[2:3]
	v_fma_f64 v[0:1], -v[0:1], v[246:247], v[244:245]
	v_div_fmas_f64 v[0:1], v[0:1], v[2:3], v[246:247]
	v_div_fixup_f64 v[0:1], v[0:1], v[240:241], v[242:243]
	v_fmac_f64_e32 v[240:241], v[242:243], v[0:1]
	v_div_scale_f64 v[2:3], s[10:11], v[240:241], v[240:241], 1.0
	v_rcp_f64_e32 v[242:243], v[2:3]
	s_nop 0
	v_fma_f64 v[244:245], -v[2:3], v[242:243], 1.0
	v_fmac_f64_e32 v[242:243], v[242:243], v[244:245]
	v_fma_f64 v[244:245], -v[2:3], v[242:243], 1.0
	v_fmac_f64_e32 v[242:243], v[242:243], v[244:245]
	v_div_scale_f64 v[244:245], vcc, 1.0, v[240:241], 1.0
	v_mul_f64 v[246:247], v[244:245], v[242:243]
	v_fma_f64 v[2:3], -v[2:3], v[246:247], v[244:245]
	s_nop 1
	v_div_fmas_f64 v[2:3], v[2:3], v[242:243], v[246:247]
	v_div_fixup_f64 v[244:245], v[2:3], v[240:241], 1.0
	v_mul_f64 v[246:247], v[0:1], -v[244:245]
.LBB123_654:
	s_or_b64 exec, exec, s[2:3]
	ds_write2_b64 v249, v[244:245], v[246:247] offset1:1
.LBB123_655:
	s_or_b64 exec, exec, s[4:5]
	s_waitcnt lgkmcnt(0)
	s_barrier
	ds_read2_b64 v[240:243], v249 offset1:1
	v_cmp_lt_u32_e32 vcc, 60, v248
	s_and_saveexec_b64 s[2:3], vcc
	s_cbranch_execz .LBB123_657
; %bb.656:
	scratch_load_dwordx4 v[244:247], off, off offset:960
	s_waitcnt vmcnt(0) lgkmcnt(0)
	v_mul_f64 v[0:1], v[242:243], v[246:247]
	v_mul_f64 v[2:3], v[240:241], v[246:247]
	v_fma_f64 v[0:1], v[240:241], v[244:245], -v[0:1]
	v_fmac_f64_e32 v[2:3], v[242:243], v[244:245]
	ds_read2_b64 v[244:247], v250 offset0:122 offset1:123
	scratch_store_dwordx4 off, v[0:3], off offset:960
	s_waitcnt lgkmcnt(0)
	v_mul_f64 v[250:251], v[246:247], v[2:3]
	v_fma_f64 v[250:251], v[244:245], v[0:1], -v[250:251]
	v_mul_f64 v[244:245], v[244:245], v[2:3]
	v_fmac_f64_e32 v[244:245], v[246:247], v[0:1]
	scratch_load_dwordx4 v[0:3], off, off offset:976
	s_waitcnt vmcnt(0)
	v_add_f64 v[0:1], v[0:1], -v[250:251]
	v_add_f64 v[2:3], v[2:3], -v[244:245]
	scratch_store_dwordx4 off, v[0:3], off offset:976
.LBB123_657:
	s_or_b64 exec, exec, s[2:3]
	v_cmp_eq_u32_e32 vcc, 61, v248
	s_waitcnt lgkmcnt(0)
	s_barrier
	s_and_saveexec_b64 s[4:5], vcc
	s_cbranch_execz .LBB123_664
; %bb.658:
	scratch_load_dwordx4 v[244:247], off, s42
	s_waitcnt vmcnt(0)
	v_cmp_neq_f64_e32 vcc, 0, v[244:245]
	v_cmp_neq_f64_e64 s[2:3], 0, v[246:247]
	s_or_b64 s[2:3], vcc, s[2:3]
	ds_write2_b64 v249, v[244:245], v[246:247] offset1:1
	s_and_b64 exec, exec, s[2:3]
	s_cbranch_execz .LBB123_664
; %bb.659:
	v_cmp_ngt_f64_e64 s[2:3], |v[244:245]|, |v[246:247]|
                                        ; implicit-def: $vgpr254_vgpr255
	s_and_saveexec_b64 s[10:11], s[2:3]
	s_xor_b64 s[2:3], exec, s[10:11]
                                        ; implicit-def: $vgpr250_vgpr251
	s_cbranch_execz .LBB123_661
; %bb.660:
	v_div_scale_f64 v[0:1], s[10:11], v[246:247], v[246:247], v[244:245]
	v_rcp_f64_e32 v[2:3], v[0:1]
	v_div_scale_f64 v[250:251], vcc, v[244:245], v[246:247], v[244:245]
	v_fma_f64 v[254:255], -v[0:1], v[2:3], 1.0
	v_fmac_f64_e32 v[2:3], v[2:3], v[254:255]
	v_fma_f64 v[254:255], -v[0:1], v[2:3], 1.0
	v_fmac_f64_e32 v[2:3], v[2:3], v[254:255]
	v_mul_f64 v[254:255], v[250:251], v[2:3]
	v_fma_f64 v[0:1], -v[0:1], v[254:255], v[250:251]
	v_div_fmas_f64 v[0:1], v[0:1], v[2:3], v[254:255]
	v_div_fixup_f64 v[0:1], v[0:1], v[246:247], v[244:245]
	v_fmac_f64_e32 v[246:247], v[244:245], v[0:1]
	v_div_scale_f64 v[2:3], s[10:11], v[246:247], v[246:247], 1.0
	v_rcp_f64_e32 v[244:245], v[2:3]
	s_nop 0
	v_fma_f64 v[250:251], -v[2:3], v[244:245], 1.0
	v_fmac_f64_e32 v[244:245], v[244:245], v[250:251]
	v_fma_f64 v[250:251], -v[2:3], v[244:245], 1.0
	v_fmac_f64_e32 v[244:245], v[244:245], v[250:251]
	v_div_scale_f64 v[250:251], vcc, 1.0, v[246:247], 1.0
	v_mul_f64 v[254:255], v[250:251], v[244:245]
	v_fma_f64 v[2:3], -v[2:3], v[254:255], v[250:251]
	s_nop 1
	v_div_fmas_f64 v[2:3], v[2:3], v[244:245], v[254:255]
	v_div_fixup_f64 v[250:251], v[2:3], v[246:247], 1.0
	v_mul_f64 v[254:255], v[0:1], v[250:251]
	v_xor_b32_e32 v251, 0x80000000, v251
                                        ; implicit-def: $vgpr244_vgpr245
.LBB123_661:
	s_andn2_saveexec_b64 s[2:3], s[2:3]
	s_cbranch_execz .LBB123_663
; %bb.662:
	v_div_scale_f64 v[0:1], s[10:11], v[244:245], v[244:245], v[246:247]
	v_rcp_f64_e32 v[2:3], v[0:1]
	v_div_scale_f64 v[250:251], vcc, v[246:247], v[244:245], v[246:247]
	v_fma_f64 v[254:255], -v[0:1], v[2:3], 1.0
	v_fmac_f64_e32 v[2:3], v[2:3], v[254:255]
	v_fma_f64 v[254:255], -v[0:1], v[2:3], 1.0
	v_fmac_f64_e32 v[2:3], v[2:3], v[254:255]
	v_mul_f64 v[254:255], v[250:251], v[2:3]
	v_fma_f64 v[0:1], -v[0:1], v[254:255], v[250:251]
	v_div_fmas_f64 v[0:1], v[0:1], v[2:3], v[254:255]
	v_div_fixup_f64 v[0:1], v[0:1], v[244:245], v[246:247]
	v_fmac_f64_e32 v[244:245], v[246:247], v[0:1]
	v_div_scale_f64 v[2:3], s[10:11], v[244:245], v[244:245], 1.0
	v_rcp_f64_e32 v[246:247], v[2:3]
	s_nop 0
	v_fma_f64 v[250:251], -v[2:3], v[246:247], 1.0
	v_fmac_f64_e32 v[246:247], v[246:247], v[250:251]
	v_fma_f64 v[250:251], -v[2:3], v[246:247], 1.0
	v_fmac_f64_e32 v[246:247], v[246:247], v[250:251]
	v_div_scale_f64 v[250:251], vcc, 1.0, v[244:245], 1.0
	v_mul_f64 v[254:255], v[250:251], v[246:247]
	v_fma_f64 v[2:3], -v[2:3], v[254:255], v[250:251]
	s_nop 1
	v_div_fmas_f64 v[2:3], v[2:3], v[246:247], v[254:255]
	v_div_fixup_f64 v[254:255], v[2:3], v[244:245], 1.0
	v_mul_f64 v[250:251], v[0:1], -v[254:255]
.LBB123_663:
	s_or_b64 exec, exec, s[2:3]
	ds_write2_b64 v249, v[254:255], v[250:251] offset1:1
.LBB123_664:
	s_or_b64 exec, exec, s[4:5]
	s_waitcnt lgkmcnt(0)
	s_barrier
	ds_read2_b64 v[244:247], v249 offset1:1
	v_cmp_lt_u32_e32 vcc, 61, v248
	s_and_saveexec_b64 s[2:3], vcc
	s_cbranch_execz .LBB123_666
; %bb.665:
	scratch_load_dwordx4 v[0:3], off, off offset:976
	s_waitcnt vmcnt(0) lgkmcnt(0)
	v_mul_f64 v[248:249], v[246:247], v[2:3]
	v_mul_f64 v[250:251], v[244:245], v[2:3]
	v_fma_f64 v[248:249], v[244:245], v[0:1], -v[248:249]
	v_fmac_f64_e32 v[250:251], v[246:247], v[0:1]
	scratch_store_dwordx4 off, v[248:251], off offset:976
.LBB123_666:
	s_or_b64 exec, exec, s[2:3]
	s_waitcnt lgkmcnt(0)
	s_barrier
	s_and_saveexec_b64 s[10:11], s[0:1]
	s_cbranch_execz .LBB123_669
; %bb.667:
	scratch_load_dwordx4 v[0:3], off, off offset:1488 ; 16-byte Folded Reload
	v_cmp_neq_f64_e64 s[2:3], 0, v[4:5]
	v_cmp_neq_f64_e64 s[4:5], 0, v[6:7]
	s_or_b64 s[2:3], s[2:3], s[4:5]
	s_waitcnt vmcnt(0)
	v_cmp_eq_f64_e32 vcc, 0, v[0:1]
	v_cmp_eq_f64_e64 s[0:1], 0, v[2:3]
	s_and_b64 s[0:1], vcc, s[0:1]
	s_or_b64 vcc, s[2:3], s[0:1]
	v_cndmask_b32_e64 v2, 0, 1, s[0:1]
	v_cndmask_b32_e32 v2, 2, v2, vcc
	v_cmp_eq_f64_e32 vcc, 0, v[8:9]
	v_cmp_eq_f64_e64 s[0:1], 0, v[10:11]
	s_and_b64 s[0:1], vcc, s[0:1]
	v_cmp_eq_u32_e32 vcc, 0, v2
	s_and_b64 s[0:1], s[0:1], vcc
	v_cndmask_b32_e64 v2, v2, 3, s[0:1]
	v_cmp_eq_f64_e32 vcc, 0, v[12:13]
	v_cmp_eq_f64_e64 s[0:1], 0, v[14:15]
	s_and_b64 s[0:1], vcc, s[0:1]
	v_cmp_eq_u32_e32 vcc, 0, v2
	s_and_b64 s[0:1], s[0:1], vcc
	v_cndmask_b32_e64 v2, v2, 4, s[0:1]
	;; [unrolled: 6-line block ×32, first 2 shown]
	v_cmp_eq_f64_e32 vcc, 0, v[136:137]
	v_cmp_eq_f64_e64 s[0:1], 0, v[138:139]
	s_and_b64 s[0:1], vcc, s[0:1]
	v_cmp_eq_u32_e32 vcc, 0, v2
	s_and_b64 s[0:1], s[0:1], vcc
	v_mov_b32_e32 v0, s6
	v_mov_b32_e32 v1, s7
	v_cndmask_b32_e64 v2, v2, 35, s[0:1]
	v_cmp_eq_f64_e32 vcc, 0, v[140:141]
	v_cmp_eq_f64_e64 s[0:1], 0, v[142:143]
	v_lshl_add_u64 v[0:1], v[252:253], 2, v[0:1]
	s_and_b64 s[0:1], vcc, s[0:1]
	v_cmp_eq_u32_e32 vcc, 0, v2
	s_and_b64 s[0:1], s[0:1], vcc
	global_load_dword v3, v[0:1], off
	v_cndmask_b32_e64 v2, v2, 36, s[0:1]
	v_cmp_eq_f64_e32 vcc, 0, v[144:145]
	v_cmp_eq_f64_e64 s[0:1], 0, v[146:147]
	s_and_b64 s[0:1], vcc, s[0:1]
	v_cmp_eq_u32_e32 vcc, 0, v2
	s_and_b64 s[0:1], s[0:1], vcc
	v_cndmask_b32_e64 v2, v2, 37, s[0:1]
	v_cmp_eq_f64_e32 vcc, 0, v[148:149]
	v_cmp_eq_f64_e64 s[0:1], 0, v[150:151]
	s_and_b64 s[0:1], vcc, s[0:1]
	v_cmp_eq_u32_e32 vcc, 0, v2
	s_and_b64 s[0:1], s[0:1], vcc
	;; [unrolled: 6-line block ×26, first 2 shown]
	v_cndmask_b32_e64 v2, v2, 62, s[0:1]
	s_waitcnt vmcnt(0)
	v_cmp_eq_u32_e32 vcc, 0, v3
	v_cmp_ne_u32_e64 s[0:1], 0, v2
	s_and_b64 s[0:1], vcc, s[0:1]
	s_and_b64 exec, exec, s[0:1]
	s_cbranch_execz .LBB123_669
; %bb.668:
	v_add_u32_e32 v2, s9, v2
	global_store_dword v[0:1], v2, off
.LBB123_669:
	s_or_b64 exec, exec, s[10:11]
	scratch_load_dwordx4 v[0:3], off, off
	scratch_load_dwordx4 v[4:7], off, s72
	scratch_load_dwordx4 v[8:11], off, s71
	;; [unrolled: 1-line block ×31, first 2 shown]
	scratch_load_dwordx2 v[128:129], off, off offset:992 ; 8-byte Folded Reload
	s_waitcnt vmcnt(0)
	global_store_dwordx4 v[128:129], v[0:3], off
	scratch_load_dwordx2 v[0:1], off, off offset:1024 ; 8-byte Folded Reload
	s_waitcnt vmcnt(0)
	global_store_dwordx4 v[0:1], v[4:7], off
	scratch_load_dwordx4 v[0:3], off, s40
	s_nop 0
	scratch_load_dwordx4 v[4:7], off, s41
	scratch_load_dwordx2 v[128:129], off, off offset:1000 ; 8-byte Folded Reload
	s_waitcnt vmcnt(0)
	global_store_dwordx4 v[128:129], v[8:11], off
	scratch_load_dwordx4 v[8:11], off, s38
	s_nop 0
	scratch_load_dwordx4 v[128:131], off, s39
	scratch_load_dwordx2 v[132:133], off, off offset:1008 ; 8-byte Folded Reload
	s_waitcnt vmcnt(0)
	global_store_dwordx4 v[132:133], v[12:15], off
	scratch_load_dwordx4 v[12:15], off, s36
	s_nop 0
	scratch_load_dwordx4 v[132:135], off, s37
	scratch_load_dwordx2 v[136:137], off, off offset:1016 ; 8-byte Folded Reload
	s_waitcnt vmcnt(0)
	global_store_dwordx4 v[136:137], v[16:19], off
	scratch_load_dwordx2 v[16:17], off, off offset:1032 ; 8-byte Folded Reload
	s_waitcnt vmcnt(0)
	global_store_dwordx4 v[16:17], v[20:23], off
	scratch_load_dwordx4 v[16:19], off, s34
	s_nop 0
	scratch_load_dwordx4 v[20:23], off, s35
	scratch_load_dwordx2 v[136:137], off, off offset:1040 ; 8-byte Folded Reload
	s_waitcnt vmcnt(0)
	global_store_dwordx4 v[136:137], v[24:27], off
	scratch_load_dwordx4 v[24:27], off, s31
	s_nop 0
	scratch_load_dwordx4 v[136:139], off, s33
	scratch_load_dwordx2 v[140:141], off, off offset:1048 ; 8-byte Folded Reload
	s_waitcnt vmcnt(0)
	global_store_dwordx4 v[140:141], v[28:31], off
	scratch_load_dwordx4 v[28:31], off, s29
	s_nop 0
	scratch_load_dwordx4 v[140:143], off, s30
	;; [unrolled: 21-line block ×5, first 2 shown]
	scratch_load_dwordx2 v[168:169], off, off offset:1152 ; 8-byte Folded Reload
	s_waitcnt vmcnt(0)
	global_store_dwordx4 v[168:169], v[80:83], off
	scratch_load_dwordx2 v[80:81], off, off offset:1160 ; 8-byte Folded Reload
	s_waitcnt vmcnt(0)
	global_store_dwordx4 v[80:81], v[84:87], off
	;; [unrolled: 3-line block ×42, first 2 shown]
.LBB123_670:
	s_endpgm
	.section	.rodata,"a",@progbits
	.p2align	6, 0x0
	.amdhsa_kernel _ZN9rocsolver6v33100L23getf2_npvt_small_kernelILi62E19rocblas_complex_numIdEiiPS3_EEvT1_T3_lS5_lPT2_S5_S5_
		.amdhsa_group_segment_fixed_size 0
		.amdhsa_private_segment_fixed_size 1520
		.amdhsa_kernarg_size 312
		.amdhsa_user_sgpr_count 2
		.amdhsa_user_sgpr_dispatch_ptr 0
		.amdhsa_user_sgpr_queue_ptr 0
		.amdhsa_user_sgpr_kernarg_segment_ptr 1
		.amdhsa_user_sgpr_dispatch_id 0
		.amdhsa_user_sgpr_kernarg_preload_length 0
		.amdhsa_user_sgpr_kernarg_preload_offset 0
		.amdhsa_user_sgpr_private_segment_size 0
		.amdhsa_uses_dynamic_stack 0
		.amdhsa_enable_private_segment 1
		.amdhsa_system_sgpr_workgroup_id_x 1
		.amdhsa_system_sgpr_workgroup_id_y 1
		.amdhsa_system_sgpr_workgroup_id_z 0
		.amdhsa_system_sgpr_workgroup_info 0
		.amdhsa_system_vgpr_workitem_id 1
		.amdhsa_next_free_vgpr 256
		.amdhsa_next_free_sgpr 98
		.amdhsa_accum_offset 256
		.amdhsa_reserve_vcc 1
		.amdhsa_float_round_mode_32 0
		.amdhsa_float_round_mode_16_64 0
		.amdhsa_float_denorm_mode_32 3
		.amdhsa_float_denorm_mode_16_64 3
		.amdhsa_dx10_clamp 1
		.amdhsa_ieee_mode 1
		.amdhsa_fp16_overflow 0
		.amdhsa_tg_split 0
		.amdhsa_exception_fp_ieee_invalid_op 0
		.amdhsa_exception_fp_denorm_src 0
		.amdhsa_exception_fp_ieee_div_zero 0
		.amdhsa_exception_fp_ieee_overflow 0
		.amdhsa_exception_fp_ieee_underflow 0
		.amdhsa_exception_fp_ieee_inexact 0
		.amdhsa_exception_int_div_zero 0
	.end_amdhsa_kernel
	.section	.text._ZN9rocsolver6v33100L23getf2_npvt_small_kernelILi62E19rocblas_complex_numIdEiiPS3_EEvT1_T3_lS5_lPT2_S5_S5_,"axG",@progbits,_ZN9rocsolver6v33100L23getf2_npvt_small_kernelILi62E19rocblas_complex_numIdEiiPS3_EEvT1_T3_lS5_lPT2_S5_S5_,comdat
.Lfunc_end123:
	.size	_ZN9rocsolver6v33100L23getf2_npvt_small_kernelILi62E19rocblas_complex_numIdEiiPS3_EEvT1_T3_lS5_lPT2_S5_S5_, .Lfunc_end123-_ZN9rocsolver6v33100L23getf2_npvt_small_kernelILi62E19rocblas_complex_numIdEiiPS3_EEvT1_T3_lS5_lPT2_S5_S5_
                                        ; -- End function
	.set _ZN9rocsolver6v33100L23getf2_npvt_small_kernelILi62E19rocblas_complex_numIdEiiPS3_EEvT1_T3_lS5_lPT2_S5_S5_.num_vgpr, 256
	.set _ZN9rocsolver6v33100L23getf2_npvt_small_kernelILi62E19rocblas_complex_numIdEiiPS3_EEvT1_T3_lS5_lPT2_S5_S5_.num_agpr, 0
	.set _ZN9rocsolver6v33100L23getf2_npvt_small_kernelILi62E19rocblas_complex_numIdEiiPS3_EEvT1_T3_lS5_lPT2_S5_S5_.numbered_sgpr, 98
	.set _ZN9rocsolver6v33100L23getf2_npvt_small_kernelILi62E19rocblas_complex_numIdEiiPS3_EEvT1_T3_lS5_lPT2_S5_S5_.num_named_barrier, 0
	.set _ZN9rocsolver6v33100L23getf2_npvt_small_kernelILi62E19rocblas_complex_numIdEiiPS3_EEvT1_T3_lS5_lPT2_S5_S5_.private_seg_size, 1520
	.set _ZN9rocsolver6v33100L23getf2_npvt_small_kernelILi62E19rocblas_complex_numIdEiiPS3_EEvT1_T3_lS5_lPT2_S5_S5_.uses_vcc, 1
	.set _ZN9rocsolver6v33100L23getf2_npvt_small_kernelILi62E19rocblas_complex_numIdEiiPS3_EEvT1_T3_lS5_lPT2_S5_S5_.uses_flat_scratch, 0
	.set _ZN9rocsolver6v33100L23getf2_npvt_small_kernelILi62E19rocblas_complex_numIdEiiPS3_EEvT1_T3_lS5_lPT2_S5_S5_.has_dyn_sized_stack, 0
	.set _ZN9rocsolver6v33100L23getf2_npvt_small_kernelILi62E19rocblas_complex_numIdEiiPS3_EEvT1_T3_lS5_lPT2_S5_S5_.has_recursion, 0
	.set _ZN9rocsolver6v33100L23getf2_npvt_small_kernelILi62E19rocblas_complex_numIdEiiPS3_EEvT1_T3_lS5_lPT2_S5_S5_.has_indirect_call, 0
	.section	.AMDGPU.csdata,"",@progbits
; Kernel info:
; codeLenInByte = 119840
; TotalNumSgprs: 104
; NumVgprs: 256
; NumAgprs: 0
; TotalNumVgprs: 256
; ScratchSize: 1520
; MemoryBound: 0
; FloatMode: 240
; IeeeMode: 1
; LDSByteSize: 0 bytes/workgroup (compile time only)
; SGPRBlocks: 12
; VGPRBlocks: 31
; NumSGPRsForWavesPerEU: 104
; NumVGPRsForWavesPerEU: 256
; AccumOffset: 256
; Occupancy: 2
; WaveLimiterHint : 1
; COMPUTE_PGM_RSRC2:SCRATCH_EN: 1
; COMPUTE_PGM_RSRC2:USER_SGPR: 2
; COMPUTE_PGM_RSRC2:TRAP_HANDLER: 0
; COMPUTE_PGM_RSRC2:TGID_X_EN: 1
; COMPUTE_PGM_RSRC2:TGID_Y_EN: 1
; COMPUTE_PGM_RSRC2:TGID_Z_EN: 0
; COMPUTE_PGM_RSRC2:TIDIG_COMP_CNT: 1
; COMPUTE_PGM_RSRC3_GFX90A:ACCUM_OFFSET: 63
; COMPUTE_PGM_RSRC3_GFX90A:TG_SPLIT: 0
	.section	.text._ZN9rocsolver6v33100L18getf2_small_kernelILi63E19rocblas_complex_numIdEiiPS3_EEvT1_T3_lS5_lPS5_llPT2_S5_S5_S7_l,"axG",@progbits,_ZN9rocsolver6v33100L18getf2_small_kernelILi63E19rocblas_complex_numIdEiiPS3_EEvT1_T3_lS5_lPS5_llPT2_S5_S5_S7_l,comdat
	.globl	_ZN9rocsolver6v33100L18getf2_small_kernelILi63E19rocblas_complex_numIdEiiPS3_EEvT1_T3_lS5_lPS5_llPT2_S5_S5_S7_l ; -- Begin function _ZN9rocsolver6v33100L18getf2_small_kernelILi63E19rocblas_complex_numIdEiiPS3_EEvT1_T3_lS5_lPS5_llPT2_S5_S5_S7_l
	.p2align	8
	.type	_ZN9rocsolver6v33100L18getf2_small_kernelILi63E19rocblas_complex_numIdEiiPS3_EEvT1_T3_lS5_lPS5_llPT2_S5_S5_S7_l,@function
_ZN9rocsolver6v33100L18getf2_small_kernelILi63E19rocblas_complex_numIdEiiPS3_EEvT1_T3_lS5_lPS5_llPT2_S5_S5_S7_l: ; @_ZN9rocsolver6v33100L18getf2_small_kernelILi63E19rocblas_complex_numIdEiiPS3_EEvT1_T3_lS5_lPS5_llPT2_S5_S5_S7_l
; %bb.0:
	s_load_dword s2, s[0:1], 0x6c
	s_load_dwordx2 s[4:5], s[0:1], 0x48
	v_bfe_u32 v6, v0, 10, 10
	s_waitcnt lgkmcnt(0)
	s_lshr_b32 s2, s2, 16
	s_mul_i32 s3, s3, s2
	v_add_u32_e32 v8, s3, v6
	v_cmp_gt_i32_e32 vcc, s4, v8
	s_and_saveexec_b64 s[2:3], vcc
	s_cbranch_execnz .LBB124_1
; %bb.1437:
	s_getpc_b64 s[98:99]
.Lpost_getpc19:
	s_add_u32 s98, s98, (.LBB124_1436-.Lpost_getpc19)&4294967295
	s_addc_u32 s99, s99, (.LBB124_1436-.Lpost_getpc19)>>32
	s_setpc_b64 s[98:99]
.LBB124_1:
                                        ; implicit-def: $vgpr128 : SGPR spill to VGPR lane
	v_ashrrev_i32_e32 v9, 31, v8
	v_writelane_b32 v128, s4, 0
	v_mov_b64_e32 v[10:11], 0
	s_nop 0
	v_writelane_b32 v128, s5, 1
	s_load_dwordx4 s[4:7], s[0:1], 0x50
	s_waitcnt lgkmcnt(0)
	s_cmp_eq_u64 s[4:5], 0
	s_cselect_b64 s[18:19], -1, 0
	s_and_b64 vcc, exec, s[18:19]
	s_cbranch_vccnz .LBB124_3
; %bb.2:
	v_mul_lo_u32 v1, s7, v8
	v_mul_lo_u32 v4, s6, v9
	v_mad_u64_u32 v[2:3], s[2:3], s6, v8, 0
	v_add3_u32 v3, v3, v4, v1
	v_lshl_add_u64 v[10:11], v[2:3], 2, s[4:5]
.LBB124_3:
	s_load_dwordx4 s[12:15], s[0:1], 0x8
	s_load_dwordx8 s[4:11], s[0:1], 0x20
	s_load_dword s2, s[0:1], 0x18
	s_load_dword s52, s[0:1], 0x0
	s_movk_i32 s20, 0x90
	s_waitcnt lgkmcnt(0)
	v_mov_b32_e32 v2, s12
	v_mul_lo_u32 v1, s5, v8
	v_mul_lo_u32 v7, s4, v9
	v_writelane_b32 v128, s4, 2
	v_mov_b32_e32 v3, s13
	s_add_i32 s3, s2, s2
	v_writelane_b32 v128, s5, 3
	v_writelane_b32 v128, s6, 4
	;; [unrolled: 1-line block ×7, first 2 shown]
	v_mad_u64_u32 v[4:5], s[4:5], s4, v8, 0
	v_add3_u32 v5, v5, v7, v1
	v_lshl_add_u64 v[2:3], v[4:5], 4, v[2:3]
	v_and_b32_e32 v7, 0x3ff, v0
	v_lshl_add_u64 v[12:13], s[14:15], 4, v[2:3]
	v_lshlrev_b32_e32 v4, 4, v7
	v_mov_b32_e32 v5, 0
	v_add_u32_e32 v0, s3, v7
	v_lshl_add_u64 v[78:79], v[12:13], 0, v[4:5]
	v_writelane_b32 v128, s3, 10
	s_ashr_i32 s3, s2, 31
	v_ashrrev_i32_e32 v1, 31, v0
	v_add_u32_e32 v2, s2, v0
	v_lshl_add_u64 v[26:27], s[2:3], 4, v[78:79]
	v_lshl_add_u64 v[0:1], v[0:1], 4, v[12:13]
	global_load_dwordx4 v[14:17], v[78:79], off
	global_load_dwordx4 v[18:21], v[26:27], off
	;; [unrolled: 1-line block ×3, first 2 shown]
	v_add_u32_e32 v0, s2, v2
	v_ashrrev_i32_e32 v3, 31, v2
	v_ashrrev_i32_e32 v1, 31, v0
	v_lshl_add_u64 v[34:35], v[2:3], 4, v[12:13]
	v_lshl_add_u64 v[2:3], v[0:1], 4, v[12:13]
	v_add_u32_e32 v0, s2, v0
	v_ashrrev_i32_e32 v1, 31, v0
	global_load_dwordx4 v[26:29], v[34:35], off
	global_load_dwordx4 v[30:33], v[2:3], off
	v_lshl_add_u64 v[2:3], v[0:1], 4, v[12:13]
	v_add_u32_e32 v0, s2, v0
	v_add_u32_e32 v42, s2, v0
	v_ashrrev_i32_e32 v1, 31, v0
	v_add_u32_e32 v44, s2, v42
	v_lshl_add_u64 v[0:1], v[0:1], 4, v[12:13]
	v_ashrrev_i32_e32 v43, 31, v42
	global_load_dwordx4 v[34:37], v[2:3], off
	global_load_dwordx4 v[38:41], v[0:1], off
	v_add_u32_e32 v2, s2, v44
	v_lshl_add_u64 v[0:1], v[42:43], 4, v[12:13]
	v_ashrrev_i32_e32 v45, 31, v44
	v_ashrrev_i32_e32 v3, 31, v2
	v_add_u32_e32 v52, s2, v2
	v_lshl_add_u64 v[50:51], v[44:45], 4, v[12:13]
	global_load_dwordx4 v[42:45], v[0:1], off
	global_load_dwordx4 v[46:49], v[50:51], off
	v_lshl_add_u64 v[0:1], v[2:3], 4, v[12:13]
	v_add_u32_e32 v2, s2, v52
	v_ashrrev_i32_e32 v53, 31, v52
	v_ashrrev_i32_e32 v3, 31, v2
	v_add_u32_e32 v60, s2, v2
	v_lshl_add_u64 v[58:59], v[52:53], 4, v[12:13]
	global_load_dwordx4 v[50:53], v[0:1], off
	global_load_dwordx4 v[54:57], v[58:59], off
	v_lshl_add_u64 v[0:1], v[2:3], 4, v[12:13]
	v_add_u32_e32 v2, s2, v60
	v_add_u32_e32 v68, s2, v2
	v_ashrrev_i32_e32 v61, 31, v60
	v_ashrrev_i32_e32 v3, 31, v2
	v_add_u32_e32 v80, s2, v68
	v_lshl_add_u64 v[66:67], v[60:61], 4, v[12:13]
	global_load_dwordx4 v[58:61], v[0:1], off
	global_load_dwordx4 v[62:65], v[66:67], off
	v_lshl_add_u64 v[0:1], v[2:3], 4, v[12:13]
	v_ashrrev_i32_e32 v69, 31, v68
	v_ashrrev_i32_e32 v81, 31, v80
	v_lshl_add_u64 v[2:3], v[68:69], 4, v[12:13]
	global_load_dwordx4 v[66:69], v[0:1], off
	global_load_dwordx4 v[70:73], v[2:3], off
	v_lshl_add_u64 v[82:83], v[80:81], 4, v[12:13]
	global_load_dwordx4 v[74:77], v[82:83], off
	global_load_dwordx4 v[0:3], v[78:79], off
	v_add_u32_e32 v78, s2, v80
	v_add_u32_e32 v82, s2, v78
	v_ashrrev_i32_e32 v79, 31, v78
	v_add_u32_e32 v84, s2, v82
	v_lshl_add_u64 v[78:79], v[78:79], 4, v[12:13]
	v_ashrrev_i32_e32 v83, 31, v82
	v_ashrrev_i32_e32 v85, 31, v84
	global_load_dwordx4 v[78:81], v[78:79], off
	v_lshl_add_u64 v[82:83], v[82:83], 4, v[12:13]
	s_load_dwordx2 s[0:1], s[0:1], 0x40
	s_movk_i32 s12, 0x50
	s_movk_i32 s13, 0x60
	;; [unrolled: 1-line block ×4, first 2 shown]
	s_waitcnt lgkmcnt(0)
	v_writelane_b32 v128, s0, 11
	s_movk_i32 s21, 0xa0
	s_movk_i32 s22, 0xb0
	v_writelane_b32 v128, s1, 12
	s_max_i32 s0, s52, 63
	v_mul_lo_u32 v6, s0, v6
	s_movk_i32 s23, 0xc0
	s_movk_i32 s24, 0xd0
	;; [unrolled: 1-line block ×13, first 2 shown]
	s_waitcnt vmcnt(17)
	scratch_store_dwordx4 off, v[14:17], off
	s_waitcnt vmcnt(15)
	scratch_store_dwordx4 off, v[26:29], off offset:48
	scratch_store_dwordx4 off, v[18:21], off offset:16
	;; [unrolled: 1-line block ×3, first 2 shown]
	s_waitcnt vmcnt(17)
	scratch_store_dwordx4 off, v[30:33], off offset:64
	s_waitcnt vmcnt(17)
	scratch_store_dwordx4 off, v[34:37], off offset:80
	;; [unrolled: 2-line block ×12, first 2 shown]
	v_lshl_add_u64 v[22:23], v[84:85], 4, v[12:13]
	global_load_dwordx4 v[14:17], v[82:83], off
	global_load_dwordx4 v[18:21], v[22:23], off
	v_add_u32_e32 v22, s2, v84
	v_ashrrev_i32_e32 v23, 31, v22
	v_add_u32_e32 v32, s2, v22
	v_lshl_add_u64 v[30:31], v[22:23], 4, v[12:13]
	v_ashrrev_i32_e32 v33, 31, v32
	v_lshl_add_u64 v[34:35], v[32:33], 4, v[12:13]
	global_load_dwordx4 v[22:25], v[30:31], off
	global_load_dwordx4 v[26:29], v[34:35], off
	v_add_u32_e32 v30, s2, v32
	v_ashrrev_i32_e32 v31, 31, v30
	v_add_u32_e32 v40, s2, v30
	v_lshl_add_u64 v[38:39], v[30:31], 4, v[12:13]
	v_ashrrev_i32_e32 v41, 31, v40
	;; [unrolled: 8-line block ×12, first 2 shown]
	v_lshl_add_u64 v[126:127], v[124:125], 4, v[12:13]
	global_load_dwordx4 v[114:117], v[122:123], off
	global_load_dwordx4 v[118:121], v[126:127], off
	s_waitcnt vmcnt(42)
	scratch_store_dwordx4 off, v[78:81], off offset:256
	s_waitcnt vmcnt(26)
	scratch_store_dwordx4 off, v[14:17], off offset:272
	s_waitcnt vmcnt(26)
	scratch_store_dwordx4 off, v[18:21], off offset:288
	s_waitcnt vmcnt(26)
	scratch_store_dwordx4 off, v[22:25], off offset:304
	s_waitcnt vmcnt(26)
	scratch_store_dwordx4 off, v[26:29], off offset:320
	s_waitcnt vmcnt(26)
	scratch_store_dwordx4 off, v[30:33], off offset:336
	s_waitcnt vmcnt(26)
	scratch_store_dwordx4 off, v[34:37], off offset:352
	s_waitcnt vmcnt(26)
	scratch_store_dwordx4 off, v[38:41], off offset:368
	s_waitcnt vmcnt(26)
	scratch_store_dwordx4 off, v[42:45], off offset:384
	v_add_u32_e32 v14, s2, v124
	v_ashrrev_i32_e32 v15, 31, v14
	v_add_u32_e32 v24, s2, v14
	v_lshl_add_u64 v[22:23], v[14:15], 4, v[12:13]
	v_ashrrev_i32_e32 v25, 31, v24
	v_lshl_add_u64 v[26:27], v[24:25], 4, v[12:13]
	global_load_dwordx4 v[14:17], v[22:23], off
	global_load_dwordx4 v[18:21], v[26:27], off
	v_add_u32_e32 v22, s2, v24
	v_ashrrev_i32_e32 v23, 31, v22
	v_add_u32_e32 v32, s2, v22
	v_lshl_add_u64 v[30:31], v[22:23], 4, v[12:13]
	v_ashrrev_i32_e32 v33, 31, v32
	v_lshl_add_u64 v[34:35], v[32:33], 4, v[12:13]
	global_load_dwordx4 v[22:25], v[30:31], off
	global_load_dwordx4 v[26:29], v[34:35], off
	;; [unrolled: 8-line block ×3, first 2 shown]
	v_add_u32_e32 v38, s2, v40
	v_add_u32_e32 v80, s2, v38
	v_ashrrev_i32_e32 v39, 31, v38
	v_ashrrev_i32_e32 v81, 31, v80
	v_lshl_add_u64 v[78:79], v[38:39], 4, v[12:13]
	v_lshl_add_u64 v[122:123], v[80:81], 4, v[12:13]
	global_load_dwordx4 v[38:41], v[78:79], off
	global_load_dwordx4 v[42:45], v[122:123], off
	v_add_u32_e32 v122, s2, v80
	v_ashrrev_i32_e32 v123, 31, v122
	v_lshl_add_u64 v[78:79], v[122:123], 4, v[12:13]
	global_load_dwordx4 v[78:81], v[78:79], off
	s_waitcnt vmcnt(35)
	scratch_store_dwordx4 off, v[46:49], off offset:400
	s_waitcnt vmcnt(35)
	scratch_store_dwordx4 off, v[50:53], off offset:416
	s_waitcnt vmcnt(35)
	scratch_store_dwordx4 off, v[54:57], off offset:432
	s_waitcnt vmcnt(35)
	scratch_store_dwordx4 off, v[58:61], off offset:448
	s_waitcnt vmcnt(35)
	scratch_store_dwordx4 off, v[62:65], off offset:464
	s_waitcnt vmcnt(35)
	scratch_store_dwordx4 off, v[66:69], off offset:480
	s_waitcnt vmcnt(35)
	scratch_store_dwordx4 off, v[70:73], off offset:496
	s_waitcnt vmcnt(35)
	scratch_store_dwordx4 off, v[74:77], off offset:512
	s_waitcnt vmcnt(35)
	scratch_store_dwordx4 off, v[82:85], off offset:528
	s_waitcnt vmcnt(35)
	scratch_store_dwordx4 off, v[86:89], off offset:544
	s_waitcnt vmcnt(35)
	scratch_store_dwordx4 off, v[90:93], off offset:560
	s_waitcnt vmcnt(35)
	scratch_store_dwordx4 off, v[94:97], off offset:576
	s_waitcnt vmcnt(35)
	scratch_store_dwordx4 off, v[98:101], off offset:592
	s_waitcnt vmcnt(35)
	scratch_store_dwordx4 off, v[102:105], off offset:608
	s_waitcnt vmcnt(35)
	scratch_store_dwordx4 off, v[106:109], off offset:624
	s_waitcnt vmcnt(35)
	scratch_store_dwordx4 off, v[110:113], off offset:640
	s_waitcnt vmcnt(35)
	scratch_store_dwordx4 off, v[114:117], off offset:656
	s_waitcnt vmcnt(35)
	scratch_store_dwordx4 off, v[118:121], off offset:672
	v_add_u32_e32 v50, s2, v122
	v_ashrrev_i32_e32 v51, 31, v50
	v_lshl_add_u64 v[46:47], v[50:51], 4, v[12:13]
	v_add_u32_e32 v50, s2, v50
	v_ashrrev_i32_e32 v51, 31, v50
	v_add_u32_e32 v60, s2, v50
	v_lshl_add_u64 v[58:59], v[50:51], 4, v[12:13]
	v_ashrrev_i32_e32 v61, 31, v60
	global_load_dwordx4 v[46:49], v[46:47], off
	v_lshl_add_u64 v[62:63], v[60:61], 4, v[12:13]
	global_load_dwordx4 v[50:53], v[58:59], off
	global_load_dwordx4 v[54:57], v[62:63], off
	v_add_u32_e32 v58, s2, v60
	v_ashrrev_i32_e32 v59, 31, v58
	v_add_u32_e32 v68, s2, v58
	v_lshl_add_u64 v[66:67], v[58:59], 4, v[12:13]
	v_ashrrev_i32_e32 v69, 31, v68
	v_lshl_add_u64 v[70:71], v[68:69], 4, v[12:13]
	global_load_dwordx4 v[58:61], v[66:67], off
	global_load_dwordx4 v[62:65], v[70:71], off
	v_add_u32_e32 v66, s2, v68
	v_ashrrev_i32_e32 v67, 31, v66
	v_add_u32_e32 v76, s2, v66
	v_lshl_add_u64 v[74:75], v[66:67], 4, v[12:13]
	v_ashrrev_i32_e32 v77, 31, v76
	;; [unrolled: 8-line block ×3, first 2 shown]
	v_lshl_add_u64 v[90:91], v[88:89], 4, v[12:13]
	global_load_dwordx4 v[74:77], v[86:87], off
	global_load_dwordx4 v[82:85], v[90:91], off
	v_add_u32_e32 v86, s2, v88
	v_ashrrev_i32_e32 v87, 31, v86
	v_lshl_add_u64 v[94:95], v[86:87], 4, v[12:13]
	v_add_u32_e32 v86, s2, v86
	v_ashrrev_i32_e32 v87, 31, v86
	v_lshl_add_u64 v[96:97], v[86:87], 4, v[12:13]
	global_load_dwordx4 v[86:89], v[94:95], off
	global_load_dwordx4 v[90:93], v[96:97], off
	s_waitcnt vmcnt(37)
	scratch_store_dwordx4 off, v[14:17], off offset:688
	s_waitcnt vmcnt(37)
	scratch_store_dwordx4 off, v[18:21], off offset:704
	;; [unrolled: 2-line block ×8, first 2 shown]
	v_lshl_add_u32 v14, v6, 4, 0
	v_add_u32_e32 v4, v14, v4
	s_movk_i32 s37, 0x190
	s_waitcnt vmcnt(37)
	scratch_store_dwordx4 off, v[78:81], off offset:816
	s_movk_i32 s38, 0x1a0
	s_movk_i32 s39, 0x1b0
	;; [unrolled: 1-line block ×37, first 2 shown]
	s_cmp_lt_i32 s52, 2
	v_lshlrev_b32_e32 v18, 4, v6
	s_waitcnt vmcnt(19)
	scratch_store_dwordx4 off, v[46:49], off offset:832
	s_waitcnt vmcnt(19)
	scratch_store_dwordx4 off, v[50:53], off offset:848
	s_waitcnt vmcnt(19)
	scratch_store_dwordx4 off, v[54:57], off offset:864
	s_waitcnt vmcnt(19)
	scratch_store_dwordx4 off, v[58:61], off offset:880
	s_waitcnt vmcnt(19)
	scratch_store_dwordx4 off, v[62:65], off offset:896
	s_waitcnt vmcnt(19)
	scratch_store_dwordx4 off, v[66:69], off offset:912
	s_waitcnt vmcnt(19)
	scratch_store_dwordx4 off, v[70:73], off offset:928
	s_waitcnt vmcnt(19)
	scratch_store_dwordx4 off, v[74:77], off offset:944
	s_waitcnt vmcnt(19)
	scratch_store_dwordx4 off, v[82:85], off offset:960
	s_waitcnt vmcnt(19)
	scratch_store_dwordx4 off, v[86:89], off offset:976
	s_waitcnt vmcnt(19)
	scratch_store_dwordx4 off, v[90:93], off offset:992
	ds_write2_b64 v4, v[0:1], v[2:3] offset1:1
	s_waitcnt lgkmcnt(0)
	s_barrier
	ds_read2_b64 v[0:3], v14 offset1:1
	s_cbranch_scc1 .LBB124_6
; %bb.4:
	v_add3_u32 v4, v18, 0, 16
	s_mov_b32 s48, 1
	v_mov_b32_e32 v5, 0
.LBB124_5:                              ; =>This Inner Loop Header: Depth=1
	ds_read2_b64 v[20:23], v4 offset1:1
	s_waitcnt lgkmcnt(1)
	v_xor_b32_e32 v6, 0x80000000, v1
	v_xor_b32_e32 v15, 0x80000000, v3
	v_cmp_gt_f64_e32 vcc, 0, v[2:3]
	v_cmp_gt_f64_e64 s[0:1], 0, v[0:1]
	v_mov_b32_e32 v16, v0
	v_mov_b32_e32 v24, v2
	v_cndmask_b32_e64 v17, v1, v6, s[0:1]
	v_cndmask_b32_e32 v25, v3, v15, vcc
	s_waitcnt lgkmcnt(0)
	v_xor_b32_e32 v6, 0x80000000, v21
	v_xor_b32_e32 v15, 0x80000000, v23
	v_cmp_gt_f64_e32 vcc, 0, v[22:23]
	v_cmp_gt_f64_e64 s[0:1], 0, v[20:21]
	v_add_f64 v[16:17], v[16:17], v[24:25]
	v_mov_b32_e32 v24, v20
	v_mov_b32_e32 v26, v22
	v_cndmask_b32_e64 v25, v21, v6, s[0:1]
	v_cndmask_b32_e32 v27, v23, v15, vcc
	v_add_f64 v[24:25], v[24:25], v[26:27]
	v_mov_b32_e32 v19, s48
	s_add_i32 s48, s48, 1
	v_cmp_lt_f64_e32 vcc, v[16:17], v[24:25]
	v_add_u32_e32 v4, 16, v4
	s_cmp_eq_u32 s52, s48
	v_cndmask_b32_e32 v1, v1, v21, vcc
	v_cndmask_b32_e32 v0, v0, v20, vcc
	v_cndmask_b32_e32 v3, v3, v23, vcc
	v_cndmask_b32_e32 v2, v2, v22, vcc
	v_cndmask_b32_e32 v5, v5, v19, vcc
	s_cbranch_scc0 .LBB124_5
.LBB124_6:
	s_waitcnt lgkmcnt(0)
	v_cmp_neq_f64_e32 vcc, 0, v[0:1]
	v_cmp_neq_f64_e64 s[0:1], 0, v[2:3]
	s_mov_b32 s91, s12
	s_mov_b32 s83, s13
	;; [unrolled: 1-line block ×58, first 2 shown]
	s_or_b64 s[4:5], vcc, s[0:1]
	v_mov_b32_e32 v15, 1
	v_mov_b32_e32 v19, 1
	s_mov_b32 s10, 16
	s_mov_b32 s9, 32
	;; [unrolled: 1-line block ×4, first 2 shown]
	s_and_saveexec_b64 s[0:1], s[4:5]
	s_mov_b32 s86, s12
	s_mov_b32 s87, s13
	;; [unrolled: 1-line block ×8, first 2 shown]
	s_cbranch_execz .LBB124_12
; %bb.7:
	v_cmp_ngt_f64_e64 s[4:5], |v[0:1]|, |v[2:3]|
	s_and_saveexec_b64 s[12:13], s[4:5]
	s_xor_b64 s[12:13], exec, s[12:13]
	s_cbranch_execz .LBB124_9
; %bb.8:
	v_div_scale_f64 v[16:17], s[4:5], v[2:3], v[2:3], v[0:1]
	v_rcp_f64_e32 v[20:21], v[16:17]
	v_div_scale_f64 v[22:23], vcc, v[0:1], v[2:3], v[0:1]
	v_fma_f64 v[24:25], -v[16:17], v[20:21], 1.0
	v_fmac_f64_e32 v[20:21], v[20:21], v[24:25]
	v_fma_f64 v[24:25], -v[16:17], v[20:21], 1.0
	v_fmac_f64_e32 v[20:21], v[20:21], v[24:25]
	v_mul_f64 v[24:25], v[22:23], v[20:21]
	v_fma_f64 v[16:17], -v[16:17], v[24:25], v[22:23]
	v_div_fmas_f64 v[16:17], v[16:17], v[20:21], v[24:25]
	v_div_fixup_f64 v[16:17], v[16:17], v[2:3], v[0:1]
	v_fmac_f64_e32 v[2:3], v[0:1], v[16:17]
	v_div_scale_f64 v[0:1], s[4:5], v[2:3], v[2:3], 1.0
	v_rcp_f64_e32 v[20:21], v[0:1]
	s_nop 0
	v_fma_f64 v[22:23], -v[0:1], v[20:21], 1.0
	v_fmac_f64_e32 v[20:21], v[20:21], v[22:23]
	v_fma_f64 v[22:23], -v[0:1], v[20:21], 1.0
	v_fmac_f64_e32 v[20:21], v[20:21], v[22:23]
	v_div_scale_f64 v[22:23], vcc, 1.0, v[2:3], 1.0
	v_mul_f64 v[24:25], v[22:23], v[20:21]
	v_fma_f64 v[0:1], -v[0:1], v[24:25], v[22:23]
	s_nop 1
	v_div_fmas_f64 v[0:1], v[0:1], v[20:21], v[24:25]
	v_div_fixup_f64 v[2:3], v[0:1], v[2:3], 1.0
	v_mul_f64 v[0:1], v[16:17], v[2:3]
	v_xor_b32_e32 v3, 0x80000000, v3
.LBB124_9:
	s_andn2_saveexec_b64 s[12:13], s[12:13]
	s_cbranch_execz .LBB124_11
; %bb.10:
	v_div_scale_f64 v[16:17], s[4:5], v[0:1], v[0:1], v[2:3]
	v_rcp_f64_e32 v[20:21], v[16:17]
	v_div_scale_f64 v[22:23], vcc, v[2:3], v[0:1], v[2:3]
	v_fma_f64 v[24:25], -v[16:17], v[20:21], 1.0
	v_fmac_f64_e32 v[20:21], v[20:21], v[24:25]
	v_fma_f64 v[24:25], -v[16:17], v[20:21], 1.0
	v_fmac_f64_e32 v[20:21], v[20:21], v[24:25]
	v_mul_f64 v[24:25], v[22:23], v[20:21]
	v_fma_f64 v[16:17], -v[16:17], v[24:25], v[22:23]
	v_div_fmas_f64 v[16:17], v[16:17], v[20:21], v[24:25]
	v_div_fixup_f64 v[16:17], v[16:17], v[0:1], v[2:3]
	v_fmac_f64_e32 v[0:1], v[2:3], v[16:17]
	v_div_scale_f64 v[2:3], s[4:5], v[0:1], v[0:1], 1.0
	v_rcp_f64_e32 v[20:21], v[2:3]
	s_nop 0
	v_fma_f64 v[22:23], -v[2:3], v[20:21], 1.0
	v_fmac_f64_e32 v[20:21], v[20:21], v[22:23]
	v_fma_f64 v[22:23], -v[2:3], v[20:21], 1.0
	v_fmac_f64_e32 v[20:21], v[20:21], v[22:23]
	v_div_scale_f64 v[22:23], vcc, 1.0, v[0:1], 1.0
	v_mul_f64 v[24:25], v[22:23], v[20:21]
	v_fma_f64 v[2:3], -v[2:3], v[24:25], v[22:23]
	s_nop 1
	v_div_fmas_f64 v[2:3], v[2:3], v[20:21], v[24:25]
	v_div_fixup_f64 v[0:1], v[2:3], v[0:1], 1.0
	v_mul_f64 v[2:3], v[16:17], -v[0:1]
.LBB124_11:
	s_or_b64 exec, exec, s[12:13]
	v_mov_b32_e32 v19, 0
	v_mov_b32_e32 v15, 2
.LBB124_12:
	s_or_b64 exec, exec, s[0:1]
	v_cmp_ne_u32_e32 vcc, v7, v5
                                        ; implicit-def: $vgpr17
	s_and_saveexec_b64 s[0:1], vcc
	s_xor_b64 s[0:1], exec, s[0:1]
	s_cbranch_execz .LBB124_18
; %bb.13:
	v_cmp_eq_u32_e32 vcc, 0, v7
	s_and_saveexec_b64 s[12:13], vcc
	s_cbranch_execz .LBB124_17
; %bb.14:
	v_cmp_ne_u32_e32 vcc, 0, v5
	s_xor_b64 s[4:5], s[18:19], -1
	s_and_b64 s[4:5], s[4:5], vcc
	s_and_saveexec_b64 s[14:15], s[4:5]
	s_cbranch_execz .LBB124_16
; %bb.15:
	v_ashrrev_i32_e32 v7, 31, v5
	v_mov_b32_e32 v6, v5
	v_lshl_add_u64 v[6:7], v[6:7], 2, v[10:11]
	global_load_dword v4, v[6:7], off
	global_load_dword v16, v[10:11], off
	s_waitcnt vmcnt(1)
	global_store_dword v[10:11], v4, off
	s_waitcnt vmcnt(1)
	global_store_dword v[6:7], v16, off
.LBB124_16:
	s_or_b64 exec, exec, s[14:15]
	v_mov_b32_e32 v7, v5
.LBB124_17:
	s_or_b64 exec, exec, s[12:13]
	v_mov_b32_e32 v17, v7
                                        ; implicit-def: $vgpr7
.LBB124_18:
	s_or_saveexec_b64 s[0:1], s[0:1]
	v_mov_b32_e32 v16, v17
	s_xor_b64 exec, exec, s[0:1]
	s_cbranch_execz .LBB124_22
; %bb.19:
	s_mov_b32 s4, 0
	v_add3_u32 v4, v18, 0, 16
.LBB124_20:                             ; =>This Inner Loop Header: Depth=1
	s_add_i32 s12, s4, 16
	s_add_i32 s5, s4, 32
	scratch_load_dwordx4 v[20:23], off, s12
	scratch_load_dwordx4 v[24:27], off, s5
	v_add_u32_e32 v5, s4, v4
	s_add_i32 s4, s4, 32
	s_cmpk_eq_i32 s4, 0x3e0
	s_waitcnt vmcnt(1)
	ds_write2_b64 v5, v[20:21], v[22:23] offset1:1
	s_waitcnt vmcnt(0)
	ds_write2_b64 v5, v[24:25], v[26:27] offset0:2 offset1:3
	s_cbranch_scc0 .LBB124_20
; %bb.21:
	v_mov_b32_e32 v17, 0
	v_mov_b32_e32 v16, v7
.LBB124_22:
	s_or_b64 exec, exec, s[0:1]
	s_mov_b32 s4, 0
	v_cmp_lt_i32_e32 vcc, 0, v17
	s_waitcnt lgkmcnt(0)
	s_barrier
	s_and_saveexec_b64 s[0:1], vcc
	s_cbranch_execz .LBB124_25
; %bb.23:
	scratch_load_dwordx4 v[20:23], off, off
	s_waitcnt vmcnt(0)
	v_mul_f64 v[4:5], v[2:3], v[22:23]
	v_mul_f64 v[6:7], v[0:1], v[22:23]
	v_fma_f64 v[4:5], v[0:1], v[20:21], -v[4:5]
	v_fmac_f64_e32 v[6:7], v[2:3], v[20:21]
	v_add3_u32 v0, v18, 0, 16
	scratch_store_dwordx4 off, v[4:7], off
.LBB124_24:                             ; =>This Inner Loop Header: Depth=1
	s_add_i32 s12, s4, 16
	s_add_i32 s5, s4, 32
	scratch_load_dwordx4 v[20:23], off, s12
	scratch_load_dwordx4 v[24:27], off, s5
	v_add_u32_e32 v1, s4, v0
	ds_read2_b64 v[28:31], v1 offset1:1
	ds_read2_b64 v[32:35], v1 offset0:2 offset1:3
	s_add_i32 s4, s4, 32
	s_cmpk_lg_i32 s4, 0x3e0
	s_waitcnt lgkmcnt(1)
	v_mul_f64 v[2:3], v[30:31], v[6:7]
	v_mul_f64 v[36:37], v[28:29], v[6:7]
	s_waitcnt lgkmcnt(0)
	v_mul_f64 v[38:39], v[34:35], v[6:7]
	v_mul_f64 v[40:41], v[32:33], v[6:7]
	v_fma_f64 v[2:3], v[28:29], v[4:5], -v[2:3]
	v_fmac_f64_e32 v[36:37], v[30:31], v[4:5]
	v_fma_f64 v[28:29], v[32:33], v[4:5], -v[38:39]
	v_fmac_f64_e32 v[40:41], v[34:35], v[4:5]
	s_waitcnt vmcnt(1)
	v_add_f64 v[20:21], v[20:21], -v[2:3]
	v_add_f64 v[22:23], v[22:23], -v[36:37]
	s_waitcnt vmcnt(0)
	v_add_f64 v[24:25], v[24:25], -v[28:29]
	v_add_f64 v[26:27], v[26:27], -v[40:41]
	scratch_store_dwordx4 off, v[20:23], s12
	scratch_store_dwordx4 off, v[24:27], s5
	s_cbranch_scc1 .LBB124_24
.LBB124_25:
	s_or_b64 exec, exec, s[0:1]
	s_barrier
	scratch_load_dwordx4 v[0:3], off, s95
	v_lshl_add_u32 v4, v17, 4, v14
	s_cmp_lt_i32 s52, 3
	s_waitcnt vmcnt(0)
	ds_write2_b64 v4, v[0:1], v[2:3] offset1:1
	s_waitcnt lgkmcnt(0)
	s_barrier
	ds_read2_b64 v[0:3], v14 offset0:2 offset1:3
	v_mov_b32_e32 v4, 1
	s_cbranch_scc1 .LBB124_28
; %bb.26:
	v_add3_u32 v5, v18, 0, 32
	s_mov_b32 s4, 2
	v_mov_b32_e32 v4, 1
.LBB124_27:                             ; =>This Inner Loop Header: Depth=1
	ds_read2_b64 v[20:23], v5 offset1:1
	s_waitcnt lgkmcnt(1)
	v_xor_b32_e32 v7, 0x80000000, v1
	v_xor_b32_e32 v25, 0x80000000, v3
	v_cmp_gt_f64_e32 vcc, 0, v[2:3]
	v_cmp_gt_f64_e64 s[0:1], 0, v[0:1]
	v_mov_b32_e32 v6, v0
	v_mov_b32_e32 v24, v2
	v_cndmask_b32_e64 v7, v1, v7, s[0:1]
	v_cndmask_b32_e32 v25, v3, v25, vcc
	v_add_f64 v[6:7], v[6:7], v[24:25]
	s_waitcnt lgkmcnt(0)
	v_xor_b32_e32 v25, 0x80000000, v21
	v_xor_b32_e32 v27, 0x80000000, v23
	v_cmp_gt_f64_e32 vcc, 0, v[22:23]
	v_cmp_gt_f64_e64 s[0:1], 0, v[20:21]
	v_mov_b32_e32 v24, v20
	v_mov_b32_e32 v26, v22
	v_cndmask_b32_e64 v25, v21, v25, s[0:1]
	v_cndmask_b32_e32 v27, v23, v27, vcc
	v_add_f64 v[24:25], v[24:25], v[26:27]
	v_mov_b32_e32 v28, s4
	s_add_i32 s4, s4, 1
	v_cmp_lt_f64_e32 vcc, v[6:7], v[24:25]
	v_add_u32_e32 v5, 16, v5
	s_cmp_lg_u32 s52, s4
	v_cndmask_b32_e32 v1, v1, v21, vcc
	v_cndmask_b32_e32 v0, v0, v20, vcc
	;; [unrolled: 1-line block ×5, first 2 shown]
	s_cbranch_scc1 .LBB124_27
.LBB124_28:
	s_waitcnt lgkmcnt(0)
	v_cmp_neq_f64_e32 vcc, 0, v[0:1]
	v_cmp_neq_f64_e64 s[0:1], 0, v[2:3]
	s_or_b64 s[4:5], vcc, s[0:1]
	s_and_saveexec_b64 s[0:1], s[4:5]
	s_cbranch_execz .LBB124_34
; %bb.29:
	v_cmp_ngt_f64_e64 s[4:5], |v[0:1]|, |v[2:3]|
	s_and_saveexec_b64 s[12:13], s[4:5]
	s_xor_b64 s[12:13], exec, s[12:13]
	s_cbranch_execz .LBB124_31
; %bb.30:
	v_div_scale_f64 v[6:7], s[4:5], v[2:3], v[2:3], v[0:1]
	v_rcp_f64_e32 v[20:21], v[6:7]
	v_div_scale_f64 v[22:23], vcc, v[0:1], v[2:3], v[0:1]
	v_fma_f64 v[24:25], -v[6:7], v[20:21], 1.0
	v_fmac_f64_e32 v[20:21], v[20:21], v[24:25]
	v_fma_f64 v[24:25], -v[6:7], v[20:21], 1.0
	v_fmac_f64_e32 v[20:21], v[20:21], v[24:25]
	v_mul_f64 v[24:25], v[22:23], v[20:21]
	v_fma_f64 v[6:7], -v[6:7], v[24:25], v[22:23]
	v_div_fmas_f64 v[6:7], v[6:7], v[20:21], v[24:25]
	v_div_fixup_f64 v[6:7], v[6:7], v[2:3], v[0:1]
	v_fmac_f64_e32 v[2:3], v[0:1], v[6:7]
	v_div_scale_f64 v[0:1], s[4:5], v[2:3], v[2:3], 1.0
	v_rcp_f64_e32 v[20:21], v[0:1]
	s_nop 0
	v_fma_f64 v[22:23], -v[0:1], v[20:21], 1.0
	v_fmac_f64_e32 v[20:21], v[20:21], v[22:23]
	v_fma_f64 v[22:23], -v[0:1], v[20:21], 1.0
	v_fmac_f64_e32 v[20:21], v[20:21], v[22:23]
	v_div_scale_f64 v[22:23], vcc, 1.0, v[2:3], 1.0
	v_mul_f64 v[24:25], v[22:23], v[20:21]
	v_fma_f64 v[0:1], -v[0:1], v[24:25], v[22:23]
	s_nop 1
	v_div_fmas_f64 v[0:1], v[0:1], v[20:21], v[24:25]
	v_div_fixup_f64 v[2:3], v[0:1], v[2:3], 1.0
	v_mul_f64 v[0:1], v[6:7], v[2:3]
	v_xor_b32_e32 v3, 0x80000000, v3
.LBB124_31:
	s_andn2_saveexec_b64 s[12:13], s[12:13]
	s_cbranch_execz .LBB124_33
; %bb.32:
	v_div_scale_f64 v[6:7], s[4:5], v[0:1], v[0:1], v[2:3]
	v_rcp_f64_e32 v[20:21], v[6:7]
	v_div_scale_f64 v[22:23], vcc, v[2:3], v[0:1], v[2:3]
	v_fma_f64 v[24:25], -v[6:7], v[20:21], 1.0
	v_fmac_f64_e32 v[20:21], v[20:21], v[24:25]
	v_fma_f64 v[24:25], -v[6:7], v[20:21], 1.0
	v_fmac_f64_e32 v[20:21], v[20:21], v[24:25]
	v_mul_f64 v[24:25], v[22:23], v[20:21]
	v_fma_f64 v[6:7], -v[6:7], v[24:25], v[22:23]
	v_div_fmas_f64 v[6:7], v[6:7], v[20:21], v[24:25]
	v_div_fixup_f64 v[6:7], v[6:7], v[0:1], v[2:3]
	v_fmac_f64_e32 v[0:1], v[2:3], v[6:7]
	v_div_scale_f64 v[2:3], s[4:5], v[0:1], v[0:1], 1.0
	v_rcp_f64_e32 v[20:21], v[2:3]
	s_nop 0
	v_fma_f64 v[22:23], -v[2:3], v[20:21], 1.0
	v_fmac_f64_e32 v[20:21], v[20:21], v[22:23]
	v_fma_f64 v[22:23], -v[2:3], v[20:21], 1.0
	v_fmac_f64_e32 v[20:21], v[20:21], v[22:23]
	v_div_scale_f64 v[22:23], vcc, 1.0, v[0:1], 1.0
	v_mul_f64 v[24:25], v[22:23], v[20:21]
	v_fma_f64 v[2:3], -v[2:3], v[24:25], v[22:23]
	s_nop 1
	v_div_fmas_f64 v[2:3], v[2:3], v[20:21], v[24:25]
	v_div_fixup_f64 v[0:1], v[2:3], v[0:1], 1.0
	v_mul_f64 v[2:3], v[6:7], -v[0:1]
.LBB124_33:
	s_or_b64 exec, exec, s[12:13]
	v_mov_b32_e32 v15, v19
.LBB124_34:
	s_or_b64 exec, exec, s[0:1]
	v_cmp_ne_u32_e32 vcc, v17, v4
	s_and_saveexec_b64 s[0:1], vcc
	s_xor_b64 s[0:1], exec, s[0:1]
	s_cbranch_execz .LBB124_40
; %bb.35:
	v_cmp_eq_u32_e32 vcc, 1, v17
	s_and_saveexec_b64 s[12:13], vcc
	s_cbranch_execz .LBB124_39
; %bb.36:
	v_cmp_ne_u32_e32 vcc, 1, v4
	s_xor_b64 s[4:5], s[18:19], -1
	s_and_b64 s[4:5], s[4:5], vcc
	s_and_saveexec_b64 s[14:15], s[4:5]
	s_cbranch_execz .LBB124_38
; %bb.37:
	v_ashrrev_i32_e32 v5, 31, v4
	v_lshl_add_u64 v[6:7], v[4:5], 2, v[10:11]
	global_load_dword v5, v[6:7], off
	global_load_dword v16, v[10:11], off offset:4
	s_waitcnt vmcnt(1)
	global_store_dword v[10:11], v5, off offset:4
	s_waitcnt vmcnt(1)
	global_store_dword v[6:7], v16, off
.LBB124_38:
	s_or_b64 exec, exec, s[14:15]
	v_mov_b32_e32 v17, v4
	v_mov_b32_e32 v16, v4
.LBB124_39:
	s_or_b64 exec, exec, s[12:13]
.LBB124_40:
	s_andn2_saveexec_b64 s[0:1], s[0:1]
	s_cbranch_execz .LBB124_46
; %bb.41:
	s_mov_b32 s4, 0
	v_add3_u32 v4, v18, 0, 32
	s_branch .LBB124_43
.LBB124_42:                             ;   in Loop: Header=BB124_43 Depth=1
	s_andn2_b64 vcc, exec, s[12:13]
	s_cbranch_vccz .LBB124_45
.LBB124_43:                             ; =>This Inner Loop Header: Depth=1
	s_add_i32 s12, s4, 32
	s_add_i32 s13, s4, 48
	scratch_load_dwordx4 v[20:23], off, s12
	scratch_load_dwordx4 v[24:27], off, s13
	s_add_i32 s12, s4, 64
	s_add_i32 s13, s4, 0x50
	scratch_load_dwordx4 v[28:31], off, s12
	scratch_load_dwordx4 v[32:35], off, s13
	s_add_i32 s12, s4, 0x60
	scratch_load_dwordx4 v[36:39], off, s12
	s_mov_b32 s5, s4
	v_add_u32_e32 v5, s4, v4
	s_cmpk_eq_i32 s4, 0x380
	s_mov_b64 s[12:13], -1
	s_waitcnt vmcnt(4)
	ds_write2_b64 v5, v[20:21], v[22:23] offset1:1
	s_waitcnt vmcnt(3)
	ds_write2_b64 v5, v[24:25], v[26:27] offset0:2 offset1:3
	s_waitcnt vmcnt(2)
	ds_write2_b64 v5, v[28:29], v[30:31] offset0:4 offset1:5
	;; [unrolled: 2-line block ×4, first 2 shown]
	s_cbranch_scc1 .LBB124_42
; %bb.44:                               ;   in Loop: Header=BB124_43 Depth=1
	s_add_i32 s12, s5, 0x70
	s_add_i32 s13, s5, 0x80
	scratch_load_dwordx4 v[20:23], off, s12
	scratch_load_dwordx4 v[24:27], off, s13
	s_addk_i32 s5, 0x90
	scratch_load_dwordx4 v[28:31], off, s5
	s_addk_i32 s4, 0x80
	s_mov_b64 s[12:13], 0
	s_waitcnt vmcnt(2)
	ds_write2_b64 v5, v[20:21], v[22:23] offset0:10 offset1:11
	s_waitcnt vmcnt(1)
	ds_write2_b64 v5, v[24:25], v[26:27] offset0:12 offset1:13
	;; [unrolled: 2-line block ×3, first 2 shown]
	s_branch .LBB124_42
.LBB124_45:
	v_mov_b32_e32 v17, 1
.LBB124_46:
	s_or_b64 exec, exec, s[0:1]
	v_cmp_lt_i32_e32 vcc, 1, v17
	s_waitcnt lgkmcnt(0)
	s_barrier
	s_and_saveexec_b64 s[0:1], vcc
	s_cbranch_execz .LBB124_51
; %bb.47:
	scratch_load_dwordx4 v[20:23], off, off offset:16
	s_mov_b32 s14, 0
	s_waitcnt vmcnt(0)
	v_mul_f64 v[4:5], v[2:3], v[22:23]
	v_mul_f64 v[6:7], v[0:1], v[22:23]
	v_fma_f64 v[4:5], v[0:1], v[20:21], -v[4:5]
	v_fmac_f64_e32 v[6:7], v[2:3], v[20:21]
	v_add3_u32 v0, v18, 0, 32
	scratch_store_dwordx4 off, v[4:7], off offset:16
	s_branch .LBB124_49
.LBB124_48:                             ;   in Loop: Header=BB124_49 Depth=1
	s_andn2_b64 vcc, exec, s[12:13]
	s_cbranch_vccz .LBB124_51
.LBB124_49:                             ; =>This Inner Loop Header: Depth=1
	s_add_i32 s4, s14, 32
	scratch_load_dwordx4 v[20:23], off, s4
	s_add_i32 s5, s14, 48
	s_add_i32 s12, s14, 64
	;; [unrolled: 1-line block ×4, first 2 shown]
	scratch_load_dwordx4 v[24:27], off, s5
	scratch_load_dwordx4 v[28:31], off, s12
	;; [unrolled: 1-line block ×4, first 2 shown]
	v_add_u32_e32 v1, s14, v0
	ds_read2_b64 v[40:43], v1 offset1:1
	ds_read2_b64 v[44:47], v1 offset0:2 offset1:3
	ds_read2_b64 v[48:51], v1 offset0:4 offset1:5
	;; [unrolled: 1-line block ×4, first 2 shown]
	s_waitcnt lgkmcnt(4)
	v_mul_f64 v[2:3], v[42:43], v[6:7]
	v_mul_f64 v[60:61], v[40:41], v[6:7]
	s_waitcnt lgkmcnt(3)
	v_mul_f64 v[62:63], v[46:47], v[6:7]
	v_mul_f64 v[64:65], v[44:45], v[6:7]
	;; [unrolled: 3-line block ×5, first 2 shown]
	v_fma_f64 v[2:3], v[40:41], v[4:5], -v[2:3]
	v_fmac_f64_e32 v[60:61], v[42:43], v[4:5]
	v_fma_f64 v[40:41], v[44:45], v[4:5], -v[62:63]
	v_fmac_f64_e32 v[64:65], v[46:47], v[4:5]
	;; [unrolled: 2-line block ×5, first 2 shown]
	s_mov_b32 s15, s14
	s_cmpk_eq_i32 s14, 0x380
	s_waitcnt vmcnt(4)
	v_add_f64 v[20:21], v[20:21], -v[2:3]
	v_add_f64 v[22:23], v[22:23], -v[60:61]
	s_waitcnt vmcnt(3)
	v_add_f64 v[24:25], v[24:25], -v[40:41]
	v_add_f64 v[26:27], v[26:27], -v[64:65]
	;; [unrolled: 3-line block ×5, first 2 shown]
	scratch_store_dwordx4 off, v[20:23], s4
	scratch_store_dwordx4 off, v[24:27], s5
	;; [unrolled: 1-line block ×5, first 2 shown]
	s_mov_b64 s[12:13], -1
	s_cbranch_scc1 .LBB124_48
; %bb.50:                               ;   in Loop: Header=BB124_49 Depth=1
	s_add_i32 s4, s15, 0x70
	scratch_load_dwordx4 v[20:23], off, s4
	s_add_i32 s5, s15, 0x80
	s_addk_i32 s15, 0x90
	scratch_load_dwordx4 v[24:27], off, s5
	scratch_load_dwordx4 v[28:31], off, s15
	ds_read2_b64 v[32:35], v1 offset0:10 offset1:11
	ds_read2_b64 v[36:39], v1 offset0:12 offset1:13
	;; [unrolled: 1-line block ×3, first 2 shown]
	s_addk_i32 s14, 0x80
	s_mov_b64 s[12:13], 0
	s_waitcnt lgkmcnt(2)
	v_mul_f64 v[2:3], v[34:35], v[6:7]
	v_mul_f64 v[44:45], v[32:33], v[6:7]
	s_waitcnt lgkmcnt(1)
	v_mul_f64 v[46:47], v[38:39], v[6:7]
	v_mul_f64 v[48:49], v[36:37], v[6:7]
	;; [unrolled: 3-line block ×3, first 2 shown]
	v_fma_f64 v[2:3], v[32:33], v[4:5], -v[2:3]
	v_fmac_f64_e32 v[44:45], v[34:35], v[4:5]
	v_fma_f64 v[32:33], v[36:37], v[4:5], -v[46:47]
	v_fmac_f64_e32 v[48:49], v[38:39], v[4:5]
	;; [unrolled: 2-line block ×3, first 2 shown]
	s_waitcnt vmcnt(2)
	v_add_f64 v[20:21], v[20:21], -v[2:3]
	v_add_f64 v[22:23], v[22:23], -v[44:45]
	s_waitcnt vmcnt(1)
	v_add_f64 v[24:25], v[24:25], -v[32:33]
	v_add_f64 v[26:27], v[26:27], -v[48:49]
	;; [unrolled: 3-line block ×3, first 2 shown]
	scratch_store_dwordx4 off, v[20:23], s4
	scratch_store_dwordx4 off, v[24:27], s5
	scratch_store_dwordx4 off, v[28:31], s15
	s_branch .LBB124_48
.LBB124_51:
	s_or_b64 exec, exec, s[0:1]
	s_barrier
	scratch_load_dwordx4 v[0:3], off, s94
	v_lshl_add_u32 v4, v17, 4, v14
	s_cmp_lt_i32 s52, 4
	s_waitcnt vmcnt(0)
	ds_write2_b64 v4, v[0:1], v[2:3] offset1:1
	s_waitcnt lgkmcnt(0)
	s_barrier
	ds_read2_b64 v[0:3], v14 offset0:4 offset1:5
	v_mov_b32_e32 v4, 2
	s_cbranch_scc1 .LBB124_54
; %bb.52:
	v_add3_u32 v5, v18, 0, 48
	s_mov_b32 s4, 3
	v_mov_b32_e32 v4, 2
.LBB124_53:                             ; =>This Inner Loop Header: Depth=1
	ds_read2_b64 v[20:23], v5 offset1:1
	s_waitcnt lgkmcnt(1)
	v_xor_b32_e32 v7, 0x80000000, v1
	v_xor_b32_e32 v19, 0x80000000, v3
	v_cmp_gt_f64_e32 vcc, 0, v[2:3]
	v_cmp_gt_f64_e64 s[0:1], 0, v[0:1]
	v_mov_b32_e32 v6, v0
	v_mov_b32_e32 v24, v2
	v_cndmask_b32_e64 v7, v1, v7, s[0:1]
	v_cndmask_b32_e32 v25, v3, v19, vcc
	s_waitcnt lgkmcnt(0)
	v_xor_b32_e32 v19, 0x80000000, v21
	v_xor_b32_e32 v27, 0x80000000, v23
	v_cmp_gt_f64_e32 vcc, 0, v[22:23]
	v_cmp_gt_f64_e64 s[0:1], 0, v[20:21]
	v_add_f64 v[6:7], v[6:7], v[24:25]
	v_mov_b32_e32 v24, v20
	v_mov_b32_e32 v26, v22
	v_cndmask_b32_e64 v25, v21, v19, s[0:1]
	v_cndmask_b32_e32 v27, v23, v27, vcc
	v_add_f64 v[24:25], v[24:25], v[26:27]
	v_mov_b32_e32 v28, s4
	s_add_i32 s4, s4, 1
	v_cmp_lt_f64_e32 vcc, v[6:7], v[24:25]
	v_add_u32_e32 v5, 16, v5
	s_cmp_lg_u32 s52, s4
	v_cndmask_b32_e32 v1, v1, v21, vcc
	v_cndmask_b32_e32 v0, v0, v20, vcc
	v_cndmask_b32_e32 v3, v3, v23, vcc
	v_cndmask_b32_e32 v2, v2, v22, vcc
	v_cndmask_b32_e32 v4, v4, v28, vcc
	s_cbranch_scc1 .LBB124_53
.LBB124_54:
	s_waitcnt lgkmcnt(0)
	v_cmp_eq_f64_e32 vcc, 0, v[0:1]
	v_cmp_eq_f64_e64 s[0:1], 0, v[2:3]
	s_and_b64 s[0:1], vcc, s[0:1]
	s_and_saveexec_b64 s[4:5], s[0:1]
	s_xor_b64 s[0:1], exec, s[4:5]
; %bb.55:
	v_cmp_ne_u32_e32 vcc, 0, v15
	s_nop 1
	v_cndmask_b32_e32 v15, 3, v15, vcc
; %bb.56:
	s_andn2_saveexec_b64 s[0:1], s[0:1]
	s_cbranch_execz .LBB124_62
; %bb.57:
	v_cmp_ngt_f64_e64 s[4:5], |v[0:1]|, |v[2:3]|
	s_and_saveexec_b64 s[12:13], s[4:5]
	s_xor_b64 s[12:13], exec, s[12:13]
	s_cbranch_execz .LBB124_59
; %bb.58:
	v_div_scale_f64 v[6:7], s[4:5], v[2:3], v[2:3], v[0:1]
	v_rcp_f64_e32 v[20:21], v[6:7]
	v_div_scale_f64 v[22:23], vcc, v[0:1], v[2:3], v[0:1]
	v_fma_f64 v[24:25], -v[6:7], v[20:21], 1.0
	v_fmac_f64_e32 v[20:21], v[20:21], v[24:25]
	v_fma_f64 v[24:25], -v[6:7], v[20:21], 1.0
	v_fmac_f64_e32 v[20:21], v[20:21], v[24:25]
	v_mul_f64 v[24:25], v[22:23], v[20:21]
	v_fma_f64 v[6:7], -v[6:7], v[24:25], v[22:23]
	v_div_fmas_f64 v[6:7], v[6:7], v[20:21], v[24:25]
	v_div_fixup_f64 v[6:7], v[6:7], v[2:3], v[0:1]
	v_fmac_f64_e32 v[2:3], v[0:1], v[6:7]
	v_div_scale_f64 v[0:1], s[4:5], v[2:3], v[2:3], 1.0
	v_rcp_f64_e32 v[20:21], v[0:1]
	s_nop 0
	v_fma_f64 v[22:23], -v[0:1], v[20:21], 1.0
	v_fmac_f64_e32 v[20:21], v[20:21], v[22:23]
	v_fma_f64 v[22:23], -v[0:1], v[20:21], 1.0
	v_fmac_f64_e32 v[20:21], v[20:21], v[22:23]
	v_div_scale_f64 v[22:23], vcc, 1.0, v[2:3], 1.0
	v_mul_f64 v[24:25], v[22:23], v[20:21]
	v_fma_f64 v[0:1], -v[0:1], v[24:25], v[22:23]
	s_nop 1
	v_div_fmas_f64 v[0:1], v[0:1], v[20:21], v[24:25]
	v_div_fixup_f64 v[2:3], v[0:1], v[2:3], 1.0
	v_mul_f64 v[0:1], v[6:7], v[2:3]
	v_xor_b32_e32 v3, 0x80000000, v3
.LBB124_59:
	s_andn2_saveexec_b64 s[12:13], s[12:13]
	s_cbranch_execz .LBB124_61
; %bb.60:
	v_div_scale_f64 v[6:7], s[4:5], v[0:1], v[0:1], v[2:3]
	v_rcp_f64_e32 v[20:21], v[6:7]
	v_div_scale_f64 v[22:23], vcc, v[2:3], v[0:1], v[2:3]
	v_fma_f64 v[24:25], -v[6:7], v[20:21], 1.0
	v_fmac_f64_e32 v[20:21], v[20:21], v[24:25]
	v_fma_f64 v[24:25], -v[6:7], v[20:21], 1.0
	v_fmac_f64_e32 v[20:21], v[20:21], v[24:25]
	v_mul_f64 v[24:25], v[22:23], v[20:21]
	v_fma_f64 v[6:7], -v[6:7], v[24:25], v[22:23]
	v_div_fmas_f64 v[6:7], v[6:7], v[20:21], v[24:25]
	v_div_fixup_f64 v[6:7], v[6:7], v[0:1], v[2:3]
	v_fmac_f64_e32 v[0:1], v[2:3], v[6:7]
	v_div_scale_f64 v[2:3], s[4:5], v[0:1], v[0:1], 1.0
	v_rcp_f64_e32 v[20:21], v[2:3]
	s_nop 0
	v_fma_f64 v[22:23], -v[2:3], v[20:21], 1.0
	v_fmac_f64_e32 v[20:21], v[20:21], v[22:23]
	v_fma_f64 v[22:23], -v[2:3], v[20:21], 1.0
	v_fmac_f64_e32 v[20:21], v[20:21], v[22:23]
	v_div_scale_f64 v[22:23], vcc, 1.0, v[0:1], 1.0
	v_mul_f64 v[24:25], v[22:23], v[20:21]
	v_fma_f64 v[2:3], -v[2:3], v[24:25], v[22:23]
	s_nop 1
	v_div_fmas_f64 v[2:3], v[2:3], v[20:21], v[24:25]
	v_div_fixup_f64 v[0:1], v[2:3], v[0:1], 1.0
	v_mul_f64 v[2:3], v[6:7], -v[0:1]
.LBB124_61:
	s_or_b64 exec, exec, s[12:13]
.LBB124_62:
	s_or_b64 exec, exec, s[0:1]
	v_cmp_ne_u32_e32 vcc, v17, v4
	s_and_saveexec_b64 s[0:1], vcc
	s_xor_b64 s[0:1], exec, s[0:1]
	s_cbranch_execz .LBB124_68
; %bb.63:
	v_cmp_eq_u32_e32 vcc, 2, v17
	s_and_saveexec_b64 s[12:13], vcc
	s_cbranch_execz .LBB124_67
; %bb.64:
	v_cmp_ne_u32_e32 vcc, 2, v4
	s_xor_b64 s[4:5], s[18:19], -1
	s_and_b64 s[4:5], s[4:5], vcc
	s_and_saveexec_b64 s[14:15], s[4:5]
	s_cbranch_execz .LBB124_66
; %bb.65:
	v_ashrrev_i32_e32 v5, 31, v4
	v_lshl_add_u64 v[6:7], v[4:5], 2, v[10:11]
	global_load_dword v5, v[6:7], off
	global_load_dword v16, v[10:11], off offset:8
	s_waitcnt vmcnt(1)
	global_store_dword v[10:11], v5, off offset:8
	s_waitcnt vmcnt(1)
	global_store_dword v[6:7], v16, off
.LBB124_66:
	s_or_b64 exec, exec, s[14:15]
	v_mov_b32_e32 v17, v4
	v_mov_b32_e32 v16, v4
.LBB124_67:
	s_or_b64 exec, exec, s[12:13]
.LBB124_68:
	s_andn2_saveexec_b64 s[0:1], s[0:1]
	s_cbranch_execz .LBB124_72
; %bb.69:
	s_mov_b32 s4, 0
	v_add3_u32 v4, v18, 0, 48
.LBB124_70:                             ; =>This Inner Loop Header: Depth=1
	s_add_i32 s12, s4, 48
	s_add_i32 s13, s4, 64
	;; [unrolled: 1-line block ×15, first 2 shown]
	scratch_load_dwordx4 v[20:23], off, s12
	scratch_load_dwordx4 v[24:27], off, s13
	;; [unrolled: 1-line block ×15, first 2 shown]
	v_add_u32_e32 v5, s4, v4
	s_addk_i32 s4, 0xf0
	s_cmpk_eq_i32 s4, 0x3c0
	s_waitcnt vmcnt(14)
	ds_write2_b64 v5, v[20:21], v[22:23] offset1:1
	s_waitcnt vmcnt(13)
	ds_write2_b64 v5, v[24:25], v[26:27] offset0:2 offset1:3
	s_waitcnt vmcnt(12)
	ds_write2_b64 v5, v[28:29], v[30:31] offset0:4 offset1:5
	;; [unrolled: 2-line block ×14, first 2 shown]
	s_cbranch_scc0 .LBB124_70
; %bb.71:
	v_mov_b32_e32 v17, 2
.LBB124_72:
	s_or_b64 exec, exec, s[0:1]
	v_cmp_lt_i32_e32 vcc, 2, v17
	s_waitcnt lgkmcnt(0)
	s_barrier
	s_and_saveexec_b64 s[0:1], vcc
	s_cbranch_execz .LBB124_75
; %bb.73:
	scratch_load_dwordx4 v[20:23], off, off offset:32
	s_mov_b32 s12, 0
	s_waitcnt vmcnt(0)
	v_mul_f64 v[4:5], v[2:3], v[22:23]
	v_mul_f64 v[6:7], v[0:1], v[22:23]
	v_fma_f64 v[4:5], v[0:1], v[20:21], -v[4:5]
	v_fmac_f64_e32 v[6:7], v[2:3], v[20:21]
	v_add3_u32 v0, v18, 0, 48
	scratch_store_dwordx4 off, v[4:7], off offset:32
.LBB124_74:                             ; =>This Inner Loop Header: Depth=1
	s_add_i32 s5, s12, 48
	s_add_i32 s13, s12, 64
	;; [unrolled: 1-line block ×6, first 2 shown]
	scratch_load_dwordx4 v[20:23], off, s5
	scratch_load_dwordx4 v[24:27], off, s13
	;; [unrolled: 1-line block ×6, first 2 shown]
	v_add_u32_e32 v1, s12, v0
	ds_read2_b64 v[44:47], v1 offset1:1
	ds_read2_b64 v[48:51], v1 offset0:2 offset1:3
	ds_read2_b64 v[52:55], v1 offset0:4 offset1:5
	;; [unrolled: 1-line block ×5, first 2 shown]
	s_waitcnt lgkmcnt(5)
	v_mul_f64 v[2:3], v[46:47], v[6:7]
	v_mul_f64 v[68:69], v[44:45], v[6:7]
	s_addk_i32 s12, 0x60
	s_waitcnt lgkmcnt(4)
	v_mul_f64 v[70:71], v[50:51], v[6:7]
	v_mul_f64 v[72:73], v[48:49], v[6:7]
	s_waitcnt lgkmcnt(3)
	v_mul_f64 v[74:75], v[54:55], v[6:7]
	v_mul_f64 v[76:77], v[52:53], v[6:7]
	;; [unrolled: 3-line block ×5, first 2 shown]
	v_fma_f64 v[2:3], v[44:45], v[4:5], -v[2:3]
	v_fmac_f64_e32 v[68:69], v[46:47], v[4:5]
	s_cmpk_lg_i32 s12, 0x3c0
	v_fma_f64 v[44:45], v[48:49], v[4:5], -v[70:71]
	v_fmac_f64_e32 v[72:73], v[50:51], v[4:5]
	v_fma_f64 v[46:47], v[52:53], v[4:5], -v[74:75]
	v_fmac_f64_e32 v[76:77], v[54:55], v[4:5]
	;; [unrolled: 2-line block ×5, first 2 shown]
	s_waitcnt vmcnt(5)
	v_add_f64 v[20:21], v[20:21], -v[2:3]
	v_add_f64 v[22:23], v[22:23], -v[68:69]
	s_waitcnt vmcnt(4)
	v_add_f64 v[24:25], v[24:25], -v[44:45]
	v_add_f64 v[26:27], v[26:27], -v[72:73]
	;; [unrolled: 3-line block ×6, first 2 shown]
	scratch_store_dwordx4 off, v[20:23], s5
	scratch_store_dwordx4 off, v[24:27], s13
	;; [unrolled: 1-line block ×6, first 2 shown]
	s_cbranch_scc1 .LBB124_74
.LBB124_75:
	s_or_b64 exec, exec, s[0:1]
	s_barrier
	scratch_load_dwordx4 v[0:3], off, s93
	v_lshl_add_u32 v4, v17, 4, v14
	s_mov_b32 s4, 4
	s_cmp_lt_i32 s52, 5
	s_waitcnt vmcnt(0)
	ds_write2_b64 v4, v[0:1], v[2:3] offset1:1
	s_waitcnt lgkmcnt(0)
	s_barrier
	ds_read2_b64 v[0:3], v14 offset0:6 offset1:7
	v_mov_b32_e32 v4, 3
	s_cbranch_scc1 .LBB124_78
; %bb.76:
	v_add3_u32 v5, v18, 0, 64
	v_mov_b32_e32 v4, 3
.LBB124_77:                             ; =>This Inner Loop Header: Depth=1
	ds_read2_b64 v[20:23], v5 offset1:1
	s_waitcnt lgkmcnt(1)
	v_xor_b32_e32 v7, 0x80000000, v1
	v_xor_b32_e32 v19, 0x80000000, v3
	v_cmp_gt_f64_e32 vcc, 0, v[2:3]
	v_cmp_gt_f64_e64 s[0:1], 0, v[0:1]
	v_mov_b32_e32 v6, v0
	v_mov_b32_e32 v24, v2
	v_cndmask_b32_e64 v7, v1, v7, s[0:1]
	v_cndmask_b32_e32 v25, v3, v19, vcc
	s_waitcnt lgkmcnt(0)
	v_xor_b32_e32 v19, 0x80000000, v21
	v_xor_b32_e32 v27, 0x80000000, v23
	v_cmp_gt_f64_e32 vcc, 0, v[22:23]
	v_cmp_gt_f64_e64 s[0:1], 0, v[20:21]
	v_add_f64 v[6:7], v[6:7], v[24:25]
	v_mov_b32_e32 v24, v20
	v_mov_b32_e32 v26, v22
	v_cndmask_b32_e64 v25, v21, v19, s[0:1]
	v_cndmask_b32_e32 v27, v23, v27, vcc
	v_add_f64 v[24:25], v[24:25], v[26:27]
	v_mov_b32_e32 v28, s4
	s_add_i32 s4, s4, 1
	v_cmp_lt_f64_e32 vcc, v[6:7], v[24:25]
	v_add_u32_e32 v5, 16, v5
	s_cmp_lg_u32 s52, s4
	v_cndmask_b32_e32 v1, v1, v21, vcc
	v_cndmask_b32_e32 v0, v0, v20, vcc
	;; [unrolled: 1-line block ×5, first 2 shown]
	s_cbranch_scc1 .LBB124_77
.LBB124_78:
	s_waitcnt lgkmcnt(0)
	v_cmp_eq_f64_e32 vcc, 0, v[0:1]
	v_cmp_eq_f64_e64 s[0:1], 0, v[2:3]
	s_and_b64 s[0:1], vcc, s[0:1]
	s_and_saveexec_b64 s[4:5], s[0:1]
	s_xor_b64 s[0:1], exec, s[4:5]
; %bb.79:
	v_cmp_ne_u32_e32 vcc, 0, v15
	s_nop 1
	v_cndmask_b32_e32 v15, 4, v15, vcc
; %bb.80:
	s_andn2_saveexec_b64 s[0:1], s[0:1]
	s_cbranch_execz .LBB124_86
; %bb.81:
	v_cmp_ngt_f64_e64 s[4:5], |v[0:1]|, |v[2:3]|
	s_and_saveexec_b64 s[12:13], s[4:5]
	s_xor_b64 s[12:13], exec, s[12:13]
	s_cbranch_execz .LBB124_83
; %bb.82:
	v_div_scale_f64 v[6:7], s[4:5], v[2:3], v[2:3], v[0:1]
	v_rcp_f64_e32 v[20:21], v[6:7]
	v_div_scale_f64 v[22:23], vcc, v[0:1], v[2:3], v[0:1]
	v_fma_f64 v[24:25], -v[6:7], v[20:21], 1.0
	v_fmac_f64_e32 v[20:21], v[20:21], v[24:25]
	v_fma_f64 v[24:25], -v[6:7], v[20:21], 1.0
	v_fmac_f64_e32 v[20:21], v[20:21], v[24:25]
	v_mul_f64 v[24:25], v[22:23], v[20:21]
	v_fma_f64 v[6:7], -v[6:7], v[24:25], v[22:23]
	v_div_fmas_f64 v[6:7], v[6:7], v[20:21], v[24:25]
	v_div_fixup_f64 v[6:7], v[6:7], v[2:3], v[0:1]
	v_fmac_f64_e32 v[2:3], v[0:1], v[6:7]
	v_div_scale_f64 v[0:1], s[4:5], v[2:3], v[2:3], 1.0
	v_rcp_f64_e32 v[20:21], v[0:1]
	s_nop 0
	v_fma_f64 v[22:23], -v[0:1], v[20:21], 1.0
	v_fmac_f64_e32 v[20:21], v[20:21], v[22:23]
	v_fma_f64 v[22:23], -v[0:1], v[20:21], 1.0
	v_fmac_f64_e32 v[20:21], v[20:21], v[22:23]
	v_div_scale_f64 v[22:23], vcc, 1.0, v[2:3], 1.0
	v_mul_f64 v[24:25], v[22:23], v[20:21]
	v_fma_f64 v[0:1], -v[0:1], v[24:25], v[22:23]
	s_nop 1
	v_div_fmas_f64 v[0:1], v[0:1], v[20:21], v[24:25]
	v_div_fixup_f64 v[2:3], v[0:1], v[2:3], 1.0
	v_mul_f64 v[0:1], v[6:7], v[2:3]
	v_xor_b32_e32 v3, 0x80000000, v3
.LBB124_83:
	s_andn2_saveexec_b64 s[12:13], s[12:13]
	s_cbranch_execz .LBB124_85
; %bb.84:
	v_div_scale_f64 v[6:7], s[4:5], v[0:1], v[0:1], v[2:3]
	v_rcp_f64_e32 v[20:21], v[6:7]
	v_div_scale_f64 v[22:23], vcc, v[2:3], v[0:1], v[2:3]
	v_fma_f64 v[24:25], -v[6:7], v[20:21], 1.0
	v_fmac_f64_e32 v[20:21], v[20:21], v[24:25]
	v_fma_f64 v[24:25], -v[6:7], v[20:21], 1.0
	v_fmac_f64_e32 v[20:21], v[20:21], v[24:25]
	v_mul_f64 v[24:25], v[22:23], v[20:21]
	v_fma_f64 v[6:7], -v[6:7], v[24:25], v[22:23]
	v_div_fmas_f64 v[6:7], v[6:7], v[20:21], v[24:25]
	v_div_fixup_f64 v[6:7], v[6:7], v[0:1], v[2:3]
	v_fmac_f64_e32 v[0:1], v[2:3], v[6:7]
	v_div_scale_f64 v[2:3], s[4:5], v[0:1], v[0:1], 1.0
	v_rcp_f64_e32 v[20:21], v[2:3]
	s_nop 0
	v_fma_f64 v[22:23], -v[2:3], v[20:21], 1.0
	v_fmac_f64_e32 v[20:21], v[20:21], v[22:23]
	v_fma_f64 v[22:23], -v[2:3], v[20:21], 1.0
	v_fmac_f64_e32 v[20:21], v[20:21], v[22:23]
	v_div_scale_f64 v[22:23], vcc, 1.0, v[0:1], 1.0
	v_mul_f64 v[24:25], v[22:23], v[20:21]
	v_fma_f64 v[2:3], -v[2:3], v[24:25], v[22:23]
	s_nop 1
	v_div_fmas_f64 v[2:3], v[2:3], v[20:21], v[24:25]
	v_div_fixup_f64 v[0:1], v[2:3], v[0:1], 1.0
	v_mul_f64 v[2:3], v[6:7], -v[0:1]
.LBB124_85:
	s_or_b64 exec, exec, s[12:13]
.LBB124_86:
	s_or_b64 exec, exec, s[0:1]
	v_cmp_ne_u32_e32 vcc, v17, v4
	s_and_saveexec_b64 s[0:1], vcc
	s_xor_b64 s[0:1], exec, s[0:1]
	s_cbranch_execz .LBB124_92
; %bb.87:
	v_cmp_eq_u32_e32 vcc, 3, v17
	s_and_saveexec_b64 s[12:13], vcc
	s_cbranch_execz .LBB124_91
; %bb.88:
	v_cmp_ne_u32_e32 vcc, 3, v4
	s_xor_b64 s[4:5], s[18:19], -1
	s_and_b64 s[4:5], s[4:5], vcc
	s_and_saveexec_b64 s[14:15], s[4:5]
	s_cbranch_execz .LBB124_90
; %bb.89:
	v_ashrrev_i32_e32 v5, 31, v4
	v_lshl_add_u64 v[6:7], v[4:5], 2, v[10:11]
	global_load_dword v5, v[6:7], off
	global_load_dword v16, v[10:11], off offset:12
	s_waitcnt vmcnt(1)
	global_store_dword v[10:11], v5, off offset:12
	s_waitcnt vmcnt(1)
	global_store_dword v[6:7], v16, off
.LBB124_90:
	s_or_b64 exec, exec, s[14:15]
	v_mov_b32_e32 v17, v4
	v_mov_b32_e32 v16, v4
.LBB124_91:
	s_or_b64 exec, exec, s[12:13]
.LBB124_92:
	s_andn2_saveexec_b64 s[0:1], s[0:1]
	s_cbranch_execz .LBB124_98
; %bb.93:
	s_mov_b32 s4, 0
	v_add3_u32 v4, v18, 0, 64
	s_branch .LBB124_95
.LBB124_94:                             ;   in Loop: Header=BB124_95 Depth=1
	s_andn2_b64 vcc, exec, s[12:13]
	s_cbranch_vccz .LBB124_97
.LBB124_95:                             ; =>This Inner Loop Header: Depth=1
	s_add_i32 s12, s4, 64
	s_add_i32 s13, s4, 0x50
	scratch_load_dwordx4 v[20:23], off, s12
	scratch_load_dwordx4 v[24:27], off, s13
	s_add_i32 s12, s4, 0x60
	scratch_load_dwordx4 v[28:31], off, s12
	s_mov_b32 s5, s4
	v_add_u32_e32 v5, s4, v4
	s_cmpk_eq_i32 s4, 0x380
	s_mov_b64 s[12:13], -1
	s_waitcnt vmcnt(2)
	ds_write2_b64 v5, v[20:21], v[22:23] offset1:1
	s_waitcnt vmcnt(1)
	ds_write2_b64 v5, v[24:25], v[26:27] offset0:2 offset1:3
	s_waitcnt vmcnt(0)
	ds_write2_b64 v5, v[28:29], v[30:31] offset0:4 offset1:5
	s_cbranch_scc1 .LBB124_94
; %bb.96:                               ;   in Loop: Header=BB124_95 Depth=1
	s_add_i32 s12, s5, 0x70
	s_add_i32 s13, s5, 0x80
	scratch_load_dwordx4 v[20:23], off, s12
	scratch_load_dwordx4 v[24:27], off, s13
	s_add_i32 s12, s5, 0x90
	s_add_i32 s13, s5, 0xa0
	scratch_load_dwordx4 v[28:31], off, s12
	scratch_load_dwordx4 v[32:35], off, s13
	s_addk_i32 s5, 0xb0
	scratch_load_dwordx4 v[36:39], off, s5
	s_addk_i32 s4, 0x80
	s_mov_b64 s[12:13], 0
	s_waitcnt vmcnt(4)
	ds_write2_b64 v5, v[20:21], v[22:23] offset0:6 offset1:7
	s_waitcnt vmcnt(3)
	ds_write2_b64 v5, v[24:25], v[26:27] offset0:8 offset1:9
	;; [unrolled: 2-line block ×5, first 2 shown]
	s_branch .LBB124_94
.LBB124_97:
	v_mov_b32_e32 v17, 3
.LBB124_98:
	s_or_b64 exec, exec, s[0:1]
	v_cmp_lt_i32_e32 vcc, 3, v17
	s_waitcnt lgkmcnt(0)
	s_barrier
	s_and_saveexec_b64 s[0:1], vcc
	s_cbranch_execz .LBB124_103
; %bb.99:
	scratch_load_dwordx4 v[20:23], off, off offset:48
	s_mov_b32 s14, 0
	s_waitcnt vmcnt(0)
	v_mul_f64 v[4:5], v[2:3], v[22:23]
	v_mul_f64 v[6:7], v[0:1], v[22:23]
	v_fma_f64 v[4:5], v[0:1], v[20:21], -v[4:5]
	v_fmac_f64_e32 v[6:7], v[2:3], v[20:21]
	v_add3_u32 v0, v18, 0, 64
	scratch_store_dwordx4 off, v[4:7], off offset:48
	s_branch .LBB124_101
.LBB124_100:                            ;   in Loop: Header=BB124_101 Depth=1
	s_andn2_b64 vcc, exec, s[12:13]
	s_cbranch_vccz .LBB124_103
.LBB124_101:                            ; =>This Inner Loop Header: Depth=1
	s_add_i32 s4, s14, 64
	scratch_load_dwordx4 v[18:21], off, s4
	s_add_i32 s5, s14, 0x50
	s_add_i32 s12, s14, 0x60
	scratch_load_dwordx4 v[22:25], off, s5
	scratch_load_dwordx4 v[26:29], off, s12
	v_add_u32_e32 v1, s14, v0
	ds_read2_b64 v[30:33], v1 offset1:1
	ds_read2_b64 v[34:37], v1 offset0:2 offset1:3
	ds_read2_b64 v[38:41], v1 offset0:4 offset1:5
	s_mov_b32 s15, s14
	s_cmpk_eq_i32 s14, 0x380
	s_waitcnt lgkmcnt(2)
	v_mul_f64 v[2:3], v[32:33], v[6:7]
	v_mul_f64 v[42:43], v[30:31], v[6:7]
	s_waitcnt lgkmcnt(1)
	v_mul_f64 v[44:45], v[36:37], v[6:7]
	v_mul_f64 v[46:47], v[34:35], v[6:7]
	;; [unrolled: 3-line block ×3, first 2 shown]
	v_fma_f64 v[2:3], v[30:31], v[4:5], -v[2:3]
	v_fmac_f64_e32 v[42:43], v[32:33], v[4:5]
	v_fma_f64 v[30:31], v[34:35], v[4:5], -v[44:45]
	v_fmac_f64_e32 v[46:47], v[36:37], v[4:5]
	;; [unrolled: 2-line block ×3, first 2 shown]
	s_waitcnt vmcnt(2)
	v_add_f64 v[18:19], v[18:19], -v[2:3]
	v_add_f64 v[20:21], v[20:21], -v[42:43]
	s_waitcnt vmcnt(1)
	v_add_f64 v[22:23], v[22:23], -v[30:31]
	v_add_f64 v[24:25], v[24:25], -v[46:47]
	;; [unrolled: 3-line block ×3, first 2 shown]
	scratch_store_dwordx4 off, v[18:21], s4
	scratch_store_dwordx4 off, v[22:25], s5
	;; [unrolled: 1-line block ×3, first 2 shown]
	s_mov_b64 s[12:13], -1
	s_cbranch_scc1 .LBB124_100
; %bb.102:                              ;   in Loop: Header=BB124_101 Depth=1
	s_add_i32 s4, s15, 0x70
	scratch_load_dwordx4 v[18:21], off, s4
	s_add_i32 s5, s15, 0x80
	s_add_i32 s12, s15, 0x90
	;; [unrolled: 1-line block ×3, first 2 shown]
	s_addk_i32 s15, 0xb0
	scratch_load_dwordx4 v[22:25], off, s5
	scratch_load_dwordx4 v[26:29], off, s12
	;; [unrolled: 1-line block ×4, first 2 shown]
	ds_read2_b64 v[38:41], v1 offset0:6 offset1:7
	ds_read2_b64 v[42:45], v1 offset0:8 offset1:9
	;; [unrolled: 1-line block ×5, first 2 shown]
	s_waitcnt lgkmcnt(4)
	v_mul_f64 v[2:3], v[40:41], v[6:7]
	v_mul_f64 v[58:59], v[38:39], v[6:7]
	s_waitcnt lgkmcnt(3)
	v_mul_f64 v[60:61], v[44:45], v[6:7]
	v_mul_f64 v[62:63], v[42:43], v[6:7]
	;; [unrolled: 3-line block ×5, first 2 shown]
	v_fma_f64 v[2:3], v[38:39], v[4:5], -v[2:3]
	v_fmac_f64_e32 v[58:59], v[40:41], v[4:5]
	v_fma_f64 v[38:39], v[42:43], v[4:5], -v[60:61]
	v_fmac_f64_e32 v[62:63], v[44:45], v[4:5]
	;; [unrolled: 2-line block ×5, first 2 shown]
	s_addk_i32 s14, 0x80
	s_waitcnt vmcnt(4)
	v_add_f64 v[18:19], v[18:19], -v[2:3]
	v_add_f64 v[20:21], v[20:21], -v[58:59]
	s_waitcnt vmcnt(3)
	v_add_f64 v[22:23], v[22:23], -v[38:39]
	v_add_f64 v[24:25], v[24:25], -v[62:63]
	;; [unrolled: 3-line block ×5, first 2 shown]
	scratch_store_dwordx4 off, v[18:21], s4
	scratch_store_dwordx4 off, v[22:25], s5
	;; [unrolled: 1-line block ×5, first 2 shown]
	s_mov_b64 s[12:13], 0
	s_branch .LBB124_100
.LBB124_103:
	s_or_b64 exec, exec, s[0:1]
	s_barrier
	scratch_load_dwordx4 v[0:3], off, s92
	v_lshl_add_u32 v4, v17, 4, v14
	s_cmp_lt_i32 s52, 6
	s_waitcnt vmcnt(0)
	ds_write2_b64 v4, v[0:1], v[2:3] offset1:1
	s_waitcnt lgkmcnt(0)
	s_barrier
	ds_read2_b64 v[0:3], v14 offset0:8 offset1:9
	v_mov_b32_e32 v4, 4
	s_cbranch_scc1 .LBB124_106
; %bb.104:
	v_mov_b32_e32 v4, 4
	v_add_u32_e32 v5, 0x50, v14
	s_mov_b32 s4, 5
.LBB124_105:                            ; =>This Inner Loop Header: Depth=1
	ds_read2_b64 v[18:21], v5 offset1:1
	s_waitcnt lgkmcnt(1)
	v_xor_b32_e32 v7, 0x80000000, v1
	v_xor_b32_e32 v23, 0x80000000, v3
	v_cmp_gt_f64_e32 vcc, 0, v[2:3]
	v_cmp_gt_f64_e64 s[0:1], 0, v[0:1]
	v_mov_b32_e32 v6, v0
	v_mov_b32_e32 v22, v2
	v_cndmask_b32_e64 v7, v1, v7, s[0:1]
	v_cndmask_b32_e32 v23, v3, v23, vcc
	v_add_f64 v[6:7], v[6:7], v[22:23]
	s_waitcnt lgkmcnt(0)
	v_xor_b32_e32 v23, 0x80000000, v19
	v_xor_b32_e32 v25, 0x80000000, v21
	v_cmp_gt_f64_e32 vcc, 0, v[20:21]
	v_cmp_gt_f64_e64 s[0:1], 0, v[18:19]
	v_mov_b32_e32 v22, v18
	v_mov_b32_e32 v24, v20
	v_cndmask_b32_e64 v23, v19, v23, s[0:1]
	v_cndmask_b32_e32 v25, v21, v25, vcc
	v_add_f64 v[22:23], v[22:23], v[24:25]
	v_mov_b32_e32 v26, s4
	s_add_i32 s4, s4, 1
	v_cmp_lt_f64_e32 vcc, v[6:7], v[22:23]
	v_add_u32_e32 v5, 16, v5
	s_cmp_lg_u32 s52, s4
	v_cndmask_b32_e32 v1, v1, v19, vcc
	v_cndmask_b32_e32 v0, v0, v18, vcc
	v_cndmask_b32_e32 v3, v3, v21, vcc
	v_cndmask_b32_e32 v2, v2, v20, vcc
	v_cndmask_b32_e32 v4, v4, v26, vcc
	s_cbranch_scc1 .LBB124_105
.LBB124_106:
	s_waitcnt lgkmcnt(0)
	v_cmp_eq_f64_e32 vcc, 0, v[0:1]
	v_cmp_eq_f64_e64 s[0:1], 0, v[2:3]
	s_and_b64 s[0:1], vcc, s[0:1]
	s_and_saveexec_b64 s[4:5], s[0:1]
	s_xor_b64 s[0:1], exec, s[4:5]
; %bb.107:
	v_cmp_ne_u32_e32 vcc, 0, v15
	s_nop 1
	v_cndmask_b32_e32 v15, 5, v15, vcc
; %bb.108:
	s_andn2_saveexec_b64 s[0:1], s[0:1]
	s_cbranch_execz .LBB124_114
; %bb.109:
	v_cmp_ngt_f64_e64 s[4:5], |v[0:1]|, |v[2:3]|
	s_and_saveexec_b64 s[12:13], s[4:5]
	s_xor_b64 s[12:13], exec, s[12:13]
	s_cbranch_execz .LBB124_111
; %bb.110:
	v_div_scale_f64 v[6:7], s[4:5], v[2:3], v[2:3], v[0:1]
	v_rcp_f64_e32 v[18:19], v[6:7]
	v_div_scale_f64 v[20:21], vcc, v[0:1], v[2:3], v[0:1]
	v_fma_f64 v[22:23], -v[6:7], v[18:19], 1.0
	v_fmac_f64_e32 v[18:19], v[18:19], v[22:23]
	v_fma_f64 v[22:23], -v[6:7], v[18:19], 1.0
	v_fmac_f64_e32 v[18:19], v[18:19], v[22:23]
	v_mul_f64 v[22:23], v[20:21], v[18:19]
	v_fma_f64 v[6:7], -v[6:7], v[22:23], v[20:21]
	v_div_fmas_f64 v[6:7], v[6:7], v[18:19], v[22:23]
	v_div_fixup_f64 v[6:7], v[6:7], v[2:3], v[0:1]
	v_fmac_f64_e32 v[2:3], v[0:1], v[6:7]
	v_div_scale_f64 v[0:1], s[4:5], v[2:3], v[2:3], 1.0
	v_rcp_f64_e32 v[18:19], v[0:1]
	s_nop 0
	v_fma_f64 v[20:21], -v[0:1], v[18:19], 1.0
	v_fmac_f64_e32 v[18:19], v[18:19], v[20:21]
	v_fma_f64 v[20:21], -v[0:1], v[18:19], 1.0
	v_fmac_f64_e32 v[18:19], v[18:19], v[20:21]
	v_div_scale_f64 v[20:21], vcc, 1.0, v[2:3], 1.0
	v_mul_f64 v[22:23], v[20:21], v[18:19]
	v_fma_f64 v[0:1], -v[0:1], v[22:23], v[20:21]
	s_nop 1
	v_div_fmas_f64 v[0:1], v[0:1], v[18:19], v[22:23]
	v_div_fixup_f64 v[2:3], v[0:1], v[2:3], 1.0
	v_mul_f64 v[0:1], v[6:7], v[2:3]
	v_xor_b32_e32 v3, 0x80000000, v3
.LBB124_111:
	s_andn2_saveexec_b64 s[12:13], s[12:13]
	s_cbranch_execz .LBB124_113
; %bb.112:
	v_div_scale_f64 v[6:7], s[4:5], v[0:1], v[0:1], v[2:3]
	v_rcp_f64_e32 v[18:19], v[6:7]
	v_div_scale_f64 v[20:21], vcc, v[2:3], v[0:1], v[2:3]
	v_fma_f64 v[22:23], -v[6:7], v[18:19], 1.0
	v_fmac_f64_e32 v[18:19], v[18:19], v[22:23]
	v_fma_f64 v[22:23], -v[6:7], v[18:19], 1.0
	v_fmac_f64_e32 v[18:19], v[18:19], v[22:23]
	v_mul_f64 v[22:23], v[20:21], v[18:19]
	v_fma_f64 v[6:7], -v[6:7], v[22:23], v[20:21]
	v_div_fmas_f64 v[6:7], v[6:7], v[18:19], v[22:23]
	v_div_fixup_f64 v[6:7], v[6:7], v[0:1], v[2:3]
	v_fmac_f64_e32 v[0:1], v[2:3], v[6:7]
	v_div_scale_f64 v[2:3], s[4:5], v[0:1], v[0:1], 1.0
	v_rcp_f64_e32 v[18:19], v[2:3]
	s_nop 0
	v_fma_f64 v[20:21], -v[2:3], v[18:19], 1.0
	v_fmac_f64_e32 v[18:19], v[18:19], v[20:21]
	v_fma_f64 v[20:21], -v[2:3], v[18:19], 1.0
	v_fmac_f64_e32 v[18:19], v[18:19], v[20:21]
	v_div_scale_f64 v[20:21], vcc, 1.0, v[0:1], 1.0
	v_mul_f64 v[22:23], v[20:21], v[18:19]
	v_fma_f64 v[2:3], -v[2:3], v[22:23], v[20:21]
	s_nop 1
	v_div_fmas_f64 v[2:3], v[2:3], v[18:19], v[22:23]
	v_div_fixup_f64 v[0:1], v[2:3], v[0:1], 1.0
	v_mul_f64 v[2:3], v[6:7], -v[0:1]
.LBB124_113:
	s_or_b64 exec, exec, s[12:13]
.LBB124_114:
	s_or_b64 exec, exec, s[0:1]
	v_cmp_ne_u32_e32 vcc, v17, v4
	s_and_saveexec_b64 s[0:1], vcc
	s_xor_b64 s[0:1], exec, s[0:1]
	s_cbranch_execz .LBB124_120
; %bb.115:
	v_cmp_eq_u32_e32 vcc, 4, v17
	s_and_saveexec_b64 s[12:13], vcc
	s_cbranch_execz .LBB124_119
; %bb.116:
	v_cmp_ne_u32_e32 vcc, 4, v4
	s_xor_b64 s[4:5], s[18:19], -1
	s_and_b64 s[4:5], s[4:5], vcc
	s_and_saveexec_b64 s[14:15], s[4:5]
	s_cbranch_execz .LBB124_118
; %bb.117:
	v_ashrrev_i32_e32 v5, 31, v4
	v_lshl_add_u64 v[6:7], v[4:5], 2, v[10:11]
	global_load_dword v5, v[6:7], off
	global_load_dword v16, v[10:11], off offset:16
	s_waitcnt vmcnt(1)
	global_store_dword v[10:11], v5, off offset:16
	s_waitcnt vmcnt(1)
	global_store_dword v[6:7], v16, off
.LBB124_118:
	s_or_b64 exec, exec, s[14:15]
	v_mov_b32_e32 v17, v4
	v_mov_b32_e32 v16, v4
.LBB124_119:
	s_or_b64 exec, exec, s[12:13]
.LBB124_120:
	s_andn2_saveexec_b64 s[0:1], s[0:1]
	s_cbranch_execz .LBB124_124
; %bb.121:
	s_mov_b32 s4, 0
	v_add_u32_e32 v4, 0x50, v14
.LBB124_122:                            ; =>This Inner Loop Header: Depth=1
	s_add_i32 s12, s4, 0x50
	s_add_i32 s5, s4, 0x60
	scratch_load_dwordx4 v[18:21], off, s12
	scratch_load_dwordx4 v[22:25], off, s5
	v_add_u32_e32 v5, s4, v4
	s_add_i32 s4, s4, 32
	s_cmpk_eq_i32 s4, 0x3a0
	s_waitcnt vmcnt(1)
	ds_write2_b64 v5, v[18:19], v[20:21] offset1:1
	s_waitcnt vmcnt(0)
	ds_write2_b64 v5, v[22:23], v[24:25] offset0:2 offset1:3
	s_cbranch_scc0 .LBB124_122
; %bb.123:
	v_mov_b32_e32 v17, 4
.LBB124_124:
	s_or_b64 exec, exec, s[0:1]
	v_cmp_lt_i32_e32 vcc, 4, v17
	s_waitcnt lgkmcnt(0)
	s_barrier
	s_and_saveexec_b64 s[0:1], vcc
	s_cbranch_execz .LBB124_127
; %bb.125:
	scratch_load_dwordx4 v[18:21], off, off offset:64
	s_mov_b32 s4, 0
	s_waitcnt vmcnt(0)
	v_mul_f64 v[4:5], v[2:3], v[20:21]
	v_mul_f64 v[6:7], v[0:1], v[20:21]
	v_fma_f64 v[4:5], v[0:1], v[18:19], -v[4:5]
	v_fmac_f64_e32 v[6:7], v[2:3], v[18:19]
	v_add_u32_e32 v0, 0x50, v14
	scratch_store_dwordx4 off, v[4:7], off offset:64
.LBB124_126:                            ; =>This Inner Loop Header: Depth=1
	s_add_i32 s12, s4, 0x50
	s_add_i32 s5, s4, 0x60
	scratch_load_dwordx4 v[18:21], off, s12
	scratch_load_dwordx4 v[22:25], off, s5
	v_add_u32_e32 v1, s4, v0
	ds_read2_b64 v[26:29], v1 offset1:1
	ds_read2_b64 v[30:33], v1 offset0:2 offset1:3
	s_add_i32 s4, s4, 32
	s_cmpk_lg_i32 s4, 0x3a0
	s_waitcnt lgkmcnt(1)
	v_mul_f64 v[2:3], v[28:29], v[6:7]
	v_mul_f64 v[34:35], v[26:27], v[6:7]
	s_waitcnt lgkmcnt(0)
	v_mul_f64 v[36:37], v[32:33], v[6:7]
	v_mul_f64 v[38:39], v[30:31], v[6:7]
	v_fma_f64 v[2:3], v[26:27], v[4:5], -v[2:3]
	v_fmac_f64_e32 v[34:35], v[28:29], v[4:5]
	v_fma_f64 v[26:27], v[30:31], v[4:5], -v[36:37]
	v_fmac_f64_e32 v[38:39], v[32:33], v[4:5]
	s_waitcnt vmcnt(1)
	v_add_f64 v[18:19], v[18:19], -v[2:3]
	v_add_f64 v[20:21], v[20:21], -v[34:35]
	s_waitcnt vmcnt(0)
	v_add_f64 v[22:23], v[22:23], -v[26:27]
	v_add_f64 v[24:25], v[24:25], -v[38:39]
	scratch_store_dwordx4 off, v[18:21], s12
	scratch_store_dwordx4 off, v[22:25], s5
	s_cbranch_scc1 .LBB124_126
.LBB124_127:
	s_or_b64 exec, exec, s[0:1]
	s_barrier
	scratch_load_dwordx4 v[0:3], off, s91
	v_lshl_add_u32 v4, v17, 4, v14
	s_cmp_lt_i32 s52, 7
	s_waitcnt vmcnt(0)
	ds_write2_b64 v4, v[0:1], v[2:3] offset1:1
	s_waitcnt lgkmcnt(0)
	s_barrier
	ds_read2_b64 v[0:3], v14 offset0:10 offset1:11
	v_mov_b32_e32 v4, 5
	s_cbranch_scc1 .LBB124_130
; %bb.128:
	v_add_u32_e32 v5, 0x60, v14
	s_mov_b32 s4, 6
	v_mov_b32_e32 v4, 5
.LBB124_129:                            ; =>This Inner Loop Header: Depth=1
	ds_read2_b64 v[18:21], v5 offset1:1
	s_waitcnt lgkmcnt(1)
	v_xor_b32_e32 v7, 0x80000000, v1
	v_xor_b32_e32 v23, 0x80000000, v3
	v_cmp_gt_f64_e32 vcc, 0, v[2:3]
	v_cmp_gt_f64_e64 s[0:1], 0, v[0:1]
	v_mov_b32_e32 v6, v0
	v_mov_b32_e32 v22, v2
	v_cndmask_b32_e64 v7, v1, v7, s[0:1]
	v_cndmask_b32_e32 v23, v3, v23, vcc
	v_add_f64 v[6:7], v[6:7], v[22:23]
	s_waitcnt lgkmcnt(0)
	v_xor_b32_e32 v23, 0x80000000, v19
	v_xor_b32_e32 v25, 0x80000000, v21
	v_cmp_gt_f64_e32 vcc, 0, v[20:21]
	v_cmp_gt_f64_e64 s[0:1], 0, v[18:19]
	v_mov_b32_e32 v22, v18
	v_mov_b32_e32 v24, v20
	v_cndmask_b32_e64 v23, v19, v23, s[0:1]
	v_cndmask_b32_e32 v25, v21, v25, vcc
	v_add_f64 v[22:23], v[22:23], v[24:25]
	v_mov_b32_e32 v26, s4
	s_add_i32 s4, s4, 1
	v_cmp_lt_f64_e32 vcc, v[6:7], v[22:23]
	v_add_u32_e32 v5, 16, v5
	s_cmp_lg_u32 s52, s4
	v_cndmask_b32_e32 v1, v1, v19, vcc
	v_cndmask_b32_e32 v0, v0, v18, vcc
	;; [unrolled: 1-line block ×5, first 2 shown]
	s_cbranch_scc1 .LBB124_129
.LBB124_130:
	s_waitcnt lgkmcnt(0)
	v_cmp_eq_f64_e32 vcc, 0, v[0:1]
	v_cmp_eq_f64_e64 s[0:1], 0, v[2:3]
	s_and_b64 s[0:1], vcc, s[0:1]
	s_and_saveexec_b64 s[4:5], s[0:1]
	s_xor_b64 s[0:1], exec, s[4:5]
; %bb.131:
	v_cmp_ne_u32_e32 vcc, 0, v15
	s_nop 1
	v_cndmask_b32_e32 v15, 6, v15, vcc
; %bb.132:
	s_andn2_saveexec_b64 s[0:1], s[0:1]
	s_cbranch_execz .LBB124_138
; %bb.133:
	v_cmp_ngt_f64_e64 s[4:5], |v[0:1]|, |v[2:3]|
	s_and_saveexec_b64 s[12:13], s[4:5]
	s_xor_b64 s[12:13], exec, s[12:13]
	s_cbranch_execz .LBB124_135
; %bb.134:
	v_div_scale_f64 v[6:7], s[4:5], v[2:3], v[2:3], v[0:1]
	v_rcp_f64_e32 v[18:19], v[6:7]
	v_div_scale_f64 v[20:21], vcc, v[0:1], v[2:3], v[0:1]
	v_fma_f64 v[22:23], -v[6:7], v[18:19], 1.0
	v_fmac_f64_e32 v[18:19], v[18:19], v[22:23]
	v_fma_f64 v[22:23], -v[6:7], v[18:19], 1.0
	v_fmac_f64_e32 v[18:19], v[18:19], v[22:23]
	v_mul_f64 v[22:23], v[20:21], v[18:19]
	v_fma_f64 v[6:7], -v[6:7], v[22:23], v[20:21]
	v_div_fmas_f64 v[6:7], v[6:7], v[18:19], v[22:23]
	v_div_fixup_f64 v[6:7], v[6:7], v[2:3], v[0:1]
	v_fmac_f64_e32 v[2:3], v[0:1], v[6:7]
	v_div_scale_f64 v[0:1], s[4:5], v[2:3], v[2:3], 1.0
	v_rcp_f64_e32 v[18:19], v[0:1]
	s_nop 0
	v_fma_f64 v[20:21], -v[0:1], v[18:19], 1.0
	v_fmac_f64_e32 v[18:19], v[18:19], v[20:21]
	v_fma_f64 v[20:21], -v[0:1], v[18:19], 1.0
	v_fmac_f64_e32 v[18:19], v[18:19], v[20:21]
	v_div_scale_f64 v[20:21], vcc, 1.0, v[2:3], 1.0
	v_mul_f64 v[22:23], v[20:21], v[18:19]
	v_fma_f64 v[0:1], -v[0:1], v[22:23], v[20:21]
	s_nop 1
	v_div_fmas_f64 v[0:1], v[0:1], v[18:19], v[22:23]
	v_div_fixup_f64 v[2:3], v[0:1], v[2:3], 1.0
	v_mul_f64 v[0:1], v[6:7], v[2:3]
	v_xor_b32_e32 v3, 0x80000000, v3
.LBB124_135:
	s_andn2_saveexec_b64 s[12:13], s[12:13]
	s_cbranch_execz .LBB124_137
; %bb.136:
	v_div_scale_f64 v[6:7], s[4:5], v[0:1], v[0:1], v[2:3]
	v_rcp_f64_e32 v[18:19], v[6:7]
	v_div_scale_f64 v[20:21], vcc, v[2:3], v[0:1], v[2:3]
	v_fma_f64 v[22:23], -v[6:7], v[18:19], 1.0
	v_fmac_f64_e32 v[18:19], v[18:19], v[22:23]
	v_fma_f64 v[22:23], -v[6:7], v[18:19], 1.0
	v_fmac_f64_e32 v[18:19], v[18:19], v[22:23]
	v_mul_f64 v[22:23], v[20:21], v[18:19]
	v_fma_f64 v[6:7], -v[6:7], v[22:23], v[20:21]
	v_div_fmas_f64 v[6:7], v[6:7], v[18:19], v[22:23]
	v_div_fixup_f64 v[6:7], v[6:7], v[0:1], v[2:3]
	v_fmac_f64_e32 v[0:1], v[2:3], v[6:7]
	v_div_scale_f64 v[2:3], s[4:5], v[0:1], v[0:1], 1.0
	v_rcp_f64_e32 v[18:19], v[2:3]
	s_nop 0
	v_fma_f64 v[20:21], -v[2:3], v[18:19], 1.0
	v_fmac_f64_e32 v[18:19], v[18:19], v[20:21]
	v_fma_f64 v[20:21], -v[2:3], v[18:19], 1.0
	v_fmac_f64_e32 v[18:19], v[18:19], v[20:21]
	v_div_scale_f64 v[20:21], vcc, 1.0, v[0:1], 1.0
	v_mul_f64 v[22:23], v[20:21], v[18:19]
	v_fma_f64 v[2:3], -v[2:3], v[22:23], v[20:21]
	s_nop 1
	v_div_fmas_f64 v[2:3], v[2:3], v[18:19], v[22:23]
	v_div_fixup_f64 v[0:1], v[2:3], v[0:1], 1.0
	v_mul_f64 v[2:3], v[6:7], -v[0:1]
.LBB124_137:
	s_or_b64 exec, exec, s[12:13]
.LBB124_138:
	s_or_b64 exec, exec, s[0:1]
	v_cmp_ne_u32_e32 vcc, v17, v4
	s_and_saveexec_b64 s[0:1], vcc
	s_xor_b64 s[0:1], exec, s[0:1]
	s_cbranch_execz .LBB124_144
; %bb.139:
	v_cmp_eq_u32_e32 vcc, 5, v17
	s_and_saveexec_b64 s[12:13], vcc
	s_cbranch_execz .LBB124_143
; %bb.140:
	v_cmp_ne_u32_e32 vcc, 5, v4
	s_xor_b64 s[4:5], s[18:19], -1
	s_and_b64 s[4:5], s[4:5], vcc
	s_and_saveexec_b64 s[14:15], s[4:5]
	s_cbranch_execz .LBB124_142
; %bb.141:
	v_ashrrev_i32_e32 v5, 31, v4
	v_lshl_add_u64 v[6:7], v[4:5], 2, v[10:11]
	global_load_dword v5, v[6:7], off
	global_load_dword v16, v[10:11], off offset:20
	s_waitcnt vmcnt(1)
	global_store_dword v[10:11], v5, off offset:20
	s_waitcnt vmcnt(1)
	global_store_dword v[6:7], v16, off
.LBB124_142:
	s_or_b64 exec, exec, s[14:15]
	v_mov_b32_e32 v17, v4
	v_mov_b32_e32 v16, v4
.LBB124_143:
	s_or_b64 exec, exec, s[12:13]
.LBB124_144:
	s_andn2_saveexec_b64 s[0:1], s[0:1]
	s_cbranch_execz .LBB124_148
; %bb.145:
	s_mov_b32 s4, 0
	v_add_u32_e32 v4, 0x60, v14
.LBB124_146:                            ; =>This Inner Loop Header: Depth=1
	s_add_i32 s12, s4, 0x60
	s_add_i32 s13, s4, 0x70
	;; [unrolled: 1-line block ×3, first 2 shown]
	scratch_load_dwordx4 v[18:21], off, s12
	scratch_load_dwordx4 v[22:25], off, s13
	scratch_load_dwordx4 v[26:29], off, s5
	v_add_u32_e32 v5, s4, v4
	s_add_i32 s4, s4, 48
	s_cmpk_eq_i32 s4, 0x390
	s_waitcnt vmcnt(2)
	ds_write2_b64 v5, v[18:19], v[20:21] offset1:1
	s_waitcnt vmcnt(1)
	ds_write2_b64 v5, v[22:23], v[24:25] offset0:2 offset1:3
	s_waitcnt vmcnt(0)
	ds_write2_b64 v5, v[26:27], v[28:29] offset0:4 offset1:5
	s_cbranch_scc0 .LBB124_146
; %bb.147:
	v_mov_b32_e32 v17, 5
.LBB124_148:
	s_or_b64 exec, exec, s[0:1]
	v_cmp_lt_i32_e32 vcc, 5, v17
	s_waitcnt lgkmcnt(0)
	s_barrier
	s_and_saveexec_b64 s[0:1], vcc
	s_cbranch_execz .LBB124_151
; %bb.149:
	scratch_load_dwordx4 v[18:21], off, off offset:80
	s_mov_b32 s4, 0
	s_waitcnt vmcnt(0)
	v_mul_f64 v[4:5], v[2:3], v[20:21]
	v_mul_f64 v[6:7], v[0:1], v[20:21]
	v_fma_f64 v[4:5], v[0:1], v[18:19], -v[4:5]
	v_fmac_f64_e32 v[6:7], v[2:3], v[18:19]
	v_add_u32_e32 v0, 0x60, v14
	scratch_store_dwordx4 off, v[4:7], off offset:80
.LBB124_150:                            ; =>This Inner Loop Header: Depth=1
	s_add_i32 s12, s4, 0x60
	s_add_i32 s13, s4, 0x70
	;; [unrolled: 1-line block ×3, first 2 shown]
	scratch_load_dwordx4 v[18:21], off, s12
	scratch_load_dwordx4 v[22:25], off, s13
	;; [unrolled: 1-line block ×3, first 2 shown]
	v_add_u32_e32 v1, s4, v0
	ds_read2_b64 v[30:33], v1 offset1:1
	ds_read2_b64 v[34:37], v1 offset0:2 offset1:3
	ds_read2_b64 v[38:41], v1 offset0:4 offset1:5
	s_add_i32 s4, s4, 48
	s_cmpk_lg_i32 s4, 0x390
	s_waitcnt lgkmcnt(2)
	v_mul_f64 v[2:3], v[32:33], v[6:7]
	v_mul_f64 v[42:43], v[30:31], v[6:7]
	s_waitcnt lgkmcnt(1)
	v_mul_f64 v[44:45], v[36:37], v[6:7]
	v_mul_f64 v[46:47], v[34:35], v[6:7]
	;; [unrolled: 3-line block ×3, first 2 shown]
	v_fma_f64 v[2:3], v[30:31], v[4:5], -v[2:3]
	v_fmac_f64_e32 v[42:43], v[32:33], v[4:5]
	v_fma_f64 v[30:31], v[34:35], v[4:5], -v[44:45]
	v_fmac_f64_e32 v[46:47], v[36:37], v[4:5]
	;; [unrolled: 2-line block ×3, first 2 shown]
	s_waitcnt vmcnt(2)
	v_add_f64 v[18:19], v[18:19], -v[2:3]
	v_add_f64 v[20:21], v[20:21], -v[42:43]
	s_waitcnt vmcnt(1)
	v_add_f64 v[22:23], v[22:23], -v[30:31]
	v_add_f64 v[24:25], v[24:25], -v[46:47]
	;; [unrolled: 3-line block ×3, first 2 shown]
	scratch_store_dwordx4 off, v[18:21], s12
	scratch_store_dwordx4 off, v[22:25], s13
	;; [unrolled: 1-line block ×3, first 2 shown]
	s_cbranch_scc1 .LBB124_150
.LBB124_151:
	s_or_b64 exec, exec, s[0:1]
	s_barrier
	scratch_load_dwordx4 v[0:3], off, s83
	v_lshl_add_u32 v4, v17, 4, v14
	s_cmp_lt_i32 s52, 8
	s_waitcnt vmcnt(0)
	ds_write2_b64 v4, v[0:1], v[2:3] offset1:1
	s_waitcnt lgkmcnt(0)
	s_barrier
	ds_read2_b64 v[0:3], v14 offset0:12 offset1:13
	v_mov_b32_e32 v4, 6
	s_cbranch_scc1 .LBB124_154
; %bb.152:
	v_add_u32_e32 v5, 0x70, v14
	s_mov_b32 s4, 7
	v_mov_b32_e32 v4, 6
.LBB124_153:                            ; =>This Inner Loop Header: Depth=1
	ds_read2_b64 v[18:21], v5 offset1:1
	s_waitcnt lgkmcnt(1)
	v_xor_b32_e32 v7, 0x80000000, v1
	v_xor_b32_e32 v23, 0x80000000, v3
	v_cmp_gt_f64_e32 vcc, 0, v[2:3]
	v_cmp_gt_f64_e64 s[0:1], 0, v[0:1]
	v_mov_b32_e32 v6, v0
	v_mov_b32_e32 v22, v2
	v_cndmask_b32_e64 v7, v1, v7, s[0:1]
	v_cndmask_b32_e32 v23, v3, v23, vcc
	v_add_f64 v[6:7], v[6:7], v[22:23]
	s_waitcnt lgkmcnt(0)
	v_xor_b32_e32 v23, 0x80000000, v19
	v_xor_b32_e32 v25, 0x80000000, v21
	v_cmp_gt_f64_e32 vcc, 0, v[20:21]
	v_cmp_gt_f64_e64 s[0:1], 0, v[18:19]
	v_mov_b32_e32 v22, v18
	v_mov_b32_e32 v24, v20
	v_cndmask_b32_e64 v23, v19, v23, s[0:1]
	v_cndmask_b32_e32 v25, v21, v25, vcc
	v_add_f64 v[22:23], v[22:23], v[24:25]
	v_mov_b32_e32 v26, s4
	s_add_i32 s4, s4, 1
	v_cmp_lt_f64_e32 vcc, v[6:7], v[22:23]
	v_add_u32_e32 v5, 16, v5
	s_cmp_lg_u32 s52, s4
	v_cndmask_b32_e32 v1, v1, v19, vcc
	v_cndmask_b32_e32 v0, v0, v18, vcc
	;; [unrolled: 1-line block ×5, first 2 shown]
	s_cbranch_scc1 .LBB124_153
.LBB124_154:
	s_waitcnt lgkmcnt(0)
	v_cmp_eq_f64_e32 vcc, 0, v[0:1]
	v_cmp_eq_f64_e64 s[0:1], 0, v[2:3]
	s_and_b64 s[0:1], vcc, s[0:1]
	s_and_saveexec_b64 s[4:5], s[0:1]
	s_xor_b64 s[0:1], exec, s[4:5]
; %bb.155:
	v_cmp_ne_u32_e32 vcc, 0, v15
	s_nop 1
	v_cndmask_b32_e32 v15, 7, v15, vcc
; %bb.156:
	s_andn2_saveexec_b64 s[0:1], s[0:1]
	s_cbranch_execz .LBB124_162
; %bb.157:
	v_cmp_ngt_f64_e64 s[4:5], |v[0:1]|, |v[2:3]|
	s_and_saveexec_b64 s[12:13], s[4:5]
	s_xor_b64 s[12:13], exec, s[12:13]
	s_cbranch_execz .LBB124_159
; %bb.158:
	v_div_scale_f64 v[6:7], s[4:5], v[2:3], v[2:3], v[0:1]
	v_rcp_f64_e32 v[18:19], v[6:7]
	v_div_scale_f64 v[20:21], vcc, v[0:1], v[2:3], v[0:1]
	v_fma_f64 v[22:23], -v[6:7], v[18:19], 1.0
	v_fmac_f64_e32 v[18:19], v[18:19], v[22:23]
	v_fma_f64 v[22:23], -v[6:7], v[18:19], 1.0
	v_fmac_f64_e32 v[18:19], v[18:19], v[22:23]
	v_mul_f64 v[22:23], v[20:21], v[18:19]
	v_fma_f64 v[6:7], -v[6:7], v[22:23], v[20:21]
	v_div_fmas_f64 v[6:7], v[6:7], v[18:19], v[22:23]
	v_div_fixup_f64 v[6:7], v[6:7], v[2:3], v[0:1]
	v_fmac_f64_e32 v[2:3], v[0:1], v[6:7]
	v_div_scale_f64 v[0:1], s[4:5], v[2:3], v[2:3], 1.0
	v_rcp_f64_e32 v[18:19], v[0:1]
	s_nop 0
	v_fma_f64 v[20:21], -v[0:1], v[18:19], 1.0
	v_fmac_f64_e32 v[18:19], v[18:19], v[20:21]
	v_fma_f64 v[20:21], -v[0:1], v[18:19], 1.0
	v_fmac_f64_e32 v[18:19], v[18:19], v[20:21]
	v_div_scale_f64 v[20:21], vcc, 1.0, v[2:3], 1.0
	v_mul_f64 v[22:23], v[20:21], v[18:19]
	v_fma_f64 v[0:1], -v[0:1], v[22:23], v[20:21]
	s_nop 1
	v_div_fmas_f64 v[0:1], v[0:1], v[18:19], v[22:23]
	v_div_fixup_f64 v[2:3], v[0:1], v[2:3], 1.0
	v_mul_f64 v[0:1], v[6:7], v[2:3]
	v_xor_b32_e32 v3, 0x80000000, v3
.LBB124_159:
	s_andn2_saveexec_b64 s[12:13], s[12:13]
	s_cbranch_execz .LBB124_161
; %bb.160:
	v_div_scale_f64 v[6:7], s[4:5], v[0:1], v[0:1], v[2:3]
	v_rcp_f64_e32 v[18:19], v[6:7]
	v_div_scale_f64 v[20:21], vcc, v[2:3], v[0:1], v[2:3]
	v_fma_f64 v[22:23], -v[6:7], v[18:19], 1.0
	v_fmac_f64_e32 v[18:19], v[18:19], v[22:23]
	v_fma_f64 v[22:23], -v[6:7], v[18:19], 1.0
	v_fmac_f64_e32 v[18:19], v[18:19], v[22:23]
	v_mul_f64 v[22:23], v[20:21], v[18:19]
	v_fma_f64 v[6:7], -v[6:7], v[22:23], v[20:21]
	v_div_fmas_f64 v[6:7], v[6:7], v[18:19], v[22:23]
	v_div_fixup_f64 v[6:7], v[6:7], v[0:1], v[2:3]
	v_fmac_f64_e32 v[0:1], v[2:3], v[6:7]
	v_div_scale_f64 v[2:3], s[4:5], v[0:1], v[0:1], 1.0
	v_rcp_f64_e32 v[18:19], v[2:3]
	s_nop 0
	v_fma_f64 v[20:21], -v[2:3], v[18:19], 1.0
	v_fmac_f64_e32 v[18:19], v[18:19], v[20:21]
	v_fma_f64 v[20:21], -v[2:3], v[18:19], 1.0
	v_fmac_f64_e32 v[18:19], v[18:19], v[20:21]
	v_div_scale_f64 v[20:21], vcc, 1.0, v[0:1], 1.0
	v_mul_f64 v[22:23], v[20:21], v[18:19]
	v_fma_f64 v[2:3], -v[2:3], v[22:23], v[20:21]
	s_nop 1
	v_div_fmas_f64 v[2:3], v[2:3], v[18:19], v[22:23]
	v_div_fixup_f64 v[0:1], v[2:3], v[0:1], 1.0
	v_mul_f64 v[2:3], v[6:7], -v[0:1]
.LBB124_161:
	s_or_b64 exec, exec, s[12:13]
.LBB124_162:
	s_or_b64 exec, exec, s[0:1]
	v_cmp_ne_u32_e32 vcc, v17, v4
	s_and_saveexec_b64 s[0:1], vcc
	s_xor_b64 s[0:1], exec, s[0:1]
	s_cbranch_execz .LBB124_168
; %bb.163:
	v_cmp_eq_u32_e32 vcc, 6, v17
	s_and_saveexec_b64 s[12:13], vcc
	s_cbranch_execz .LBB124_167
; %bb.164:
	v_cmp_ne_u32_e32 vcc, 6, v4
	s_xor_b64 s[4:5], s[18:19], -1
	s_and_b64 s[4:5], s[4:5], vcc
	s_and_saveexec_b64 s[14:15], s[4:5]
	s_cbranch_execz .LBB124_166
; %bb.165:
	v_ashrrev_i32_e32 v5, 31, v4
	v_lshl_add_u64 v[6:7], v[4:5], 2, v[10:11]
	global_load_dword v5, v[6:7], off
	global_load_dword v16, v[10:11], off offset:24
	s_waitcnt vmcnt(1)
	global_store_dword v[10:11], v5, off offset:24
	s_waitcnt vmcnt(1)
	global_store_dword v[6:7], v16, off
.LBB124_166:
	s_or_b64 exec, exec, s[14:15]
	v_mov_b32_e32 v17, v4
	v_mov_b32_e32 v16, v4
.LBB124_167:
	s_or_b64 exec, exec, s[12:13]
.LBB124_168:
	s_andn2_saveexec_b64 s[0:1], s[0:1]
	s_cbranch_execz .LBB124_172
; %bb.169:
	s_mov_b32 s4, 0
	v_add_u32_e32 v4, 0x70, v14
.LBB124_170:                            ; =>This Inner Loop Header: Depth=1
	s_add_i32 s12, s4, 0x70
	s_add_i32 s13, s4, 0x80
	;; [unrolled: 1-line block ×14, first 2 shown]
	scratch_load_dwordx4 v[18:21], off, s12
	scratch_load_dwordx4 v[22:25], off, s13
	;; [unrolled: 1-line block ×14, first 2 shown]
	v_add_u32_e32 v5, s4, v4
	s_addk_i32 s4, 0xe0
	s_cmpk_eq_i32 s4, 0x380
	s_waitcnt vmcnt(13)
	ds_write2_b64 v5, v[18:19], v[20:21] offset1:1
	s_waitcnt vmcnt(12)
	ds_write2_b64 v5, v[22:23], v[24:25] offset0:2 offset1:3
	s_waitcnt vmcnt(11)
	ds_write2_b64 v5, v[26:27], v[28:29] offset0:4 offset1:5
	;; [unrolled: 2-line block ×13, first 2 shown]
	s_cbranch_scc0 .LBB124_170
; %bb.171:
	v_mov_b32_e32 v17, 6
.LBB124_172:
	s_or_b64 exec, exec, s[0:1]
	v_cmp_lt_i32_e32 vcc, 6, v17
	s_waitcnt lgkmcnt(0)
	s_barrier
	s_and_saveexec_b64 s[0:1], vcc
	s_cbranch_execz .LBB124_175
; %bb.173:
	scratch_load_dwordx4 v[18:21], off, off offset:96
	s_mov_b32 s12, 0
	s_waitcnt vmcnt(0)
	v_mul_f64 v[4:5], v[2:3], v[20:21]
	v_mul_f64 v[6:7], v[0:1], v[20:21]
	v_fma_f64 v[4:5], v[0:1], v[18:19], -v[4:5]
	v_fmac_f64_e32 v[6:7], v[2:3], v[18:19]
	v_add_u32_e32 v0, 0x70, v14
	scratch_store_dwordx4 off, v[4:7], off offset:96
.LBB124_174:                            ; =>This Inner Loop Header: Depth=1
	v_add_u32_e32 v1, s12, v0
	ds_read2_b64 v[18:21], v1 offset1:1
	ds_read2_b64 v[22:25], v1 offset0:2 offset1:3
	ds_read2_b64 v[26:29], v1 offset0:4 offset1:5
	;; [unrolled: 1-line block ×5, first 2 shown]
	s_add_i32 s13, s12, 0x70
	s_waitcnt lgkmcnt(5)
	v_mul_f64 v[2:3], v[20:21], v[6:7]
	v_mul_f64 v[70:71], v[18:19], v[6:7]
	s_waitcnt lgkmcnt(4)
	v_mul_f64 v[72:73], v[24:25], v[6:7]
	v_mul_f64 v[74:75], v[22:23], v[6:7]
	;; [unrolled: 3-line block ×6, first 2 shown]
	s_add_i32 s14, s12, 0x80
	s_add_i32 s5, s12, 0x90
	;; [unrolled: 1-line block ×7, first 2 shown]
	scratch_load_dwordx4 v[42:45], off, s13
	scratch_load_dwordx4 v[46:49], off, s14
	;; [unrolled: 1-line block ×7, first 2 shown]
	v_fma_f64 v[2:3], v[18:19], v[4:5], -v[2:3]
	v_fmac_f64_e32 v[70:71], v[20:21], v[4:5]
	v_fma_f64 v[72:73], v[22:23], v[4:5], -v[72:73]
	v_fmac_f64_e32 v[74:75], v[24:25], v[4:5]
	;; [unrolled: 2-line block ×6, first 2 shown]
	scratch_load_dwordx4 v[4:7], off, off offset:96
	scratch_load_dwordx4 v[18:21], off, s4
	ds_read2_b64 v[22:25], v1 offset0:12 offset1:13
	ds_read2_b64 v[26:29], v1 offset0:14 offset1:15
	s_addk_i32 s12, 0x80
	s_cmpk_lg_i32 s12, 0x380
	s_waitcnt vmcnt(8)
	v_add_f64 v[30:31], v[42:43], -v[2:3]
	v_add_f64 v[32:33], v[44:45], -v[70:71]
	s_waitcnt vmcnt(7)
	v_add_f64 v[34:35], v[46:47], -v[72:73]
	v_add_f64 v[36:37], v[48:49], -v[74:75]
	;; [unrolled: 3-line block ×6, first 2 shown]
	scratch_store_dwordx4 off, v[30:33], s13
	scratch_store_dwordx4 off, v[34:37], s14
	;; [unrolled: 1-line block ×6, first 2 shown]
	s_waitcnt vmcnt(7) lgkmcnt(1)
	v_mul_f64 v[2:3], v[24:25], v[6:7]
	v_mul_f64 v[30:31], v[22:23], v[6:7]
	s_waitcnt lgkmcnt(0)
	v_mul_f64 v[32:33], v[28:29], v[6:7]
	v_mul_f64 v[34:35], v[26:27], v[6:7]
	v_fma_f64 v[2:3], v[22:23], v[4:5], -v[2:3]
	v_fmac_f64_e32 v[30:31], v[24:25], v[4:5]
	v_fma_f64 v[26:27], v[26:27], v[4:5], -v[32:33]
	v_fmac_f64_e32 v[34:35], v[28:29], v[4:5]
	v_add_f64 v[22:23], v[66:67], -v[2:3]
	v_add_f64 v[24:25], v[68:69], -v[30:31]
	s_waitcnt vmcnt(6)
	v_add_f64 v[18:19], v[18:19], -v[26:27]
	v_add_f64 v[20:21], v[20:21], -v[34:35]
	scratch_store_dwordx4 off, v[22:25], s68
	scratch_store_dwordx4 off, v[18:21], s4
	s_cbranch_scc1 .LBB124_174
.LBB124_175:
	s_or_b64 exec, exec, s[0:1]
	s_barrier
	scratch_load_dwordx4 v[0:3], off, s82
	v_lshl_add_u32 v4, v17, 4, v14
	s_cmp_lt_i32 s52, 9
	s_waitcnt vmcnt(0)
	ds_write2_b64 v4, v[0:1], v[2:3] offset1:1
	s_waitcnt lgkmcnt(0)
	s_barrier
	ds_read2_b64 v[0:3], v14 offset0:14 offset1:15
	v_mov_b32_e32 v4, 7
	s_cbranch_scc1 .LBB124_178
; %bb.176:
	v_add_u32_e32 v5, 0x80, v14
	s_mov_b32 s4, 8
	v_mov_b32_e32 v4, 7
.LBB124_177:                            ; =>This Inner Loop Header: Depth=1
	ds_read2_b64 v[18:21], v5 offset1:1
	s_waitcnt lgkmcnt(1)
	v_xor_b32_e32 v7, 0x80000000, v1
	v_xor_b32_e32 v23, 0x80000000, v3
	v_cmp_gt_f64_e32 vcc, 0, v[2:3]
	v_cmp_gt_f64_e64 s[0:1], 0, v[0:1]
	v_mov_b32_e32 v6, v0
	v_mov_b32_e32 v22, v2
	v_cndmask_b32_e64 v7, v1, v7, s[0:1]
	v_cndmask_b32_e32 v23, v3, v23, vcc
	v_add_f64 v[6:7], v[6:7], v[22:23]
	s_waitcnt lgkmcnt(0)
	v_xor_b32_e32 v23, 0x80000000, v19
	v_xor_b32_e32 v25, 0x80000000, v21
	v_cmp_gt_f64_e32 vcc, 0, v[20:21]
	v_cmp_gt_f64_e64 s[0:1], 0, v[18:19]
	v_mov_b32_e32 v22, v18
	v_mov_b32_e32 v24, v20
	v_cndmask_b32_e64 v23, v19, v23, s[0:1]
	v_cndmask_b32_e32 v25, v21, v25, vcc
	v_add_f64 v[22:23], v[22:23], v[24:25]
	v_mov_b32_e32 v26, s4
	s_add_i32 s4, s4, 1
	v_cmp_lt_f64_e32 vcc, v[6:7], v[22:23]
	v_add_u32_e32 v5, 16, v5
	s_cmp_lg_u32 s52, s4
	v_cndmask_b32_e32 v1, v1, v19, vcc
	v_cndmask_b32_e32 v0, v0, v18, vcc
	;; [unrolled: 1-line block ×5, first 2 shown]
	s_cbranch_scc1 .LBB124_177
.LBB124_178:
	s_waitcnt lgkmcnt(0)
	v_cmp_eq_f64_e32 vcc, 0, v[0:1]
	v_cmp_eq_f64_e64 s[0:1], 0, v[2:3]
	s_and_b64 s[0:1], vcc, s[0:1]
	s_and_saveexec_b64 s[4:5], s[0:1]
	s_xor_b64 s[0:1], exec, s[4:5]
; %bb.179:
	v_cmp_ne_u32_e32 vcc, 0, v15
	s_nop 1
	v_cndmask_b32_e32 v15, 8, v15, vcc
; %bb.180:
	s_andn2_saveexec_b64 s[0:1], s[0:1]
	s_cbranch_execz .LBB124_186
; %bb.181:
	v_cmp_ngt_f64_e64 s[4:5], |v[0:1]|, |v[2:3]|
	s_and_saveexec_b64 s[12:13], s[4:5]
	s_xor_b64 s[12:13], exec, s[12:13]
	s_cbranch_execz .LBB124_183
; %bb.182:
	v_div_scale_f64 v[6:7], s[4:5], v[2:3], v[2:3], v[0:1]
	v_rcp_f64_e32 v[18:19], v[6:7]
	v_div_scale_f64 v[20:21], vcc, v[0:1], v[2:3], v[0:1]
	v_fma_f64 v[22:23], -v[6:7], v[18:19], 1.0
	v_fmac_f64_e32 v[18:19], v[18:19], v[22:23]
	v_fma_f64 v[22:23], -v[6:7], v[18:19], 1.0
	v_fmac_f64_e32 v[18:19], v[18:19], v[22:23]
	v_mul_f64 v[22:23], v[20:21], v[18:19]
	v_fma_f64 v[6:7], -v[6:7], v[22:23], v[20:21]
	v_div_fmas_f64 v[6:7], v[6:7], v[18:19], v[22:23]
	v_div_fixup_f64 v[6:7], v[6:7], v[2:3], v[0:1]
	v_fmac_f64_e32 v[2:3], v[0:1], v[6:7]
	v_div_scale_f64 v[0:1], s[4:5], v[2:3], v[2:3], 1.0
	v_rcp_f64_e32 v[18:19], v[0:1]
	s_nop 0
	v_fma_f64 v[20:21], -v[0:1], v[18:19], 1.0
	v_fmac_f64_e32 v[18:19], v[18:19], v[20:21]
	v_fma_f64 v[20:21], -v[0:1], v[18:19], 1.0
	v_fmac_f64_e32 v[18:19], v[18:19], v[20:21]
	v_div_scale_f64 v[20:21], vcc, 1.0, v[2:3], 1.0
	v_mul_f64 v[22:23], v[20:21], v[18:19]
	v_fma_f64 v[0:1], -v[0:1], v[22:23], v[20:21]
	s_nop 1
	v_div_fmas_f64 v[0:1], v[0:1], v[18:19], v[22:23]
	v_div_fixup_f64 v[2:3], v[0:1], v[2:3], 1.0
	v_mul_f64 v[0:1], v[6:7], v[2:3]
	v_xor_b32_e32 v3, 0x80000000, v3
.LBB124_183:
	s_andn2_saveexec_b64 s[12:13], s[12:13]
	s_cbranch_execz .LBB124_185
; %bb.184:
	v_div_scale_f64 v[6:7], s[4:5], v[0:1], v[0:1], v[2:3]
	v_rcp_f64_e32 v[18:19], v[6:7]
	v_div_scale_f64 v[20:21], vcc, v[2:3], v[0:1], v[2:3]
	v_fma_f64 v[22:23], -v[6:7], v[18:19], 1.0
	v_fmac_f64_e32 v[18:19], v[18:19], v[22:23]
	v_fma_f64 v[22:23], -v[6:7], v[18:19], 1.0
	v_fmac_f64_e32 v[18:19], v[18:19], v[22:23]
	v_mul_f64 v[22:23], v[20:21], v[18:19]
	v_fma_f64 v[6:7], -v[6:7], v[22:23], v[20:21]
	v_div_fmas_f64 v[6:7], v[6:7], v[18:19], v[22:23]
	v_div_fixup_f64 v[6:7], v[6:7], v[0:1], v[2:3]
	v_fmac_f64_e32 v[0:1], v[2:3], v[6:7]
	v_div_scale_f64 v[2:3], s[4:5], v[0:1], v[0:1], 1.0
	v_rcp_f64_e32 v[18:19], v[2:3]
	s_nop 0
	v_fma_f64 v[20:21], -v[2:3], v[18:19], 1.0
	v_fmac_f64_e32 v[18:19], v[18:19], v[20:21]
	v_fma_f64 v[20:21], -v[2:3], v[18:19], 1.0
	v_fmac_f64_e32 v[18:19], v[18:19], v[20:21]
	v_div_scale_f64 v[20:21], vcc, 1.0, v[0:1], 1.0
	v_mul_f64 v[22:23], v[20:21], v[18:19]
	v_fma_f64 v[2:3], -v[2:3], v[22:23], v[20:21]
	s_nop 1
	v_div_fmas_f64 v[2:3], v[2:3], v[18:19], v[22:23]
	v_div_fixup_f64 v[0:1], v[2:3], v[0:1], 1.0
	v_mul_f64 v[2:3], v[6:7], -v[0:1]
.LBB124_185:
	s_or_b64 exec, exec, s[12:13]
.LBB124_186:
	s_or_b64 exec, exec, s[0:1]
	v_cmp_ne_u32_e32 vcc, v17, v4
	s_and_saveexec_b64 s[0:1], vcc
	s_xor_b64 s[0:1], exec, s[0:1]
	s_cbranch_execz .LBB124_192
; %bb.187:
	v_cmp_eq_u32_e32 vcc, 7, v17
	s_and_saveexec_b64 s[12:13], vcc
	s_cbranch_execz .LBB124_191
; %bb.188:
	v_cmp_ne_u32_e32 vcc, 7, v4
	s_xor_b64 s[4:5], s[18:19], -1
	s_and_b64 s[4:5], s[4:5], vcc
	s_and_saveexec_b64 s[14:15], s[4:5]
	s_cbranch_execz .LBB124_190
; %bb.189:
	v_ashrrev_i32_e32 v5, 31, v4
	v_lshl_add_u64 v[6:7], v[4:5], 2, v[10:11]
	global_load_dword v5, v[6:7], off
	global_load_dword v16, v[10:11], off offset:28
	s_waitcnt vmcnt(1)
	global_store_dword v[10:11], v5, off offset:28
	s_waitcnt vmcnt(1)
	global_store_dword v[6:7], v16, off
.LBB124_190:
	s_or_b64 exec, exec, s[14:15]
	v_mov_b32_e32 v17, v4
	v_mov_b32_e32 v16, v4
.LBB124_191:
	s_or_b64 exec, exec, s[12:13]
.LBB124_192:
	s_andn2_saveexec_b64 s[0:1], s[0:1]
	s_cbranch_execz .LBB124_196
; %bb.193:
	s_mov_b32 s4, 0
	v_add_u32_e32 v4, 0x80, v14
.LBB124_194:                            ; =>This Inner Loop Header: Depth=1
	s_add_i32 s12, s4, 0x80
	s_add_i32 s13, s4, 0x90
	s_add_i32 s14, s4, 0xa0
	s_add_i32 s15, s4, 0xb0
	s_add_i32 s16, s4, 0xc0
	s_add_i32 s67, s4, 0xd0
	s_add_i32 s68, s4, 0xe0
	s_add_i32 s69, s4, 0xf0
	s_add_i32 s70, s4, 0x100
	s_add_i32 s71, s4, 0x110
	s_add_i32 s5, s4, 0x120
	scratch_load_dwordx4 v[18:21], off, s12
	scratch_load_dwordx4 v[22:25], off, s13
	;; [unrolled: 1-line block ×11, first 2 shown]
	v_add_u32_e32 v5, s4, v4
	s_addk_i32 s4, 0xb0
	s_cmpk_eq_i32 s4, 0x370
	s_waitcnt vmcnt(10)
	ds_write2_b64 v5, v[18:19], v[20:21] offset1:1
	s_waitcnt vmcnt(9)
	ds_write2_b64 v5, v[22:23], v[24:25] offset0:2 offset1:3
	s_waitcnt vmcnt(8)
	ds_write2_b64 v5, v[26:27], v[28:29] offset0:4 offset1:5
	;; [unrolled: 2-line block ×10, first 2 shown]
	s_cbranch_scc0 .LBB124_194
; %bb.195:
	v_mov_b32_e32 v17, 7
.LBB124_196:
	s_or_b64 exec, exec, s[0:1]
	v_cmp_lt_i32_e32 vcc, 7, v17
	s_waitcnt lgkmcnt(0)
	s_barrier
	s_and_saveexec_b64 s[0:1], vcc
	s_cbranch_execz .LBB124_199
; %bb.197:
	scratch_load_dwordx4 v[18:21], off, off offset:112
	s_mov_b32 s4, 0
	s_waitcnt vmcnt(0)
	v_mul_f64 v[4:5], v[2:3], v[20:21]
	v_mul_f64 v[6:7], v[0:1], v[20:21]
	v_fma_f64 v[4:5], v[0:1], v[18:19], -v[4:5]
	v_fmac_f64_e32 v[6:7], v[2:3], v[18:19]
	v_add_u32_e32 v0, 0x80, v14
	scratch_store_dwordx4 off, v[4:7], off offset:112
.LBB124_198:                            ; =>This Inner Loop Header: Depth=1
	s_add_i32 s12, s4, 0x80
	s_add_i32 s13, s4, 0x90
	;; [unrolled: 1-line block ×5, first 2 shown]
	scratch_load_dwordx4 v[18:21], off, s12
	scratch_load_dwordx4 v[22:25], off, s13
	;; [unrolled: 1-line block ×5, first 2 shown]
	v_add_u32_e32 v1, s4, v0
	ds_read2_b64 v[38:41], v1 offset1:1
	ds_read2_b64 v[42:45], v1 offset0:2 offset1:3
	ds_read2_b64 v[46:49], v1 offset0:4 offset1:5
	;; [unrolled: 1-line block ×4, first 2 shown]
	s_waitcnt lgkmcnt(4)
	v_mul_f64 v[2:3], v[40:41], v[6:7]
	v_mul_f64 v[58:59], v[38:39], v[6:7]
	s_addk_i32 s4, 0x50
	s_waitcnt lgkmcnt(3)
	v_mul_f64 v[60:61], v[44:45], v[6:7]
	v_mul_f64 v[62:63], v[42:43], v[6:7]
	s_waitcnt lgkmcnt(2)
	v_mul_f64 v[64:65], v[48:49], v[6:7]
	v_mul_f64 v[66:67], v[46:47], v[6:7]
	;; [unrolled: 3-line block ×4, first 2 shown]
	v_fma_f64 v[2:3], v[38:39], v[4:5], -v[2:3]
	v_fmac_f64_e32 v[58:59], v[40:41], v[4:5]
	s_cmpk_lg_i32 s4, 0x370
	v_fma_f64 v[38:39], v[42:43], v[4:5], -v[60:61]
	v_fmac_f64_e32 v[62:63], v[44:45], v[4:5]
	v_fma_f64 v[40:41], v[46:47], v[4:5], -v[64:65]
	v_fmac_f64_e32 v[66:67], v[48:49], v[4:5]
	;; [unrolled: 2-line block ×4, first 2 shown]
	s_waitcnt vmcnt(4)
	v_add_f64 v[18:19], v[18:19], -v[2:3]
	v_add_f64 v[20:21], v[20:21], -v[58:59]
	s_waitcnt vmcnt(3)
	v_add_f64 v[22:23], v[22:23], -v[38:39]
	v_add_f64 v[24:25], v[24:25], -v[62:63]
	;; [unrolled: 3-line block ×5, first 2 shown]
	scratch_store_dwordx4 off, v[18:21], s12
	scratch_store_dwordx4 off, v[22:25], s13
	;; [unrolled: 1-line block ×5, first 2 shown]
	s_cbranch_scc1 .LBB124_198
.LBB124_199:
	s_or_b64 exec, exec, s[0:1]
	s_barrier
	scratch_load_dwordx4 v[0:3], off, s81
	v_lshl_add_u32 v4, v17, 4, v14
	s_cmp_lt_i32 s52, 10
	s_waitcnt vmcnt(0)
	ds_write2_b64 v4, v[0:1], v[2:3] offset1:1
	s_waitcnt lgkmcnt(0)
	s_barrier
	ds_read2_b64 v[0:3], v14 offset0:16 offset1:17
	v_mov_b32_e32 v4, 8
	s_cbranch_scc1 .LBB124_202
; %bb.200:
	v_add_u32_e32 v5, 0x90, v14
	s_mov_b32 s4, 9
	v_mov_b32_e32 v4, 8
.LBB124_201:                            ; =>This Inner Loop Header: Depth=1
	ds_read2_b64 v[18:21], v5 offset1:1
	s_waitcnt lgkmcnt(1)
	v_xor_b32_e32 v7, 0x80000000, v1
	v_xor_b32_e32 v23, 0x80000000, v3
	v_cmp_gt_f64_e32 vcc, 0, v[2:3]
	v_cmp_gt_f64_e64 s[0:1], 0, v[0:1]
	v_mov_b32_e32 v6, v0
	v_mov_b32_e32 v22, v2
	v_cndmask_b32_e64 v7, v1, v7, s[0:1]
	v_cndmask_b32_e32 v23, v3, v23, vcc
	v_add_f64 v[6:7], v[6:7], v[22:23]
	s_waitcnt lgkmcnt(0)
	v_xor_b32_e32 v23, 0x80000000, v19
	v_xor_b32_e32 v25, 0x80000000, v21
	v_cmp_gt_f64_e32 vcc, 0, v[20:21]
	v_cmp_gt_f64_e64 s[0:1], 0, v[18:19]
	v_mov_b32_e32 v22, v18
	v_mov_b32_e32 v24, v20
	v_cndmask_b32_e64 v23, v19, v23, s[0:1]
	v_cndmask_b32_e32 v25, v21, v25, vcc
	v_add_f64 v[22:23], v[22:23], v[24:25]
	v_mov_b32_e32 v26, s4
	s_add_i32 s4, s4, 1
	v_cmp_lt_f64_e32 vcc, v[6:7], v[22:23]
	v_add_u32_e32 v5, 16, v5
	s_cmp_lg_u32 s52, s4
	v_cndmask_b32_e32 v1, v1, v19, vcc
	v_cndmask_b32_e32 v0, v0, v18, vcc
	;; [unrolled: 1-line block ×5, first 2 shown]
	s_cbranch_scc1 .LBB124_201
.LBB124_202:
	s_waitcnt lgkmcnt(0)
	v_cmp_eq_f64_e32 vcc, 0, v[0:1]
	v_cmp_eq_f64_e64 s[0:1], 0, v[2:3]
	s_and_b64 s[0:1], vcc, s[0:1]
	s_and_saveexec_b64 s[4:5], s[0:1]
	s_xor_b64 s[0:1], exec, s[4:5]
; %bb.203:
	v_cmp_ne_u32_e32 vcc, 0, v15
	s_nop 1
	v_cndmask_b32_e32 v15, 9, v15, vcc
; %bb.204:
	s_andn2_saveexec_b64 s[0:1], s[0:1]
	s_cbranch_execz .LBB124_210
; %bb.205:
	v_cmp_ngt_f64_e64 s[4:5], |v[0:1]|, |v[2:3]|
	s_and_saveexec_b64 s[12:13], s[4:5]
	s_xor_b64 s[12:13], exec, s[12:13]
	s_cbranch_execz .LBB124_207
; %bb.206:
	v_div_scale_f64 v[6:7], s[4:5], v[2:3], v[2:3], v[0:1]
	v_rcp_f64_e32 v[18:19], v[6:7]
	v_div_scale_f64 v[20:21], vcc, v[0:1], v[2:3], v[0:1]
	v_fma_f64 v[22:23], -v[6:7], v[18:19], 1.0
	v_fmac_f64_e32 v[18:19], v[18:19], v[22:23]
	v_fma_f64 v[22:23], -v[6:7], v[18:19], 1.0
	v_fmac_f64_e32 v[18:19], v[18:19], v[22:23]
	v_mul_f64 v[22:23], v[20:21], v[18:19]
	v_fma_f64 v[6:7], -v[6:7], v[22:23], v[20:21]
	v_div_fmas_f64 v[6:7], v[6:7], v[18:19], v[22:23]
	v_div_fixup_f64 v[6:7], v[6:7], v[2:3], v[0:1]
	v_fmac_f64_e32 v[2:3], v[0:1], v[6:7]
	v_div_scale_f64 v[0:1], s[4:5], v[2:3], v[2:3], 1.0
	v_rcp_f64_e32 v[18:19], v[0:1]
	s_nop 0
	v_fma_f64 v[20:21], -v[0:1], v[18:19], 1.0
	v_fmac_f64_e32 v[18:19], v[18:19], v[20:21]
	v_fma_f64 v[20:21], -v[0:1], v[18:19], 1.0
	v_fmac_f64_e32 v[18:19], v[18:19], v[20:21]
	v_div_scale_f64 v[20:21], vcc, 1.0, v[2:3], 1.0
	v_mul_f64 v[22:23], v[20:21], v[18:19]
	v_fma_f64 v[0:1], -v[0:1], v[22:23], v[20:21]
	s_nop 1
	v_div_fmas_f64 v[0:1], v[0:1], v[18:19], v[22:23]
	v_div_fixup_f64 v[2:3], v[0:1], v[2:3], 1.0
	v_mul_f64 v[0:1], v[6:7], v[2:3]
	v_xor_b32_e32 v3, 0x80000000, v3
.LBB124_207:
	s_andn2_saveexec_b64 s[12:13], s[12:13]
	s_cbranch_execz .LBB124_209
; %bb.208:
	v_div_scale_f64 v[6:7], s[4:5], v[0:1], v[0:1], v[2:3]
	v_rcp_f64_e32 v[18:19], v[6:7]
	v_div_scale_f64 v[20:21], vcc, v[2:3], v[0:1], v[2:3]
	v_fma_f64 v[22:23], -v[6:7], v[18:19], 1.0
	v_fmac_f64_e32 v[18:19], v[18:19], v[22:23]
	v_fma_f64 v[22:23], -v[6:7], v[18:19], 1.0
	v_fmac_f64_e32 v[18:19], v[18:19], v[22:23]
	v_mul_f64 v[22:23], v[20:21], v[18:19]
	v_fma_f64 v[6:7], -v[6:7], v[22:23], v[20:21]
	v_div_fmas_f64 v[6:7], v[6:7], v[18:19], v[22:23]
	v_div_fixup_f64 v[6:7], v[6:7], v[0:1], v[2:3]
	v_fmac_f64_e32 v[0:1], v[2:3], v[6:7]
	v_div_scale_f64 v[2:3], s[4:5], v[0:1], v[0:1], 1.0
	v_rcp_f64_e32 v[18:19], v[2:3]
	s_nop 0
	v_fma_f64 v[20:21], -v[2:3], v[18:19], 1.0
	v_fmac_f64_e32 v[18:19], v[18:19], v[20:21]
	v_fma_f64 v[20:21], -v[2:3], v[18:19], 1.0
	v_fmac_f64_e32 v[18:19], v[18:19], v[20:21]
	v_div_scale_f64 v[20:21], vcc, 1.0, v[0:1], 1.0
	v_mul_f64 v[22:23], v[20:21], v[18:19]
	v_fma_f64 v[2:3], -v[2:3], v[22:23], v[20:21]
	s_nop 1
	v_div_fmas_f64 v[2:3], v[2:3], v[18:19], v[22:23]
	v_div_fixup_f64 v[0:1], v[2:3], v[0:1], 1.0
	v_mul_f64 v[2:3], v[6:7], -v[0:1]
.LBB124_209:
	s_or_b64 exec, exec, s[12:13]
.LBB124_210:
	s_or_b64 exec, exec, s[0:1]
	v_cmp_ne_u32_e32 vcc, v17, v4
	s_and_saveexec_b64 s[0:1], vcc
	s_xor_b64 s[0:1], exec, s[0:1]
	s_cbranch_execz .LBB124_216
; %bb.211:
	v_cmp_eq_u32_e32 vcc, 8, v17
	s_and_saveexec_b64 s[12:13], vcc
	s_cbranch_execz .LBB124_215
; %bb.212:
	v_cmp_ne_u32_e32 vcc, 8, v4
	s_xor_b64 s[4:5], s[18:19], -1
	s_and_b64 s[4:5], s[4:5], vcc
	s_and_saveexec_b64 s[14:15], s[4:5]
	s_cbranch_execz .LBB124_214
; %bb.213:
	v_ashrrev_i32_e32 v5, 31, v4
	v_lshl_add_u64 v[6:7], v[4:5], 2, v[10:11]
	global_load_dword v5, v[6:7], off
	global_load_dword v16, v[10:11], off offset:32
	s_waitcnt vmcnt(1)
	global_store_dword v[10:11], v5, off offset:32
	s_waitcnt vmcnt(1)
	global_store_dword v[6:7], v16, off
.LBB124_214:
	s_or_b64 exec, exec, s[14:15]
	v_mov_b32_e32 v17, v4
	v_mov_b32_e32 v16, v4
.LBB124_215:
	s_or_b64 exec, exec, s[12:13]
.LBB124_216:
	s_andn2_saveexec_b64 s[0:1], s[0:1]
	s_cbranch_execz .LBB124_220
; %bb.217:
	s_mov_b32 s4, 0
	v_add_u32_e32 v4, 0x90, v14
.LBB124_218:                            ; =>This Inner Loop Header: Depth=1
	s_add_i32 s12, s4, 0x90
	s_add_i32 s13, s4, 0xa0
	s_add_i32 s14, s4, 0xb0
	s_add_i32 s15, s4, 0xc0
	s_add_i32 s16, s4, 0xd0
	s_add_i32 s67, s4, 0xe0
	s_add_i32 s68, s4, 0xf0
	s_add_i32 s69, s4, 0x100
	s_add_i32 s70, s4, 0x110
	s_add_i32 s71, s4, 0x120
	s_add_i32 s72, s4, 0x130
	s_add_i32 s73, s4, 0x140
	s_add_i32 s74, s4, 0x150
	s_add_i32 s75, s4, 0x160
	s_add_i32 s76, s4, 0x170
	s_add_i32 s84, s4, 0x180
	s_add_i32 s85, s4, 0x190
	s_add_i32 s5, s4, 0x1a0
	scratch_load_dwordx4 v[18:21], off, s12
	scratch_load_dwordx4 v[22:25], off, s13
	;; [unrolled: 1-line block ×18, first 2 shown]
	v_add_u32_e32 v5, s4, v4
	s_addk_i32 s4, 0x120
	s_cmpk_eq_i32 s4, 0x360
	s_waitcnt vmcnt(17)
	ds_write2_b64 v5, v[18:19], v[20:21] offset1:1
	s_waitcnt vmcnt(16)
	ds_write2_b64 v5, v[22:23], v[24:25] offset0:2 offset1:3
	s_waitcnt vmcnt(15)
	ds_write2_b64 v5, v[26:27], v[28:29] offset0:4 offset1:5
	;; [unrolled: 2-line block ×17, first 2 shown]
	s_cbranch_scc0 .LBB124_218
; %bb.219:
	v_mov_b32_e32 v17, 8
.LBB124_220:
	s_or_b64 exec, exec, s[0:1]
	v_cmp_lt_i32_e32 vcc, 8, v17
	s_waitcnt lgkmcnt(0)
	s_barrier
	s_and_saveexec_b64 s[0:1], vcc
	s_cbranch_execz .LBB124_223
; %bb.221:
	scratch_load_dwordx4 v[18:21], off, off offset:128
	s_mov_b32 s12, 0
	s_waitcnt vmcnt(0)
	v_mul_f64 v[4:5], v[2:3], v[20:21]
	v_mul_f64 v[6:7], v[0:1], v[20:21]
	v_fma_f64 v[4:5], v[0:1], v[18:19], -v[4:5]
	v_fmac_f64_e32 v[6:7], v[2:3], v[18:19]
	v_add_u32_e32 v0, 0x90, v14
	scratch_store_dwordx4 off, v[4:7], off offset:128
.LBB124_222:                            ; =>This Inner Loop Header: Depth=1
	v_add_u32_e32 v1, s12, v0
	ds_read2_b64 v[18:21], v1 offset1:1
	ds_read2_b64 v[22:25], v1 offset0:2 offset1:3
	ds_read2_b64 v[26:29], v1 offset0:4 offset1:5
	;; [unrolled: 1-line block ×5, first 2 shown]
	s_add_i32 s13, s12, 0x90
	s_waitcnt lgkmcnt(5)
	v_mul_f64 v[2:3], v[20:21], v[6:7]
	v_mul_f64 v[74:75], v[18:19], v[6:7]
	s_waitcnt lgkmcnt(4)
	v_mul_f64 v[76:77], v[24:25], v[6:7]
	v_mul_f64 v[78:79], v[22:23], v[6:7]
	;; [unrolled: 3-line block ×6, first 2 shown]
	s_add_i32 s14, s12, 0xa0
	s_add_i32 s15, s12, 0xb0
	;; [unrolled: 1-line block ×8, first 2 shown]
	scratch_load_dwordx4 v[42:45], off, s13
	scratch_load_dwordx4 v[46:49], off, s14
	;; [unrolled: 1-line block ×8, first 2 shown]
	v_fma_f64 v[2:3], v[18:19], v[4:5], -v[2:3]
	v_fmac_f64_e32 v[74:75], v[20:21], v[4:5]
	v_fma_f64 v[76:77], v[22:23], v[4:5], -v[76:77]
	v_fmac_f64_e32 v[78:79], v[24:25], v[4:5]
	;; [unrolled: 2-line block ×6, first 2 shown]
	scratch_load_dwordx4 v[4:7], off, off offset:128
	scratch_load_dwordx4 v[18:21], off, s4
	ds_read2_b64 v[22:25], v1 offset0:12 offset1:13
	ds_read2_b64 v[26:29], v1 offset0:14 offset1:15
	;; [unrolled: 1-line block ×3, first 2 shown]
	s_addk_i32 s12, 0x90
	s_cmpk_lg_i32 s12, 0x360
	s_waitcnt vmcnt(9)
	v_add_f64 v[34:35], v[42:43], -v[2:3]
	v_add_f64 v[36:37], v[44:45], -v[74:75]
	s_waitcnt vmcnt(8)
	v_add_f64 v[38:39], v[46:47], -v[76:77]
	v_add_f64 v[40:41], v[48:49], -v[78:79]
	;; [unrolled: 3-line block ×6, first 2 shown]
	scratch_store_dwordx4 off, v[34:37], s13
	scratch_store_dwordx4 off, v[38:41], s14
	;; [unrolled: 1-line block ×6, first 2 shown]
	s_waitcnt vmcnt(7) lgkmcnt(2)
	v_mul_f64 v[2:3], v[24:25], v[6:7]
	v_mul_f64 v[34:35], v[22:23], v[6:7]
	s_waitcnt lgkmcnt(1)
	v_mul_f64 v[36:37], v[28:29], v[6:7]
	v_mul_f64 v[38:39], v[26:27], v[6:7]
	s_waitcnt lgkmcnt(0)
	v_mul_f64 v[40:41], v[32:33], v[6:7]
	v_mul_f64 v[42:43], v[30:31], v[6:7]
	v_fma_f64 v[2:3], v[22:23], v[4:5], -v[2:3]
	v_fmac_f64_e32 v[34:35], v[24:25], v[4:5]
	v_fma_f64 v[26:27], v[26:27], v[4:5], -v[36:37]
	v_fmac_f64_e32 v[38:39], v[28:29], v[4:5]
	;; [unrolled: 2-line block ×3, first 2 shown]
	v_add_f64 v[22:23], v[66:67], -v[2:3]
	v_add_f64 v[24:25], v[68:69], -v[34:35]
	;; [unrolled: 1-line block ×4, first 2 shown]
	s_waitcnt vmcnt(6)
	v_add_f64 v[18:19], v[18:19], -v[30:31]
	v_add_f64 v[20:21], v[20:21], -v[42:43]
	scratch_store_dwordx4 off, v[22:25], s68
	scratch_store_dwordx4 off, v[26:29], s69
	;; [unrolled: 1-line block ×3, first 2 shown]
	s_cbranch_scc1 .LBB124_222
.LBB124_223:
	s_or_b64 exec, exec, s[0:1]
	s_barrier
	scratch_load_dwordx4 v[0:3], off, s80
	v_lshl_add_u32 v4, v17, 4, v14
	s_cmp_lt_i32 s52, 11
	s_waitcnt vmcnt(0)
	ds_write2_b64 v4, v[0:1], v[2:3] offset1:1
	s_waitcnt lgkmcnt(0)
	s_barrier
	ds_read2_b64 v[0:3], v14 offset0:18 offset1:19
	v_mov_b32_e32 v4, 9
	s_cbranch_scc1 .LBB124_226
; %bb.224:
	v_add_u32_e32 v5, 0xa0, v14
	s_mov_b32 s4, 10
	v_mov_b32_e32 v4, 9
.LBB124_225:                            ; =>This Inner Loop Header: Depth=1
	ds_read2_b64 v[18:21], v5 offset1:1
	s_waitcnt lgkmcnt(1)
	v_xor_b32_e32 v7, 0x80000000, v1
	v_xor_b32_e32 v23, 0x80000000, v3
	v_cmp_gt_f64_e32 vcc, 0, v[2:3]
	v_cmp_gt_f64_e64 s[0:1], 0, v[0:1]
	v_mov_b32_e32 v6, v0
	v_mov_b32_e32 v22, v2
	v_cndmask_b32_e64 v7, v1, v7, s[0:1]
	v_cndmask_b32_e32 v23, v3, v23, vcc
	v_add_f64 v[6:7], v[6:7], v[22:23]
	s_waitcnt lgkmcnt(0)
	v_xor_b32_e32 v23, 0x80000000, v19
	v_xor_b32_e32 v25, 0x80000000, v21
	v_cmp_gt_f64_e32 vcc, 0, v[20:21]
	v_cmp_gt_f64_e64 s[0:1], 0, v[18:19]
	v_mov_b32_e32 v22, v18
	v_mov_b32_e32 v24, v20
	v_cndmask_b32_e64 v23, v19, v23, s[0:1]
	v_cndmask_b32_e32 v25, v21, v25, vcc
	v_add_f64 v[22:23], v[22:23], v[24:25]
	v_mov_b32_e32 v26, s4
	s_add_i32 s4, s4, 1
	v_cmp_lt_f64_e32 vcc, v[6:7], v[22:23]
	v_add_u32_e32 v5, 16, v5
	s_cmp_lg_u32 s52, s4
	v_cndmask_b32_e32 v1, v1, v19, vcc
	v_cndmask_b32_e32 v0, v0, v18, vcc
	;; [unrolled: 1-line block ×5, first 2 shown]
	s_cbranch_scc1 .LBB124_225
.LBB124_226:
	s_waitcnt lgkmcnt(0)
	v_cmp_eq_f64_e32 vcc, 0, v[0:1]
	v_cmp_eq_f64_e64 s[0:1], 0, v[2:3]
	s_and_b64 s[0:1], vcc, s[0:1]
	s_and_saveexec_b64 s[4:5], s[0:1]
	s_xor_b64 s[0:1], exec, s[4:5]
; %bb.227:
	v_cmp_ne_u32_e32 vcc, 0, v15
	s_nop 1
	v_cndmask_b32_e32 v15, 10, v15, vcc
; %bb.228:
	s_andn2_saveexec_b64 s[0:1], s[0:1]
	s_cbranch_execz .LBB124_234
; %bb.229:
	v_cmp_ngt_f64_e64 s[4:5], |v[0:1]|, |v[2:3]|
	s_and_saveexec_b64 s[12:13], s[4:5]
	s_xor_b64 s[12:13], exec, s[12:13]
	s_cbranch_execz .LBB124_231
; %bb.230:
	v_div_scale_f64 v[6:7], s[4:5], v[2:3], v[2:3], v[0:1]
	v_rcp_f64_e32 v[18:19], v[6:7]
	v_div_scale_f64 v[20:21], vcc, v[0:1], v[2:3], v[0:1]
	v_fma_f64 v[22:23], -v[6:7], v[18:19], 1.0
	v_fmac_f64_e32 v[18:19], v[18:19], v[22:23]
	v_fma_f64 v[22:23], -v[6:7], v[18:19], 1.0
	v_fmac_f64_e32 v[18:19], v[18:19], v[22:23]
	v_mul_f64 v[22:23], v[20:21], v[18:19]
	v_fma_f64 v[6:7], -v[6:7], v[22:23], v[20:21]
	v_div_fmas_f64 v[6:7], v[6:7], v[18:19], v[22:23]
	v_div_fixup_f64 v[6:7], v[6:7], v[2:3], v[0:1]
	v_fmac_f64_e32 v[2:3], v[0:1], v[6:7]
	v_div_scale_f64 v[0:1], s[4:5], v[2:3], v[2:3], 1.0
	v_rcp_f64_e32 v[18:19], v[0:1]
	s_nop 0
	v_fma_f64 v[20:21], -v[0:1], v[18:19], 1.0
	v_fmac_f64_e32 v[18:19], v[18:19], v[20:21]
	v_fma_f64 v[20:21], -v[0:1], v[18:19], 1.0
	v_fmac_f64_e32 v[18:19], v[18:19], v[20:21]
	v_div_scale_f64 v[20:21], vcc, 1.0, v[2:3], 1.0
	v_mul_f64 v[22:23], v[20:21], v[18:19]
	v_fma_f64 v[0:1], -v[0:1], v[22:23], v[20:21]
	s_nop 1
	v_div_fmas_f64 v[0:1], v[0:1], v[18:19], v[22:23]
	v_div_fixup_f64 v[2:3], v[0:1], v[2:3], 1.0
	v_mul_f64 v[0:1], v[6:7], v[2:3]
	v_xor_b32_e32 v3, 0x80000000, v3
.LBB124_231:
	s_andn2_saveexec_b64 s[12:13], s[12:13]
	s_cbranch_execz .LBB124_233
; %bb.232:
	v_div_scale_f64 v[6:7], s[4:5], v[0:1], v[0:1], v[2:3]
	v_rcp_f64_e32 v[18:19], v[6:7]
	v_div_scale_f64 v[20:21], vcc, v[2:3], v[0:1], v[2:3]
	v_fma_f64 v[22:23], -v[6:7], v[18:19], 1.0
	v_fmac_f64_e32 v[18:19], v[18:19], v[22:23]
	v_fma_f64 v[22:23], -v[6:7], v[18:19], 1.0
	v_fmac_f64_e32 v[18:19], v[18:19], v[22:23]
	v_mul_f64 v[22:23], v[20:21], v[18:19]
	v_fma_f64 v[6:7], -v[6:7], v[22:23], v[20:21]
	v_div_fmas_f64 v[6:7], v[6:7], v[18:19], v[22:23]
	v_div_fixup_f64 v[6:7], v[6:7], v[0:1], v[2:3]
	v_fmac_f64_e32 v[0:1], v[2:3], v[6:7]
	v_div_scale_f64 v[2:3], s[4:5], v[0:1], v[0:1], 1.0
	v_rcp_f64_e32 v[18:19], v[2:3]
	s_nop 0
	v_fma_f64 v[20:21], -v[2:3], v[18:19], 1.0
	v_fmac_f64_e32 v[18:19], v[18:19], v[20:21]
	v_fma_f64 v[20:21], -v[2:3], v[18:19], 1.0
	v_fmac_f64_e32 v[18:19], v[18:19], v[20:21]
	v_div_scale_f64 v[20:21], vcc, 1.0, v[0:1], 1.0
	v_mul_f64 v[22:23], v[20:21], v[18:19]
	v_fma_f64 v[2:3], -v[2:3], v[22:23], v[20:21]
	s_nop 1
	v_div_fmas_f64 v[2:3], v[2:3], v[18:19], v[22:23]
	v_div_fixup_f64 v[0:1], v[2:3], v[0:1], 1.0
	v_mul_f64 v[2:3], v[6:7], -v[0:1]
.LBB124_233:
	s_or_b64 exec, exec, s[12:13]
.LBB124_234:
	s_or_b64 exec, exec, s[0:1]
	v_cmp_ne_u32_e32 vcc, v17, v4
	s_and_saveexec_b64 s[0:1], vcc
	s_xor_b64 s[0:1], exec, s[0:1]
	s_cbranch_execz .LBB124_240
; %bb.235:
	v_cmp_eq_u32_e32 vcc, 9, v17
	s_and_saveexec_b64 s[12:13], vcc
	s_cbranch_execz .LBB124_239
; %bb.236:
	v_cmp_ne_u32_e32 vcc, 9, v4
	s_xor_b64 s[4:5], s[18:19], -1
	s_and_b64 s[4:5], s[4:5], vcc
	s_and_saveexec_b64 s[14:15], s[4:5]
	s_cbranch_execz .LBB124_238
; %bb.237:
	v_ashrrev_i32_e32 v5, 31, v4
	v_lshl_add_u64 v[6:7], v[4:5], 2, v[10:11]
	global_load_dword v5, v[6:7], off
	global_load_dword v16, v[10:11], off offset:36
	s_waitcnt vmcnt(1)
	global_store_dword v[10:11], v5, off offset:36
	s_waitcnt vmcnt(1)
	global_store_dword v[6:7], v16, off
.LBB124_238:
	s_or_b64 exec, exec, s[14:15]
	v_mov_b32_e32 v17, v4
	v_mov_b32_e32 v16, v4
.LBB124_239:
	s_or_b64 exec, exec, s[12:13]
.LBB124_240:
	s_andn2_saveexec_b64 s[0:1], s[0:1]
	s_cbranch_execz .LBB124_246
; %bb.241:
	s_mov_b32 s4, 0
	v_add_u32_e32 v4, 0xa0, v14
	s_branch .LBB124_243
.LBB124_242:                            ;   in Loop: Header=BB124_243 Depth=1
	s_andn2_b64 vcc, exec, s[12:13]
	s_cbranch_vccz .LBB124_245
.LBB124_243:                            ; =>This Inner Loop Header: Depth=1
	s_add_i32 s12, s4, 0xa0
	s_add_i32 s13, s4, 0xb0
	scratch_load_dwordx4 v[18:21], off, s12
	scratch_load_dwordx4 v[22:25], off, s13
	s_add_i32 s12, s4, 0xc0
	s_add_i32 s13, s4, 0xd0
	scratch_load_dwordx4 v[26:29], off, s12
	scratch_load_dwordx4 v[30:33], off, s13
	s_add_i32 s12, s4, 0xe0
	scratch_load_dwordx4 v[34:37], off, s12
	s_mov_b32 s5, s4
	v_add_u32_e32 v5, s4, v4
	s_cmpk_eq_i32 s4, 0x300
	s_mov_b64 s[12:13], -1
	s_waitcnt vmcnt(4)
	ds_write2_b64 v5, v[18:19], v[20:21] offset1:1
	s_waitcnt vmcnt(3)
	ds_write2_b64 v5, v[22:23], v[24:25] offset0:2 offset1:3
	s_waitcnt vmcnt(2)
	ds_write2_b64 v5, v[26:27], v[28:29] offset0:4 offset1:5
	;; [unrolled: 2-line block ×4, first 2 shown]
	s_cbranch_scc1 .LBB124_242
; %bb.244:                              ;   in Loop: Header=BB124_243 Depth=1
	s_add_i32 s12, s5, 0xf0
	s_add_i32 s13, s5, 0x100
	scratch_load_dwordx4 v[18:21], off, s12
	scratch_load_dwordx4 v[22:25], off, s13
	s_addk_i32 s5, 0x110
	scratch_load_dwordx4 v[26:29], off, s5
	s_addk_i32 s4, 0x80
	s_mov_b64 s[12:13], 0
	s_waitcnt vmcnt(2)
	ds_write2_b64 v5, v[18:19], v[20:21] offset0:10 offset1:11
	s_waitcnt vmcnt(1)
	ds_write2_b64 v5, v[22:23], v[24:25] offset0:12 offset1:13
	;; [unrolled: 2-line block ×3, first 2 shown]
	s_branch .LBB124_242
.LBB124_245:
	v_mov_b32_e32 v17, 9
.LBB124_246:
	s_or_b64 exec, exec, s[0:1]
	v_cmp_lt_i32_e32 vcc, 9, v17
	s_waitcnt lgkmcnt(0)
	s_barrier
	s_and_saveexec_b64 s[0:1], vcc
	s_cbranch_execz .LBB124_251
; %bb.247:
	scratch_load_dwordx4 v[18:21], off, off offset:144
	s_mov_b32 s14, 0
	s_waitcnt vmcnt(0)
	v_mul_f64 v[4:5], v[2:3], v[20:21]
	v_mul_f64 v[6:7], v[0:1], v[20:21]
	v_fma_f64 v[4:5], v[0:1], v[18:19], -v[4:5]
	v_fmac_f64_e32 v[6:7], v[2:3], v[18:19]
	v_add_u32_e32 v0, 0xa0, v14
	scratch_store_dwordx4 off, v[4:7], off offset:144
	s_branch .LBB124_249
.LBB124_248:                            ;   in Loop: Header=BB124_249 Depth=1
	s_andn2_b64 vcc, exec, s[12:13]
	s_cbranch_vccz .LBB124_251
.LBB124_249:                            ; =>This Inner Loop Header: Depth=1
	s_add_i32 s4, s14, 0xa0
	scratch_load_dwordx4 v[18:21], off, s4
	s_add_i32 s5, s14, 0xb0
	s_add_i32 s12, s14, 0xc0
	;; [unrolled: 1-line block ×4, first 2 shown]
	scratch_load_dwordx4 v[22:25], off, s5
	scratch_load_dwordx4 v[26:29], off, s12
	;; [unrolled: 1-line block ×4, first 2 shown]
	v_add_u32_e32 v1, s14, v0
	ds_read2_b64 v[38:41], v1 offset1:1
	ds_read2_b64 v[42:45], v1 offset0:2 offset1:3
	ds_read2_b64 v[46:49], v1 offset0:4 offset1:5
	;; [unrolled: 1-line block ×4, first 2 shown]
	s_waitcnt lgkmcnt(4)
	v_mul_f64 v[2:3], v[40:41], v[6:7]
	v_mul_f64 v[58:59], v[38:39], v[6:7]
	s_waitcnt lgkmcnt(3)
	v_mul_f64 v[60:61], v[44:45], v[6:7]
	v_mul_f64 v[62:63], v[42:43], v[6:7]
	;; [unrolled: 3-line block ×5, first 2 shown]
	v_fma_f64 v[2:3], v[38:39], v[4:5], -v[2:3]
	v_fmac_f64_e32 v[58:59], v[40:41], v[4:5]
	v_fma_f64 v[38:39], v[42:43], v[4:5], -v[60:61]
	v_fmac_f64_e32 v[62:63], v[44:45], v[4:5]
	v_fma_f64 v[40:41], v[46:47], v[4:5], -v[64:65]
	v_fmac_f64_e32 v[66:67], v[48:49], v[4:5]
	v_fma_f64 v[42:43], v[50:51], v[4:5], -v[68:69]
	v_fmac_f64_e32 v[70:71], v[52:53], v[4:5]
	v_fma_f64 v[44:45], v[54:55], v[4:5], -v[72:73]
	v_fmac_f64_e32 v[74:75], v[56:57], v[4:5]
	s_mov_b32 s15, s14
	s_cmpk_eq_i32 s14, 0x300
	s_waitcnt vmcnt(4)
	v_add_f64 v[18:19], v[18:19], -v[2:3]
	v_add_f64 v[20:21], v[20:21], -v[58:59]
	s_waitcnt vmcnt(3)
	v_add_f64 v[22:23], v[22:23], -v[38:39]
	v_add_f64 v[24:25], v[24:25], -v[62:63]
	;; [unrolled: 3-line block ×5, first 2 shown]
	scratch_store_dwordx4 off, v[18:21], s4
	scratch_store_dwordx4 off, v[22:25], s5
	;; [unrolled: 1-line block ×5, first 2 shown]
	s_mov_b64 s[12:13], -1
	s_cbranch_scc1 .LBB124_248
; %bb.250:                              ;   in Loop: Header=BB124_249 Depth=1
	s_add_i32 s4, s15, 0xf0
	scratch_load_dwordx4 v[18:21], off, s4
	s_add_i32 s5, s15, 0x100
	s_addk_i32 s15, 0x110
	scratch_load_dwordx4 v[22:25], off, s5
	scratch_load_dwordx4 v[26:29], off, s15
	ds_read2_b64 v[30:33], v1 offset0:10 offset1:11
	ds_read2_b64 v[34:37], v1 offset0:12 offset1:13
	;; [unrolled: 1-line block ×3, first 2 shown]
	s_addk_i32 s14, 0x80
	s_mov_b64 s[12:13], 0
	s_waitcnt lgkmcnt(2)
	v_mul_f64 v[2:3], v[32:33], v[6:7]
	v_mul_f64 v[42:43], v[30:31], v[6:7]
	s_waitcnt lgkmcnt(1)
	v_mul_f64 v[44:45], v[36:37], v[6:7]
	v_mul_f64 v[46:47], v[34:35], v[6:7]
	;; [unrolled: 3-line block ×3, first 2 shown]
	v_fma_f64 v[2:3], v[30:31], v[4:5], -v[2:3]
	v_fmac_f64_e32 v[42:43], v[32:33], v[4:5]
	v_fma_f64 v[30:31], v[34:35], v[4:5], -v[44:45]
	v_fmac_f64_e32 v[46:47], v[36:37], v[4:5]
	;; [unrolled: 2-line block ×3, first 2 shown]
	s_waitcnt vmcnt(2)
	v_add_f64 v[18:19], v[18:19], -v[2:3]
	v_add_f64 v[20:21], v[20:21], -v[42:43]
	s_waitcnt vmcnt(1)
	v_add_f64 v[22:23], v[22:23], -v[30:31]
	v_add_f64 v[24:25], v[24:25], -v[46:47]
	;; [unrolled: 3-line block ×3, first 2 shown]
	scratch_store_dwordx4 off, v[18:21], s4
	scratch_store_dwordx4 off, v[22:25], s5
	scratch_store_dwordx4 off, v[26:29], s15
	s_branch .LBB124_248
.LBB124_251:
	s_or_b64 exec, exec, s[0:1]
	s_barrier
	scratch_load_dwordx4 v[0:3], off, s79
	v_lshl_add_u32 v4, v17, 4, v14
	s_cmp_lt_i32 s52, 12
	s_waitcnt vmcnt(0)
	ds_write2_b64 v4, v[0:1], v[2:3] offset1:1
	s_waitcnt lgkmcnt(0)
	s_barrier
	ds_read2_b64 v[0:3], v14 offset0:20 offset1:21
	v_mov_b32_e32 v4, 10
	s_cbranch_scc1 .LBB124_254
; %bb.252:
	v_add_u32_e32 v5, 0xb0, v14
	s_mov_b32 s4, 11
	v_mov_b32_e32 v4, 10
.LBB124_253:                            ; =>This Inner Loop Header: Depth=1
	ds_read2_b64 v[18:21], v5 offset1:1
	s_waitcnt lgkmcnt(1)
	v_xor_b32_e32 v7, 0x80000000, v1
	v_xor_b32_e32 v23, 0x80000000, v3
	v_cmp_gt_f64_e32 vcc, 0, v[2:3]
	v_cmp_gt_f64_e64 s[0:1], 0, v[0:1]
	v_mov_b32_e32 v6, v0
	v_mov_b32_e32 v22, v2
	v_cndmask_b32_e64 v7, v1, v7, s[0:1]
	v_cndmask_b32_e32 v23, v3, v23, vcc
	v_add_f64 v[6:7], v[6:7], v[22:23]
	s_waitcnt lgkmcnt(0)
	v_xor_b32_e32 v23, 0x80000000, v19
	v_xor_b32_e32 v25, 0x80000000, v21
	v_cmp_gt_f64_e32 vcc, 0, v[20:21]
	v_cmp_gt_f64_e64 s[0:1], 0, v[18:19]
	v_mov_b32_e32 v22, v18
	v_mov_b32_e32 v24, v20
	v_cndmask_b32_e64 v23, v19, v23, s[0:1]
	v_cndmask_b32_e32 v25, v21, v25, vcc
	v_add_f64 v[22:23], v[22:23], v[24:25]
	v_mov_b32_e32 v26, s4
	s_add_i32 s4, s4, 1
	v_cmp_lt_f64_e32 vcc, v[6:7], v[22:23]
	v_add_u32_e32 v5, 16, v5
	s_cmp_lg_u32 s52, s4
	v_cndmask_b32_e32 v1, v1, v19, vcc
	v_cndmask_b32_e32 v0, v0, v18, vcc
	;; [unrolled: 1-line block ×5, first 2 shown]
	s_cbranch_scc1 .LBB124_253
.LBB124_254:
	s_waitcnt lgkmcnt(0)
	v_cmp_eq_f64_e32 vcc, 0, v[0:1]
	v_cmp_eq_f64_e64 s[0:1], 0, v[2:3]
	s_and_b64 s[0:1], vcc, s[0:1]
	s_and_saveexec_b64 s[4:5], s[0:1]
	s_xor_b64 s[0:1], exec, s[4:5]
; %bb.255:
	v_cmp_ne_u32_e32 vcc, 0, v15
	s_nop 1
	v_cndmask_b32_e32 v15, 11, v15, vcc
; %bb.256:
	s_andn2_saveexec_b64 s[0:1], s[0:1]
	s_cbranch_execz .LBB124_262
; %bb.257:
	v_cmp_ngt_f64_e64 s[4:5], |v[0:1]|, |v[2:3]|
	s_and_saveexec_b64 s[12:13], s[4:5]
	s_xor_b64 s[12:13], exec, s[12:13]
	s_cbranch_execz .LBB124_259
; %bb.258:
	v_div_scale_f64 v[6:7], s[4:5], v[2:3], v[2:3], v[0:1]
	v_rcp_f64_e32 v[18:19], v[6:7]
	v_div_scale_f64 v[20:21], vcc, v[0:1], v[2:3], v[0:1]
	v_fma_f64 v[22:23], -v[6:7], v[18:19], 1.0
	v_fmac_f64_e32 v[18:19], v[18:19], v[22:23]
	v_fma_f64 v[22:23], -v[6:7], v[18:19], 1.0
	v_fmac_f64_e32 v[18:19], v[18:19], v[22:23]
	v_mul_f64 v[22:23], v[20:21], v[18:19]
	v_fma_f64 v[6:7], -v[6:7], v[22:23], v[20:21]
	v_div_fmas_f64 v[6:7], v[6:7], v[18:19], v[22:23]
	v_div_fixup_f64 v[6:7], v[6:7], v[2:3], v[0:1]
	v_fmac_f64_e32 v[2:3], v[0:1], v[6:7]
	v_div_scale_f64 v[0:1], s[4:5], v[2:3], v[2:3], 1.0
	v_rcp_f64_e32 v[18:19], v[0:1]
	s_nop 0
	v_fma_f64 v[20:21], -v[0:1], v[18:19], 1.0
	v_fmac_f64_e32 v[18:19], v[18:19], v[20:21]
	v_fma_f64 v[20:21], -v[0:1], v[18:19], 1.0
	v_fmac_f64_e32 v[18:19], v[18:19], v[20:21]
	v_div_scale_f64 v[20:21], vcc, 1.0, v[2:3], 1.0
	v_mul_f64 v[22:23], v[20:21], v[18:19]
	v_fma_f64 v[0:1], -v[0:1], v[22:23], v[20:21]
	s_nop 1
	v_div_fmas_f64 v[0:1], v[0:1], v[18:19], v[22:23]
	v_div_fixup_f64 v[2:3], v[0:1], v[2:3], 1.0
	v_mul_f64 v[0:1], v[6:7], v[2:3]
	v_xor_b32_e32 v3, 0x80000000, v3
.LBB124_259:
	s_andn2_saveexec_b64 s[12:13], s[12:13]
	s_cbranch_execz .LBB124_261
; %bb.260:
	v_div_scale_f64 v[6:7], s[4:5], v[0:1], v[0:1], v[2:3]
	v_rcp_f64_e32 v[18:19], v[6:7]
	v_div_scale_f64 v[20:21], vcc, v[2:3], v[0:1], v[2:3]
	v_fma_f64 v[22:23], -v[6:7], v[18:19], 1.0
	v_fmac_f64_e32 v[18:19], v[18:19], v[22:23]
	v_fma_f64 v[22:23], -v[6:7], v[18:19], 1.0
	v_fmac_f64_e32 v[18:19], v[18:19], v[22:23]
	v_mul_f64 v[22:23], v[20:21], v[18:19]
	v_fma_f64 v[6:7], -v[6:7], v[22:23], v[20:21]
	v_div_fmas_f64 v[6:7], v[6:7], v[18:19], v[22:23]
	v_div_fixup_f64 v[6:7], v[6:7], v[0:1], v[2:3]
	v_fmac_f64_e32 v[0:1], v[2:3], v[6:7]
	v_div_scale_f64 v[2:3], s[4:5], v[0:1], v[0:1], 1.0
	v_rcp_f64_e32 v[18:19], v[2:3]
	s_nop 0
	v_fma_f64 v[20:21], -v[2:3], v[18:19], 1.0
	v_fmac_f64_e32 v[18:19], v[18:19], v[20:21]
	v_fma_f64 v[20:21], -v[2:3], v[18:19], 1.0
	v_fmac_f64_e32 v[18:19], v[18:19], v[20:21]
	v_div_scale_f64 v[20:21], vcc, 1.0, v[0:1], 1.0
	v_mul_f64 v[22:23], v[20:21], v[18:19]
	v_fma_f64 v[2:3], -v[2:3], v[22:23], v[20:21]
	s_nop 1
	v_div_fmas_f64 v[2:3], v[2:3], v[18:19], v[22:23]
	v_div_fixup_f64 v[0:1], v[2:3], v[0:1], 1.0
	v_mul_f64 v[2:3], v[6:7], -v[0:1]
.LBB124_261:
	s_or_b64 exec, exec, s[12:13]
.LBB124_262:
	s_or_b64 exec, exec, s[0:1]
	v_cmp_ne_u32_e32 vcc, v17, v4
	s_and_saveexec_b64 s[0:1], vcc
	s_xor_b64 s[0:1], exec, s[0:1]
	s_cbranch_execz .LBB124_268
; %bb.263:
	v_cmp_eq_u32_e32 vcc, 10, v17
	s_and_saveexec_b64 s[12:13], vcc
	s_cbranch_execz .LBB124_267
; %bb.264:
	v_cmp_ne_u32_e32 vcc, 10, v4
	s_xor_b64 s[4:5], s[18:19], -1
	s_and_b64 s[4:5], s[4:5], vcc
	s_and_saveexec_b64 s[14:15], s[4:5]
	s_cbranch_execz .LBB124_266
; %bb.265:
	v_ashrrev_i32_e32 v5, 31, v4
	v_lshl_add_u64 v[6:7], v[4:5], 2, v[10:11]
	global_load_dword v5, v[6:7], off
	global_load_dword v16, v[10:11], off offset:40
	s_waitcnt vmcnt(1)
	global_store_dword v[10:11], v5, off offset:40
	s_waitcnt vmcnt(1)
	global_store_dword v[6:7], v16, off
.LBB124_266:
	s_or_b64 exec, exec, s[14:15]
	v_mov_b32_e32 v17, v4
	v_mov_b32_e32 v16, v4
.LBB124_267:
	s_or_b64 exec, exec, s[12:13]
.LBB124_268:
	s_andn2_saveexec_b64 s[0:1], s[0:1]
	s_cbranch_execz .LBB124_272
; %bb.269:
	s_mov_b32 s4, 0
	v_add_u32_e32 v4, 0xb0, v14
.LBB124_270:                            ; =>This Inner Loop Header: Depth=1
	s_add_i32 s12, s4, 0xb0
	s_add_i32 s13, s4, 0xc0
	;; [unrolled: 1-line block ×13, first 2 shown]
	scratch_load_dwordx4 v[18:21], off, s12
	scratch_load_dwordx4 v[22:25], off, s13
	scratch_load_dwordx4 v[26:29], off, s14
	scratch_load_dwordx4 v[30:33], off, s15
	scratch_load_dwordx4 v[34:37], off, s16
	scratch_load_dwordx4 v[38:41], off, s67
	scratch_load_dwordx4 v[42:45], off, s68
	scratch_load_dwordx4 v[46:49], off, s69
	scratch_load_dwordx4 v[50:53], off, s70
	scratch_load_dwordx4 v[54:57], off, s71
	scratch_load_dwordx4 v[58:61], off, s72
	scratch_load_dwordx4 v[62:65], off, s73
	scratch_load_dwordx4 v[66:69], off, s5
	v_add_u32_e32 v5, s4, v4
	s_addk_i32 s4, 0xd0
	s_cmpk_eq_i32 s4, 0x340
	s_waitcnt vmcnt(12)
	ds_write2_b64 v5, v[18:19], v[20:21] offset1:1
	s_waitcnt vmcnt(11)
	ds_write2_b64 v5, v[22:23], v[24:25] offset0:2 offset1:3
	s_waitcnt vmcnt(10)
	ds_write2_b64 v5, v[26:27], v[28:29] offset0:4 offset1:5
	;; [unrolled: 2-line block ×12, first 2 shown]
	s_cbranch_scc0 .LBB124_270
; %bb.271:
	v_mov_b32_e32 v17, 10
.LBB124_272:
	s_or_b64 exec, exec, s[0:1]
	v_cmp_lt_i32_e32 vcc, 10, v17
	s_waitcnt lgkmcnt(0)
	s_barrier
	s_and_saveexec_b64 s[0:1], vcc
	s_cbranch_execz .LBB124_275
; %bb.273:
	scratch_load_dwordx4 v[18:21], off, off offset:160
	s_mov_b32 s4, 0
	s_waitcnt vmcnt(0)
	v_mul_f64 v[4:5], v[2:3], v[20:21]
	v_mul_f64 v[6:7], v[0:1], v[20:21]
	v_fma_f64 v[4:5], v[0:1], v[18:19], -v[4:5]
	v_fmac_f64_e32 v[6:7], v[2:3], v[18:19]
	v_add_u32_e32 v0, 0xb0, v14
	scratch_store_dwordx4 off, v[4:7], off offset:160
.LBB124_274:                            ; =>This Inner Loop Header: Depth=1
	s_add_i32 s12, s4, 0xb0
	s_add_i32 s13, s4, 0xc0
	;; [unrolled: 1-line block ×4, first 2 shown]
	scratch_load_dwordx4 v[18:21], off, s12
	scratch_load_dwordx4 v[22:25], off, s13
	;; [unrolled: 1-line block ×4, first 2 shown]
	v_add_u32_e32 v1, s4, v0
	ds_read2_b64 v[34:37], v1 offset1:1
	ds_read2_b64 v[38:41], v1 offset0:2 offset1:3
	ds_read2_b64 v[42:45], v1 offset0:4 offset1:5
	;; [unrolled: 1-line block ×3, first 2 shown]
	s_add_i32 s4, s4, 64
	s_waitcnt lgkmcnt(3)
	v_mul_f64 v[2:3], v[36:37], v[6:7]
	v_mul_f64 v[50:51], v[34:35], v[6:7]
	s_waitcnt lgkmcnt(2)
	v_mul_f64 v[52:53], v[40:41], v[6:7]
	v_mul_f64 v[54:55], v[38:39], v[6:7]
	;; [unrolled: 3-line block ×4, first 2 shown]
	v_fma_f64 v[2:3], v[34:35], v[4:5], -v[2:3]
	v_fmac_f64_e32 v[50:51], v[36:37], v[4:5]
	s_cmpk_lg_i32 s4, 0x340
	v_fma_f64 v[34:35], v[38:39], v[4:5], -v[52:53]
	v_fmac_f64_e32 v[54:55], v[40:41], v[4:5]
	v_fma_f64 v[36:37], v[42:43], v[4:5], -v[56:57]
	v_fmac_f64_e32 v[58:59], v[44:45], v[4:5]
	v_fma_f64 v[38:39], v[46:47], v[4:5], -v[60:61]
	v_fmac_f64_e32 v[62:63], v[48:49], v[4:5]
	s_waitcnt vmcnt(3)
	v_add_f64 v[18:19], v[18:19], -v[2:3]
	v_add_f64 v[20:21], v[20:21], -v[50:51]
	s_waitcnt vmcnt(2)
	v_add_f64 v[22:23], v[22:23], -v[34:35]
	v_add_f64 v[24:25], v[24:25], -v[54:55]
	;; [unrolled: 3-line block ×4, first 2 shown]
	scratch_store_dwordx4 off, v[18:21], s12
	scratch_store_dwordx4 off, v[22:25], s13
	;; [unrolled: 1-line block ×4, first 2 shown]
	s_cbranch_scc1 .LBB124_274
.LBB124_275:
	s_or_b64 exec, exec, s[0:1]
	s_barrier
	scratch_load_dwordx4 v[0:3], off, s78
	v_lshl_add_u32 v4, v17, 4, v14
	s_cmp_lt_i32 s52, 13
	s_waitcnt vmcnt(0)
	ds_write2_b64 v4, v[0:1], v[2:3] offset1:1
	s_waitcnt lgkmcnt(0)
	s_barrier
	ds_read2_b64 v[0:3], v14 offset0:22 offset1:23
	v_mov_b32_e32 v4, 11
	s_cbranch_scc1 .LBB124_278
; %bb.276:
	v_add_u32_e32 v5, 0xc0, v14
	s_mov_b32 s4, 12
	v_mov_b32_e32 v4, 11
.LBB124_277:                            ; =>This Inner Loop Header: Depth=1
	ds_read2_b64 v[18:21], v5 offset1:1
	s_waitcnt lgkmcnt(1)
	v_xor_b32_e32 v7, 0x80000000, v1
	v_xor_b32_e32 v23, 0x80000000, v3
	v_cmp_gt_f64_e32 vcc, 0, v[2:3]
	v_cmp_gt_f64_e64 s[0:1], 0, v[0:1]
	v_mov_b32_e32 v6, v0
	v_mov_b32_e32 v22, v2
	v_cndmask_b32_e64 v7, v1, v7, s[0:1]
	v_cndmask_b32_e32 v23, v3, v23, vcc
	v_add_f64 v[6:7], v[6:7], v[22:23]
	s_waitcnt lgkmcnt(0)
	v_xor_b32_e32 v23, 0x80000000, v19
	v_xor_b32_e32 v25, 0x80000000, v21
	v_cmp_gt_f64_e32 vcc, 0, v[20:21]
	v_cmp_gt_f64_e64 s[0:1], 0, v[18:19]
	v_mov_b32_e32 v22, v18
	v_mov_b32_e32 v24, v20
	v_cndmask_b32_e64 v23, v19, v23, s[0:1]
	v_cndmask_b32_e32 v25, v21, v25, vcc
	v_add_f64 v[22:23], v[22:23], v[24:25]
	v_mov_b32_e32 v26, s4
	s_add_i32 s4, s4, 1
	v_cmp_lt_f64_e32 vcc, v[6:7], v[22:23]
	v_add_u32_e32 v5, 16, v5
	s_cmp_lg_u32 s52, s4
	v_cndmask_b32_e32 v1, v1, v19, vcc
	v_cndmask_b32_e32 v0, v0, v18, vcc
	;; [unrolled: 1-line block ×5, first 2 shown]
	s_cbranch_scc1 .LBB124_277
.LBB124_278:
	s_waitcnt lgkmcnt(0)
	v_cmp_eq_f64_e32 vcc, 0, v[0:1]
	v_cmp_eq_f64_e64 s[0:1], 0, v[2:3]
	s_and_b64 s[0:1], vcc, s[0:1]
	s_and_saveexec_b64 s[4:5], s[0:1]
	s_xor_b64 s[0:1], exec, s[4:5]
; %bb.279:
	v_cmp_ne_u32_e32 vcc, 0, v15
	s_nop 1
	v_cndmask_b32_e32 v15, 12, v15, vcc
; %bb.280:
	s_andn2_saveexec_b64 s[0:1], s[0:1]
	s_cbranch_execz .LBB124_286
; %bb.281:
	v_cmp_ngt_f64_e64 s[4:5], |v[0:1]|, |v[2:3]|
	s_and_saveexec_b64 s[12:13], s[4:5]
	s_xor_b64 s[12:13], exec, s[12:13]
	s_cbranch_execz .LBB124_283
; %bb.282:
	v_div_scale_f64 v[6:7], s[4:5], v[2:3], v[2:3], v[0:1]
	v_rcp_f64_e32 v[18:19], v[6:7]
	v_div_scale_f64 v[20:21], vcc, v[0:1], v[2:3], v[0:1]
	v_fma_f64 v[22:23], -v[6:7], v[18:19], 1.0
	v_fmac_f64_e32 v[18:19], v[18:19], v[22:23]
	v_fma_f64 v[22:23], -v[6:7], v[18:19], 1.0
	v_fmac_f64_e32 v[18:19], v[18:19], v[22:23]
	v_mul_f64 v[22:23], v[20:21], v[18:19]
	v_fma_f64 v[6:7], -v[6:7], v[22:23], v[20:21]
	v_div_fmas_f64 v[6:7], v[6:7], v[18:19], v[22:23]
	v_div_fixup_f64 v[6:7], v[6:7], v[2:3], v[0:1]
	v_fmac_f64_e32 v[2:3], v[0:1], v[6:7]
	v_div_scale_f64 v[0:1], s[4:5], v[2:3], v[2:3], 1.0
	v_rcp_f64_e32 v[18:19], v[0:1]
	s_nop 0
	v_fma_f64 v[20:21], -v[0:1], v[18:19], 1.0
	v_fmac_f64_e32 v[18:19], v[18:19], v[20:21]
	v_fma_f64 v[20:21], -v[0:1], v[18:19], 1.0
	v_fmac_f64_e32 v[18:19], v[18:19], v[20:21]
	v_div_scale_f64 v[20:21], vcc, 1.0, v[2:3], 1.0
	v_mul_f64 v[22:23], v[20:21], v[18:19]
	v_fma_f64 v[0:1], -v[0:1], v[22:23], v[20:21]
	s_nop 1
	v_div_fmas_f64 v[0:1], v[0:1], v[18:19], v[22:23]
	v_div_fixup_f64 v[2:3], v[0:1], v[2:3], 1.0
	v_mul_f64 v[0:1], v[6:7], v[2:3]
	v_xor_b32_e32 v3, 0x80000000, v3
.LBB124_283:
	s_andn2_saveexec_b64 s[12:13], s[12:13]
	s_cbranch_execz .LBB124_285
; %bb.284:
	v_div_scale_f64 v[6:7], s[4:5], v[0:1], v[0:1], v[2:3]
	v_rcp_f64_e32 v[18:19], v[6:7]
	v_div_scale_f64 v[20:21], vcc, v[2:3], v[0:1], v[2:3]
	v_fma_f64 v[22:23], -v[6:7], v[18:19], 1.0
	v_fmac_f64_e32 v[18:19], v[18:19], v[22:23]
	v_fma_f64 v[22:23], -v[6:7], v[18:19], 1.0
	v_fmac_f64_e32 v[18:19], v[18:19], v[22:23]
	v_mul_f64 v[22:23], v[20:21], v[18:19]
	v_fma_f64 v[6:7], -v[6:7], v[22:23], v[20:21]
	v_div_fmas_f64 v[6:7], v[6:7], v[18:19], v[22:23]
	v_div_fixup_f64 v[6:7], v[6:7], v[0:1], v[2:3]
	v_fmac_f64_e32 v[0:1], v[2:3], v[6:7]
	v_div_scale_f64 v[2:3], s[4:5], v[0:1], v[0:1], 1.0
	v_rcp_f64_e32 v[18:19], v[2:3]
	s_nop 0
	v_fma_f64 v[20:21], -v[2:3], v[18:19], 1.0
	v_fmac_f64_e32 v[18:19], v[18:19], v[20:21]
	v_fma_f64 v[20:21], -v[2:3], v[18:19], 1.0
	v_fmac_f64_e32 v[18:19], v[18:19], v[20:21]
	v_div_scale_f64 v[20:21], vcc, 1.0, v[0:1], 1.0
	v_mul_f64 v[22:23], v[20:21], v[18:19]
	v_fma_f64 v[2:3], -v[2:3], v[22:23], v[20:21]
	s_nop 1
	v_div_fmas_f64 v[2:3], v[2:3], v[18:19], v[22:23]
	v_div_fixup_f64 v[0:1], v[2:3], v[0:1], 1.0
	v_mul_f64 v[2:3], v[6:7], -v[0:1]
.LBB124_285:
	s_or_b64 exec, exec, s[12:13]
.LBB124_286:
	s_or_b64 exec, exec, s[0:1]
	v_cmp_ne_u32_e32 vcc, v17, v4
	s_and_saveexec_b64 s[0:1], vcc
	s_xor_b64 s[0:1], exec, s[0:1]
	s_cbranch_execz .LBB124_292
; %bb.287:
	v_cmp_eq_u32_e32 vcc, 11, v17
	s_and_saveexec_b64 s[12:13], vcc
	s_cbranch_execz .LBB124_291
; %bb.288:
	v_cmp_ne_u32_e32 vcc, 11, v4
	s_xor_b64 s[4:5], s[18:19], -1
	s_and_b64 s[4:5], s[4:5], vcc
	s_and_saveexec_b64 s[14:15], s[4:5]
	s_cbranch_execz .LBB124_290
; %bb.289:
	v_ashrrev_i32_e32 v5, 31, v4
	v_lshl_add_u64 v[6:7], v[4:5], 2, v[10:11]
	global_load_dword v5, v[6:7], off
	global_load_dword v16, v[10:11], off offset:44
	s_waitcnt vmcnt(1)
	global_store_dword v[10:11], v5, off offset:44
	s_waitcnt vmcnt(1)
	global_store_dword v[6:7], v16, off
.LBB124_290:
	s_or_b64 exec, exec, s[14:15]
	v_mov_b32_e32 v17, v4
	v_mov_b32_e32 v16, v4
.LBB124_291:
	s_or_b64 exec, exec, s[12:13]
.LBB124_292:
	s_andn2_saveexec_b64 s[0:1], s[0:1]
	s_cbranch_execz .LBB124_296
; %bb.293:
	s_mov_b32 s4, 0
	v_add_u32_e32 v4, 0xc0, v14
.LBB124_294:                            ; =>This Inner Loop Header: Depth=1
	s_add_i32 s12, s4, 0xc0
	s_add_i32 s13, s4, 0xd0
	;; [unrolled: 1-line block ×17, first 2 shown]
	scratch_load_dwordx4 v[18:21], off, s12
	scratch_load_dwordx4 v[22:25], off, s13
	;; [unrolled: 1-line block ×17, first 2 shown]
	v_add_u32_e32 v5, s4, v4
	s_addk_i32 s4, 0x110
	s_cmpk_eq_i32 s4, 0x330
	s_waitcnt vmcnt(16)
	ds_write2_b64 v5, v[18:19], v[20:21] offset1:1
	s_waitcnt vmcnt(15)
	ds_write2_b64 v5, v[22:23], v[24:25] offset0:2 offset1:3
	s_waitcnt vmcnt(14)
	ds_write2_b64 v5, v[26:27], v[28:29] offset0:4 offset1:5
	;; [unrolled: 2-line block ×16, first 2 shown]
	s_cbranch_scc0 .LBB124_294
; %bb.295:
	v_mov_b32_e32 v17, 11
.LBB124_296:
	s_or_b64 exec, exec, s[0:1]
	v_cmp_lt_i32_e32 vcc, 11, v17
	s_waitcnt lgkmcnt(0)
	s_barrier
	s_and_saveexec_b64 s[0:1], vcc
	s_cbranch_execz .LBB124_299
; %bb.297:
	scratch_load_dwordx4 v[18:21], off, off offset:176
	s_mov_b32 s4, 0
	s_waitcnt vmcnt(0)
	v_mul_f64 v[4:5], v[2:3], v[20:21]
	v_mul_f64 v[6:7], v[0:1], v[20:21]
	v_fma_f64 v[4:5], v[0:1], v[18:19], -v[4:5]
	v_fmac_f64_e32 v[6:7], v[2:3], v[18:19]
	v_add_u32_e32 v0, 0xc0, v14
	scratch_store_dwordx4 off, v[4:7], off offset:176
.LBB124_298:                            ; =>This Inner Loop Header: Depth=1
	s_add_i32 s12, s4, 0xc0
	s_add_i32 s13, s4, 0xd0
	;; [unrolled: 1-line block ×3, first 2 shown]
	scratch_load_dwordx4 v[18:21], off, s12
	scratch_load_dwordx4 v[22:25], off, s13
	scratch_load_dwordx4 v[26:29], off, s5
	v_add_u32_e32 v1, s4, v0
	ds_read2_b64 v[30:33], v1 offset1:1
	ds_read2_b64 v[34:37], v1 offset0:2 offset1:3
	ds_read2_b64 v[38:41], v1 offset0:4 offset1:5
	s_add_i32 s4, s4, 48
	s_cmpk_lg_i32 s4, 0x330
	s_waitcnt lgkmcnt(2)
	v_mul_f64 v[2:3], v[32:33], v[6:7]
	v_mul_f64 v[42:43], v[30:31], v[6:7]
	s_waitcnt lgkmcnt(1)
	v_mul_f64 v[44:45], v[36:37], v[6:7]
	v_mul_f64 v[46:47], v[34:35], v[6:7]
	;; [unrolled: 3-line block ×3, first 2 shown]
	v_fma_f64 v[2:3], v[30:31], v[4:5], -v[2:3]
	v_fmac_f64_e32 v[42:43], v[32:33], v[4:5]
	v_fma_f64 v[30:31], v[34:35], v[4:5], -v[44:45]
	v_fmac_f64_e32 v[46:47], v[36:37], v[4:5]
	;; [unrolled: 2-line block ×3, first 2 shown]
	s_waitcnt vmcnt(2)
	v_add_f64 v[18:19], v[18:19], -v[2:3]
	v_add_f64 v[20:21], v[20:21], -v[42:43]
	s_waitcnt vmcnt(1)
	v_add_f64 v[22:23], v[22:23], -v[30:31]
	v_add_f64 v[24:25], v[24:25], -v[46:47]
	;; [unrolled: 3-line block ×3, first 2 shown]
	scratch_store_dwordx4 off, v[18:21], s12
	scratch_store_dwordx4 off, v[22:25], s13
	scratch_store_dwordx4 off, v[26:29], s5
	s_cbranch_scc1 .LBB124_298
.LBB124_299:
	s_or_b64 exec, exec, s[0:1]
	s_barrier
	scratch_load_dwordx4 v[0:3], off, s77
	v_lshl_add_u32 v4, v17, 4, v14
	s_cmp_lt_i32 s52, 14
	s_waitcnt vmcnt(0)
	ds_write2_b64 v4, v[0:1], v[2:3] offset1:1
	s_waitcnt lgkmcnt(0)
	s_barrier
	ds_read2_b64 v[0:3], v14 offset0:24 offset1:25
	v_mov_b32_e32 v4, 12
	s_cbranch_scc1 .LBB124_302
; %bb.300:
	v_add_u32_e32 v5, 0xd0, v14
	s_mov_b32 s4, 13
	v_mov_b32_e32 v4, 12
.LBB124_301:                            ; =>This Inner Loop Header: Depth=1
	ds_read2_b64 v[18:21], v5 offset1:1
	s_waitcnt lgkmcnt(1)
	v_xor_b32_e32 v7, 0x80000000, v1
	v_xor_b32_e32 v23, 0x80000000, v3
	v_cmp_gt_f64_e32 vcc, 0, v[2:3]
	v_cmp_gt_f64_e64 s[0:1], 0, v[0:1]
	v_mov_b32_e32 v6, v0
	v_mov_b32_e32 v22, v2
	v_cndmask_b32_e64 v7, v1, v7, s[0:1]
	v_cndmask_b32_e32 v23, v3, v23, vcc
	v_add_f64 v[6:7], v[6:7], v[22:23]
	s_waitcnt lgkmcnt(0)
	v_xor_b32_e32 v23, 0x80000000, v19
	v_xor_b32_e32 v25, 0x80000000, v21
	v_cmp_gt_f64_e32 vcc, 0, v[20:21]
	v_cmp_gt_f64_e64 s[0:1], 0, v[18:19]
	v_mov_b32_e32 v22, v18
	v_mov_b32_e32 v24, v20
	v_cndmask_b32_e64 v23, v19, v23, s[0:1]
	v_cndmask_b32_e32 v25, v21, v25, vcc
	v_add_f64 v[22:23], v[22:23], v[24:25]
	v_mov_b32_e32 v26, s4
	s_add_i32 s4, s4, 1
	v_cmp_lt_f64_e32 vcc, v[6:7], v[22:23]
	v_add_u32_e32 v5, 16, v5
	s_cmp_lg_u32 s52, s4
	v_cndmask_b32_e32 v1, v1, v19, vcc
	v_cndmask_b32_e32 v0, v0, v18, vcc
	;; [unrolled: 1-line block ×5, first 2 shown]
	s_cbranch_scc1 .LBB124_301
.LBB124_302:
	s_waitcnt lgkmcnt(0)
	v_cmp_eq_f64_e32 vcc, 0, v[0:1]
	v_cmp_eq_f64_e64 s[0:1], 0, v[2:3]
	s_and_b64 s[0:1], vcc, s[0:1]
	s_and_saveexec_b64 s[4:5], s[0:1]
	s_xor_b64 s[0:1], exec, s[4:5]
; %bb.303:
	v_cmp_ne_u32_e32 vcc, 0, v15
	s_nop 1
	v_cndmask_b32_e32 v15, 13, v15, vcc
; %bb.304:
	s_andn2_saveexec_b64 s[0:1], s[0:1]
	s_cbranch_execz .LBB124_310
; %bb.305:
	v_cmp_ngt_f64_e64 s[4:5], |v[0:1]|, |v[2:3]|
	s_and_saveexec_b64 s[12:13], s[4:5]
	s_xor_b64 s[12:13], exec, s[12:13]
	s_cbranch_execz .LBB124_307
; %bb.306:
	v_div_scale_f64 v[6:7], s[4:5], v[2:3], v[2:3], v[0:1]
	v_rcp_f64_e32 v[18:19], v[6:7]
	v_div_scale_f64 v[20:21], vcc, v[0:1], v[2:3], v[0:1]
	v_fma_f64 v[22:23], -v[6:7], v[18:19], 1.0
	v_fmac_f64_e32 v[18:19], v[18:19], v[22:23]
	v_fma_f64 v[22:23], -v[6:7], v[18:19], 1.0
	v_fmac_f64_e32 v[18:19], v[18:19], v[22:23]
	v_mul_f64 v[22:23], v[20:21], v[18:19]
	v_fma_f64 v[6:7], -v[6:7], v[22:23], v[20:21]
	v_div_fmas_f64 v[6:7], v[6:7], v[18:19], v[22:23]
	v_div_fixup_f64 v[6:7], v[6:7], v[2:3], v[0:1]
	v_fmac_f64_e32 v[2:3], v[0:1], v[6:7]
	v_div_scale_f64 v[0:1], s[4:5], v[2:3], v[2:3], 1.0
	v_rcp_f64_e32 v[18:19], v[0:1]
	s_nop 0
	v_fma_f64 v[20:21], -v[0:1], v[18:19], 1.0
	v_fmac_f64_e32 v[18:19], v[18:19], v[20:21]
	v_fma_f64 v[20:21], -v[0:1], v[18:19], 1.0
	v_fmac_f64_e32 v[18:19], v[18:19], v[20:21]
	v_div_scale_f64 v[20:21], vcc, 1.0, v[2:3], 1.0
	v_mul_f64 v[22:23], v[20:21], v[18:19]
	v_fma_f64 v[0:1], -v[0:1], v[22:23], v[20:21]
	s_nop 1
	v_div_fmas_f64 v[0:1], v[0:1], v[18:19], v[22:23]
	v_div_fixup_f64 v[2:3], v[0:1], v[2:3], 1.0
	v_mul_f64 v[0:1], v[6:7], v[2:3]
	v_xor_b32_e32 v3, 0x80000000, v3
.LBB124_307:
	s_andn2_saveexec_b64 s[12:13], s[12:13]
	s_cbranch_execz .LBB124_309
; %bb.308:
	v_div_scale_f64 v[6:7], s[4:5], v[0:1], v[0:1], v[2:3]
	v_rcp_f64_e32 v[18:19], v[6:7]
	v_div_scale_f64 v[20:21], vcc, v[2:3], v[0:1], v[2:3]
	v_fma_f64 v[22:23], -v[6:7], v[18:19], 1.0
	v_fmac_f64_e32 v[18:19], v[18:19], v[22:23]
	v_fma_f64 v[22:23], -v[6:7], v[18:19], 1.0
	v_fmac_f64_e32 v[18:19], v[18:19], v[22:23]
	v_mul_f64 v[22:23], v[20:21], v[18:19]
	v_fma_f64 v[6:7], -v[6:7], v[22:23], v[20:21]
	v_div_fmas_f64 v[6:7], v[6:7], v[18:19], v[22:23]
	v_div_fixup_f64 v[6:7], v[6:7], v[0:1], v[2:3]
	v_fmac_f64_e32 v[0:1], v[2:3], v[6:7]
	v_div_scale_f64 v[2:3], s[4:5], v[0:1], v[0:1], 1.0
	v_rcp_f64_e32 v[18:19], v[2:3]
	s_nop 0
	v_fma_f64 v[20:21], -v[2:3], v[18:19], 1.0
	v_fmac_f64_e32 v[18:19], v[18:19], v[20:21]
	v_fma_f64 v[20:21], -v[2:3], v[18:19], 1.0
	v_fmac_f64_e32 v[18:19], v[18:19], v[20:21]
	v_div_scale_f64 v[20:21], vcc, 1.0, v[0:1], 1.0
	v_mul_f64 v[22:23], v[20:21], v[18:19]
	v_fma_f64 v[2:3], -v[2:3], v[22:23], v[20:21]
	s_nop 1
	v_div_fmas_f64 v[2:3], v[2:3], v[18:19], v[22:23]
	v_div_fixup_f64 v[0:1], v[2:3], v[0:1], 1.0
	v_mul_f64 v[2:3], v[6:7], -v[0:1]
.LBB124_309:
	s_or_b64 exec, exec, s[12:13]
.LBB124_310:
	s_or_b64 exec, exec, s[0:1]
	v_cmp_ne_u32_e32 vcc, v17, v4
	s_and_saveexec_b64 s[0:1], vcc
	s_xor_b64 s[0:1], exec, s[0:1]
	s_cbranch_execz .LBB124_316
; %bb.311:
	v_cmp_eq_u32_e32 vcc, 12, v17
	s_and_saveexec_b64 s[12:13], vcc
	s_cbranch_execz .LBB124_315
; %bb.312:
	v_cmp_ne_u32_e32 vcc, 12, v4
	s_xor_b64 s[4:5], s[18:19], -1
	s_and_b64 s[4:5], s[4:5], vcc
	s_and_saveexec_b64 s[14:15], s[4:5]
	s_cbranch_execz .LBB124_314
; %bb.313:
	v_ashrrev_i32_e32 v5, 31, v4
	v_lshl_add_u64 v[6:7], v[4:5], 2, v[10:11]
	global_load_dword v5, v[6:7], off
	global_load_dword v16, v[10:11], off offset:48
	s_waitcnt vmcnt(1)
	global_store_dword v[10:11], v5, off offset:48
	s_waitcnt vmcnt(1)
	global_store_dword v[6:7], v16, off
.LBB124_314:
	s_or_b64 exec, exec, s[14:15]
	v_mov_b32_e32 v17, v4
	v_mov_b32_e32 v16, v4
.LBB124_315:
	s_or_b64 exec, exec, s[12:13]
.LBB124_316:
	s_andn2_saveexec_b64 s[0:1], s[0:1]
	s_cbranch_execz .LBB124_320
; %bb.317:
	s_mov_b32 s4, 0
	v_add_u32_e32 v4, 0xd0, v14
.LBB124_318:                            ; =>This Inner Loop Header: Depth=1
	s_add_i32 s12, s4, 0xd0
	s_add_i32 s13, s4, 0xe0
	;; [unrolled: 1-line block ×10, first 2 shown]
	scratch_load_dwordx4 v[18:21], off, s12
	scratch_load_dwordx4 v[22:25], off, s13
	;; [unrolled: 1-line block ×10, first 2 shown]
	v_add_u32_e32 v5, s4, v4
	s_addk_i32 s4, 0xa0
	s_cmpk_eq_i32 s4, 0x320
	s_waitcnt vmcnt(9)
	ds_write2_b64 v5, v[18:19], v[20:21] offset1:1
	s_waitcnt vmcnt(8)
	ds_write2_b64 v5, v[22:23], v[24:25] offset0:2 offset1:3
	s_waitcnt vmcnt(7)
	ds_write2_b64 v5, v[26:27], v[28:29] offset0:4 offset1:5
	;; [unrolled: 2-line block ×9, first 2 shown]
	s_cbranch_scc0 .LBB124_318
; %bb.319:
	v_mov_b32_e32 v17, 12
.LBB124_320:
	s_or_b64 exec, exec, s[0:1]
	v_cmp_lt_i32_e32 vcc, 12, v17
	s_waitcnt lgkmcnt(0)
	s_barrier
	s_and_saveexec_b64 s[0:1], vcc
	s_cbranch_execz .LBB124_323
; %bb.321:
	scratch_load_dwordx4 v[18:21], off, off offset:192
	s_mov_b32 s4, 0
	s_waitcnt vmcnt(0)
	v_mul_f64 v[4:5], v[2:3], v[20:21]
	v_mul_f64 v[6:7], v[0:1], v[20:21]
	v_fma_f64 v[4:5], v[0:1], v[18:19], -v[4:5]
	v_fmac_f64_e32 v[6:7], v[2:3], v[18:19]
	v_add_u32_e32 v0, 0xd0, v14
	scratch_store_dwordx4 off, v[4:7], off offset:192
.LBB124_322:                            ; =>This Inner Loop Header: Depth=1
	s_add_i32 s12, s4, 0xd0
	s_add_i32 s13, s4, 0xe0
	;; [unrolled: 1-line block ×5, first 2 shown]
	scratch_load_dwordx4 v[18:21], off, s12
	scratch_load_dwordx4 v[22:25], off, s13
	;; [unrolled: 1-line block ×5, first 2 shown]
	v_add_u32_e32 v1, s4, v0
	ds_read2_b64 v[38:41], v1 offset1:1
	ds_read2_b64 v[42:45], v1 offset0:2 offset1:3
	ds_read2_b64 v[46:49], v1 offset0:4 offset1:5
	;; [unrolled: 1-line block ×4, first 2 shown]
	s_waitcnt lgkmcnt(4)
	v_mul_f64 v[2:3], v[40:41], v[6:7]
	v_mul_f64 v[58:59], v[38:39], v[6:7]
	s_addk_i32 s4, 0x50
	s_waitcnt lgkmcnt(3)
	v_mul_f64 v[60:61], v[44:45], v[6:7]
	v_mul_f64 v[62:63], v[42:43], v[6:7]
	s_waitcnt lgkmcnt(2)
	v_mul_f64 v[64:65], v[48:49], v[6:7]
	v_mul_f64 v[66:67], v[46:47], v[6:7]
	;; [unrolled: 3-line block ×4, first 2 shown]
	v_fma_f64 v[2:3], v[38:39], v[4:5], -v[2:3]
	v_fmac_f64_e32 v[58:59], v[40:41], v[4:5]
	s_cmpk_lg_i32 s4, 0x320
	v_fma_f64 v[38:39], v[42:43], v[4:5], -v[60:61]
	v_fmac_f64_e32 v[62:63], v[44:45], v[4:5]
	v_fma_f64 v[40:41], v[46:47], v[4:5], -v[64:65]
	v_fmac_f64_e32 v[66:67], v[48:49], v[4:5]
	;; [unrolled: 2-line block ×4, first 2 shown]
	s_waitcnt vmcnt(4)
	v_add_f64 v[18:19], v[18:19], -v[2:3]
	v_add_f64 v[20:21], v[20:21], -v[58:59]
	s_waitcnt vmcnt(3)
	v_add_f64 v[22:23], v[22:23], -v[38:39]
	v_add_f64 v[24:25], v[24:25], -v[62:63]
	;; [unrolled: 3-line block ×5, first 2 shown]
	scratch_store_dwordx4 off, v[18:21], s12
	scratch_store_dwordx4 off, v[22:25], s13
	;; [unrolled: 1-line block ×5, first 2 shown]
	s_cbranch_scc1 .LBB124_322
.LBB124_323:
	s_or_b64 exec, exec, s[0:1]
	s_barrier
	scratch_load_dwordx4 v[0:3], off, s90
	v_lshl_add_u32 v4, v17, 4, v14
	s_cmp_lt_i32 s52, 15
	s_waitcnt vmcnt(0)
	ds_write2_b64 v4, v[0:1], v[2:3] offset1:1
	s_waitcnt lgkmcnt(0)
	s_barrier
	ds_read2_b64 v[0:3], v14 offset0:26 offset1:27
	v_mov_b32_e32 v4, 13
	s_cbranch_scc1 .LBB124_326
; %bb.324:
	v_add_u32_e32 v5, 0xe0, v14
	s_mov_b32 s4, 14
	v_mov_b32_e32 v4, 13
.LBB124_325:                            ; =>This Inner Loop Header: Depth=1
	ds_read2_b64 v[18:21], v5 offset1:1
	s_waitcnt lgkmcnt(1)
	v_xor_b32_e32 v7, 0x80000000, v1
	v_xor_b32_e32 v23, 0x80000000, v3
	v_cmp_gt_f64_e32 vcc, 0, v[2:3]
	v_cmp_gt_f64_e64 s[0:1], 0, v[0:1]
	v_mov_b32_e32 v6, v0
	v_mov_b32_e32 v22, v2
	v_cndmask_b32_e64 v7, v1, v7, s[0:1]
	v_cndmask_b32_e32 v23, v3, v23, vcc
	v_add_f64 v[6:7], v[6:7], v[22:23]
	s_waitcnt lgkmcnt(0)
	v_xor_b32_e32 v23, 0x80000000, v19
	v_xor_b32_e32 v25, 0x80000000, v21
	v_cmp_gt_f64_e32 vcc, 0, v[20:21]
	v_cmp_gt_f64_e64 s[0:1], 0, v[18:19]
	v_mov_b32_e32 v22, v18
	v_mov_b32_e32 v24, v20
	v_cndmask_b32_e64 v23, v19, v23, s[0:1]
	v_cndmask_b32_e32 v25, v21, v25, vcc
	v_add_f64 v[22:23], v[22:23], v[24:25]
	v_mov_b32_e32 v26, s4
	s_add_i32 s4, s4, 1
	v_cmp_lt_f64_e32 vcc, v[6:7], v[22:23]
	v_add_u32_e32 v5, 16, v5
	s_cmp_lg_u32 s52, s4
	v_cndmask_b32_e32 v1, v1, v19, vcc
	v_cndmask_b32_e32 v0, v0, v18, vcc
	;; [unrolled: 1-line block ×5, first 2 shown]
	s_cbranch_scc1 .LBB124_325
.LBB124_326:
	s_waitcnt lgkmcnt(0)
	v_cmp_eq_f64_e32 vcc, 0, v[0:1]
	v_cmp_eq_f64_e64 s[0:1], 0, v[2:3]
	s_and_b64 s[0:1], vcc, s[0:1]
	s_and_saveexec_b64 s[4:5], s[0:1]
	s_xor_b64 s[0:1], exec, s[4:5]
; %bb.327:
	v_cmp_ne_u32_e32 vcc, 0, v15
	s_nop 1
	v_cndmask_b32_e32 v15, 14, v15, vcc
; %bb.328:
	s_andn2_saveexec_b64 s[0:1], s[0:1]
	s_cbranch_execz .LBB124_334
; %bb.329:
	v_cmp_ngt_f64_e64 s[4:5], |v[0:1]|, |v[2:3]|
	s_and_saveexec_b64 s[12:13], s[4:5]
	s_xor_b64 s[12:13], exec, s[12:13]
	s_cbranch_execz .LBB124_331
; %bb.330:
	v_div_scale_f64 v[6:7], s[4:5], v[2:3], v[2:3], v[0:1]
	v_rcp_f64_e32 v[18:19], v[6:7]
	v_div_scale_f64 v[20:21], vcc, v[0:1], v[2:3], v[0:1]
	v_fma_f64 v[22:23], -v[6:7], v[18:19], 1.0
	v_fmac_f64_e32 v[18:19], v[18:19], v[22:23]
	v_fma_f64 v[22:23], -v[6:7], v[18:19], 1.0
	v_fmac_f64_e32 v[18:19], v[18:19], v[22:23]
	v_mul_f64 v[22:23], v[20:21], v[18:19]
	v_fma_f64 v[6:7], -v[6:7], v[22:23], v[20:21]
	v_div_fmas_f64 v[6:7], v[6:7], v[18:19], v[22:23]
	v_div_fixup_f64 v[6:7], v[6:7], v[2:3], v[0:1]
	v_fmac_f64_e32 v[2:3], v[0:1], v[6:7]
	v_div_scale_f64 v[0:1], s[4:5], v[2:3], v[2:3], 1.0
	v_rcp_f64_e32 v[18:19], v[0:1]
	s_nop 0
	v_fma_f64 v[20:21], -v[0:1], v[18:19], 1.0
	v_fmac_f64_e32 v[18:19], v[18:19], v[20:21]
	v_fma_f64 v[20:21], -v[0:1], v[18:19], 1.0
	v_fmac_f64_e32 v[18:19], v[18:19], v[20:21]
	v_div_scale_f64 v[20:21], vcc, 1.0, v[2:3], 1.0
	v_mul_f64 v[22:23], v[20:21], v[18:19]
	v_fma_f64 v[0:1], -v[0:1], v[22:23], v[20:21]
	s_nop 1
	v_div_fmas_f64 v[0:1], v[0:1], v[18:19], v[22:23]
	v_div_fixup_f64 v[2:3], v[0:1], v[2:3], 1.0
	v_mul_f64 v[0:1], v[6:7], v[2:3]
	v_xor_b32_e32 v3, 0x80000000, v3
.LBB124_331:
	s_andn2_saveexec_b64 s[12:13], s[12:13]
	s_cbranch_execz .LBB124_333
; %bb.332:
	v_div_scale_f64 v[6:7], s[4:5], v[0:1], v[0:1], v[2:3]
	v_rcp_f64_e32 v[18:19], v[6:7]
	v_div_scale_f64 v[20:21], vcc, v[2:3], v[0:1], v[2:3]
	v_fma_f64 v[22:23], -v[6:7], v[18:19], 1.0
	v_fmac_f64_e32 v[18:19], v[18:19], v[22:23]
	v_fma_f64 v[22:23], -v[6:7], v[18:19], 1.0
	v_fmac_f64_e32 v[18:19], v[18:19], v[22:23]
	v_mul_f64 v[22:23], v[20:21], v[18:19]
	v_fma_f64 v[6:7], -v[6:7], v[22:23], v[20:21]
	v_div_fmas_f64 v[6:7], v[6:7], v[18:19], v[22:23]
	v_div_fixup_f64 v[6:7], v[6:7], v[0:1], v[2:3]
	v_fmac_f64_e32 v[0:1], v[2:3], v[6:7]
	v_div_scale_f64 v[2:3], s[4:5], v[0:1], v[0:1], 1.0
	v_rcp_f64_e32 v[18:19], v[2:3]
	s_nop 0
	v_fma_f64 v[20:21], -v[2:3], v[18:19], 1.0
	v_fmac_f64_e32 v[18:19], v[18:19], v[20:21]
	v_fma_f64 v[20:21], -v[2:3], v[18:19], 1.0
	v_fmac_f64_e32 v[18:19], v[18:19], v[20:21]
	v_div_scale_f64 v[20:21], vcc, 1.0, v[0:1], 1.0
	v_mul_f64 v[22:23], v[20:21], v[18:19]
	v_fma_f64 v[2:3], -v[2:3], v[22:23], v[20:21]
	s_nop 1
	v_div_fmas_f64 v[2:3], v[2:3], v[18:19], v[22:23]
	v_div_fixup_f64 v[0:1], v[2:3], v[0:1], 1.0
	v_mul_f64 v[2:3], v[6:7], -v[0:1]
.LBB124_333:
	s_or_b64 exec, exec, s[12:13]
.LBB124_334:
	s_or_b64 exec, exec, s[0:1]
	v_cmp_ne_u32_e32 vcc, v17, v4
	s_and_saveexec_b64 s[0:1], vcc
	s_xor_b64 s[0:1], exec, s[0:1]
	s_cbranch_execz .LBB124_340
; %bb.335:
	v_cmp_eq_u32_e32 vcc, 13, v17
	s_and_saveexec_b64 s[12:13], vcc
	s_cbranch_execz .LBB124_339
; %bb.336:
	v_cmp_ne_u32_e32 vcc, 13, v4
	s_xor_b64 s[4:5], s[18:19], -1
	s_and_b64 s[4:5], s[4:5], vcc
	s_and_saveexec_b64 s[14:15], s[4:5]
	s_cbranch_execz .LBB124_338
; %bb.337:
	v_ashrrev_i32_e32 v5, 31, v4
	v_lshl_add_u64 v[6:7], v[4:5], 2, v[10:11]
	global_load_dword v5, v[6:7], off
	global_load_dword v16, v[10:11], off offset:52
	s_waitcnt vmcnt(1)
	global_store_dword v[10:11], v5, off offset:52
	s_waitcnt vmcnt(1)
	global_store_dword v[6:7], v16, off
.LBB124_338:
	s_or_b64 exec, exec, s[14:15]
	v_mov_b32_e32 v17, v4
	v_mov_b32_e32 v16, v4
.LBB124_339:
	s_or_b64 exec, exec, s[12:13]
.LBB124_340:
	s_andn2_saveexec_b64 s[0:1], s[0:1]
	s_cbranch_execz .LBB124_344
; %bb.341:
	s_mov_b32 s4, 0
	v_add_u32_e32 v4, 0xe0, v14
.LBB124_342:                            ; =>This Inner Loop Header: Depth=1
	s_add_i32 s12, s4, 0xe0
	s_add_i32 s13, s4, 0xf0
	;; [unrolled: 1-line block ×7, first 2 shown]
	scratch_load_dwordx4 v[18:21], off, s12
	scratch_load_dwordx4 v[22:25], off, s13
	;; [unrolled: 1-line block ×7, first 2 shown]
	v_add_u32_e32 v5, s4, v4
	s_addk_i32 s4, 0x70
	s_cmpk_eq_i32 s4, 0x310
	s_waitcnt vmcnt(6)
	ds_write2_b64 v5, v[18:19], v[20:21] offset1:1
	s_waitcnt vmcnt(5)
	ds_write2_b64 v5, v[22:23], v[24:25] offset0:2 offset1:3
	s_waitcnt vmcnt(4)
	ds_write2_b64 v5, v[26:27], v[28:29] offset0:4 offset1:5
	;; [unrolled: 2-line block ×6, first 2 shown]
	s_cbranch_scc0 .LBB124_342
; %bb.343:
	v_mov_b32_e32 v17, 13
.LBB124_344:
	s_or_b64 exec, exec, s[0:1]
	v_cmp_lt_i32_e32 vcc, 13, v17
	s_waitcnt lgkmcnt(0)
	s_barrier
	s_and_saveexec_b64 s[0:1], vcc
	s_cbranch_execz .LBB124_347
; %bb.345:
	scratch_load_dwordx4 v[18:21], off, off offset:208
	s_mov_b32 s12, 0
	s_waitcnt vmcnt(0)
	v_mul_f64 v[4:5], v[2:3], v[20:21]
	v_mul_f64 v[6:7], v[0:1], v[20:21]
	v_fma_f64 v[4:5], v[0:1], v[18:19], -v[4:5]
	v_fmac_f64_e32 v[6:7], v[2:3], v[18:19]
	v_add_u32_e32 v0, 0xe0, v14
	scratch_store_dwordx4 off, v[4:7], off offset:208
.LBB124_346:                            ; =>This Inner Loop Header: Depth=1
	v_add_u32_e32 v1, s12, v0
	ds_read2_b64 v[18:21], v1 offset1:1
	ds_read2_b64 v[22:25], v1 offset0:2 offset1:3
	ds_read2_b64 v[26:29], v1 offset0:4 offset1:5
	;; [unrolled: 1-line block ×5, first 2 shown]
	s_add_i32 s13, s12, 0xe0
	s_add_i32 s5, s12, 0xf0
	;; [unrolled: 1-line block ×6, first 2 shown]
	scratch_load_dwordx4 v[42:45], off, s13
	scratch_load_dwordx4 v[46:49], off, s5
	;; [unrolled: 1-line block ×6, first 2 shown]
	s_waitcnt lgkmcnt(5)
	v_mul_f64 v[2:3], v[20:21], v[6:7]
	v_mul_f64 v[66:67], v[18:19], v[6:7]
	s_waitcnt lgkmcnt(4)
	v_mul_f64 v[68:69], v[24:25], v[6:7]
	v_mul_f64 v[70:71], v[22:23], v[6:7]
	s_waitcnt lgkmcnt(3)
	v_mul_f64 v[72:73], v[28:29], v[6:7]
	v_mul_f64 v[74:75], v[26:27], v[6:7]
	s_waitcnt lgkmcnt(2)
	v_mul_f64 v[76:77], v[32:33], v[6:7]
	v_mul_f64 v[78:79], v[30:31], v[6:7]
	s_waitcnt lgkmcnt(1)
	v_mul_f64 v[80:81], v[36:37], v[6:7]
	v_mul_f64 v[82:83], v[34:35], v[6:7]
	s_waitcnt lgkmcnt(0)
	v_mul_f64 v[84:85], v[40:41], v[6:7]
	v_mul_f64 v[86:87], v[38:39], v[6:7]
	s_add_i32 s4, s12, 0x140
	v_fma_f64 v[2:3], v[18:19], v[4:5], -v[2:3]
	v_fmac_f64_e32 v[66:67], v[20:21], v[4:5]
	v_fma_f64 v[68:69], v[22:23], v[4:5], -v[68:69]
	v_fmac_f64_e32 v[70:71], v[24:25], v[4:5]
	;; [unrolled: 2-line block ×6, first 2 shown]
	scratch_load_dwordx4 v[4:7], off, off offset:208
	scratch_load_dwordx4 v[18:21], off, s4
	ds_read2_b64 v[22:25], v1 offset0:12 offset1:13
	s_addk_i32 s12, 0x70
	s_cmpk_lg_i32 s12, 0x310
	s_waitcnt vmcnt(7)
	v_add_f64 v[26:27], v[42:43], -v[2:3]
	v_add_f64 v[28:29], v[44:45], -v[66:67]
	s_waitcnt vmcnt(6)
	v_add_f64 v[30:31], v[46:47], -v[68:69]
	v_add_f64 v[32:33], v[48:49], -v[70:71]
	;; [unrolled: 3-line block ×6, first 2 shown]
	scratch_store_dwordx4 off, v[26:29], s13
	scratch_store_dwordx4 off, v[30:33], s5
	;; [unrolled: 1-line block ×6, first 2 shown]
	s_waitcnt vmcnt(7) lgkmcnt(0)
	v_mul_f64 v[2:3], v[24:25], v[6:7]
	v_mul_f64 v[26:27], v[22:23], v[6:7]
	v_fma_f64 v[2:3], v[22:23], v[4:5], -v[2:3]
	v_fmac_f64_e32 v[26:27], v[24:25], v[4:5]
	s_waitcnt vmcnt(6)
	v_add_f64 v[18:19], v[18:19], -v[2:3]
	v_add_f64 v[20:21], v[20:21], -v[26:27]
	scratch_store_dwordx4 off, v[18:21], s4
	s_cbranch_scc1 .LBB124_346
.LBB124_347:
	s_or_b64 exec, exec, s[0:1]
	s_barrier
	scratch_load_dwordx4 v[0:3], off, s89
	v_lshl_add_u32 v4, v17, 4, v14
	s_cmp_lt_i32 s52, 16
	s_waitcnt vmcnt(0)
	ds_write2_b64 v4, v[0:1], v[2:3] offset1:1
	s_waitcnt lgkmcnt(0)
	s_barrier
	ds_read2_b64 v[0:3], v14 offset0:28 offset1:29
	v_mov_b32_e32 v4, 14
	s_cbranch_scc1 .LBB124_350
; %bb.348:
	v_add_u32_e32 v5, 0xf0, v14
	s_mov_b32 s4, 15
	v_mov_b32_e32 v4, 14
.LBB124_349:                            ; =>This Inner Loop Header: Depth=1
	ds_read2_b64 v[18:21], v5 offset1:1
	s_waitcnt lgkmcnt(1)
	v_xor_b32_e32 v7, 0x80000000, v1
	v_xor_b32_e32 v23, 0x80000000, v3
	v_cmp_gt_f64_e32 vcc, 0, v[2:3]
	v_cmp_gt_f64_e64 s[0:1], 0, v[0:1]
	v_mov_b32_e32 v6, v0
	v_mov_b32_e32 v22, v2
	v_cndmask_b32_e64 v7, v1, v7, s[0:1]
	v_cndmask_b32_e32 v23, v3, v23, vcc
	v_add_f64 v[6:7], v[6:7], v[22:23]
	s_waitcnt lgkmcnt(0)
	v_xor_b32_e32 v23, 0x80000000, v19
	v_xor_b32_e32 v25, 0x80000000, v21
	v_cmp_gt_f64_e32 vcc, 0, v[20:21]
	v_cmp_gt_f64_e64 s[0:1], 0, v[18:19]
	v_mov_b32_e32 v22, v18
	v_mov_b32_e32 v24, v20
	v_cndmask_b32_e64 v23, v19, v23, s[0:1]
	v_cndmask_b32_e32 v25, v21, v25, vcc
	v_add_f64 v[22:23], v[22:23], v[24:25]
	v_mov_b32_e32 v26, s4
	s_add_i32 s4, s4, 1
	v_cmp_lt_f64_e32 vcc, v[6:7], v[22:23]
	v_add_u32_e32 v5, 16, v5
	s_cmp_lg_u32 s52, s4
	v_cndmask_b32_e32 v1, v1, v19, vcc
	v_cndmask_b32_e32 v0, v0, v18, vcc
	;; [unrolled: 1-line block ×5, first 2 shown]
	s_cbranch_scc1 .LBB124_349
.LBB124_350:
	s_waitcnt lgkmcnt(0)
	v_cmp_eq_f64_e32 vcc, 0, v[0:1]
	v_cmp_eq_f64_e64 s[0:1], 0, v[2:3]
	s_and_b64 s[0:1], vcc, s[0:1]
	s_and_saveexec_b64 s[4:5], s[0:1]
	s_xor_b64 s[0:1], exec, s[4:5]
; %bb.351:
	v_cmp_ne_u32_e32 vcc, 0, v15
	s_nop 1
	v_cndmask_b32_e32 v15, 15, v15, vcc
; %bb.352:
	s_andn2_saveexec_b64 s[0:1], s[0:1]
	s_cbranch_execz .LBB124_358
; %bb.353:
	v_cmp_ngt_f64_e64 s[4:5], |v[0:1]|, |v[2:3]|
	s_and_saveexec_b64 s[12:13], s[4:5]
	s_xor_b64 s[12:13], exec, s[12:13]
	s_cbranch_execz .LBB124_355
; %bb.354:
	v_div_scale_f64 v[6:7], s[4:5], v[2:3], v[2:3], v[0:1]
	v_rcp_f64_e32 v[18:19], v[6:7]
	v_div_scale_f64 v[20:21], vcc, v[0:1], v[2:3], v[0:1]
	v_fma_f64 v[22:23], -v[6:7], v[18:19], 1.0
	v_fmac_f64_e32 v[18:19], v[18:19], v[22:23]
	v_fma_f64 v[22:23], -v[6:7], v[18:19], 1.0
	v_fmac_f64_e32 v[18:19], v[18:19], v[22:23]
	v_mul_f64 v[22:23], v[20:21], v[18:19]
	v_fma_f64 v[6:7], -v[6:7], v[22:23], v[20:21]
	v_div_fmas_f64 v[6:7], v[6:7], v[18:19], v[22:23]
	v_div_fixup_f64 v[6:7], v[6:7], v[2:3], v[0:1]
	v_fmac_f64_e32 v[2:3], v[0:1], v[6:7]
	v_div_scale_f64 v[0:1], s[4:5], v[2:3], v[2:3], 1.0
	v_rcp_f64_e32 v[18:19], v[0:1]
	s_nop 0
	v_fma_f64 v[20:21], -v[0:1], v[18:19], 1.0
	v_fmac_f64_e32 v[18:19], v[18:19], v[20:21]
	v_fma_f64 v[20:21], -v[0:1], v[18:19], 1.0
	v_fmac_f64_e32 v[18:19], v[18:19], v[20:21]
	v_div_scale_f64 v[20:21], vcc, 1.0, v[2:3], 1.0
	v_mul_f64 v[22:23], v[20:21], v[18:19]
	v_fma_f64 v[0:1], -v[0:1], v[22:23], v[20:21]
	s_nop 1
	v_div_fmas_f64 v[0:1], v[0:1], v[18:19], v[22:23]
	v_div_fixup_f64 v[2:3], v[0:1], v[2:3], 1.0
	v_mul_f64 v[0:1], v[6:7], v[2:3]
	v_xor_b32_e32 v3, 0x80000000, v3
.LBB124_355:
	s_andn2_saveexec_b64 s[12:13], s[12:13]
	s_cbranch_execz .LBB124_357
; %bb.356:
	v_div_scale_f64 v[6:7], s[4:5], v[0:1], v[0:1], v[2:3]
	v_rcp_f64_e32 v[18:19], v[6:7]
	v_div_scale_f64 v[20:21], vcc, v[2:3], v[0:1], v[2:3]
	v_fma_f64 v[22:23], -v[6:7], v[18:19], 1.0
	v_fmac_f64_e32 v[18:19], v[18:19], v[22:23]
	v_fma_f64 v[22:23], -v[6:7], v[18:19], 1.0
	v_fmac_f64_e32 v[18:19], v[18:19], v[22:23]
	v_mul_f64 v[22:23], v[20:21], v[18:19]
	v_fma_f64 v[6:7], -v[6:7], v[22:23], v[20:21]
	v_div_fmas_f64 v[6:7], v[6:7], v[18:19], v[22:23]
	v_div_fixup_f64 v[6:7], v[6:7], v[0:1], v[2:3]
	v_fmac_f64_e32 v[0:1], v[2:3], v[6:7]
	v_div_scale_f64 v[2:3], s[4:5], v[0:1], v[0:1], 1.0
	v_rcp_f64_e32 v[18:19], v[2:3]
	s_nop 0
	v_fma_f64 v[20:21], -v[2:3], v[18:19], 1.0
	v_fmac_f64_e32 v[18:19], v[18:19], v[20:21]
	v_fma_f64 v[20:21], -v[2:3], v[18:19], 1.0
	v_fmac_f64_e32 v[18:19], v[18:19], v[20:21]
	v_div_scale_f64 v[20:21], vcc, 1.0, v[0:1], 1.0
	v_mul_f64 v[22:23], v[20:21], v[18:19]
	v_fma_f64 v[2:3], -v[2:3], v[22:23], v[20:21]
	s_nop 1
	v_div_fmas_f64 v[2:3], v[2:3], v[18:19], v[22:23]
	v_div_fixup_f64 v[0:1], v[2:3], v[0:1], 1.0
	v_mul_f64 v[2:3], v[6:7], -v[0:1]
.LBB124_357:
	s_or_b64 exec, exec, s[12:13]
.LBB124_358:
	s_or_b64 exec, exec, s[0:1]
	v_cmp_ne_u32_e32 vcc, v17, v4
	s_and_saveexec_b64 s[0:1], vcc
	s_xor_b64 s[0:1], exec, s[0:1]
	s_cbranch_execz .LBB124_364
; %bb.359:
	v_cmp_eq_u32_e32 vcc, 14, v17
	s_and_saveexec_b64 s[12:13], vcc
	s_cbranch_execz .LBB124_363
; %bb.360:
	v_cmp_ne_u32_e32 vcc, 14, v4
	s_xor_b64 s[4:5], s[18:19], -1
	s_and_b64 s[4:5], s[4:5], vcc
	s_and_saveexec_b64 s[14:15], s[4:5]
	s_cbranch_execz .LBB124_362
; %bb.361:
	v_ashrrev_i32_e32 v5, 31, v4
	v_lshl_add_u64 v[6:7], v[4:5], 2, v[10:11]
	global_load_dword v5, v[6:7], off
	global_load_dword v16, v[10:11], off offset:56
	s_waitcnt vmcnt(1)
	global_store_dword v[10:11], v5, off offset:56
	s_waitcnt vmcnt(1)
	global_store_dword v[6:7], v16, off
.LBB124_362:
	s_or_b64 exec, exec, s[14:15]
	v_mov_b32_e32 v17, v4
	v_mov_b32_e32 v16, v4
.LBB124_363:
	s_or_b64 exec, exec, s[12:13]
.LBB124_364:
	s_andn2_saveexec_b64 s[0:1], s[0:1]
	s_cbranch_execz .LBB124_368
; %bb.365:
	s_mov_b32 s4, 0
	v_add_u32_e32 v4, 0xf0, v14
.LBB124_366:                            ; =>This Inner Loop Header: Depth=1
	s_add_i32 s12, s4, 0xf0
	s_add_i32 s13, s4, 0x100
	;; [unrolled: 1-line block ×16, first 2 shown]
	scratch_load_dwordx4 v[18:21], off, s12
	scratch_load_dwordx4 v[22:25], off, s13
	;; [unrolled: 1-line block ×16, first 2 shown]
	v_add_u32_e32 v5, s4, v4
	s_addk_i32 s4, 0x100
	s_cmpk_eq_i32 s4, 0x300
	s_waitcnt vmcnt(15)
	ds_write2_b64 v5, v[18:19], v[20:21] offset1:1
	s_waitcnt vmcnt(14)
	ds_write2_b64 v5, v[22:23], v[24:25] offset0:2 offset1:3
	s_waitcnt vmcnt(13)
	ds_write2_b64 v5, v[26:27], v[28:29] offset0:4 offset1:5
	;; [unrolled: 2-line block ×15, first 2 shown]
	s_cbranch_scc0 .LBB124_366
; %bb.367:
	v_mov_b32_e32 v17, 14
.LBB124_368:
	s_or_b64 exec, exec, s[0:1]
	v_cmp_lt_i32_e32 vcc, 14, v17
	s_waitcnt lgkmcnt(0)
	s_barrier
	s_and_saveexec_b64 s[0:1], vcc
	s_cbranch_execz .LBB124_371
; %bb.369:
	scratch_load_dwordx4 v[18:21], off, off offset:224
	s_mov_b32 s12, 0
	s_waitcnt vmcnt(0)
	v_mul_f64 v[4:5], v[2:3], v[20:21]
	v_mul_f64 v[6:7], v[0:1], v[20:21]
	v_fma_f64 v[4:5], v[0:1], v[18:19], -v[4:5]
	v_fmac_f64_e32 v[6:7], v[2:3], v[18:19]
	v_add_u32_e32 v0, 0xf0, v14
	scratch_store_dwordx4 off, v[4:7], off offset:224
.LBB124_370:                            ; =>This Inner Loop Header: Depth=1
	v_add_u32_e32 v1, s12, v0
	ds_read2_b64 v[18:21], v1 offset1:1
	ds_read2_b64 v[22:25], v1 offset0:2 offset1:3
	ds_read2_b64 v[26:29], v1 offset0:4 offset1:5
	;; [unrolled: 1-line block ×5, first 2 shown]
	s_add_i32 s13, s12, 0xf0
	s_waitcnt lgkmcnt(5)
	v_mul_f64 v[2:3], v[20:21], v[6:7]
	v_mul_f64 v[70:71], v[18:19], v[6:7]
	s_waitcnt lgkmcnt(4)
	v_mul_f64 v[72:73], v[24:25], v[6:7]
	v_mul_f64 v[74:75], v[22:23], v[6:7]
	;; [unrolled: 3-line block ×6, first 2 shown]
	s_add_i32 s14, s12, 0x100
	s_add_i32 s5, s12, 0x110
	;; [unrolled: 1-line block ×7, first 2 shown]
	scratch_load_dwordx4 v[42:45], off, s13
	scratch_load_dwordx4 v[46:49], off, s14
	;; [unrolled: 1-line block ×7, first 2 shown]
	v_fma_f64 v[2:3], v[18:19], v[4:5], -v[2:3]
	v_fmac_f64_e32 v[70:71], v[20:21], v[4:5]
	v_fma_f64 v[72:73], v[22:23], v[4:5], -v[72:73]
	v_fmac_f64_e32 v[74:75], v[24:25], v[4:5]
	;; [unrolled: 2-line block ×6, first 2 shown]
	scratch_load_dwordx4 v[4:7], off, off offset:224
	scratch_load_dwordx4 v[18:21], off, s4
	ds_read2_b64 v[22:25], v1 offset0:12 offset1:13
	ds_read2_b64 v[26:29], v1 offset0:14 offset1:15
	s_addk_i32 s12, 0x80
	s_cmpk_lg_i32 s12, 0x300
	s_waitcnt vmcnt(8)
	v_add_f64 v[30:31], v[42:43], -v[2:3]
	v_add_f64 v[32:33], v[44:45], -v[70:71]
	s_waitcnt vmcnt(7)
	v_add_f64 v[34:35], v[46:47], -v[72:73]
	v_add_f64 v[36:37], v[48:49], -v[74:75]
	;; [unrolled: 3-line block ×6, first 2 shown]
	scratch_store_dwordx4 off, v[30:33], s13
	scratch_store_dwordx4 off, v[34:37], s14
	;; [unrolled: 1-line block ×6, first 2 shown]
	s_waitcnt vmcnt(7) lgkmcnt(1)
	v_mul_f64 v[2:3], v[24:25], v[6:7]
	v_mul_f64 v[30:31], v[22:23], v[6:7]
	s_waitcnt lgkmcnt(0)
	v_mul_f64 v[32:33], v[28:29], v[6:7]
	v_mul_f64 v[34:35], v[26:27], v[6:7]
	v_fma_f64 v[2:3], v[22:23], v[4:5], -v[2:3]
	v_fmac_f64_e32 v[30:31], v[24:25], v[4:5]
	v_fma_f64 v[26:27], v[26:27], v[4:5], -v[32:33]
	v_fmac_f64_e32 v[34:35], v[28:29], v[4:5]
	v_add_f64 v[22:23], v[66:67], -v[2:3]
	v_add_f64 v[24:25], v[68:69], -v[30:31]
	s_waitcnt vmcnt(6)
	v_add_f64 v[18:19], v[18:19], -v[26:27]
	v_add_f64 v[20:21], v[20:21], -v[34:35]
	scratch_store_dwordx4 off, v[22:25], s68
	scratch_store_dwordx4 off, v[18:21], s4
	s_cbranch_scc1 .LBB124_370
.LBB124_371:
	s_or_b64 exec, exec, s[0:1]
	s_barrier
	scratch_load_dwordx4 v[0:3], off, s88
	v_lshl_add_u32 v4, v17, 4, v14
	s_cmp_lt_i32 s52, 17
	s_waitcnt vmcnt(0)
	ds_write2_b64 v4, v[0:1], v[2:3] offset1:1
	s_waitcnt lgkmcnt(0)
	s_barrier
	ds_read2_b64 v[0:3], v14 offset0:30 offset1:31
	v_mov_b32_e32 v4, 15
	s_cbranch_scc1 .LBB124_374
; %bb.372:
	v_add_u32_e32 v5, 0x100, v14
	s_mov_b32 s4, 16
	v_mov_b32_e32 v4, 15
.LBB124_373:                            ; =>This Inner Loop Header: Depth=1
	ds_read2_b64 v[18:21], v5 offset1:1
	s_waitcnt lgkmcnt(1)
	v_xor_b32_e32 v7, 0x80000000, v1
	v_xor_b32_e32 v23, 0x80000000, v3
	v_cmp_gt_f64_e32 vcc, 0, v[2:3]
	v_cmp_gt_f64_e64 s[0:1], 0, v[0:1]
	v_mov_b32_e32 v6, v0
	v_mov_b32_e32 v22, v2
	v_cndmask_b32_e64 v7, v1, v7, s[0:1]
	v_cndmask_b32_e32 v23, v3, v23, vcc
	v_add_f64 v[6:7], v[6:7], v[22:23]
	s_waitcnt lgkmcnt(0)
	v_xor_b32_e32 v23, 0x80000000, v19
	v_xor_b32_e32 v25, 0x80000000, v21
	v_cmp_gt_f64_e32 vcc, 0, v[20:21]
	v_cmp_gt_f64_e64 s[0:1], 0, v[18:19]
	v_mov_b32_e32 v22, v18
	v_mov_b32_e32 v24, v20
	v_cndmask_b32_e64 v23, v19, v23, s[0:1]
	v_cndmask_b32_e32 v25, v21, v25, vcc
	v_add_f64 v[22:23], v[22:23], v[24:25]
	v_mov_b32_e32 v26, s4
	s_add_i32 s4, s4, 1
	v_cmp_lt_f64_e32 vcc, v[6:7], v[22:23]
	v_add_u32_e32 v5, 16, v5
	s_cmp_lg_u32 s52, s4
	v_cndmask_b32_e32 v1, v1, v19, vcc
	v_cndmask_b32_e32 v0, v0, v18, vcc
	;; [unrolled: 1-line block ×5, first 2 shown]
	s_cbranch_scc1 .LBB124_373
.LBB124_374:
	s_waitcnt lgkmcnt(0)
	v_cmp_eq_f64_e32 vcc, 0, v[0:1]
	v_cmp_eq_f64_e64 s[0:1], 0, v[2:3]
	s_and_b64 s[0:1], vcc, s[0:1]
	s_and_saveexec_b64 s[4:5], s[0:1]
	s_xor_b64 s[0:1], exec, s[4:5]
; %bb.375:
	v_cmp_ne_u32_e32 vcc, 0, v15
	s_nop 1
	v_cndmask_b32_e32 v15, 16, v15, vcc
; %bb.376:
	s_andn2_saveexec_b64 s[0:1], s[0:1]
	s_cbranch_execz .LBB124_382
; %bb.377:
	v_cmp_ngt_f64_e64 s[4:5], |v[0:1]|, |v[2:3]|
	s_and_saveexec_b64 s[12:13], s[4:5]
	s_xor_b64 s[12:13], exec, s[12:13]
	s_cbranch_execz .LBB124_379
; %bb.378:
	v_div_scale_f64 v[6:7], s[4:5], v[2:3], v[2:3], v[0:1]
	v_rcp_f64_e32 v[18:19], v[6:7]
	v_div_scale_f64 v[20:21], vcc, v[0:1], v[2:3], v[0:1]
	v_fma_f64 v[22:23], -v[6:7], v[18:19], 1.0
	v_fmac_f64_e32 v[18:19], v[18:19], v[22:23]
	v_fma_f64 v[22:23], -v[6:7], v[18:19], 1.0
	v_fmac_f64_e32 v[18:19], v[18:19], v[22:23]
	v_mul_f64 v[22:23], v[20:21], v[18:19]
	v_fma_f64 v[6:7], -v[6:7], v[22:23], v[20:21]
	v_div_fmas_f64 v[6:7], v[6:7], v[18:19], v[22:23]
	v_div_fixup_f64 v[6:7], v[6:7], v[2:3], v[0:1]
	v_fmac_f64_e32 v[2:3], v[0:1], v[6:7]
	v_div_scale_f64 v[0:1], s[4:5], v[2:3], v[2:3], 1.0
	v_rcp_f64_e32 v[18:19], v[0:1]
	s_nop 0
	v_fma_f64 v[20:21], -v[0:1], v[18:19], 1.0
	v_fmac_f64_e32 v[18:19], v[18:19], v[20:21]
	v_fma_f64 v[20:21], -v[0:1], v[18:19], 1.0
	v_fmac_f64_e32 v[18:19], v[18:19], v[20:21]
	v_div_scale_f64 v[20:21], vcc, 1.0, v[2:3], 1.0
	v_mul_f64 v[22:23], v[20:21], v[18:19]
	v_fma_f64 v[0:1], -v[0:1], v[22:23], v[20:21]
	s_nop 1
	v_div_fmas_f64 v[0:1], v[0:1], v[18:19], v[22:23]
	v_div_fixup_f64 v[2:3], v[0:1], v[2:3], 1.0
	v_mul_f64 v[0:1], v[6:7], v[2:3]
	v_xor_b32_e32 v3, 0x80000000, v3
.LBB124_379:
	s_andn2_saveexec_b64 s[12:13], s[12:13]
	s_cbranch_execz .LBB124_381
; %bb.380:
	v_div_scale_f64 v[6:7], s[4:5], v[0:1], v[0:1], v[2:3]
	v_rcp_f64_e32 v[18:19], v[6:7]
	v_div_scale_f64 v[20:21], vcc, v[2:3], v[0:1], v[2:3]
	v_fma_f64 v[22:23], -v[6:7], v[18:19], 1.0
	v_fmac_f64_e32 v[18:19], v[18:19], v[22:23]
	v_fma_f64 v[22:23], -v[6:7], v[18:19], 1.0
	v_fmac_f64_e32 v[18:19], v[18:19], v[22:23]
	v_mul_f64 v[22:23], v[20:21], v[18:19]
	v_fma_f64 v[6:7], -v[6:7], v[22:23], v[20:21]
	v_div_fmas_f64 v[6:7], v[6:7], v[18:19], v[22:23]
	v_div_fixup_f64 v[6:7], v[6:7], v[0:1], v[2:3]
	v_fmac_f64_e32 v[0:1], v[2:3], v[6:7]
	v_div_scale_f64 v[2:3], s[4:5], v[0:1], v[0:1], 1.0
	v_rcp_f64_e32 v[18:19], v[2:3]
	s_nop 0
	v_fma_f64 v[20:21], -v[2:3], v[18:19], 1.0
	v_fmac_f64_e32 v[18:19], v[18:19], v[20:21]
	v_fma_f64 v[20:21], -v[2:3], v[18:19], 1.0
	v_fmac_f64_e32 v[18:19], v[18:19], v[20:21]
	v_div_scale_f64 v[20:21], vcc, 1.0, v[0:1], 1.0
	v_mul_f64 v[22:23], v[20:21], v[18:19]
	v_fma_f64 v[2:3], -v[2:3], v[22:23], v[20:21]
	s_nop 1
	v_div_fmas_f64 v[2:3], v[2:3], v[18:19], v[22:23]
	v_div_fixup_f64 v[0:1], v[2:3], v[0:1], 1.0
	v_mul_f64 v[2:3], v[6:7], -v[0:1]
.LBB124_381:
	s_or_b64 exec, exec, s[12:13]
.LBB124_382:
	s_or_b64 exec, exec, s[0:1]
	v_cmp_ne_u32_e32 vcc, v17, v4
	s_and_saveexec_b64 s[0:1], vcc
	s_xor_b64 s[0:1], exec, s[0:1]
	s_cbranch_execz .LBB124_388
; %bb.383:
	v_cmp_eq_u32_e32 vcc, 15, v17
	s_and_saveexec_b64 s[12:13], vcc
	s_cbranch_execz .LBB124_387
; %bb.384:
	v_cmp_ne_u32_e32 vcc, 15, v4
	s_xor_b64 s[4:5], s[18:19], -1
	s_and_b64 s[4:5], s[4:5], vcc
	s_and_saveexec_b64 s[14:15], s[4:5]
	s_cbranch_execz .LBB124_386
; %bb.385:
	v_ashrrev_i32_e32 v5, 31, v4
	v_lshl_add_u64 v[6:7], v[4:5], 2, v[10:11]
	global_load_dword v5, v[6:7], off
	global_load_dword v16, v[10:11], off offset:60
	s_waitcnt vmcnt(1)
	global_store_dword v[10:11], v5, off offset:60
	s_waitcnt vmcnt(1)
	global_store_dword v[6:7], v16, off
.LBB124_386:
	s_or_b64 exec, exec, s[14:15]
	v_mov_b32_e32 v17, v4
	v_mov_b32_e32 v16, v4
.LBB124_387:
	s_or_b64 exec, exec, s[12:13]
.LBB124_388:
	s_andn2_saveexec_b64 s[0:1], s[0:1]
	s_cbranch_execz .LBB124_394
; %bb.389:
	s_mov_b32 s4, 0
	v_add_u32_e32 v4, 0x100, v14
	s_branch .LBB124_391
.LBB124_390:                            ;   in Loop: Header=BB124_391 Depth=1
	s_andn2_b64 vcc, exec, s[12:13]
	s_cbranch_vccz .LBB124_393
.LBB124_391:                            ; =>This Inner Loop Header: Depth=1
	s_add_i32 s12, s4, 0x100
	s_add_i32 s13, s4, 0x110
	scratch_load_dwordx4 v[18:21], off, s12
	scratch_load_dwordx4 v[22:25], off, s13
	s_add_i32 s12, s4, 0x120
	s_add_i32 s13, s4, 0x130
	scratch_load_dwordx4 v[26:29], off, s12
	scratch_load_dwordx4 v[30:33], off, s13
	;; [unrolled: 4-line block ×3, first 2 shown]
	s_add_i32 s12, s4, 0x160
	scratch_load_dwordx4 v[42:45], off, s12
	s_mov_b32 s5, s4
	v_add_u32_e32 v5, s4, v4
	s_cmpk_eq_i32 s4, 0x280
	s_mov_b64 s[12:13], -1
	s_waitcnt vmcnt(6)
	ds_write2_b64 v5, v[18:19], v[20:21] offset1:1
	s_waitcnt vmcnt(5)
	ds_write2_b64 v5, v[22:23], v[24:25] offset0:2 offset1:3
	s_waitcnt vmcnt(4)
	ds_write2_b64 v5, v[26:27], v[28:29] offset0:4 offset1:5
	;; [unrolled: 2-line block ×6, first 2 shown]
	s_cbranch_scc1 .LBB124_390
; %bb.392:                              ;   in Loop: Header=BB124_391 Depth=1
	s_addk_i32 s5, 0x170
	scratch_load_dwordx4 v[18:21], off, s5
	s_addk_i32 s4, 0x80
	s_mov_b64 s[12:13], 0
	s_waitcnt vmcnt(0)
	ds_write2_b64 v5, v[18:19], v[20:21] offset0:14 offset1:15
	s_branch .LBB124_390
.LBB124_393:
	v_mov_b32_e32 v17, 15
.LBB124_394:
	s_or_b64 exec, exec, s[0:1]
	v_cmp_lt_i32_e32 vcc, 15, v17
	s_waitcnt lgkmcnt(0)
	s_barrier
	s_and_saveexec_b64 s[0:1], vcc
	s_cbranch_execz .LBB124_399
; %bb.395:
	scratch_load_dwordx4 v[18:21], off, off offset:240
	s_mov_b32 s14, 0
	s_waitcnt vmcnt(0)
	v_mul_f64 v[4:5], v[2:3], v[20:21]
	v_mul_f64 v[6:7], v[0:1], v[20:21]
	v_fma_f64 v[4:5], v[0:1], v[18:19], -v[4:5]
	v_fmac_f64_e32 v[6:7], v[2:3], v[18:19]
	v_add_u32_e32 v0, 0x100, v14
	scratch_store_dwordx4 off, v[4:7], off offset:240
	s_branch .LBB124_397
.LBB124_396:                            ;   in Loop: Header=BB124_397 Depth=1
	s_andn2_b64 vcc, exec, s[12:13]
	s_cbranch_vccz .LBB124_399
.LBB124_397:                            ; =>This Inner Loop Header: Depth=1
	s_add_i32 s4, s14, 0x100
	scratch_load_dwordx4 v[18:21], off, s4
	s_add_i32 s5, s14, 0x110
	s_add_i32 s12, s14, 0x120
	;; [unrolled: 1-line block ×5, first 2 shown]
	scratch_load_dwordx4 v[22:25], off, s5
	scratch_load_dwordx4 v[26:29], off, s12
	;; [unrolled: 1-line block ×5, first 2 shown]
	v_add_u32_e32 v1, s14, v0
	ds_read2_b64 v[42:45], v1 offset1:1
	ds_read2_b64 v[46:49], v1 offset0:2 offset1:3
	ds_read2_b64 v[50:53], v1 offset0:4 offset1:5
	;; [unrolled: 1-line block ×5, first 2 shown]
	s_waitcnt lgkmcnt(5)
	v_mul_f64 v[2:3], v[44:45], v[6:7]
	v_mul_f64 v[66:67], v[42:43], v[6:7]
	s_waitcnt lgkmcnt(4)
	v_mul_f64 v[68:69], v[48:49], v[6:7]
	v_mul_f64 v[70:71], v[46:47], v[6:7]
	;; [unrolled: 3-line block ×6, first 2 shown]
	v_fma_f64 v[2:3], v[42:43], v[4:5], -v[2:3]
	v_fmac_f64_e32 v[66:67], v[44:45], v[4:5]
	v_fma_f64 v[42:43], v[46:47], v[4:5], -v[68:69]
	v_fmac_f64_e32 v[70:71], v[48:49], v[4:5]
	;; [unrolled: 2-line block ×6, first 2 shown]
	s_mov_b32 s15, s14
	s_waitcnt vmcnt(5)
	v_add_f64 v[2:3], v[18:19], -v[2:3]
	v_add_f64 v[4:5], v[20:21], -v[66:67]
	s_waitcnt vmcnt(4)
	v_add_f64 v[18:19], v[22:23], -v[42:43]
	v_add_f64 v[20:21], v[24:25], -v[70:71]
	;; [unrolled: 3-line block ×6, first 2 shown]
	scratch_store_dwordx4 off, v[2:5], s4
	scratch_store_dwordx4 off, v[18:21], s5
	;; [unrolled: 1-line block ×6, first 2 shown]
	scratch_load_dwordx4 v[4:7], off, off offset:240
	s_add_i32 s4, s14, 0x160
	scratch_load_dwordx4 v[18:21], off, s4
	ds_read2_b64 v[22:25], v1 offset0:12 offset1:13
	s_cmpk_eq_i32 s14, 0x280
	s_mov_b64 s[12:13], -1
	s_waitcnt vmcnt(1) lgkmcnt(0)
	v_mul_f64 v[2:3], v[24:25], v[6:7]
	v_mul_f64 v[26:27], v[22:23], v[6:7]
	v_fma_f64 v[2:3], v[22:23], v[4:5], -v[2:3]
	v_fmac_f64_e32 v[26:27], v[24:25], v[4:5]
	s_waitcnt vmcnt(0)
	v_add_f64 v[18:19], v[18:19], -v[2:3]
	v_add_f64 v[20:21], v[20:21], -v[26:27]
	scratch_store_dwordx4 off, v[18:21], s4
	s_cbranch_scc1 .LBB124_396
; %bb.398:                              ;   in Loop: Header=BB124_397 Depth=1
	s_addk_i32 s15, 0x170
	scratch_load_dwordx4 v[18:21], off, s15
	ds_read2_b64 v[22:25], v1 offset0:14 offset1:15
	s_addk_i32 s14, 0x80
	s_mov_b64 s[12:13], 0
	s_waitcnt lgkmcnt(0)
	v_mul_f64 v[2:3], v[24:25], v[6:7]
	v_mul_f64 v[26:27], v[22:23], v[6:7]
	v_fma_f64 v[2:3], v[22:23], v[4:5], -v[2:3]
	v_fmac_f64_e32 v[26:27], v[24:25], v[4:5]
	s_waitcnt vmcnt(0)
	v_add_f64 v[18:19], v[18:19], -v[2:3]
	v_add_f64 v[20:21], v[20:21], -v[26:27]
	scratch_store_dwordx4 off, v[18:21], s15
	s_branch .LBB124_396
.LBB124_399:
	s_or_b64 exec, exec, s[0:1]
	s_barrier
	scratch_load_dwordx4 v[0:3], off, s87
	v_lshl_add_u32 v4, v17, 4, v14
	s_cmp_lt_i32 s52, 18
	s_waitcnt vmcnt(0)
	ds_write2_b64 v4, v[0:1], v[2:3] offset1:1
	s_waitcnt lgkmcnt(0)
	s_barrier
	ds_read2_b64 v[0:3], v14 offset0:32 offset1:33
	v_mov_b32_e32 v4, 16
	s_cbranch_scc1 .LBB124_402
; %bb.400:
	v_add_u32_e32 v5, 0x110, v14
	s_mov_b32 s4, 17
	v_mov_b32_e32 v4, 16
.LBB124_401:                            ; =>This Inner Loop Header: Depth=1
	ds_read2_b64 v[18:21], v5 offset1:1
	s_waitcnt lgkmcnt(1)
	v_xor_b32_e32 v7, 0x80000000, v1
	v_xor_b32_e32 v23, 0x80000000, v3
	v_cmp_gt_f64_e32 vcc, 0, v[2:3]
	v_cmp_gt_f64_e64 s[0:1], 0, v[0:1]
	v_mov_b32_e32 v6, v0
	v_mov_b32_e32 v22, v2
	v_cndmask_b32_e64 v7, v1, v7, s[0:1]
	v_cndmask_b32_e32 v23, v3, v23, vcc
	v_add_f64 v[6:7], v[6:7], v[22:23]
	s_waitcnt lgkmcnt(0)
	v_xor_b32_e32 v23, 0x80000000, v19
	v_xor_b32_e32 v25, 0x80000000, v21
	v_cmp_gt_f64_e32 vcc, 0, v[20:21]
	v_cmp_gt_f64_e64 s[0:1], 0, v[18:19]
	v_mov_b32_e32 v22, v18
	v_mov_b32_e32 v24, v20
	v_cndmask_b32_e64 v23, v19, v23, s[0:1]
	v_cndmask_b32_e32 v25, v21, v25, vcc
	v_add_f64 v[22:23], v[22:23], v[24:25]
	v_mov_b32_e32 v26, s4
	s_add_i32 s4, s4, 1
	v_cmp_lt_f64_e32 vcc, v[6:7], v[22:23]
	v_add_u32_e32 v5, 16, v5
	s_cmp_lg_u32 s52, s4
	v_cndmask_b32_e32 v1, v1, v19, vcc
	v_cndmask_b32_e32 v0, v0, v18, vcc
	;; [unrolled: 1-line block ×5, first 2 shown]
	s_cbranch_scc1 .LBB124_401
.LBB124_402:
	s_waitcnt lgkmcnt(0)
	v_cmp_eq_f64_e32 vcc, 0, v[0:1]
	v_cmp_eq_f64_e64 s[0:1], 0, v[2:3]
	s_and_b64 s[0:1], vcc, s[0:1]
	s_and_saveexec_b64 s[4:5], s[0:1]
	s_xor_b64 s[0:1], exec, s[4:5]
; %bb.403:
	v_cmp_ne_u32_e32 vcc, 0, v15
	s_nop 1
	v_cndmask_b32_e32 v15, 17, v15, vcc
; %bb.404:
	s_andn2_saveexec_b64 s[0:1], s[0:1]
	s_cbranch_execz .LBB124_410
; %bb.405:
	v_cmp_ngt_f64_e64 s[4:5], |v[0:1]|, |v[2:3]|
	s_and_saveexec_b64 s[12:13], s[4:5]
	s_xor_b64 s[12:13], exec, s[12:13]
	s_cbranch_execz .LBB124_407
; %bb.406:
	v_div_scale_f64 v[6:7], s[4:5], v[2:3], v[2:3], v[0:1]
	v_rcp_f64_e32 v[18:19], v[6:7]
	v_div_scale_f64 v[20:21], vcc, v[0:1], v[2:3], v[0:1]
	v_fma_f64 v[22:23], -v[6:7], v[18:19], 1.0
	v_fmac_f64_e32 v[18:19], v[18:19], v[22:23]
	v_fma_f64 v[22:23], -v[6:7], v[18:19], 1.0
	v_fmac_f64_e32 v[18:19], v[18:19], v[22:23]
	v_mul_f64 v[22:23], v[20:21], v[18:19]
	v_fma_f64 v[6:7], -v[6:7], v[22:23], v[20:21]
	v_div_fmas_f64 v[6:7], v[6:7], v[18:19], v[22:23]
	v_div_fixup_f64 v[6:7], v[6:7], v[2:3], v[0:1]
	v_fmac_f64_e32 v[2:3], v[0:1], v[6:7]
	v_div_scale_f64 v[0:1], s[4:5], v[2:3], v[2:3], 1.0
	v_rcp_f64_e32 v[18:19], v[0:1]
	s_nop 0
	v_fma_f64 v[20:21], -v[0:1], v[18:19], 1.0
	v_fmac_f64_e32 v[18:19], v[18:19], v[20:21]
	v_fma_f64 v[20:21], -v[0:1], v[18:19], 1.0
	v_fmac_f64_e32 v[18:19], v[18:19], v[20:21]
	v_div_scale_f64 v[20:21], vcc, 1.0, v[2:3], 1.0
	v_mul_f64 v[22:23], v[20:21], v[18:19]
	v_fma_f64 v[0:1], -v[0:1], v[22:23], v[20:21]
	s_nop 1
	v_div_fmas_f64 v[0:1], v[0:1], v[18:19], v[22:23]
	v_div_fixup_f64 v[2:3], v[0:1], v[2:3], 1.0
	v_mul_f64 v[0:1], v[6:7], v[2:3]
	v_xor_b32_e32 v3, 0x80000000, v3
.LBB124_407:
	s_andn2_saveexec_b64 s[12:13], s[12:13]
	s_cbranch_execz .LBB124_409
; %bb.408:
	v_div_scale_f64 v[6:7], s[4:5], v[0:1], v[0:1], v[2:3]
	v_rcp_f64_e32 v[18:19], v[6:7]
	v_div_scale_f64 v[20:21], vcc, v[2:3], v[0:1], v[2:3]
	v_fma_f64 v[22:23], -v[6:7], v[18:19], 1.0
	v_fmac_f64_e32 v[18:19], v[18:19], v[22:23]
	v_fma_f64 v[22:23], -v[6:7], v[18:19], 1.0
	v_fmac_f64_e32 v[18:19], v[18:19], v[22:23]
	v_mul_f64 v[22:23], v[20:21], v[18:19]
	v_fma_f64 v[6:7], -v[6:7], v[22:23], v[20:21]
	v_div_fmas_f64 v[6:7], v[6:7], v[18:19], v[22:23]
	v_div_fixup_f64 v[6:7], v[6:7], v[0:1], v[2:3]
	v_fmac_f64_e32 v[0:1], v[2:3], v[6:7]
	v_div_scale_f64 v[2:3], s[4:5], v[0:1], v[0:1], 1.0
	v_rcp_f64_e32 v[18:19], v[2:3]
	s_nop 0
	v_fma_f64 v[20:21], -v[2:3], v[18:19], 1.0
	v_fmac_f64_e32 v[18:19], v[18:19], v[20:21]
	v_fma_f64 v[20:21], -v[2:3], v[18:19], 1.0
	v_fmac_f64_e32 v[18:19], v[18:19], v[20:21]
	v_div_scale_f64 v[20:21], vcc, 1.0, v[0:1], 1.0
	v_mul_f64 v[22:23], v[20:21], v[18:19]
	v_fma_f64 v[2:3], -v[2:3], v[22:23], v[20:21]
	s_nop 1
	v_div_fmas_f64 v[2:3], v[2:3], v[18:19], v[22:23]
	v_div_fixup_f64 v[0:1], v[2:3], v[0:1], 1.0
	v_mul_f64 v[2:3], v[6:7], -v[0:1]
.LBB124_409:
	s_or_b64 exec, exec, s[12:13]
.LBB124_410:
	s_or_b64 exec, exec, s[0:1]
	v_cmp_ne_u32_e32 vcc, v17, v4
	s_and_saveexec_b64 s[0:1], vcc
	s_xor_b64 s[0:1], exec, s[0:1]
	s_cbranch_execz .LBB124_416
; %bb.411:
	v_cmp_eq_u32_e32 vcc, 16, v17
	s_and_saveexec_b64 s[12:13], vcc
	s_cbranch_execz .LBB124_415
; %bb.412:
	v_cmp_ne_u32_e32 vcc, 16, v4
	s_xor_b64 s[4:5], s[18:19], -1
	s_and_b64 s[4:5], s[4:5], vcc
	s_and_saveexec_b64 s[14:15], s[4:5]
	s_cbranch_execz .LBB124_414
; %bb.413:
	v_ashrrev_i32_e32 v5, 31, v4
	v_lshl_add_u64 v[6:7], v[4:5], 2, v[10:11]
	global_load_dword v5, v[6:7], off
	global_load_dword v16, v[10:11], off offset:64
	s_waitcnt vmcnt(1)
	global_store_dword v[10:11], v5, off offset:64
	s_waitcnt vmcnt(1)
	global_store_dword v[6:7], v16, off
.LBB124_414:
	s_or_b64 exec, exec, s[14:15]
	v_mov_b32_e32 v17, v4
	v_mov_b32_e32 v16, v4
.LBB124_415:
	s_or_b64 exec, exec, s[12:13]
.LBB124_416:
	s_andn2_saveexec_b64 s[0:1], s[0:1]
	s_cbranch_execz .LBB124_420
; %bb.417:
	s_mov_b32 s4, 0
	v_add_u32_e32 v4, 0x110, v14
.LBB124_418:                            ; =>This Inner Loop Header: Depth=1
	s_add_i32 s12, s4, 0x110
	s_add_i32 s5, s4, 0x120
	scratch_load_dwordx4 v[18:21], off, s12
	scratch_load_dwordx4 v[22:25], off, s5
	v_add_u32_e32 v5, s4, v4
	s_add_i32 s4, s4, 32
	s_cmpk_eq_i32 s4, 0x2e0
	s_waitcnt vmcnt(1)
	ds_write2_b64 v5, v[18:19], v[20:21] offset1:1
	s_waitcnt vmcnt(0)
	ds_write2_b64 v5, v[22:23], v[24:25] offset0:2 offset1:3
	s_cbranch_scc0 .LBB124_418
; %bb.419:
	v_mov_b32_e32 v17, 16
.LBB124_420:
	s_or_b64 exec, exec, s[0:1]
	v_cmp_lt_i32_e32 vcc, 16, v17
	s_waitcnt lgkmcnt(0)
	s_barrier
	s_and_saveexec_b64 s[0:1], vcc
	s_cbranch_execz .LBB124_423
; %bb.421:
	scratch_load_dwordx4 v[18:21], off, off offset:256
	s_mov_b32 s4, 0
	s_waitcnt vmcnt(0)
	v_mul_f64 v[4:5], v[2:3], v[20:21]
	v_mul_f64 v[6:7], v[0:1], v[20:21]
	v_fma_f64 v[4:5], v[0:1], v[18:19], -v[4:5]
	v_fmac_f64_e32 v[6:7], v[2:3], v[18:19]
	v_add_u32_e32 v0, 0x110, v14
	scratch_store_dwordx4 off, v[4:7], off offset:256
.LBB124_422:                            ; =>This Inner Loop Header: Depth=1
	s_add_i32 s12, s4, 0x110
	s_add_i32 s5, s4, 0x120
	scratch_load_dwordx4 v[18:21], off, s12
	scratch_load_dwordx4 v[22:25], off, s5
	v_add_u32_e32 v1, s4, v0
	ds_read2_b64 v[26:29], v1 offset1:1
	ds_read2_b64 v[30:33], v1 offset0:2 offset1:3
	s_add_i32 s4, s4, 32
	s_cmpk_lg_i32 s4, 0x2e0
	s_waitcnt lgkmcnt(1)
	v_mul_f64 v[2:3], v[28:29], v[6:7]
	v_mul_f64 v[34:35], v[26:27], v[6:7]
	s_waitcnt lgkmcnt(0)
	v_mul_f64 v[36:37], v[32:33], v[6:7]
	v_mul_f64 v[38:39], v[30:31], v[6:7]
	v_fma_f64 v[2:3], v[26:27], v[4:5], -v[2:3]
	v_fmac_f64_e32 v[34:35], v[28:29], v[4:5]
	v_fma_f64 v[26:27], v[30:31], v[4:5], -v[36:37]
	v_fmac_f64_e32 v[38:39], v[32:33], v[4:5]
	s_waitcnt vmcnt(1)
	v_add_f64 v[18:19], v[18:19], -v[2:3]
	v_add_f64 v[20:21], v[20:21], -v[34:35]
	s_waitcnt vmcnt(0)
	v_add_f64 v[22:23], v[22:23], -v[26:27]
	v_add_f64 v[24:25], v[24:25], -v[38:39]
	scratch_store_dwordx4 off, v[18:21], s12
	scratch_store_dwordx4 off, v[22:25], s5
	s_cbranch_scc1 .LBB124_422
.LBB124_423:
	s_or_b64 exec, exec, s[0:1]
	s_barrier
	scratch_load_dwordx4 v[0:3], off, s86
	v_lshl_add_u32 v4, v17, 4, v14
	s_cmp_lt_i32 s52, 19
	s_waitcnt vmcnt(0)
	ds_write2_b64 v4, v[0:1], v[2:3] offset1:1
	s_waitcnt lgkmcnt(0)
	s_barrier
	ds_read2_b64 v[0:3], v14 offset0:34 offset1:35
	v_mov_b32_e32 v4, 17
	s_cbranch_scc1 .LBB124_426
; %bb.424:
	v_add_u32_e32 v5, 0x120, v14
	s_mov_b32 s4, 18
	v_mov_b32_e32 v4, 17
.LBB124_425:                            ; =>This Inner Loop Header: Depth=1
	ds_read2_b64 v[18:21], v5 offset1:1
	s_waitcnt lgkmcnt(1)
	v_xor_b32_e32 v7, 0x80000000, v1
	v_xor_b32_e32 v23, 0x80000000, v3
	v_cmp_gt_f64_e32 vcc, 0, v[2:3]
	v_cmp_gt_f64_e64 s[0:1], 0, v[0:1]
	v_mov_b32_e32 v6, v0
	v_mov_b32_e32 v22, v2
	v_cndmask_b32_e64 v7, v1, v7, s[0:1]
	v_cndmask_b32_e32 v23, v3, v23, vcc
	v_add_f64 v[6:7], v[6:7], v[22:23]
	s_waitcnt lgkmcnt(0)
	v_xor_b32_e32 v23, 0x80000000, v19
	v_xor_b32_e32 v25, 0x80000000, v21
	v_cmp_gt_f64_e32 vcc, 0, v[20:21]
	v_cmp_gt_f64_e64 s[0:1], 0, v[18:19]
	v_mov_b32_e32 v22, v18
	v_mov_b32_e32 v24, v20
	v_cndmask_b32_e64 v23, v19, v23, s[0:1]
	v_cndmask_b32_e32 v25, v21, v25, vcc
	v_add_f64 v[22:23], v[22:23], v[24:25]
	v_mov_b32_e32 v26, s4
	s_add_i32 s4, s4, 1
	v_cmp_lt_f64_e32 vcc, v[6:7], v[22:23]
	v_add_u32_e32 v5, 16, v5
	s_cmp_lg_u32 s52, s4
	v_cndmask_b32_e32 v1, v1, v19, vcc
	v_cndmask_b32_e32 v0, v0, v18, vcc
	;; [unrolled: 1-line block ×5, first 2 shown]
	s_cbranch_scc1 .LBB124_425
.LBB124_426:
	s_waitcnt lgkmcnt(0)
	v_cmp_eq_f64_e32 vcc, 0, v[0:1]
	v_cmp_eq_f64_e64 s[0:1], 0, v[2:3]
	s_and_b64 s[0:1], vcc, s[0:1]
	s_and_saveexec_b64 s[4:5], s[0:1]
	s_xor_b64 s[0:1], exec, s[4:5]
; %bb.427:
	v_cmp_ne_u32_e32 vcc, 0, v15
	s_nop 1
	v_cndmask_b32_e32 v15, 18, v15, vcc
; %bb.428:
	s_andn2_saveexec_b64 s[0:1], s[0:1]
	s_cbranch_execz .LBB124_434
; %bb.429:
	v_cmp_ngt_f64_e64 s[4:5], |v[0:1]|, |v[2:3]|
	s_and_saveexec_b64 s[12:13], s[4:5]
	s_xor_b64 s[12:13], exec, s[12:13]
	s_cbranch_execz .LBB124_431
; %bb.430:
	v_div_scale_f64 v[6:7], s[4:5], v[2:3], v[2:3], v[0:1]
	v_rcp_f64_e32 v[18:19], v[6:7]
	v_div_scale_f64 v[20:21], vcc, v[0:1], v[2:3], v[0:1]
	v_fma_f64 v[22:23], -v[6:7], v[18:19], 1.0
	v_fmac_f64_e32 v[18:19], v[18:19], v[22:23]
	v_fma_f64 v[22:23], -v[6:7], v[18:19], 1.0
	v_fmac_f64_e32 v[18:19], v[18:19], v[22:23]
	v_mul_f64 v[22:23], v[20:21], v[18:19]
	v_fma_f64 v[6:7], -v[6:7], v[22:23], v[20:21]
	v_div_fmas_f64 v[6:7], v[6:7], v[18:19], v[22:23]
	v_div_fixup_f64 v[6:7], v[6:7], v[2:3], v[0:1]
	v_fmac_f64_e32 v[2:3], v[0:1], v[6:7]
	v_div_scale_f64 v[0:1], s[4:5], v[2:3], v[2:3], 1.0
	v_rcp_f64_e32 v[18:19], v[0:1]
	s_nop 0
	v_fma_f64 v[20:21], -v[0:1], v[18:19], 1.0
	v_fmac_f64_e32 v[18:19], v[18:19], v[20:21]
	v_fma_f64 v[20:21], -v[0:1], v[18:19], 1.0
	v_fmac_f64_e32 v[18:19], v[18:19], v[20:21]
	v_div_scale_f64 v[20:21], vcc, 1.0, v[2:3], 1.0
	v_mul_f64 v[22:23], v[20:21], v[18:19]
	v_fma_f64 v[0:1], -v[0:1], v[22:23], v[20:21]
	s_nop 1
	v_div_fmas_f64 v[0:1], v[0:1], v[18:19], v[22:23]
	v_div_fixup_f64 v[2:3], v[0:1], v[2:3], 1.0
	v_mul_f64 v[0:1], v[6:7], v[2:3]
	v_xor_b32_e32 v3, 0x80000000, v3
.LBB124_431:
	s_andn2_saveexec_b64 s[12:13], s[12:13]
	s_cbranch_execz .LBB124_433
; %bb.432:
	v_div_scale_f64 v[6:7], s[4:5], v[0:1], v[0:1], v[2:3]
	v_rcp_f64_e32 v[18:19], v[6:7]
	v_div_scale_f64 v[20:21], vcc, v[2:3], v[0:1], v[2:3]
	v_fma_f64 v[22:23], -v[6:7], v[18:19], 1.0
	v_fmac_f64_e32 v[18:19], v[18:19], v[22:23]
	v_fma_f64 v[22:23], -v[6:7], v[18:19], 1.0
	v_fmac_f64_e32 v[18:19], v[18:19], v[22:23]
	v_mul_f64 v[22:23], v[20:21], v[18:19]
	v_fma_f64 v[6:7], -v[6:7], v[22:23], v[20:21]
	v_div_fmas_f64 v[6:7], v[6:7], v[18:19], v[22:23]
	v_div_fixup_f64 v[6:7], v[6:7], v[0:1], v[2:3]
	v_fmac_f64_e32 v[0:1], v[2:3], v[6:7]
	v_div_scale_f64 v[2:3], s[4:5], v[0:1], v[0:1], 1.0
	v_rcp_f64_e32 v[18:19], v[2:3]
	s_nop 0
	v_fma_f64 v[20:21], -v[2:3], v[18:19], 1.0
	v_fmac_f64_e32 v[18:19], v[18:19], v[20:21]
	v_fma_f64 v[20:21], -v[2:3], v[18:19], 1.0
	v_fmac_f64_e32 v[18:19], v[18:19], v[20:21]
	v_div_scale_f64 v[20:21], vcc, 1.0, v[0:1], 1.0
	v_mul_f64 v[22:23], v[20:21], v[18:19]
	v_fma_f64 v[2:3], -v[2:3], v[22:23], v[20:21]
	s_nop 1
	v_div_fmas_f64 v[2:3], v[2:3], v[18:19], v[22:23]
	v_div_fixup_f64 v[0:1], v[2:3], v[0:1], 1.0
	v_mul_f64 v[2:3], v[6:7], -v[0:1]
.LBB124_433:
	s_or_b64 exec, exec, s[12:13]
.LBB124_434:
	s_or_b64 exec, exec, s[0:1]
	v_cmp_ne_u32_e32 vcc, v17, v4
	s_and_saveexec_b64 s[0:1], vcc
	s_xor_b64 s[0:1], exec, s[0:1]
	s_cbranch_execz .LBB124_440
; %bb.435:
	v_cmp_eq_u32_e32 vcc, 17, v17
	s_and_saveexec_b64 s[12:13], vcc
	s_cbranch_execz .LBB124_439
; %bb.436:
	v_cmp_ne_u32_e32 vcc, 17, v4
	s_xor_b64 s[4:5], s[18:19], -1
	s_and_b64 s[4:5], s[4:5], vcc
	s_and_saveexec_b64 s[14:15], s[4:5]
	s_cbranch_execz .LBB124_438
; %bb.437:
	v_ashrrev_i32_e32 v5, 31, v4
	v_lshl_add_u64 v[6:7], v[4:5], 2, v[10:11]
	global_load_dword v5, v[6:7], off
	global_load_dword v16, v[10:11], off offset:68
	s_waitcnt vmcnt(1)
	global_store_dword v[10:11], v5, off offset:68
	s_waitcnt vmcnt(1)
	global_store_dword v[6:7], v16, off
.LBB124_438:
	s_or_b64 exec, exec, s[14:15]
	v_mov_b32_e32 v17, v4
	v_mov_b32_e32 v16, v4
.LBB124_439:
	s_or_b64 exec, exec, s[12:13]
.LBB124_440:
	s_andn2_saveexec_b64 s[0:1], s[0:1]
	s_cbranch_execz .LBB124_444
; %bb.441:
	s_mov_b32 s4, 0
	v_add_u32_e32 v4, 0x120, v14
.LBB124_442:                            ; =>This Inner Loop Header: Depth=1
	s_add_i32 s12, s4, 0x120
	s_add_i32 s13, s4, 0x130
	;; [unrolled: 1-line block ×15, first 2 shown]
	scratch_load_dwordx4 v[18:21], off, s12
	scratch_load_dwordx4 v[22:25], off, s13
	scratch_load_dwordx4 v[26:29], off, s14
	scratch_load_dwordx4 v[30:33], off, s15
	scratch_load_dwordx4 v[34:37], off, s16
	scratch_load_dwordx4 v[38:41], off, s67
	scratch_load_dwordx4 v[42:45], off, s68
	scratch_load_dwordx4 v[46:49], off, s69
	scratch_load_dwordx4 v[50:53], off, s70
	scratch_load_dwordx4 v[54:57], off, s71
	scratch_load_dwordx4 v[58:61], off, s72
	scratch_load_dwordx4 v[62:65], off, s73
	scratch_load_dwordx4 v[66:69], off, s74
	scratch_load_dwordx4 v[70:73], off, s75
	scratch_load_dwordx4 v[74:77], off, s5
	v_add_u32_e32 v5, s4, v4
	s_addk_i32 s4, 0xf0
	s_cmpk_eq_i32 s4, 0x2d0
	s_waitcnt vmcnt(14)
	ds_write2_b64 v5, v[18:19], v[20:21] offset1:1
	s_waitcnt vmcnt(13)
	ds_write2_b64 v5, v[22:23], v[24:25] offset0:2 offset1:3
	s_waitcnt vmcnt(12)
	ds_write2_b64 v5, v[26:27], v[28:29] offset0:4 offset1:5
	;; [unrolled: 2-line block ×14, first 2 shown]
	s_cbranch_scc0 .LBB124_442
; %bb.443:
	v_mov_b32_e32 v17, 17
.LBB124_444:
	s_or_b64 exec, exec, s[0:1]
	v_cmp_lt_i32_e32 vcc, 17, v17
	s_waitcnt lgkmcnt(0)
	s_barrier
	s_and_saveexec_b64 s[0:1], vcc
	s_cbranch_execz .LBB124_447
; %bb.445:
	scratch_load_dwordx4 v[18:21], off, off offset:272
	s_mov_b32 s12, 0
	s_waitcnt vmcnt(0)
	v_mul_f64 v[4:5], v[2:3], v[20:21]
	v_mul_f64 v[6:7], v[0:1], v[20:21]
	v_fma_f64 v[4:5], v[0:1], v[18:19], -v[4:5]
	v_fmac_f64_e32 v[6:7], v[2:3], v[18:19]
	v_add_u32_e32 v0, 0x120, v14
	scratch_store_dwordx4 off, v[4:7], off offset:272
.LBB124_446:                            ; =>This Inner Loop Header: Depth=1
	v_add_u32_e32 v1, s12, v0
	ds_read2_b64 v[18:21], v1 offset1:1
	ds_read2_b64 v[22:25], v1 offset0:2 offset1:3
	ds_read2_b64 v[26:29], v1 offset0:4 offset1:5
	;; [unrolled: 1-line block ×5, first 2 shown]
	s_add_i32 s13, s12, 0x120
	s_waitcnt lgkmcnt(5)
	v_mul_f64 v[2:3], v[20:21], v[6:7]
	v_mul_f64 v[74:75], v[18:19], v[6:7]
	s_waitcnt lgkmcnt(4)
	v_mul_f64 v[76:77], v[24:25], v[6:7]
	v_mul_f64 v[78:79], v[22:23], v[6:7]
	;; [unrolled: 3-line block ×6, first 2 shown]
	s_add_i32 s14, s12, 0x130
	s_add_i32 s15, s12, 0x140
	;; [unrolled: 1-line block ×8, first 2 shown]
	scratch_load_dwordx4 v[42:45], off, s13
	scratch_load_dwordx4 v[46:49], off, s14
	;; [unrolled: 1-line block ×8, first 2 shown]
	v_fma_f64 v[2:3], v[18:19], v[4:5], -v[2:3]
	v_fmac_f64_e32 v[74:75], v[20:21], v[4:5]
	v_fma_f64 v[76:77], v[22:23], v[4:5], -v[76:77]
	v_fmac_f64_e32 v[78:79], v[24:25], v[4:5]
	;; [unrolled: 2-line block ×6, first 2 shown]
	scratch_load_dwordx4 v[4:7], off, off offset:272
	scratch_load_dwordx4 v[18:21], off, s4
	ds_read2_b64 v[22:25], v1 offset0:12 offset1:13
	ds_read2_b64 v[26:29], v1 offset0:14 offset1:15
	;; [unrolled: 1-line block ×3, first 2 shown]
	s_addk_i32 s12, 0x90
	s_cmpk_lg_i32 s12, 0x2d0
	s_waitcnt vmcnt(9)
	v_add_f64 v[34:35], v[42:43], -v[2:3]
	v_add_f64 v[36:37], v[44:45], -v[74:75]
	s_waitcnt vmcnt(8)
	v_add_f64 v[38:39], v[46:47], -v[76:77]
	v_add_f64 v[40:41], v[48:49], -v[78:79]
	;; [unrolled: 3-line block ×6, first 2 shown]
	scratch_store_dwordx4 off, v[34:37], s13
	scratch_store_dwordx4 off, v[38:41], s14
	;; [unrolled: 1-line block ×6, first 2 shown]
	s_waitcnt vmcnt(7) lgkmcnt(2)
	v_mul_f64 v[2:3], v[24:25], v[6:7]
	v_mul_f64 v[34:35], v[22:23], v[6:7]
	s_waitcnt lgkmcnt(1)
	v_mul_f64 v[36:37], v[28:29], v[6:7]
	v_mul_f64 v[38:39], v[26:27], v[6:7]
	s_waitcnt lgkmcnt(0)
	v_mul_f64 v[40:41], v[32:33], v[6:7]
	v_mul_f64 v[42:43], v[30:31], v[6:7]
	v_fma_f64 v[2:3], v[22:23], v[4:5], -v[2:3]
	v_fmac_f64_e32 v[34:35], v[24:25], v[4:5]
	v_fma_f64 v[26:27], v[26:27], v[4:5], -v[36:37]
	v_fmac_f64_e32 v[38:39], v[28:29], v[4:5]
	;; [unrolled: 2-line block ×3, first 2 shown]
	v_add_f64 v[22:23], v[66:67], -v[2:3]
	v_add_f64 v[24:25], v[68:69], -v[34:35]
	;; [unrolled: 1-line block ×4, first 2 shown]
	s_waitcnt vmcnt(6)
	v_add_f64 v[18:19], v[18:19], -v[30:31]
	v_add_f64 v[20:21], v[20:21], -v[42:43]
	scratch_store_dwordx4 off, v[22:25], s68
	scratch_store_dwordx4 off, v[26:29], s69
	;; [unrolled: 1-line block ×3, first 2 shown]
	s_cbranch_scc1 .LBB124_446
.LBB124_447:
	s_or_b64 exec, exec, s[0:1]
	s_barrier
	scratch_load_dwordx4 v[0:3], off, s58
	v_lshl_add_u32 v4, v17, 4, v14
	s_cmp_lt_i32 s52, 20
	s_waitcnt vmcnt(0)
	ds_write2_b64 v4, v[0:1], v[2:3] offset1:1
	s_waitcnt lgkmcnt(0)
	s_barrier
	ds_read2_b64 v[0:3], v14 offset0:36 offset1:37
	v_mov_b32_e32 v4, 18
	s_cbranch_scc1 .LBB124_450
; %bb.448:
	v_add_u32_e32 v5, 0x130, v14
	s_mov_b32 s4, 19
	v_mov_b32_e32 v4, 18
.LBB124_449:                            ; =>This Inner Loop Header: Depth=1
	ds_read2_b64 v[18:21], v5 offset1:1
	s_waitcnt lgkmcnt(1)
	v_xor_b32_e32 v7, 0x80000000, v1
	v_xor_b32_e32 v23, 0x80000000, v3
	v_cmp_gt_f64_e32 vcc, 0, v[2:3]
	v_cmp_gt_f64_e64 s[0:1], 0, v[0:1]
	v_mov_b32_e32 v6, v0
	v_mov_b32_e32 v22, v2
	v_cndmask_b32_e64 v7, v1, v7, s[0:1]
	v_cndmask_b32_e32 v23, v3, v23, vcc
	v_add_f64 v[6:7], v[6:7], v[22:23]
	s_waitcnt lgkmcnt(0)
	v_xor_b32_e32 v23, 0x80000000, v19
	v_xor_b32_e32 v25, 0x80000000, v21
	v_cmp_gt_f64_e32 vcc, 0, v[20:21]
	v_cmp_gt_f64_e64 s[0:1], 0, v[18:19]
	v_mov_b32_e32 v22, v18
	v_mov_b32_e32 v24, v20
	v_cndmask_b32_e64 v23, v19, v23, s[0:1]
	v_cndmask_b32_e32 v25, v21, v25, vcc
	v_add_f64 v[22:23], v[22:23], v[24:25]
	v_mov_b32_e32 v26, s4
	s_add_i32 s4, s4, 1
	v_cmp_lt_f64_e32 vcc, v[6:7], v[22:23]
	v_add_u32_e32 v5, 16, v5
	s_cmp_lg_u32 s52, s4
	v_cndmask_b32_e32 v1, v1, v19, vcc
	v_cndmask_b32_e32 v0, v0, v18, vcc
	;; [unrolled: 1-line block ×5, first 2 shown]
	s_cbranch_scc1 .LBB124_449
.LBB124_450:
	s_waitcnt lgkmcnt(0)
	v_cmp_eq_f64_e32 vcc, 0, v[0:1]
	v_cmp_eq_f64_e64 s[0:1], 0, v[2:3]
	s_and_b64 s[0:1], vcc, s[0:1]
	s_and_saveexec_b64 s[4:5], s[0:1]
	s_xor_b64 s[0:1], exec, s[4:5]
; %bb.451:
	v_cmp_ne_u32_e32 vcc, 0, v15
	s_nop 1
	v_cndmask_b32_e32 v15, 19, v15, vcc
; %bb.452:
	s_andn2_saveexec_b64 s[0:1], s[0:1]
	s_cbranch_execz .LBB124_458
; %bb.453:
	v_cmp_ngt_f64_e64 s[4:5], |v[0:1]|, |v[2:3]|
	s_and_saveexec_b64 s[12:13], s[4:5]
	s_xor_b64 s[12:13], exec, s[12:13]
	s_cbranch_execz .LBB124_455
; %bb.454:
	v_div_scale_f64 v[6:7], s[4:5], v[2:3], v[2:3], v[0:1]
	v_rcp_f64_e32 v[18:19], v[6:7]
	v_div_scale_f64 v[20:21], vcc, v[0:1], v[2:3], v[0:1]
	v_fma_f64 v[22:23], -v[6:7], v[18:19], 1.0
	v_fmac_f64_e32 v[18:19], v[18:19], v[22:23]
	v_fma_f64 v[22:23], -v[6:7], v[18:19], 1.0
	v_fmac_f64_e32 v[18:19], v[18:19], v[22:23]
	v_mul_f64 v[22:23], v[20:21], v[18:19]
	v_fma_f64 v[6:7], -v[6:7], v[22:23], v[20:21]
	v_div_fmas_f64 v[6:7], v[6:7], v[18:19], v[22:23]
	v_div_fixup_f64 v[6:7], v[6:7], v[2:3], v[0:1]
	v_fmac_f64_e32 v[2:3], v[0:1], v[6:7]
	v_div_scale_f64 v[0:1], s[4:5], v[2:3], v[2:3], 1.0
	v_rcp_f64_e32 v[18:19], v[0:1]
	s_nop 0
	v_fma_f64 v[20:21], -v[0:1], v[18:19], 1.0
	v_fmac_f64_e32 v[18:19], v[18:19], v[20:21]
	v_fma_f64 v[20:21], -v[0:1], v[18:19], 1.0
	v_fmac_f64_e32 v[18:19], v[18:19], v[20:21]
	v_div_scale_f64 v[20:21], vcc, 1.0, v[2:3], 1.0
	v_mul_f64 v[22:23], v[20:21], v[18:19]
	v_fma_f64 v[0:1], -v[0:1], v[22:23], v[20:21]
	s_nop 1
	v_div_fmas_f64 v[0:1], v[0:1], v[18:19], v[22:23]
	v_div_fixup_f64 v[2:3], v[0:1], v[2:3], 1.0
	v_mul_f64 v[0:1], v[6:7], v[2:3]
	v_xor_b32_e32 v3, 0x80000000, v3
.LBB124_455:
	s_andn2_saveexec_b64 s[12:13], s[12:13]
	s_cbranch_execz .LBB124_457
; %bb.456:
	v_div_scale_f64 v[6:7], s[4:5], v[0:1], v[0:1], v[2:3]
	v_rcp_f64_e32 v[18:19], v[6:7]
	v_div_scale_f64 v[20:21], vcc, v[2:3], v[0:1], v[2:3]
	v_fma_f64 v[22:23], -v[6:7], v[18:19], 1.0
	v_fmac_f64_e32 v[18:19], v[18:19], v[22:23]
	v_fma_f64 v[22:23], -v[6:7], v[18:19], 1.0
	v_fmac_f64_e32 v[18:19], v[18:19], v[22:23]
	v_mul_f64 v[22:23], v[20:21], v[18:19]
	v_fma_f64 v[6:7], -v[6:7], v[22:23], v[20:21]
	v_div_fmas_f64 v[6:7], v[6:7], v[18:19], v[22:23]
	v_div_fixup_f64 v[6:7], v[6:7], v[0:1], v[2:3]
	v_fmac_f64_e32 v[0:1], v[2:3], v[6:7]
	v_div_scale_f64 v[2:3], s[4:5], v[0:1], v[0:1], 1.0
	v_rcp_f64_e32 v[18:19], v[2:3]
	s_nop 0
	v_fma_f64 v[20:21], -v[2:3], v[18:19], 1.0
	v_fmac_f64_e32 v[18:19], v[18:19], v[20:21]
	v_fma_f64 v[20:21], -v[2:3], v[18:19], 1.0
	v_fmac_f64_e32 v[18:19], v[18:19], v[20:21]
	v_div_scale_f64 v[20:21], vcc, 1.0, v[0:1], 1.0
	v_mul_f64 v[22:23], v[20:21], v[18:19]
	v_fma_f64 v[2:3], -v[2:3], v[22:23], v[20:21]
	s_nop 1
	v_div_fmas_f64 v[2:3], v[2:3], v[18:19], v[22:23]
	v_div_fixup_f64 v[0:1], v[2:3], v[0:1], 1.0
	v_mul_f64 v[2:3], v[6:7], -v[0:1]
.LBB124_457:
	s_or_b64 exec, exec, s[12:13]
.LBB124_458:
	s_or_b64 exec, exec, s[0:1]
	v_cmp_ne_u32_e32 vcc, v17, v4
	s_and_saveexec_b64 s[0:1], vcc
	s_xor_b64 s[0:1], exec, s[0:1]
	s_cbranch_execz .LBB124_464
; %bb.459:
	v_cmp_eq_u32_e32 vcc, 18, v17
	s_and_saveexec_b64 s[12:13], vcc
	s_cbranch_execz .LBB124_463
; %bb.460:
	v_cmp_ne_u32_e32 vcc, 18, v4
	s_xor_b64 s[4:5], s[18:19], -1
	s_and_b64 s[4:5], s[4:5], vcc
	s_and_saveexec_b64 s[14:15], s[4:5]
	s_cbranch_execz .LBB124_462
; %bb.461:
	v_ashrrev_i32_e32 v5, 31, v4
	v_lshl_add_u64 v[6:7], v[4:5], 2, v[10:11]
	global_load_dword v5, v[6:7], off
	global_load_dword v16, v[10:11], off offset:72
	s_waitcnt vmcnt(1)
	global_store_dword v[10:11], v5, off offset:72
	s_waitcnt vmcnt(1)
	global_store_dword v[6:7], v16, off
.LBB124_462:
	s_or_b64 exec, exec, s[14:15]
	v_mov_b32_e32 v17, v4
	v_mov_b32_e32 v16, v4
.LBB124_463:
	s_or_b64 exec, exec, s[12:13]
.LBB124_464:
	s_andn2_saveexec_b64 s[0:1], s[0:1]
	s_cbranch_execz .LBB124_468
; %bb.465:
	s_mov_b32 s4, 0
	v_add_u32_e32 v4, 0x130, v14
.LBB124_466:                            ; =>This Inner Loop Header: Depth=1
	s_add_i32 s12, s4, 0x130
	s_add_i32 s13, s4, 0x140
	s_add_i32 s14, s4, 0x150
	s_add_i32 s15, s4, 0x160
	s_add_i32 s16, s4, 0x170
	s_add_i32 s67, s4, 0x180
	s_add_i32 s68, s4, 0x190
	s_add_i32 s69, s4, 0x1a0
	s_add_i32 s70, s4, 0x1b0
	s_add_i32 s71, s4, 0x1c0
	s_add_i32 s5, s4, 0x1d0
	scratch_load_dwordx4 v[18:21], off, s12
	scratch_load_dwordx4 v[22:25], off, s13
	;; [unrolled: 1-line block ×11, first 2 shown]
	v_add_u32_e32 v5, s4, v4
	s_addk_i32 s4, 0xb0
	s_cmpk_eq_i32 s4, 0x2c0
	s_waitcnt vmcnt(10)
	ds_write2_b64 v5, v[18:19], v[20:21] offset1:1
	s_waitcnt vmcnt(9)
	ds_write2_b64 v5, v[22:23], v[24:25] offset0:2 offset1:3
	s_waitcnt vmcnt(8)
	ds_write2_b64 v5, v[26:27], v[28:29] offset0:4 offset1:5
	;; [unrolled: 2-line block ×10, first 2 shown]
	s_cbranch_scc0 .LBB124_466
; %bb.467:
	v_mov_b32_e32 v17, 18
.LBB124_468:
	s_or_b64 exec, exec, s[0:1]
	v_cmp_lt_i32_e32 vcc, 18, v17
	s_waitcnt lgkmcnt(0)
	s_barrier
	s_and_saveexec_b64 s[0:1], vcc
	s_cbranch_execz .LBB124_471
; %bb.469:
	scratch_load_dwordx4 v[18:21], off, off offset:288
	s_mov_b32 s4, 0
	s_waitcnt vmcnt(0)
	v_mul_f64 v[4:5], v[2:3], v[20:21]
	v_mul_f64 v[6:7], v[0:1], v[20:21]
	v_fma_f64 v[4:5], v[0:1], v[18:19], -v[4:5]
	v_fmac_f64_e32 v[6:7], v[2:3], v[18:19]
	v_add_u32_e32 v0, 0x130, v14
	scratch_store_dwordx4 off, v[4:7], off offset:288
.LBB124_470:                            ; =>This Inner Loop Header: Depth=1
	s_add_i32 s12, s4, 0x130
	s_add_i32 s13, s4, 0x140
	;; [unrolled: 1-line block ×4, first 2 shown]
	scratch_load_dwordx4 v[18:21], off, s12
	scratch_load_dwordx4 v[22:25], off, s13
	;; [unrolled: 1-line block ×4, first 2 shown]
	v_add_u32_e32 v1, s4, v0
	ds_read2_b64 v[34:37], v1 offset1:1
	ds_read2_b64 v[38:41], v1 offset0:2 offset1:3
	ds_read2_b64 v[42:45], v1 offset0:4 offset1:5
	;; [unrolled: 1-line block ×3, first 2 shown]
	s_add_i32 s4, s4, 64
	s_waitcnt lgkmcnt(3)
	v_mul_f64 v[2:3], v[36:37], v[6:7]
	v_mul_f64 v[50:51], v[34:35], v[6:7]
	s_waitcnt lgkmcnt(2)
	v_mul_f64 v[52:53], v[40:41], v[6:7]
	v_mul_f64 v[54:55], v[38:39], v[6:7]
	;; [unrolled: 3-line block ×4, first 2 shown]
	v_fma_f64 v[2:3], v[34:35], v[4:5], -v[2:3]
	v_fmac_f64_e32 v[50:51], v[36:37], v[4:5]
	s_cmpk_lg_i32 s4, 0x2c0
	v_fma_f64 v[34:35], v[38:39], v[4:5], -v[52:53]
	v_fmac_f64_e32 v[54:55], v[40:41], v[4:5]
	v_fma_f64 v[36:37], v[42:43], v[4:5], -v[56:57]
	v_fmac_f64_e32 v[58:59], v[44:45], v[4:5]
	;; [unrolled: 2-line block ×3, first 2 shown]
	s_waitcnt vmcnt(3)
	v_add_f64 v[18:19], v[18:19], -v[2:3]
	v_add_f64 v[20:21], v[20:21], -v[50:51]
	s_waitcnt vmcnt(2)
	v_add_f64 v[22:23], v[22:23], -v[34:35]
	v_add_f64 v[24:25], v[24:25], -v[54:55]
	;; [unrolled: 3-line block ×4, first 2 shown]
	scratch_store_dwordx4 off, v[18:21], s12
	scratch_store_dwordx4 off, v[22:25], s13
	;; [unrolled: 1-line block ×4, first 2 shown]
	s_cbranch_scc1 .LBB124_470
.LBB124_471:
	s_or_b64 exec, exec, s[0:1]
	s_barrier
	scratch_load_dwordx4 v[0:3], off, s56
	v_lshl_add_u32 v4, v17, 4, v14
	s_cmp_lt_i32 s52, 21
	s_waitcnt vmcnt(0)
	ds_write2_b64 v4, v[0:1], v[2:3] offset1:1
	s_waitcnt lgkmcnt(0)
	s_barrier
	ds_read2_b64 v[0:3], v14 offset0:38 offset1:39
	v_mov_b32_e32 v4, 19
	s_cbranch_scc1 .LBB124_474
; %bb.472:
	v_add_u32_e32 v5, 0x140, v14
	s_mov_b32 s4, 20
	v_mov_b32_e32 v4, 19
.LBB124_473:                            ; =>This Inner Loop Header: Depth=1
	ds_read2_b64 v[18:21], v5 offset1:1
	s_waitcnt lgkmcnt(1)
	v_xor_b32_e32 v7, 0x80000000, v1
	v_xor_b32_e32 v23, 0x80000000, v3
	v_cmp_gt_f64_e32 vcc, 0, v[2:3]
	v_cmp_gt_f64_e64 s[0:1], 0, v[0:1]
	v_mov_b32_e32 v6, v0
	v_mov_b32_e32 v22, v2
	v_cndmask_b32_e64 v7, v1, v7, s[0:1]
	v_cndmask_b32_e32 v23, v3, v23, vcc
	v_add_f64 v[6:7], v[6:7], v[22:23]
	s_waitcnt lgkmcnt(0)
	v_xor_b32_e32 v23, 0x80000000, v19
	v_xor_b32_e32 v25, 0x80000000, v21
	v_cmp_gt_f64_e32 vcc, 0, v[20:21]
	v_cmp_gt_f64_e64 s[0:1], 0, v[18:19]
	v_mov_b32_e32 v22, v18
	v_mov_b32_e32 v24, v20
	v_cndmask_b32_e64 v23, v19, v23, s[0:1]
	v_cndmask_b32_e32 v25, v21, v25, vcc
	v_add_f64 v[22:23], v[22:23], v[24:25]
	v_mov_b32_e32 v26, s4
	s_add_i32 s4, s4, 1
	v_cmp_lt_f64_e32 vcc, v[6:7], v[22:23]
	v_add_u32_e32 v5, 16, v5
	s_cmp_lg_u32 s52, s4
	v_cndmask_b32_e32 v1, v1, v19, vcc
	v_cndmask_b32_e32 v0, v0, v18, vcc
	;; [unrolled: 1-line block ×5, first 2 shown]
	s_cbranch_scc1 .LBB124_473
.LBB124_474:
	s_waitcnt lgkmcnt(0)
	v_cmp_eq_f64_e32 vcc, 0, v[0:1]
	v_cmp_eq_f64_e64 s[0:1], 0, v[2:3]
	s_and_b64 s[0:1], vcc, s[0:1]
	s_and_saveexec_b64 s[4:5], s[0:1]
	s_xor_b64 s[0:1], exec, s[4:5]
; %bb.475:
	v_cmp_ne_u32_e32 vcc, 0, v15
	s_nop 1
	v_cndmask_b32_e32 v15, 20, v15, vcc
; %bb.476:
	s_andn2_saveexec_b64 s[0:1], s[0:1]
	s_cbranch_execz .LBB124_482
; %bb.477:
	v_cmp_ngt_f64_e64 s[4:5], |v[0:1]|, |v[2:3]|
	s_and_saveexec_b64 s[12:13], s[4:5]
	s_xor_b64 s[12:13], exec, s[12:13]
	s_cbranch_execz .LBB124_479
; %bb.478:
	v_div_scale_f64 v[6:7], s[4:5], v[2:3], v[2:3], v[0:1]
	v_rcp_f64_e32 v[18:19], v[6:7]
	v_div_scale_f64 v[20:21], vcc, v[0:1], v[2:3], v[0:1]
	v_fma_f64 v[22:23], -v[6:7], v[18:19], 1.0
	v_fmac_f64_e32 v[18:19], v[18:19], v[22:23]
	v_fma_f64 v[22:23], -v[6:7], v[18:19], 1.0
	v_fmac_f64_e32 v[18:19], v[18:19], v[22:23]
	v_mul_f64 v[22:23], v[20:21], v[18:19]
	v_fma_f64 v[6:7], -v[6:7], v[22:23], v[20:21]
	v_div_fmas_f64 v[6:7], v[6:7], v[18:19], v[22:23]
	v_div_fixup_f64 v[6:7], v[6:7], v[2:3], v[0:1]
	v_fmac_f64_e32 v[2:3], v[0:1], v[6:7]
	v_div_scale_f64 v[0:1], s[4:5], v[2:3], v[2:3], 1.0
	v_rcp_f64_e32 v[18:19], v[0:1]
	s_nop 0
	v_fma_f64 v[20:21], -v[0:1], v[18:19], 1.0
	v_fmac_f64_e32 v[18:19], v[18:19], v[20:21]
	v_fma_f64 v[20:21], -v[0:1], v[18:19], 1.0
	v_fmac_f64_e32 v[18:19], v[18:19], v[20:21]
	v_div_scale_f64 v[20:21], vcc, 1.0, v[2:3], 1.0
	v_mul_f64 v[22:23], v[20:21], v[18:19]
	v_fma_f64 v[0:1], -v[0:1], v[22:23], v[20:21]
	s_nop 1
	v_div_fmas_f64 v[0:1], v[0:1], v[18:19], v[22:23]
	v_div_fixup_f64 v[2:3], v[0:1], v[2:3], 1.0
	v_mul_f64 v[0:1], v[6:7], v[2:3]
	v_xor_b32_e32 v3, 0x80000000, v3
.LBB124_479:
	s_andn2_saveexec_b64 s[12:13], s[12:13]
	s_cbranch_execz .LBB124_481
; %bb.480:
	v_div_scale_f64 v[6:7], s[4:5], v[0:1], v[0:1], v[2:3]
	v_rcp_f64_e32 v[18:19], v[6:7]
	v_div_scale_f64 v[20:21], vcc, v[2:3], v[0:1], v[2:3]
	v_fma_f64 v[22:23], -v[6:7], v[18:19], 1.0
	v_fmac_f64_e32 v[18:19], v[18:19], v[22:23]
	v_fma_f64 v[22:23], -v[6:7], v[18:19], 1.0
	v_fmac_f64_e32 v[18:19], v[18:19], v[22:23]
	v_mul_f64 v[22:23], v[20:21], v[18:19]
	v_fma_f64 v[6:7], -v[6:7], v[22:23], v[20:21]
	v_div_fmas_f64 v[6:7], v[6:7], v[18:19], v[22:23]
	v_div_fixup_f64 v[6:7], v[6:7], v[0:1], v[2:3]
	v_fmac_f64_e32 v[0:1], v[2:3], v[6:7]
	v_div_scale_f64 v[2:3], s[4:5], v[0:1], v[0:1], 1.0
	v_rcp_f64_e32 v[18:19], v[2:3]
	s_nop 0
	v_fma_f64 v[20:21], -v[2:3], v[18:19], 1.0
	v_fmac_f64_e32 v[18:19], v[18:19], v[20:21]
	v_fma_f64 v[20:21], -v[2:3], v[18:19], 1.0
	v_fmac_f64_e32 v[18:19], v[18:19], v[20:21]
	v_div_scale_f64 v[20:21], vcc, 1.0, v[0:1], 1.0
	v_mul_f64 v[22:23], v[20:21], v[18:19]
	v_fma_f64 v[2:3], -v[2:3], v[22:23], v[20:21]
	s_nop 1
	v_div_fmas_f64 v[2:3], v[2:3], v[18:19], v[22:23]
	v_div_fixup_f64 v[0:1], v[2:3], v[0:1], 1.0
	v_mul_f64 v[2:3], v[6:7], -v[0:1]
.LBB124_481:
	s_or_b64 exec, exec, s[12:13]
.LBB124_482:
	s_or_b64 exec, exec, s[0:1]
	v_cmp_ne_u32_e32 vcc, v17, v4
	s_and_saveexec_b64 s[0:1], vcc
	s_xor_b64 s[0:1], exec, s[0:1]
	s_cbranch_execz .LBB124_488
; %bb.483:
	v_cmp_eq_u32_e32 vcc, 19, v17
	s_and_saveexec_b64 s[12:13], vcc
	s_cbranch_execz .LBB124_487
; %bb.484:
	v_cmp_ne_u32_e32 vcc, 19, v4
	s_xor_b64 s[4:5], s[18:19], -1
	s_and_b64 s[4:5], s[4:5], vcc
	s_and_saveexec_b64 s[14:15], s[4:5]
	s_cbranch_execz .LBB124_486
; %bb.485:
	v_ashrrev_i32_e32 v5, 31, v4
	v_lshl_add_u64 v[6:7], v[4:5], 2, v[10:11]
	global_load_dword v5, v[6:7], off
	global_load_dword v16, v[10:11], off offset:76
	s_waitcnt vmcnt(1)
	global_store_dword v[10:11], v5, off offset:76
	s_waitcnt vmcnt(1)
	global_store_dword v[6:7], v16, off
.LBB124_486:
	s_or_b64 exec, exec, s[14:15]
	v_mov_b32_e32 v17, v4
	v_mov_b32_e32 v16, v4
.LBB124_487:
	s_or_b64 exec, exec, s[12:13]
.LBB124_488:
	s_andn2_saveexec_b64 s[0:1], s[0:1]
	s_cbranch_execz .LBB124_494
; %bb.489:
	s_mov_b32 s4, 0
	v_add_u32_e32 v4, 0x140, v14
	s_branch .LBB124_491
.LBB124_490:                            ;   in Loop: Header=BB124_491 Depth=1
	s_andn2_b64 vcc, exec, s[12:13]
	s_cbranch_vccz .LBB124_493
.LBB124_491:                            ; =>This Inner Loop Header: Depth=1
	s_add_i32 s12, s4, 0x140
	s_add_i32 s13, s4, 0x150
	scratch_load_dwordx4 v[18:21], off, s12
	scratch_load_dwordx4 v[22:25], off, s13
	s_add_i32 s12, s4, 0x160
	scratch_load_dwordx4 v[26:29], off, s12
	s_mov_b32 s5, s4
	v_add_u32_e32 v5, s4, v4
	s_cmpk_eq_i32 s4, 0x280
	s_mov_b64 s[12:13], -1
	s_waitcnt vmcnt(2)
	ds_write2_b64 v5, v[18:19], v[20:21] offset1:1
	s_waitcnt vmcnt(1)
	ds_write2_b64 v5, v[22:23], v[24:25] offset0:2 offset1:3
	s_waitcnt vmcnt(0)
	ds_write2_b64 v5, v[26:27], v[28:29] offset0:4 offset1:5
	s_cbranch_scc1 .LBB124_490
; %bb.492:                              ;   in Loop: Header=BB124_491 Depth=1
	s_add_i32 s12, s5, 0x170
	s_add_i32 s13, s5, 0x180
	scratch_load_dwordx4 v[18:21], off, s12
	scratch_load_dwordx4 v[22:25], off, s13
	s_add_i32 s12, s5, 0x190
	s_add_i32 s13, s5, 0x1a0
	scratch_load_dwordx4 v[26:29], off, s12
	scratch_load_dwordx4 v[30:33], off, s13
	s_addk_i32 s5, 0x1b0
	scratch_load_dwordx4 v[34:37], off, s5
	s_addk_i32 s4, 0x80
	s_mov_b64 s[12:13], 0
	s_waitcnt vmcnt(4)
	ds_write2_b64 v5, v[18:19], v[20:21] offset0:6 offset1:7
	s_waitcnt vmcnt(3)
	ds_write2_b64 v5, v[22:23], v[24:25] offset0:8 offset1:9
	;; [unrolled: 2-line block ×5, first 2 shown]
	s_branch .LBB124_490
.LBB124_493:
	v_mov_b32_e32 v17, 19
.LBB124_494:
	s_or_b64 exec, exec, s[0:1]
	v_cmp_lt_i32_e32 vcc, 19, v17
	s_waitcnt lgkmcnt(0)
	s_barrier
	s_and_saveexec_b64 s[0:1], vcc
	s_cbranch_execz .LBB124_499
; %bb.495:
	scratch_load_dwordx4 v[18:21], off, off offset:304
	s_mov_b32 s14, 0
	s_waitcnt vmcnt(0)
	v_mul_f64 v[4:5], v[2:3], v[20:21]
	v_mul_f64 v[6:7], v[0:1], v[20:21]
	v_fma_f64 v[4:5], v[0:1], v[18:19], -v[4:5]
	v_fmac_f64_e32 v[6:7], v[2:3], v[18:19]
	v_add_u32_e32 v0, 0x140, v14
	scratch_store_dwordx4 off, v[4:7], off offset:304
	s_branch .LBB124_497
.LBB124_496:                            ;   in Loop: Header=BB124_497 Depth=1
	s_andn2_b64 vcc, exec, s[12:13]
	s_cbranch_vccz .LBB124_499
.LBB124_497:                            ; =>This Inner Loop Header: Depth=1
	s_add_i32 s4, s14, 0x140
	scratch_load_dwordx4 v[18:21], off, s4
	s_add_i32 s5, s14, 0x150
	s_add_i32 s12, s14, 0x160
	scratch_load_dwordx4 v[22:25], off, s5
	scratch_load_dwordx4 v[26:29], off, s12
	v_add_u32_e32 v1, s14, v0
	ds_read2_b64 v[30:33], v1 offset1:1
	ds_read2_b64 v[34:37], v1 offset0:2 offset1:3
	ds_read2_b64 v[38:41], v1 offset0:4 offset1:5
	s_mov_b32 s15, s14
	s_cmpk_eq_i32 s14, 0x280
	s_waitcnt lgkmcnt(2)
	v_mul_f64 v[2:3], v[32:33], v[6:7]
	v_mul_f64 v[42:43], v[30:31], v[6:7]
	s_waitcnt lgkmcnt(1)
	v_mul_f64 v[44:45], v[36:37], v[6:7]
	v_mul_f64 v[46:47], v[34:35], v[6:7]
	;; [unrolled: 3-line block ×3, first 2 shown]
	v_fma_f64 v[2:3], v[30:31], v[4:5], -v[2:3]
	v_fmac_f64_e32 v[42:43], v[32:33], v[4:5]
	v_fma_f64 v[30:31], v[34:35], v[4:5], -v[44:45]
	v_fmac_f64_e32 v[46:47], v[36:37], v[4:5]
	;; [unrolled: 2-line block ×3, first 2 shown]
	s_waitcnt vmcnt(2)
	v_add_f64 v[18:19], v[18:19], -v[2:3]
	v_add_f64 v[20:21], v[20:21], -v[42:43]
	s_waitcnt vmcnt(1)
	v_add_f64 v[22:23], v[22:23], -v[30:31]
	v_add_f64 v[24:25], v[24:25], -v[46:47]
	;; [unrolled: 3-line block ×3, first 2 shown]
	scratch_store_dwordx4 off, v[18:21], s4
	scratch_store_dwordx4 off, v[22:25], s5
	;; [unrolled: 1-line block ×3, first 2 shown]
	s_mov_b64 s[12:13], -1
	s_cbranch_scc1 .LBB124_496
; %bb.498:                              ;   in Loop: Header=BB124_497 Depth=1
	s_add_i32 s4, s15, 0x170
	scratch_load_dwordx4 v[18:21], off, s4
	s_add_i32 s5, s15, 0x180
	s_add_i32 s12, s15, 0x190
	;; [unrolled: 1-line block ×3, first 2 shown]
	s_addk_i32 s15, 0x1b0
	scratch_load_dwordx4 v[22:25], off, s5
	scratch_load_dwordx4 v[26:29], off, s12
	;; [unrolled: 1-line block ×4, first 2 shown]
	ds_read2_b64 v[38:41], v1 offset0:6 offset1:7
	ds_read2_b64 v[42:45], v1 offset0:8 offset1:9
	;; [unrolled: 1-line block ×5, first 2 shown]
	s_waitcnt lgkmcnt(4)
	v_mul_f64 v[2:3], v[40:41], v[6:7]
	v_mul_f64 v[58:59], v[38:39], v[6:7]
	s_waitcnt lgkmcnt(3)
	v_mul_f64 v[60:61], v[44:45], v[6:7]
	v_mul_f64 v[62:63], v[42:43], v[6:7]
	;; [unrolled: 3-line block ×5, first 2 shown]
	v_fma_f64 v[2:3], v[38:39], v[4:5], -v[2:3]
	v_fmac_f64_e32 v[58:59], v[40:41], v[4:5]
	v_fma_f64 v[38:39], v[42:43], v[4:5], -v[60:61]
	v_fmac_f64_e32 v[62:63], v[44:45], v[4:5]
	v_fma_f64 v[40:41], v[46:47], v[4:5], -v[64:65]
	v_fmac_f64_e32 v[66:67], v[48:49], v[4:5]
	v_fma_f64 v[42:43], v[50:51], v[4:5], -v[68:69]
	v_fmac_f64_e32 v[70:71], v[52:53], v[4:5]
	v_fma_f64 v[44:45], v[54:55], v[4:5], -v[72:73]
	v_fmac_f64_e32 v[74:75], v[56:57], v[4:5]
	s_addk_i32 s14, 0x80
	s_waitcnt vmcnt(4)
	v_add_f64 v[18:19], v[18:19], -v[2:3]
	v_add_f64 v[20:21], v[20:21], -v[58:59]
	s_waitcnt vmcnt(3)
	v_add_f64 v[22:23], v[22:23], -v[38:39]
	v_add_f64 v[24:25], v[24:25], -v[62:63]
	;; [unrolled: 3-line block ×5, first 2 shown]
	scratch_store_dwordx4 off, v[18:21], s4
	scratch_store_dwordx4 off, v[22:25], s5
	;; [unrolled: 1-line block ×5, first 2 shown]
	s_mov_b64 s[12:13], 0
	s_branch .LBB124_496
.LBB124_499:
	s_or_b64 exec, exec, s[0:1]
	s_barrier
	scratch_load_dwordx4 v[0:3], off, s62
	v_lshl_add_u32 v4, v17, 4, v14
	s_cmp_lt_i32 s52, 22
	s_waitcnt vmcnt(0)
	ds_write2_b64 v4, v[0:1], v[2:3] offset1:1
	s_waitcnt lgkmcnt(0)
	s_barrier
	ds_read2_b64 v[0:3], v14 offset0:40 offset1:41
	v_mov_b32_e32 v4, 20
	s_cbranch_scc1 .LBB124_502
; %bb.500:
	v_add_u32_e32 v5, 0x150, v14
	s_mov_b32 s4, 21
	v_mov_b32_e32 v4, 20
.LBB124_501:                            ; =>This Inner Loop Header: Depth=1
	ds_read2_b64 v[18:21], v5 offset1:1
	s_waitcnt lgkmcnt(1)
	v_xor_b32_e32 v7, 0x80000000, v1
	v_xor_b32_e32 v23, 0x80000000, v3
	v_cmp_gt_f64_e32 vcc, 0, v[2:3]
	v_cmp_gt_f64_e64 s[0:1], 0, v[0:1]
	v_mov_b32_e32 v6, v0
	v_mov_b32_e32 v22, v2
	v_cndmask_b32_e64 v7, v1, v7, s[0:1]
	v_cndmask_b32_e32 v23, v3, v23, vcc
	v_add_f64 v[6:7], v[6:7], v[22:23]
	s_waitcnt lgkmcnt(0)
	v_xor_b32_e32 v23, 0x80000000, v19
	v_xor_b32_e32 v25, 0x80000000, v21
	v_cmp_gt_f64_e32 vcc, 0, v[20:21]
	v_cmp_gt_f64_e64 s[0:1], 0, v[18:19]
	v_mov_b32_e32 v22, v18
	v_mov_b32_e32 v24, v20
	v_cndmask_b32_e64 v23, v19, v23, s[0:1]
	v_cndmask_b32_e32 v25, v21, v25, vcc
	v_add_f64 v[22:23], v[22:23], v[24:25]
	v_mov_b32_e32 v26, s4
	s_add_i32 s4, s4, 1
	v_cmp_lt_f64_e32 vcc, v[6:7], v[22:23]
	v_add_u32_e32 v5, 16, v5
	s_cmp_lg_u32 s52, s4
	v_cndmask_b32_e32 v1, v1, v19, vcc
	v_cndmask_b32_e32 v0, v0, v18, vcc
	;; [unrolled: 1-line block ×5, first 2 shown]
	s_cbranch_scc1 .LBB124_501
.LBB124_502:
	s_waitcnt lgkmcnt(0)
	v_cmp_eq_f64_e32 vcc, 0, v[0:1]
	v_cmp_eq_f64_e64 s[0:1], 0, v[2:3]
	s_and_b64 s[0:1], vcc, s[0:1]
	s_and_saveexec_b64 s[4:5], s[0:1]
	s_xor_b64 s[0:1], exec, s[4:5]
; %bb.503:
	v_cmp_ne_u32_e32 vcc, 0, v15
	s_nop 1
	v_cndmask_b32_e32 v15, 21, v15, vcc
; %bb.504:
	s_andn2_saveexec_b64 s[0:1], s[0:1]
	s_cbranch_execz .LBB124_510
; %bb.505:
	v_cmp_ngt_f64_e64 s[4:5], |v[0:1]|, |v[2:3]|
	s_and_saveexec_b64 s[12:13], s[4:5]
	s_xor_b64 s[12:13], exec, s[12:13]
	s_cbranch_execz .LBB124_507
; %bb.506:
	v_div_scale_f64 v[6:7], s[4:5], v[2:3], v[2:3], v[0:1]
	v_rcp_f64_e32 v[18:19], v[6:7]
	v_div_scale_f64 v[20:21], vcc, v[0:1], v[2:3], v[0:1]
	v_fma_f64 v[22:23], -v[6:7], v[18:19], 1.0
	v_fmac_f64_e32 v[18:19], v[18:19], v[22:23]
	v_fma_f64 v[22:23], -v[6:7], v[18:19], 1.0
	v_fmac_f64_e32 v[18:19], v[18:19], v[22:23]
	v_mul_f64 v[22:23], v[20:21], v[18:19]
	v_fma_f64 v[6:7], -v[6:7], v[22:23], v[20:21]
	v_div_fmas_f64 v[6:7], v[6:7], v[18:19], v[22:23]
	v_div_fixup_f64 v[6:7], v[6:7], v[2:3], v[0:1]
	v_fmac_f64_e32 v[2:3], v[0:1], v[6:7]
	v_div_scale_f64 v[0:1], s[4:5], v[2:3], v[2:3], 1.0
	v_rcp_f64_e32 v[18:19], v[0:1]
	s_nop 0
	v_fma_f64 v[20:21], -v[0:1], v[18:19], 1.0
	v_fmac_f64_e32 v[18:19], v[18:19], v[20:21]
	v_fma_f64 v[20:21], -v[0:1], v[18:19], 1.0
	v_fmac_f64_e32 v[18:19], v[18:19], v[20:21]
	v_div_scale_f64 v[20:21], vcc, 1.0, v[2:3], 1.0
	v_mul_f64 v[22:23], v[20:21], v[18:19]
	v_fma_f64 v[0:1], -v[0:1], v[22:23], v[20:21]
	s_nop 1
	v_div_fmas_f64 v[0:1], v[0:1], v[18:19], v[22:23]
	v_div_fixup_f64 v[2:3], v[0:1], v[2:3], 1.0
	v_mul_f64 v[0:1], v[6:7], v[2:3]
	v_xor_b32_e32 v3, 0x80000000, v3
.LBB124_507:
	s_andn2_saveexec_b64 s[12:13], s[12:13]
	s_cbranch_execz .LBB124_509
; %bb.508:
	v_div_scale_f64 v[6:7], s[4:5], v[0:1], v[0:1], v[2:3]
	v_rcp_f64_e32 v[18:19], v[6:7]
	v_div_scale_f64 v[20:21], vcc, v[2:3], v[0:1], v[2:3]
	v_fma_f64 v[22:23], -v[6:7], v[18:19], 1.0
	v_fmac_f64_e32 v[18:19], v[18:19], v[22:23]
	v_fma_f64 v[22:23], -v[6:7], v[18:19], 1.0
	v_fmac_f64_e32 v[18:19], v[18:19], v[22:23]
	v_mul_f64 v[22:23], v[20:21], v[18:19]
	v_fma_f64 v[6:7], -v[6:7], v[22:23], v[20:21]
	v_div_fmas_f64 v[6:7], v[6:7], v[18:19], v[22:23]
	v_div_fixup_f64 v[6:7], v[6:7], v[0:1], v[2:3]
	v_fmac_f64_e32 v[0:1], v[2:3], v[6:7]
	v_div_scale_f64 v[2:3], s[4:5], v[0:1], v[0:1], 1.0
	v_rcp_f64_e32 v[18:19], v[2:3]
	s_nop 0
	v_fma_f64 v[20:21], -v[2:3], v[18:19], 1.0
	v_fmac_f64_e32 v[18:19], v[18:19], v[20:21]
	v_fma_f64 v[20:21], -v[2:3], v[18:19], 1.0
	v_fmac_f64_e32 v[18:19], v[18:19], v[20:21]
	v_div_scale_f64 v[20:21], vcc, 1.0, v[0:1], 1.0
	v_mul_f64 v[22:23], v[20:21], v[18:19]
	v_fma_f64 v[2:3], -v[2:3], v[22:23], v[20:21]
	s_nop 1
	v_div_fmas_f64 v[2:3], v[2:3], v[18:19], v[22:23]
	v_div_fixup_f64 v[0:1], v[2:3], v[0:1], 1.0
	v_mul_f64 v[2:3], v[6:7], -v[0:1]
.LBB124_509:
	s_or_b64 exec, exec, s[12:13]
.LBB124_510:
	s_or_b64 exec, exec, s[0:1]
	v_cmp_ne_u32_e32 vcc, v17, v4
	s_and_saveexec_b64 s[0:1], vcc
	s_xor_b64 s[0:1], exec, s[0:1]
	s_cbranch_execz .LBB124_516
; %bb.511:
	v_cmp_eq_u32_e32 vcc, 20, v17
	s_and_saveexec_b64 s[12:13], vcc
	s_cbranch_execz .LBB124_515
; %bb.512:
	v_cmp_ne_u32_e32 vcc, 20, v4
	s_xor_b64 s[4:5], s[18:19], -1
	s_and_b64 s[4:5], s[4:5], vcc
	s_and_saveexec_b64 s[14:15], s[4:5]
	s_cbranch_execz .LBB124_514
; %bb.513:
	v_ashrrev_i32_e32 v5, 31, v4
	v_lshl_add_u64 v[6:7], v[4:5], 2, v[10:11]
	global_load_dword v5, v[6:7], off
	global_load_dword v16, v[10:11], off offset:80
	s_waitcnt vmcnt(1)
	global_store_dword v[10:11], v5, off offset:80
	s_waitcnt vmcnt(1)
	global_store_dword v[6:7], v16, off
.LBB124_514:
	s_or_b64 exec, exec, s[14:15]
	v_mov_b32_e32 v17, v4
	v_mov_b32_e32 v16, v4
.LBB124_515:
	s_or_b64 exec, exec, s[12:13]
.LBB124_516:
	s_andn2_saveexec_b64 s[0:1], s[0:1]
	s_cbranch_execz .LBB124_520
; %bb.517:
	s_mov_b32 s4, 0
	v_add_u32_e32 v4, 0x150, v14
.LBB124_518:                            ; =>This Inner Loop Header: Depth=1
	s_add_i32 s12, s4, 0x150
	s_add_i32 s13, s4, 0x160
	;; [unrolled: 1-line block ×14, first 2 shown]
	scratch_load_dwordx4 v[18:21], off, s12
	scratch_load_dwordx4 v[22:25], off, s13
	;; [unrolled: 1-line block ×14, first 2 shown]
	v_add_u32_e32 v5, s4, v4
	s_addk_i32 s4, 0xe0
	s_cmpk_eq_i32 s4, 0x2a0
	s_waitcnt vmcnt(13)
	ds_write2_b64 v5, v[18:19], v[20:21] offset1:1
	s_waitcnt vmcnt(12)
	ds_write2_b64 v5, v[22:23], v[24:25] offset0:2 offset1:3
	s_waitcnt vmcnt(11)
	ds_write2_b64 v5, v[26:27], v[28:29] offset0:4 offset1:5
	;; [unrolled: 2-line block ×13, first 2 shown]
	s_cbranch_scc0 .LBB124_518
; %bb.519:
	v_mov_b32_e32 v17, 20
.LBB124_520:
	s_or_b64 exec, exec, s[0:1]
	v_cmp_lt_i32_e32 vcc, 20, v17
	s_waitcnt lgkmcnt(0)
	s_barrier
	s_and_saveexec_b64 s[0:1], vcc
	s_cbranch_execz .LBB124_523
; %bb.521:
	scratch_load_dwordx4 v[18:21], off, off offset:320
	s_mov_b32 s12, 0
	s_waitcnt vmcnt(0)
	v_mul_f64 v[4:5], v[2:3], v[20:21]
	v_mul_f64 v[6:7], v[0:1], v[20:21]
	v_fma_f64 v[4:5], v[0:1], v[18:19], -v[4:5]
	v_fmac_f64_e32 v[6:7], v[2:3], v[18:19]
	v_add_u32_e32 v0, 0x150, v14
	scratch_store_dwordx4 off, v[4:7], off offset:320
.LBB124_522:                            ; =>This Inner Loop Header: Depth=1
	v_add_u32_e32 v1, s12, v0
	ds_read2_b64 v[18:21], v1 offset1:1
	ds_read2_b64 v[22:25], v1 offset0:2 offset1:3
	ds_read2_b64 v[26:29], v1 offset0:4 offset1:5
	;; [unrolled: 1-line block ×5, first 2 shown]
	s_add_i32 s13, s12, 0x150
	s_add_i32 s5, s12, 0x160
	s_add_i32 s14, s12, 0x170
	s_add_i32 s15, s12, 0x180
	s_add_i32 s16, s12, 0x190
	s_add_i32 s67, s12, 0x1a0
	scratch_load_dwordx4 v[42:45], off, s13
	scratch_load_dwordx4 v[46:49], off, s5
	;; [unrolled: 1-line block ×6, first 2 shown]
	s_waitcnt lgkmcnt(5)
	v_mul_f64 v[2:3], v[20:21], v[6:7]
	v_mul_f64 v[66:67], v[18:19], v[6:7]
	s_waitcnt lgkmcnt(4)
	v_mul_f64 v[68:69], v[24:25], v[6:7]
	v_mul_f64 v[70:71], v[22:23], v[6:7]
	;; [unrolled: 3-line block ×6, first 2 shown]
	s_add_i32 s4, s12, 0x1b0
	v_fma_f64 v[2:3], v[18:19], v[4:5], -v[2:3]
	v_fmac_f64_e32 v[66:67], v[20:21], v[4:5]
	v_fma_f64 v[68:69], v[22:23], v[4:5], -v[68:69]
	v_fmac_f64_e32 v[70:71], v[24:25], v[4:5]
	;; [unrolled: 2-line block ×6, first 2 shown]
	scratch_load_dwordx4 v[4:7], off, off offset:320
	scratch_load_dwordx4 v[18:21], off, s4
	ds_read2_b64 v[22:25], v1 offset0:12 offset1:13
	s_addk_i32 s12, 0x70
	s_cmpk_lg_i32 s12, 0x2a0
	s_waitcnt vmcnt(7)
	v_add_f64 v[26:27], v[42:43], -v[2:3]
	v_add_f64 v[28:29], v[44:45], -v[66:67]
	s_waitcnt vmcnt(6)
	v_add_f64 v[30:31], v[46:47], -v[68:69]
	v_add_f64 v[32:33], v[48:49], -v[70:71]
	;; [unrolled: 3-line block ×6, first 2 shown]
	scratch_store_dwordx4 off, v[26:29], s13
	scratch_store_dwordx4 off, v[30:33], s5
	;; [unrolled: 1-line block ×6, first 2 shown]
	s_waitcnt vmcnt(7) lgkmcnt(0)
	v_mul_f64 v[2:3], v[24:25], v[6:7]
	v_mul_f64 v[26:27], v[22:23], v[6:7]
	v_fma_f64 v[2:3], v[22:23], v[4:5], -v[2:3]
	v_fmac_f64_e32 v[26:27], v[24:25], v[4:5]
	s_waitcnt vmcnt(6)
	v_add_f64 v[18:19], v[18:19], -v[2:3]
	v_add_f64 v[20:21], v[20:21], -v[26:27]
	scratch_store_dwordx4 off, v[18:21], s4
	s_cbranch_scc1 .LBB124_522
.LBB124_523:
	s_or_b64 exec, exec, s[0:1]
	s_barrier
	scratch_load_dwordx4 v[0:3], off, s59
	v_lshl_add_u32 v4, v17, 4, v14
	s_cmp_lt_i32 s52, 23
	s_waitcnt vmcnt(0)
	ds_write2_b64 v4, v[0:1], v[2:3] offset1:1
	s_waitcnt lgkmcnt(0)
	s_barrier
	ds_read2_b64 v[0:3], v14 offset0:42 offset1:43
	v_mov_b32_e32 v4, 21
	s_cbranch_scc1 .LBB124_526
; %bb.524:
	v_add_u32_e32 v5, 0x160, v14
	s_mov_b32 s4, 22
	v_mov_b32_e32 v4, 21
.LBB124_525:                            ; =>This Inner Loop Header: Depth=1
	ds_read2_b64 v[18:21], v5 offset1:1
	s_waitcnt lgkmcnt(1)
	v_xor_b32_e32 v7, 0x80000000, v1
	v_xor_b32_e32 v23, 0x80000000, v3
	v_cmp_gt_f64_e32 vcc, 0, v[2:3]
	v_cmp_gt_f64_e64 s[0:1], 0, v[0:1]
	v_mov_b32_e32 v6, v0
	v_mov_b32_e32 v22, v2
	v_cndmask_b32_e64 v7, v1, v7, s[0:1]
	v_cndmask_b32_e32 v23, v3, v23, vcc
	v_add_f64 v[6:7], v[6:7], v[22:23]
	s_waitcnt lgkmcnt(0)
	v_xor_b32_e32 v23, 0x80000000, v19
	v_xor_b32_e32 v25, 0x80000000, v21
	v_cmp_gt_f64_e32 vcc, 0, v[20:21]
	v_cmp_gt_f64_e64 s[0:1], 0, v[18:19]
	v_mov_b32_e32 v22, v18
	v_mov_b32_e32 v24, v20
	v_cndmask_b32_e64 v23, v19, v23, s[0:1]
	v_cndmask_b32_e32 v25, v21, v25, vcc
	v_add_f64 v[22:23], v[22:23], v[24:25]
	v_mov_b32_e32 v26, s4
	s_add_i32 s4, s4, 1
	v_cmp_lt_f64_e32 vcc, v[6:7], v[22:23]
	v_add_u32_e32 v5, 16, v5
	s_cmp_lg_u32 s52, s4
	v_cndmask_b32_e32 v1, v1, v19, vcc
	v_cndmask_b32_e32 v0, v0, v18, vcc
	;; [unrolled: 1-line block ×5, first 2 shown]
	s_cbranch_scc1 .LBB124_525
.LBB124_526:
	s_waitcnt lgkmcnt(0)
	v_cmp_eq_f64_e32 vcc, 0, v[0:1]
	v_cmp_eq_f64_e64 s[0:1], 0, v[2:3]
	s_and_b64 s[0:1], vcc, s[0:1]
	s_and_saveexec_b64 s[4:5], s[0:1]
	s_xor_b64 s[0:1], exec, s[4:5]
; %bb.527:
	v_cmp_ne_u32_e32 vcc, 0, v15
	s_nop 1
	v_cndmask_b32_e32 v15, 22, v15, vcc
; %bb.528:
	s_andn2_saveexec_b64 s[0:1], s[0:1]
	s_cbranch_execz .LBB124_534
; %bb.529:
	v_cmp_ngt_f64_e64 s[4:5], |v[0:1]|, |v[2:3]|
	s_and_saveexec_b64 s[12:13], s[4:5]
	s_xor_b64 s[12:13], exec, s[12:13]
	s_cbranch_execz .LBB124_531
; %bb.530:
	v_div_scale_f64 v[6:7], s[4:5], v[2:3], v[2:3], v[0:1]
	v_rcp_f64_e32 v[18:19], v[6:7]
	v_div_scale_f64 v[20:21], vcc, v[0:1], v[2:3], v[0:1]
	v_fma_f64 v[22:23], -v[6:7], v[18:19], 1.0
	v_fmac_f64_e32 v[18:19], v[18:19], v[22:23]
	v_fma_f64 v[22:23], -v[6:7], v[18:19], 1.0
	v_fmac_f64_e32 v[18:19], v[18:19], v[22:23]
	v_mul_f64 v[22:23], v[20:21], v[18:19]
	v_fma_f64 v[6:7], -v[6:7], v[22:23], v[20:21]
	v_div_fmas_f64 v[6:7], v[6:7], v[18:19], v[22:23]
	v_div_fixup_f64 v[6:7], v[6:7], v[2:3], v[0:1]
	v_fmac_f64_e32 v[2:3], v[0:1], v[6:7]
	v_div_scale_f64 v[0:1], s[4:5], v[2:3], v[2:3], 1.0
	v_rcp_f64_e32 v[18:19], v[0:1]
	s_nop 0
	v_fma_f64 v[20:21], -v[0:1], v[18:19], 1.0
	v_fmac_f64_e32 v[18:19], v[18:19], v[20:21]
	v_fma_f64 v[20:21], -v[0:1], v[18:19], 1.0
	v_fmac_f64_e32 v[18:19], v[18:19], v[20:21]
	v_div_scale_f64 v[20:21], vcc, 1.0, v[2:3], 1.0
	v_mul_f64 v[22:23], v[20:21], v[18:19]
	v_fma_f64 v[0:1], -v[0:1], v[22:23], v[20:21]
	s_nop 1
	v_div_fmas_f64 v[0:1], v[0:1], v[18:19], v[22:23]
	v_div_fixup_f64 v[2:3], v[0:1], v[2:3], 1.0
	v_mul_f64 v[0:1], v[6:7], v[2:3]
	v_xor_b32_e32 v3, 0x80000000, v3
.LBB124_531:
	s_andn2_saveexec_b64 s[12:13], s[12:13]
	s_cbranch_execz .LBB124_533
; %bb.532:
	v_div_scale_f64 v[6:7], s[4:5], v[0:1], v[0:1], v[2:3]
	v_rcp_f64_e32 v[18:19], v[6:7]
	v_div_scale_f64 v[20:21], vcc, v[2:3], v[0:1], v[2:3]
	v_fma_f64 v[22:23], -v[6:7], v[18:19], 1.0
	v_fmac_f64_e32 v[18:19], v[18:19], v[22:23]
	v_fma_f64 v[22:23], -v[6:7], v[18:19], 1.0
	v_fmac_f64_e32 v[18:19], v[18:19], v[22:23]
	v_mul_f64 v[22:23], v[20:21], v[18:19]
	v_fma_f64 v[6:7], -v[6:7], v[22:23], v[20:21]
	v_div_fmas_f64 v[6:7], v[6:7], v[18:19], v[22:23]
	v_div_fixup_f64 v[6:7], v[6:7], v[0:1], v[2:3]
	v_fmac_f64_e32 v[0:1], v[2:3], v[6:7]
	v_div_scale_f64 v[2:3], s[4:5], v[0:1], v[0:1], 1.0
	v_rcp_f64_e32 v[18:19], v[2:3]
	s_nop 0
	v_fma_f64 v[20:21], -v[2:3], v[18:19], 1.0
	v_fmac_f64_e32 v[18:19], v[18:19], v[20:21]
	v_fma_f64 v[20:21], -v[2:3], v[18:19], 1.0
	v_fmac_f64_e32 v[18:19], v[18:19], v[20:21]
	v_div_scale_f64 v[20:21], vcc, 1.0, v[0:1], 1.0
	v_mul_f64 v[22:23], v[20:21], v[18:19]
	v_fma_f64 v[2:3], -v[2:3], v[22:23], v[20:21]
	s_nop 1
	v_div_fmas_f64 v[2:3], v[2:3], v[18:19], v[22:23]
	v_div_fixup_f64 v[0:1], v[2:3], v[0:1], 1.0
	v_mul_f64 v[2:3], v[6:7], -v[0:1]
.LBB124_533:
	s_or_b64 exec, exec, s[12:13]
.LBB124_534:
	s_or_b64 exec, exec, s[0:1]
	v_cmp_ne_u32_e32 vcc, v17, v4
	s_and_saveexec_b64 s[0:1], vcc
	s_xor_b64 s[0:1], exec, s[0:1]
	s_cbranch_execz .LBB124_540
; %bb.535:
	v_cmp_eq_u32_e32 vcc, 21, v17
	s_and_saveexec_b64 s[12:13], vcc
	s_cbranch_execz .LBB124_539
; %bb.536:
	v_cmp_ne_u32_e32 vcc, 21, v4
	s_xor_b64 s[4:5], s[18:19], -1
	s_and_b64 s[4:5], s[4:5], vcc
	s_and_saveexec_b64 s[14:15], s[4:5]
	s_cbranch_execz .LBB124_538
; %bb.537:
	v_ashrrev_i32_e32 v5, 31, v4
	v_lshl_add_u64 v[6:7], v[4:5], 2, v[10:11]
	global_load_dword v5, v[6:7], off
	global_load_dword v16, v[10:11], off offset:84
	s_waitcnt vmcnt(1)
	global_store_dword v[10:11], v5, off offset:84
	s_waitcnt vmcnt(1)
	global_store_dword v[6:7], v16, off
.LBB124_538:
	s_or_b64 exec, exec, s[14:15]
	v_mov_b32_e32 v17, v4
	v_mov_b32_e32 v16, v4
.LBB124_539:
	s_or_b64 exec, exec, s[12:13]
.LBB124_540:
	s_andn2_saveexec_b64 s[0:1], s[0:1]
	s_cbranch_execz .LBB124_546
; %bb.541:
	s_mov_b32 s4, 0
	v_add_u32_e32 v4, 0x160, v14
	s_branch .LBB124_543
.LBB124_542:                            ;   in Loop: Header=BB124_543 Depth=1
	s_andn2_b64 vcc, exec, s[12:13]
	s_cbranch_vccz .LBB124_545
.LBB124_543:                            ; =>This Inner Loop Header: Depth=1
	s_add_i32 s12, s4, 0x160
	scratch_load_dwordx4 v[18:21], off, s12
	s_mov_b32 s5, s4
	v_add_u32_e32 v5, s4, v4
	s_cmpk_eq_i32 s4, 0x280
	s_mov_b64 s[12:13], -1
	s_waitcnt vmcnt(0)
	ds_write2_b64 v5, v[18:19], v[20:21] offset1:1
	s_cbranch_scc1 .LBB124_542
; %bb.544:                              ;   in Loop: Header=BB124_543 Depth=1
	s_add_i32 s12, s5, 0x170
	s_add_i32 s13, s5, 0x180
	scratch_load_dwordx4 v[18:21], off, s12
	scratch_load_dwordx4 v[22:25], off, s13
	s_add_i32 s12, s5, 0x190
	s_add_i32 s13, s5, 0x1a0
	scratch_load_dwordx4 v[26:29], off, s12
	scratch_load_dwordx4 v[30:33], off, s13
	;; [unrolled: 4-line block ×3, first 2 shown]
	s_addk_i32 s5, 0x1d0
	scratch_load_dwordx4 v[42:45], off, s5
	s_addk_i32 s4, 0x80
	s_mov_b64 s[12:13], 0
	s_waitcnt vmcnt(6)
	ds_write2_b64 v5, v[18:19], v[20:21] offset0:2 offset1:3
	s_waitcnt vmcnt(5)
	ds_write2_b64 v5, v[22:23], v[24:25] offset0:4 offset1:5
	;; [unrolled: 2-line block ×7, first 2 shown]
	s_branch .LBB124_542
.LBB124_545:
	v_mov_b32_e32 v17, 21
.LBB124_546:
	s_or_b64 exec, exec, s[0:1]
	v_cmp_lt_i32_e32 vcc, 21, v17
	s_waitcnt lgkmcnt(0)
	s_barrier
	s_and_saveexec_b64 s[0:1], vcc
	s_cbranch_execz .LBB124_551
; %bb.547:
	scratch_load_dwordx4 v[18:21], off, off offset:336
	s_mov_b32 s14, 0
	s_waitcnt vmcnt(0)
	v_mul_f64 v[4:5], v[2:3], v[20:21]
	v_mul_f64 v[6:7], v[0:1], v[20:21]
	v_fma_f64 v[4:5], v[0:1], v[18:19], -v[4:5]
	v_fmac_f64_e32 v[6:7], v[2:3], v[18:19]
	v_add_u32_e32 v0, 0x160, v14
	scratch_store_dwordx4 off, v[4:7], off offset:336
	s_branch .LBB124_549
.LBB124_548:                            ;   in Loop: Header=BB124_549 Depth=1
	s_andn2_b64 vcc, exec, s[12:13]
	s_cbranch_vccz .LBB124_551
.LBB124_549:                            ; =>This Inner Loop Header: Depth=1
	s_add_i32 s4, s14, 0x160
	scratch_load_dwordx4 v[18:21], off, s4
	v_add_u32_e32 v1, s14, v0
	ds_read2_b64 v[22:25], v1 offset1:1
	s_mov_b32 s15, s14
	s_cmpk_eq_i32 s14, 0x280
	s_mov_b64 s[12:13], -1
	s_waitcnt lgkmcnt(0)
	v_mul_f64 v[2:3], v[24:25], v[6:7]
	v_mul_f64 v[26:27], v[22:23], v[6:7]
	v_fma_f64 v[2:3], v[22:23], v[4:5], -v[2:3]
	v_fmac_f64_e32 v[26:27], v[24:25], v[4:5]
	s_waitcnt vmcnt(0)
	v_add_f64 v[18:19], v[18:19], -v[2:3]
	v_add_f64 v[20:21], v[20:21], -v[26:27]
	scratch_store_dwordx4 off, v[18:21], s4
	s_cbranch_scc1 .LBB124_548
; %bb.550:                              ;   in Loop: Header=BB124_549 Depth=1
	s_add_i32 s4, s15, 0x170
	scratch_load_dwordx4 v[18:21], off, s4
	s_add_i32 s5, s15, 0x180
	s_add_i32 s12, s15, 0x190
	;; [unrolled: 1-line block ×5, first 2 shown]
	scratch_load_dwordx4 v[22:25], off, s5
	scratch_load_dwordx4 v[26:29], off, s12
	;; [unrolled: 1-line block ×5, first 2 shown]
	ds_read2_b64 v[42:45], v1 offset0:2 offset1:3
	ds_read2_b64 v[46:49], v1 offset0:4 offset1:5
	;; [unrolled: 1-line block ×6, first 2 shown]
	s_waitcnt lgkmcnt(5)
	v_mul_f64 v[2:3], v[44:45], v[6:7]
	v_mul_f64 v[66:67], v[42:43], v[6:7]
	s_waitcnt lgkmcnt(4)
	v_mul_f64 v[68:69], v[48:49], v[6:7]
	v_mul_f64 v[70:71], v[46:47], v[6:7]
	;; [unrolled: 3-line block ×6, first 2 shown]
	v_fma_f64 v[2:3], v[42:43], v[4:5], -v[2:3]
	v_fmac_f64_e32 v[66:67], v[44:45], v[4:5]
	v_fma_f64 v[42:43], v[46:47], v[4:5], -v[68:69]
	v_fmac_f64_e32 v[70:71], v[48:49], v[4:5]
	;; [unrolled: 2-line block ×6, first 2 shown]
	s_addk_i32 s15, 0x1d0
	s_addk_i32 s14, 0x80
	s_waitcnt vmcnt(5)
	v_add_f64 v[2:3], v[18:19], -v[2:3]
	v_add_f64 v[4:5], v[20:21], -v[66:67]
	s_waitcnt vmcnt(4)
	v_add_f64 v[18:19], v[22:23], -v[42:43]
	v_add_f64 v[20:21], v[24:25], -v[70:71]
	;; [unrolled: 3-line block ×6, first 2 shown]
	scratch_store_dwordx4 off, v[2:5], s4
	scratch_store_dwordx4 off, v[18:21], s5
	;; [unrolled: 1-line block ×6, first 2 shown]
	scratch_load_dwordx4 v[4:7], off, off offset:336
	scratch_load_dwordx4 v[18:21], off, s15
	ds_read2_b64 v[22:25], v1 offset0:14 offset1:15
	s_mov_b64 s[12:13], 0
	s_waitcnt vmcnt(1) lgkmcnt(0)
	v_mul_f64 v[2:3], v[24:25], v[6:7]
	v_mul_f64 v[26:27], v[22:23], v[6:7]
	v_fma_f64 v[2:3], v[22:23], v[4:5], -v[2:3]
	v_fmac_f64_e32 v[26:27], v[24:25], v[4:5]
	s_waitcnt vmcnt(0)
	v_add_f64 v[18:19], v[18:19], -v[2:3]
	v_add_f64 v[20:21], v[20:21], -v[26:27]
	scratch_store_dwordx4 off, v[18:21], s15
	s_branch .LBB124_548
.LBB124_551:
	s_or_b64 exec, exec, s[0:1]
	s_barrier
	scratch_load_dwordx4 v[0:3], off, s57
	v_lshl_add_u32 v4, v17, 4, v14
	s_cmp_lt_i32 s52, 24
	s_waitcnt vmcnt(0)
	ds_write2_b64 v4, v[0:1], v[2:3] offset1:1
	s_waitcnt lgkmcnt(0)
	s_barrier
	ds_read2_b64 v[0:3], v14 offset0:44 offset1:45
	v_mov_b32_e32 v4, 22
	s_cbranch_scc1 .LBB124_554
; %bb.552:
	v_add_u32_e32 v5, 0x170, v14
	s_mov_b32 s4, 23
	v_mov_b32_e32 v4, 22
.LBB124_553:                            ; =>This Inner Loop Header: Depth=1
	ds_read2_b64 v[18:21], v5 offset1:1
	s_waitcnt lgkmcnt(1)
	v_xor_b32_e32 v7, 0x80000000, v1
	v_xor_b32_e32 v23, 0x80000000, v3
	v_cmp_gt_f64_e32 vcc, 0, v[2:3]
	v_cmp_gt_f64_e64 s[0:1], 0, v[0:1]
	v_mov_b32_e32 v6, v0
	v_mov_b32_e32 v22, v2
	v_cndmask_b32_e64 v7, v1, v7, s[0:1]
	v_cndmask_b32_e32 v23, v3, v23, vcc
	v_add_f64 v[6:7], v[6:7], v[22:23]
	s_waitcnt lgkmcnt(0)
	v_xor_b32_e32 v23, 0x80000000, v19
	v_xor_b32_e32 v25, 0x80000000, v21
	v_cmp_gt_f64_e32 vcc, 0, v[20:21]
	v_cmp_gt_f64_e64 s[0:1], 0, v[18:19]
	v_mov_b32_e32 v22, v18
	v_mov_b32_e32 v24, v20
	v_cndmask_b32_e64 v23, v19, v23, s[0:1]
	v_cndmask_b32_e32 v25, v21, v25, vcc
	v_add_f64 v[22:23], v[22:23], v[24:25]
	v_mov_b32_e32 v26, s4
	s_add_i32 s4, s4, 1
	v_cmp_lt_f64_e32 vcc, v[6:7], v[22:23]
	v_add_u32_e32 v5, 16, v5
	s_cmp_lg_u32 s52, s4
	v_cndmask_b32_e32 v1, v1, v19, vcc
	v_cndmask_b32_e32 v0, v0, v18, vcc
	;; [unrolled: 1-line block ×5, first 2 shown]
	s_cbranch_scc1 .LBB124_553
.LBB124_554:
	s_waitcnt lgkmcnt(0)
	v_cmp_eq_f64_e32 vcc, 0, v[0:1]
	v_cmp_eq_f64_e64 s[0:1], 0, v[2:3]
	s_and_b64 s[0:1], vcc, s[0:1]
	s_and_saveexec_b64 s[4:5], s[0:1]
	s_xor_b64 s[0:1], exec, s[4:5]
; %bb.555:
	v_cmp_ne_u32_e32 vcc, 0, v15
	s_nop 1
	v_cndmask_b32_e32 v15, 23, v15, vcc
; %bb.556:
	s_andn2_saveexec_b64 s[0:1], s[0:1]
	s_cbranch_execz .LBB124_562
; %bb.557:
	v_cmp_ngt_f64_e64 s[4:5], |v[0:1]|, |v[2:3]|
	s_and_saveexec_b64 s[12:13], s[4:5]
	s_xor_b64 s[12:13], exec, s[12:13]
	s_cbranch_execz .LBB124_559
; %bb.558:
	v_div_scale_f64 v[6:7], s[4:5], v[2:3], v[2:3], v[0:1]
	v_rcp_f64_e32 v[18:19], v[6:7]
	v_div_scale_f64 v[20:21], vcc, v[0:1], v[2:3], v[0:1]
	v_fma_f64 v[22:23], -v[6:7], v[18:19], 1.0
	v_fmac_f64_e32 v[18:19], v[18:19], v[22:23]
	v_fma_f64 v[22:23], -v[6:7], v[18:19], 1.0
	v_fmac_f64_e32 v[18:19], v[18:19], v[22:23]
	v_mul_f64 v[22:23], v[20:21], v[18:19]
	v_fma_f64 v[6:7], -v[6:7], v[22:23], v[20:21]
	v_div_fmas_f64 v[6:7], v[6:7], v[18:19], v[22:23]
	v_div_fixup_f64 v[6:7], v[6:7], v[2:3], v[0:1]
	v_fmac_f64_e32 v[2:3], v[0:1], v[6:7]
	v_div_scale_f64 v[0:1], s[4:5], v[2:3], v[2:3], 1.0
	v_rcp_f64_e32 v[18:19], v[0:1]
	s_nop 0
	v_fma_f64 v[20:21], -v[0:1], v[18:19], 1.0
	v_fmac_f64_e32 v[18:19], v[18:19], v[20:21]
	v_fma_f64 v[20:21], -v[0:1], v[18:19], 1.0
	v_fmac_f64_e32 v[18:19], v[18:19], v[20:21]
	v_div_scale_f64 v[20:21], vcc, 1.0, v[2:3], 1.0
	v_mul_f64 v[22:23], v[20:21], v[18:19]
	v_fma_f64 v[0:1], -v[0:1], v[22:23], v[20:21]
	s_nop 1
	v_div_fmas_f64 v[0:1], v[0:1], v[18:19], v[22:23]
	v_div_fixup_f64 v[2:3], v[0:1], v[2:3], 1.0
	v_mul_f64 v[0:1], v[6:7], v[2:3]
	v_xor_b32_e32 v3, 0x80000000, v3
.LBB124_559:
	s_andn2_saveexec_b64 s[12:13], s[12:13]
	s_cbranch_execz .LBB124_561
; %bb.560:
	v_div_scale_f64 v[6:7], s[4:5], v[0:1], v[0:1], v[2:3]
	v_rcp_f64_e32 v[18:19], v[6:7]
	v_div_scale_f64 v[20:21], vcc, v[2:3], v[0:1], v[2:3]
	v_fma_f64 v[22:23], -v[6:7], v[18:19], 1.0
	v_fmac_f64_e32 v[18:19], v[18:19], v[22:23]
	v_fma_f64 v[22:23], -v[6:7], v[18:19], 1.0
	v_fmac_f64_e32 v[18:19], v[18:19], v[22:23]
	v_mul_f64 v[22:23], v[20:21], v[18:19]
	v_fma_f64 v[6:7], -v[6:7], v[22:23], v[20:21]
	v_div_fmas_f64 v[6:7], v[6:7], v[18:19], v[22:23]
	v_div_fixup_f64 v[6:7], v[6:7], v[0:1], v[2:3]
	v_fmac_f64_e32 v[0:1], v[2:3], v[6:7]
	v_div_scale_f64 v[2:3], s[4:5], v[0:1], v[0:1], 1.0
	v_rcp_f64_e32 v[18:19], v[2:3]
	s_nop 0
	v_fma_f64 v[20:21], -v[2:3], v[18:19], 1.0
	v_fmac_f64_e32 v[18:19], v[18:19], v[20:21]
	v_fma_f64 v[20:21], -v[2:3], v[18:19], 1.0
	v_fmac_f64_e32 v[18:19], v[18:19], v[20:21]
	v_div_scale_f64 v[20:21], vcc, 1.0, v[0:1], 1.0
	v_mul_f64 v[22:23], v[20:21], v[18:19]
	v_fma_f64 v[2:3], -v[2:3], v[22:23], v[20:21]
	s_nop 1
	v_div_fmas_f64 v[2:3], v[2:3], v[18:19], v[22:23]
	v_div_fixup_f64 v[0:1], v[2:3], v[0:1], 1.0
	v_mul_f64 v[2:3], v[6:7], -v[0:1]
.LBB124_561:
	s_or_b64 exec, exec, s[12:13]
.LBB124_562:
	s_or_b64 exec, exec, s[0:1]
	v_cmp_ne_u32_e32 vcc, v17, v4
	s_and_saveexec_b64 s[0:1], vcc
	s_xor_b64 s[0:1], exec, s[0:1]
	s_cbranch_execz .LBB124_568
; %bb.563:
	v_cmp_eq_u32_e32 vcc, 22, v17
	s_and_saveexec_b64 s[12:13], vcc
	s_cbranch_execz .LBB124_567
; %bb.564:
	v_cmp_ne_u32_e32 vcc, 22, v4
	s_xor_b64 s[4:5], s[18:19], -1
	s_and_b64 s[4:5], s[4:5], vcc
	s_and_saveexec_b64 s[14:15], s[4:5]
	s_cbranch_execz .LBB124_566
; %bb.565:
	v_ashrrev_i32_e32 v5, 31, v4
	v_lshl_add_u64 v[6:7], v[4:5], 2, v[10:11]
	global_load_dword v5, v[6:7], off
	global_load_dword v16, v[10:11], off offset:88
	s_waitcnt vmcnt(1)
	global_store_dword v[10:11], v5, off offset:88
	s_waitcnt vmcnt(1)
	global_store_dword v[6:7], v16, off
.LBB124_566:
	s_or_b64 exec, exec, s[14:15]
	v_mov_b32_e32 v17, v4
	v_mov_b32_e32 v16, v4
.LBB124_567:
	s_or_b64 exec, exec, s[12:13]
.LBB124_568:
	s_andn2_saveexec_b64 s[0:1], s[0:1]
	s_cbranch_execz .LBB124_572
; %bb.569:
	s_mov_b32 s4, 0
	v_add_u32_e32 v4, 0x170, v14
.LBB124_570:                            ; =>This Inner Loop Header: Depth=1
	s_add_i32 s12, s4, 0x170
	s_add_i32 s13, s4, 0x180
	;; [unrolled: 1-line block ×10, first 2 shown]
	scratch_load_dwordx4 v[18:21], off, s12
	scratch_load_dwordx4 v[22:25], off, s13
	;; [unrolled: 1-line block ×10, first 2 shown]
	v_add_u32_e32 v5, s4, v4
	s_addk_i32 s4, 0xa0
	s_cmpk_eq_i32 s4, 0x280
	s_waitcnt vmcnt(9)
	ds_write2_b64 v5, v[18:19], v[20:21] offset1:1
	s_waitcnt vmcnt(8)
	ds_write2_b64 v5, v[22:23], v[24:25] offset0:2 offset1:3
	s_waitcnt vmcnt(7)
	ds_write2_b64 v5, v[26:27], v[28:29] offset0:4 offset1:5
	s_waitcnt vmcnt(6)
	ds_write2_b64 v5, v[30:31], v[32:33] offset0:6 offset1:7
	s_waitcnt vmcnt(5)
	ds_write2_b64 v5, v[34:35], v[36:37] offset0:8 offset1:9
	s_waitcnt vmcnt(4)
	ds_write2_b64 v5, v[38:39], v[40:41] offset0:10 offset1:11
	s_waitcnt vmcnt(3)
	ds_write2_b64 v5, v[42:43], v[44:45] offset0:12 offset1:13
	s_waitcnt vmcnt(2)
	ds_write2_b64 v5, v[46:47], v[48:49] offset0:14 offset1:15
	s_waitcnt vmcnt(1)
	ds_write2_b64 v5, v[50:51], v[52:53] offset0:16 offset1:17
	s_waitcnt vmcnt(0)
	ds_write2_b64 v5, v[54:55], v[56:57] offset0:18 offset1:19
	s_cbranch_scc0 .LBB124_570
; %bb.571:
	v_mov_b32_e32 v17, 22
.LBB124_572:
	s_or_b64 exec, exec, s[0:1]
	v_cmp_lt_i32_e32 vcc, 22, v17
	s_waitcnt lgkmcnt(0)
	s_barrier
	s_and_saveexec_b64 s[0:1], vcc
	s_cbranch_execz .LBB124_575
; %bb.573:
	scratch_load_dwordx4 v[18:21], off, off offset:352
	s_mov_b32 s12, 0
	s_waitcnt vmcnt(0)
	v_mul_f64 v[4:5], v[2:3], v[20:21]
	v_mul_f64 v[6:7], v[0:1], v[20:21]
	v_fma_f64 v[4:5], v[0:1], v[18:19], -v[4:5]
	v_fmac_f64_e32 v[6:7], v[2:3], v[18:19]
	v_add_u32_e32 v0, 0x170, v14
	scratch_store_dwordx4 off, v[4:7], off offset:352
.LBB124_574:                            ; =>This Inner Loop Header: Depth=1
	v_add_u32_e32 v1, s12, v0
	ds_read2_b64 v[18:21], v1 offset1:1
	ds_read2_b64 v[22:25], v1 offset0:2 offset1:3
	ds_read2_b64 v[26:29], v1 offset0:4 offset1:5
	;; [unrolled: 1-line block ×5, first 2 shown]
	s_add_i32 s13, s12, 0x170
	s_waitcnt lgkmcnt(5)
	v_mul_f64 v[2:3], v[20:21], v[6:7]
	v_mul_f64 v[70:71], v[18:19], v[6:7]
	s_waitcnt lgkmcnt(4)
	v_mul_f64 v[72:73], v[24:25], v[6:7]
	v_mul_f64 v[74:75], v[22:23], v[6:7]
	;; [unrolled: 3-line block ×6, first 2 shown]
	s_add_i32 s14, s12, 0x180
	s_add_i32 s5, s12, 0x190
	;; [unrolled: 1-line block ×7, first 2 shown]
	scratch_load_dwordx4 v[42:45], off, s13
	scratch_load_dwordx4 v[46:49], off, s14
	;; [unrolled: 1-line block ×7, first 2 shown]
	v_fma_f64 v[2:3], v[18:19], v[4:5], -v[2:3]
	v_fmac_f64_e32 v[70:71], v[20:21], v[4:5]
	v_fma_f64 v[72:73], v[22:23], v[4:5], -v[72:73]
	v_fmac_f64_e32 v[74:75], v[24:25], v[4:5]
	;; [unrolled: 2-line block ×6, first 2 shown]
	scratch_load_dwordx4 v[4:7], off, off offset:352
	scratch_load_dwordx4 v[18:21], off, s4
	ds_read2_b64 v[22:25], v1 offset0:12 offset1:13
	ds_read2_b64 v[26:29], v1 offset0:14 offset1:15
	s_addk_i32 s12, 0x80
	s_cmpk_lg_i32 s12, 0x280
	s_waitcnt vmcnt(8)
	v_add_f64 v[30:31], v[42:43], -v[2:3]
	v_add_f64 v[32:33], v[44:45], -v[70:71]
	s_waitcnt vmcnt(7)
	v_add_f64 v[34:35], v[46:47], -v[72:73]
	v_add_f64 v[36:37], v[48:49], -v[74:75]
	;; [unrolled: 3-line block ×6, first 2 shown]
	scratch_store_dwordx4 off, v[30:33], s13
	scratch_store_dwordx4 off, v[34:37], s14
	;; [unrolled: 1-line block ×6, first 2 shown]
	s_waitcnt vmcnt(7) lgkmcnt(1)
	v_mul_f64 v[2:3], v[24:25], v[6:7]
	v_mul_f64 v[30:31], v[22:23], v[6:7]
	s_waitcnt lgkmcnt(0)
	v_mul_f64 v[32:33], v[28:29], v[6:7]
	v_mul_f64 v[34:35], v[26:27], v[6:7]
	v_fma_f64 v[2:3], v[22:23], v[4:5], -v[2:3]
	v_fmac_f64_e32 v[30:31], v[24:25], v[4:5]
	v_fma_f64 v[26:27], v[26:27], v[4:5], -v[32:33]
	v_fmac_f64_e32 v[34:35], v[28:29], v[4:5]
	v_add_f64 v[22:23], v[66:67], -v[2:3]
	v_add_f64 v[24:25], v[68:69], -v[30:31]
	s_waitcnt vmcnt(6)
	v_add_f64 v[18:19], v[18:19], -v[26:27]
	v_add_f64 v[20:21], v[20:21], -v[34:35]
	scratch_store_dwordx4 off, v[22:25], s68
	scratch_store_dwordx4 off, v[18:21], s4
	s_cbranch_scc1 .LBB124_574
.LBB124_575:
	s_or_b64 exec, exec, s[0:1]
	s_barrier
	scratch_load_dwordx4 v[0:3], off, s63
	v_lshl_add_u32 v4, v17, 4, v14
	s_cmp_lt_i32 s52, 25
	s_waitcnt vmcnt(0)
	ds_write2_b64 v4, v[0:1], v[2:3] offset1:1
	s_waitcnt lgkmcnt(0)
	s_barrier
	ds_read2_b64 v[0:3], v14 offset0:46 offset1:47
	v_mov_b32_e32 v4, 23
	s_cbranch_scc1 .LBB124_578
; %bb.576:
	v_add_u32_e32 v5, 0x180, v14
	s_mov_b32 s4, 24
	v_mov_b32_e32 v4, 23
.LBB124_577:                            ; =>This Inner Loop Header: Depth=1
	ds_read2_b64 v[18:21], v5 offset1:1
	s_waitcnt lgkmcnt(1)
	v_xor_b32_e32 v7, 0x80000000, v1
	v_xor_b32_e32 v23, 0x80000000, v3
	v_cmp_gt_f64_e32 vcc, 0, v[2:3]
	v_cmp_gt_f64_e64 s[0:1], 0, v[0:1]
	v_mov_b32_e32 v6, v0
	v_mov_b32_e32 v22, v2
	v_cndmask_b32_e64 v7, v1, v7, s[0:1]
	v_cndmask_b32_e32 v23, v3, v23, vcc
	v_add_f64 v[6:7], v[6:7], v[22:23]
	s_waitcnt lgkmcnt(0)
	v_xor_b32_e32 v23, 0x80000000, v19
	v_xor_b32_e32 v25, 0x80000000, v21
	v_cmp_gt_f64_e32 vcc, 0, v[20:21]
	v_cmp_gt_f64_e64 s[0:1], 0, v[18:19]
	v_mov_b32_e32 v22, v18
	v_mov_b32_e32 v24, v20
	v_cndmask_b32_e64 v23, v19, v23, s[0:1]
	v_cndmask_b32_e32 v25, v21, v25, vcc
	v_add_f64 v[22:23], v[22:23], v[24:25]
	v_mov_b32_e32 v26, s4
	s_add_i32 s4, s4, 1
	v_cmp_lt_f64_e32 vcc, v[6:7], v[22:23]
	v_add_u32_e32 v5, 16, v5
	s_cmp_lg_u32 s52, s4
	v_cndmask_b32_e32 v1, v1, v19, vcc
	v_cndmask_b32_e32 v0, v0, v18, vcc
	;; [unrolled: 1-line block ×5, first 2 shown]
	s_cbranch_scc1 .LBB124_577
.LBB124_578:
	s_waitcnt lgkmcnt(0)
	v_cmp_eq_f64_e32 vcc, 0, v[0:1]
	v_cmp_eq_f64_e64 s[0:1], 0, v[2:3]
	s_and_b64 s[0:1], vcc, s[0:1]
	s_and_saveexec_b64 s[4:5], s[0:1]
	s_xor_b64 s[0:1], exec, s[4:5]
; %bb.579:
	v_cmp_ne_u32_e32 vcc, 0, v15
	s_nop 1
	v_cndmask_b32_e32 v15, 24, v15, vcc
; %bb.580:
	s_andn2_saveexec_b64 s[0:1], s[0:1]
	s_cbranch_execz .LBB124_586
; %bb.581:
	v_cmp_ngt_f64_e64 s[4:5], |v[0:1]|, |v[2:3]|
	s_and_saveexec_b64 s[12:13], s[4:5]
	s_xor_b64 s[12:13], exec, s[12:13]
	s_cbranch_execz .LBB124_583
; %bb.582:
	v_div_scale_f64 v[6:7], s[4:5], v[2:3], v[2:3], v[0:1]
	v_rcp_f64_e32 v[18:19], v[6:7]
	v_div_scale_f64 v[20:21], vcc, v[0:1], v[2:3], v[0:1]
	v_fma_f64 v[22:23], -v[6:7], v[18:19], 1.0
	v_fmac_f64_e32 v[18:19], v[18:19], v[22:23]
	v_fma_f64 v[22:23], -v[6:7], v[18:19], 1.0
	v_fmac_f64_e32 v[18:19], v[18:19], v[22:23]
	v_mul_f64 v[22:23], v[20:21], v[18:19]
	v_fma_f64 v[6:7], -v[6:7], v[22:23], v[20:21]
	v_div_fmas_f64 v[6:7], v[6:7], v[18:19], v[22:23]
	v_div_fixup_f64 v[6:7], v[6:7], v[2:3], v[0:1]
	v_fmac_f64_e32 v[2:3], v[0:1], v[6:7]
	v_div_scale_f64 v[0:1], s[4:5], v[2:3], v[2:3], 1.0
	v_rcp_f64_e32 v[18:19], v[0:1]
	s_nop 0
	v_fma_f64 v[20:21], -v[0:1], v[18:19], 1.0
	v_fmac_f64_e32 v[18:19], v[18:19], v[20:21]
	v_fma_f64 v[20:21], -v[0:1], v[18:19], 1.0
	v_fmac_f64_e32 v[18:19], v[18:19], v[20:21]
	v_div_scale_f64 v[20:21], vcc, 1.0, v[2:3], 1.0
	v_mul_f64 v[22:23], v[20:21], v[18:19]
	v_fma_f64 v[0:1], -v[0:1], v[22:23], v[20:21]
	s_nop 1
	v_div_fmas_f64 v[0:1], v[0:1], v[18:19], v[22:23]
	v_div_fixup_f64 v[2:3], v[0:1], v[2:3], 1.0
	v_mul_f64 v[0:1], v[6:7], v[2:3]
	v_xor_b32_e32 v3, 0x80000000, v3
.LBB124_583:
	s_andn2_saveexec_b64 s[12:13], s[12:13]
	s_cbranch_execz .LBB124_585
; %bb.584:
	v_div_scale_f64 v[6:7], s[4:5], v[0:1], v[0:1], v[2:3]
	v_rcp_f64_e32 v[18:19], v[6:7]
	v_div_scale_f64 v[20:21], vcc, v[2:3], v[0:1], v[2:3]
	v_fma_f64 v[22:23], -v[6:7], v[18:19], 1.0
	v_fmac_f64_e32 v[18:19], v[18:19], v[22:23]
	v_fma_f64 v[22:23], -v[6:7], v[18:19], 1.0
	v_fmac_f64_e32 v[18:19], v[18:19], v[22:23]
	v_mul_f64 v[22:23], v[20:21], v[18:19]
	v_fma_f64 v[6:7], -v[6:7], v[22:23], v[20:21]
	v_div_fmas_f64 v[6:7], v[6:7], v[18:19], v[22:23]
	v_div_fixup_f64 v[6:7], v[6:7], v[0:1], v[2:3]
	v_fmac_f64_e32 v[0:1], v[2:3], v[6:7]
	v_div_scale_f64 v[2:3], s[4:5], v[0:1], v[0:1], 1.0
	v_rcp_f64_e32 v[18:19], v[2:3]
	s_nop 0
	v_fma_f64 v[20:21], -v[2:3], v[18:19], 1.0
	v_fmac_f64_e32 v[18:19], v[18:19], v[20:21]
	v_fma_f64 v[20:21], -v[2:3], v[18:19], 1.0
	v_fmac_f64_e32 v[18:19], v[18:19], v[20:21]
	v_div_scale_f64 v[20:21], vcc, 1.0, v[0:1], 1.0
	v_mul_f64 v[22:23], v[20:21], v[18:19]
	v_fma_f64 v[2:3], -v[2:3], v[22:23], v[20:21]
	s_nop 1
	v_div_fmas_f64 v[2:3], v[2:3], v[18:19], v[22:23]
	v_div_fixup_f64 v[0:1], v[2:3], v[0:1], 1.0
	v_mul_f64 v[2:3], v[6:7], -v[0:1]
.LBB124_585:
	s_or_b64 exec, exec, s[12:13]
.LBB124_586:
	s_or_b64 exec, exec, s[0:1]
	v_cmp_ne_u32_e32 vcc, v17, v4
	s_and_saveexec_b64 s[0:1], vcc
	s_xor_b64 s[0:1], exec, s[0:1]
	s_cbranch_execz .LBB124_592
; %bb.587:
	v_cmp_eq_u32_e32 vcc, 23, v17
	s_and_saveexec_b64 s[12:13], vcc
	s_cbranch_execz .LBB124_591
; %bb.588:
	v_cmp_ne_u32_e32 vcc, 23, v4
	s_xor_b64 s[4:5], s[18:19], -1
	s_and_b64 s[4:5], s[4:5], vcc
	s_and_saveexec_b64 s[14:15], s[4:5]
	s_cbranch_execz .LBB124_590
; %bb.589:
	v_ashrrev_i32_e32 v5, 31, v4
	v_lshl_add_u64 v[6:7], v[4:5], 2, v[10:11]
	global_load_dword v5, v[6:7], off
	global_load_dword v16, v[10:11], off offset:92
	s_waitcnt vmcnt(1)
	global_store_dword v[10:11], v5, off offset:92
	s_waitcnt vmcnt(1)
	global_store_dword v[6:7], v16, off
.LBB124_590:
	s_or_b64 exec, exec, s[14:15]
	v_mov_b32_e32 v17, v4
	v_mov_b32_e32 v16, v4
.LBB124_591:
	s_or_b64 exec, exec, s[12:13]
.LBB124_592:
	s_andn2_saveexec_b64 s[0:1], s[0:1]
	s_cbranch_execz .LBB124_596
; %bb.593:
	s_mov_b32 s4, 0
	v_add_u32_e32 v4, 0x180, v14
.LBB124_594:                            ; =>This Inner Loop Header: Depth=1
	s_add_i32 s12, s4, 0x180
	s_add_i32 s13, s4, 0x190
	;; [unrolled: 1-line block ×13, first 2 shown]
	scratch_load_dwordx4 v[18:21], off, s12
	scratch_load_dwordx4 v[22:25], off, s13
	;; [unrolled: 1-line block ×13, first 2 shown]
	v_add_u32_e32 v5, s4, v4
	s_addk_i32 s4, 0xd0
	s_cmpk_eq_i32 s4, 0x270
	s_waitcnt vmcnt(12)
	ds_write2_b64 v5, v[18:19], v[20:21] offset1:1
	s_waitcnt vmcnt(11)
	ds_write2_b64 v5, v[22:23], v[24:25] offset0:2 offset1:3
	s_waitcnt vmcnt(10)
	ds_write2_b64 v5, v[26:27], v[28:29] offset0:4 offset1:5
	s_waitcnt vmcnt(9)
	ds_write2_b64 v5, v[30:31], v[32:33] offset0:6 offset1:7
	s_waitcnt vmcnt(8)
	ds_write2_b64 v5, v[34:35], v[36:37] offset0:8 offset1:9
	s_waitcnt vmcnt(7)
	ds_write2_b64 v5, v[38:39], v[40:41] offset0:10 offset1:11
	s_waitcnt vmcnt(6)
	ds_write2_b64 v5, v[42:43], v[44:45] offset0:12 offset1:13
	s_waitcnt vmcnt(5)
	ds_write2_b64 v5, v[46:47], v[48:49] offset0:14 offset1:15
	s_waitcnt vmcnt(4)
	ds_write2_b64 v5, v[50:51], v[52:53] offset0:16 offset1:17
	s_waitcnt vmcnt(3)
	ds_write2_b64 v5, v[54:55], v[56:57] offset0:18 offset1:19
	s_waitcnt vmcnt(2)
	ds_write2_b64 v5, v[58:59], v[60:61] offset0:20 offset1:21
	s_waitcnt vmcnt(1)
	ds_write2_b64 v5, v[62:63], v[64:65] offset0:22 offset1:23
	s_waitcnt vmcnt(0)
	ds_write2_b64 v5, v[66:67], v[68:69] offset0:24 offset1:25
	s_cbranch_scc0 .LBB124_594
; %bb.595:
	v_mov_b32_e32 v17, 23
.LBB124_596:
	s_or_b64 exec, exec, s[0:1]
	v_cmp_lt_i32_e32 vcc, 23, v17
	s_waitcnt lgkmcnt(0)
	s_barrier
	s_and_saveexec_b64 s[0:1], vcc
	s_cbranch_execz .LBB124_599
; %bb.597:
	scratch_load_dwordx4 v[18:21], off, off offset:368
	s_mov_b32 s4, 0
	s_waitcnt vmcnt(0)
	v_mul_f64 v[4:5], v[2:3], v[20:21]
	v_mul_f64 v[6:7], v[0:1], v[20:21]
	v_fma_f64 v[4:5], v[0:1], v[18:19], -v[4:5]
	v_fmac_f64_e32 v[6:7], v[2:3], v[18:19]
	v_add_u32_e32 v0, 0x180, v14
	scratch_store_dwordx4 off, v[4:7], off offset:368
.LBB124_598:                            ; =>This Inner Loop Header: Depth=1
	s_add_i32 s12, s4, 0x180
	s_add_i32 s13, s4, 0x190
	;; [unrolled: 1-line block ×3, first 2 shown]
	scratch_load_dwordx4 v[18:21], off, s12
	scratch_load_dwordx4 v[22:25], off, s13
	;; [unrolled: 1-line block ×3, first 2 shown]
	v_add_u32_e32 v1, s4, v0
	ds_read2_b64 v[30:33], v1 offset1:1
	ds_read2_b64 v[34:37], v1 offset0:2 offset1:3
	ds_read2_b64 v[38:41], v1 offset0:4 offset1:5
	s_add_i32 s4, s4, 48
	s_cmpk_lg_i32 s4, 0x270
	s_waitcnt lgkmcnt(2)
	v_mul_f64 v[2:3], v[32:33], v[6:7]
	v_mul_f64 v[42:43], v[30:31], v[6:7]
	s_waitcnt lgkmcnt(1)
	v_mul_f64 v[44:45], v[36:37], v[6:7]
	v_mul_f64 v[46:47], v[34:35], v[6:7]
	;; [unrolled: 3-line block ×3, first 2 shown]
	v_fma_f64 v[2:3], v[30:31], v[4:5], -v[2:3]
	v_fmac_f64_e32 v[42:43], v[32:33], v[4:5]
	v_fma_f64 v[30:31], v[34:35], v[4:5], -v[44:45]
	v_fmac_f64_e32 v[46:47], v[36:37], v[4:5]
	;; [unrolled: 2-line block ×3, first 2 shown]
	s_waitcnt vmcnt(2)
	v_add_f64 v[18:19], v[18:19], -v[2:3]
	v_add_f64 v[20:21], v[20:21], -v[42:43]
	s_waitcnt vmcnt(1)
	v_add_f64 v[22:23], v[22:23], -v[30:31]
	v_add_f64 v[24:25], v[24:25], -v[46:47]
	s_waitcnt vmcnt(0)
	v_add_f64 v[26:27], v[26:27], -v[32:33]
	v_add_f64 v[28:29], v[28:29], -v[50:51]
	scratch_store_dwordx4 off, v[18:21], s12
	scratch_store_dwordx4 off, v[22:25], s13
	;; [unrolled: 1-line block ×3, first 2 shown]
	s_cbranch_scc1 .LBB124_598
.LBB124_599:
	s_or_b64 exec, exec, s[0:1]
	s_barrier
	scratch_load_dwordx4 v[0:3], off, s60
	v_lshl_add_u32 v4, v17, 4, v14
	s_cmp_lt_i32 s52, 26
	s_waitcnt vmcnt(0)
	ds_write2_b64 v4, v[0:1], v[2:3] offset1:1
	s_waitcnt lgkmcnt(0)
	s_barrier
	ds_read2_b64 v[0:3], v14 offset0:48 offset1:49
	v_mov_b32_e32 v4, 24
	s_cbranch_scc1 .LBB124_602
; %bb.600:
	v_add_u32_e32 v5, 0x190, v14
	s_mov_b32 s4, 25
	v_mov_b32_e32 v4, 24
.LBB124_601:                            ; =>This Inner Loop Header: Depth=1
	ds_read2_b64 v[18:21], v5 offset1:1
	s_waitcnt lgkmcnt(1)
	v_xor_b32_e32 v7, 0x80000000, v1
	v_xor_b32_e32 v23, 0x80000000, v3
	v_cmp_gt_f64_e32 vcc, 0, v[2:3]
	v_cmp_gt_f64_e64 s[0:1], 0, v[0:1]
	v_mov_b32_e32 v6, v0
	v_mov_b32_e32 v22, v2
	v_cndmask_b32_e64 v7, v1, v7, s[0:1]
	v_cndmask_b32_e32 v23, v3, v23, vcc
	v_add_f64 v[6:7], v[6:7], v[22:23]
	s_waitcnt lgkmcnt(0)
	v_xor_b32_e32 v23, 0x80000000, v19
	v_xor_b32_e32 v25, 0x80000000, v21
	v_cmp_gt_f64_e32 vcc, 0, v[20:21]
	v_cmp_gt_f64_e64 s[0:1], 0, v[18:19]
	v_mov_b32_e32 v22, v18
	v_mov_b32_e32 v24, v20
	v_cndmask_b32_e64 v23, v19, v23, s[0:1]
	v_cndmask_b32_e32 v25, v21, v25, vcc
	v_add_f64 v[22:23], v[22:23], v[24:25]
	v_mov_b32_e32 v26, s4
	s_add_i32 s4, s4, 1
	v_cmp_lt_f64_e32 vcc, v[6:7], v[22:23]
	v_add_u32_e32 v5, 16, v5
	s_cmp_lg_u32 s52, s4
	v_cndmask_b32_e32 v1, v1, v19, vcc
	v_cndmask_b32_e32 v0, v0, v18, vcc
	;; [unrolled: 1-line block ×5, first 2 shown]
	s_cbranch_scc1 .LBB124_601
.LBB124_602:
	s_waitcnt lgkmcnt(0)
	v_cmp_eq_f64_e32 vcc, 0, v[0:1]
	v_cmp_eq_f64_e64 s[0:1], 0, v[2:3]
	s_and_b64 s[0:1], vcc, s[0:1]
	s_and_saveexec_b64 s[4:5], s[0:1]
	s_xor_b64 s[0:1], exec, s[4:5]
; %bb.603:
	v_cmp_ne_u32_e32 vcc, 0, v15
	s_nop 1
	v_cndmask_b32_e32 v15, 25, v15, vcc
; %bb.604:
	s_andn2_saveexec_b64 s[0:1], s[0:1]
	s_cbranch_execz .LBB124_610
; %bb.605:
	v_cmp_ngt_f64_e64 s[4:5], |v[0:1]|, |v[2:3]|
	s_and_saveexec_b64 s[12:13], s[4:5]
	s_xor_b64 s[12:13], exec, s[12:13]
	s_cbranch_execz .LBB124_607
; %bb.606:
	v_div_scale_f64 v[6:7], s[4:5], v[2:3], v[2:3], v[0:1]
	v_rcp_f64_e32 v[18:19], v[6:7]
	v_div_scale_f64 v[20:21], vcc, v[0:1], v[2:3], v[0:1]
	v_fma_f64 v[22:23], -v[6:7], v[18:19], 1.0
	v_fmac_f64_e32 v[18:19], v[18:19], v[22:23]
	v_fma_f64 v[22:23], -v[6:7], v[18:19], 1.0
	v_fmac_f64_e32 v[18:19], v[18:19], v[22:23]
	v_mul_f64 v[22:23], v[20:21], v[18:19]
	v_fma_f64 v[6:7], -v[6:7], v[22:23], v[20:21]
	v_div_fmas_f64 v[6:7], v[6:7], v[18:19], v[22:23]
	v_div_fixup_f64 v[6:7], v[6:7], v[2:3], v[0:1]
	v_fmac_f64_e32 v[2:3], v[0:1], v[6:7]
	v_div_scale_f64 v[0:1], s[4:5], v[2:3], v[2:3], 1.0
	v_rcp_f64_e32 v[18:19], v[0:1]
	s_nop 0
	v_fma_f64 v[20:21], -v[0:1], v[18:19], 1.0
	v_fmac_f64_e32 v[18:19], v[18:19], v[20:21]
	v_fma_f64 v[20:21], -v[0:1], v[18:19], 1.0
	v_fmac_f64_e32 v[18:19], v[18:19], v[20:21]
	v_div_scale_f64 v[20:21], vcc, 1.0, v[2:3], 1.0
	v_mul_f64 v[22:23], v[20:21], v[18:19]
	v_fma_f64 v[0:1], -v[0:1], v[22:23], v[20:21]
	s_nop 1
	v_div_fmas_f64 v[0:1], v[0:1], v[18:19], v[22:23]
	v_div_fixup_f64 v[2:3], v[0:1], v[2:3], 1.0
	v_mul_f64 v[0:1], v[6:7], v[2:3]
	v_xor_b32_e32 v3, 0x80000000, v3
.LBB124_607:
	s_andn2_saveexec_b64 s[12:13], s[12:13]
	s_cbranch_execz .LBB124_609
; %bb.608:
	v_div_scale_f64 v[6:7], s[4:5], v[0:1], v[0:1], v[2:3]
	v_rcp_f64_e32 v[18:19], v[6:7]
	v_div_scale_f64 v[20:21], vcc, v[2:3], v[0:1], v[2:3]
	v_fma_f64 v[22:23], -v[6:7], v[18:19], 1.0
	v_fmac_f64_e32 v[18:19], v[18:19], v[22:23]
	v_fma_f64 v[22:23], -v[6:7], v[18:19], 1.0
	v_fmac_f64_e32 v[18:19], v[18:19], v[22:23]
	v_mul_f64 v[22:23], v[20:21], v[18:19]
	v_fma_f64 v[6:7], -v[6:7], v[22:23], v[20:21]
	v_div_fmas_f64 v[6:7], v[6:7], v[18:19], v[22:23]
	v_div_fixup_f64 v[6:7], v[6:7], v[0:1], v[2:3]
	v_fmac_f64_e32 v[0:1], v[2:3], v[6:7]
	v_div_scale_f64 v[2:3], s[4:5], v[0:1], v[0:1], 1.0
	v_rcp_f64_e32 v[18:19], v[2:3]
	s_nop 0
	v_fma_f64 v[20:21], -v[2:3], v[18:19], 1.0
	v_fmac_f64_e32 v[18:19], v[18:19], v[20:21]
	v_fma_f64 v[20:21], -v[2:3], v[18:19], 1.0
	v_fmac_f64_e32 v[18:19], v[18:19], v[20:21]
	v_div_scale_f64 v[20:21], vcc, 1.0, v[0:1], 1.0
	v_mul_f64 v[22:23], v[20:21], v[18:19]
	v_fma_f64 v[2:3], -v[2:3], v[22:23], v[20:21]
	s_nop 1
	v_div_fmas_f64 v[2:3], v[2:3], v[18:19], v[22:23]
	v_div_fixup_f64 v[0:1], v[2:3], v[0:1], 1.0
	v_mul_f64 v[2:3], v[6:7], -v[0:1]
.LBB124_609:
	s_or_b64 exec, exec, s[12:13]
.LBB124_610:
	s_or_b64 exec, exec, s[0:1]
	v_cmp_ne_u32_e32 vcc, v17, v4
	s_and_saveexec_b64 s[0:1], vcc
	s_xor_b64 s[0:1], exec, s[0:1]
	s_cbranch_execz .LBB124_616
; %bb.611:
	v_cmp_eq_u32_e32 vcc, 24, v17
	s_and_saveexec_b64 s[12:13], vcc
	s_cbranch_execz .LBB124_615
; %bb.612:
	v_cmp_ne_u32_e32 vcc, 24, v4
	s_xor_b64 s[4:5], s[18:19], -1
	s_and_b64 s[4:5], s[4:5], vcc
	s_and_saveexec_b64 s[14:15], s[4:5]
	s_cbranch_execz .LBB124_614
; %bb.613:
	v_ashrrev_i32_e32 v5, 31, v4
	v_lshl_add_u64 v[6:7], v[4:5], 2, v[10:11]
	global_load_dword v5, v[6:7], off
	global_load_dword v16, v[10:11], off offset:96
	s_waitcnt vmcnt(1)
	global_store_dword v[10:11], v5, off offset:96
	s_waitcnt vmcnt(1)
	global_store_dword v[6:7], v16, off
.LBB124_614:
	s_or_b64 exec, exec, s[14:15]
	v_mov_b32_e32 v17, v4
	v_mov_b32_e32 v16, v4
.LBB124_615:
	s_or_b64 exec, exec, s[12:13]
.LBB124_616:
	s_andn2_saveexec_b64 s[0:1], s[0:1]
	s_cbranch_execz .LBB124_620
; %bb.617:
	s_mov_b32 s4, 0
	v_add_u32_e32 v4, 0x190, v14
.LBB124_618:                            ; =>This Inner Loop Header: Depth=1
	s_add_i32 s12, s4, 0x190
	s_add_i32 s5, s4, 0x1a0
	scratch_load_dwordx4 v[18:21], off, s12
	scratch_load_dwordx4 v[22:25], off, s5
	v_add_u32_e32 v5, s4, v4
	s_add_i32 s4, s4, 32
	s_cmpk_eq_i32 s4, 0x260
	s_waitcnt vmcnt(1)
	ds_write2_b64 v5, v[18:19], v[20:21] offset1:1
	s_waitcnt vmcnt(0)
	ds_write2_b64 v5, v[22:23], v[24:25] offset0:2 offset1:3
	s_cbranch_scc0 .LBB124_618
; %bb.619:
	v_mov_b32_e32 v17, 24
.LBB124_620:
	s_or_b64 exec, exec, s[0:1]
	v_cmp_lt_i32_e32 vcc, 24, v17
	s_waitcnt lgkmcnt(0)
	s_barrier
	s_and_saveexec_b64 s[0:1], vcc
	s_cbranch_execz .LBB124_623
; %bb.621:
	scratch_load_dwordx4 v[18:21], off, off offset:384
	s_mov_b32 s4, 0
	s_waitcnt vmcnt(0)
	v_mul_f64 v[4:5], v[2:3], v[20:21]
	v_mul_f64 v[6:7], v[0:1], v[20:21]
	v_fma_f64 v[4:5], v[0:1], v[18:19], -v[4:5]
	v_fmac_f64_e32 v[6:7], v[2:3], v[18:19]
	v_add_u32_e32 v0, 0x190, v14
	scratch_store_dwordx4 off, v[4:7], off offset:384
.LBB124_622:                            ; =>This Inner Loop Header: Depth=1
	s_add_i32 s12, s4, 0x190
	s_add_i32 s5, s4, 0x1a0
	scratch_load_dwordx4 v[18:21], off, s12
	scratch_load_dwordx4 v[22:25], off, s5
	v_add_u32_e32 v1, s4, v0
	ds_read2_b64 v[26:29], v1 offset1:1
	ds_read2_b64 v[30:33], v1 offset0:2 offset1:3
	s_add_i32 s4, s4, 32
	s_cmpk_lg_i32 s4, 0x260
	s_waitcnt lgkmcnt(1)
	v_mul_f64 v[2:3], v[28:29], v[6:7]
	v_mul_f64 v[34:35], v[26:27], v[6:7]
	s_waitcnt lgkmcnt(0)
	v_mul_f64 v[36:37], v[32:33], v[6:7]
	v_mul_f64 v[38:39], v[30:31], v[6:7]
	v_fma_f64 v[2:3], v[26:27], v[4:5], -v[2:3]
	v_fmac_f64_e32 v[34:35], v[28:29], v[4:5]
	v_fma_f64 v[26:27], v[30:31], v[4:5], -v[36:37]
	v_fmac_f64_e32 v[38:39], v[32:33], v[4:5]
	s_waitcnt vmcnt(1)
	v_add_f64 v[18:19], v[18:19], -v[2:3]
	v_add_f64 v[20:21], v[20:21], -v[34:35]
	s_waitcnt vmcnt(0)
	v_add_f64 v[22:23], v[22:23], -v[26:27]
	v_add_f64 v[24:25], v[24:25], -v[38:39]
	scratch_store_dwordx4 off, v[18:21], s12
	scratch_store_dwordx4 off, v[22:25], s5
	s_cbranch_scc1 .LBB124_622
.LBB124_623:
	s_or_b64 exec, exec, s[0:1]
	s_barrier
	scratch_load_dwordx4 v[0:3], off, s65
	v_lshl_add_u32 v4, v17, 4, v14
	s_cmp_lt_i32 s52, 27
	s_waitcnt vmcnt(0)
	ds_write2_b64 v4, v[0:1], v[2:3] offset1:1
	s_waitcnt lgkmcnt(0)
	s_barrier
	ds_read2_b64 v[0:3], v14 offset0:50 offset1:51
	v_mov_b32_e32 v4, 25
	s_cbranch_scc1 .LBB124_626
; %bb.624:
	v_add_u32_e32 v5, 0x1a0, v14
	s_mov_b32 s4, 26
	v_mov_b32_e32 v4, 25
.LBB124_625:                            ; =>This Inner Loop Header: Depth=1
	ds_read2_b64 v[18:21], v5 offset1:1
	s_waitcnt lgkmcnt(1)
	v_xor_b32_e32 v7, 0x80000000, v1
	v_xor_b32_e32 v23, 0x80000000, v3
	v_cmp_gt_f64_e32 vcc, 0, v[2:3]
	v_cmp_gt_f64_e64 s[0:1], 0, v[0:1]
	v_mov_b32_e32 v6, v0
	v_mov_b32_e32 v22, v2
	v_cndmask_b32_e64 v7, v1, v7, s[0:1]
	v_cndmask_b32_e32 v23, v3, v23, vcc
	v_add_f64 v[6:7], v[6:7], v[22:23]
	s_waitcnt lgkmcnt(0)
	v_xor_b32_e32 v23, 0x80000000, v19
	v_xor_b32_e32 v25, 0x80000000, v21
	v_cmp_gt_f64_e32 vcc, 0, v[20:21]
	v_cmp_gt_f64_e64 s[0:1], 0, v[18:19]
	v_mov_b32_e32 v22, v18
	v_mov_b32_e32 v24, v20
	v_cndmask_b32_e64 v23, v19, v23, s[0:1]
	v_cndmask_b32_e32 v25, v21, v25, vcc
	v_add_f64 v[22:23], v[22:23], v[24:25]
	v_mov_b32_e32 v26, s4
	s_add_i32 s4, s4, 1
	v_cmp_lt_f64_e32 vcc, v[6:7], v[22:23]
	v_add_u32_e32 v5, 16, v5
	s_cmp_lg_u32 s52, s4
	v_cndmask_b32_e32 v1, v1, v19, vcc
	v_cndmask_b32_e32 v0, v0, v18, vcc
	;; [unrolled: 1-line block ×5, first 2 shown]
	s_cbranch_scc1 .LBB124_625
.LBB124_626:
	s_waitcnt lgkmcnt(0)
	v_cmp_eq_f64_e32 vcc, 0, v[0:1]
	v_cmp_eq_f64_e64 s[0:1], 0, v[2:3]
	s_and_b64 s[0:1], vcc, s[0:1]
	s_and_saveexec_b64 s[4:5], s[0:1]
	s_xor_b64 s[0:1], exec, s[4:5]
; %bb.627:
	v_cmp_ne_u32_e32 vcc, 0, v15
	s_nop 1
	v_cndmask_b32_e32 v15, 26, v15, vcc
; %bb.628:
	s_andn2_saveexec_b64 s[0:1], s[0:1]
	s_cbranch_execz .LBB124_634
; %bb.629:
	v_cmp_ngt_f64_e64 s[4:5], |v[0:1]|, |v[2:3]|
	s_and_saveexec_b64 s[12:13], s[4:5]
	s_xor_b64 s[12:13], exec, s[12:13]
	s_cbranch_execz .LBB124_631
; %bb.630:
	v_div_scale_f64 v[6:7], s[4:5], v[2:3], v[2:3], v[0:1]
	v_rcp_f64_e32 v[18:19], v[6:7]
	v_div_scale_f64 v[20:21], vcc, v[0:1], v[2:3], v[0:1]
	v_fma_f64 v[22:23], -v[6:7], v[18:19], 1.0
	v_fmac_f64_e32 v[18:19], v[18:19], v[22:23]
	v_fma_f64 v[22:23], -v[6:7], v[18:19], 1.0
	v_fmac_f64_e32 v[18:19], v[18:19], v[22:23]
	v_mul_f64 v[22:23], v[20:21], v[18:19]
	v_fma_f64 v[6:7], -v[6:7], v[22:23], v[20:21]
	v_div_fmas_f64 v[6:7], v[6:7], v[18:19], v[22:23]
	v_div_fixup_f64 v[6:7], v[6:7], v[2:3], v[0:1]
	v_fmac_f64_e32 v[2:3], v[0:1], v[6:7]
	v_div_scale_f64 v[0:1], s[4:5], v[2:3], v[2:3], 1.0
	v_rcp_f64_e32 v[18:19], v[0:1]
	s_nop 0
	v_fma_f64 v[20:21], -v[0:1], v[18:19], 1.0
	v_fmac_f64_e32 v[18:19], v[18:19], v[20:21]
	v_fma_f64 v[20:21], -v[0:1], v[18:19], 1.0
	v_fmac_f64_e32 v[18:19], v[18:19], v[20:21]
	v_div_scale_f64 v[20:21], vcc, 1.0, v[2:3], 1.0
	v_mul_f64 v[22:23], v[20:21], v[18:19]
	v_fma_f64 v[0:1], -v[0:1], v[22:23], v[20:21]
	s_nop 1
	v_div_fmas_f64 v[0:1], v[0:1], v[18:19], v[22:23]
	v_div_fixup_f64 v[2:3], v[0:1], v[2:3], 1.0
	v_mul_f64 v[0:1], v[6:7], v[2:3]
	v_xor_b32_e32 v3, 0x80000000, v3
.LBB124_631:
	s_andn2_saveexec_b64 s[12:13], s[12:13]
	s_cbranch_execz .LBB124_633
; %bb.632:
	v_div_scale_f64 v[6:7], s[4:5], v[0:1], v[0:1], v[2:3]
	v_rcp_f64_e32 v[18:19], v[6:7]
	v_div_scale_f64 v[20:21], vcc, v[2:3], v[0:1], v[2:3]
	v_fma_f64 v[22:23], -v[6:7], v[18:19], 1.0
	v_fmac_f64_e32 v[18:19], v[18:19], v[22:23]
	v_fma_f64 v[22:23], -v[6:7], v[18:19], 1.0
	v_fmac_f64_e32 v[18:19], v[18:19], v[22:23]
	v_mul_f64 v[22:23], v[20:21], v[18:19]
	v_fma_f64 v[6:7], -v[6:7], v[22:23], v[20:21]
	v_div_fmas_f64 v[6:7], v[6:7], v[18:19], v[22:23]
	v_div_fixup_f64 v[6:7], v[6:7], v[0:1], v[2:3]
	v_fmac_f64_e32 v[0:1], v[2:3], v[6:7]
	v_div_scale_f64 v[2:3], s[4:5], v[0:1], v[0:1], 1.0
	v_rcp_f64_e32 v[18:19], v[2:3]
	s_nop 0
	v_fma_f64 v[20:21], -v[2:3], v[18:19], 1.0
	v_fmac_f64_e32 v[18:19], v[18:19], v[20:21]
	v_fma_f64 v[20:21], -v[2:3], v[18:19], 1.0
	v_fmac_f64_e32 v[18:19], v[18:19], v[20:21]
	v_div_scale_f64 v[20:21], vcc, 1.0, v[0:1], 1.0
	v_mul_f64 v[22:23], v[20:21], v[18:19]
	v_fma_f64 v[2:3], -v[2:3], v[22:23], v[20:21]
	s_nop 1
	v_div_fmas_f64 v[2:3], v[2:3], v[18:19], v[22:23]
	v_div_fixup_f64 v[0:1], v[2:3], v[0:1], 1.0
	v_mul_f64 v[2:3], v[6:7], -v[0:1]
.LBB124_633:
	s_or_b64 exec, exec, s[12:13]
.LBB124_634:
	s_or_b64 exec, exec, s[0:1]
	v_cmp_ne_u32_e32 vcc, v17, v4
	s_and_saveexec_b64 s[0:1], vcc
	s_xor_b64 s[0:1], exec, s[0:1]
	s_cbranch_execz .LBB124_640
; %bb.635:
	v_cmp_eq_u32_e32 vcc, 25, v17
	s_and_saveexec_b64 s[12:13], vcc
	s_cbranch_execz .LBB124_639
; %bb.636:
	v_cmp_ne_u32_e32 vcc, 25, v4
	s_xor_b64 s[4:5], s[18:19], -1
	s_and_b64 s[4:5], s[4:5], vcc
	s_and_saveexec_b64 s[14:15], s[4:5]
	s_cbranch_execz .LBB124_638
; %bb.637:
	v_ashrrev_i32_e32 v5, 31, v4
	v_lshl_add_u64 v[6:7], v[4:5], 2, v[10:11]
	global_load_dword v5, v[6:7], off
	global_load_dword v16, v[10:11], off offset:100
	s_waitcnt vmcnt(1)
	global_store_dword v[10:11], v5, off offset:100
	s_waitcnt vmcnt(1)
	global_store_dword v[6:7], v16, off
.LBB124_638:
	s_or_b64 exec, exec, s[14:15]
	v_mov_b32_e32 v17, v4
	v_mov_b32_e32 v16, v4
.LBB124_639:
	s_or_b64 exec, exec, s[12:13]
.LBB124_640:
	s_andn2_saveexec_b64 s[0:1], s[0:1]
	s_cbranch_execz .LBB124_646
; %bb.641:
	s_mov_b32 s4, 0
	v_add_u32_e32 v4, 0x1a0, v14
	s_branch .LBB124_643
.LBB124_642:                            ;   in Loop: Header=BB124_643 Depth=1
	s_andn2_b64 vcc, exec, s[12:13]
	s_cbranch_vccz .LBB124_645
.LBB124_643:                            ; =>This Inner Loop Header: Depth=1
	s_add_i32 s12, s4, 0x1a0
	s_add_i32 s13, s4, 0x1b0
	scratch_load_dwordx4 v[18:21], off, s12
	scratch_load_dwordx4 v[22:25], off, s13
	s_add_i32 s12, s4, 0x1c0
	s_add_i32 s13, s4, 0x1d0
	scratch_load_dwordx4 v[26:29], off, s12
	scratch_load_dwordx4 v[30:33], off, s13
	s_add_i32 s12, s4, 0x1e0
	scratch_load_dwordx4 v[34:37], off, s12
	s_mov_b32 s5, s4
	v_add_u32_e32 v5, s4, v4
	s_cmpk_eq_i32 s4, 0x200
	s_mov_b64 s[12:13], -1
	s_waitcnt vmcnt(4)
	ds_write2_b64 v5, v[18:19], v[20:21] offset1:1
	s_waitcnt vmcnt(3)
	ds_write2_b64 v5, v[22:23], v[24:25] offset0:2 offset1:3
	s_waitcnt vmcnt(2)
	ds_write2_b64 v5, v[26:27], v[28:29] offset0:4 offset1:5
	;; [unrolled: 2-line block ×4, first 2 shown]
	s_cbranch_scc1 .LBB124_642
; %bb.644:                              ;   in Loop: Header=BB124_643 Depth=1
	s_add_i32 s12, s5, 0x1f0
	s_add_i32 s13, s5, 0x200
	scratch_load_dwordx4 v[18:21], off, s12
	scratch_load_dwordx4 v[22:25], off, s13
	s_addk_i32 s5, 0x210
	scratch_load_dwordx4 v[26:29], off, s5
	s_addk_i32 s4, 0x80
	s_mov_b64 s[12:13], 0
	s_waitcnt vmcnt(2)
	ds_write2_b64 v5, v[18:19], v[20:21] offset0:10 offset1:11
	s_waitcnt vmcnt(1)
	ds_write2_b64 v5, v[22:23], v[24:25] offset0:12 offset1:13
	;; [unrolled: 2-line block ×3, first 2 shown]
	s_branch .LBB124_642
.LBB124_645:
	v_mov_b32_e32 v17, 25
.LBB124_646:
	s_or_b64 exec, exec, s[0:1]
	v_cmp_lt_i32_e32 vcc, 25, v17
	s_waitcnt lgkmcnt(0)
	s_barrier
	s_and_saveexec_b64 s[0:1], vcc
	s_cbranch_execz .LBB124_651
; %bb.647:
	scratch_load_dwordx4 v[18:21], off, off offset:400
	s_mov_b32 s14, 0
	s_waitcnt vmcnt(0)
	v_mul_f64 v[4:5], v[2:3], v[20:21]
	v_mul_f64 v[6:7], v[0:1], v[20:21]
	v_fma_f64 v[4:5], v[0:1], v[18:19], -v[4:5]
	v_fmac_f64_e32 v[6:7], v[2:3], v[18:19]
	v_add_u32_e32 v0, 0x1a0, v14
	scratch_store_dwordx4 off, v[4:7], off offset:400
	s_branch .LBB124_649
.LBB124_648:                            ;   in Loop: Header=BB124_649 Depth=1
	s_andn2_b64 vcc, exec, s[12:13]
	s_cbranch_vccz .LBB124_651
.LBB124_649:                            ; =>This Inner Loop Header: Depth=1
	s_add_i32 s4, s14, 0x1a0
	scratch_load_dwordx4 v[18:21], off, s4
	s_add_i32 s5, s14, 0x1b0
	s_add_i32 s12, s14, 0x1c0
	;; [unrolled: 1-line block ×4, first 2 shown]
	scratch_load_dwordx4 v[22:25], off, s5
	scratch_load_dwordx4 v[26:29], off, s12
	;; [unrolled: 1-line block ×4, first 2 shown]
	v_add_u32_e32 v1, s14, v0
	ds_read2_b64 v[38:41], v1 offset1:1
	ds_read2_b64 v[42:45], v1 offset0:2 offset1:3
	ds_read2_b64 v[46:49], v1 offset0:4 offset1:5
	;; [unrolled: 1-line block ×4, first 2 shown]
	s_waitcnt lgkmcnt(4)
	v_mul_f64 v[2:3], v[40:41], v[6:7]
	v_mul_f64 v[58:59], v[38:39], v[6:7]
	s_waitcnt lgkmcnt(3)
	v_mul_f64 v[60:61], v[44:45], v[6:7]
	v_mul_f64 v[62:63], v[42:43], v[6:7]
	;; [unrolled: 3-line block ×5, first 2 shown]
	v_fma_f64 v[2:3], v[38:39], v[4:5], -v[2:3]
	v_fmac_f64_e32 v[58:59], v[40:41], v[4:5]
	v_fma_f64 v[38:39], v[42:43], v[4:5], -v[60:61]
	v_fmac_f64_e32 v[62:63], v[44:45], v[4:5]
	;; [unrolled: 2-line block ×5, first 2 shown]
	s_mov_b32 s15, s14
	s_cmpk_eq_i32 s14, 0x200
	s_waitcnt vmcnt(4)
	v_add_f64 v[18:19], v[18:19], -v[2:3]
	v_add_f64 v[20:21], v[20:21], -v[58:59]
	s_waitcnt vmcnt(3)
	v_add_f64 v[22:23], v[22:23], -v[38:39]
	v_add_f64 v[24:25], v[24:25], -v[62:63]
	;; [unrolled: 3-line block ×5, first 2 shown]
	scratch_store_dwordx4 off, v[18:21], s4
	scratch_store_dwordx4 off, v[22:25], s5
	;; [unrolled: 1-line block ×5, first 2 shown]
	s_mov_b64 s[12:13], -1
	s_cbranch_scc1 .LBB124_648
; %bb.650:                              ;   in Loop: Header=BB124_649 Depth=1
	s_add_i32 s4, s15, 0x1f0
	scratch_load_dwordx4 v[18:21], off, s4
	s_add_i32 s5, s15, 0x200
	s_addk_i32 s15, 0x210
	scratch_load_dwordx4 v[22:25], off, s5
	scratch_load_dwordx4 v[26:29], off, s15
	ds_read2_b64 v[30:33], v1 offset0:10 offset1:11
	ds_read2_b64 v[34:37], v1 offset0:12 offset1:13
	;; [unrolled: 1-line block ×3, first 2 shown]
	s_addk_i32 s14, 0x80
	s_mov_b64 s[12:13], 0
	s_waitcnt lgkmcnt(2)
	v_mul_f64 v[2:3], v[32:33], v[6:7]
	v_mul_f64 v[42:43], v[30:31], v[6:7]
	s_waitcnt lgkmcnt(1)
	v_mul_f64 v[44:45], v[36:37], v[6:7]
	v_mul_f64 v[46:47], v[34:35], v[6:7]
	;; [unrolled: 3-line block ×3, first 2 shown]
	v_fma_f64 v[2:3], v[30:31], v[4:5], -v[2:3]
	v_fmac_f64_e32 v[42:43], v[32:33], v[4:5]
	v_fma_f64 v[30:31], v[34:35], v[4:5], -v[44:45]
	v_fmac_f64_e32 v[46:47], v[36:37], v[4:5]
	;; [unrolled: 2-line block ×3, first 2 shown]
	s_waitcnt vmcnt(2)
	v_add_f64 v[18:19], v[18:19], -v[2:3]
	v_add_f64 v[20:21], v[20:21], -v[42:43]
	s_waitcnt vmcnt(1)
	v_add_f64 v[22:23], v[22:23], -v[30:31]
	v_add_f64 v[24:25], v[24:25], -v[46:47]
	;; [unrolled: 3-line block ×3, first 2 shown]
	scratch_store_dwordx4 off, v[18:21], s4
	scratch_store_dwordx4 off, v[22:25], s5
	;; [unrolled: 1-line block ×3, first 2 shown]
	s_branch .LBB124_648
.LBB124_651:
	s_or_b64 exec, exec, s[0:1]
	s_barrier
	scratch_load_dwordx4 v[0:3], off, s64
	v_lshl_add_u32 v4, v17, 4, v14
	s_cmp_lt_i32 s52, 28
	s_waitcnt vmcnt(0)
	ds_write2_b64 v4, v[0:1], v[2:3] offset1:1
	s_waitcnt lgkmcnt(0)
	s_barrier
	ds_read2_b64 v[0:3], v14 offset0:52 offset1:53
	v_mov_b32_e32 v4, 26
	s_cbranch_scc1 .LBB124_654
; %bb.652:
	v_add_u32_e32 v5, 0x1b0, v14
	s_mov_b32 s4, 27
	v_mov_b32_e32 v4, 26
.LBB124_653:                            ; =>This Inner Loop Header: Depth=1
	ds_read2_b64 v[18:21], v5 offset1:1
	s_waitcnt lgkmcnt(1)
	v_xor_b32_e32 v7, 0x80000000, v1
	v_xor_b32_e32 v23, 0x80000000, v3
	v_cmp_gt_f64_e32 vcc, 0, v[2:3]
	v_cmp_gt_f64_e64 s[0:1], 0, v[0:1]
	v_mov_b32_e32 v6, v0
	v_mov_b32_e32 v22, v2
	v_cndmask_b32_e64 v7, v1, v7, s[0:1]
	v_cndmask_b32_e32 v23, v3, v23, vcc
	v_add_f64 v[6:7], v[6:7], v[22:23]
	s_waitcnt lgkmcnt(0)
	v_xor_b32_e32 v23, 0x80000000, v19
	v_xor_b32_e32 v25, 0x80000000, v21
	v_cmp_gt_f64_e32 vcc, 0, v[20:21]
	v_cmp_gt_f64_e64 s[0:1], 0, v[18:19]
	v_mov_b32_e32 v22, v18
	v_mov_b32_e32 v24, v20
	v_cndmask_b32_e64 v23, v19, v23, s[0:1]
	v_cndmask_b32_e32 v25, v21, v25, vcc
	v_add_f64 v[22:23], v[22:23], v[24:25]
	v_mov_b32_e32 v26, s4
	s_add_i32 s4, s4, 1
	v_cmp_lt_f64_e32 vcc, v[6:7], v[22:23]
	v_add_u32_e32 v5, 16, v5
	s_cmp_lg_u32 s52, s4
	v_cndmask_b32_e32 v1, v1, v19, vcc
	v_cndmask_b32_e32 v0, v0, v18, vcc
	;; [unrolled: 1-line block ×5, first 2 shown]
	s_cbranch_scc1 .LBB124_653
.LBB124_654:
	s_waitcnt lgkmcnt(0)
	v_cmp_eq_f64_e32 vcc, 0, v[0:1]
	v_cmp_eq_f64_e64 s[0:1], 0, v[2:3]
	s_and_b64 s[0:1], vcc, s[0:1]
	s_and_saveexec_b64 s[4:5], s[0:1]
	s_xor_b64 s[0:1], exec, s[4:5]
; %bb.655:
	v_cmp_ne_u32_e32 vcc, 0, v15
	s_nop 1
	v_cndmask_b32_e32 v15, 27, v15, vcc
; %bb.656:
	s_andn2_saveexec_b64 s[0:1], s[0:1]
	s_cbranch_execz .LBB124_662
; %bb.657:
	v_cmp_ngt_f64_e64 s[4:5], |v[0:1]|, |v[2:3]|
	s_and_saveexec_b64 s[12:13], s[4:5]
	s_xor_b64 s[12:13], exec, s[12:13]
	s_cbranch_execz .LBB124_659
; %bb.658:
	v_div_scale_f64 v[6:7], s[4:5], v[2:3], v[2:3], v[0:1]
	v_rcp_f64_e32 v[18:19], v[6:7]
	v_div_scale_f64 v[20:21], vcc, v[0:1], v[2:3], v[0:1]
	v_fma_f64 v[22:23], -v[6:7], v[18:19], 1.0
	v_fmac_f64_e32 v[18:19], v[18:19], v[22:23]
	v_fma_f64 v[22:23], -v[6:7], v[18:19], 1.0
	v_fmac_f64_e32 v[18:19], v[18:19], v[22:23]
	v_mul_f64 v[22:23], v[20:21], v[18:19]
	v_fma_f64 v[6:7], -v[6:7], v[22:23], v[20:21]
	v_div_fmas_f64 v[6:7], v[6:7], v[18:19], v[22:23]
	v_div_fixup_f64 v[6:7], v[6:7], v[2:3], v[0:1]
	v_fmac_f64_e32 v[2:3], v[0:1], v[6:7]
	v_div_scale_f64 v[0:1], s[4:5], v[2:3], v[2:3], 1.0
	v_rcp_f64_e32 v[18:19], v[0:1]
	s_nop 0
	v_fma_f64 v[20:21], -v[0:1], v[18:19], 1.0
	v_fmac_f64_e32 v[18:19], v[18:19], v[20:21]
	v_fma_f64 v[20:21], -v[0:1], v[18:19], 1.0
	v_fmac_f64_e32 v[18:19], v[18:19], v[20:21]
	v_div_scale_f64 v[20:21], vcc, 1.0, v[2:3], 1.0
	v_mul_f64 v[22:23], v[20:21], v[18:19]
	v_fma_f64 v[0:1], -v[0:1], v[22:23], v[20:21]
	s_nop 1
	v_div_fmas_f64 v[0:1], v[0:1], v[18:19], v[22:23]
	v_div_fixup_f64 v[2:3], v[0:1], v[2:3], 1.0
	v_mul_f64 v[0:1], v[6:7], v[2:3]
	v_xor_b32_e32 v3, 0x80000000, v3
.LBB124_659:
	s_andn2_saveexec_b64 s[12:13], s[12:13]
	s_cbranch_execz .LBB124_661
; %bb.660:
	v_div_scale_f64 v[6:7], s[4:5], v[0:1], v[0:1], v[2:3]
	v_rcp_f64_e32 v[18:19], v[6:7]
	v_div_scale_f64 v[20:21], vcc, v[2:3], v[0:1], v[2:3]
	v_fma_f64 v[22:23], -v[6:7], v[18:19], 1.0
	v_fmac_f64_e32 v[18:19], v[18:19], v[22:23]
	v_fma_f64 v[22:23], -v[6:7], v[18:19], 1.0
	v_fmac_f64_e32 v[18:19], v[18:19], v[22:23]
	v_mul_f64 v[22:23], v[20:21], v[18:19]
	v_fma_f64 v[6:7], -v[6:7], v[22:23], v[20:21]
	v_div_fmas_f64 v[6:7], v[6:7], v[18:19], v[22:23]
	v_div_fixup_f64 v[6:7], v[6:7], v[0:1], v[2:3]
	v_fmac_f64_e32 v[0:1], v[2:3], v[6:7]
	v_div_scale_f64 v[2:3], s[4:5], v[0:1], v[0:1], 1.0
	v_rcp_f64_e32 v[18:19], v[2:3]
	s_nop 0
	v_fma_f64 v[20:21], -v[2:3], v[18:19], 1.0
	v_fmac_f64_e32 v[18:19], v[18:19], v[20:21]
	v_fma_f64 v[20:21], -v[2:3], v[18:19], 1.0
	v_fmac_f64_e32 v[18:19], v[18:19], v[20:21]
	v_div_scale_f64 v[20:21], vcc, 1.0, v[0:1], 1.0
	v_mul_f64 v[22:23], v[20:21], v[18:19]
	v_fma_f64 v[2:3], -v[2:3], v[22:23], v[20:21]
	s_nop 1
	v_div_fmas_f64 v[2:3], v[2:3], v[18:19], v[22:23]
	v_div_fixup_f64 v[0:1], v[2:3], v[0:1], 1.0
	v_mul_f64 v[2:3], v[6:7], -v[0:1]
.LBB124_661:
	s_or_b64 exec, exec, s[12:13]
.LBB124_662:
	s_or_b64 exec, exec, s[0:1]
	v_cmp_ne_u32_e32 vcc, v17, v4
	s_and_saveexec_b64 s[0:1], vcc
	s_xor_b64 s[0:1], exec, s[0:1]
	s_cbranch_execz .LBB124_668
; %bb.663:
	v_cmp_eq_u32_e32 vcc, 26, v17
	s_and_saveexec_b64 s[12:13], vcc
	s_cbranch_execz .LBB124_667
; %bb.664:
	v_cmp_ne_u32_e32 vcc, 26, v4
	s_xor_b64 s[4:5], s[18:19], -1
	s_and_b64 s[4:5], s[4:5], vcc
	s_and_saveexec_b64 s[14:15], s[4:5]
	s_cbranch_execz .LBB124_666
; %bb.665:
	v_ashrrev_i32_e32 v5, 31, v4
	v_lshl_add_u64 v[6:7], v[4:5], 2, v[10:11]
	global_load_dword v5, v[6:7], off
	global_load_dword v16, v[10:11], off offset:104
	s_waitcnt vmcnt(1)
	global_store_dword v[10:11], v5, off offset:104
	s_waitcnt vmcnt(1)
	global_store_dword v[6:7], v16, off
.LBB124_666:
	s_or_b64 exec, exec, s[14:15]
	v_mov_b32_e32 v17, v4
	v_mov_b32_e32 v16, v4
.LBB124_667:
	s_or_b64 exec, exec, s[12:13]
.LBB124_668:
	s_andn2_saveexec_b64 s[0:1], s[0:1]
	s_cbranch_execz .LBB124_670
; %bb.669:
	scratch_load_dwordx4 v[4:7], off, s61
	scratch_load_dwordx4 v[18:21], off, s66
	;; [unrolled: 1-line block ×21, first 2 shown]
	v_mov_b32_e32 v17, 26
	s_waitcnt vmcnt(20)
	ds_write2_b64 v14, v[4:5], v[6:7] offset0:54 offset1:55
	scratch_load_dwordx4 v[4:7], off, s35
	s_waitcnt vmcnt(20)
	ds_write2_b64 v14, v[18:19], v[20:21] offset0:56 offset1:57
	scratch_load_dwordx4 v[18:21], off, s34
	;; [unrolled: 3-line block ×15, first 2 shown]
	s_waitcnt vmcnt(20)
	ds_write2_b64 v14, v[74:75], v[76:77] offset0:84 offset1:85
	s_waitcnt vmcnt(19)
	ds_write2_b64 v14, v[78:79], v[80:81] offset0:86 offset1:87
	s_waitcnt vmcnt(18)
	ds_write2_b64 v14, v[82:83], v[84:85] offset0:88 offset1:89
	s_waitcnt vmcnt(17)
	ds_write2_b64 v14, v[86:87], v[88:89] offset0:90 offset1:91
	s_waitcnt vmcnt(16)
	ds_write2_b64 v14, v[90:91], v[92:93] offset0:92 offset1:93
	s_waitcnt vmcnt(15)
	ds_write2_b64 v14, v[94:95], v[96:97] offset0:94 offset1:95
	s_waitcnt vmcnt(14)
	ds_write2_b64 v14, v[4:5], v[6:7] offset0:96 offset1:97
	s_waitcnt vmcnt(13)
	ds_write2_b64 v14, v[18:19], v[20:21] offset0:98 offset1:99
	s_waitcnt vmcnt(12)
	ds_write2_b64 v14, v[22:23], v[24:25] offset0:100 offset1:101
	s_waitcnt vmcnt(11)
	ds_write2_b64 v14, v[26:27], v[28:29] offset0:102 offset1:103
	s_waitcnt vmcnt(10)
	ds_write2_b64 v14, v[30:31], v[32:33] offset0:104 offset1:105
	s_waitcnt vmcnt(9)
	ds_write2_b64 v14, v[34:35], v[36:37] offset0:106 offset1:107
	s_waitcnt vmcnt(8)
	ds_write2_b64 v14, v[38:39], v[40:41] offset0:108 offset1:109
	s_waitcnt vmcnt(7)
	ds_write2_b64 v14, v[42:43], v[44:45] offset0:110 offset1:111
	s_waitcnt vmcnt(6)
	ds_write2_b64 v14, v[46:47], v[48:49] offset0:112 offset1:113
	s_waitcnt vmcnt(5)
	ds_write2_b64 v14, v[50:51], v[52:53] offset0:114 offset1:115
	s_waitcnt vmcnt(4)
	ds_write2_b64 v14, v[54:55], v[56:57] offset0:116 offset1:117
	s_waitcnt vmcnt(3)
	ds_write2_b64 v14, v[58:59], v[60:61] offset0:118 offset1:119
	s_waitcnt vmcnt(2)
	ds_write2_b64 v14, v[62:63], v[64:65] offset0:120 offset1:121
	s_waitcnt vmcnt(1)
	ds_write2_b64 v14, v[66:67], v[68:69] offset0:122 offset1:123
	s_waitcnt vmcnt(0)
	ds_write2_b64 v14, v[70:71], v[72:73] offset0:124 offset1:125
.LBB124_670:
	s_or_b64 exec, exec, s[0:1]
	v_cmp_lt_i32_e32 vcc, 26, v17
	s_waitcnt lgkmcnt(0)
	s_barrier
	s_and_saveexec_b64 s[0:1], vcc
	s_cbranch_execz .LBB124_673
; %bb.671:
	scratch_load_dwordx4 v[18:21], off, off offset:416
	s_mov_b32 s12, 0
	s_waitcnt vmcnt(0)
	v_mul_f64 v[4:5], v[2:3], v[20:21]
	v_mul_f64 v[6:7], v[0:1], v[20:21]
	v_fma_f64 v[4:5], v[0:1], v[18:19], -v[4:5]
	v_fmac_f64_e32 v[6:7], v[2:3], v[18:19]
	v_add_u32_e32 v0, 0x1b0, v14
	scratch_store_dwordx4 off, v[4:7], off offset:416
.LBB124_672:                            ; =>This Inner Loop Header: Depth=1
	v_add_u32_e32 v1, s12, v0
	ds_read2_b64 v[18:21], v1 offset1:1
	ds_read2_b64 v[22:25], v1 offset0:2 offset1:3
	ds_read2_b64 v[26:29], v1 offset0:4 offset1:5
	;; [unrolled: 1-line block ×5, first 2 shown]
	s_add_i32 s13, s12, 0x1b0
	s_waitcnt lgkmcnt(5)
	v_mul_f64 v[2:3], v[20:21], v[6:7]
	v_mul_f64 v[74:75], v[18:19], v[6:7]
	s_waitcnt lgkmcnt(4)
	v_mul_f64 v[76:77], v[24:25], v[6:7]
	v_mul_f64 v[78:79], v[22:23], v[6:7]
	;; [unrolled: 3-line block ×6, first 2 shown]
	s_add_i32 s14, s12, 0x1c0
	s_add_i32 s15, s12, 0x1d0
	s_add_i32 s5, s12, 0x1e0
	s_add_i32 s16, s12, 0x1f0
	s_add_i32 s67, s12, 0x200
	s_add_i32 s68, s12, 0x210
	s_add_i32 s69, s12, 0x220
	s_add_i32 s4, s12, 0x230
	scratch_load_dwordx4 v[42:45], off, s13
	scratch_load_dwordx4 v[46:49], off, s14
	;; [unrolled: 1-line block ×8, first 2 shown]
	v_fma_f64 v[2:3], v[18:19], v[4:5], -v[2:3]
	v_fmac_f64_e32 v[74:75], v[20:21], v[4:5]
	v_fma_f64 v[76:77], v[22:23], v[4:5], -v[76:77]
	v_fmac_f64_e32 v[78:79], v[24:25], v[4:5]
	v_fma_f64 v[80:81], v[26:27], v[4:5], -v[80:81]
	v_fmac_f64_e32 v[82:83], v[28:29], v[4:5]
	v_fma_f64 v[84:85], v[30:31], v[4:5], -v[84:85]
	v_fmac_f64_e32 v[86:87], v[32:33], v[4:5]
	v_fma_f64 v[88:89], v[34:35], v[4:5], -v[88:89]
	v_fmac_f64_e32 v[90:91], v[36:37], v[4:5]
	v_fma_f64 v[92:93], v[38:39], v[4:5], -v[92:93]
	v_fmac_f64_e32 v[94:95], v[40:41], v[4:5]
	scratch_load_dwordx4 v[4:7], off, off offset:416
	scratch_load_dwordx4 v[18:21], off, s4
	ds_read2_b64 v[22:25], v1 offset0:12 offset1:13
	ds_read2_b64 v[26:29], v1 offset0:14 offset1:15
	;; [unrolled: 1-line block ×3, first 2 shown]
	s_addk_i32 s12, 0x90
	s_cmpk_lg_i32 s12, 0x240
	s_waitcnt vmcnt(9)
	v_add_f64 v[34:35], v[42:43], -v[2:3]
	v_add_f64 v[36:37], v[44:45], -v[74:75]
	s_waitcnt vmcnt(8)
	v_add_f64 v[38:39], v[46:47], -v[76:77]
	v_add_f64 v[40:41], v[48:49], -v[78:79]
	s_waitcnt vmcnt(7)
	v_add_f64 v[42:43], v[50:51], -v[80:81]
	v_add_f64 v[44:45], v[52:53], -v[82:83]
	s_waitcnt vmcnt(6)
	v_add_f64 v[46:47], v[54:55], -v[84:85]
	v_add_f64 v[48:49], v[56:57], -v[86:87]
	s_waitcnt vmcnt(5)
	v_add_f64 v[50:51], v[58:59], -v[88:89]
	v_add_f64 v[52:53], v[60:61], -v[90:91]
	s_waitcnt vmcnt(4)
	v_add_f64 v[54:55], v[62:63], -v[92:93]
	v_add_f64 v[56:57], v[64:65], -v[94:95]
	scratch_store_dwordx4 off, v[34:37], s13
	scratch_store_dwordx4 off, v[38:41], s14
	;; [unrolled: 1-line block ×6, first 2 shown]
	s_waitcnt vmcnt(7) lgkmcnt(2)
	v_mul_f64 v[2:3], v[24:25], v[6:7]
	v_mul_f64 v[34:35], v[22:23], v[6:7]
	s_waitcnt lgkmcnt(1)
	v_mul_f64 v[36:37], v[28:29], v[6:7]
	v_mul_f64 v[38:39], v[26:27], v[6:7]
	s_waitcnt lgkmcnt(0)
	v_mul_f64 v[40:41], v[32:33], v[6:7]
	v_mul_f64 v[42:43], v[30:31], v[6:7]
	v_fma_f64 v[2:3], v[22:23], v[4:5], -v[2:3]
	v_fmac_f64_e32 v[34:35], v[24:25], v[4:5]
	v_fma_f64 v[26:27], v[26:27], v[4:5], -v[36:37]
	v_fmac_f64_e32 v[38:39], v[28:29], v[4:5]
	v_fma_f64 v[30:31], v[30:31], v[4:5], -v[40:41]
	v_fmac_f64_e32 v[42:43], v[32:33], v[4:5]
	v_add_f64 v[22:23], v[66:67], -v[2:3]
	v_add_f64 v[24:25], v[68:69], -v[34:35]
	;; [unrolled: 1-line block ×4, first 2 shown]
	s_waitcnt vmcnt(6)
	v_add_f64 v[18:19], v[18:19], -v[30:31]
	v_add_f64 v[20:21], v[20:21], -v[42:43]
	scratch_store_dwordx4 off, v[22:25], s68
	scratch_store_dwordx4 off, v[26:29], s69
	;; [unrolled: 1-line block ×3, first 2 shown]
	s_cbranch_scc1 .LBB124_672
.LBB124_673:
	s_or_b64 exec, exec, s[0:1]
	s_barrier
	scratch_load_dwordx4 v[0:3], off, s61
	v_lshl_add_u32 v4, v17, 4, v14
	s_cmp_lt_i32 s52, 29
	s_waitcnt vmcnt(0)
	ds_write2_b64 v4, v[0:1], v[2:3] offset1:1
	s_waitcnt lgkmcnt(0)
	s_barrier
	ds_read2_b64 v[0:3], v14 offset0:54 offset1:55
	v_mov_b32_e32 v4, 27
	s_cbranch_scc1 .LBB124_676
; %bb.674:
	v_add_u32_e32 v5, 0x1c0, v14
	s_mov_b32 s4, 28
	v_mov_b32_e32 v4, 27
.LBB124_675:                            ; =>This Inner Loop Header: Depth=1
	ds_read2_b64 v[18:21], v5 offset1:1
	s_waitcnt lgkmcnt(1)
	v_xor_b32_e32 v7, 0x80000000, v1
	v_xor_b32_e32 v23, 0x80000000, v3
	v_cmp_gt_f64_e32 vcc, 0, v[2:3]
	v_cmp_gt_f64_e64 s[0:1], 0, v[0:1]
	v_mov_b32_e32 v6, v0
	v_mov_b32_e32 v22, v2
	v_cndmask_b32_e64 v7, v1, v7, s[0:1]
	v_cndmask_b32_e32 v23, v3, v23, vcc
	v_add_f64 v[6:7], v[6:7], v[22:23]
	s_waitcnt lgkmcnt(0)
	v_xor_b32_e32 v23, 0x80000000, v19
	v_xor_b32_e32 v25, 0x80000000, v21
	v_cmp_gt_f64_e32 vcc, 0, v[20:21]
	v_cmp_gt_f64_e64 s[0:1], 0, v[18:19]
	v_mov_b32_e32 v22, v18
	v_mov_b32_e32 v24, v20
	v_cndmask_b32_e64 v23, v19, v23, s[0:1]
	v_cndmask_b32_e32 v25, v21, v25, vcc
	v_add_f64 v[22:23], v[22:23], v[24:25]
	v_mov_b32_e32 v26, s4
	s_add_i32 s4, s4, 1
	v_cmp_lt_f64_e32 vcc, v[6:7], v[22:23]
	v_add_u32_e32 v5, 16, v5
	s_cmp_lg_u32 s52, s4
	v_cndmask_b32_e32 v1, v1, v19, vcc
	v_cndmask_b32_e32 v0, v0, v18, vcc
	;; [unrolled: 1-line block ×5, first 2 shown]
	s_cbranch_scc1 .LBB124_675
.LBB124_676:
	s_waitcnt lgkmcnt(0)
	v_cmp_eq_f64_e32 vcc, 0, v[0:1]
	v_cmp_eq_f64_e64 s[0:1], 0, v[2:3]
	s_and_b64 s[0:1], vcc, s[0:1]
	s_and_saveexec_b64 s[4:5], s[0:1]
	s_xor_b64 s[0:1], exec, s[4:5]
; %bb.677:
	v_cmp_ne_u32_e32 vcc, 0, v15
	s_nop 1
	v_cndmask_b32_e32 v15, 28, v15, vcc
; %bb.678:
	s_andn2_saveexec_b64 s[0:1], s[0:1]
	s_cbranch_execz .LBB124_684
; %bb.679:
	v_cmp_ngt_f64_e64 s[4:5], |v[0:1]|, |v[2:3]|
	s_and_saveexec_b64 s[12:13], s[4:5]
	s_xor_b64 s[12:13], exec, s[12:13]
	s_cbranch_execz .LBB124_681
; %bb.680:
	v_div_scale_f64 v[6:7], s[4:5], v[2:3], v[2:3], v[0:1]
	v_rcp_f64_e32 v[18:19], v[6:7]
	v_div_scale_f64 v[20:21], vcc, v[0:1], v[2:3], v[0:1]
	v_fma_f64 v[22:23], -v[6:7], v[18:19], 1.0
	v_fmac_f64_e32 v[18:19], v[18:19], v[22:23]
	v_fma_f64 v[22:23], -v[6:7], v[18:19], 1.0
	v_fmac_f64_e32 v[18:19], v[18:19], v[22:23]
	v_mul_f64 v[22:23], v[20:21], v[18:19]
	v_fma_f64 v[6:7], -v[6:7], v[22:23], v[20:21]
	v_div_fmas_f64 v[6:7], v[6:7], v[18:19], v[22:23]
	v_div_fixup_f64 v[6:7], v[6:7], v[2:3], v[0:1]
	v_fmac_f64_e32 v[2:3], v[0:1], v[6:7]
	v_div_scale_f64 v[0:1], s[4:5], v[2:3], v[2:3], 1.0
	v_rcp_f64_e32 v[18:19], v[0:1]
	s_nop 0
	v_fma_f64 v[20:21], -v[0:1], v[18:19], 1.0
	v_fmac_f64_e32 v[18:19], v[18:19], v[20:21]
	v_fma_f64 v[20:21], -v[0:1], v[18:19], 1.0
	v_fmac_f64_e32 v[18:19], v[18:19], v[20:21]
	v_div_scale_f64 v[20:21], vcc, 1.0, v[2:3], 1.0
	v_mul_f64 v[22:23], v[20:21], v[18:19]
	v_fma_f64 v[0:1], -v[0:1], v[22:23], v[20:21]
	s_nop 1
	v_div_fmas_f64 v[0:1], v[0:1], v[18:19], v[22:23]
	v_div_fixup_f64 v[2:3], v[0:1], v[2:3], 1.0
	v_mul_f64 v[0:1], v[6:7], v[2:3]
	v_xor_b32_e32 v3, 0x80000000, v3
.LBB124_681:
	s_andn2_saveexec_b64 s[12:13], s[12:13]
	s_cbranch_execz .LBB124_683
; %bb.682:
	v_div_scale_f64 v[6:7], s[4:5], v[0:1], v[0:1], v[2:3]
	v_rcp_f64_e32 v[18:19], v[6:7]
	v_div_scale_f64 v[20:21], vcc, v[2:3], v[0:1], v[2:3]
	v_fma_f64 v[22:23], -v[6:7], v[18:19], 1.0
	v_fmac_f64_e32 v[18:19], v[18:19], v[22:23]
	v_fma_f64 v[22:23], -v[6:7], v[18:19], 1.0
	v_fmac_f64_e32 v[18:19], v[18:19], v[22:23]
	v_mul_f64 v[22:23], v[20:21], v[18:19]
	v_fma_f64 v[6:7], -v[6:7], v[22:23], v[20:21]
	v_div_fmas_f64 v[6:7], v[6:7], v[18:19], v[22:23]
	v_div_fixup_f64 v[6:7], v[6:7], v[0:1], v[2:3]
	v_fmac_f64_e32 v[0:1], v[2:3], v[6:7]
	v_div_scale_f64 v[2:3], s[4:5], v[0:1], v[0:1], 1.0
	v_rcp_f64_e32 v[18:19], v[2:3]
	s_nop 0
	v_fma_f64 v[20:21], -v[2:3], v[18:19], 1.0
	v_fmac_f64_e32 v[18:19], v[18:19], v[20:21]
	v_fma_f64 v[20:21], -v[2:3], v[18:19], 1.0
	v_fmac_f64_e32 v[18:19], v[18:19], v[20:21]
	v_div_scale_f64 v[20:21], vcc, 1.0, v[0:1], 1.0
	v_mul_f64 v[22:23], v[20:21], v[18:19]
	v_fma_f64 v[2:3], -v[2:3], v[22:23], v[20:21]
	s_nop 1
	v_div_fmas_f64 v[2:3], v[2:3], v[18:19], v[22:23]
	v_div_fixup_f64 v[0:1], v[2:3], v[0:1], 1.0
	v_mul_f64 v[2:3], v[6:7], -v[0:1]
.LBB124_683:
	s_or_b64 exec, exec, s[12:13]
.LBB124_684:
	s_or_b64 exec, exec, s[0:1]
	v_cmp_ne_u32_e32 vcc, v17, v4
	s_and_saveexec_b64 s[0:1], vcc
	s_xor_b64 s[0:1], exec, s[0:1]
	s_cbranch_execz .LBB124_690
; %bb.685:
	v_cmp_eq_u32_e32 vcc, 27, v17
	s_and_saveexec_b64 s[12:13], vcc
	s_cbranch_execz .LBB124_689
; %bb.686:
	v_cmp_ne_u32_e32 vcc, 27, v4
	s_xor_b64 s[4:5], s[18:19], -1
	s_and_b64 s[4:5], s[4:5], vcc
	s_and_saveexec_b64 s[14:15], s[4:5]
	s_cbranch_execz .LBB124_688
; %bb.687:
	v_ashrrev_i32_e32 v5, 31, v4
	v_lshl_add_u64 v[6:7], v[4:5], 2, v[10:11]
	global_load_dword v5, v[6:7], off
	global_load_dword v16, v[10:11], off offset:108
	s_waitcnt vmcnt(1)
	global_store_dword v[10:11], v5, off offset:108
	s_waitcnt vmcnt(1)
	global_store_dword v[6:7], v16, off
.LBB124_688:
	s_or_b64 exec, exec, s[14:15]
	v_mov_b32_e32 v17, v4
	v_mov_b32_e32 v16, v4
.LBB124_689:
	s_or_b64 exec, exec, s[12:13]
.LBB124_690:
	s_andn2_saveexec_b64 s[0:1], s[0:1]
	s_cbranch_execz .LBB124_692
; %bb.691:
	scratch_load_dwordx4 v[4:7], off, s66
	v_mov_b32_e32 v17, 27
	s_waitcnt vmcnt(0)
	ds_write2_b64 v14, v[4:5], v[6:7] offset0:56 offset1:57
	scratch_load_dwordx4 v[4:7], off, s55
	s_waitcnt vmcnt(0)
	ds_write2_b64 v14, v[4:5], v[6:7] offset0:58 offset1:59
	scratch_load_dwordx4 v[4:7], off, s54
	;; [unrolled: 3-line block ×34, first 2 shown]
	s_waitcnt vmcnt(0)
	ds_write2_b64 v14, v[4:5], v[6:7] offset0:124 offset1:125
.LBB124_692:
	s_or_b64 exec, exec, s[0:1]
	v_cmp_lt_i32_e32 vcc, 27, v17
	s_waitcnt lgkmcnt(0)
	s_barrier
	s_and_saveexec_b64 s[0:1], vcc
	s_cbranch_execz .LBB124_695
; %bb.693:
	scratch_load_dwordx4 v[18:21], off, off offset:432
	s_mov_b32 s12, 0
	s_waitcnt vmcnt(0)
	v_mul_f64 v[4:5], v[2:3], v[20:21]
	v_mul_f64 v[6:7], v[0:1], v[20:21]
	v_fma_f64 v[4:5], v[0:1], v[18:19], -v[4:5]
	v_fmac_f64_e32 v[6:7], v[2:3], v[18:19]
	v_add_u32_e32 v0, 0x1c0, v14
	scratch_store_dwordx4 off, v[4:7], off offset:432
.LBB124_694:                            ; =>This Inner Loop Header: Depth=1
	v_add_u32_e32 v1, s12, v0
	ds_read2_b64 v[18:21], v1 offset1:1
	ds_read2_b64 v[22:25], v1 offset0:2 offset1:3
	ds_read2_b64 v[26:29], v1 offset0:4 offset1:5
	ds_read2_b64 v[30:33], v1 offset0:6 offset1:7
	ds_read2_b64 v[34:37], v1 offset0:8 offset1:9
	ds_read2_b64 v[38:41], v1 offset0:10 offset1:11
	s_add_i32 s13, s12, 0x1c0
	s_add_i32 s5, s12, 0x1d0
	;; [unrolled: 1-line block ×6, first 2 shown]
	scratch_load_dwordx4 v[42:45], off, s13
	scratch_load_dwordx4 v[46:49], off, s5
	;; [unrolled: 1-line block ×6, first 2 shown]
	s_waitcnt lgkmcnt(5)
	v_mul_f64 v[2:3], v[20:21], v[6:7]
	v_mul_f64 v[66:67], v[18:19], v[6:7]
	s_waitcnt lgkmcnt(4)
	v_mul_f64 v[68:69], v[24:25], v[6:7]
	v_mul_f64 v[70:71], v[22:23], v[6:7]
	;; [unrolled: 3-line block ×6, first 2 shown]
	s_add_i32 s4, s12, 0x220
	v_fma_f64 v[2:3], v[18:19], v[4:5], -v[2:3]
	v_fmac_f64_e32 v[66:67], v[20:21], v[4:5]
	v_fma_f64 v[68:69], v[22:23], v[4:5], -v[68:69]
	v_fmac_f64_e32 v[70:71], v[24:25], v[4:5]
	;; [unrolled: 2-line block ×6, first 2 shown]
	scratch_load_dwordx4 v[4:7], off, off offset:432
	scratch_load_dwordx4 v[18:21], off, s4
	ds_read2_b64 v[22:25], v1 offset0:12 offset1:13
	s_addk_i32 s12, 0x70
	s_cmpk_lg_i32 s12, 0x230
	s_waitcnt vmcnt(7)
	v_add_f64 v[26:27], v[42:43], -v[2:3]
	v_add_f64 v[28:29], v[44:45], -v[66:67]
	s_waitcnt vmcnt(6)
	v_add_f64 v[30:31], v[46:47], -v[68:69]
	v_add_f64 v[32:33], v[48:49], -v[70:71]
	;; [unrolled: 3-line block ×6, first 2 shown]
	scratch_store_dwordx4 off, v[26:29], s13
	scratch_store_dwordx4 off, v[30:33], s5
	;; [unrolled: 1-line block ×6, first 2 shown]
	s_waitcnt vmcnt(7) lgkmcnt(0)
	v_mul_f64 v[2:3], v[24:25], v[6:7]
	v_mul_f64 v[26:27], v[22:23], v[6:7]
	v_fma_f64 v[2:3], v[22:23], v[4:5], -v[2:3]
	v_fmac_f64_e32 v[26:27], v[24:25], v[4:5]
	s_waitcnt vmcnt(6)
	v_add_f64 v[18:19], v[18:19], -v[2:3]
	v_add_f64 v[20:21], v[20:21], -v[26:27]
	scratch_store_dwordx4 off, v[18:21], s4
	s_cbranch_scc1 .LBB124_694
.LBB124_695:
	s_or_b64 exec, exec, s[0:1]
	s_barrier
	scratch_load_dwordx4 v[0:3], off, s66
	v_lshl_add_u32 v4, v17, 4, v14
	v_readlane_b32 s16, v128, 0
	s_cmp_lt_i32 s52, 30
	v_readlane_b32 s17, v128, 1
	s_waitcnt vmcnt(0)
	ds_write2_b64 v4, v[0:1], v[2:3] offset1:1
	s_waitcnt lgkmcnt(0)
	s_barrier
	ds_read2_b64 v[0:3], v14 offset0:56 offset1:57
	v_mov_b32_e32 v4, 28
	s_cbranch_scc1 .LBB124_698
; %bb.696:
	v_add_u32_e32 v5, 0x1d0, v14
	s_mov_b32 s4, 29
	v_mov_b32_e32 v4, 28
.LBB124_697:                            ; =>This Inner Loop Header: Depth=1
	ds_read2_b64 v[18:21], v5 offset1:1
	s_waitcnt lgkmcnt(1)
	v_xor_b32_e32 v7, 0x80000000, v1
	v_xor_b32_e32 v23, 0x80000000, v3
	v_cmp_gt_f64_e32 vcc, 0, v[2:3]
	v_cmp_gt_f64_e64 s[0:1], 0, v[0:1]
	v_mov_b32_e32 v6, v0
	v_mov_b32_e32 v22, v2
	v_cndmask_b32_e64 v7, v1, v7, s[0:1]
	v_cndmask_b32_e32 v23, v3, v23, vcc
	v_add_f64 v[6:7], v[6:7], v[22:23]
	s_waitcnt lgkmcnt(0)
	v_xor_b32_e32 v23, 0x80000000, v19
	v_xor_b32_e32 v25, 0x80000000, v21
	v_cmp_gt_f64_e32 vcc, 0, v[20:21]
	v_cmp_gt_f64_e64 s[0:1], 0, v[18:19]
	v_mov_b32_e32 v22, v18
	v_mov_b32_e32 v24, v20
	v_cndmask_b32_e64 v23, v19, v23, s[0:1]
	v_cndmask_b32_e32 v25, v21, v25, vcc
	v_add_f64 v[22:23], v[22:23], v[24:25]
	v_mov_b32_e32 v26, s4
	s_add_i32 s4, s4, 1
	v_cmp_lt_f64_e32 vcc, v[6:7], v[22:23]
	v_add_u32_e32 v5, 16, v5
	s_cmp_lg_u32 s52, s4
	v_cndmask_b32_e32 v1, v1, v19, vcc
	v_cndmask_b32_e32 v0, v0, v18, vcc
	;; [unrolled: 1-line block ×5, first 2 shown]
	s_cbranch_scc1 .LBB124_697
.LBB124_698:
	s_waitcnt lgkmcnt(0)
	v_cmp_eq_f64_e32 vcc, 0, v[0:1]
	v_cmp_eq_f64_e64 s[0:1], 0, v[2:3]
	s_and_b64 s[0:1], vcc, s[0:1]
	s_and_saveexec_b64 s[4:5], s[0:1]
	s_xor_b64 s[0:1], exec, s[4:5]
; %bb.699:
	v_cmp_ne_u32_e32 vcc, 0, v15
	s_nop 1
	v_cndmask_b32_e32 v15, 29, v15, vcc
; %bb.700:
	s_andn2_saveexec_b64 s[0:1], s[0:1]
	s_cbranch_execz .LBB124_706
; %bb.701:
	v_cmp_ngt_f64_e64 s[4:5], |v[0:1]|, |v[2:3]|
	s_and_saveexec_b64 s[12:13], s[4:5]
	s_xor_b64 s[12:13], exec, s[12:13]
	s_cbranch_execz .LBB124_703
; %bb.702:
	v_div_scale_f64 v[6:7], s[4:5], v[2:3], v[2:3], v[0:1]
	v_rcp_f64_e32 v[18:19], v[6:7]
	v_div_scale_f64 v[20:21], vcc, v[0:1], v[2:3], v[0:1]
	v_fma_f64 v[22:23], -v[6:7], v[18:19], 1.0
	v_fmac_f64_e32 v[18:19], v[18:19], v[22:23]
	v_fma_f64 v[22:23], -v[6:7], v[18:19], 1.0
	v_fmac_f64_e32 v[18:19], v[18:19], v[22:23]
	v_mul_f64 v[22:23], v[20:21], v[18:19]
	v_fma_f64 v[6:7], -v[6:7], v[22:23], v[20:21]
	v_div_fmas_f64 v[6:7], v[6:7], v[18:19], v[22:23]
	v_div_fixup_f64 v[6:7], v[6:7], v[2:3], v[0:1]
	v_fmac_f64_e32 v[2:3], v[0:1], v[6:7]
	v_div_scale_f64 v[0:1], s[4:5], v[2:3], v[2:3], 1.0
	v_rcp_f64_e32 v[18:19], v[0:1]
	s_nop 0
	v_fma_f64 v[20:21], -v[0:1], v[18:19], 1.0
	v_fmac_f64_e32 v[18:19], v[18:19], v[20:21]
	v_fma_f64 v[20:21], -v[0:1], v[18:19], 1.0
	v_fmac_f64_e32 v[18:19], v[18:19], v[20:21]
	v_div_scale_f64 v[20:21], vcc, 1.0, v[2:3], 1.0
	v_mul_f64 v[22:23], v[20:21], v[18:19]
	v_fma_f64 v[0:1], -v[0:1], v[22:23], v[20:21]
	s_nop 1
	v_div_fmas_f64 v[0:1], v[0:1], v[18:19], v[22:23]
	v_div_fixup_f64 v[2:3], v[0:1], v[2:3], 1.0
	v_mul_f64 v[0:1], v[6:7], v[2:3]
	v_xor_b32_e32 v3, 0x80000000, v3
.LBB124_703:
	s_andn2_saveexec_b64 s[12:13], s[12:13]
	s_cbranch_execz .LBB124_705
; %bb.704:
	v_div_scale_f64 v[6:7], s[4:5], v[0:1], v[0:1], v[2:3]
	v_rcp_f64_e32 v[18:19], v[6:7]
	v_div_scale_f64 v[20:21], vcc, v[2:3], v[0:1], v[2:3]
	v_fma_f64 v[22:23], -v[6:7], v[18:19], 1.0
	v_fmac_f64_e32 v[18:19], v[18:19], v[22:23]
	v_fma_f64 v[22:23], -v[6:7], v[18:19], 1.0
	v_fmac_f64_e32 v[18:19], v[18:19], v[22:23]
	v_mul_f64 v[22:23], v[20:21], v[18:19]
	v_fma_f64 v[6:7], -v[6:7], v[22:23], v[20:21]
	v_div_fmas_f64 v[6:7], v[6:7], v[18:19], v[22:23]
	v_div_fixup_f64 v[6:7], v[6:7], v[0:1], v[2:3]
	v_fmac_f64_e32 v[0:1], v[2:3], v[6:7]
	v_div_scale_f64 v[2:3], s[4:5], v[0:1], v[0:1], 1.0
	v_rcp_f64_e32 v[18:19], v[2:3]
	s_nop 0
	v_fma_f64 v[20:21], -v[2:3], v[18:19], 1.0
	v_fmac_f64_e32 v[18:19], v[18:19], v[20:21]
	v_fma_f64 v[20:21], -v[2:3], v[18:19], 1.0
	v_fmac_f64_e32 v[18:19], v[18:19], v[20:21]
	v_div_scale_f64 v[20:21], vcc, 1.0, v[0:1], 1.0
	v_mul_f64 v[22:23], v[20:21], v[18:19]
	v_fma_f64 v[2:3], -v[2:3], v[22:23], v[20:21]
	s_nop 1
	v_div_fmas_f64 v[2:3], v[2:3], v[18:19], v[22:23]
	v_div_fixup_f64 v[0:1], v[2:3], v[0:1], 1.0
	v_mul_f64 v[2:3], v[6:7], -v[0:1]
.LBB124_705:
	s_or_b64 exec, exec, s[12:13]
.LBB124_706:
	s_or_b64 exec, exec, s[0:1]
	v_cmp_ne_u32_e32 vcc, v17, v4
	s_and_saveexec_b64 s[0:1], vcc
	s_xor_b64 s[0:1], exec, s[0:1]
	s_cbranch_execz .LBB124_712
; %bb.707:
	v_cmp_eq_u32_e32 vcc, 28, v17
	s_and_saveexec_b64 s[12:13], vcc
	s_cbranch_execz .LBB124_711
; %bb.708:
	v_cmp_ne_u32_e32 vcc, 28, v4
	s_xor_b64 s[4:5], s[18:19], -1
	s_and_b64 s[4:5], s[4:5], vcc
	s_and_saveexec_b64 s[14:15], s[4:5]
	s_cbranch_execz .LBB124_710
; %bb.709:
	v_ashrrev_i32_e32 v5, 31, v4
	v_lshl_add_u64 v[6:7], v[4:5], 2, v[10:11]
	global_load_dword v5, v[6:7], off
	global_load_dword v16, v[10:11], off offset:112
	s_waitcnt vmcnt(1)
	global_store_dword v[10:11], v5, off offset:112
	s_waitcnt vmcnt(1)
	global_store_dword v[6:7], v16, off
.LBB124_710:
	s_or_b64 exec, exec, s[14:15]
	v_mov_b32_e32 v17, v4
	v_mov_b32_e32 v16, v4
.LBB124_711:
	s_or_b64 exec, exec, s[12:13]
.LBB124_712:
	s_andn2_saveexec_b64 s[0:1], s[0:1]
	s_cbranch_execz .LBB124_714
; %bb.713:
	scratch_load_dwordx4 v[4:7], off, s55
	v_mov_b32_e32 v17, 28
	s_waitcnt vmcnt(0)
	ds_write2_b64 v14, v[4:5], v[6:7] offset0:58 offset1:59
	scratch_load_dwordx4 v[4:7], off, s54
	s_waitcnt vmcnt(0)
	ds_write2_b64 v14, v[4:5], v[6:7] offset0:60 offset1:61
	scratch_load_dwordx4 v[4:7], off, s53
	s_waitcnt vmcnt(0)
	ds_write2_b64 v14, v[4:5], v[6:7] offset0:62 offset1:63
	scratch_load_dwordx4 v[4:7], off, s51
	s_waitcnt vmcnt(0)
	ds_write2_b64 v14, v[4:5], v[6:7] offset0:64 offset1:65
	scratch_load_dwordx4 v[4:7], off, s50
	s_waitcnt vmcnt(0)
	ds_write2_b64 v14, v[4:5], v[6:7] offset0:66 offset1:67
	scratch_load_dwordx4 v[4:7], off, s49
	s_waitcnt vmcnt(0)
	ds_write2_b64 v14, v[4:5], v[6:7] offset0:68 offset1:69
	scratch_load_dwordx4 v[4:7], off, s48
	s_waitcnt vmcnt(0)
	ds_write2_b64 v14, v[4:5], v[6:7] offset0:70 offset1:71
	scratch_load_dwordx4 v[4:7], off, s47
	s_waitcnt vmcnt(0)
	ds_write2_b64 v14, v[4:5], v[6:7] offset0:72 offset1:73
	scratch_load_dwordx4 v[4:7], off, s46
	s_waitcnt vmcnt(0)
	ds_write2_b64 v14, v[4:5], v[6:7] offset0:74 offset1:75
	scratch_load_dwordx4 v[4:7], off, s45
	s_waitcnt vmcnt(0)
	ds_write2_b64 v14, v[4:5], v[6:7] offset0:76 offset1:77
	scratch_load_dwordx4 v[4:7], off, s44
	s_waitcnt vmcnt(0)
	ds_write2_b64 v14, v[4:5], v[6:7] offset0:78 offset1:79
	scratch_load_dwordx4 v[4:7], off, s43
	s_waitcnt vmcnt(0)
	ds_write2_b64 v14, v[4:5], v[6:7] offset0:80 offset1:81
	scratch_load_dwordx4 v[4:7], off, s42
	s_waitcnt vmcnt(0)
	ds_write2_b64 v14, v[4:5], v[6:7] offset0:82 offset1:83
	scratch_load_dwordx4 v[4:7], off, s41
	s_waitcnt vmcnt(0)
	ds_write2_b64 v14, v[4:5], v[6:7] offset0:84 offset1:85
	scratch_load_dwordx4 v[4:7], off, s40
	s_waitcnt vmcnt(0)
	ds_write2_b64 v14, v[4:5], v[6:7] offset0:86 offset1:87
	scratch_load_dwordx4 v[4:7], off, s39
	s_waitcnt vmcnt(0)
	ds_write2_b64 v14, v[4:5], v[6:7] offset0:88 offset1:89
	scratch_load_dwordx4 v[4:7], off, s38
	s_waitcnt vmcnt(0)
	ds_write2_b64 v14, v[4:5], v[6:7] offset0:90 offset1:91
	scratch_load_dwordx4 v[4:7], off, s37
	s_waitcnt vmcnt(0)
	ds_write2_b64 v14, v[4:5], v[6:7] offset0:92 offset1:93
	scratch_load_dwordx4 v[4:7], off, s36
	s_waitcnt vmcnt(0)
	ds_write2_b64 v14, v[4:5], v[6:7] offset0:94 offset1:95
	scratch_load_dwordx4 v[4:7], off, s35
	s_waitcnt vmcnt(0)
	ds_write2_b64 v14, v[4:5], v[6:7] offset0:96 offset1:97
	scratch_load_dwordx4 v[4:7], off, s34
	s_waitcnt vmcnt(0)
	ds_write2_b64 v14, v[4:5], v[6:7] offset0:98 offset1:99
	scratch_load_dwordx4 v[4:7], off, s33
	s_waitcnt vmcnt(0)
	ds_write2_b64 v14, v[4:5], v[6:7] offset0:100 offset1:101
	scratch_load_dwordx4 v[4:7], off, s31
	s_waitcnt vmcnt(0)
	ds_write2_b64 v14, v[4:5], v[6:7] offset0:102 offset1:103
	scratch_load_dwordx4 v[4:7], off, s30
	s_waitcnt vmcnt(0)
	ds_write2_b64 v14, v[4:5], v[6:7] offset0:104 offset1:105
	scratch_load_dwordx4 v[4:7], off, s29
	s_waitcnt vmcnt(0)
	ds_write2_b64 v14, v[4:5], v[6:7] offset0:106 offset1:107
	scratch_load_dwordx4 v[4:7], off, s28
	s_waitcnt vmcnt(0)
	ds_write2_b64 v14, v[4:5], v[6:7] offset0:108 offset1:109
	scratch_load_dwordx4 v[4:7], off, s27
	s_waitcnt vmcnt(0)
	ds_write2_b64 v14, v[4:5], v[6:7] offset0:110 offset1:111
	scratch_load_dwordx4 v[4:7], off, s26
	s_waitcnt vmcnt(0)
	ds_write2_b64 v14, v[4:5], v[6:7] offset0:112 offset1:113
	scratch_load_dwordx4 v[4:7], off, s25
	s_waitcnt vmcnt(0)
	ds_write2_b64 v14, v[4:5], v[6:7] offset0:114 offset1:115
	scratch_load_dwordx4 v[4:7], off, s24
	s_waitcnt vmcnt(0)
	ds_write2_b64 v14, v[4:5], v[6:7] offset0:116 offset1:117
	scratch_load_dwordx4 v[4:7], off, s23
	s_waitcnt vmcnt(0)
	ds_write2_b64 v14, v[4:5], v[6:7] offset0:118 offset1:119
	scratch_load_dwordx4 v[4:7], off, s22
	s_waitcnt vmcnt(0)
	ds_write2_b64 v14, v[4:5], v[6:7] offset0:120 offset1:121
	scratch_load_dwordx4 v[4:7], off, s21
	s_waitcnt vmcnt(0)
	ds_write2_b64 v14, v[4:5], v[6:7] offset0:122 offset1:123
	scratch_load_dwordx4 v[4:7], off, s20
	s_waitcnt vmcnt(0)
	ds_write2_b64 v14, v[4:5], v[6:7] offset0:124 offset1:125
.LBB124_714:
	s_or_b64 exec, exec, s[0:1]
	v_cmp_lt_i32_e32 vcc, 28, v17
	s_waitcnt lgkmcnt(0)
	s_barrier
	s_and_saveexec_b64 s[0:1], vcc
	s_cbranch_execz .LBB124_717
; %bb.715:
	scratch_load_dwordx4 v[18:21], off, off offset:448
	s_mov_b32 s4, 0
	s_waitcnt vmcnt(0)
	v_mul_f64 v[4:5], v[2:3], v[20:21]
	v_mul_f64 v[6:7], v[0:1], v[20:21]
	v_fma_f64 v[4:5], v[0:1], v[18:19], -v[4:5]
	v_fmac_f64_e32 v[6:7], v[2:3], v[18:19]
	v_add_u32_e32 v0, 0x1d0, v14
	scratch_store_dwordx4 off, v[4:7], off offset:448
.LBB124_716:                            ; =>This Inner Loop Header: Depth=1
	s_add_i32 s12, s4, 0x1d0
	s_add_i32 s5, s4, 0x1e0
	scratch_load_dwordx4 v[18:21], off, s12
	scratch_load_dwordx4 v[22:25], off, s5
	v_add_u32_e32 v1, s4, v0
	ds_read2_b64 v[26:29], v1 offset1:1
	ds_read2_b64 v[30:33], v1 offset0:2 offset1:3
	s_add_i32 s4, s4, 32
	s_cmpk_lg_i32 s4, 0x220
	s_waitcnt lgkmcnt(1)
	v_mul_f64 v[2:3], v[28:29], v[6:7]
	v_mul_f64 v[34:35], v[26:27], v[6:7]
	s_waitcnt lgkmcnt(0)
	v_mul_f64 v[36:37], v[32:33], v[6:7]
	v_mul_f64 v[38:39], v[30:31], v[6:7]
	v_fma_f64 v[2:3], v[26:27], v[4:5], -v[2:3]
	v_fmac_f64_e32 v[34:35], v[28:29], v[4:5]
	v_fma_f64 v[26:27], v[30:31], v[4:5], -v[36:37]
	v_fmac_f64_e32 v[38:39], v[32:33], v[4:5]
	s_waitcnt vmcnt(1)
	v_add_f64 v[18:19], v[18:19], -v[2:3]
	v_add_f64 v[20:21], v[20:21], -v[34:35]
	s_waitcnt vmcnt(0)
	v_add_f64 v[22:23], v[22:23], -v[26:27]
	v_add_f64 v[24:25], v[24:25], -v[38:39]
	scratch_store_dwordx4 off, v[18:21], s12
	scratch_store_dwordx4 off, v[22:25], s5
	s_cbranch_scc1 .LBB124_716
.LBB124_717:
	s_or_b64 exec, exec, s[0:1]
	s_barrier
	scratch_load_dwordx4 v[0:3], off, s55
	v_lshl_add_u32 v4, v17, 4, v14
	s_cmp_lt_i32 s52, 31
	s_waitcnt vmcnt(0)
	ds_write2_b64 v4, v[0:1], v[2:3] offset1:1
	s_waitcnt lgkmcnt(0)
	s_barrier
	ds_read2_b64 v[0:3], v14 offset0:58 offset1:59
	v_mov_b32_e32 v4, 29
	s_cbranch_scc1 .LBB124_720
; %bb.718:
	v_add_u32_e32 v5, 0x1e0, v14
	s_mov_b32 s4, 30
	v_mov_b32_e32 v4, 29
.LBB124_719:                            ; =>This Inner Loop Header: Depth=1
	ds_read2_b64 v[18:21], v5 offset1:1
	s_waitcnt lgkmcnt(1)
	v_xor_b32_e32 v7, 0x80000000, v1
	v_xor_b32_e32 v23, 0x80000000, v3
	v_cmp_gt_f64_e32 vcc, 0, v[2:3]
	v_cmp_gt_f64_e64 s[0:1], 0, v[0:1]
	v_mov_b32_e32 v6, v0
	v_mov_b32_e32 v22, v2
	v_cndmask_b32_e64 v7, v1, v7, s[0:1]
	v_cndmask_b32_e32 v23, v3, v23, vcc
	v_add_f64 v[6:7], v[6:7], v[22:23]
	s_waitcnt lgkmcnt(0)
	v_xor_b32_e32 v23, 0x80000000, v19
	v_xor_b32_e32 v25, 0x80000000, v21
	v_cmp_gt_f64_e32 vcc, 0, v[20:21]
	v_cmp_gt_f64_e64 s[0:1], 0, v[18:19]
	v_mov_b32_e32 v22, v18
	v_mov_b32_e32 v24, v20
	v_cndmask_b32_e64 v23, v19, v23, s[0:1]
	v_cndmask_b32_e32 v25, v21, v25, vcc
	v_add_f64 v[22:23], v[22:23], v[24:25]
	v_mov_b32_e32 v26, s4
	s_add_i32 s4, s4, 1
	v_cmp_lt_f64_e32 vcc, v[6:7], v[22:23]
	v_add_u32_e32 v5, 16, v5
	s_cmp_lg_u32 s52, s4
	v_cndmask_b32_e32 v1, v1, v19, vcc
	v_cndmask_b32_e32 v0, v0, v18, vcc
	;; [unrolled: 1-line block ×5, first 2 shown]
	s_cbranch_scc1 .LBB124_719
.LBB124_720:
	s_waitcnt lgkmcnt(0)
	v_cmp_eq_f64_e32 vcc, 0, v[0:1]
	v_cmp_eq_f64_e64 s[0:1], 0, v[2:3]
	s_and_b64 s[0:1], vcc, s[0:1]
	s_and_saveexec_b64 s[4:5], s[0:1]
	s_xor_b64 s[0:1], exec, s[4:5]
; %bb.721:
	v_cmp_ne_u32_e32 vcc, 0, v15
	s_nop 1
	v_cndmask_b32_e32 v15, 30, v15, vcc
; %bb.722:
	s_andn2_saveexec_b64 s[0:1], s[0:1]
	s_cbranch_execz .LBB124_728
; %bb.723:
	v_cmp_ngt_f64_e64 s[4:5], |v[0:1]|, |v[2:3]|
	s_and_saveexec_b64 s[12:13], s[4:5]
	s_xor_b64 s[12:13], exec, s[12:13]
	s_cbranch_execz .LBB124_725
; %bb.724:
	v_div_scale_f64 v[6:7], s[4:5], v[2:3], v[2:3], v[0:1]
	v_rcp_f64_e32 v[18:19], v[6:7]
	v_div_scale_f64 v[20:21], vcc, v[0:1], v[2:3], v[0:1]
	v_fma_f64 v[22:23], -v[6:7], v[18:19], 1.0
	v_fmac_f64_e32 v[18:19], v[18:19], v[22:23]
	v_fma_f64 v[22:23], -v[6:7], v[18:19], 1.0
	v_fmac_f64_e32 v[18:19], v[18:19], v[22:23]
	v_mul_f64 v[22:23], v[20:21], v[18:19]
	v_fma_f64 v[6:7], -v[6:7], v[22:23], v[20:21]
	v_div_fmas_f64 v[6:7], v[6:7], v[18:19], v[22:23]
	v_div_fixup_f64 v[6:7], v[6:7], v[2:3], v[0:1]
	v_fmac_f64_e32 v[2:3], v[0:1], v[6:7]
	v_div_scale_f64 v[0:1], s[4:5], v[2:3], v[2:3], 1.0
	v_rcp_f64_e32 v[18:19], v[0:1]
	s_nop 0
	v_fma_f64 v[20:21], -v[0:1], v[18:19], 1.0
	v_fmac_f64_e32 v[18:19], v[18:19], v[20:21]
	v_fma_f64 v[20:21], -v[0:1], v[18:19], 1.0
	v_fmac_f64_e32 v[18:19], v[18:19], v[20:21]
	v_div_scale_f64 v[20:21], vcc, 1.0, v[2:3], 1.0
	v_mul_f64 v[22:23], v[20:21], v[18:19]
	v_fma_f64 v[0:1], -v[0:1], v[22:23], v[20:21]
	s_nop 1
	v_div_fmas_f64 v[0:1], v[0:1], v[18:19], v[22:23]
	v_div_fixup_f64 v[2:3], v[0:1], v[2:3], 1.0
	v_mul_f64 v[0:1], v[6:7], v[2:3]
	v_xor_b32_e32 v3, 0x80000000, v3
.LBB124_725:
	s_andn2_saveexec_b64 s[12:13], s[12:13]
	s_cbranch_execz .LBB124_727
; %bb.726:
	v_div_scale_f64 v[6:7], s[4:5], v[0:1], v[0:1], v[2:3]
	v_rcp_f64_e32 v[18:19], v[6:7]
	v_div_scale_f64 v[20:21], vcc, v[2:3], v[0:1], v[2:3]
	v_fma_f64 v[22:23], -v[6:7], v[18:19], 1.0
	v_fmac_f64_e32 v[18:19], v[18:19], v[22:23]
	v_fma_f64 v[22:23], -v[6:7], v[18:19], 1.0
	v_fmac_f64_e32 v[18:19], v[18:19], v[22:23]
	v_mul_f64 v[22:23], v[20:21], v[18:19]
	v_fma_f64 v[6:7], -v[6:7], v[22:23], v[20:21]
	v_div_fmas_f64 v[6:7], v[6:7], v[18:19], v[22:23]
	v_div_fixup_f64 v[6:7], v[6:7], v[0:1], v[2:3]
	v_fmac_f64_e32 v[0:1], v[2:3], v[6:7]
	v_div_scale_f64 v[2:3], s[4:5], v[0:1], v[0:1], 1.0
	v_rcp_f64_e32 v[18:19], v[2:3]
	s_nop 0
	v_fma_f64 v[20:21], -v[2:3], v[18:19], 1.0
	v_fmac_f64_e32 v[18:19], v[18:19], v[20:21]
	v_fma_f64 v[20:21], -v[2:3], v[18:19], 1.0
	v_fmac_f64_e32 v[18:19], v[18:19], v[20:21]
	v_div_scale_f64 v[20:21], vcc, 1.0, v[0:1], 1.0
	v_mul_f64 v[22:23], v[20:21], v[18:19]
	v_fma_f64 v[2:3], -v[2:3], v[22:23], v[20:21]
	s_nop 1
	v_div_fmas_f64 v[2:3], v[2:3], v[18:19], v[22:23]
	v_div_fixup_f64 v[0:1], v[2:3], v[0:1], 1.0
	v_mul_f64 v[2:3], v[6:7], -v[0:1]
.LBB124_727:
	s_or_b64 exec, exec, s[12:13]
.LBB124_728:
	s_or_b64 exec, exec, s[0:1]
	v_cmp_ne_u32_e32 vcc, v17, v4
	s_and_saveexec_b64 s[0:1], vcc
	s_xor_b64 s[0:1], exec, s[0:1]
	s_cbranch_execz .LBB124_734
; %bb.729:
	v_cmp_eq_u32_e32 vcc, 29, v17
	s_and_saveexec_b64 s[12:13], vcc
	s_cbranch_execz .LBB124_733
; %bb.730:
	v_cmp_ne_u32_e32 vcc, 29, v4
	s_xor_b64 s[4:5], s[18:19], -1
	s_and_b64 s[4:5], s[4:5], vcc
	s_and_saveexec_b64 s[14:15], s[4:5]
	s_cbranch_execz .LBB124_732
; %bb.731:
	v_ashrrev_i32_e32 v5, 31, v4
	v_lshl_add_u64 v[6:7], v[4:5], 2, v[10:11]
	global_load_dword v5, v[6:7], off
	global_load_dword v16, v[10:11], off offset:116
	s_waitcnt vmcnt(1)
	global_store_dword v[10:11], v5, off offset:116
	s_waitcnt vmcnt(1)
	global_store_dword v[6:7], v16, off
.LBB124_732:
	s_or_b64 exec, exec, s[14:15]
	v_mov_b32_e32 v17, v4
	v_mov_b32_e32 v16, v4
.LBB124_733:
	s_or_b64 exec, exec, s[12:13]
.LBB124_734:
	s_andn2_saveexec_b64 s[0:1], s[0:1]
	s_cbranch_execz .LBB124_736
; %bb.735:
	scratch_load_dwordx4 v[4:7], off, s54
	v_mov_b32_e32 v17, 29
	s_waitcnt vmcnt(0)
	ds_write2_b64 v14, v[4:5], v[6:7] offset0:60 offset1:61
	scratch_load_dwordx4 v[4:7], off, s53
	s_waitcnt vmcnt(0)
	ds_write2_b64 v14, v[4:5], v[6:7] offset0:62 offset1:63
	scratch_load_dwordx4 v[4:7], off, s51
	;; [unrolled: 3-line block ×32, first 2 shown]
	s_waitcnt vmcnt(0)
	ds_write2_b64 v14, v[4:5], v[6:7] offset0:124 offset1:125
.LBB124_736:
	s_or_b64 exec, exec, s[0:1]
	v_cmp_lt_i32_e32 vcc, 29, v17
	s_waitcnt lgkmcnt(0)
	s_barrier
	s_and_saveexec_b64 s[0:1], vcc
	s_cbranch_execz .LBB124_739
; %bb.737:
	scratch_load_dwordx4 v[18:21], off, off offset:464
	s_mov_b32 s4, 0
	s_waitcnt vmcnt(0)
	v_mul_f64 v[4:5], v[2:3], v[20:21]
	v_mul_f64 v[6:7], v[0:1], v[20:21]
	v_fma_f64 v[4:5], v[0:1], v[18:19], -v[4:5]
	v_fmac_f64_e32 v[6:7], v[2:3], v[18:19]
	v_add_u32_e32 v0, 0x1e0, v14
	scratch_store_dwordx4 off, v[4:7], off offset:464
.LBB124_738:                            ; =>This Inner Loop Header: Depth=1
	s_add_i32 s12, s4, 0x1e0
	s_add_i32 s13, s4, 0x1f0
	;; [unrolled: 1-line block ×3, first 2 shown]
	scratch_load_dwordx4 v[18:21], off, s12
	scratch_load_dwordx4 v[22:25], off, s13
	;; [unrolled: 1-line block ×3, first 2 shown]
	v_add_u32_e32 v1, s4, v0
	ds_read2_b64 v[30:33], v1 offset1:1
	ds_read2_b64 v[34:37], v1 offset0:2 offset1:3
	ds_read2_b64 v[38:41], v1 offset0:4 offset1:5
	s_add_i32 s4, s4, 48
	s_cmpk_lg_i32 s4, 0x210
	s_waitcnt lgkmcnt(2)
	v_mul_f64 v[2:3], v[32:33], v[6:7]
	v_mul_f64 v[42:43], v[30:31], v[6:7]
	s_waitcnt lgkmcnt(1)
	v_mul_f64 v[44:45], v[36:37], v[6:7]
	v_mul_f64 v[46:47], v[34:35], v[6:7]
	;; [unrolled: 3-line block ×3, first 2 shown]
	v_fma_f64 v[2:3], v[30:31], v[4:5], -v[2:3]
	v_fmac_f64_e32 v[42:43], v[32:33], v[4:5]
	v_fma_f64 v[30:31], v[34:35], v[4:5], -v[44:45]
	v_fmac_f64_e32 v[46:47], v[36:37], v[4:5]
	;; [unrolled: 2-line block ×3, first 2 shown]
	s_waitcnt vmcnt(2)
	v_add_f64 v[18:19], v[18:19], -v[2:3]
	v_add_f64 v[20:21], v[20:21], -v[42:43]
	s_waitcnt vmcnt(1)
	v_add_f64 v[22:23], v[22:23], -v[30:31]
	v_add_f64 v[24:25], v[24:25], -v[46:47]
	;; [unrolled: 3-line block ×3, first 2 shown]
	scratch_store_dwordx4 off, v[18:21], s12
	scratch_store_dwordx4 off, v[22:25], s13
	;; [unrolled: 1-line block ×3, first 2 shown]
	s_cbranch_scc1 .LBB124_738
.LBB124_739:
	s_or_b64 exec, exec, s[0:1]
	s_barrier
	scratch_load_dwordx4 v[0:3], off, s54
	v_lshl_add_u32 v4, v17, 4, v14
	s_cmp_lt_i32 s52, 32
	s_waitcnt vmcnt(0)
	ds_write2_b64 v4, v[0:1], v[2:3] offset1:1
	s_waitcnt lgkmcnt(0)
	s_barrier
	ds_read2_b64 v[0:3], v14 offset0:60 offset1:61
	v_mov_b32_e32 v4, 30
	s_cbranch_scc1 .LBB124_742
; %bb.740:
	v_add_u32_e32 v5, 0x1f0, v14
	s_mov_b32 s4, 31
	v_mov_b32_e32 v4, 30
.LBB124_741:                            ; =>This Inner Loop Header: Depth=1
	ds_read2_b64 v[18:21], v5 offset1:1
	s_waitcnt lgkmcnt(1)
	v_xor_b32_e32 v7, 0x80000000, v1
	v_xor_b32_e32 v23, 0x80000000, v3
	v_cmp_gt_f64_e32 vcc, 0, v[2:3]
	v_cmp_gt_f64_e64 s[0:1], 0, v[0:1]
	v_mov_b32_e32 v6, v0
	v_mov_b32_e32 v22, v2
	v_cndmask_b32_e64 v7, v1, v7, s[0:1]
	v_cndmask_b32_e32 v23, v3, v23, vcc
	v_add_f64 v[6:7], v[6:7], v[22:23]
	s_waitcnt lgkmcnt(0)
	v_xor_b32_e32 v23, 0x80000000, v19
	v_xor_b32_e32 v25, 0x80000000, v21
	v_cmp_gt_f64_e32 vcc, 0, v[20:21]
	v_cmp_gt_f64_e64 s[0:1], 0, v[18:19]
	v_mov_b32_e32 v22, v18
	v_mov_b32_e32 v24, v20
	v_cndmask_b32_e64 v23, v19, v23, s[0:1]
	v_cndmask_b32_e32 v25, v21, v25, vcc
	v_add_f64 v[22:23], v[22:23], v[24:25]
	v_mov_b32_e32 v26, s4
	s_add_i32 s4, s4, 1
	v_cmp_lt_f64_e32 vcc, v[6:7], v[22:23]
	v_add_u32_e32 v5, 16, v5
	s_cmp_lg_u32 s52, s4
	v_cndmask_b32_e32 v1, v1, v19, vcc
	v_cndmask_b32_e32 v0, v0, v18, vcc
	v_cndmask_b32_e32 v3, v3, v21, vcc
	v_cndmask_b32_e32 v2, v2, v20, vcc
	v_cndmask_b32_e32 v4, v4, v26, vcc
	s_cbranch_scc1 .LBB124_741
.LBB124_742:
	s_waitcnt lgkmcnt(0)
	v_cmp_eq_f64_e32 vcc, 0, v[0:1]
	v_cmp_eq_f64_e64 s[0:1], 0, v[2:3]
	s_and_b64 s[0:1], vcc, s[0:1]
	s_and_saveexec_b64 s[4:5], s[0:1]
	s_xor_b64 s[0:1], exec, s[4:5]
; %bb.743:
	v_cmp_ne_u32_e32 vcc, 0, v15
	s_nop 1
	v_cndmask_b32_e32 v15, 31, v15, vcc
; %bb.744:
	s_andn2_saveexec_b64 s[0:1], s[0:1]
	s_cbranch_execz .LBB124_750
; %bb.745:
	v_cmp_ngt_f64_e64 s[4:5], |v[0:1]|, |v[2:3]|
	s_and_saveexec_b64 s[12:13], s[4:5]
	s_xor_b64 s[12:13], exec, s[12:13]
	s_cbranch_execz .LBB124_747
; %bb.746:
	v_div_scale_f64 v[6:7], s[4:5], v[2:3], v[2:3], v[0:1]
	v_rcp_f64_e32 v[18:19], v[6:7]
	v_div_scale_f64 v[20:21], vcc, v[0:1], v[2:3], v[0:1]
	v_fma_f64 v[22:23], -v[6:7], v[18:19], 1.0
	v_fmac_f64_e32 v[18:19], v[18:19], v[22:23]
	v_fma_f64 v[22:23], -v[6:7], v[18:19], 1.0
	v_fmac_f64_e32 v[18:19], v[18:19], v[22:23]
	v_mul_f64 v[22:23], v[20:21], v[18:19]
	v_fma_f64 v[6:7], -v[6:7], v[22:23], v[20:21]
	v_div_fmas_f64 v[6:7], v[6:7], v[18:19], v[22:23]
	v_div_fixup_f64 v[6:7], v[6:7], v[2:3], v[0:1]
	v_fmac_f64_e32 v[2:3], v[0:1], v[6:7]
	v_div_scale_f64 v[0:1], s[4:5], v[2:3], v[2:3], 1.0
	v_rcp_f64_e32 v[18:19], v[0:1]
	s_nop 0
	v_fma_f64 v[20:21], -v[0:1], v[18:19], 1.0
	v_fmac_f64_e32 v[18:19], v[18:19], v[20:21]
	v_fma_f64 v[20:21], -v[0:1], v[18:19], 1.0
	v_fmac_f64_e32 v[18:19], v[18:19], v[20:21]
	v_div_scale_f64 v[20:21], vcc, 1.0, v[2:3], 1.0
	v_mul_f64 v[22:23], v[20:21], v[18:19]
	v_fma_f64 v[0:1], -v[0:1], v[22:23], v[20:21]
	s_nop 1
	v_div_fmas_f64 v[0:1], v[0:1], v[18:19], v[22:23]
	v_div_fixup_f64 v[2:3], v[0:1], v[2:3], 1.0
	v_mul_f64 v[0:1], v[6:7], v[2:3]
	v_xor_b32_e32 v3, 0x80000000, v3
.LBB124_747:
	s_andn2_saveexec_b64 s[12:13], s[12:13]
	s_cbranch_execz .LBB124_749
; %bb.748:
	v_div_scale_f64 v[6:7], s[4:5], v[0:1], v[0:1], v[2:3]
	v_rcp_f64_e32 v[18:19], v[6:7]
	v_div_scale_f64 v[20:21], vcc, v[2:3], v[0:1], v[2:3]
	v_fma_f64 v[22:23], -v[6:7], v[18:19], 1.0
	v_fmac_f64_e32 v[18:19], v[18:19], v[22:23]
	v_fma_f64 v[22:23], -v[6:7], v[18:19], 1.0
	v_fmac_f64_e32 v[18:19], v[18:19], v[22:23]
	v_mul_f64 v[22:23], v[20:21], v[18:19]
	v_fma_f64 v[6:7], -v[6:7], v[22:23], v[20:21]
	v_div_fmas_f64 v[6:7], v[6:7], v[18:19], v[22:23]
	v_div_fixup_f64 v[6:7], v[6:7], v[0:1], v[2:3]
	v_fmac_f64_e32 v[0:1], v[2:3], v[6:7]
	v_div_scale_f64 v[2:3], s[4:5], v[0:1], v[0:1], 1.0
	v_rcp_f64_e32 v[18:19], v[2:3]
	s_nop 0
	v_fma_f64 v[20:21], -v[2:3], v[18:19], 1.0
	v_fmac_f64_e32 v[18:19], v[18:19], v[20:21]
	v_fma_f64 v[20:21], -v[2:3], v[18:19], 1.0
	v_fmac_f64_e32 v[18:19], v[18:19], v[20:21]
	v_div_scale_f64 v[20:21], vcc, 1.0, v[0:1], 1.0
	v_mul_f64 v[22:23], v[20:21], v[18:19]
	v_fma_f64 v[2:3], -v[2:3], v[22:23], v[20:21]
	s_nop 1
	v_div_fmas_f64 v[2:3], v[2:3], v[18:19], v[22:23]
	v_div_fixup_f64 v[0:1], v[2:3], v[0:1], 1.0
	v_mul_f64 v[2:3], v[6:7], -v[0:1]
.LBB124_749:
	s_or_b64 exec, exec, s[12:13]
.LBB124_750:
	s_or_b64 exec, exec, s[0:1]
	v_cmp_ne_u32_e32 vcc, v17, v4
	s_and_saveexec_b64 s[0:1], vcc
	s_xor_b64 s[0:1], exec, s[0:1]
	s_cbranch_execz .LBB124_756
; %bb.751:
	v_cmp_eq_u32_e32 vcc, 30, v17
	s_and_saveexec_b64 s[12:13], vcc
	s_cbranch_execz .LBB124_755
; %bb.752:
	v_cmp_ne_u32_e32 vcc, 30, v4
	s_xor_b64 s[4:5], s[18:19], -1
	s_and_b64 s[4:5], s[4:5], vcc
	s_and_saveexec_b64 s[14:15], s[4:5]
	s_cbranch_execz .LBB124_754
; %bb.753:
	v_ashrrev_i32_e32 v5, 31, v4
	v_lshl_add_u64 v[6:7], v[4:5], 2, v[10:11]
	global_load_dword v5, v[6:7], off
	global_load_dword v16, v[10:11], off offset:120
	s_waitcnt vmcnt(1)
	global_store_dword v[10:11], v5, off offset:120
	s_waitcnt vmcnt(1)
	global_store_dword v[6:7], v16, off
.LBB124_754:
	s_or_b64 exec, exec, s[14:15]
	v_mov_b32_e32 v17, v4
	v_mov_b32_e32 v16, v4
.LBB124_755:
	s_or_b64 exec, exec, s[12:13]
.LBB124_756:
	s_andn2_saveexec_b64 s[0:1], s[0:1]
	s_cbranch_execz .LBB124_758
; %bb.757:
	scratch_load_dwordx4 v[4:7], off, s53
	v_mov_b32_e32 v17, 30
	s_waitcnt vmcnt(0)
	ds_write2_b64 v14, v[4:5], v[6:7] offset0:62 offset1:63
	scratch_load_dwordx4 v[4:7], off, s51
	s_waitcnt vmcnt(0)
	ds_write2_b64 v14, v[4:5], v[6:7] offset0:64 offset1:65
	scratch_load_dwordx4 v[4:7], off, s50
	;; [unrolled: 3-line block ×31, first 2 shown]
	s_waitcnt vmcnt(0)
	ds_write2_b64 v14, v[4:5], v[6:7] offset0:124 offset1:125
.LBB124_758:
	s_or_b64 exec, exec, s[0:1]
	v_cmp_lt_i32_e32 vcc, 30, v17
	s_waitcnt lgkmcnt(0)
	s_barrier
	s_and_saveexec_b64 s[0:1], vcc
	s_cbranch_execz .LBB124_760
; %bb.759:
	scratch_load_dwordx4 v[4:7], off, off offset:480
	s_waitcnt vmcnt(0)
	v_mul_f64 v[18:19], v[2:3], v[6:7]
	v_mul_f64 v[20:21], v[0:1], v[6:7]
	v_fma_f64 v[18:19], v[0:1], v[4:5], -v[18:19]
	v_fmac_f64_e32 v[20:21], v[2:3], v[4:5]
	ds_read2_b64 v[0:3], v14 offset0:62 offset1:63
	scratch_store_dwordx4 off, v[18:21], off offset:480
	s_waitcnt lgkmcnt(0)
	v_mul_f64 v[4:5], v[2:3], v[20:21]
	v_mul_f64 v[6:7], v[0:1], v[20:21]
	v_fma_f64 v[4:5], v[0:1], v[18:19], -v[4:5]
	v_fmac_f64_e32 v[6:7], v[2:3], v[18:19]
	scratch_load_dwordx4 v[0:3], off, off offset:496
	s_waitcnt vmcnt(0)
	v_add_f64 v[0:1], v[0:1], -v[4:5]
	v_add_f64 v[2:3], v[2:3], -v[6:7]
	scratch_store_dwordx4 off, v[0:3], off offset:496
	ds_read2_b64 v[0:3], v14 offset0:64 offset1:65
	s_waitcnt lgkmcnt(0)
	v_mul_f64 v[4:5], v[2:3], v[20:21]
	v_mul_f64 v[6:7], v[0:1], v[20:21]
	v_fma_f64 v[4:5], v[0:1], v[18:19], -v[4:5]
	v_fmac_f64_e32 v[6:7], v[2:3], v[18:19]
	scratch_load_dwordx4 v[0:3], off, off offset:512
	s_waitcnt vmcnt(0)
	v_add_f64 v[0:1], v[0:1], -v[4:5]
	v_add_f64 v[2:3], v[2:3], -v[6:7]
	scratch_store_dwordx4 off, v[0:3], off offset:512
	ds_read2_b64 v[0:3], v14 offset0:66 offset1:67
	;; [unrolled: 11-line block ×6, first 2 shown]
	scratch_load_dwordx2 v[18:19], off, off offset:480
	scratch_load_dwordx4 v[0:3], off, off offset:480
	s_waitcnt vmcnt(0) lgkmcnt(0)
	v_mul_f64 v[20:21], v[6:7], v[2:3]
	v_mul_f64 v[22:23], v[4:5], v[2:3]
	v_fma_f64 v[20:21], v[4:5], v[18:19], -v[20:21]
	v_fmac_f64_e32 v[22:23], v[6:7], v[18:19]
	scratch_load_dwordx4 v[4:7], off, off offset:592
	s_waitcnt vmcnt(0)
	v_add_f64 v[4:5], v[4:5], -v[20:21]
	v_add_f64 v[6:7], v[6:7], -v[22:23]
	scratch_store_dwordx4 off, v[4:7], off offset:592
	ds_read2_b64 v[4:7], v14 offset0:76 offset1:77
	s_waitcnt lgkmcnt(0)
	v_mul_f64 v[20:21], v[6:7], v[2:3]
	v_mul_f64 v[22:23], v[4:5], v[2:3]
	v_fma_f64 v[20:21], v[4:5], v[18:19], -v[20:21]
	v_fmac_f64_e32 v[22:23], v[6:7], v[18:19]
	scratch_load_dwordx4 v[4:7], off, off offset:608
	s_waitcnt vmcnt(0)
	v_add_f64 v[4:5], v[4:5], -v[20:21]
	v_add_f64 v[6:7], v[6:7], -v[22:23]
	scratch_store_dwordx4 off, v[4:7], off offset:608
	ds_read2_b64 v[4:7], v14 offset0:78 offset1:79
	s_waitcnt lgkmcnt(0)
	;; [unrolled: 11-line block ×5, first 2 shown]
	v_mul_f64 v[20:21], v[6:7], v[2:3]
	v_fma_f64 v[20:21], v[4:5], v[18:19], -v[20:21]
	v_mul_f64 v[22:23], v[4:5], v[2:3]
	scratch_load_dwordx4 v[2:5], off, off offset:672
	v_fmac_f64_e32 v[22:23], v[6:7], v[18:19]
	s_waitcnt vmcnt(0)
	v_add_f64 v[2:3], v[2:3], -v[20:21]
	v_add_f64 v[4:5], v[4:5], -v[22:23]
	scratch_store_dwordx4 off, v[2:5], off offset:672
	ds_read2_b64 v[18:21], v14 offset0:86 offset1:87
	scratch_load_dwordx2 v[2:3], off, off offset:480
	scratch_load_dwordx2 v[4:5], off, off offset:488
	s_waitcnt vmcnt(0) lgkmcnt(0)
	v_mul_f64 v[6:7], v[20:21], v[4:5]
	v_mul_f64 v[22:23], v[18:19], v[4:5]
	v_fma_f64 v[6:7], v[18:19], v[2:3], -v[6:7]
	v_fmac_f64_e32 v[22:23], v[20:21], v[2:3]
	scratch_load_dwordx4 v[18:21], off, off offset:688
	s_waitcnt vmcnt(0)
	v_add_f64 v[18:19], v[18:19], -v[6:7]
	v_add_f64 v[20:21], v[20:21], -v[22:23]
	scratch_store_dwordx4 off, v[18:21], off offset:688
	ds_read2_b64 v[18:21], v14 offset0:88 offset1:89
	s_waitcnt lgkmcnt(0)
	v_mul_f64 v[6:7], v[20:21], v[4:5]
	v_mul_f64 v[22:23], v[18:19], v[4:5]
	v_fma_f64 v[6:7], v[18:19], v[2:3], -v[6:7]
	v_fmac_f64_e32 v[22:23], v[20:21], v[2:3]
	scratch_load_dwordx4 v[18:21], off, off offset:704
	s_waitcnt vmcnt(0)
	v_add_f64 v[18:19], v[18:19], -v[6:7]
	v_add_f64 v[20:21], v[20:21], -v[22:23]
	scratch_store_dwordx4 off, v[18:21], off offset:704
	ds_read2_b64 v[18:21], v14 offset0:90 offset1:91
	s_waitcnt lgkmcnt(0)
	;; [unrolled: 11-line block ×5, first 2 shown]
	v_mul_f64 v[6:7], v[20:21], v[4:5]
	v_fma_f64 v[6:7], v[18:19], v[2:3], -v[6:7]
	v_mul_f64 v[18:19], v[18:19], v[4:5]
	v_fmac_f64_e32 v[18:19], v[20:21], v[2:3]
	scratch_load_dwordx4 v[2:5], off, off offset:768
	s_waitcnt vmcnt(0)
	v_add_f64 v[2:3], v[2:3], -v[6:7]
	v_add_f64 v[4:5], v[4:5], -v[18:19]
	scratch_store_dwordx4 off, v[2:5], off offset:768
	ds_read2_b64 v[18:21], v14 offset0:98 offset1:99
	scratch_load_dwordx2 v[2:3], off, off offset:480
	scratch_load_dwordx2 v[4:5], off, off offset:488
	s_waitcnt vmcnt(0) lgkmcnt(0)
	v_mul_f64 v[6:7], v[20:21], v[4:5]
	v_mul_f64 v[22:23], v[18:19], v[4:5]
	v_fma_f64 v[6:7], v[18:19], v[2:3], -v[6:7]
	v_fmac_f64_e32 v[22:23], v[20:21], v[2:3]
	scratch_load_dwordx4 v[18:21], off, off offset:784
	s_waitcnt vmcnt(0)
	v_add_f64 v[18:19], v[18:19], -v[6:7]
	v_add_f64 v[20:21], v[20:21], -v[22:23]
	scratch_store_dwordx4 off, v[18:21], off offset:784
	ds_read2_b64 v[18:21], v14 offset0:100 offset1:101
	s_waitcnt lgkmcnt(0)
	v_mul_f64 v[6:7], v[20:21], v[4:5]
	v_mul_f64 v[22:23], v[18:19], v[4:5]
	v_fma_f64 v[6:7], v[18:19], v[2:3], -v[6:7]
	v_fmac_f64_e32 v[22:23], v[20:21], v[2:3]
	scratch_load_dwordx4 v[18:21], off, off offset:800
	s_waitcnt vmcnt(0)
	v_add_f64 v[18:19], v[18:19], -v[6:7]
	v_add_f64 v[20:21], v[20:21], -v[22:23]
	scratch_store_dwordx4 off, v[18:21], off offset:800
	ds_read2_b64 v[18:21], v14 offset0:102 offset1:103
	s_waitcnt lgkmcnt(0)
	;; [unrolled: 11-line block ×5, first 2 shown]
	v_mul_f64 v[6:7], v[20:21], v[4:5]
	v_fma_f64 v[6:7], v[18:19], v[2:3], -v[6:7]
	v_mul_f64 v[18:19], v[18:19], v[4:5]
	v_fmac_f64_e32 v[18:19], v[20:21], v[2:3]
	scratch_load_dwordx4 v[2:5], off, off offset:864
	s_waitcnt vmcnt(0)
	v_add_f64 v[2:3], v[2:3], -v[6:7]
	v_add_f64 v[4:5], v[4:5], -v[18:19]
	scratch_store_dwordx4 off, v[2:5], off offset:864
	ds_read2_b64 v[2:5], v14 offset0:110 offset1:111
	scratch_load_dwordx2 v[6:7], off, off offset:480
	scratch_load_dwordx2 v[18:19], off, off offset:488
	s_waitcnt vmcnt(0) lgkmcnt(0)
	v_mul_f64 v[20:21], v[4:5], v[18:19]
	v_mul_f64 v[22:23], v[2:3], v[18:19]
	v_fma_f64 v[20:21], v[2:3], v[6:7], -v[20:21]
	v_fmac_f64_e32 v[22:23], v[4:5], v[6:7]
	scratch_load_dwordx4 v[2:5], off, off offset:880
	s_waitcnt vmcnt(0)
	v_add_f64 v[2:3], v[2:3], -v[20:21]
	v_add_f64 v[4:5], v[4:5], -v[22:23]
	scratch_store_dwordx4 off, v[2:5], off offset:880
	ds_read2_b64 v[2:5], v14 offset0:112 offset1:113
	s_waitcnt lgkmcnt(0)
	v_mul_f64 v[20:21], v[4:5], v[18:19]
	v_mul_f64 v[22:23], v[2:3], v[18:19]
	v_fma_f64 v[20:21], v[2:3], v[6:7], -v[20:21]
	v_fmac_f64_e32 v[22:23], v[4:5], v[6:7]
	scratch_load_dwordx4 v[2:5], off, off offset:896
	s_waitcnt vmcnt(0)
	v_add_f64 v[2:3], v[2:3], -v[20:21]
	v_add_f64 v[4:5], v[4:5], -v[22:23]
	scratch_store_dwordx4 off, v[2:5], off offset:896
	ds_read2_b64 v[2:5], v14 offset0:114 offset1:115
	s_waitcnt lgkmcnt(0)
	;; [unrolled: 11-line block ×5, first 2 shown]
	v_mul_f64 v[20:21], v[4:5], v[18:19]
	v_mul_f64 v[18:19], v[2:3], v[18:19]
	v_fma_f64 v[20:21], v[2:3], v[6:7], -v[20:21]
	v_fmac_f64_e32 v[18:19], v[4:5], v[6:7]
	scratch_load_dwordx4 v[2:5], off, off offset:960
	scratch_load_dwordx2 v[6:7], off, off offset:488
	s_waitcnt vmcnt(1)
	v_add_f64 v[2:3], v[2:3], -v[20:21]
	v_add_f64 v[4:5], v[4:5], -v[18:19]
	scratch_store_dwordx4 off, v[2:5], off offset:960
	ds_read2_b64 v[2:5], v14 offset0:122 offset1:123
	s_waitcnt vmcnt(1) lgkmcnt(0)
	v_mul_f64 v[18:19], v[4:5], v[6:7]
	v_mul_f64 v[20:21], v[2:3], v[6:7]
	v_fma_f64 v[18:19], v[2:3], v[0:1], -v[18:19]
	v_fmac_f64_e32 v[20:21], v[4:5], v[0:1]
	scratch_load_dwordx4 v[2:5], off, off offset:976
	s_waitcnt vmcnt(0)
	v_add_f64 v[2:3], v[2:3], -v[18:19]
	v_add_f64 v[4:5], v[4:5], -v[20:21]
	scratch_store_dwordx4 off, v[2:5], off offset:976
	ds_read2_b64 v[2:5], v14 offset0:124 offset1:125
	s_waitcnt lgkmcnt(0)
	v_mul_f64 v[18:19], v[4:5], v[6:7]
	v_mul_f64 v[6:7], v[2:3], v[6:7]
	v_fma_f64 v[18:19], v[2:3], v[0:1], -v[18:19]
	v_fmac_f64_e32 v[6:7], v[4:5], v[0:1]
	scratch_load_dwordx4 v[0:3], off, off offset:992
	s_waitcnt vmcnt(0)
	v_add_f64 v[0:1], v[0:1], -v[18:19]
	v_add_f64 v[2:3], v[2:3], -v[6:7]
	scratch_store_dwordx4 off, v[0:3], off offset:992
.LBB124_760:
	s_or_b64 exec, exec, s[0:1]
	s_barrier
	scratch_load_dwordx4 v[0:3], off, s53
	v_lshl_add_u32 v4, v17, 4, v14
	s_cmp_lt_i32 s52, 33
	s_waitcnt vmcnt(0)
	ds_write2_b64 v4, v[0:1], v[2:3] offset1:1
	s_waitcnt lgkmcnt(0)
	s_barrier
	ds_read2_b64 v[0:3], v14 offset0:62 offset1:63
	v_mov_b32_e32 v4, 31
	s_cbranch_scc1 .LBB124_763
; %bb.761:
	v_add_u32_e32 v5, 0x200, v14
	s_mov_b32 s4, 32
	v_mov_b32_e32 v4, 31
.LBB124_762:                            ; =>This Inner Loop Header: Depth=1
	ds_read2_b64 v[18:21], v5 offset1:1
	s_waitcnt lgkmcnt(1)
	v_xor_b32_e32 v7, 0x80000000, v1
	v_xor_b32_e32 v23, 0x80000000, v3
	v_cmp_gt_f64_e32 vcc, 0, v[2:3]
	v_cmp_gt_f64_e64 s[0:1], 0, v[0:1]
	v_mov_b32_e32 v6, v0
	v_mov_b32_e32 v22, v2
	v_cndmask_b32_e64 v7, v1, v7, s[0:1]
	v_cndmask_b32_e32 v23, v3, v23, vcc
	v_add_f64 v[6:7], v[6:7], v[22:23]
	s_waitcnt lgkmcnt(0)
	v_xor_b32_e32 v23, 0x80000000, v19
	v_xor_b32_e32 v25, 0x80000000, v21
	v_cmp_gt_f64_e32 vcc, 0, v[20:21]
	v_cmp_gt_f64_e64 s[0:1], 0, v[18:19]
	v_mov_b32_e32 v22, v18
	v_mov_b32_e32 v24, v20
	v_cndmask_b32_e64 v23, v19, v23, s[0:1]
	v_cndmask_b32_e32 v25, v21, v25, vcc
	v_add_f64 v[22:23], v[22:23], v[24:25]
	v_mov_b32_e32 v26, s4
	s_add_i32 s4, s4, 1
	v_cmp_lt_f64_e32 vcc, v[6:7], v[22:23]
	v_add_u32_e32 v5, 16, v5
	s_cmp_lg_u32 s52, s4
	v_cndmask_b32_e32 v1, v1, v19, vcc
	v_cndmask_b32_e32 v0, v0, v18, vcc
	;; [unrolled: 1-line block ×5, first 2 shown]
	s_cbranch_scc1 .LBB124_762
.LBB124_763:
	s_waitcnt lgkmcnt(0)
	v_cmp_eq_f64_e32 vcc, 0, v[0:1]
	v_cmp_eq_f64_e64 s[0:1], 0, v[2:3]
	s_and_b64 s[0:1], vcc, s[0:1]
	s_and_saveexec_b64 s[4:5], s[0:1]
	s_xor_b64 s[0:1], exec, s[4:5]
; %bb.764:
	v_cmp_ne_u32_e32 vcc, 0, v15
	s_nop 1
	v_cndmask_b32_e32 v15, 32, v15, vcc
; %bb.765:
	s_andn2_saveexec_b64 s[0:1], s[0:1]
	s_cbranch_execz .LBB124_771
; %bb.766:
	v_cmp_ngt_f64_e64 s[4:5], |v[0:1]|, |v[2:3]|
	s_and_saveexec_b64 s[12:13], s[4:5]
	s_xor_b64 s[12:13], exec, s[12:13]
	s_cbranch_execz .LBB124_768
; %bb.767:
	v_div_scale_f64 v[6:7], s[4:5], v[2:3], v[2:3], v[0:1]
	v_rcp_f64_e32 v[18:19], v[6:7]
	v_div_scale_f64 v[20:21], vcc, v[0:1], v[2:3], v[0:1]
	v_fma_f64 v[22:23], -v[6:7], v[18:19], 1.0
	v_fmac_f64_e32 v[18:19], v[18:19], v[22:23]
	v_fma_f64 v[22:23], -v[6:7], v[18:19], 1.0
	v_fmac_f64_e32 v[18:19], v[18:19], v[22:23]
	v_mul_f64 v[22:23], v[20:21], v[18:19]
	v_fma_f64 v[6:7], -v[6:7], v[22:23], v[20:21]
	v_div_fmas_f64 v[6:7], v[6:7], v[18:19], v[22:23]
	v_div_fixup_f64 v[6:7], v[6:7], v[2:3], v[0:1]
	v_fmac_f64_e32 v[2:3], v[0:1], v[6:7]
	v_div_scale_f64 v[0:1], s[4:5], v[2:3], v[2:3], 1.0
	v_rcp_f64_e32 v[18:19], v[0:1]
	s_nop 0
	v_fma_f64 v[20:21], -v[0:1], v[18:19], 1.0
	v_fmac_f64_e32 v[18:19], v[18:19], v[20:21]
	v_fma_f64 v[20:21], -v[0:1], v[18:19], 1.0
	v_fmac_f64_e32 v[18:19], v[18:19], v[20:21]
	v_div_scale_f64 v[20:21], vcc, 1.0, v[2:3], 1.0
	v_mul_f64 v[22:23], v[20:21], v[18:19]
	v_fma_f64 v[0:1], -v[0:1], v[22:23], v[20:21]
	s_nop 1
	v_div_fmas_f64 v[0:1], v[0:1], v[18:19], v[22:23]
	v_div_fixup_f64 v[2:3], v[0:1], v[2:3], 1.0
	v_mul_f64 v[0:1], v[6:7], v[2:3]
	v_xor_b32_e32 v3, 0x80000000, v3
.LBB124_768:
	s_andn2_saveexec_b64 s[12:13], s[12:13]
	s_cbranch_execz .LBB124_770
; %bb.769:
	v_div_scale_f64 v[6:7], s[4:5], v[0:1], v[0:1], v[2:3]
	v_rcp_f64_e32 v[18:19], v[6:7]
	v_div_scale_f64 v[20:21], vcc, v[2:3], v[0:1], v[2:3]
	v_fma_f64 v[22:23], -v[6:7], v[18:19], 1.0
	v_fmac_f64_e32 v[18:19], v[18:19], v[22:23]
	v_fma_f64 v[22:23], -v[6:7], v[18:19], 1.0
	v_fmac_f64_e32 v[18:19], v[18:19], v[22:23]
	v_mul_f64 v[22:23], v[20:21], v[18:19]
	v_fma_f64 v[6:7], -v[6:7], v[22:23], v[20:21]
	v_div_fmas_f64 v[6:7], v[6:7], v[18:19], v[22:23]
	v_div_fixup_f64 v[6:7], v[6:7], v[0:1], v[2:3]
	v_fmac_f64_e32 v[0:1], v[2:3], v[6:7]
	v_div_scale_f64 v[2:3], s[4:5], v[0:1], v[0:1], 1.0
	v_rcp_f64_e32 v[18:19], v[2:3]
	s_nop 0
	v_fma_f64 v[20:21], -v[2:3], v[18:19], 1.0
	v_fmac_f64_e32 v[18:19], v[18:19], v[20:21]
	v_fma_f64 v[20:21], -v[2:3], v[18:19], 1.0
	v_fmac_f64_e32 v[18:19], v[18:19], v[20:21]
	v_div_scale_f64 v[20:21], vcc, 1.0, v[0:1], 1.0
	v_mul_f64 v[22:23], v[20:21], v[18:19]
	v_fma_f64 v[2:3], -v[2:3], v[22:23], v[20:21]
	s_nop 1
	v_div_fmas_f64 v[2:3], v[2:3], v[18:19], v[22:23]
	v_div_fixup_f64 v[0:1], v[2:3], v[0:1], 1.0
	v_mul_f64 v[2:3], v[6:7], -v[0:1]
.LBB124_770:
	s_or_b64 exec, exec, s[12:13]
.LBB124_771:
	s_or_b64 exec, exec, s[0:1]
	v_cmp_ne_u32_e32 vcc, v17, v4
	s_and_saveexec_b64 s[0:1], vcc
	s_xor_b64 s[0:1], exec, s[0:1]
	s_cbranch_execz .LBB124_777
; %bb.772:
	v_cmp_eq_u32_e32 vcc, 31, v17
	s_and_saveexec_b64 s[12:13], vcc
	s_cbranch_execz .LBB124_776
; %bb.773:
	v_cmp_ne_u32_e32 vcc, 31, v4
	s_xor_b64 s[4:5], s[18:19], -1
	s_and_b64 s[4:5], s[4:5], vcc
	s_and_saveexec_b64 s[14:15], s[4:5]
	s_cbranch_execz .LBB124_775
; %bb.774:
	v_ashrrev_i32_e32 v5, 31, v4
	v_lshl_add_u64 v[6:7], v[4:5], 2, v[10:11]
	global_load_dword v5, v[6:7], off
	global_load_dword v16, v[10:11], off offset:124
	s_waitcnt vmcnt(1)
	global_store_dword v[10:11], v5, off offset:124
	s_waitcnt vmcnt(1)
	global_store_dword v[6:7], v16, off
.LBB124_775:
	s_or_b64 exec, exec, s[14:15]
	v_mov_b32_e32 v17, v4
	v_mov_b32_e32 v16, v4
.LBB124_776:
	s_or_b64 exec, exec, s[12:13]
.LBB124_777:
	s_andn2_saveexec_b64 s[0:1], s[0:1]
	s_cbranch_execz .LBB124_779
; %bb.778:
	scratch_load_dwordx4 v[4:7], off, s51
	v_mov_b32_e32 v17, 31
	s_waitcnt vmcnt(0)
	ds_write2_b64 v14, v[4:5], v[6:7] offset0:64 offset1:65
	scratch_load_dwordx4 v[4:7], off, s50
	s_waitcnt vmcnt(0)
	ds_write2_b64 v14, v[4:5], v[6:7] offset0:66 offset1:67
	scratch_load_dwordx4 v[4:7], off, s49
	;; [unrolled: 3-line block ×30, first 2 shown]
	s_waitcnt vmcnt(0)
	ds_write2_b64 v14, v[4:5], v[6:7] offset0:124 offset1:125
.LBB124_779:
	s_or_b64 exec, exec, s[0:1]
	v_cmp_lt_i32_e32 vcc, 31, v17
	s_waitcnt lgkmcnt(0)
	s_barrier
	s_and_saveexec_b64 s[0:1], vcc
	s_cbranch_execz .LBB124_781
; %bb.780:
	scratch_load_dwordx4 v[4:7], off, off offset:496
	s_waitcnt vmcnt(0)
	v_mul_f64 v[18:19], v[2:3], v[6:7]
	v_mul_f64 v[20:21], v[0:1], v[6:7]
	v_fma_f64 v[18:19], v[0:1], v[4:5], -v[18:19]
	v_fmac_f64_e32 v[20:21], v[2:3], v[4:5]
	ds_read2_b64 v[0:3], v14 offset0:64 offset1:65
	scratch_store_dwordx4 off, v[18:21], off offset:496
	s_waitcnt lgkmcnt(0)
	v_mul_f64 v[4:5], v[2:3], v[20:21]
	v_mul_f64 v[6:7], v[0:1], v[20:21]
	v_fma_f64 v[4:5], v[0:1], v[18:19], -v[4:5]
	v_fmac_f64_e32 v[6:7], v[2:3], v[18:19]
	scratch_load_dwordx4 v[0:3], off, off offset:512
	s_waitcnt vmcnt(0)
	v_add_f64 v[0:1], v[0:1], -v[4:5]
	v_add_f64 v[2:3], v[2:3], -v[6:7]
	scratch_store_dwordx4 off, v[0:3], off offset:512
	ds_read2_b64 v[0:3], v14 offset0:66 offset1:67
	s_waitcnt lgkmcnt(0)
	v_mul_f64 v[4:5], v[2:3], v[20:21]
	v_mul_f64 v[6:7], v[0:1], v[20:21]
	v_fma_f64 v[4:5], v[0:1], v[18:19], -v[4:5]
	v_fmac_f64_e32 v[6:7], v[2:3], v[18:19]
	scratch_load_dwordx4 v[0:3], off, off offset:528
	s_waitcnt vmcnt(0)
	v_add_f64 v[0:1], v[0:1], -v[4:5]
	v_add_f64 v[2:3], v[2:3], -v[6:7]
	scratch_store_dwordx4 off, v[0:3], off offset:528
	ds_read2_b64 v[0:3], v14 offset0:68 offset1:69
	;; [unrolled: 11-line block ×6, first 2 shown]
	scratch_load_dwordx2 v[18:19], off, off offset:496
	scratch_load_dwordx4 v[0:3], off, off offset:496
	s_waitcnt vmcnt(0) lgkmcnt(0)
	v_mul_f64 v[20:21], v[6:7], v[2:3]
	v_mul_f64 v[22:23], v[4:5], v[2:3]
	v_fma_f64 v[20:21], v[4:5], v[18:19], -v[20:21]
	v_fmac_f64_e32 v[22:23], v[6:7], v[18:19]
	scratch_load_dwordx4 v[4:7], off, off offset:608
	s_waitcnt vmcnt(0)
	v_add_f64 v[4:5], v[4:5], -v[20:21]
	v_add_f64 v[6:7], v[6:7], -v[22:23]
	scratch_store_dwordx4 off, v[4:7], off offset:608
	ds_read2_b64 v[4:7], v14 offset0:78 offset1:79
	s_waitcnt lgkmcnt(0)
	v_mul_f64 v[20:21], v[6:7], v[2:3]
	v_mul_f64 v[22:23], v[4:5], v[2:3]
	v_fma_f64 v[20:21], v[4:5], v[18:19], -v[20:21]
	v_fmac_f64_e32 v[22:23], v[6:7], v[18:19]
	scratch_load_dwordx4 v[4:7], off, off offset:624
	s_waitcnt vmcnt(0)
	v_add_f64 v[4:5], v[4:5], -v[20:21]
	v_add_f64 v[6:7], v[6:7], -v[22:23]
	scratch_store_dwordx4 off, v[4:7], off offset:624
	ds_read2_b64 v[4:7], v14 offset0:80 offset1:81
	s_waitcnt lgkmcnt(0)
	v_mul_f64 v[20:21], v[6:7], v[2:3]
	v_mul_f64 v[22:23], v[4:5], v[2:3]
	v_fma_f64 v[20:21], v[4:5], v[18:19], -v[20:21]
	v_fmac_f64_e32 v[22:23], v[6:7], v[18:19]
	scratch_load_dwordx4 v[4:7], off, off offset:640
	s_waitcnt vmcnt(0)
	v_add_f64 v[4:5], v[4:5], -v[20:21]
	v_add_f64 v[6:7], v[6:7], -v[22:23]
	scratch_store_dwordx4 off, v[4:7], off offset:640
	ds_read2_b64 v[4:7], v14 offset0:82 offset1:83
	s_waitcnt lgkmcnt(0)
	v_mul_f64 v[20:21], v[6:7], v[2:3]
	v_mul_f64 v[22:23], v[4:5], v[2:3]
	v_fma_f64 v[20:21], v[4:5], v[18:19], -v[20:21]
	v_fmac_f64_e32 v[22:23], v[6:7], v[18:19]
	scratch_load_dwordx4 v[4:7], off, off offset:656
	s_waitcnt vmcnt(0)
	v_add_f64 v[4:5], v[4:5], -v[20:21]
	v_add_f64 v[6:7], v[6:7], -v[22:23]
	scratch_store_dwordx4 off, v[4:7], off offset:656
	ds_read2_b64 v[4:7], v14 offset0:84 offset1:85
	s_waitcnt lgkmcnt(0)
	v_mul_f64 v[20:21], v[6:7], v[2:3]
	v_mul_f64 v[22:23], v[4:5], v[2:3]
	v_fma_f64 v[20:21], v[4:5], v[18:19], -v[20:21]
	v_fmac_f64_e32 v[22:23], v[6:7], v[18:19]
	scratch_load_dwordx4 v[4:7], off, off offset:672
	s_waitcnt vmcnt(0)
	v_add_f64 v[4:5], v[4:5], -v[20:21]
	v_add_f64 v[6:7], v[6:7], -v[22:23]
	scratch_store_dwordx4 off, v[4:7], off offset:672
	ds_read2_b64 v[4:7], v14 offset0:86 offset1:87
	s_waitcnt lgkmcnt(0)
	v_mul_f64 v[20:21], v[6:7], v[2:3]
	v_fma_f64 v[20:21], v[4:5], v[18:19], -v[20:21]
	v_mul_f64 v[22:23], v[4:5], v[2:3]
	scratch_load_dwordx4 v[2:5], off, off offset:688
	v_fmac_f64_e32 v[22:23], v[6:7], v[18:19]
	s_waitcnt vmcnt(0)
	v_add_f64 v[2:3], v[2:3], -v[20:21]
	v_add_f64 v[4:5], v[4:5], -v[22:23]
	scratch_store_dwordx4 off, v[2:5], off offset:688
	ds_read2_b64 v[18:21], v14 offset0:88 offset1:89
	scratch_load_dwordx2 v[2:3], off, off offset:496
	scratch_load_dwordx2 v[4:5], off, off offset:504
	s_waitcnt vmcnt(0) lgkmcnt(0)
	v_mul_f64 v[6:7], v[20:21], v[4:5]
	v_mul_f64 v[22:23], v[18:19], v[4:5]
	v_fma_f64 v[6:7], v[18:19], v[2:3], -v[6:7]
	v_fmac_f64_e32 v[22:23], v[20:21], v[2:3]
	scratch_load_dwordx4 v[18:21], off, off offset:704
	s_waitcnt vmcnt(0)
	v_add_f64 v[18:19], v[18:19], -v[6:7]
	v_add_f64 v[20:21], v[20:21], -v[22:23]
	scratch_store_dwordx4 off, v[18:21], off offset:704
	ds_read2_b64 v[18:21], v14 offset0:90 offset1:91
	s_waitcnt lgkmcnt(0)
	v_mul_f64 v[6:7], v[20:21], v[4:5]
	v_mul_f64 v[22:23], v[18:19], v[4:5]
	v_fma_f64 v[6:7], v[18:19], v[2:3], -v[6:7]
	v_fmac_f64_e32 v[22:23], v[20:21], v[2:3]
	scratch_load_dwordx4 v[18:21], off, off offset:720
	s_waitcnt vmcnt(0)
	v_add_f64 v[18:19], v[18:19], -v[6:7]
	v_add_f64 v[20:21], v[20:21], -v[22:23]
	scratch_store_dwordx4 off, v[18:21], off offset:720
	ds_read2_b64 v[18:21], v14 offset0:92 offset1:93
	s_waitcnt lgkmcnt(0)
	;; [unrolled: 11-line block ×5, first 2 shown]
	v_mul_f64 v[6:7], v[20:21], v[4:5]
	v_fma_f64 v[6:7], v[18:19], v[2:3], -v[6:7]
	v_mul_f64 v[18:19], v[18:19], v[4:5]
	v_fmac_f64_e32 v[18:19], v[20:21], v[2:3]
	scratch_load_dwordx4 v[2:5], off, off offset:784
	s_waitcnt vmcnt(0)
	v_add_f64 v[2:3], v[2:3], -v[6:7]
	v_add_f64 v[4:5], v[4:5], -v[18:19]
	scratch_store_dwordx4 off, v[2:5], off offset:784
	ds_read2_b64 v[18:21], v14 offset0:100 offset1:101
	scratch_load_dwordx2 v[2:3], off, off offset:496
	scratch_load_dwordx2 v[4:5], off, off offset:504
	s_waitcnt vmcnt(0) lgkmcnt(0)
	v_mul_f64 v[6:7], v[20:21], v[4:5]
	v_mul_f64 v[22:23], v[18:19], v[4:5]
	v_fma_f64 v[6:7], v[18:19], v[2:3], -v[6:7]
	v_fmac_f64_e32 v[22:23], v[20:21], v[2:3]
	scratch_load_dwordx4 v[18:21], off, off offset:800
	s_waitcnt vmcnt(0)
	v_add_f64 v[18:19], v[18:19], -v[6:7]
	v_add_f64 v[20:21], v[20:21], -v[22:23]
	scratch_store_dwordx4 off, v[18:21], off offset:800
	ds_read2_b64 v[18:21], v14 offset0:102 offset1:103
	s_waitcnt lgkmcnt(0)
	v_mul_f64 v[6:7], v[20:21], v[4:5]
	v_mul_f64 v[22:23], v[18:19], v[4:5]
	v_fma_f64 v[6:7], v[18:19], v[2:3], -v[6:7]
	v_fmac_f64_e32 v[22:23], v[20:21], v[2:3]
	scratch_load_dwordx4 v[18:21], off, off offset:816
	s_waitcnt vmcnt(0)
	v_add_f64 v[18:19], v[18:19], -v[6:7]
	v_add_f64 v[20:21], v[20:21], -v[22:23]
	scratch_store_dwordx4 off, v[18:21], off offset:816
	ds_read2_b64 v[18:21], v14 offset0:104 offset1:105
	s_waitcnt lgkmcnt(0)
	;; [unrolled: 11-line block ×5, first 2 shown]
	v_mul_f64 v[6:7], v[20:21], v[4:5]
	v_fma_f64 v[6:7], v[18:19], v[2:3], -v[6:7]
	v_mul_f64 v[18:19], v[18:19], v[4:5]
	v_fmac_f64_e32 v[18:19], v[20:21], v[2:3]
	scratch_load_dwordx4 v[2:5], off, off offset:880
	s_waitcnt vmcnt(0)
	v_add_f64 v[2:3], v[2:3], -v[6:7]
	v_add_f64 v[4:5], v[4:5], -v[18:19]
	scratch_store_dwordx4 off, v[2:5], off offset:880
	ds_read2_b64 v[18:21], v14 offset0:112 offset1:113
	scratch_load_dwordx2 v[2:3], off, off offset:496
	scratch_load_dwordx2 v[4:5], off, off offset:504
	s_waitcnt vmcnt(0) lgkmcnt(0)
	v_mul_f64 v[6:7], v[20:21], v[4:5]
	v_mul_f64 v[22:23], v[18:19], v[4:5]
	v_fma_f64 v[6:7], v[18:19], v[2:3], -v[6:7]
	v_fmac_f64_e32 v[22:23], v[20:21], v[2:3]
	scratch_load_dwordx4 v[18:21], off, off offset:896
	s_waitcnt vmcnt(0)
	v_add_f64 v[18:19], v[18:19], -v[6:7]
	v_add_f64 v[20:21], v[20:21], -v[22:23]
	scratch_store_dwordx4 off, v[18:21], off offset:896
	ds_read2_b64 v[18:21], v14 offset0:114 offset1:115
	s_waitcnt lgkmcnt(0)
	v_mul_f64 v[6:7], v[20:21], v[4:5]
	v_mul_f64 v[22:23], v[18:19], v[4:5]
	v_fma_f64 v[6:7], v[18:19], v[2:3], -v[6:7]
	v_fmac_f64_e32 v[22:23], v[20:21], v[2:3]
	scratch_load_dwordx4 v[18:21], off, off offset:912
	s_waitcnt vmcnt(0)
	v_add_f64 v[18:19], v[18:19], -v[6:7]
	v_add_f64 v[20:21], v[20:21], -v[22:23]
	scratch_store_dwordx4 off, v[18:21], off offset:912
	ds_read2_b64 v[18:21], v14 offset0:116 offset1:117
	s_waitcnt lgkmcnt(0)
	;; [unrolled: 11-line block ×5, first 2 shown]
	v_mul_f64 v[6:7], v[20:21], v[4:5]
	v_fma_f64 v[6:7], v[18:19], v[2:3], -v[6:7]
	v_mul_f64 v[18:19], v[18:19], v[4:5]
	v_fmac_f64_e32 v[18:19], v[20:21], v[2:3]
	scratch_load_dwordx4 v[2:5], off, off offset:976
	s_waitcnt vmcnt(0)
	v_add_f64 v[2:3], v[2:3], -v[6:7]
	scratch_load_dwordx2 v[6:7], off, off offset:504
	v_add_f64 v[4:5], v[4:5], -v[18:19]
	scratch_store_dwordx4 off, v[2:5], off offset:976
	ds_read2_b64 v[2:5], v14 offset0:124 offset1:125
	s_waitcnt vmcnt(1) lgkmcnt(0)
	v_mul_f64 v[18:19], v[4:5], v[6:7]
	v_mul_f64 v[6:7], v[2:3], v[6:7]
	v_fma_f64 v[18:19], v[2:3], v[0:1], -v[18:19]
	v_fmac_f64_e32 v[6:7], v[4:5], v[0:1]
	scratch_load_dwordx4 v[0:3], off, off offset:992
	s_waitcnt vmcnt(0)
	v_add_f64 v[0:1], v[0:1], -v[18:19]
	v_add_f64 v[2:3], v[2:3], -v[6:7]
	scratch_store_dwordx4 off, v[0:3], off offset:992
.LBB124_781:
	s_or_b64 exec, exec, s[0:1]
	s_barrier
	scratch_load_dwordx4 v[0:3], off, s51
	v_lshl_add_u32 v4, v17, 4, v14
	s_cmp_lt_i32 s52, 34
	s_waitcnt vmcnt(0)
	ds_write2_b64 v4, v[0:1], v[2:3] offset1:1
	s_waitcnt lgkmcnt(0)
	s_barrier
	ds_read2_b64 v[0:3], v14 offset0:64 offset1:65
	v_mov_b32_e32 v4, 32
	s_cbranch_scc1 .LBB124_784
; %bb.782:
	v_add_u32_e32 v5, 0x210, v14
	s_mov_b32 s4, 33
	v_mov_b32_e32 v4, 32
.LBB124_783:                            ; =>This Inner Loop Header: Depth=1
	ds_read2_b64 v[18:21], v5 offset1:1
	s_waitcnt lgkmcnt(1)
	v_xor_b32_e32 v7, 0x80000000, v1
	v_xor_b32_e32 v23, 0x80000000, v3
	v_cmp_gt_f64_e32 vcc, 0, v[2:3]
	v_cmp_gt_f64_e64 s[0:1], 0, v[0:1]
	v_mov_b32_e32 v6, v0
	v_mov_b32_e32 v22, v2
	v_cndmask_b32_e64 v7, v1, v7, s[0:1]
	v_cndmask_b32_e32 v23, v3, v23, vcc
	v_add_f64 v[6:7], v[6:7], v[22:23]
	s_waitcnt lgkmcnt(0)
	v_xor_b32_e32 v23, 0x80000000, v19
	v_xor_b32_e32 v25, 0x80000000, v21
	v_cmp_gt_f64_e32 vcc, 0, v[20:21]
	v_cmp_gt_f64_e64 s[0:1], 0, v[18:19]
	v_mov_b32_e32 v22, v18
	v_mov_b32_e32 v24, v20
	v_cndmask_b32_e64 v23, v19, v23, s[0:1]
	v_cndmask_b32_e32 v25, v21, v25, vcc
	v_add_f64 v[22:23], v[22:23], v[24:25]
	v_mov_b32_e32 v26, s4
	s_add_i32 s4, s4, 1
	v_cmp_lt_f64_e32 vcc, v[6:7], v[22:23]
	v_add_u32_e32 v5, 16, v5
	s_cmp_lg_u32 s52, s4
	v_cndmask_b32_e32 v1, v1, v19, vcc
	v_cndmask_b32_e32 v0, v0, v18, vcc
	;; [unrolled: 1-line block ×5, first 2 shown]
	s_cbranch_scc1 .LBB124_783
.LBB124_784:
	s_waitcnt lgkmcnt(0)
	v_cmp_eq_f64_e32 vcc, 0, v[0:1]
	v_cmp_eq_f64_e64 s[0:1], 0, v[2:3]
	s_and_b64 s[0:1], vcc, s[0:1]
	s_and_saveexec_b64 s[4:5], s[0:1]
	s_xor_b64 s[0:1], exec, s[4:5]
; %bb.785:
	v_cmp_ne_u32_e32 vcc, 0, v15
	s_nop 1
	v_cndmask_b32_e32 v15, 33, v15, vcc
; %bb.786:
	s_andn2_saveexec_b64 s[0:1], s[0:1]
	s_cbranch_execz .LBB124_792
; %bb.787:
	v_cmp_ngt_f64_e64 s[4:5], |v[0:1]|, |v[2:3]|
	s_and_saveexec_b64 s[12:13], s[4:5]
	s_xor_b64 s[12:13], exec, s[12:13]
	s_cbranch_execz .LBB124_789
; %bb.788:
	v_div_scale_f64 v[6:7], s[4:5], v[2:3], v[2:3], v[0:1]
	v_rcp_f64_e32 v[18:19], v[6:7]
	v_div_scale_f64 v[20:21], vcc, v[0:1], v[2:3], v[0:1]
	v_fma_f64 v[22:23], -v[6:7], v[18:19], 1.0
	v_fmac_f64_e32 v[18:19], v[18:19], v[22:23]
	v_fma_f64 v[22:23], -v[6:7], v[18:19], 1.0
	v_fmac_f64_e32 v[18:19], v[18:19], v[22:23]
	v_mul_f64 v[22:23], v[20:21], v[18:19]
	v_fma_f64 v[6:7], -v[6:7], v[22:23], v[20:21]
	v_div_fmas_f64 v[6:7], v[6:7], v[18:19], v[22:23]
	v_div_fixup_f64 v[6:7], v[6:7], v[2:3], v[0:1]
	v_fmac_f64_e32 v[2:3], v[0:1], v[6:7]
	v_div_scale_f64 v[0:1], s[4:5], v[2:3], v[2:3], 1.0
	v_rcp_f64_e32 v[18:19], v[0:1]
	s_nop 0
	v_fma_f64 v[20:21], -v[0:1], v[18:19], 1.0
	v_fmac_f64_e32 v[18:19], v[18:19], v[20:21]
	v_fma_f64 v[20:21], -v[0:1], v[18:19], 1.0
	v_fmac_f64_e32 v[18:19], v[18:19], v[20:21]
	v_div_scale_f64 v[20:21], vcc, 1.0, v[2:3], 1.0
	v_mul_f64 v[22:23], v[20:21], v[18:19]
	v_fma_f64 v[0:1], -v[0:1], v[22:23], v[20:21]
	s_nop 1
	v_div_fmas_f64 v[0:1], v[0:1], v[18:19], v[22:23]
	v_div_fixup_f64 v[2:3], v[0:1], v[2:3], 1.0
	v_mul_f64 v[0:1], v[6:7], v[2:3]
	v_xor_b32_e32 v3, 0x80000000, v3
.LBB124_789:
	s_andn2_saveexec_b64 s[12:13], s[12:13]
	s_cbranch_execz .LBB124_791
; %bb.790:
	v_div_scale_f64 v[6:7], s[4:5], v[0:1], v[0:1], v[2:3]
	v_rcp_f64_e32 v[18:19], v[6:7]
	v_div_scale_f64 v[20:21], vcc, v[2:3], v[0:1], v[2:3]
	v_fma_f64 v[22:23], -v[6:7], v[18:19], 1.0
	v_fmac_f64_e32 v[18:19], v[18:19], v[22:23]
	v_fma_f64 v[22:23], -v[6:7], v[18:19], 1.0
	v_fmac_f64_e32 v[18:19], v[18:19], v[22:23]
	v_mul_f64 v[22:23], v[20:21], v[18:19]
	v_fma_f64 v[6:7], -v[6:7], v[22:23], v[20:21]
	v_div_fmas_f64 v[6:7], v[6:7], v[18:19], v[22:23]
	v_div_fixup_f64 v[6:7], v[6:7], v[0:1], v[2:3]
	v_fmac_f64_e32 v[0:1], v[2:3], v[6:7]
	v_div_scale_f64 v[2:3], s[4:5], v[0:1], v[0:1], 1.0
	v_rcp_f64_e32 v[18:19], v[2:3]
	s_nop 0
	v_fma_f64 v[20:21], -v[2:3], v[18:19], 1.0
	v_fmac_f64_e32 v[18:19], v[18:19], v[20:21]
	v_fma_f64 v[20:21], -v[2:3], v[18:19], 1.0
	v_fmac_f64_e32 v[18:19], v[18:19], v[20:21]
	v_div_scale_f64 v[20:21], vcc, 1.0, v[0:1], 1.0
	v_mul_f64 v[22:23], v[20:21], v[18:19]
	v_fma_f64 v[2:3], -v[2:3], v[22:23], v[20:21]
	s_nop 1
	v_div_fmas_f64 v[2:3], v[2:3], v[18:19], v[22:23]
	v_div_fixup_f64 v[0:1], v[2:3], v[0:1], 1.0
	v_mul_f64 v[2:3], v[6:7], -v[0:1]
.LBB124_791:
	s_or_b64 exec, exec, s[12:13]
.LBB124_792:
	s_or_b64 exec, exec, s[0:1]
	v_cmp_ne_u32_e32 vcc, v17, v4
	s_and_saveexec_b64 s[0:1], vcc
	s_xor_b64 s[0:1], exec, s[0:1]
	s_cbranch_execz .LBB124_798
; %bb.793:
	v_cmp_eq_u32_e32 vcc, 32, v17
	s_and_saveexec_b64 s[12:13], vcc
	s_cbranch_execz .LBB124_797
; %bb.794:
	v_cmp_ne_u32_e32 vcc, 32, v4
	s_xor_b64 s[4:5], s[18:19], -1
	s_and_b64 s[4:5], s[4:5], vcc
	s_and_saveexec_b64 s[14:15], s[4:5]
	s_cbranch_execz .LBB124_796
; %bb.795:
	v_ashrrev_i32_e32 v5, 31, v4
	v_lshl_add_u64 v[6:7], v[4:5], 2, v[10:11]
	global_load_dword v5, v[6:7], off
	global_load_dword v16, v[10:11], off offset:128
	s_waitcnt vmcnt(1)
	global_store_dword v[10:11], v5, off offset:128
	s_waitcnt vmcnt(1)
	global_store_dword v[6:7], v16, off
.LBB124_796:
	s_or_b64 exec, exec, s[14:15]
	v_mov_b32_e32 v17, v4
	v_mov_b32_e32 v16, v4
.LBB124_797:
	s_or_b64 exec, exec, s[12:13]
.LBB124_798:
	s_andn2_saveexec_b64 s[0:1], s[0:1]
	s_cbranch_execz .LBB124_800
; %bb.799:
	scratch_load_dwordx4 v[4:7], off, s50
	v_mov_b32_e32 v17, 32
	s_waitcnt vmcnt(0)
	ds_write2_b64 v14, v[4:5], v[6:7] offset0:66 offset1:67
	scratch_load_dwordx4 v[4:7], off, s49
	s_waitcnt vmcnt(0)
	ds_write2_b64 v14, v[4:5], v[6:7] offset0:68 offset1:69
	scratch_load_dwordx4 v[4:7], off, s48
	;; [unrolled: 3-line block ×29, first 2 shown]
	s_waitcnt vmcnt(0)
	ds_write2_b64 v14, v[4:5], v[6:7] offset0:124 offset1:125
.LBB124_800:
	s_or_b64 exec, exec, s[0:1]
	v_cmp_lt_i32_e32 vcc, 32, v17
	s_waitcnt lgkmcnt(0)
	s_barrier
	s_and_saveexec_b64 s[0:1], vcc
	s_cbranch_execz .LBB124_802
; %bb.801:
	scratch_load_dwordx4 v[4:7], off, off offset:512
	s_waitcnt vmcnt(0)
	v_mul_f64 v[18:19], v[2:3], v[6:7]
	v_mul_f64 v[20:21], v[0:1], v[6:7]
	v_fma_f64 v[18:19], v[0:1], v[4:5], -v[18:19]
	v_fmac_f64_e32 v[20:21], v[2:3], v[4:5]
	ds_read2_b64 v[0:3], v14 offset0:66 offset1:67
	scratch_store_dwordx4 off, v[18:21], off offset:512
	s_waitcnt lgkmcnt(0)
	v_mul_f64 v[4:5], v[2:3], v[20:21]
	v_mul_f64 v[6:7], v[0:1], v[20:21]
	v_fma_f64 v[4:5], v[0:1], v[18:19], -v[4:5]
	v_fmac_f64_e32 v[6:7], v[2:3], v[18:19]
	scratch_load_dwordx4 v[0:3], off, off offset:528
	s_waitcnt vmcnt(0)
	v_add_f64 v[0:1], v[0:1], -v[4:5]
	v_add_f64 v[2:3], v[2:3], -v[6:7]
	scratch_store_dwordx4 off, v[0:3], off offset:528
	ds_read2_b64 v[0:3], v14 offset0:68 offset1:69
	s_waitcnt lgkmcnt(0)
	v_mul_f64 v[4:5], v[2:3], v[20:21]
	v_mul_f64 v[6:7], v[0:1], v[20:21]
	v_fma_f64 v[4:5], v[0:1], v[18:19], -v[4:5]
	v_fmac_f64_e32 v[6:7], v[2:3], v[18:19]
	scratch_load_dwordx4 v[0:3], off, off offset:544
	s_waitcnt vmcnt(0)
	v_add_f64 v[0:1], v[0:1], -v[4:5]
	v_add_f64 v[2:3], v[2:3], -v[6:7]
	scratch_store_dwordx4 off, v[0:3], off offset:544
	ds_read2_b64 v[0:3], v14 offset0:70 offset1:71
	;; [unrolled: 11-line block ×6, first 2 shown]
	scratch_load_dwordx2 v[18:19], off, off offset:512
	scratch_load_dwordx4 v[0:3], off, off offset:512
	s_waitcnt vmcnt(0) lgkmcnt(0)
	v_mul_f64 v[20:21], v[6:7], v[2:3]
	v_mul_f64 v[22:23], v[4:5], v[2:3]
	v_fma_f64 v[20:21], v[4:5], v[18:19], -v[20:21]
	v_fmac_f64_e32 v[22:23], v[6:7], v[18:19]
	scratch_load_dwordx4 v[4:7], off, off offset:624
	s_waitcnt vmcnt(0)
	v_add_f64 v[4:5], v[4:5], -v[20:21]
	v_add_f64 v[6:7], v[6:7], -v[22:23]
	scratch_store_dwordx4 off, v[4:7], off offset:624
	ds_read2_b64 v[4:7], v14 offset0:80 offset1:81
	s_waitcnt lgkmcnt(0)
	v_mul_f64 v[20:21], v[6:7], v[2:3]
	v_mul_f64 v[22:23], v[4:5], v[2:3]
	v_fma_f64 v[20:21], v[4:5], v[18:19], -v[20:21]
	v_fmac_f64_e32 v[22:23], v[6:7], v[18:19]
	scratch_load_dwordx4 v[4:7], off, off offset:640
	s_waitcnt vmcnt(0)
	v_add_f64 v[4:5], v[4:5], -v[20:21]
	v_add_f64 v[6:7], v[6:7], -v[22:23]
	scratch_store_dwordx4 off, v[4:7], off offset:640
	ds_read2_b64 v[4:7], v14 offset0:82 offset1:83
	s_waitcnt lgkmcnt(0)
	;; [unrolled: 11-line block ×5, first 2 shown]
	v_mul_f64 v[20:21], v[6:7], v[2:3]
	v_fma_f64 v[20:21], v[4:5], v[18:19], -v[20:21]
	v_mul_f64 v[22:23], v[4:5], v[2:3]
	scratch_load_dwordx4 v[2:5], off, off offset:704
	v_fmac_f64_e32 v[22:23], v[6:7], v[18:19]
	s_waitcnt vmcnt(0)
	v_add_f64 v[2:3], v[2:3], -v[20:21]
	v_add_f64 v[4:5], v[4:5], -v[22:23]
	scratch_store_dwordx4 off, v[2:5], off offset:704
	ds_read2_b64 v[2:5], v14 offset0:90 offset1:91
	scratch_load_dwordx2 v[6:7], off, off offset:512
	scratch_load_dwordx2 v[18:19], off, off offset:520
	s_waitcnt vmcnt(0) lgkmcnt(0)
	v_mul_f64 v[20:21], v[4:5], v[18:19]
	v_mul_f64 v[22:23], v[2:3], v[18:19]
	v_fma_f64 v[20:21], v[2:3], v[6:7], -v[20:21]
	v_fmac_f64_e32 v[22:23], v[4:5], v[6:7]
	scratch_load_dwordx4 v[2:5], off, off offset:720
	s_waitcnt vmcnt(0)
	v_add_f64 v[2:3], v[2:3], -v[20:21]
	v_add_f64 v[4:5], v[4:5], -v[22:23]
	scratch_store_dwordx4 off, v[2:5], off offset:720
	ds_read2_b64 v[2:5], v14 offset0:92 offset1:93
	s_waitcnt lgkmcnt(0)
	v_mul_f64 v[20:21], v[4:5], v[18:19]
	v_mul_f64 v[22:23], v[2:3], v[18:19]
	v_fma_f64 v[20:21], v[2:3], v[6:7], -v[20:21]
	v_fmac_f64_e32 v[22:23], v[4:5], v[6:7]
	scratch_load_dwordx4 v[2:5], off, off offset:736
	s_waitcnt vmcnt(0)
	v_add_f64 v[2:3], v[2:3], -v[20:21]
	v_add_f64 v[4:5], v[4:5], -v[22:23]
	scratch_store_dwordx4 off, v[2:5], off offset:736
	ds_read2_b64 v[2:5], v14 offset0:94 offset1:95
	s_waitcnt lgkmcnt(0)
	;; [unrolled: 11-line block ×5, first 2 shown]
	v_mul_f64 v[20:21], v[4:5], v[18:19]
	v_mul_f64 v[18:19], v[2:3], v[18:19]
	v_fma_f64 v[20:21], v[2:3], v[6:7], -v[20:21]
	v_fmac_f64_e32 v[18:19], v[4:5], v[6:7]
	scratch_load_dwordx4 v[2:5], off, off offset:800
	s_waitcnt vmcnt(0)
	v_add_f64 v[2:3], v[2:3], -v[20:21]
	v_add_f64 v[4:5], v[4:5], -v[18:19]
	scratch_store_dwordx4 off, v[2:5], off offset:800
	ds_read2_b64 v[2:5], v14 offset0:102 offset1:103
	scratch_load_dwordx2 v[6:7], off, off offset:512
	scratch_load_dwordx2 v[18:19], off, off offset:520
	s_waitcnt vmcnt(0) lgkmcnt(0)
	v_mul_f64 v[20:21], v[4:5], v[18:19]
	v_mul_f64 v[22:23], v[2:3], v[18:19]
	v_fma_f64 v[20:21], v[2:3], v[6:7], -v[20:21]
	v_fmac_f64_e32 v[22:23], v[4:5], v[6:7]
	scratch_load_dwordx4 v[2:5], off, off offset:816
	s_waitcnt vmcnt(0)
	v_add_f64 v[2:3], v[2:3], -v[20:21]
	v_add_f64 v[4:5], v[4:5], -v[22:23]
	scratch_store_dwordx4 off, v[2:5], off offset:816
	ds_read2_b64 v[2:5], v14 offset0:104 offset1:105
	s_waitcnt lgkmcnt(0)
	v_mul_f64 v[20:21], v[4:5], v[18:19]
	v_mul_f64 v[22:23], v[2:3], v[18:19]
	v_fma_f64 v[20:21], v[2:3], v[6:7], -v[20:21]
	v_fmac_f64_e32 v[22:23], v[4:5], v[6:7]
	scratch_load_dwordx4 v[2:5], off, off offset:832
	s_waitcnt vmcnt(0)
	v_add_f64 v[2:3], v[2:3], -v[20:21]
	v_add_f64 v[4:5], v[4:5], -v[22:23]
	scratch_store_dwordx4 off, v[2:5], off offset:832
	ds_read2_b64 v[2:5], v14 offset0:106 offset1:107
	s_waitcnt lgkmcnt(0)
	;; [unrolled: 11-line block ×5, first 2 shown]
	v_mul_f64 v[20:21], v[4:5], v[18:19]
	v_mul_f64 v[18:19], v[2:3], v[18:19]
	v_fma_f64 v[20:21], v[2:3], v[6:7], -v[20:21]
	v_fmac_f64_e32 v[18:19], v[4:5], v[6:7]
	scratch_load_dwordx4 v[2:5], off, off offset:896
	scratch_load_dwordx2 v[6:7], off, off offset:520
	s_waitcnt vmcnt(1)
	v_add_f64 v[2:3], v[2:3], -v[20:21]
	v_add_f64 v[4:5], v[4:5], -v[18:19]
	scratch_store_dwordx4 off, v[2:5], off offset:896
	ds_read2_b64 v[2:5], v14 offset0:114 offset1:115
	s_waitcnt vmcnt(1) lgkmcnt(0)
	v_mul_f64 v[18:19], v[4:5], v[6:7]
	v_mul_f64 v[20:21], v[2:3], v[6:7]
	v_fma_f64 v[18:19], v[2:3], v[0:1], -v[18:19]
	v_fmac_f64_e32 v[20:21], v[4:5], v[0:1]
	scratch_load_dwordx4 v[2:5], off, off offset:912
	s_waitcnt vmcnt(0)
	v_add_f64 v[2:3], v[2:3], -v[18:19]
	v_add_f64 v[4:5], v[4:5], -v[20:21]
	scratch_store_dwordx4 off, v[2:5], off offset:912
	ds_read2_b64 v[2:5], v14 offset0:116 offset1:117
	s_waitcnt lgkmcnt(0)
	v_mul_f64 v[18:19], v[4:5], v[6:7]
	v_mul_f64 v[20:21], v[2:3], v[6:7]
	v_fma_f64 v[18:19], v[2:3], v[0:1], -v[18:19]
	v_fmac_f64_e32 v[20:21], v[4:5], v[0:1]
	scratch_load_dwordx4 v[2:5], off, off offset:928
	s_waitcnt vmcnt(0)
	v_add_f64 v[2:3], v[2:3], -v[18:19]
	v_add_f64 v[4:5], v[4:5], -v[20:21]
	scratch_store_dwordx4 off, v[2:5], off offset:928
	ds_read2_b64 v[2:5], v14 offset0:118 offset1:119
	s_waitcnt lgkmcnt(0)
	;; [unrolled: 11-line block ×5, first 2 shown]
	v_mul_f64 v[18:19], v[4:5], v[6:7]
	v_mul_f64 v[6:7], v[2:3], v[6:7]
	v_fma_f64 v[18:19], v[2:3], v[0:1], -v[18:19]
	v_fmac_f64_e32 v[6:7], v[4:5], v[0:1]
	scratch_load_dwordx4 v[0:3], off, off offset:992
	s_waitcnt vmcnt(0)
	v_add_f64 v[0:1], v[0:1], -v[18:19]
	v_add_f64 v[2:3], v[2:3], -v[6:7]
	scratch_store_dwordx4 off, v[0:3], off offset:992
.LBB124_802:
	s_or_b64 exec, exec, s[0:1]
	s_barrier
	scratch_load_dwordx4 v[0:3], off, s50
	v_lshl_add_u32 v4, v17, 4, v14
	s_cmp_lt_i32 s52, 35
	s_waitcnt vmcnt(0)
	ds_write2_b64 v4, v[0:1], v[2:3] offset1:1
	s_waitcnt lgkmcnt(0)
	s_barrier
	ds_read2_b64 v[0:3], v14 offset0:66 offset1:67
	v_mov_b32_e32 v4, 33
	s_cbranch_scc1 .LBB124_805
; %bb.803:
	v_add_u32_e32 v5, 0x220, v14
	s_mov_b32 s4, 34
	v_mov_b32_e32 v4, 33
.LBB124_804:                            ; =>This Inner Loop Header: Depth=1
	ds_read2_b64 v[18:21], v5 offset1:1
	s_waitcnt lgkmcnt(1)
	v_xor_b32_e32 v7, 0x80000000, v1
	v_xor_b32_e32 v23, 0x80000000, v3
	v_cmp_gt_f64_e32 vcc, 0, v[2:3]
	v_cmp_gt_f64_e64 s[0:1], 0, v[0:1]
	v_mov_b32_e32 v6, v0
	v_mov_b32_e32 v22, v2
	v_cndmask_b32_e64 v7, v1, v7, s[0:1]
	v_cndmask_b32_e32 v23, v3, v23, vcc
	v_add_f64 v[6:7], v[6:7], v[22:23]
	s_waitcnt lgkmcnt(0)
	v_xor_b32_e32 v23, 0x80000000, v19
	v_xor_b32_e32 v25, 0x80000000, v21
	v_cmp_gt_f64_e32 vcc, 0, v[20:21]
	v_cmp_gt_f64_e64 s[0:1], 0, v[18:19]
	v_mov_b32_e32 v22, v18
	v_mov_b32_e32 v24, v20
	v_cndmask_b32_e64 v23, v19, v23, s[0:1]
	v_cndmask_b32_e32 v25, v21, v25, vcc
	v_add_f64 v[22:23], v[22:23], v[24:25]
	v_mov_b32_e32 v26, s4
	s_add_i32 s4, s4, 1
	v_cmp_lt_f64_e32 vcc, v[6:7], v[22:23]
	v_add_u32_e32 v5, 16, v5
	s_cmp_lg_u32 s52, s4
	v_cndmask_b32_e32 v1, v1, v19, vcc
	v_cndmask_b32_e32 v0, v0, v18, vcc
	;; [unrolled: 1-line block ×5, first 2 shown]
	s_cbranch_scc1 .LBB124_804
.LBB124_805:
	s_waitcnt lgkmcnt(0)
	v_cmp_eq_f64_e32 vcc, 0, v[0:1]
	v_cmp_eq_f64_e64 s[0:1], 0, v[2:3]
	s_and_b64 s[0:1], vcc, s[0:1]
	s_and_saveexec_b64 s[4:5], s[0:1]
	s_xor_b64 s[0:1], exec, s[4:5]
; %bb.806:
	v_cmp_ne_u32_e32 vcc, 0, v15
	s_nop 1
	v_cndmask_b32_e32 v15, 34, v15, vcc
; %bb.807:
	s_andn2_saveexec_b64 s[0:1], s[0:1]
	s_cbranch_execz .LBB124_813
; %bb.808:
	v_cmp_ngt_f64_e64 s[4:5], |v[0:1]|, |v[2:3]|
	s_and_saveexec_b64 s[12:13], s[4:5]
	s_xor_b64 s[12:13], exec, s[12:13]
	s_cbranch_execz .LBB124_810
; %bb.809:
	v_div_scale_f64 v[6:7], s[4:5], v[2:3], v[2:3], v[0:1]
	v_rcp_f64_e32 v[18:19], v[6:7]
	v_div_scale_f64 v[20:21], vcc, v[0:1], v[2:3], v[0:1]
	v_fma_f64 v[22:23], -v[6:7], v[18:19], 1.0
	v_fmac_f64_e32 v[18:19], v[18:19], v[22:23]
	v_fma_f64 v[22:23], -v[6:7], v[18:19], 1.0
	v_fmac_f64_e32 v[18:19], v[18:19], v[22:23]
	v_mul_f64 v[22:23], v[20:21], v[18:19]
	v_fma_f64 v[6:7], -v[6:7], v[22:23], v[20:21]
	v_div_fmas_f64 v[6:7], v[6:7], v[18:19], v[22:23]
	v_div_fixup_f64 v[6:7], v[6:7], v[2:3], v[0:1]
	v_fmac_f64_e32 v[2:3], v[0:1], v[6:7]
	v_div_scale_f64 v[0:1], s[4:5], v[2:3], v[2:3], 1.0
	v_rcp_f64_e32 v[18:19], v[0:1]
	s_nop 0
	v_fma_f64 v[20:21], -v[0:1], v[18:19], 1.0
	v_fmac_f64_e32 v[18:19], v[18:19], v[20:21]
	v_fma_f64 v[20:21], -v[0:1], v[18:19], 1.0
	v_fmac_f64_e32 v[18:19], v[18:19], v[20:21]
	v_div_scale_f64 v[20:21], vcc, 1.0, v[2:3], 1.0
	v_mul_f64 v[22:23], v[20:21], v[18:19]
	v_fma_f64 v[0:1], -v[0:1], v[22:23], v[20:21]
	s_nop 1
	v_div_fmas_f64 v[0:1], v[0:1], v[18:19], v[22:23]
	v_div_fixup_f64 v[2:3], v[0:1], v[2:3], 1.0
	v_mul_f64 v[0:1], v[6:7], v[2:3]
	v_xor_b32_e32 v3, 0x80000000, v3
.LBB124_810:
	s_andn2_saveexec_b64 s[12:13], s[12:13]
	s_cbranch_execz .LBB124_812
; %bb.811:
	v_div_scale_f64 v[6:7], s[4:5], v[0:1], v[0:1], v[2:3]
	v_rcp_f64_e32 v[18:19], v[6:7]
	v_div_scale_f64 v[20:21], vcc, v[2:3], v[0:1], v[2:3]
	v_fma_f64 v[22:23], -v[6:7], v[18:19], 1.0
	v_fmac_f64_e32 v[18:19], v[18:19], v[22:23]
	v_fma_f64 v[22:23], -v[6:7], v[18:19], 1.0
	v_fmac_f64_e32 v[18:19], v[18:19], v[22:23]
	v_mul_f64 v[22:23], v[20:21], v[18:19]
	v_fma_f64 v[6:7], -v[6:7], v[22:23], v[20:21]
	v_div_fmas_f64 v[6:7], v[6:7], v[18:19], v[22:23]
	v_div_fixup_f64 v[6:7], v[6:7], v[0:1], v[2:3]
	v_fmac_f64_e32 v[0:1], v[2:3], v[6:7]
	v_div_scale_f64 v[2:3], s[4:5], v[0:1], v[0:1], 1.0
	v_rcp_f64_e32 v[18:19], v[2:3]
	s_nop 0
	v_fma_f64 v[20:21], -v[2:3], v[18:19], 1.0
	v_fmac_f64_e32 v[18:19], v[18:19], v[20:21]
	v_fma_f64 v[20:21], -v[2:3], v[18:19], 1.0
	v_fmac_f64_e32 v[18:19], v[18:19], v[20:21]
	v_div_scale_f64 v[20:21], vcc, 1.0, v[0:1], 1.0
	v_mul_f64 v[22:23], v[20:21], v[18:19]
	v_fma_f64 v[2:3], -v[2:3], v[22:23], v[20:21]
	s_nop 1
	v_div_fmas_f64 v[2:3], v[2:3], v[18:19], v[22:23]
	v_div_fixup_f64 v[0:1], v[2:3], v[0:1], 1.0
	v_mul_f64 v[2:3], v[6:7], -v[0:1]
.LBB124_812:
	s_or_b64 exec, exec, s[12:13]
.LBB124_813:
	s_or_b64 exec, exec, s[0:1]
	v_cmp_ne_u32_e32 vcc, v17, v4
	s_and_saveexec_b64 s[0:1], vcc
	s_xor_b64 s[0:1], exec, s[0:1]
	s_cbranch_execz .LBB124_819
; %bb.814:
	v_cmp_eq_u32_e32 vcc, 33, v17
	s_and_saveexec_b64 s[12:13], vcc
	s_cbranch_execz .LBB124_818
; %bb.815:
	v_cmp_ne_u32_e32 vcc, 33, v4
	s_xor_b64 s[4:5], s[18:19], -1
	s_and_b64 s[4:5], s[4:5], vcc
	s_and_saveexec_b64 s[14:15], s[4:5]
	s_cbranch_execz .LBB124_817
; %bb.816:
	v_ashrrev_i32_e32 v5, 31, v4
	v_lshl_add_u64 v[6:7], v[4:5], 2, v[10:11]
	global_load_dword v5, v[6:7], off
	global_load_dword v16, v[10:11], off offset:132
	s_waitcnt vmcnt(1)
	global_store_dword v[10:11], v5, off offset:132
	s_waitcnt vmcnt(1)
	global_store_dword v[6:7], v16, off
.LBB124_817:
	s_or_b64 exec, exec, s[14:15]
	v_mov_b32_e32 v17, v4
	v_mov_b32_e32 v16, v4
.LBB124_818:
	s_or_b64 exec, exec, s[12:13]
.LBB124_819:
	s_andn2_saveexec_b64 s[0:1], s[0:1]
	s_cbranch_execz .LBB124_821
; %bb.820:
	scratch_load_dwordx4 v[4:7], off, s49
	v_mov_b32_e32 v17, 33
	s_waitcnt vmcnt(0)
	ds_write2_b64 v14, v[4:5], v[6:7] offset0:68 offset1:69
	scratch_load_dwordx4 v[4:7], off, s48
	s_waitcnt vmcnt(0)
	ds_write2_b64 v14, v[4:5], v[6:7] offset0:70 offset1:71
	scratch_load_dwordx4 v[4:7], off, s47
	;; [unrolled: 3-line block ×28, first 2 shown]
	s_waitcnt vmcnt(0)
	ds_write2_b64 v14, v[4:5], v[6:7] offset0:124 offset1:125
.LBB124_821:
	s_or_b64 exec, exec, s[0:1]
	v_cmp_lt_i32_e32 vcc, 33, v17
	s_waitcnt lgkmcnt(0)
	s_barrier
	s_and_saveexec_b64 s[0:1], vcc
	s_cbranch_execz .LBB124_823
; %bb.822:
	scratch_load_dwordx4 v[4:7], off, off offset:528
	s_waitcnt vmcnt(0)
	v_mul_f64 v[18:19], v[2:3], v[6:7]
	v_mul_f64 v[20:21], v[0:1], v[6:7]
	v_fma_f64 v[18:19], v[0:1], v[4:5], -v[18:19]
	v_fmac_f64_e32 v[20:21], v[2:3], v[4:5]
	ds_read2_b64 v[0:3], v14 offset0:68 offset1:69
	scratch_store_dwordx4 off, v[18:21], off offset:528
	s_waitcnt lgkmcnt(0)
	v_mul_f64 v[4:5], v[2:3], v[20:21]
	v_mul_f64 v[6:7], v[0:1], v[20:21]
	v_fma_f64 v[4:5], v[0:1], v[18:19], -v[4:5]
	v_fmac_f64_e32 v[6:7], v[2:3], v[18:19]
	scratch_load_dwordx4 v[0:3], off, off offset:544
	s_waitcnt vmcnt(0)
	v_add_f64 v[0:1], v[0:1], -v[4:5]
	v_add_f64 v[2:3], v[2:3], -v[6:7]
	scratch_store_dwordx4 off, v[0:3], off offset:544
	ds_read2_b64 v[0:3], v14 offset0:70 offset1:71
	s_waitcnt lgkmcnt(0)
	v_mul_f64 v[4:5], v[2:3], v[20:21]
	v_mul_f64 v[6:7], v[0:1], v[20:21]
	v_fma_f64 v[4:5], v[0:1], v[18:19], -v[4:5]
	v_fmac_f64_e32 v[6:7], v[2:3], v[18:19]
	scratch_load_dwordx4 v[0:3], off, off offset:560
	s_waitcnt vmcnt(0)
	v_add_f64 v[0:1], v[0:1], -v[4:5]
	v_add_f64 v[2:3], v[2:3], -v[6:7]
	scratch_store_dwordx4 off, v[0:3], off offset:560
	ds_read2_b64 v[0:3], v14 offset0:72 offset1:73
	;; [unrolled: 11-line block ×6, first 2 shown]
	scratch_load_dwordx2 v[18:19], off, off offset:528
	scratch_load_dwordx4 v[0:3], off, off offset:528
	s_waitcnt vmcnt(0) lgkmcnt(0)
	v_mul_f64 v[20:21], v[6:7], v[2:3]
	v_mul_f64 v[22:23], v[4:5], v[2:3]
	v_fma_f64 v[20:21], v[4:5], v[18:19], -v[20:21]
	v_fmac_f64_e32 v[22:23], v[6:7], v[18:19]
	scratch_load_dwordx4 v[4:7], off, off offset:640
	s_waitcnt vmcnt(0)
	v_add_f64 v[4:5], v[4:5], -v[20:21]
	v_add_f64 v[6:7], v[6:7], -v[22:23]
	scratch_store_dwordx4 off, v[4:7], off offset:640
	ds_read2_b64 v[4:7], v14 offset0:82 offset1:83
	s_waitcnt lgkmcnt(0)
	v_mul_f64 v[20:21], v[6:7], v[2:3]
	v_mul_f64 v[22:23], v[4:5], v[2:3]
	v_fma_f64 v[20:21], v[4:5], v[18:19], -v[20:21]
	v_fmac_f64_e32 v[22:23], v[6:7], v[18:19]
	scratch_load_dwordx4 v[4:7], off, off offset:656
	s_waitcnt vmcnt(0)
	v_add_f64 v[4:5], v[4:5], -v[20:21]
	v_add_f64 v[6:7], v[6:7], -v[22:23]
	scratch_store_dwordx4 off, v[4:7], off offset:656
	ds_read2_b64 v[4:7], v14 offset0:84 offset1:85
	s_waitcnt lgkmcnt(0)
	;; [unrolled: 11-line block ×5, first 2 shown]
	v_mul_f64 v[20:21], v[6:7], v[2:3]
	v_fma_f64 v[20:21], v[4:5], v[18:19], -v[20:21]
	v_mul_f64 v[22:23], v[4:5], v[2:3]
	scratch_load_dwordx4 v[2:5], off, off offset:720
	v_fmac_f64_e32 v[22:23], v[6:7], v[18:19]
	s_waitcnt vmcnt(0)
	v_add_f64 v[2:3], v[2:3], -v[20:21]
	v_add_f64 v[4:5], v[4:5], -v[22:23]
	scratch_store_dwordx4 off, v[2:5], off offset:720
	ds_read2_b64 v[2:5], v14 offset0:92 offset1:93
	scratch_load_dwordx2 v[6:7], off, off offset:528
	scratch_load_dwordx2 v[18:19], off, off offset:536
	s_waitcnt vmcnt(0) lgkmcnt(0)
	v_mul_f64 v[20:21], v[4:5], v[18:19]
	v_mul_f64 v[22:23], v[2:3], v[18:19]
	v_fma_f64 v[20:21], v[2:3], v[6:7], -v[20:21]
	v_fmac_f64_e32 v[22:23], v[4:5], v[6:7]
	scratch_load_dwordx4 v[2:5], off, off offset:736
	s_waitcnt vmcnt(0)
	v_add_f64 v[2:3], v[2:3], -v[20:21]
	v_add_f64 v[4:5], v[4:5], -v[22:23]
	scratch_store_dwordx4 off, v[2:5], off offset:736
	ds_read2_b64 v[2:5], v14 offset0:94 offset1:95
	s_waitcnt lgkmcnt(0)
	v_mul_f64 v[20:21], v[4:5], v[18:19]
	v_mul_f64 v[22:23], v[2:3], v[18:19]
	v_fma_f64 v[20:21], v[2:3], v[6:7], -v[20:21]
	v_fmac_f64_e32 v[22:23], v[4:5], v[6:7]
	scratch_load_dwordx4 v[2:5], off, off offset:752
	s_waitcnt vmcnt(0)
	v_add_f64 v[2:3], v[2:3], -v[20:21]
	v_add_f64 v[4:5], v[4:5], -v[22:23]
	scratch_store_dwordx4 off, v[2:5], off offset:752
	ds_read2_b64 v[2:5], v14 offset0:96 offset1:97
	s_waitcnt lgkmcnt(0)
	;; [unrolled: 11-line block ×5, first 2 shown]
	v_mul_f64 v[20:21], v[4:5], v[18:19]
	v_mul_f64 v[18:19], v[2:3], v[18:19]
	v_fma_f64 v[20:21], v[2:3], v[6:7], -v[20:21]
	v_fmac_f64_e32 v[18:19], v[4:5], v[6:7]
	scratch_load_dwordx4 v[2:5], off, off offset:816
	s_waitcnt vmcnt(0)
	v_add_f64 v[2:3], v[2:3], -v[20:21]
	v_add_f64 v[4:5], v[4:5], -v[18:19]
	scratch_store_dwordx4 off, v[2:5], off offset:816
	ds_read2_b64 v[2:5], v14 offset0:104 offset1:105
	scratch_load_dwordx2 v[6:7], off, off offset:528
	scratch_load_dwordx2 v[18:19], off, off offset:536
	s_waitcnt vmcnt(0) lgkmcnt(0)
	v_mul_f64 v[20:21], v[4:5], v[18:19]
	v_mul_f64 v[22:23], v[2:3], v[18:19]
	v_fma_f64 v[20:21], v[2:3], v[6:7], -v[20:21]
	v_fmac_f64_e32 v[22:23], v[4:5], v[6:7]
	scratch_load_dwordx4 v[2:5], off, off offset:832
	s_waitcnt vmcnt(0)
	v_add_f64 v[2:3], v[2:3], -v[20:21]
	v_add_f64 v[4:5], v[4:5], -v[22:23]
	scratch_store_dwordx4 off, v[2:5], off offset:832
	ds_read2_b64 v[2:5], v14 offset0:106 offset1:107
	s_waitcnt lgkmcnt(0)
	v_mul_f64 v[20:21], v[4:5], v[18:19]
	v_mul_f64 v[22:23], v[2:3], v[18:19]
	v_fma_f64 v[20:21], v[2:3], v[6:7], -v[20:21]
	v_fmac_f64_e32 v[22:23], v[4:5], v[6:7]
	scratch_load_dwordx4 v[2:5], off, off offset:848
	s_waitcnt vmcnt(0)
	v_add_f64 v[2:3], v[2:3], -v[20:21]
	v_add_f64 v[4:5], v[4:5], -v[22:23]
	scratch_store_dwordx4 off, v[2:5], off offset:848
	ds_read2_b64 v[2:5], v14 offset0:108 offset1:109
	s_waitcnt lgkmcnt(0)
	;; [unrolled: 11-line block ×5, first 2 shown]
	v_mul_f64 v[20:21], v[4:5], v[18:19]
	v_mul_f64 v[18:19], v[2:3], v[18:19]
	v_fma_f64 v[20:21], v[2:3], v[6:7], -v[20:21]
	v_fmac_f64_e32 v[18:19], v[4:5], v[6:7]
	scratch_load_dwordx4 v[2:5], off, off offset:912
	scratch_load_dwordx2 v[6:7], off, off offset:536
	s_waitcnt vmcnt(1)
	v_add_f64 v[2:3], v[2:3], -v[20:21]
	v_add_f64 v[4:5], v[4:5], -v[18:19]
	scratch_store_dwordx4 off, v[2:5], off offset:912
	ds_read2_b64 v[2:5], v14 offset0:116 offset1:117
	s_waitcnt vmcnt(1) lgkmcnt(0)
	v_mul_f64 v[18:19], v[4:5], v[6:7]
	v_mul_f64 v[20:21], v[2:3], v[6:7]
	v_fma_f64 v[18:19], v[2:3], v[0:1], -v[18:19]
	v_fmac_f64_e32 v[20:21], v[4:5], v[0:1]
	scratch_load_dwordx4 v[2:5], off, off offset:928
	s_waitcnt vmcnt(0)
	v_add_f64 v[2:3], v[2:3], -v[18:19]
	v_add_f64 v[4:5], v[4:5], -v[20:21]
	scratch_store_dwordx4 off, v[2:5], off offset:928
	ds_read2_b64 v[2:5], v14 offset0:118 offset1:119
	s_waitcnt lgkmcnt(0)
	v_mul_f64 v[18:19], v[4:5], v[6:7]
	v_mul_f64 v[20:21], v[2:3], v[6:7]
	v_fma_f64 v[18:19], v[2:3], v[0:1], -v[18:19]
	v_fmac_f64_e32 v[20:21], v[4:5], v[0:1]
	scratch_load_dwordx4 v[2:5], off, off offset:944
	s_waitcnt vmcnt(0)
	v_add_f64 v[2:3], v[2:3], -v[18:19]
	v_add_f64 v[4:5], v[4:5], -v[20:21]
	scratch_store_dwordx4 off, v[2:5], off offset:944
	ds_read2_b64 v[2:5], v14 offset0:120 offset1:121
	s_waitcnt lgkmcnt(0)
	v_mul_f64 v[18:19], v[4:5], v[6:7]
	v_mul_f64 v[20:21], v[2:3], v[6:7]
	v_fma_f64 v[18:19], v[2:3], v[0:1], -v[18:19]
	v_fmac_f64_e32 v[20:21], v[4:5], v[0:1]
	scratch_load_dwordx4 v[2:5], off, off offset:960
	s_waitcnt vmcnt(0)
	v_add_f64 v[2:3], v[2:3], -v[18:19]
	v_add_f64 v[4:5], v[4:5], -v[20:21]
	scratch_store_dwordx4 off, v[2:5], off offset:960
	ds_read2_b64 v[2:5], v14 offset0:122 offset1:123
	s_waitcnt lgkmcnt(0)
	v_mul_f64 v[18:19], v[4:5], v[6:7]
	v_mul_f64 v[20:21], v[2:3], v[6:7]
	v_fma_f64 v[18:19], v[2:3], v[0:1], -v[18:19]
	v_fmac_f64_e32 v[20:21], v[4:5], v[0:1]
	scratch_load_dwordx4 v[2:5], off, off offset:976
	s_waitcnt vmcnt(0)
	v_add_f64 v[2:3], v[2:3], -v[18:19]
	v_add_f64 v[4:5], v[4:5], -v[20:21]
	scratch_store_dwordx4 off, v[2:5], off offset:976
	ds_read2_b64 v[2:5], v14 offset0:124 offset1:125
	s_waitcnt lgkmcnt(0)
	v_mul_f64 v[18:19], v[4:5], v[6:7]
	v_mul_f64 v[6:7], v[2:3], v[6:7]
	v_fma_f64 v[18:19], v[2:3], v[0:1], -v[18:19]
	v_fmac_f64_e32 v[6:7], v[4:5], v[0:1]
	scratch_load_dwordx4 v[0:3], off, off offset:992
	s_waitcnt vmcnt(0)
	v_add_f64 v[0:1], v[0:1], -v[18:19]
	v_add_f64 v[2:3], v[2:3], -v[6:7]
	scratch_store_dwordx4 off, v[0:3], off offset:992
.LBB124_823:
	s_or_b64 exec, exec, s[0:1]
	s_barrier
	scratch_load_dwordx4 v[0:3], off, s49
	v_lshl_add_u32 v4, v17, 4, v14
	s_cmp_lt_i32 s52, 36
	s_waitcnt vmcnt(0)
	ds_write2_b64 v4, v[0:1], v[2:3] offset1:1
	s_waitcnt lgkmcnt(0)
	s_barrier
	ds_read2_b64 v[0:3], v14 offset0:68 offset1:69
	v_mov_b32_e32 v4, 34
	s_cbranch_scc1 .LBB124_826
; %bb.824:
	v_add_u32_e32 v5, 0x230, v14
	s_mov_b32 s4, 35
	v_mov_b32_e32 v4, 34
.LBB124_825:                            ; =>This Inner Loop Header: Depth=1
	ds_read2_b64 v[18:21], v5 offset1:1
	s_waitcnt lgkmcnt(1)
	v_xor_b32_e32 v7, 0x80000000, v1
	v_xor_b32_e32 v23, 0x80000000, v3
	v_cmp_gt_f64_e32 vcc, 0, v[2:3]
	v_cmp_gt_f64_e64 s[0:1], 0, v[0:1]
	v_mov_b32_e32 v6, v0
	v_mov_b32_e32 v22, v2
	v_cndmask_b32_e64 v7, v1, v7, s[0:1]
	v_cndmask_b32_e32 v23, v3, v23, vcc
	v_add_f64 v[6:7], v[6:7], v[22:23]
	s_waitcnt lgkmcnt(0)
	v_xor_b32_e32 v23, 0x80000000, v19
	v_xor_b32_e32 v25, 0x80000000, v21
	v_cmp_gt_f64_e32 vcc, 0, v[20:21]
	v_cmp_gt_f64_e64 s[0:1], 0, v[18:19]
	v_mov_b32_e32 v22, v18
	v_mov_b32_e32 v24, v20
	v_cndmask_b32_e64 v23, v19, v23, s[0:1]
	v_cndmask_b32_e32 v25, v21, v25, vcc
	v_add_f64 v[22:23], v[22:23], v[24:25]
	v_mov_b32_e32 v26, s4
	s_add_i32 s4, s4, 1
	v_cmp_lt_f64_e32 vcc, v[6:7], v[22:23]
	v_add_u32_e32 v5, 16, v5
	s_cmp_lg_u32 s52, s4
	v_cndmask_b32_e32 v1, v1, v19, vcc
	v_cndmask_b32_e32 v0, v0, v18, vcc
	;; [unrolled: 1-line block ×5, first 2 shown]
	s_cbranch_scc1 .LBB124_825
.LBB124_826:
	s_waitcnt lgkmcnt(0)
	v_cmp_eq_f64_e32 vcc, 0, v[0:1]
	v_cmp_eq_f64_e64 s[0:1], 0, v[2:3]
	s_and_b64 s[0:1], vcc, s[0:1]
	s_and_saveexec_b64 s[4:5], s[0:1]
	s_xor_b64 s[0:1], exec, s[4:5]
; %bb.827:
	v_cmp_ne_u32_e32 vcc, 0, v15
	s_nop 1
	v_cndmask_b32_e32 v15, 35, v15, vcc
; %bb.828:
	s_andn2_saveexec_b64 s[0:1], s[0:1]
	s_cbranch_execz .LBB124_834
; %bb.829:
	v_cmp_ngt_f64_e64 s[4:5], |v[0:1]|, |v[2:3]|
	s_and_saveexec_b64 s[12:13], s[4:5]
	s_xor_b64 s[12:13], exec, s[12:13]
	s_cbranch_execz .LBB124_831
; %bb.830:
	v_div_scale_f64 v[6:7], s[4:5], v[2:3], v[2:3], v[0:1]
	v_rcp_f64_e32 v[18:19], v[6:7]
	v_div_scale_f64 v[20:21], vcc, v[0:1], v[2:3], v[0:1]
	v_fma_f64 v[22:23], -v[6:7], v[18:19], 1.0
	v_fmac_f64_e32 v[18:19], v[18:19], v[22:23]
	v_fma_f64 v[22:23], -v[6:7], v[18:19], 1.0
	v_fmac_f64_e32 v[18:19], v[18:19], v[22:23]
	v_mul_f64 v[22:23], v[20:21], v[18:19]
	v_fma_f64 v[6:7], -v[6:7], v[22:23], v[20:21]
	v_div_fmas_f64 v[6:7], v[6:7], v[18:19], v[22:23]
	v_div_fixup_f64 v[6:7], v[6:7], v[2:3], v[0:1]
	v_fmac_f64_e32 v[2:3], v[0:1], v[6:7]
	v_div_scale_f64 v[0:1], s[4:5], v[2:3], v[2:3], 1.0
	v_rcp_f64_e32 v[18:19], v[0:1]
	s_nop 0
	v_fma_f64 v[20:21], -v[0:1], v[18:19], 1.0
	v_fmac_f64_e32 v[18:19], v[18:19], v[20:21]
	v_fma_f64 v[20:21], -v[0:1], v[18:19], 1.0
	v_fmac_f64_e32 v[18:19], v[18:19], v[20:21]
	v_div_scale_f64 v[20:21], vcc, 1.0, v[2:3], 1.0
	v_mul_f64 v[22:23], v[20:21], v[18:19]
	v_fma_f64 v[0:1], -v[0:1], v[22:23], v[20:21]
	s_nop 1
	v_div_fmas_f64 v[0:1], v[0:1], v[18:19], v[22:23]
	v_div_fixup_f64 v[2:3], v[0:1], v[2:3], 1.0
	v_mul_f64 v[0:1], v[6:7], v[2:3]
	v_xor_b32_e32 v3, 0x80000000, v3
.LBB124_831:
	s_andn2_saveexec_b64 s[12:13], s[12:13]
	s_cbranch_execz .LBB124_833
; %bb.832:
	v_div_scale_f64 v[6:7], s[4:5], v[0:1], v[0:1], v[2:3]
	v_rcp_f64_e32 v[18:19], v[6:7]
	v_div_scale_f64 v[20:21], vcc, v[2:3], v[0:1], v[2:3]
	v_fma_f64 v[22:23], -v[6:7], v[18:19], 1.0
	v_fmac_f64_e32 v[18:19], v[18:19], v[22:23]
	v_fma_f64 v[22:23], -v[6:7], v[18:19], 1.0
	v_fmac_f64_e32 v[18:19], v[18:19], v[22:23]
	v_mul_f64 v[22:23], v[20:21], v[18:19]
	v_fma_f64 v[6:7], -v[6:7], v[22:23], v[20:21]
	v_div_fmas_f64 v[6:7], v[6:7], v[18:19], v[22:23]
	v_div_fixup_f64 v[6:7], v[6:7], v[0:1], v[2:3]
	v_fmac_f64_e32 v[0:1], v[2:3], v[6:7]
	v_div_scale_f64 v[2:3], s[4:5], v[0:1], v[0:1], 1.0
	v_rcp_f64_e32 v[18:19], v[2:3]
	s_nop 0
	v_fma_f64 v[20:21], -v[2:3], v[18:19], 1.0
	v_fmac_f64_e32 v[18:19], v[18:19], v[20:21]
	v_fma_f64 v[20:21], -v[2:3], v[18:19], 1.0
	v_fmac_f64_e32 v[18:19], v[18:19], v[20:21]
	v_div_scale_f64 v[20:21], vcc, 1.0, v[0:1], 1.0
	v_mul_f64 v[22:23], v[20:21], v[18:19]
	v_fma_f64 v[2:3], -v[2:3], v[22:23], v[20:21]
	s_nop 1
	v_div_fmas_f64 v[2:3], v[2:3], v[18:19], v[22:23]
	v_div_fixup_f64 v[0:1], v[2:3], v[0:1], 1.0
	v_mul_f64 v[2:3], v[6:7], -v[0:1]
.LBB124_833:
	s_or_b64 exec, exec, s[12:13]
.LBB124_834:
	s_or_b64 exec, exec, s[0:1]
	v_cmp_ne_u32_e32 vcc, v17, v4
	s_and_saveexec_b64 s[0:1], vcc
	s_xor_b64 s[0:1], exec, s[0:1]
	s_cbranch_execz .LBB124_840
; %bb.835:
	v_cmp_eq_u32_e32 vcc, 34, v17
	s_and_saveexec_b64 s[12:13], vcc
	s_cbranch_execz .LBB124_839
; %bb.836:
	v_cmp_ne_u32_e32 vcc, 34, v4
	s_xor_b64 s[4:5], s[18:19], -1
	s_and_b64 s[4:5], s[4:5], vcc
	s_and_saveexec_b64 s[14:15], s[4:5]
	s_cbranch_execz .LBB124_838
; %bb.837:
	v_ashrrev_i32_e32 v5, 31, v4
	v_lshl_add_u64 v[6:7], v[4:5], 2, v[10:11]
	global_load_dword v5, v[6:7], off
	global_load_dword v16, v[10:11], off offset:136
	s_waitcnt vmcnt(1)
	global_store_dword v[10:11], v5, off offset:136
	s_waitcnt vmcnt(1)
	global_store_dword v[6:7], v16, off
.LBB124_838:
	s_or_b64 exec, exec, s[14:15]
	v_mov_b32_e32 v17, v4
	v_mov_b32_e32 v16, v4
.LBB124_839:
	s_or_b64 exec, exec, s[12:13]
.LBB124_840:
	s_andn2_saveexec_b64 s[0:1], s[0:1]
	s_cbranch_execz .LBB124_842
; %bb.841:
	scratch_load_dwordx4 v[4:7], off, s48
	scratch_load_dwordx4 v[18:21], off, s47
	;; [unrolled: 1-line block ×28, first 2 shown]
	v_mov_b32_e32 v17, 34
	s_waitcnt vmcnt(27)
	ds_write2_b64 v14, v[4:5], v[6:7] offset0:70 offset1:71
	s_waitcnt vmcnt(26)
	ds_write2_b64 v14, v[18:19], v[20:21] offset0:72 offset1:73
	;; [unrolled: 2-line block ×28, first 2 shown]
.LBB124_842:
	s_or_b64 exec, exec, s[0:1]
	v_cmp_lt_i32_e32 vcc, 34, v17
	s_waitcnt lgkmcnt(0)
	s_barrier
	s_and_saveexec_b64 s[0:1], vcc
	s_cbranch_execz .LBB124_844
; %bb.843:
	scratch_load_dwordx4 v[4:7], off, off offset:544
	s_waitcnt vmcnt(0)
	v_mul_f64 v[18:19], v[2:3], v[6:7]
	v_mul_f64 v[20:21], v[0:1], v[6:7]
	v_fma_f64 v[18:19], v[0:1], v[4:5], -v[18:19]
	v_fmac_f64_e32 v[20:21], v[2:3], v[4:5]
	ds_read2_b64 v[0:3], v14 offset0:70 offset1:71
	scratch_store_dwordx4 off, v[18:21], off offset:544
	s_waitcnt lgkmcnt(0)
	v_mul_f64 v[4:5], v[2:3], v[20:21]
	v_mul_f64 v[6:7], v[0:1], v[20:21]
	v_fma_f64 v[4:5], v[0:1], v[18:19], -v[4:5]
	v_fmac_f64_e32 v[6:7], v[2:3], v[18:19]
	scratch_load_dwordx4 v[0:3], off, off offset:560
	s_waitcnt vmcnt(0)
	v_add_f64 v[0:1], v[0:1], -v[4:5]
	v_add_f64 v[2:3], v[2:3], -v[6:7]
	scratch_store_dwordx4 off, v[0:3], off offset:560
	ds_read2_b64 v[0:3], v14 offset0:72 offset1:73
	s_waitcnt lgkmcnt(0)
	v_mul_f64 v[4:5], v[2:3], v[20:21]
	v_mul_f64 v[6:7], v[0:1], v[20:21]
	v_fma_f64 v[4:5], v[0:1], v[18:19], -v[4:5]
	v_fmac_f64_e32 v[6:7], v[2:3], v[18:19]
	scratch_load_dwordx4 v[0:3], off, off offset:576
	s_waitcnt vmcnt(0)
	v_add_f64 v[0:1], v[0:1], -v[4:5]
	v_add_f64 v[2:3], v[2:3], -v[6:7]
	scratch_store_dwordx4 off, v[0:3], off offset:576
	ds_read2_b64 v[0:3], v14 offset0:74 offset1:75
	s_waitcnt lgkmcnt(0)
	v_mul_f64 v[4:5], v[2:3], v[20:21]
	v_mul_f64 v[6:7], v[0:1], v[20:21]
	v_fma_f64 v[4:5], v[0:1], v[18:19], -v[4:5]
	v_fmac_f64_e32 v[6:7], v[2:3], v[18:19]
	scratch_load_dwordx4 v[0:3], off, off offset:592
	s_waitcnt vmcnt(0)
	v_add_f64 v[0:1], v[0:1], -v[4:5]
	v_add_f64 v[2:3], v[2:3], -v[6:7]
	scratch_store_dwordx4 off, v[0:3], off offset:592
	ds_read2_b64 v[0:3], v14 offset0:76 offset1:77
	s_waitcnt lgkmcnt(0)
	v_mul_f64 v[4:5], v[2:3], v[20:21]
	v_mul_f64 v[6:7], v[0:1], v[20:21]
	v_fma_f64 v[4:5], v[0:1], v[18:19], -v[4:5]
	v_fmac_f64_e32 v[6:7], v[2:3], v[18:19]
	scratch_load_dwordx4 v[0:3], off, off offset:608
	s_waitcnt vmcnt(0)
	v_add_f64 v[0:1], v[0:1], -v[4:5]
	v_add_f64 v[2:3], v[2:3], -v[6:7]
	scratch_store_dwordx4 off, v[0:3], off offset:608
	ds_read2_b64 v[0:3], v14 offset0:78 offset1:79
	s_waitcnt lgkmcnt(0)
	v_mul_f64 v[4:5], v[2:3], v[20:21]
	v_mul_f64 v[6:7], v[0:1], v[20:21]
	v_fma_f64 v[4:5], v[0:1], v[18:19], -v[4:5]
	v_fmac_f64_e32 v[6:7], v[2:3], v[18:19]
	scratch_load_dwordx4 v[0:3], off, off offset:624
	s_waitcnt vmcnt(0)
	v_add_f64 v[0:1], v[0:1], -v[4:5]
	v_add_f64 v[2:3], v[2:3], -v[6:7]
	scratch_store_dwordx4 off, v[0:3], off offset:624
	ds_read2_b64 v[0:3], v14 offset0:80 offset1:81
	s_waitcnt lgkmcnt(0)
	v_mul_f64 v[4:5], v[2:3], v[20:21]
	v_mul_f64 v[6:7], v[0:1], v[20:21]
	v_fma_f64 v[4:5], v[0:1], v[18:19], -v[4:5]
	v_fmac_f64_e32 v[6:7], v[2:3], v[18:19]
	scratch_load_dwordx4 v[0:3], off, off offset:640
	s_waitcnt vmcnt(0)
	v_add_f64 v[0:1], v[0:1], -v[4:5]
	v_add_f64 v[2:3], v[2:3], -v[6:7]
	scratch_store_dwordx4 off, v[0:3], off offset:640
	ds_read2_b64 v[4:7], v14 offset0:82 offset1:83
	scratch_load_dwordx2 v[18:19], off, off offset:544
	scratch_load_dwordx4 v[0:3], off, off offset:544
	s_waitcnt vmcnt(0) lgkmcnt(0)
	v_mul_f64 v[20:21], v[6:7], v[2:3]
	v_mul_f64 v[22:23], v[4:5], v[2:3]
	v_fma_f64 v[20:21], v[4:5], v[18:19], -v[20:21]
	v_fmac_f64_e32 v[22:23], v[6:7], v[18:19]
	scratch_load_dwordx4 v[4:7], off, off offset:656
	s_waitcnt vmcnt(0)
	v_add_f64 v[4:5], v[4:5], -v[20:21]
	v_add_f64 v[6:7], v[6:7], -v[22:23]
	scratch_store_dwordx4 off, v[4:7], off offset:656
	ds_read2_b64 v[4:7], v14 offset0:84 offset1:85
	s_waitcnt lgkmcnt(0)
	v_mul_f64 v[20:21], v[6:7], v[2:3]
	v_mul_f64 v[22:23], v[4:5], v[2:3]
	v_fma_f64 v[20:21], v[4:5], v[18:19], -v[20:21]
	v_fmac_f64_e32 v[22:23], v[6:7], v[18:19]
	scratch_load_dwordx4 v[4:7], off, off offset:672
	s_waitcnt vmcnt(0)
	v_add_f64 v[4:5], v[4:5], -v[20:21]
	v_add_f64 v[6:7], v[6:7], -v[22:23]
	scratch_store_dwordx4 off, v[4:7], off offset:672
	ds_read2_b64 v[4:7], v14 offset0:86 offset1:87
	s_waitcnt lgkmcnt(0)
	;; [unrolled: 11-line block ×5, first 2 shown]
	v_mul_f64 v[20:21], v[6:7], v[2:3]
	v_fma_f64 v[20:21], v[4:5], v[18:19], -v[20:21]
	v_mul_f64 v[22:23], v[4:5], v[2:3]
	scratch_load_dwordx4 v[2:5], off, off offset:736
	v_fmac_f64_e32 v[22:23], v[6:7], v[18:19]
	s_waitcnt vmcnt(0)
	v_add_f64 v[2:3], v[2:3], -v[20:21]
	v_add_f64 v[4:5], v[4:5], -v[22:23]
	scratch_store_dwordx4 off, v[2:5], off offset:736
	ds_read2_b64 v[2:5], v14 offset0:94 offset1:95
	scratch_load_dwordx2 v[6:7], off, off offset:544
	scratch_load_dwordx2 v[18:19], off, off offset:552
	s_waitcnt vmcnt(0) lgkmcnt(0)
	v_mul_f64 v[20:21], v[4:5], v[18:19]
	v_mul_f64 v[22:23], v[2:3], v[18:19]
	v_fma_f64 v[20:21], v[2:3], v[6:7], -v[20:21]
	v_fmac_f64_e32 v[22:23], v[4:5], v[6:7]
	scratch_load_dwordx4 v[2:5], off, off offset:752
	s_waitcnt vmcnt(0)
	v_add_f64 v[2:3], v[2:3], -v[20:21]
	v_add_f64 v[4:5], v[4:5], -v[22:23]
	scratch_store_dwordx4 off, v[2:5], off offset:752
	ds_read2_b64 v[2:5], v14 offset0:96 offset1:97
	s_waitcnt lgkmcnt(0)
	v_mul_f64 v[20:21], v[4:5], v[18:19]
	v_mul_f64 v[22:23], v[2:3], v[18:19]
	v_fma_f64 v[20:21], v[2:3], v[6:7], -v[20:21]
	v_fmac_f64_e32 v[22:23], v[4:5], v[6:7]
	scratch_load_dwordx4 v[2:5], off, off offset:768
	s_waitcnt vmcnt(0)
	v_add_f64 v[2:3], v[2:3], -v[20:21]
	v_add_f64 v[4:5], v[4:5], -v[22:23]
	scratch_store_dwordx4 off, v[2:5], off offset:768
	ds_read2_b64 v[2:5], v14 offset0:98 offset1:99
	s_waitcnt lgkmcnt(0)
	;; [unrolled: 11-line block ×5, first 2 shown]
	v_mul_f64 v[20:21], v[4:5], v[18:19]
	v_mul_f64 v[18:19], v[2:3], v[18:19]
	v_fma_f64 v[20:21], v[2:3], v[6:7], -v[20:21]
	v_fmac_f64_e32 v[18:19], v[4:5], v[6:7]
	scratch_load_dwordx4 v[2:5], off, off offset:832
	s_waitcnt vmcnt(0)
	v_add_f64 v[2:3], v[2:3], -v[20:21]
	v_add_f64 v[4:5], v[4:5], -v[18:19]
	scratch_store_dwordx4 off, v[2:5], off offset:832
	ds_read2_b64 v[2:5], v14 offset0:106 offset1:107
	scratch_load_dwordx2 v[6:7], off, off offset:544
	scratch_load_dwordx2 v[18:19], off, off offset:552
	s_waitcnt vmcnt(0) lgkmcnt(0)
	v_mul_f64 v[20:21], v[4:5], v[18:19]
	v_mul_f64 v[22:23], v[2:3], v[18:19]
	v_fma_f64 v[20:21], v[2:3], v[6:7], -v[20:21]
	v_fmac_f64_e32 v[22:23], v[4:5], v[6:7]
	scratch_load_dwordx4 v[2:5], off, off offset:848
	s_waitcnt vmcnt(0)
	v_add_f64 v[2:3], v[2:3], -v[20:21]
	v_add_f64 v[4:5], v[4:5], -v[22:23]
	scratch_store_dwordx4 off, v[2:5], off offset:848
	ds_read2_b64 v[2:5], v14 offset0:108 offset1:109
	s_waitcnt lgkmcnt(0)
	v_mul_f64 v[20:21], v[4:5], v[18:19]
	v_mul_f64 v[22:23], v[2:3], v[18:19]
	v_fma_f64 v[20:21], v[2:3], v[6:7], -v[20:21]
	v_fmac_f64_e32 v[22:23], v[4:5], v[6:7]
	scratch_load_dwordx4 v[2:5], off, off offset:864
	s_waitcnt vmcnt(0)
	v_add_f64 v[2:3], v[2:3], -v[20:21]
	v_add_f64 v[4:5], v[4:5], -v[22:23]
	scratch_store_dwordx4 off, v[2:5], off offset:864
	ds_read2_b64 v[2:5], v14 offset0:110 offset1:111
	s_waitcnt lgkmcnt(0)
	;; [unrolled: 11-line block ×5, first 2 shown]
	v_mul_f64 v[20:21], v[4:5], v[18:19]
	v_mul_f64 v[18:19], v[2:3], v[18:19]
	v_fma_f64 v[20:21], v[2:3], v[6:7], -v[20:21]
	v_fmac_f64_e32 v[18:19], v[4:5], v[6:7]
	scratch_load_dwordx4 v[2:5], off, off offset:928
	scratch_load_dwordx2 v[6:7], off, off offset:552
	s_waitcnt vmcnt(1)
	v_add_f64 v[2:3], v[2:3], -v[20:21]
	v_add_f64 v[4:5], v[4:5], -v[18:19]
	scratch_store_dwordx4 off, v[2:5], off offset:928
	ds_read2_b64 v[2:5], v14 offset0:118 offset1:119
	s_waitcnt vmcnt(1) lgkmcnt(0)
	v_mul_f64 v[18:19], v[4:5], v[6:7]
	v_mul_f64 v[20:21], v[2:3], v[6:7]
	v_fma_f64 v[18:19], v[2:3], v[0:1], -v[18:19]
	v_fmac_f64_e32 v[20:21], v[4:5], v[0:1]
	scratch_load_dwordx4 v[2:5], off, off offset:944
	s_waitcnt vmcnt(0)
	v_add_f64 v[2:3], v[2:3], -v[18:19]
	v_add_f64 v[4:5], v[4:5], -v[20:21]
	scratch_store_dwordx4 off, v[2:5], off offset:944
	ds_read2_b64 v[2:5], v14 offset0:120 offset1:121
	s_waitcnt lgkmcnt(0)
	v_mul_f64 v[18:19], v[4:5], v[6:7]
	v_mul_f64 v[20:21], v[2:3], v[6:7]
	v_fma_f64 v[18:19], v[2:3], v[0:1], -v[18:19]
	v_fmac_f64_e32 v[20:21], v[4:5], v[0:1]
	scratch_load_dwordx4 v[2:5], off, off offset:960
	s_waitcnt vmcnt(0)
	v_add_f64 v[2:3], v[2:3], -v[18:19]
	v_add_f64 v[4:5], v[4:5], -v[20:21]
	scratch_store_dwordx4 off, v[2:5], off offset:960
	ds_read2_b64 v[2:5], v14 offset0:122 offset1:123
	s_waitcnt lgkmcnt(0)
	;; [unrolled: 11-line block ×3, first 2 shown]
	v_mul_f64 v[18:19], v[4:5], v[6:7]
	v_mul_f64 v[6:7], v[2:3], v[6:7]
	v_fma_f64 v[18:19], v[2:3], v[0:1], -v[18:19]
	v_fmac_f64_e32 v[6:7], v[4:5], v[0:1]
	scratch_load_dwordx4 v[0:3], off, off offset:992
	s_waitcnt vmcnt(0)
	v_add_f64 v[0:1], v[0:1], -v[18:19]
	v_add_f64 v[2:3], v[2:3], -v[6:7]
	scratch_store_dwordx4 off, v[0:3], off offset:992
.LBB124_844:
	s_or_b64 exec, exec, s[0:1]
	s_barrier
	scratch_load_dwordx4 v[0:3], off, s48
	v_lshl_add_u32 v4, v17, 4, v14
	s_cmp_lt_i32 s52, 37
	s_waitcnt vmcnt(0)
	ds_write2_b64 v4, v[0:1], v[2:3] offset1:1
	s_waitcnt lgkmcnt(0)
	s_barrier
	ds_read2_b64 v[0:3], v14 offset0:70 offset1:71
	v_mov_b32_e32 v4, 35
	s_cbranch_scc1 .LBB124_847
; %bb.845:
	v_add_u32_e32 v5, 0x240, v14
	s_mov_b32 s4, 36
	v_mov_b32_e32 v4, 35
.LBB124_846:                            ; =>This Inner Loop Header: Depth=1
	ds_read2_b64 v[18:21], v5 offset1:1
	s_waitcnt lgkmcnt(1)
	v_xor_b32_e32 v7, 0x80000000, v1
	v_xor_b32_e32 v23, 0x80000000, v3
	v_cmp_gt_f64_e32 vcc, 0, v[2:3]
	v_cmp_gt_f64_e64 s[0:1], 0, v[0:1]
	v_mov_b32_e32 v6, v0
	v_mov_b32_e32 v22, v2
	v_cndmask_b32_e64 v7, v1, v7, s[0:1]
	v_cndmask_b32_e32 v23, v3, v23, vcc
	v_add_f64 v[6:7], v[6:7], v[22:23]
	s_waitcnt lgkmcnt(0)
	v_xor_b32_e32 v23, 0x80000000, v19
	v_xor_b32_e32 v25, 0x80000000, v21
	v_cmp_gt_f64_e32 vcc, 0, v[20:21]
	v_cmp_gt_f64_e64 s[0:1], 0, v[18:19]
	v_mov_b32_e32 v22, v18
	v_mov_b32_e32 v24, v20
	v_cndmask_b32_e64 v23, v19, v23, s[0:1]
	v_cndmask_b32_e32 v25, v21, v25, vcc
	v_add_f64 v[22:23], v[22:23], v[24:25]
	v_mov_b32_e32 v26, s4
	s_add_i32 s4, s4, 1
	v_cmp_lt_f64_e32 vcc, v[6:7], v[22:23]
	v_add_u32_e32 v5, 16, v5
	s_cmp_lg_u32 s52, s4
	v_cndmask_b32_e32 v1, v1, v19, vcc
	v_cndmask_b32_e32 v0, v0, v18, vcc
	;; [unrolled: 1-line block ×5, first 2 shown]
	s_cbranch_scc1 .LBB124_846
.LBB124_847:
	s_waitcnt lgkmcnt(0)
	v_cmp_eq_f64_e32 vcc, 0, v[0:1]
	v_cmp_eq_f64_e64 s[0:1], 0, v[2:3]
	s_and_b64 s[0:1], vcc, s[0:1]
	s_and_saveexec_b64 s[4:5], s[0:1]
	s_xor_b64 s[0:1], exec, s[4:5]
; %bb.848:
	v_cmp_ne_u32_e32 vcc, 0, v15
	s_nop 1
	v_cndmask_b32_e32 v15, 36, v15, vcc
; %bb.849:
	s_andn2_saveexec_b64 s[0:1], s[0:1]
	s_cbranch_execz .LBB124_855
; %bb.850:
	v_cmp_ngt_f64_e64 s[4:5], |v[0:1]|, |v[2:3]|
	s_and_saveexec_b64 s[12:13], s[4:5]
	s_xor_b64 s[12:13], exec, s[12:13]
	s_cbranch_execz .LBB124_852
; %bb.851:
	v_div_scale_f64 v[6:7], s[4:5], v[2:3], v[2:3], v[0:1]
	v_rcp_f64_e32 v[18:19], v[6:7]
	v_div_scale_f64 v[20:21], vcc, v[0:1], v[2:3], v[0:1]
	v_fma_f64 v[22:23], -v[6:7], v[18:19], 1.0
	v_fmac_f64_e32 v[18:19], v[18:19], v[22:23]
	v_fma_f64 v[22:23], -v[6:7], v[18:19], 1.0
	v_fmac_f64_e32 v[18:19], v[18:19], v[22:23]
	v_mul_f64 v[22:23], v[20:21], v[18:19]
	v_fma_f64 v[6:7], -v[6:7], v[22:23], v[20:21]
	v_div_fmas_f64 v[6:7], v[6:7], v[18:19], v[22:23]
	v_div_fixup_f64 v[6:7], v[6:7], v[2:3], v[0:1]
	v_fmac_f64_e32 v[2:3], v[0:1], v[6:7]
	v_div_scale_f64 v[0:1], s[4:5], v[2:3], v[2:3], 1.0
	v_rcp_f64_e32 v[18:19], v[0:1]
	s_nop 0
	v_fma_f64 v[20:21], -v[0:1], v[18:19], 1.0
	v_fmac_f64_e32 v[18:19], v[18:19], v[20:21]
	v_fma_f64 v[20:21], -v[0:1], v[18:19], 1.0
	v_fmac_f64_e32 v[18:19], v[18:19], v[20:21]
	v_div_scale_f64 v[20:21], vcc, 1.0, v[2:3], 1.0
	v_mul_f64 v[22:23], v[20:21], v[18:19]
	v_fma_f64 v[0:1], -v[0:1], v[22:23], v[20:21]
	s_nop 1
	v_div_fmas_f64 v[0:1], v[0:1], v[18:19], v[22:23]
	v_div_fixup_f64 v[2:3], v[0:1], v[2:3], 1.0
	v_mul_f64 v[0:1], v[6:7], v[2:3]
	v_xor_b32_e32 v3, 0x80000000, v3
.LBB124_852:
	s_andn2_saveexec_b64 s[12:13], s[12:13]
	s_cbranch_execz .LBB124_854
; %bb.853:
	v_div_scale_f64 v[6:7], s[4:5], v[0:1], v[0:1], v[2:3]
	v_rcp_f64_e32 v[18:19], v[6:7]
	v_div_scale_f64 v[20:21], vcc, v[2:3], v[0:1], v[2:3]
	v_fma_f64 v[22:23], -v[6:7], v[18:19], 1.0
	v_fmac_f64_e32 v[18:19], v[18:19], v[22:23]
	v_fma_f64 v[22:23], -v[6:7], v[18:19], 1.0
	v_fmac_f64_e32 v[18:19], v[18:19], v[22:23]
	v_mul_f64 v[22:23], v[20:21], v[18:19]
	v_fma_f64 v[6:7], -v[6:7], v[22:23], v[20:21]
	v_div_fmas_f64 v[6:7], v[6:7], v[18:19], v[22:23]
	v_div_fixup_f64 v[6:7], v[6:7], v[0:1], v[2:3]
	v_fmac_f64_e32 v[0:1], v[2:3], v[6:7]
	v_div_scale_f64 v[2:3], s[4:5], v[0:1], v[0:1], 1.0
	v_rcp_f64_e32 v[18:19], v[2:3]
	s_nop 0
	v_fma_f64 v[20:21], -v[2:3], v[18:19], 1.0
	v_fmac_f64_e32 v[18:19], v[18:19], v[20:21]
	v_fma_f64 v[20:21], -v[2:3], v[18:19], 1.0
	v_fmac_f64_e32 v[18:19], v[18:19], v[20:21]
	v_div_scale_f64 v[20:21], vcc, 1.0, v[0:1], 1.0
	v_mul_f64 v[22:23], v[20:21], v[18:19]
	v_fma_f64 v[2:3], -v[2:3], v[22:23], v[20:21]
	s_nop 1
	v_div_fmas_f64 v[2:3], v[2:3], v[18:19], v[22:23]
	v_div_fixup_f64 v[0:1], v[2:3], v[0:1], 1.0
	v_mul_f64 v[2:3], v[6:7], -v[0:1]
.LBB124_854:
	s_or_b64 exec, exec, s[12:13]
.LBB124_855:
	s_or_b64 exec, exec, s[0:1]
	v_cmp_ne_u32_e32 vcc, v17, v4
	s_and_saveexec_b64 s[0:1], vcc
	s_xor_b64 s[0:1], exec, s[0:1]
	s_cbranch_execz .LBB124_861
; %bb.856:
	v_cmp_eq_u32_e32 vcc, 35, v17
	s_and_saveexec_b64 s[12:13], vcc
	s_cbranch_execz .LBB124_860
; %bb.857:
	v_cmp_ne_u32_e32 vcc, 35, v4
	s_xor_b64 s[4:5], s[18:19], -1
	s_and_b64 s[4:5], s[4:5], vcc
	s_and_saveexec_b64 s[14:15], s[4:5]
	s_cbranch_execz .LBB124_859
; %bb.858:
	v_ashrrev_i32_e32 v5, 31, v4
	v_lshl_add_u64 v[6:7], v[4:5], 2, v[10:11]
	global_load_dword v5, v[6:7], off
	global_load_dword v16, v[10:11], off offset:140
	s_waitcnt vmcnt(1)
	global_store_dword v[10:11], v5, off offset:140
	s_waitcnt vmcnt(1)
	global_store_dword v[6:7], v16, off
.LBB124_859:
	s_or_b64 exec, exec, s[14:15]
	v_mov_b32_e32 v17, v4
	v_mov_b32_e32 v16, v4
.LBB124_860:
	s_or_b64 exec, exec, s[12:13]
.LBB124_861:
	s_andn2_saveexec_b64 s[0:1], s[0:1]
	s_cbranch_execz .LBB124_863
; %bb.862:
	scratch_load_dwordx4 v[4:7], off, s47
	scratch_load_dwordx4 v[18:21], off, s46
	;; [unrolled: 1-line block ×27, first 2 shown]
	v_mov_b32_e32 v17, 35
	s_waitcnt vmcnt(26)
	ds_write2_b64 v14, v[4:5], v[6:7] offset0:72 offset1:73
	s_waitcnt vmcnt(25)
	ds_write2_b64 v14, v[18:19], v[20:21] offset0:74 offset1:75
	;; [unrolled: 2-line block ×27, first 2 shown]
.LBB124_863:
	s_or_b64 exec, exec, s[0:1]
	v_cmp_lt_i32_e32 vcc, 35, v17
	s_waitcnt lgkmcnt(0)
	s_barrier
	s_and_saveexec_b64 s[0:1], vcc
	s_cbranch_execz .LBB124_865
; %bb.864:
	scratch_load_dwordx4 v[4:7], off, off offset:560
	s_waitcnt vmcnt(0)
	v_mul_f64 v[18:19], v[2:3], v[6:7]
	v_mul_f64 v[20:21], v[0:1], v[6:7]
	v_fma_f64 v[18:19], v[0:1], v[4:5], -v[18:19]
	v_fmac_f64_e32 v[20:21], v[2:3], v[4:5]
	ds_read2_b64 v[0:3], v14 offset0:72 offset1:73
	scratch_store_dwordx4 off, v[18:21], off offset:560
	s_waitcnt lgkmcnt(0)
	v_mul_f64 v[4:5], v[2:3], v[20:21]
	v_mul_f64 v[6:7], v[0:1], v[20:21]
	v_fma_f64 v[4:5], v[0:1], v[18:19], -v[4:5]
	v_fmac_f64_e32 v[6:7], v[2:3], v[18:19]
	scratch_load_dwordx4 v[0:3], off, off offset:576
	s_waitcnt vmcnt(0)
	v_add_f64 v[0:1], v[0:1], -v[4:5]
	v_add_f64 v[2:3], v[2:3], -v[6:7]
	scratch_store_dwordx4 off, v[0:3], off offset:576
	ds_read2_b64 v[0:3], v14 offset0:74 offset1:75
	s_waitcnt lgkmcnt(0)
	v_mul_f64 v[4:5], v[2:3], v[20:21]
	v_mul_f64 v[6:7], v[0:1], v[20:21]
	v_fma_f64 v[4:5], v[0:1], v[18:19], -v[4:5]
	v_fmac_f64_e32 v[6:7], v[2:3], v[18:19]
	scratch_load_dwordx4 v[0:3], off, off offset:592
	s_waitcnt vmcnt(0)
	v_add_f64 v[0:1], v[0:1], -v[4:5]
	v_add_f64 v[2:3], v[2:3], -v[6:7]
	scratch_store_dwordx4 off, v[0:3], off offset:592
	ds_read2_b64 v[0:3], v14 offset0:76 offset1:77
	s_waitcnt lgkmcnt(0)
	v_mul_f64 v[4:5], v[2:3], v[20:21]
	v_mul_f64 v[6:7], v[0:1], v[20:21]
	v_fma_f64 v[4:5], v[0:1], v[18:19], -v[4:5]
	v_fmac_f64_e32 v[6:7], v[2:3], v[18:19]
	scratch_load_dwordx4 v[0:3], off, off offset:608
	s_waitcnt vmcnt(0)
	v_add_f64 v[0:1], v[0:1], -v[4:5]
	v_add_f64 v[2:3], v[2:3], -v[6:7]
	scratch_store_dwordx4 off, v[0:3], off offset:608
	ds_read2_b64 v[0:3], v14 offset0:78 offset1:79
	s_waitcnt lgkmcnt(0)
	v_mul_f64 v[4:5], v[2:3], v[20:21]
	v_mul_f64 v[6:7], v[0:1], v[20:21]
	v_fma_f64 v[4:5], v[0:1], v[18:19], -v[4:5]
	v_fmac_f64_e32 v[6:7], v[2:3], v[18:19]
	scratch_load_dwordx4 v[0:3], off, off offset:624
	s_waitcnt vmcnt(0)
	v_add_f64 v[0:1], v[0:1], -v[4:5]
	v_add_f64 v[2:3], v[2:3], -v[6:7]
	scratch_store_dwordx4 off, v[0:3], off offset:624
	ds_read2_b64 v[0:3], v14 offset0:80 offset1:81
	s_waitcnt lgkmcnt(0)
	v_mul_f64 v[4:5], v[2:3], v[20:21]
	v_mul_f64 v[6:7], v[0:1], v[20:21]
	v_fma_f64 v[4:5], v[0:1], v[18:19], -v[4:5]
	v_fmac_f64_e32 v[6:7], v[2:3], v[18:19]
	scratch_load_dwordx4 v[0:3], off, off offset:640
	s_waitcnt vmcnt(0)
	v_add_f64 v[0:1], v[0:1], -v[4:5]
	v_add_f64 v[2:3], v[2:3], -v[6:7]
	scratch_store_dwordx4 off, v[0:3], off offset:640
	ds_read2_b64 v[0:3], v14 offset0:82 offset1:83
	s_waitcnt lgkmcnt(0)
	v_mul_f64 v[4:5], v[2:3], v[20:21]
	v_mul_f64 v[6:7], v[0:1], v[20:21]
	v_fma_f64 v[4:5], v[0:1], v[18:19], -v[4:5]
	v_fmac_f64_e32 v[6:7], v[2:3], v[18:19]
	scratch_load_dwordx4 v[0:3], off, off offset:656
	s_waitcnt vmcnt(0)
	v_add_f64 v[0:1], v[0:1], -v[4:5]
	v_add_f64 v[2:3], v[2:3], -v[6:7]
	scratch_store_dwordx4 off, v[0:3], off offset:656
	ds_read2_b64 v[4:7], v14 offset0:84 offset1:85
	scratch_load_dwordx2 v[18:19], off, off offset:560
	scratch_load_dwordx4 v[0:3], off, off offset:560
	s_waitcnt vmcnt(0) lgkmcnt(0)
	v_mul_f64 v[20:21], v[6:7], v[2:3]
	v_mul_f64 v[22:23], v[4:5], v[2:3]
	v_fma_f64 v[20:21], v[4:5], v[18:19], -v[20:21]
	v_fmac_f64_e32 v[22:23], v[6:7], v[18:19]
	scratch_load_dwordx4 v[4:7], off, off offset:672
	s_waitcnt vmcnt(0)
	v_add_f64 v[4:5], v[4:5], -v[20:21]
	v_add_f64 v[6:7], v[6:7], -v[22:23]
	scratch_store_dwordx4 off, v[4:7], off offset:672
	ds_read2_b64 v[4:7], v14 offset0:86 offset1:87
	s_waitcnt lgkmcnt(0)
	v_mul_f64 v[20:21], v[6:7], v[2:3]
	v_mul_f64 v[22:23], v[4:5], v[2:3]
	v_fma_f64 v[20:21], v[4:5], v[18:19], -v[20:21]
	v_fmac_f64_e32 v[22:23], v[6:7], v[18:19]
	scratch_load_dwordx4 v[4:7], off, off offset:688
	s_waitcnt vmcnt(0)
	v_add_f64 v[4:5], v[4:5], -v[20:21]
	v_add_f64 v[6:7], v[6:7], -v[22:23]
	scratch_store_dwordx4 off, v[4:7], off offset:688
	ds_read2_b64 v[4:7], v14 offset0:88 offset1:89
	s_waitcnt lgkmcnt(0)
	v_mul_f64 v[20:21], v[6:7], v[2:3]
	v_mul_f64 v[22:23], v[4:5], v[2:3]
	v_fma_f64 v[20:21], v[4:5], v[18:19], -v[20:21]
	v_fmac_f64_e32 v[22:23], v[6:7], v[18:19]
	scratch_load_dwordx4 v[4:7], off, off offset:704
	s_waitcnt vmcnt(0)
	v_add_f64 v[4:5], v[4:5], -v[20:21]
	v_add_f64 v[6:7], v[6:7], -v[22:23]
	scratch_store_dwordx4 off, v[4:7], off offset:704
	ds_read2_b64 v[4:7], v14 offset0:90 offset1:91
	s_waitcnt lgkmcnt(0)
	v_mul_f64 v[20:21], v[6:7], v[2:3]
	v_mul_f64 v[22:23], v[4:5], v[2:3]
	v_fma_f64 v[20:21], v[4:5], v[18:19], -v[20:21]
	v_fmac_f64_e32 v[22:23], v[6:7], v[18:19]
	scratch_load_dwordx4 v[4:7], off, off offset:720
	s_waitcnt vmcnt(0)
	v_add_f64 v[4:5], v[4:5], -v[20:21]
	v_add_f64 v[6:7], v[6:7], -v[22:23]
	scratch_store_dwordx4 off, v[4:7], off offset:720
	ds_read2_b64 v[4:7], v14 offset0:92 offset1:93
	s_waitcnt lgkmcnt(0)
	v_mul_f64 v[20:21], v[6:7], v[2:3]
	v_mul_f64 v[22:23], v[4:5], v[2:3]
	v_fma_f64 v[20:21], v[4:5], v[18:19], -v[20:21]
	v_fmac_f64_e32 v[22:23], v[6:7], v[18:19]
	scratch_load_dwordx4 v[4:7], off, off offset:736
	s_waitcnt vmcnt(0)
	v_add_f64 v[4:5], v[4:5], -v[20:21]
	v_add_f64 v[6:7], v[6:7], -v[22:23]
	scratch_store_dwordx4 off, v[4:7], off offset:736
	ds_read2_b64 v[4:7], v14 offset0:94 offset1:95
	s_waitcnt lgkmcnt(0)
	v_mul_f64 v[20:21], v[6:7], v[2:3]
	v_fma_f64 v[20:21], v[4:5], v[18:19], -v[20:21]
	v_mul_f64 v[22:23], v[4:5], v[2:3]
	scratch_load_dwordx4 v[2:5], off, off offset:752
	v_fmac_f64_e32 v[22:23], v[6:7], v[18:19]
	s_waitcnt vmcnt(0)
	v_add_f64 v[2:3], v[2:3], -v[20:21]
	v_add_f64 v[4:5], v[4:5], -v[22:23]
	scratch_store_dwordx4 off, v[2:5], off offset:752
	ds_read2_b64 v[2:5], v14 offset0:96 offset1:97
	scratch_load_dwordx2 v[6:7], off, off offset:560
	scratch_load_dwordx2 v[18:19], off, off offset:568
	s_waitcnt vmcnt(0) lgkmcnt(0)
	v_mul_f64 v[20:21], v[4:5], v[18:19]
	v_mul_f64 v[22:23], v[2:3], v[18:19]
	v_fma_f64 v[20:21], v[2:3], v[6:7], -v[20:21]
	v_fmac_f64_e32 v[22:23], v[4:5], v[6:7]
	scratch_load_dwordx4 v[2:5], off, off offset:768
	s_waitcnt vmcnt(0)
	v_add_f64 v[2:3], v[2:3], -v[20:21]
	v_add_f64 v[4:5], v[4:5], -v[22:23]
	scratch_store_dwordx4 off, v[2:5], off offset:768
	ds_read2_b64 v[2:5], v14 offset0:98 offset1:99
	s_waitcnt lgkmcnt(0)
	v_mul_f64 v[20:21], v[4:5], v[18:19]
	v_mul_f64 v[22:23], v[2:3], v[18:19]
	v_fma_f64 v[20:21], v[2:3], v[6:7], -v[20:21]
	v_fmac_f64_e32 v[22:23], v[4:5], v[6:7]
	scratch_load_dwordx4 v[2:5], off, off offset:784
	s_waitcnt vmcnt(0)
	v_add_f64 v[2:3], v[2:3], -v[20:21]
	v_add_f64 v[4:5], v[4:5], -v[22:23]
	scratch_store_dwordx4 off, v[2:5], off offset:784
	ds_read2_b64 v[2:5], v14 offset0:100 offset1:101
	s_waitcnt lgkmcnt(0)
	;; [unrolled: 11-line block ×5, first 2 shown]
	v_mul_f64 v[20:21], v[4:5], v[18:19]
	v_mul_f64 v[18:19], v[2:3], v[18:19]
	v_fma_f64 v[20:21], v[2:3], v[6:7], -v[20:21]
	v_fmac_f64_e32 v[18:19], v[4:5], v[6:7]
	scratch_load_dwordx4 v[2:5], off, off offset:848
	s_waitcnt vmcnt(0)
	v_add_f64 v[2:3], v[2:3], -v[20:21]
	v_add_f64 v[4:5], v[4:5], -v[18:19]
	scratch_store_dwordx4 off, v[2:5], off offset:848
	ds_read2_b64 v[2:5], v14 offset0:108 offset1:109
	scratch_load_dwordx2 v[6:7], off, off offset:560
	scratch_load_dwordx2 v[18:19], off, off offset:568
	s_waitcnt vmcnt(0) lgkmcnt(0)
	v_mul_f64 v[20:21], v[4:5], v[18:19]
	v_mul_f64 v[22:23], v[2:3], v[18:19]
	v_fma_f64 v[20:21], v[2:3], v[6:7], -v[20:21]
	v_fmac_f64_e32 v[22:23], v[4:5], v[6:7]
	scratch_load_dwordx4 v[2:5], off, off offset:864
	s_waitcnt vmcnt(0)
	v_add_f64 v[2:3], v[2:3], -v[20:21]
	v_add_f64 v[4:5], v[4:5], -v[22:23]
	scratch_store_dwordx4 off, v[2:5], off offset:864
	ds_read2_b64 v[2:5], v14 offset0:110 offset1:111
	s_waitcnt lgkmcnt(0)
	v_mul_f64 v[20:21], v[4:5], v[18:19]
	v_mul_f64 v[22:23], v[2:3], v[18:19]
	v_fma_f64 v[20:21], v[2:3], v[6:7], -v[20:21]
	v_fmac_f64_e32 v[22:23], v[4:5], v[6:7]
	scratch_load_dwordx4 v[2:5], off, off offset:880
	s_waitcnt vmcnt(0)
	v_add_f64 v[2:3], v[2:3], -v[20:21]
	v_add_f64 v[4:5], v[4:5], -v[22:23]
	scratch_store_dwordx4 off, v[2:5], off offset:880
	ds_read2_b64 v[2:5], v14 offset0:112 offset1:113
	s_waitcnt lgkmcnt(0)
	;; [unrolled: 11-line block ×5, first 2 shown]
	v_mul_f64 v[20:21], v[4:5], v[18:19]
	v_mul_f64 v[18:19], v[2:3], v[18:19]
	v_fma_f64 v[20:21], v[2:3], v[6:7], -v[20:21]
	v_fmac_f64_e32 v[18:19], v[4:5], v[6:7]
	scratch_load_dwordx4 v[2:5], off, off offset:944
	s_waitcnt vmcnt(0)
	v_add_f64 v[4:5], v[4:5], -v[18:19]
	scratch_load_dwordx2 v[18:19], off, off offset:568
	v_add_f64 v[2:3], v[2:3], -v[20:21]
	scratch_store_dwordx4 off, v[2:5], off offset:944
	ds_read2_b64 v[2:5], v14 offset0:120 offset1:121
	s_waitcnt vmcnt(1) lgkmcnt(0)
	v_mul_f64 v[6:7], v[4:5], v[18:19]
	v_mul_f64 v[20:21], v[2:3], v[18:19]
	v_fma_f64 v[6:7], v[2:3], v[0:1], -v[6:7]
	v_fmac_f64_e32 v[20:21], v[4:5], v[0:1]
	scratch_load_dwordx4 v[2:5], off, off offset:960
	s_waitcnt vmcnt(0)
	v_add_f64 v[2:3], v[2:3], -v[6:7]
	v_add_f64 v[4:5], v[4:5], -v[20:21]
	scratch_store_dwordx4 off, v[2:5], off offset:960
	ds_read2_b64 v[2:5], v14 offset0:122 offset1:123
	s_waitcnt lgkmcnt(0)
	v_mul_f64 v[6:7], v[4:5], v[18:19]
	v_mul_f64 v[20:21], v[2:3], v[18:19]
	v_fma_f64 v[6:7], v[2:3], v[0:1], -v[6:7]
	v_fmac_f64_e32 v[20:21], v[4:5], v[0:1]
	scratch_load_dwordx4 v[2:5], off, off offset:976
	s_waitcnt vmcnt(0)
	v_add_f64 v[2:3], v[2:3], -v[6:7]
	v_add_f64 v[4:5], v[4:5], -v[20:21]
	scratch_store_dwordx4 off, v[2:5], off offset:976
	ds_read2_b64 v[4:7], v14 offset0:124 offset1:125
	s_waitcnt lgkmcnt(0)
	v_mul_f64 v[2:3], v[6:7], v[18:19]
	v_fma_f64 v[2:3], v[4:5], v[0:1], -v[2:3]
	v_mul_f64 v[4:5], v[4:5], v[18:19]
	scratch_load_dwordx4 v[18:21], off, off offset:992
	v_fmac_f64_e32 v[4:5], v[6:7], v[0:1]
	s_waitcnt vmcnt(0)
	v_add_f64 v[0:1], v[18:19], -v[2:3]
	v_add_f64 v[2:3], v[20:21], -v[4:5]
	scratch_store_dwordx4 off, v[0:3], off offset:992
.LBB124_865:
	s_or_b64 exec, exec, s[0:1]
	s_barrier
	scratch_load_dwordx4 v[0:3], off, s47
	v_lshl_add_u32 v4, v17, 4, v14
	s_cmp_lt_i32 s52, 38
	s_waitcnt vmcnt(0)
	ds_write2_b64 v4, v[0:1], v[2:3] offset1:1
	s_waitcnt lgkmcnt(0)
	s_barrier
	ds_read2_b64 v[0:3], v14 offset0:72 offset1:73
	v_mov_b32_e32 v4, 36
	s_cbranch_scc1 .LBB124_868
; %bb.866:
	v_add_u32_e32 v5, 0x250, v14
	s_mov_b32 s4, 37
	v_mov_b32_e32 v4, 36
.LBB124_867:                            ; =>This Inner Loop Header: Depth=1
	ds_read2_b64 v[18:21], v5 offset1:1
	s_waitcnt lgkmcnt(1)
	v_xor_b32_e32 v7, 0x80000000, v1
	v_xor_b32_e32 v23, 0x80000000, v3
	v_cmp_gt_f64_e32 vcc, 0, v[2:3]
	v_cmp_gt_f64_e64 s[0:1], 0, v[0:1]
	v_mov_b32_e32 v6, v0
	v_mov_b32_e32 v22, v2
	v_cndmask_b32_e64 v7, v1, v7, s[0:1]
	v_cndmask_b32_e32 v23, v3, v23, vcc
	v_add_f64 v[6:7], v[6:7], v[22:23]
	s_waitcnt lgkmcnt(0)
	v_xor_b32_e32 v23, 0x80000000, v19
	v_xor_b32_e32 v25, 0x80000000, v21
	v_cmp_gt_f64_e32 vcc, 0, v[20:21]
	v_cmp_gt_f64_e64 s[0:1], 0, v[18:19]
	v_mov_b32_e32 v22, v18
	v_mov_b32_e32 v24, v20
	v_cndmask_b32_e64 v23, v19, v23, s[0:1]
	v_cndmask_b32_e32 v25, v21, v25, vcc
	v_add_f64 v[22:23], v[22:23], v[24:25]
	v_mov_b32_e32 v26, s4
	s_add_i32 s4, s4, 1
	v_cmp_lt_f64_e32 vcc, v[6:7], v[22:23]
	v_add_u32_e32 v5, 16, v5
	s_cmp_lg_u32 s52, s4
	v_cndmask_b32_e32 v1, v1, v19, vcc
	v_cndmask_b32_e32 v0, v0, v18, vcc
	;; [unrolled: 1-line block ×5, first 2 shown]
	s_cbranch_scc1 .LBB124_867
.LBB124_868:
	s_waitcnt lgkmcnt(0)
	v_cmp_eq_f64_e32 vcc, 0, v[0:1]
	v_cmp_eq_f64_e64 s[0:1], 0, v[2:3]
	s_and_b64 s[0:1], vcc, s[0:1]
	s_and_saveexec_b64 s[4:5], s[0:1]
	s_xor_b64 s[0:1], exec, s[4:5]
; %bb.869:
	v_cmp_ne_u32_e32 vcc, 0, v15
	s_nop 1
	v_cndmask_b32_e32 v15, 37, v15, vcc
; %bb.870:
	s_andn2_saveexec_b64 s[0:1], s[0:1]
	s_cbranch_execz .LBB124_876
; %bb.871:
	v_cmp_ngt_f64_e64 s[4:5], |v[0:1]|, |v[2:3]|
	s_and_saveexec_b64 s[12:13], s[4:5]
	s_xor_b64 s[12:13], exec, s[12:13]
	s_cbranch_execz .LBB124_873
; %bb.872:
	v_div_scale_f64 v[6:7], s[4:5], v[2:3], v[2:3], v[0:1]
	v_rcp_f64_e32 v[18:19], v[6:7]
	v_div_scale_f64 v[20:21], vcc, v[0:1], v[2:3], v[0:1]
	v_fma_f64 v[22:23], -v[6:7], v[18:19], 1.0
	v_fmac_f64_e32 v[18:19], v[18:19], v[22:23]
	v_fma_f64 v[22:23], -v[6:7], v[18:19], 1.0
	v_fmac_f64_e32 v[18:19], v[18:19], v[22:23]
	v_mul_f64 v[22:23], v[20:21], v[18:19]
	v_fma_f64 v[6:7], -v[6:7], v[22:23], v[20:21]
	v_div_fmas_f64 v[6:7], v[6:7], v[18:19], v[22:23]
	v_div_fixup_f64 v[6:7], v[6:7], v[2:3], v[0:1]
	v_fmac_f64_e32 v[2:3], v[0:1], v[6:7]
	v_div_scale_f64 v[0:1], s[4:5], v[2:3], v[2:3], 1.0
	v_rcp_f64_e32 v[18:19], v[0:1]
	s_nop 0
	v_fma_f64 v[20:21], -v[0:1], v[18:19], 1.0
	v_fmac_f64_e32 v[18:19], v[18:19], v[20:21]
	v_fma_f64 v[20:21], -v[0:1], v[18:19], 1.0
	v_fmac_f64_e32 v[18:19], v[18:19], v[20:21]
	v_div_scale_f64 v[20:21], vcc, 1.0, v[2:3], 1.0
	v_mul_f64 v[22:23], v[20:21], v[18:19]
	v_fma_f64 v[0:1], -v[0:1], v[22:23], v[20:21]
	s_nop 1
	v_div_fmas_f64 v[0:1], v[0:1], v[18:19], v[22:23]
	v_div_fixup_f64 v[2:3], v[0:1], v[2:3], 1.0
	v_mul_f64 v[0:1], v[6:7], v[2:3]
	v_xor_b32_e32 v3, 0x80000000, v3
.LBB124_873:
	s_andn2_saveexec_b64 s[12:13], s[12:13]
	s_cbranch_execz .LBB124_875
; %bb.874:
	v_div_scale_f64 v[6:7], s[4:5], v[0:1], v[0:1], v[2:3]
	v_rcp_f64_e32 v[18:19], v[6:7]
	v_div_scale_f64 v[20:21], vcc, v[2:3], v[0:1], v[2:3]
	v_fma_f64 v[22:23], -v[6:7], v[18:19], 1.0
	v_fmac_f64_e32 v[18:19], v[18:19], v[22:23]
	v_fma_f64 v[22:23], -v[6:7], v[18:19], 1.0
	v_fmac_f64_e32 v[18:19], v[18:19], v[22:23]
	v_mul_f64 v[22:23], v[20:21], v[18:19]
	v_fma_f64 v[6:7], -v[6:7], v[22:23], v[20:21]
	v_div_fmas_f64 v[6:7], v[6:7], v[18:19], v[22:23]
	v_div_fixup_f64 v[6:7], v[6:7], v[0:1], v[2:3]
	v_fmac_f64_e32 v[0:1], v[2:3], v[6:7]
	v_div_scale_f64 v[2:3], s[4:5], v[0:1], v[0:1], 1.0
	v_rcp_f64_e32 v[18:19], v[2:3]
	s_nop 0
	v_fma_f64 v[20:21], -v[2:3], v[18:19], 1.0
	v_fmac_f64_e32 v[18:19], v[18:19], v[20:21]
	v_fma_f64 v[20:21], -v[2:3], v[18:19], 1.0
	v_fmac_f64_e32 v[18:19], v[18:19], v[20:21]
	v_div_scale_f64 v[20:21], vcc, 1.0, v[0:1], 1.0
	v_mul_f64 v[22:23], v[20:21], v[18:19]
	v_fma_f64 v[2:3], -v[2:3], v[22:23], v[20:21]
	s_nop 1
	v_div_fmas_f64 v[2:3], v[2:3], v[18:19], v[22:23]
	v_div_fixup_f64 v[0:1], v[2:3], v[0:1], 1.0
	v_mul_f64 v[2:3], v[6:7], -v[0:1]
.LBB124_875:
	s_or_b64 exec, exec, s[12:13]
.LBB124_876:
	s_or_b64 exec, exec, s[0:1]
	v_cmp_ne_u32_e32 vcc, v17, v4
	s_and_saveexec_b64 s[0:1], vcc
	s_xor_b64 s[0:1], exec, s[0:1]
	s_cbranch_execz .LBB124_882
; %bb.877:
	v_cmp_eq_u32_e32 vcc, 36, v17
	s_and_saveexec_b64 s[12:13], vcc
	s_cbranch_execz .LBB124_881
; %bb.878:
	v_cmp_ne_u32_e32 vcc, 36, v4
	s_xor_b64 s[4:5], s[18:19], -1
	s_and_b64 s[4:5], s[4:5], vcc
	s_and_saveexec_b64 s[14:15], s[4:5]
	s_cbranch_execz .LBB124_880
; %bb.879:
	v_ashrrev_i32_e32 v5, 31, v4
	v_lshl_add_u64 v[6:7], v[4:5], 2, v[10:11]
	global_load_dword v5, v[6:7], off
	global_load_dword v16, v[10:11], off offset:144
	s_waitcnt vmcnt(1)
	global_store_dword v[10:11], v5, off offset:144
	s_waitcnt vmcnt(1)
	global_store_dword v[6:7], v16, off
.LBB124_880:
	s_or_b64 exec, exec, s[14:15]
	v_mov_b32_e32 v17, v4
	v_mov_b32_e32 v16, v4
.LBB124_881:
	s_or_b64 exec, exec, s[12:13]
.LBB124_882:
	s_andn2_saveexec_b64 s[0:1], s[0:1]
	s_cbranch_execz .LBB124_884
; %bb.883:
	scratch_load_dwordx4 v[4:7], off, s46
	scratch_load_dwordx4 v[18:21], off, s45
	scratch_load_dwordx4 v[22:25], off, s44
	scratch_load_dwordx4 v[26:29], off, s43
	scratch_load_dwordx4 v[30:33], off, s42
	scratch_load_dwordx4 v[34:37], off, s41
	scratch_load_dwordx4 v[38:41], off, s40
	scratch_load_dwordx4 v[42:45], off, s39
	scratch_load_dwordx4 v[46:49], off, s38
	scratch_load_dwordx4 v[50:53], off, s37
	scratch_load_dwordx4 v[54:57], off, s36
	scratch_load_dwordx4 v[58:61], off, s35
	scratch_load_dwordx4 v[62:65], off, s34
	scratch_load_dwordx4 v[66:69], off, s33
	scratch_load_dwordx4 v[70:73], off, s31
	scratch_load_dwordx4 v[74:77], off, s30
	scratch_load_dwordx4 v[78:81], off, s29
	scratch_load_dwordx4 v[82:85], off, s28
	scratch_load_dwordx4 v[86:89], off, s27
	scratch_load_dwordx4 v[90:93], off, s26
	scratch_load_dwordx4 v[94:97], off, s25
	scratch_load_dwordx4 v[98:101], off, s24
	scratch_load_dwordx4 v[102:105], off, s23
	scratch_load_dwordx4 v[106:109], off, s22
	scratch_load_dwordx4 v[110:113], off, s21
	scratch_load_dwordx4 v[114:117], off, s20
	v_mov_b32_e32 v17, 36
	s_waitcnt vmcnt(25)
	ds_write2_b64 v14, v[4:5], v[6:7] offset0:74 offset1:75
	s_waitcnt vmcnt(24)
	ds_write2_b64 v14, v[18:19], v[20:21] offset0:76 offset1:77
	;; [unrolled: 2-line block ×26, first 2 shown]
.LBB124_884:
	s_or_b64 exec, exec, s[0:1]
	v_cmp_lt_i32_e32 vcc, 36, v17
	s_waitcnt lgkmcnt(0)
	s_barrier
	s_and_saveexec_b64 s[0:1], vcc
	s_cbranch_execz .LBB124_886
; %bb.885:
	scratch_load_dwordx4 v[4:7], off, off offset:576
	s_waitcnt vmcnt(0)
	v_mul_f64 v[18:19], v[2:3], v[6:7]
	v_mul_f64 v[20:21], v[0:1], v[6:7]
	v_fma_f64 v[18:19], v[0:1], v[4:5], -v[18:19]
	v_fmac_f64_e32 v[20:21], v[2:3], v[4:5]
	ds_read2_b64 v[0:3], v14 offset0:74 offset1:75
	scratch_store_dwordx4 off, v[18:21], off offset:576
	s_waitcnt lgkmcnt(0)
	v_mul_f64 v[4:5], v[2:3], v[20:21]
	v_mul_f64 v[6:7], v[0:1], v[20:21]
	v_fma_f64 v[4:5], v[0:1], v[18:19], -v[4:5]
	v_fmac_f64_e32 v[6:7], v[2:3], v[18:19]
	scratch_load_dwordx4 v[0:3], off, off offset:592
	s_waitcnt vmcnt(0)
	v_add_f64 v[0:1], v[0:1], -v[4:5]
	v_add_f64 v[2:3], v[2:3], -v[6:7]
	scratch_store_dwordx4 off, v[0:3], off offset:592
	ds_read2_b64 v[0:3], v14 offset0:76 offset1:77
	s_waitcnt lgkmcnt(0)
	v_mul_f64 v[4:5], v[2:3], v[20:21]
	v_mul_f64 v[6:7], v[0:1], v[20:21]
	v_fma_f64 v[4:5], v[0:1], v[18:19], -v[4:5]
	v_fmac_f64_e32 v[6:7], v[2:3], v[18:19]
	scratch_load_dwordx4 v[0:3], off, off offset:608
	s_waitcnt vmcnt(0)
	v_add_f64 v[0:1], v[0:1], -v[4:5]
	v_add_f64 v[2:3], v[2:3], -v[6:7]
	scratch_store_dwordx4 off, v[0:3], off offset:608
	ds_read2_b64 v[0:3], v14 offset0:78 offset1:79
	;; [unrolled: 11-line block ×6, first 2 shown]
	scratch_load_dwordx2 v[18:19], off, off offset:576
	scratch_load_dwordx4 v[0:3], off, off offset:576
	s_waitcnt vmcnt(0) lgkmcnt(0)
	v_mul_f64 v[20:21], v[6:7], v[2:3]
	v_mul_f64 v[22:23], v[4:5], v[2:3]
	v_fma_f64 v[20:21], v[4:5], v[18:19], -v[20:21]
	v_fmac_f64_e32 v[22:23], v[6:7], v[18:19]
	scratch_load_dwordx4 v[4:7], off, off offset:688
	s_waitcnt vmcnt(0)
	v_add_f64 v[4:5], v[4:5], -v[20:21]
	v_add_f64 v[6:7], v[6:7], -v[22:23]
	scratch_store_dwordx4 off, v[4:7], off offset:688
	ds_read2_b64 v[4:7], v14 offset0:88 offset1:89
	s_waitcnt lgkmcnt(0)
	v_mul_f64 v[20:21], v[6:7], v[2:3]
	v_mul_f64 v[22:23], v[4:5], v[2:3]
	v_fma_f64 v[20:21], v[4:5], v[18:19], -v[20:21]
	v_fmac_f64_e32 v[22:23], v[6:7], v[18:19]
	scratch_load_dwordx4 v[4:7], off, off offset:704
	s_waitcnt vmcnt(0)
	v_add_f64 v[4:5], v[4:5], -v[20:21]
	v_add_f64 v[6:7], v[6:7], -v[22:23]
	scratch_store_dwordx4 off, v[4:7], off offset:704
	ds_read2_b64 v[4:7], v14 offset0:90 offset1:91
	s_waitcnt lgkmcnt(0)
	;; [unrolled: 11-line block ×5, first 2 shown]
	v_mul_f64 v[20:21], v[6:7], v[2:3]
	v_fma_f64 v[20:21], v[4:5], v[18:19], -v[20:21]
	v_mul_f64 v[22:23], v[4:5], v[2:3]
	scratch_load_dwordx4 v[2:5], off, off offset:768
	v_fmac_f64_e32 v[22:23], v[6:7], v[18:19]
	s_waitcnt vmcnt(0)
	v_add_f64 v[2:3], v[2:3], -v[20:21]
	v_add_f64 v[4:5], v[4:5], -v[22:23]
	scratch_store_dwordx4 off, v[2:5], off offset:768
	ds_read2_b64 v[2:5], v14 offset0:98 offset1:99
	scratch_load_dwordx2 v[6:7], off, off offset:576
	scratch_load_dwordx2 v[18:19], off, off offset:584
	s_waitcnt vmcnt(0) lgkmcnt(0)
	v_mul_f64 v[20:21], v[4:5], v[18:19]
	v_mul_f64 v[22:23], v[2:3], v[18:19]
	v_fma_f64 v[20:21], v[2:3], v[6:7], -v[20:21]
	v_fmac_f64_e32 v[22:23], v[4:5], v[6:7]
	scratch_load_dwordx4 v[2:5], off, off offset:784
	s_waitcnt vmcnt(0)
	v_add_f64 v[2:3], v[2:3], -v[20:21]
	v_add_f64 v[4:5], v[4:5], -v[22:23]
	scratch_store_dwordx4 off, v[2:5], off offset:784
	ds_read2_b64 v[2:5], v14 offset0:100 offset1:101
	s_waitcnt lgkmcnt(0)
	v_mul_f64 v[20:21], v[4:5], v[18:19]
	v_mul_f64 v[22:23], v[2:3], v[18:19]
	v_fma_f64 v[20:21], v[2:3], v[6:7], -v[20:21]
	v_fmac_f64_e32 v[22:23], v[4:5], v[6:7]
	scratch_load_dwordx4 v[2:5], off, off offset:800
	s_waitcnt vmcnt(0)
	v_add_f64 v[2:3], v[2:3], -v[20:21]
	v_add_f64 v[4:5], v[4:5], -v[22:23]
	scratch_store_dwordx4 off, v[2:5], off offset:800
	ds_read2_b64 v[2:5], v14 offset0:102 offset1:103
	s_waitcnt lgkmcnt(0)
	;; [unrolled: 11-line block ×5, first 2 shown]
	v_mul_f64 v[20:21], v[4:5], v[18:19]
	v_mul_f64 v[18:19], v[2:3], v[18:19]
	v_fma_f64 v[20:21], v[2:3], v[6:7], -v[20:21]
	v_fmac_f64_e32 v[18:19], v[4:5], v[6:7]
	scratch_load_dwordx4 v[2:5], off, off offset:864
	s_waitcnt vmcnt(0)
	v_add_f64 v[2:3], v[2:3], -v[20:21]
	v_add_f64 v[4:5], v[4:5], -v[18:19]
	scratch_store_dwordx4 off, v[2:5], off offset:864
	ds_read2_b64 v[2:5], v14 offset0:110 offset1:111
	scratch_load_dwordx2 v[6:7], off, off offset:576
	scratch_load_dwordx2 v[18:19], off, off offset:584
	s_waitcnt vmcnt(0) lgkmcnt(0)
	v_mul_f64 v[20:21], v[4:5], v[18:19]
	v_mul_f64 v[22:23], v[2:3], v[18:19]
	v_fma_f64 v[20:21], v[2:3], v[6:7], -v[20:21]
	v_fmac_f64_e32 v[22:23], v[4:5], v[6:7]
	scratch_load_dwordx4 v[2:5], off, off offset:880
	s_waitcnt vmcnt(0)
	v_add_f64 v[2:3], v[2:3], -v[20:21]
	v_add_f64 v[4:5], v[4:5], -v[22:23]
	scratch_store_dwordx4 off, v[2:5], off offset:880
	ds_read2_b64 v[2:5], v14 offset0:112 offset1:113
	s_waitcnt lgkmcnt(0)
	v_mul_f64 v[20:21], v[4:5], v[18:19]
	v_mul_f64 v[22:23], v[2:3], v[18:19]
	v_fma_f64 v[20:21], v[2:3], v[6:7], -v[20:21]
	v_fmac_f64_e32 v[22:23], v[4:5], v[6:7]
	scratch_load_dwordx4 v[2:5], off, off offset:896
	s_waitcnt vmcnt(0)
	v_add_f64 v[2:3], v[2:3], -v[20:21]
	v_add_f64 v[4:5], v[4:5], -v[22:23]
	scratch_store_dwordx4 off, v[2:5], off offset:896
	ds_read2_b64 v[2:5], v14 offset0:114 offset1:115
	s_waitcnt lgkmcnt(0)
	v_mul_f64 v[20:21], v[4:5], v[18:19]
	v_mul_f64 v[22:23], v[2:3], v[18:19]
	v_fma_f64 v[20:21], v[2:3], v[6:7], -v[20:21]
	v_fmac_f64_e32 v[22:23], v[4:5], v[6:7]
	scratch_load_dwordx4 v[2:5], off, off offset:912
	s_waitcnt vmcnt(0)
	v_add_f64 v[2:3], v[2:3], -v[20:21]
	v_add_f64 v[4:5], v[4:5], -v[22:23]
	scratch_store_dwordx4 off, v[2:5], off offset:912
	ds_read2_b64 v[2:5], v14 offset0:116 offset1:117
	s_waitcnt lgkmcnt(0)
	v_mul_f64 v[20:21], v[4:5], v[18:19]
	v_mul_f64 v[22:23], v[2:3], v[18:19]
	v_fma_f64 v[20:21], v[2:3], v[6:7], -v[20:21]
	v_fmac_f64_e32 v[22:23], v[4:5], v[6:7]
	scratch_load_dwordx4 v[2:5], off, off offset:928
	s_waitcnt vmcnt(0)
	v_add_f64 v[2:3], v[2:3], -v[20:21]
	v_add_f64 v[4:5], v[4:5], -v[22:23]
	scratch_store_dwordx4 off, v[2:5], off offset:928
	ds_read2_b64 v[2:5], v14 offset0:118 offset1:119
	s_waitcnt lgkmcnt(0)
	v_mul_f64 v[20:21], v[4:5], v[18:19]
	v_mul_f64 v[22:23], v[2:3], v[18:19]
	v_fma_f64 v[20:21], v[2:3], v[6:7], -v[20:21]
	v_fmac_f64_e32 v[22:23], v[4:5], v[6:7]
	scratch_load_dwordx4 v[2:5], off, off offset:944
	s_waitcnt vmcnt(0)
	v_add_f64 v[2:3], v[2:3], -v[20:21]
	v_add_f64 v[4:5], v[4:5], -v[22:23]
	scratch_store_dwordx4 off, v[2:5], off offset:944
	ds_read2_b64 v[2:5], v14 offset0:120 offset1:121
	s_waitcnt lgkmcnt(0)
	v_mul_f64 v[20:21], v[4:5], v[18:19]
	v_mul_f64 v[18:19], v[2:3], v[18:19]
	v_fma_f64 v[20:21], v[2:3], v[6:7], -v[20:21]
	v_fmac_f64_e32 v[18:19], v[4:5], v[6:7]
	scratch_load_dwordx4 v[2:5], off, off offset:960
	s_waitcnt vmcnt(0)
	v_add_f64 v[4:5], v[4:5], -v[18:19]
	scratch_load_dwordx2 v[18:19], off, off offset:584
	v_add_f64 v[2:3], v[2:3], -v[20:21]
	scratch_store_dwordx4 off, v[2:5], off offset:960
	ds_read2_b64 v[2:5], v14 offset0:122 offset1:123
	s_waitcnt vmcnt(1) lgkmcnt(0)
	v_mul_f64 v[6:7], v[4:5], v[18:19]
	v_mul_f64 v[20:21], v[2:3], v[18:19]
	v_fma_f64 v[6:7], v[2:3], v[0:1], -v[6:7]
	v_fmac_f64_e32 v[20:21], v[4:5], v[0:1]
	scratch_load_dwordx4 v[2:5], off, off offset:976
	s_waitcnt vmcnt(0)
	v_add_f64 v[2:3], v[2:3], -v[6:7]
	v_add_f64 v[4:5], v[4:5], -v[20:21]
	scratch_store_dwordx4 off, v[2:5], off offset:976
	ds_read2_b64 v[4:7], v14 offset0:124 offset1:125
	s_waitcnt lgkmcnt(0)
	v_mul_f64 v[2:3], v[6:7], v[18:19]
	v_fma_f64 v[2:3], v[4:5], v[0:1], -v[2:3]
	v_mul_f64 v[4:5], v[4:5], v[18:19]
	scratch_load_dwordx4 v[18:21], off, off offset:992
	v_fmac_f64_e32 v[4:5], v[6:7], v[0:1]
	s_waitcnt vmcnt(0)
	v_add_f64 v[0:1], v[18:19], -v[2:3]
	v_add_f64 v[2:3], v[20:21], -v[4:5]
	scratch_store_dwordx4 off, v[0:3], off offset:992
.LBB124_886:
	s_or_b64 exec, exec, s[0:1]
	s_barrier
	scratch_load_dwordx4 v[0:3], off, s46
	v_lshl_add_u32 v4, v17, 4, v14
	s_cmp_lt_i32 s52, 39
	s_waitcnt vmcnt(0)
	ds_write2_b64 v4, v[0:1], v[2:3] offset1:1
	s_waitcnt lgkmcnt(0)
	s_barrier
	ds_read2_b64 v[0:3], v14 offset0:74 offset1:75
	v_mov_b32_e32 v4, 37
	s_cbranch_scc1 .LBB124_889
; %bb.887:
	v_add_u32_e32 v5, 0x260, v14
	s_mov_b32 s4, 38
	v_mov_b32_e32 v4, 37
.LBB124_888:                            ; =>This Inner Loop Header: Depth=1
	ds_read2_b64 v[18:21], v5 offset1:1
	s_waitcnt lgkmcnt(1)
	v_xor_b32_e32 v7, 0x80000000, v1
	v_xor_b32_e32 v23, 0x80000000, v3
	v_cmp_gt_f64_e32 vcc, 0, v[2:3]
	v_cmp_gt_f64_e64 s[0:1], 0, v[0:1]
	v_mov_b32_e32 v6, v0
	v_mov_b32_e32 v22, v2
	v_cndmask_b32_e64 v7, v1, v7, s[0:1]
	v_cndmask_b32_e32 v23, v3, v23, vcc
	v_add_f64 v[6:7], v[6:7], v[22:23]
	s_waitcnt lgkmcnt(0)
	v_xor_b32_e32 v23, 0x80000000, v19
	v_xor_b32_e32 v25, 0x80000000, v21
	v_cmp_gt_f64_e32 vcc, 0, v[20:21]
	v_cmp_gt_f64_e64 s[0:1], 0, v[18:19]
	v_mov_b32_e32 v22, v18
	v_mov_b32_e32 v24, v20
	v_cndmask_b32_e64 v23, v19, v23, s[0:1]
	v_cndmask_b32_e32 v25, v21, v25, vcc
	v_add_f64 v[22:23], v[22:23], v[24:25]
	v_mov_b32_e32 v26, s4
	s_add_i32 s4, s4, 1
	v_cmp_lt_f64_e32 vcc, v[6:7], v[22:23]
	v_add_u32_e32 v5, 16, v5
	s_cmp_lg_u32 s52, s4
	v_cndmask_b32_e32 v1, v1, v19, vcc
	v_cndmask_b32_e32 v0, v0, v18, vcc
	;; [unrolled: 1-line block ×5, first 2 shown]
	s_cbranch_scc1 .LBB124_888
.LBB124_889:
	s_waitcnt lgkmcnt(0)
	v_cmp_eq_f64_e32 vcc, 0, v[0:1]
	v_cmp_eq_f64_e64 s[0:1], 0, v[2:3]
	s_and_b64 s[0:1], vcc, s[0:1]
	s_and_saveexec_b64 s[4:5], s[0:1]
	s_xor_b64 s[0:1], exec, s[4:5]
; %bb.890:
	v_cmp_ne_u32_e32 vcc, 0, v15
	s_nop 1
	v_cndmask_b32_e32 v15, 38, v15, vcc
; %bb.891:
	s_andn2_saveexec_b64 s[0:1], s[0:1]
	s_cbranch_execz .LBB124_897
; %bb.892:
	v_cmp_ngt_f64_e64 s[4:5], |v[0:1]|, |v[2:3]|
	s_and_saveexec_b64 s[12:13], s[4:5]
	s_xor_b64 s[12:13], exec, s[12:13]
	s_cbranch_execz .LBB124_894
; %bb.893:
	v_div_scale_f64 v[6:7], s[4:5], v[2:3], v[2:3], v[0:1]
	v_rcp_f64_e32 v[18:19], v[6:7]
	v_div_scale_f64 v[20:21], vcc, v[0:1], v[2:3], v[0:1]
	v_fma_f64 v[22:23], -v[6:7], v[18:19], 1.0
	v_fmac_f64_e32 v[18:19], v[18:19], v[22:23]
	v_fma_f64 v[22:23], -v[6:7], v[18:19], 1.0
	v_fmac_f64_e32 v[18:19], v[18:19], v[22:23]
	v_mul_f64 v[22:23], v[20:21], v[18:19]
	v_fma_f64 v[6:7], -v[6:7], v[22:23], v[20:21]
	v_div_fmas_f64 v[6:7], v[6:7], v[18:19], v[22:23]
	v_div_fixup_f64 v[6:7], v[6:7], v[2:3], v[0:1]
	v_fmac_f64_e32 v[2:3], v[0:1], v[6:7]
	v_div_scale_f64 v[0:1], s[4:5], v[2:3], v[2:3], 1.0
	v_rcp_f64_e32 v[18:19], v[0:1]
	s_nop 0
	v_fma_f64 v[20:21], -v[0:1], v[18:19], 1.0
	v_fmac_f64_e32 v[18:19], v[18:19], v[20:21]
	v_fma_f64 v[20:21], -v[0:1], v[18:19], 1.0
	v_fmac_f64_e32 v[18:19], v[18:19], v[20:21]
	v_div_scale_f64 v[20:21], vcc, 1.0, v[2:3], 1.0
	v_mul_f64 v[22:23], v[20:21], v[18:19]
	v_fma_f64 v[0:1], -v[0:1], v[22:23], v[20:21]
	s_nop 1
	v_div_fmas_f64 v[0:1], v[0:1], v[18:19], v[22:23]
	v_div_fixup_f64 v[2:3], v[0:1], v[2:3], 1.0
	v_mul_f64 v[0:1], v[6:7], v[2:3]
	v_xor_b32_e32 v3, 0x80000000, v3
.LBB124_894:
	s_andn2_saveexec_b64 s[12:13], s[12:13]
	s_cbranch_execz .LBB124_896
; %bb.895:
	v_div_scale_f64 v[6:7], s[4:5], v[0:1], v[0:1], v[2:3]
	v_rcp_f64_e32 v[18:19], v[6:7]
	v_div_scale_f64 v[20:21], vcc, v[2:3], v[0:1], v[2:3]
	v_fma_f64 v[22:23], -v[6:7], v[18:19], 1.0
	v_fmac_f64_e32 v[18:19], v[18:19], v[22:23]
	v_fma_f64 v[22:23], -v[6:7], v[18:19], 1.0
	v_fmac_f64_e32 v[18:19], v[18:19], v[22:23]
	v_mul_f64 v[22:23], v[20:21], v[18:19]
	v_fma_f64 v[6:7], -v[6:7], v[22:23], v[20:21]
	v_div_fmas_f64 v[6:7], v[6:7], v[18:19], v[22:23]
	v_div_fixup_f64 v[6:7], v[6:7], v[0:1], v[2:3]
	v_fmac_f64_e32 v[0:1], v[2:3], v[6:7]
	v_div_scale_f64 v[2:3], s[4:5], v[0:1], v[0:1], 1.0
	v_rcp_f64_e32 v[18:19], v[2:3]
	s_nop 0
	v_fma_f64 v[20:21], -v[2:3], v[18:19], 1.0
	v_fmac_f64_e32 v[18:19], v[18:19], v[20:21]
	v_fma_f64 v[20:21], -v[2:3], v[18:19], 1.0
	v_fmac_f64_e32 v[18:19], v[18:19], v[20:21]
	v_div_scale_f64 v[20:21], vcc, 1.0, v[0:1], 1.0
	v_mul_f64 v[22:23], v[20:21], v[18:19]
	v_fma_f64 v[2:3], -v[2:3], v[22:23], v[20:21]
	s_nop 1
	v_div_fmas_f64 v[2:3], v[2:3], v[18:19], v[22:23]
	v_div_fixup_f64 v[0:1], v[2:3], v[0:1], 1.0
	v_mul_f64 v[2:3], v[6:7], -v[0:1]
.LBB124_896:
	s_or_b64 exec, exec, s[12:13]
.LBB124_897:
	s_or_b64 exec, exec, s[0:1]
	v_cmp_ne_u32_e32 vcc, v17, v4
	s_and_saveexec_b64 s[0:1], vcc
	s_xor_b64 s[0:1], exec, s[0:1]
	s_cbranch_execz .LBB124_903
; %bb.898:
	v_cmp_eq_u32_e32 vcc, 37, v17
	s_and_saveexec_b64 s[12:13], vcc
	s_cbranch_execz .LBB124_902
; %bb.899:
	v_cmp_ne_u32_e32 vcc, 37, v4
	s_xor_b64 s[4:5], s[18:19], -1
	s_and_b64 s[4:5], s[4:5], vcc
	s_and_saveexec_b64 s[14:15], s[4:5]
	s_cbranch_execz .LBB124_901
; %bb.900:
	v_ashrrev_i32_e32 v5, 31, v4
	v_lshl_add_u64 v[6:7], v[4:5], 2, v[10:11]
	global_load_dword v5, v[6:7], off
	global_load_dword v16, v[10:11], off offset:148
	s_waitcnt vmcnt(1)
	global_store_dword v[10:11], v5, off offset:148
	s_waitcnt vmcnt(1)
	global_store_dword v[6:7], v16, off
.LBB124_901:
	s_or_b64 exec, exec, s[14:15]
	v_mov_b32_e32 v17, v4
	v_mov_b32_e32 v16, v4
.LBB124_902:
	s_or_b64 exec, exec, s[12:13]
.LBB124_903:
	s_andn2_saveexec_b64 s[0:1], s[0:1]
	s_cbranch_execz .LBB124_905
; %bb.904:
	scratch_load_dwordx4 v[4:7], off, s45
	scratch_load_dwordx4 v[18:21], off, s44
	;; [unrolled: 1-line block ×25, first 2 shown]
	v_mov_b32_e32 v17, 37
	s_waitcnt vmcnt(24)
	ds_write2_b64 v14, v[4:5], v[6:7] offset0:76 offset1:77
	s_waitcnt vmcnt(23)
	ds_write2_b64 v14, v[18:19], v[20:21] offset0:78 offset1:79
	;; [unrolled: 2-line block ×25, first 2 shown]
.LBB124_905:
	s_or_b64 exec, exec, s[0:1]
	v_cmp_lt_i32_e32 vcc, 37, v17
	s_waitcnt lgkmcnt(0)
	s_barrier
	s_and_saveexec_b64 s[0:1], vcc
	s_cbranch_execz .LBB124_907
; %bb.906:
	scratch_load_dwordx4 v[4:7], off, off offset:592
	s_waitcnt vmcnt(0)
	v_mul_f64 v[18:19], v[2:3], v[6:7]
	v_mul_f64 v[20:21], v[0:1], v[6:7]
	v_fma_f64 v[18:19], v[0:1], v[4:5], -v[18:19]
	v_fmac_f64_e32 v[20:21], v[2:3], v[4:5]
	ds_read2_b64 v[0:3], v14 offset0:76 offset1:77
	scratch_store_dwordx4 off, v[18:21], off offset:592
	s_waitcnt lgkmcnt(0)
	v_mul_f64 v[4:5], v[2:3], v[20:21]
	v_mul_f64 v[6:7], v[0:1], v[20:21]
	v_fma_f64 v[4:5], v[0:1], v[18:19], -v[4:5]
	v_fmac_f64_e32 v[6:7], v[2:3], v[18:19]
	scratch_load_dwordx4 v[0:3], off, off offset:608
	s_waitcnt vmcnt(0)
	v_add_f64 v[0:1], v[0:1], -v[4:5]
	v_add_f64 v[2:3], v[2:3], -v[6:7]
	scratch_store_dwordx4 off, v[0:3], off offset:608
	ds_read2_b64 v[0:3], v14 offset0:78 offset1:79
	s_waitcnt lgkmcnt(0)
	v_mul_f64 v[4:5], v[2:3], v[20:21]
	v_mul_f64 v[6:7], v[0:1], v[20:21]
	v_fma_f64 v[4:5], v[0:1], v[18:19], -v[4:5]
	v_fmac_f64_e32 v[6:7], v[2:3], v[18:19]
	scratch_load_dwordx4 v[0:3], off, off offset:624
	s_waitcnt vmcnt(0)
	v_add_f64 v[0:1], v[0:1], -v[4:5]
	v_add_f64 v[2:3], v[2:3], -v[6:7]
	scratch_store_dwordx4 off, v[0:3], off offset:624
	ds_read2_b64 v[0:3], v14 offset0:80 offset1:81
	;; [unrolled: 11-line block ×6, first 2 shown]
	scratch_load_dwordx2 v[18:19], off, off offset:592
	scratch_load_dwordx4 v[0:3], off, off offset:592
	s_waitcnt vmcnt(0) lgkmcnt(0)
	v_mul_f64 v[20:21], v[6:7], v[2:3]
	v_mul_f64 v[22:23], v[4:5], v[2:3]
	v_fma_f64 v[20:21], v[4:5], v[18:19], -v[20:21]
	v_fmac_f64_e32 v[22:23], v[6:7], v[18:19]
	scratch_load_dwordx4 v[4:7], off, off offset:704
	s_waitcnt vmcnt(0)
	v_add_f64 v[4:5], v[4:5], -v[20:21]
	v_add_f64 v[6:7], v[6:7], -v[22:23]
	scratch_store_dwordx4 off, v[4:7], off offset:704
	ds_read2_b64 v[4:7], v14 offset0:90 offset1:91
	s_waitcnt lgkmcnt(0)
	v_mul_f64 v[20:21], v[6:7], v[2:3]
	v_mul_f64 v[22:23], v[4:5], v[2:3]
	v_fma_f64 v[20:21], v[4:5], v[18:19], -v[20:21]
	v_fmac_f64_e32 v[22:23], v[6:7], v[18:19]
	scratch_load_dwordx4 v[4:7], off, off offset:720
	s_waitcnt vmcnt(0)
	v_add_f64 v[4:5], v[4:5], -v[20:21]
	v_add_f64 v[6:7], v[6:7], -v[22:23]
	scratch_store_dwordx4 off, v[4:7], off offset:720
	ds_read2_b64 v[4:7], v14 offset0:92 offset1:93
	s_waitcnt lgkmcnt(0)
	v_mul_f64 v[20:21], v[6:7], v[2:3]
	v_mul_f64 v[22:23], v[4:5], v[2:3]
	v_fma_f64 v[20:21], v[4:5], v[18:19], -v[20:21]
	v_fmac_f64_e32 v[22:23], v[6:7], v[18:19]
	scratch_load_dwordx4 v[4:7], off, off offset:736
	s_waitcnt vmcnt(0)
	v_add_f64 v[4:5], v[4:5], -v[20:21]
	v_add_f64 v[6:7], v[6:7], -v[22:23]
	scratch_store_dwordx4 off, v[4:7], off offset:736
	ds_read2_b64 v[4:7], v14 offset0:94 offset1:95
	s_waitcnt lgkmcnt(0)
	v_mul_f64 v[20:21], v[6:7], v[2:3]
	v_mul_f64 v[22:23], v[4:5], v[2:3]
	v_fma_f64 v[20:21], v[4:5], v[18:19], -v[20:21]
	v_fmac_f64_e32 v[22:23], v[6:7], v[18:19]
	scratch_load_dwordx4 v[4:7], off, off offset:752
	s_waitcnt vmcnt(0)
	v_add_f64 v[4:5], v[4:5], -v[20:21]
	v_add_f64 v[6:7], v[6:7], -v[22:23]
	scratch_store_dwordx4 off, v[4:7], off offset:752
	ds_read2_b64 v[4:7], v14 offset0:96 offset1:97
	s_waitcnt lgkmcnt(0)
	v_mul_f64 v[20:21], v[6:7], v[2:3]
	v_mul_f64 v[22:23], v[4:5], v[2:3]
	v_fma_f64 v[20:21], v[4:5], v[18:19], -v[20:21]
	v_fmac_f64_e32 v[22:23], v[6:7], v[18:19]
	scratch_load_dwordx4 v[4:7], off, off offset:768
	s_waitcnt vmcnt(0)
	v_add_f64 v[4:5], v[4:5], -v[20:21]
	v_add_f64 v[6:7], v[6:7], -v[22:23]
	scratch_store_dwordx4 off, v[4:7], off offset:768
	ds_read2_b64 v[4:7], v14 offset0:98 offset1:99
	s_waitcnt lgkmcnt(0)
	v_mul_f64 v[20:21], v[6:7], v[2:3]
	v_fma_f64 v[20:21], v[4:5], v[18:19], -v[20:21]
	v_mul_f64 v[22:23], v[4:5], v[2:3]
	scratch_load_dwordx4 v[2:5], off, off offset:784
	v_fmac_f64_e32 v[22:23], v[6:7], v[18:19]
	s_waitcnt vmcnt(0)
	v_add_f64 v[2:3], v[2:3], -v[20:21]
	v_add_f64 v[4:5], v[4:5], -v[22:23]
	scratch_store_dwordx4 off, v[2:5], off offset:784
	ds_read2_b64 v[2:5], v14 offset0:100 offset1:101
	scratch_load_dwordx2 v[6:7], off, off offset:592
	scratch_load_dwordx2 v[18:19], off, off offset:600
	s_waitcnt vmcnt(0) lgkmcnt(0)
	v_mul_f64 v[20:21], v[4:5], v[18:19]
	v_mul_f64 v[22:23], v[2:3], v[18:19]
	v_fma_f64 v[20:21], v[2:3], v[6:7], -v[20:21]
	v_fmac_f64_e32 v[22:23], v[4:5], v[6:7]
	scratch_load_dwordx4 v[2:5], off, off offset:800
	s_waitcnt vmcnt(0)
	v_add_f64 v[2:3], v[2:3], -v[20:21]
	v_add_f64 v[4:5], v[4:5], -v[22:23]
	scratch_store_dwordx4 off, v[2:5], off offset:800
	ds_read2_b64 v[2:5], v14 offset0:102 offset1:103
	s_waitcnt lgkmcnt(0)
	v_mul_f64 v[20:21], v[4:5], v[18:19]
	v_mul_f64 v[22:23], v[2:3], v[18:19]
	v_fma_f64 v[20:21], v[2:3], v[6:7], -v[20:21]
	v_fmac_f64_e32 v[22:23], v[4:5], v[6:7]
	scratch_load_dwordx4 v[2:5], off, off offset:816
	s_waitcnt vmcnt(0)
	v_add_f64 v[2:3], v[2:3], -v[20:21]
	v_add_f64 v[4:5], v[4:5], -v[22:23]
	scratch_store_dwordx4 off, v[2:5], off offset:816
	ds_read2_b64 v[2:5], v14 offset0:104 offset1:105
	s_waitcnt lgkmcnt(0)
	;; [unrolled: 11-line block ×5, first 2 shown]
	v_mul_f64 v[20:21], v[4:5], v[18:19]
	v_mul_f64 v[18:19], v[2:3], v[18:19]
	v_fma_f64 v[20:21], v[2:3], v[6:7], -v[20:21]
	v_fmac_f64_e32 v[18:19], v[4:5], v[6:7]
	scratch_load_dwordx4 v[2:5], off, off offset:880
	s_waitcnt vmcnt(0)
	v_add_f64 v[2:3], v[2:3], -v[20:21]
	v_add_f64 v[4:5], v[4:5], -v[18:19]
	scratch_store_dwordx4 off, v[2:5], off offset:880
	ds_read2_b64 v[2:5], v14 offset0:112 offset1:113
	scratch_load_dwordx2 v[6:7], off, off offset:592
	scratch_load_dwordx2 v[18:19], off, off offset:600
	s_waitcnt vmcnt(0) lgkmcnt(0)
	v_mul_f64 v[20:21], v[4:5], v[18:19]
	v_mul_f64 v[22:23], v[2:3], v[18:19]
	v_fma_f64 v[20:21], v[2:3], v[6:7], -v[20:21]
	v_fmac_f64_e32 v[22:23], v[4:5], v[6:7]
	scratch_load_dwordx4 v[2:5], off, off offset:896
	s_waitcnt vmcnt(0)
	v_add_f64 v[2:3], v[2:3], -v[20:21]
	v_add_f64 v[4:5], v[4:5], -v[22:23]
	scratch_store_dwordx4 off, v[2:5], off offset:896
	ds_read2_b64 v[2:5], v14 offset0:114 offset1:115
	s_waitcnt lgkmcnt(0)
	v_mul_f64 v[20:21], v[4:5], v[18:19]
	v_mul_f64 v[22:23], v[2:3], v[18:19]
	v_fma_f64 v[20:21], v[2:3], v[6:7], -v[20:21]
	v_fmac_f64_e32 v[22:23], v[4:5], v[6:7]
	scratch_load_dwordx4 v[2:5], off, off offset:912
	s_waitcnt vmcnt(0)
	v_add_f64 v[2:3], v[2:3], -v[20:21]
	v_add_f64 v[4:5], v[4:5], -v[22:23]
	scratch_store_dwordx4 off, v[2:5], off offset:912
	ds_read2_b64 v[2:5], v14 offset0:116 offset1:117
	s_waitcnt lgkmcnt(0)
	v_mul_f64 v[20:21], v[4:5], v[18:19]
	v_mul_f64 v[22:23], v[2:3], v[18:19]
	v_fma_f64 v[20:21], v[2:3], v[6:7], -v[20:21]
	v_fmac_f64_e32 v[22:23], v[4:5], v[6:7]
	scratch_load_dwordx4 v[2:5], off, off offset:928
	s_waitcnt vmcnt(0)
	v_add_f64 v[2:3], v[2:3], -v[20:21]
	v_add_f64 v[4:5], v[4:5], -v[22:23]
	scratch_store_dwordx4 off, v[2:5], off offset:928
	ds_read2_b64 v[2:5], v14 offset0:118 offset1:119
	s_waitcnt lgkmcnt(0)
	v_mul_f64 v[20:21], v[4:5], v[18:19]
	v_mul_f64 v[22:23], v[2:3], v[18:19]
	v_fma_f64 v[20:21], v[2:3], v[6:7], -v[20:21]
	v_fmac_f64_e32 v[22:23], v[4:5], v[6:7]
	scratch_load_dwordx4 v[2:5], off, off offset:944
	s_waitcnt vmcnt(0)
	v_add_f64 v[2:3], v[2:3], -v[20:21]
	v_add_f64 v[4:5], v[4:5], -v[22:23]
	scratch_store_dwordx4 off, v[2:5], off offset:944
	ds_read2_b64 v[2:5], v14 offset0:120 offset1:121
	s_waitcnt lgkmcnt(0)
	v_mul_f64 v[20:21], v[4:5], v[18:19]
	v_mul_f64 v[22:23], v[2:3], v[18:19]
	v_fma_f64 v[20:21], v[2:3], v[6:7], -v[20:21]
	v_fmac_f64_e32 v[22:23], v[4:5], v[6:7]
	scratch_load_dwordx4 v[2:5], off, off offset:960
	s_waitcnt vmcnt(0)
	v_add_f64 v[2:3], v[2:3], -v[20:21]
	v_add_f64 v[4:5], v[4:5], -v[22:23]
	scratch_store_dwordx4 off, v[2:5], off offset:960
	ds_read2_b64 v[2:5], v14 offset0:122 offset1:123
	s_waitcnt lgkmcnt(0)
	v_mul_f64 v[20:21], v[4:5], v[18:19]
	v_mul_f64 v[18:19], v[2:3], v[18:19]
	v_fma_f64 v[20:21], v[2:3], v[6:7], -v[20:21]
	v_fmac_f64_e32 v[18:19], v[4:5], v[6:7]
	scratch_load_dwordx4 v[2:5], off, off offset:976
	s_waitcnt vmcnt(0)
	v_add_f64 v[4:5], v[4:5], -v[18:19]
	scratch_load_dwordx2 v[18:19], off, off offset:600
	v_add_f64 v[2:3], v[2:3], -v[20:21]
	scratch_store_dwordx4 off, v[2:5], off offset:976
	ds_read2_b64 v[2:5], v14 offset0:124 offset1:125
	s_waitcnt vmcnt(1) lgkmcnt(0)
	v_mul_f64 v[6:7], v[4:5], v[18:19]
	v_fma_f64 v[6:7], v[2:3], v[0:1], -v[6:7]
	v_mul_f64 v[2:3], v[2:3], v[18:19]
	scratch_load_dwordx4 v[18:21], off, off offset:992
	v_fmac_f64_e32 v[2:3], v[4:5], v[0:1]
	s_waitcnt vmcnt(0)
	v_add_f64 v[0:1], v[18:19], -v[6:7]
	v_add_f64 v[2:3], v[20:21], -v[2:3]
	scratch_store_dwordx4 off, v[0:3], off offset:992
.LBB124_907:
	s_or_b64 exec, exec, s[0:1]
	s_barrier
	scratch_load_dwordx4 v[0:3], off, s45
	v_lshl_add_u32 v4, v17, 4, v14
	s_cmp_lt_i32 s52, 40
	s_waitcnt vmcnt(0)
	ds_write2_b64 v4, v[0:1], v[2:3] offset1:1
	s_waitcnt lgkmcnt(0)
	s_barrier
	ds_read2_b64 v[0:3], v14 offset0:76 offset1:77
	v_mov_b32_e32 v4, 38
	s_cbranch_scc1 .LBB124_910
; %bb.908:
	v_add_u32_e32 v5, 0x270, v14
	s_mov_b32 s4, 39
	v_mov_b32_e32 v4, 38
.LBB124_909:                            ; =>This Inner Loop Header: Depth=1
	ds_read2_b64 v[18:21], v5 offset1:1
	s_waitcnt lgkmcnt(1)
	v_xor_b32_e32 v7, 0x80000000, v1
	v_xor_b32_e32 v23, 0x80000000, v3
	v_cmp_gt_f64_e32 vcc, 0, v[2:3]
	v_cmp_gt_f64_e64 s[0:1], 0, v[0:1]
	v_mov_b32_e32 v6, v0
	v_mov_b32_e32 v22, v2
	v_cndmask_b32_e64 v7, v1, v7, s[0:1]
	v_cndmask_b32_e32 v23, v3, v23, vcc
	v_add_f64 v[6:7], v[6:7], v[22:23]
	s_waitcnt lgkmcnt(0)
	v_xor_b32_e32 v23, 0x80000000, v19
	v_xor_b32_e32 v25, 0x80000000, v21
	v_cmp_gt_f64_e32 vcc, 0, v[20:21]
	v_cmp_gt_f64_e64 s[0:1], 0, v[18:19]
	v_mov_b32_e32 v22, v18
	v_mov_b32_e32 v24, v20
	v_cndmask_b32_e64 v23, v19, v23, s[0:1]
	v_cndmask_b32_e32 v25, v21, v25, vcc
	v_add_f64 v[22:23], v[22:23], v[24:25]
	v_mov_b32_e32 v26, s4
	s_add_i32 s4, s4, 1
	v_cmp_lt_f64_e32 vcc, v[6:7], v[22:23]
	v_add_u32_e32 v5, 16, v5
	s_cmp_lg_u32 s52, s4
	v_cndmask_b32_e32 v1, v1, v19, vcc
	v_cndmask_b32_e32 v0, v0, v18, vcc
	;; [unrolled: 1-line block ×5, first 2 shown]
	s_cbranch_scc1 .LBB124_909
.LBB124_910:
	s_waitcnt lgkmcnt(0)
	v_cmp_eq_f64_e32 vcc, 0, v[0:1]
	v_cmp_eq_f64_e64 s[0:1], 0, v[2:3]
	s_and_b64 s[0:1], vcc, s[0:1]
	s_and_saveexec_b64 s[4:5], s[0:1]
	s_xor_b64 s[0:1], exec, s[4:5]
; %bb.911:
	v_cmp_ne_u32_e32 vcc, 0, v15
	s_nop 1
	v_cndmask_b32_e32 v15, 39, v15, vcc
; %bb.912:
	s_andn2_saveexec_b64 s[0:1], s[0:1]
	s_cbranch_execz .LBB124_918
; %bb.913:
	v_cmp_ngt_f64_e64 s[4:5], |v[0:1]|, |v[2:3]|
	s_and_saveexec_b64 s[12:13], s[4:5]
	s_xor_b64 s[12:13], exec, s[12:13]
	s_cbranch_execz .LBB124_915
; %bb.914:
	v_div_scale_f64 v[6:7], s[4:5], v[2:3], v[2:3], v[0:1]
	v_rcp_f64_e32 v[18:19], v[6:7]
	v_div_scale_f64 v[20:21], vcc, v[0:1], v[2:3], v[0:1]
	v_fma_f64 v[22:23], -v[6:7], v[18:19], 1.0
	v_fmac_f64_e32 v[18:19], v[18:19], v[22:23]
	v_fma_f64 v[22:23], -v[6:7], v[18:19], 1.0
	v_fmac_f64_e32 v[18:19], v[18:19], v[22:23]
	v_mul_f64 v[22:23], v[20:21], v[18:19]
	v_fma_f64 v[6:7], -v[6:7], v[22:23], v[20:21]
	v_div_fmas_f64 v[6:7], v[6:7], v[18:19], v[22:23]
	v_div_fixup_f64 v[6:7], v[6:7], v[2:3], v[0:1]
	v_fmac_f64_e32 v[2:3], v[0:1], v[6:7]
	v_div_scale_f64 v[0:1], s[4:5], v[2:3], v[2:3], 1.0
	v_rcp_f64_e32 v[18:19], v[0:1]
	s_nop 0
	v_fma_f64 v[20:21], -v[0:1], v[18:19], 1.0
	v_fmac_f64_e32 v[18:19], v[18:19], v[20:21]
	v_fma_f64 v[20:21], -v[0:1], v[18:19], 1.0
	v_fmac_f64_e32 v[18:19], v[18:19], v[20:21]
	v_div_scale_f64 v[20:21], vcc, 1.0, v[2:3], 1.0
	v_mul_f64 v[22:23], v[20:21], v[18:19]
	v_fma_f64 v[0:1], -v[0:1], v[22:23], v[20:21]
	s_nop 1
	v_div_fmas_f64 v[0:1], v[0:1], v[18:19], v[22:23]
	v_div_fixup_f64 v[2:3], v[0:1], v[2:3], 1.0
	v_mul_f64 v[0:1], v[6:7], v[2:3]
	v_xor_b32_e32 v3, 0x80000000, v3
.LBB124_915:
	s_andn2_saveexec_b64 s[12:13], s[12:13]
	s_cbranch_execz .LBB124_917
; %bb.916:
	v_div_scale_f64 v[6:7], s[4:5], v[0:1], v[0:1], v[2:3]
	v_rcp_f64_e32 v[18:19], v[6:7]
	v_div_scale_f64 v[20:21], vcc, v[2:3], v[0:1], v[2:3]
	v_fma_f64 v[22:23], -v[6:7], v[18:19], 1.0
	v_fmac_f64_e32 v[18:19], v[18:19], v[22:23]
	v_fma_f64 v[22:23], -v[6:7], v[18:19], 1.0
	v_fmac_f64_e32 v[18:19], v[18:19], v[22:23]
	v_mul_f64 v[22:23], v[20:21], v[18:19]
	v_fma_f64 v[6:7], -v[6:7], v[22:23], v[20:21]
	v_div_fmas_f64 v[6:7], v[6:7], v[18:19], v[22:23]
	v_div_fixup_f64 v[6:7], v[6:7], v[0:1], v[2:3]
	v_fmac_f64_e32 v[0:1], v[2:3], v[6:7]
	v_div_scale_f64 v[2:3], s[4:5], v[0:1], v[0:1], 1.0
	v_rcp_f64_e32 v[18:19], v[2:3]
	s_nop 0
	v_fma_f64 v[20:21], -v[2:3], v[18:19], 1.0
	v_fmac_f64_e32 v[18:19], v[18:19], v[20:21]
	v_fma_f64 v[20:21], -v[2:3], v[18:19], 1.0
	v_fmac_f64_e32 v[18:19], v[18:19], v[20:21]
	v_div_scale_f64 v[20:21], vcc, 1.0, v[0:1], 1.0
	v_mul_f64 v[22:23], v[20:21], v[18:19]
	v_fma_f64 v[2:3], -v[2:3], v[22:23], v[20:21]
	s_nop 1
	v_div_fmas_f64 v[2:3], v[2:3], v[18:19], v[22:23]
	v_div_fixup_f64 v[0:1], v[2:3], v[0:1], 1.0
	v_mul_f64 v[2:3], v[6:7], -v[0:1]
.LBB124_917:
	s_or_b64 exec, exec, s[12:13]
.LBB124_918:
	s_or_b64 exec, exec, s[0:1]
	v_cmp_ne_u32_e32 vcc, v17, v4
	s_and_saveexec_b64 s[0:1], vcc
	s_xor_b64 s[0:1], exec, s[0:1]
	s_cbranch_execz .LBB124_924
; %bb.919:
	v_cmp_eq_u32_e32 vcc, 38, v17
	s_and_saveexec_b64 s[12:13], vcc
	s_cbranch_execz .LBB124_923
; %bb.920:
	v_cmp_ne_u32_e32 vcc, 38, v4
	s_xor_b64 s[4:5], s[18:19], -1
	s_and_b64 s[4:5], s[4:5], vcc
	s_and_saveexec_b64 s[14:15], s[4:5]
	s_cbranch_execz .LBB124_922
; %bb.921:
	v_ashrrev_i32_e32 v5, 31, v4
	v_lshl_add_u64 v[6:7], v[4:5], 2, v[10:11]
	global_load_dword v5, v[6:7], off
	global_load_dword v16, v[10:11], off offset:152
	s_waitcnt vmcnt(1)
	global_store_dword v[10:11], v5, off offset:152
	s_waitcnt vmcnt(1)
	global_store_dword v[6:7], v16, off
.LBB124_922:
	s_or_b64 exec, exec, s[14:15]
	v_mov_b32_e32 v17, v4
	v_mov_b32_e32 v16, v4
.LBB124_923:
	s_or_b64 exec, exec, s[12:13]
.LBB124_924:
	s_andn2_saveexec_b64 s[0:1], s[0:1]
	s_cbranch_execz .LBB124_926
; %bb.925:
	scratch_load_dwordx4 v[4:7], off, s44
	scratch_load_dwordx4 v[18:21], off, s43
	;; [unrolled: 1-line block ×24, first 2 shown]
	v_mov_b32_e32 v17, 38
	s_waitcnt vmcnt(23)
	ds_write2_b64 v14, v[4:5], v[6:7] offset0:78 offset1:79
	s_waitcnt vmcnt(22)
	ds_write2_b64 v14, v[18:19], v[20:21] offset0:80 offset1:81
	;; [unrolled: 2-line block ×24, first 2 shown]
.LBB124_926:
	s_or_b64 exec, exec, s[0:1]
	v_cmp_lt_i32_e32 vcc, 38, v17
	s_waitcnt lgkmcnt(0)
	s_barrier
	s_and_saveexec_b64 s[0:1], vcc
	s_cbranch_execz .LBB124_928
; %bb.927:
	scratch_load_dwordx4 v[4:7], off, off offset:608
	s_waitcnt vmcnt(0)
	v_mul_f64 v[18:19], v[2:3], v[6:7]
	v_mul_f64 v[20:21], v[0:1], v[6:7]
	v_fma_f64 v[18:19], v[0:1], v[4:5], -v[18:19]
	v_fmac_f64_e32 v[20:21], v[2:3], v[4:5]
	ds_read2_b64 v[0:3], v14 offset0:78 offset1:79
	scratch_store_dwordx4 off, v[18:21], off offset:608
	s_waitcnt lgkmcnt(0)
	v_mul_f64 v[4:5], v[2:3], v[20:21]
	v_mul_f64 v[6:7], v[0:1], v[20:21]
	v_fma_f64 v[4:5], v[0:1], v[18:19], -v[4:5]
	v_fmac_f64_e32 v[6:7], v[2:3], v[18:19]
	scratch_load_dwordx4 v[0:3], off, off offset:624
	s_waitcnt vmcnt(0)
	v_add_f64 v[0:1], v[0:1], -v[4:5]
	v_add_f64 v[2:3], v[2:3], -v[6:7]
	scratch_store_dwordx4 off, v[0:3], off offset:624
	ds_read2_b64 v[0:3], v14 offset0:80 offset1:81
	s_waitcnt lgkmcnt(0)
	v_mul_f64 v[4:5], v[2:3], v[20:21]
	v_mul_f64 v[6:7], v[0:1], v[20:21]
	v_fma_f64 v[4:5], v[0:1], v[18:19], -v[4:5]
	v_fmac_f64_e32 v[6:7], v[2:3], v[18:19]
	scratch_load_dwordx4 v[0:3], off, off offset:640
	s_waitcnt vmcnt(0)
	v_add_f64 v[0:1], v[0:1], -v[4:5]
	v_add_f64 v[2:3], v[2:3], -v[6:7]
	scratch_store_dwordx4 off, v[0:3], off offset:640
	ds_read2_b64 v[0:3], v14 offset0:82 offset1:83
	;; [unrolled: 11-line block ×6, first 2 shown]
	scratch_load_dwordx2 v[18:19], off, off offset:608
	scratch_load_dwordx4 v[0:3], off, off offset:608
	s_waitcnt vmcnt(0) lgkmcnt(0)
	v_mul_f64 v[20:21], v[6:7], v[2:3]
	v_mul_f64 v[22:23], v[4:5], v[2:3]
	v_fma_f64 v[20:21], v[4:5], v[18:19], -v[20:21]
	v_fmac_f64_e32 v[22:23], v[6:7], v[18:19]
	scratch_load_dwordx4 v[4:7], off, off offset:720
	s_waitcnt vmcnt(0)
	v_add_f64 v[4:5], v[4:5], -v[20:21]
	v_add_f64 v[6:7], v[6:7], -v[22:23]
	scratch_store_dwordx4 off, v[4:7], off offset:720
	ds_read2_b64 v[4:7], v14 offset0:92 offset1:93
	s_waitcnt lgkmcnt(0)
	v_mul_f64 v[20:21], v[6:7], v[2:3]
	v_mul_f64 v[22:23], v[4:5], v[2:3]
	v_fma_f64 v[20:21], v[4:5], v[18:19], -v[20:21]
	v_fmac_f64_e32 v[22:23], v[6:7], v[18:19]
	scratch_load_dwordx4 v[4:7], off, off offset:736
	s_waitcnt vmcnt(0)
	v_add_f64 v[4:5], v[4:5], -v[20:21]
	v_add_f64 v[6:7], v[6:7], -v[22:23]
	scratch_store_dwordx4 off, v[4:7], off offset:736
	ds_read2_b64 v[4:7], v14 offset0:94 offset1:95
	s_waitcnt lgkmcnt(0)
	;; [unrolled: 11-line block ×5, first 2 shown]
	v_mul_f64 v[20:21], v[6:7], v[2:3]
	v_fma_f64 v[20:21], v[4:5], v[18:19], -v[20:21]
	v_mul_f64 v[22:23], v[4:5], v[2:3]
	scratch_load_dwordx4 v[2:5], off, off offset:800
	v_fmac_f64_e32 v[22:23], v[6:7], v[18:19]
	s_waitcnt vmcnt(0)
	v_add_f64 v[2:3], v[2:3], -v[20:21]
	v_add_f64 v[4:5], v[4:5], -v[22:23]
	scratch_store_dwordx4 off, v[2:5], off offset:800
	ds_read2_b64 v[18:21], v14 offset0:102 offset1:103
	scratch_load_dwordx2 v[2:3], off, off offset:608
	scratch_load_dwordx2 v[4:5], off, off offset:616
	s_waitcnt vmcnt(0) lgkmcnt(0)
	v_mul_f64 v[6:7], v[20:21], v[4:5]
	v_mul_f64 v[22:23], v[18:19], v[4:5]
	v_fma_f64 v[6:7], v[18:19], v[2:3], -v[6:7]
	v_fmac_f64_e32 v[22:23], v[20:21], v[2:3]
	scratch_load_dwordx4 v[18:21], off, off offset:816
	s_waitcnt vmcnt(0)
	v_add_f64 v[18:19], v[18:19], -v[6:7]
	v_add_f64 v[20:21], v[20:21], -v[22:23]
	scratch_store_dwordx4 off, v[18:21], off offset:816
	ds_read2_b64 v[18:21], v14 offset0:104 offset1:105
	s_waitcnt lgkmcnt(0)
	v_mul_f64 v[6:7], v[20:21], v[4:5]
	v_mul_f64 v[22:23], v[18:19], v[4:5]
	v_fma_f64 v[6:7], v[18:19], v[2:3], -v[6:7]
	v_fmac_f64_e32 v[22:23], v[20:21], v[2:3]
	scratch_load_dwordx4 v[18:21], off, off offset:832
	s_waitcnt vmcnt(0)
	v_add_f64 v[18:19], v[18:19], -v[6:7]
	v_add_f64 v[20:21], v[20:21], -v[22:23]
	scratch_store_dwordx4 off, v[18:21], off offset:832
	ds_read2_b64 v[18:21], v14 offset0:106 offset1:107
	s_waitcnt lgkmcnt(0)
	;; [unrolled: 11-line block ×5, first 2 shown]
	v_mul_f64 v[6:7], v[20:21], v[4:5]
	v_fma_f64 v[6:7], v[18:19], v[2:3], -v[6:7]
	v_mul_f64 v[18:19], v[18:19], v[4:5]
	v_fmac_f64_e32 v[18:19], v[20:21], v[2:3]
	scratch_load_dwordx4 v[2:5], off, off offset:896
	s_waitcnt vmcnt(0)
	v_add_f64 v[2:3], v[2:3], -v[6:7]
	scratch_load_dwordx2 v[6:7], off, off offset:616
	v_add_f64 v[4:5], v[4:5], -v[18:19]
	scratch_store_dwordx4 off, v[2:5], off offset:896
	ds_read2_b64 v[2:5], v14 offset0:114 offset1:115
	s_waitcnt vmcnt(1) lgkmcnt(0)
	v_mul_f64 v[18:19], v[4:5], v[6:7]
	v_mul_f64 v[20:21], v[2:3], v[6:7]
	v_fma_f64 v[18:19], v[2:3], v[0:1], -v[18:19]
	v_fmac_f64_e32 v[20:21], v[4:5], v[0:1]
	scratch_load_dwordx4 v[2:5], off, off offset:912
	s_waitcnt vmcnt(0)
	v_add_f64 v[2:3], v[2:3], -v[18:19]
	v_add_f64 v[4:5], v[4:5], -v[20:21]
	scratch_store_dwordx4 off, v[2:5], off offset:912
	ds_read2_b64 v[2:5], v14 offset0:116 offset1:117
	s_waitcnt lgkmcnt(0)
	v_mul_f64 v[18:19], v[4:5], v[6:7]
	v_mul_f64 v[20:21], v[2:3], v[6:7]
	v_fma_f64 v[18:19], v[2:3], v[0:1], -v[18:19]
	v_fmac_f64_e32 v[20:21], v[4:5], v[0:1]
	scratch_load_dwordx4 v[2:5], off, off offset:928
	s_waitcnt vmcnt(0)
	v_add_f64 v[2:3], v[2:3], -v[18:19]
	v_add_f64 v[4:5], v[4:5], -v[20:21]
	scratch_store_dwordx4 off, v[2:5], off offset:928
	ds_read2_b64 v[2:5], v14 offset0:118 offset1:119
	s_waitcnt lgkmcnt(0)
	;; [unrolled: 11-line block ×5, first 2 shown]
	v_mul_f64 v[18:19], v[4:5], v[6:7]
	v_mul_f64 v[6:7], v[2:3], v[6:7]
	v_fma_f64 v[18:19], v[2:3], v[0:1], -v[18:19]
	v_fmac_f64_e32 v[6:7], v[4:5], v[0:1]
	scratch_load_dwordx4 v[0:3], off, off offset:992
	s_waitcnt vmcnt(0)
	v_add_f64 v[0:1], v[0:1], -v[18:19]
	v_add_f64 v[2:3], v[2:3], -v[6:7]
	scratch_store_dwordx4 off, v[0:3], off offset:992
.LBB124_928:
	s_or_b64 exec, exec, s[0:1]
	s_barrier
	scratch_load_dwordx4 v[0:3], off, s44
	v_lshl_add_u32 v4, v17, 4, v14
	s_cmp_lt_i32 s52, 41
	s_waitcnt vmcnt(0)
	ds_write2_b64 v4, v[0:1], v[2:3] offset1:1
	s_waitcnt lgkmcnt(0)
	s_barrier
	ds_read2_b64 v[0:3], v14 offset0:78 offset1:79
	v_mov_b32_e32 v4, 39
	s_cbranch_scc1 .LBB124_931
; %bb.929:
	v_add_u32_e32 v5, 0x280, v14
	s_mov_b32 s4, 40
	v_mov_b32_e32 v4, 39
.LBB124_930:                            ; =>This Inner Loop Header: Depth=1
	ds_read2_b64 v[18:21], v5 offset1:1
	s_waitcnt lgkmcnt(1)
	v_xor_b32_e32 v7, 0x80000000, v1
	v_xor_b32_e32 v23, 0x80000000, v3
	v_cmp_gt_f64_e32 vcc, 0, v[2:3]
	v_cmp_gt_f64_e64 s[0:1], 0, v[0:1]
	v_mov_b32_e32 v6, v0
	v_mov_b32_e32 v22, v2
	v_cndmask_b32_e64 v7, v1, v7, s[0:1]
	v_cndmask_b32_e32 v23, v3, v23, vcc
	v_add_f64 v[6:7], v[6:7], v[22:23]
	s_waitcnt lgkmcnt(0)
	v_xor_b32_e32 v23, 0x80000000, v19
	v_xor_b32_e32 v25, 0x80000000, v21
	v_cmp_gt_f64_e32 vcc, 0, v[20:21]
	v_cmp_gt_f64_e64 s[0:1], 0, v[18:19]
	v_mov_b32_e32 v22, v18
	v_mov_b32_e32 v24, v20
	v_cndmask_b32_e64 v23, v19, v23, s[0:1]
	v_cndmask_b32_e32 v25, v21, v25, vcc
	v_add_f64 v[22:23], v[22:23], v[24:25]
	v_mov_b32_e32 v26, s4
	s_add_i32 s4, s4, 1
	v_cmp_lt_f64_e32 vcc, v[6:7], v[22:23]
	v_add_u32_e32 v5, 16, v5
	s_cmp_lg_u32 s52, s4
	v_cndmask_b32_e32 v1, v1, v19, vcc
	v_cndmask_b32_e32 v0, v0, v18, vcc
	;; [unrolled: 1-line block ×5, first 2 shown]
	s_cbranch_scc1 .LBB124_930
.LBB124_931:
	s_waitcnt lgkmcnt(0)
	v_cmp_eq_f64_e32 vcc, 0, v[0:1]
	v_cmp_eq_f64_e64 s[0:1], 0, v[2:3]
	s_and_b64 s[0:1], vcc, s[0:1]
	s_and_saveexec_b64 s[4:5], s[0:1]
	s_xor_b64 s[0:1], exec, s[4:5]
; %bb.932:
	v_cmp_ne_u32_e32 vcc, 0, v15
	s_nop 1
	v_cndmask_b32_e32 v15, 40, v15, vcc
; %bb.933:
	s_andn2_saveexec_b64 s[0:1], s[0:1]
	s_cbranch_execz .LBB124_939
; %bb.934:
	v_cmp_ngt_f64_e64 s[4:5], |v[0:1]|, |v[2:3]|
	s_and_saveexec_b64 s[12:13], s[4:5]
	s_xor_b64 s[12:13], exec, s[12:13]
	s_cbranch_execz .LBB124_936
; %bb.935:
	v_div_scale_f64 v[6:7], s[4:5], v[2:3], v[2:3], v[0:1]
	v_rcp_f64_e32 v[18:19], v[6:7]
	v_div_scale_f64 v[20:21], vcc, v[0:1], v[2:3], v[0:1]
	v_fma_f64 v[22:23], -v[6:7], v[18:19], 1.0
	v_fmac_f64_e32 v[18:19], v[18:19], v[22:23]
	v_fma_f64 v[22:23], -v[6:7], v[18:19], 1.0
	v_fmac_f64_e32 v[18:19], v[18:19], v[22:23]
	v_mul_f64 v[22:23], v[20:21], v[18:19]
	v_fma_f64 v[6:7], -v[6:7], v[22:23], v[20:21]
	v_div_fmas_f64 v[6:7], v[6:7], v[18:19], v[22:23]
	v_div_fixup_f64 v[6:7], v[6:7], v[2:3], v[0:1]
	v_fmac_f64_e32 v[2:3], v[0:1], v[6:7]
	v_div_scale_f64 v[0:1], s[4:5], v[2:3], v[2:3], 1.0
	v_rcp_f64_e32 v[18:19], v[0:1]
	s_nop 0
	v_fma_f64 v[20:21], -v[0:1], v[18:19], 1.0
	v_fmac_f64_e32 v[18:19], v[18:19], v[20:21]
	v_fma_f64 v[20:21], -v[0:1], v[18:19], 1.0
	v_fmac_f64_e32 v[18:19], v[18:19], v[20:21]
	v_div_scale_f64 v[20:21], vcc, 1.0, v[2:3], 1.0
	v_mul_f64 v[22:23], v[20:21], v[18:19]
	v_fma_f64 v[0:1], -v[0:1], v[22:23], v[20:21]
	s_nop 1
	v_div_fmas_f64 v[0:1], v[0:1], v[18:19], v[22:23]
	v_div_fixup_f64 v[2:3], v[0:1], v[2:3], 1.0
	v_mul_f64 v[0:1], v[6:7], v[2:3]
	v_xor_b32_e32 v3, 0x80000000, v3
.LBB124_936:
	s_andn2_saveexec_b64 s[12:13], s[12:13]
	s_cbranch_execz .LBB124_938
; %bb.937:
	v_div_scale_f64 v[6:7], s[4:5], v[0:1], v[0:1], v[2:3]
	v_rcp_f64_e32 v[18:19], v[6:7]
	v_div_scale_f64 v[20:21], vcc, v[2:3], v[0:1], v[2:3]
	v_fma_f64 v[22:23], -v[6:7], v[18:19], 1.0
	v_fmac_f64_e32 v[18:19], v[18:19], v[22:23]
	v_fma_f64 v[22:23], -v[6:7], v[18:19], 1.0
	v_fmac_f64_e32 v[18:19], v[18:19], v[22:23]
	v_mul_f64 v[22:23], v[20:21], v[18:19]
	v_fma_f64 v[6:7], -v[6:7], v[22:23], v[20:21]
	v_div_fmas_f64 v[6:7], v[6:7], v[18:19], v[22:23]
	v_div_fixup_f64 v[6:7], v[6:7], v[0:1], v[2:3]
	v_fmac_f64_e32 v[0:1], v[2:3], v[6:7]
	v_div_scale_f64 v[2:3], s[4:5], v[0:1], v[0:1], 1.0
	v_rcp_f64_e32 v[18:19], v[2:3]
	s_nop 0
	v_fma_f64 v[20:21], -v[2:3], v[18:19], 1.0
	v_fmac_f64_e32 v[18:19], v[18:19], v[20:21]
	v_fma_f64 v[20:21], -v[2:3], v[18:19], 1.0
	v_fmac_f64_e32 v[18:19], v[18:19], v[20:21]
	v_div_scale_f64 v[20:21], vcc, 1.0, v[0:1], 1.0
	v_mul_f64 v[22:23], v[20:21], v[18:19]
	v_fma_f64 v[2:3], -v[2:3], v[22:23], v[20:21]
	s_nop 1
	v_div_fmas_f64 v[2:3], v[2:3], v[18:19], v[22:23]
	v_div_fixup_f64 v[0:1], v[2:3], v[0:1], 1.0
	v_mul_f64 v[2:3], v[6:7], -v[0:1]
.LBB124_938:
	s_or_b64 exec, exec, s[12:13]
.LBB124_939:
	s_or_b64 exec, exec, s[0:1]
	v_cmp_ne_u32_e32 vcc, v17, v4
	s_and_saveexec_b64 s[0:1], vcc
	s_xor_b64 s[0:1], exec, s[0:1]
	s_cbranch_execz .LBB124_945
; %bb.940:
	v_cmp_eq_u32_e32 vcc, 39, v17
	s_and_saveexec_b64 s[12:13], vcc
	s_cbranch_execz .LBB124_944
; %bb.941:
	v_cmp_ne_u32_e32 vcc, 39, v4
	s_xor_b64 s[4:5], s[18:19], -1
	s_and_b64 s[4:5], s[4:5], vcc
	s_and_saveexec_b64 s[14:15], s[4:5]
	s_cbranch_execz .LBB124_943
; %bb.942:
	v_ashrrev_i32_e32 v5, 31, v4
	v_lshl_add_u64 v[6:7], v[4:5], 2, v[10:11]
	global_load_dword v5, v[6:7], off
	global_load_dword v16, v[10:11], off offset:156
	s_waitcnt vmcnt(1)
	global_store_dword v[10:11], v5, off offset:156
	s_waitcnt vmcnt(1)
	global_store_dword v[6:7], v16, off
.LBB124_943:
	s_or_b64 exec, exec, s[14:15]
	v_mov_b32_e32 v17, v4
	v_mov_b32_e32 v16, v4
.LBB124_944:
	s_or_b64 exec, exec, s[12:13]
.LBB124_945:
	s_andn2_saveexec_b64 s[0:1], s[0:1]
	s_cbranch_execz .LBB124_947
; %bb.946:
	scratch_load_dwordx4 v[4:7], off, s43
	scratch_load_dwordx4 v[18:21], off, s42
	;; [unrolled: 1-line block ×23, first 2 shown]
	v_mov_b32_e32 v17, 39
	s_waitcnt vmcnt(22)
	ds_write2_b64 v14, v[4:5], v[6:7] offset0:80 offset1:81
	s_waitcnt vmcnt(21)
	ds_write2_b64 v14, v[18:19], v[20:21] offset0:82 offset1:83
	;; [unrolled: 2-line block ×23, first 2 shown]
.LBB124_947:
	s_or_b64 exec, exec, s[0:1]
	v_cmp_lt_i32_e32 vcc, 39, v17
	s_waitcnt lgkmcnt(0)
	s_barrier
	s_and_saveexec_b64 s[0:1], vcc
	s_cbranch_execz .LBB124_949
; %bb.948:
	scratch_load_dwordx4 v[4:7], off, off offset:624
	s_waitcnt vmcnt(0)
	v_mul_f64 v[18:19], v[2:3], v[6:7]
	v_mul_f64 v[20:21], v[0:1], v[6:7]
	v_fma_f64 v[18:19], v[0:1], v[4:5], -v[18:19]
	v_fmac_f64_e32 v[20:21], v[2:3], v[4:5]
	ds_read2_b64 v[0:3], v14 offset0:80 offset1:81
	scratch_store_dwordx4 off, v[18:21], off offset:624
	s_waitcnt lgkmcnt(0)
	v_mul_f64 v[4:5], v[2:3], v[20:21]
	v_mul_f64 v[6:7], v[0:1], v[20:21]
	v_fma_f64 v[4:5], v[0:1], v[18:19], -v[4:5]
	v_fmac_f64_e32 v[6:7], v[2:3], v[18:19]
	scratch_load_dwordx4 v[0:3], off, off offset:640
	s_waitcnt vmcnt(0)
	v_add_f64 v[0:1], v[0:1], -v[4:5]
	v_add_f64 v[2:3], v[2:3], -v[6:7]
	scratch_store_dwordx4 off, v[0:3], off offset:640
	ds_read2_b64 v[0:3], v14 offset0:82 offset1:83
	s_waitcnt lgkmcnt(0)
	v_mul_f64 v[4:5], v[2:3], v[20:21]
	v_mul_f64 v[6:7], v[0:1], v[20:21]
	v_fma_f64 v[4:5], v[0:1], v[18:19], -v[4:5]
	v_fmac_f64_e32 v[6:7], v[2:3], v[18:19]
	scratch_load_dwordx4 v[0:3], off, off offset:656
	s_waitcnt vmcnt(0)
	v_add_f64 v[0:1], v[0:1], -v[4:5]
	v_add_f64 v[2:3], v[2:3], -v[6:7]
	scratch_store_dwordx4 off, v[0:3], off offset:656
	ds_read2_b64 v[0:3], v14 offset0:84 offset1:85
	;; [unrolled: 11-line block ×6, first 2 shown]
	scratch_load_dwordx2 v[18:19], off, off offset:624
	scratch_load_dwordx4 v[0:3], off, off offset:624
	s_waitcnt vmcnt(0) lgkmcnt(0)
	v_mul_f64 v[20:21], v[6:7], v[2:3]
	v_mul_f64 v[22:23], v[4:5], v[2:3]
	v_fma_f64 v[20:21], v[4:5], v[18:19], -v[20:21]
	v_fmac_f64_e32 v[22:23], v[6:7], v[18:19]
	scratch_load_dwordx4 v[4:7], off, off offset:736
	s_waitcnt vmcnt(0)
	v_add_f64 v[4:5], v[4:5], -v[20:21]
	v_add_f64 v[6:7], v[6:7], -v[22:23]
	scratch_store_dwordx4 off, v[4:7], off offset:736
	ds_read2_b64 v[4:7], v14 offset0:94 offset1:95
	s_waitcnt lgkmcnt(0)
	v_mul_f64 v[20:21], v[6:7], v[2:3]
	v_mul_f64 v[22:23], v[4:5], v[2:3]
	v_fma_f64 v[20:21], v[4:5], v[18:19], -v[20:21]
	v_fmac_f64_e32 v[22:23], v[6:7], v[18:19]
	scratch_load_dwordx4 v[4:7], off, off offset:752
	s_waitcnt vmcnt(0)
	v_add_f64 v[4:5], v[4:5], -v[20:21]
	v_add_f64 v[6:7], v[6:7], -v[22:23]
	scratch_store_dwordx4 off, v[4:7], off offset:752
	ds_read2_b64 v[4:7], v14 offset0:96 offset1:97
	s_waitcnt lgkmcnt(0)
	;; [unrolled: 11-line block ×5, first 2 shown]
	v_mul_f64 v[20:21], v[6:7], v[2:3]
	v_fma_f64 v[20:21], v[4:5], v[18:19], -v[20:21]
	v_mul_f64 v[22:23], v[4:5], v[2:3]
	scratch_load_dwordx4 v[2:5], off, off offset:816
	v_fmac_f64_e32 v[22:23], v[6:7], v[18:19]
	s_waitcnt vmcnt(0)
	v_add_f64 v[2:3], v[2:3], -v[20:21]
	v_add_f64 v[4:5], v[4:5], -v[22:23]
	scratch_store_dwordx4 off, v[2:5], off offset:816
	ds_read2_b64 v[18:21], v14 offset0:104 offset1:105
	scratch_load_dwordx2 v[2:3], off, off offset:624
	scratch_load_dwordx2 v[4:5], off, off offset:632
	s_waitcnt vmcnt(0) lgkmcnt(0)
	v_mul_f64 v[6:7], v[20:21], v[4:5]
	v_mul_f64 v[22:23], v[18:19], v[4:5]
	v_fma_f64 v[6:7], v[18:19], v[2:3], -v[6:7]
	v_fmac_f64_e32 v[22:23], v[20:21], v[2:3]
	scratch_load_dwordx4 v[18:21], off, off offset:832
	s_waitcnt vmcnt(0)
	v_add_f64 v[18:19], v[18:19], -v[6:7]
	v_add_f64 v[20:21], v[20:21], -v[22:23]
	scratch_store_dwordx4 off, v[18:21], off offset:832
	ds_read2_b64 v[18:21], v14 offset0:106 offset1:107
	s_waitcnt lgkmcnt(0)
	v_mul_f64 v[6:7], v[20:21], v[4:5]
	v_mul_f64 v[22:23], v[18:19], v[4:5]
	v_fma_f64 v[6:7], v[18:19], v[2:3], -v[6:7]
	v_fmac_f64_e32 v[22:23], v[20:21], v[2:3]
	scratch_load_dwordx4 v[18:21], off, off offset:848
	s_waitcnt vmcnt(0)
	v_add_f64 v[18:19], v[18:19], -v[6:7]
	v_add_f64 v[20:21], v[20:21], -v[22:23]
	scratch_store_dwordx4 off, v[18:21], off offset:848
	ds_read2_b64 v[18:21], v14 offset0:108 offset1:109
	s_waitcnt lgkmcnt(0)
	;; [unrolled: 11-line block ×5, first 2 shown]
	v_mul_f64 v[6:7], v[20:21], v[4:5]
	v_fma_f64 v[6:7], v[18:19], v[2:3], -v[6:7]
	v_mul_f64 v[18:19], v[18:19], v[4:5]
	v_fmac_f64_e32 v[18:19], v[20:21], v[2:3]
	scratch_load_dwordx4 v[2:5], off, off offset:912
	s_waitcnt vmcnt(0)
	v_add_f64 v[2:3], v[2:3], -v[6:7]
	scratch_load_dwordx2 v[6:7], off, off offset:632
	v_add_f64 v[4:5], v[4:5], -v[18:19]
	scratch_store_dwordx4 off, v[2:5], off offset:912
	ds_read2_b64 v[2:5], v14 offset0:116 offset1:117
	s_waitcnt vmcnt(1) lgkmcnt(0)
	v_mul_f64 v[18:19], v[4:5], v[6:7]
	v_mul_f64 v[20:21], v[2:3], v[6:7]
	v_fma_f64 v[18:19], v[2:3], v[0:1], -v[18:19]
	v_fmac_f64_e32 v[20:21], v[4:5], v[0:1]
	scratch_load_dwordx4 v[2:5], off, off offset:928
	s_waitcnt vmcnt(0)
	v_add_f64 v[2:3], v[2:3], -v[18:19]
	v_add_f64 v[4:5], v[4:5], -v[20:21]
	scratch_store_dwordx4 off, v[2:5], off offset:928
	ds_read2_b64 v[2:5], v14 offset0:118 offset1:119
	s_waitcnt lgkmcnt(0)
	v_mul_f64 v[18:19], v[4:5], v[6:7]
	v_mul_f64 v[20:21], v[2:3], v[6:7]
	v_fma_f64 v[18:19], v[2:3], v[0:1], -v[18:19]
	v_fmac_f64_e32 v[20:21], v[4:5], v[0:1]
	scratch_load_dwordx4 v[2:5], off, off offset:944
	s_waitcnt vmcnt(0)
	v_add_f64 v[2:3], v[2:3], -v[18:19]
	v_add_f64 v[4:5], v[4:5], -v[20:21]
	scratch_store_dwordx4 off, v[2:5], off offset:944
	ds_read2_b64 v[2:5], v14 offset0:120 offset1:121
	s_waitcnt lgkmcnt(0)
	;; [unrolled: 11-line block ×4, first 2 shown]
	v_mul_f64 v[18:19], v[4:5], v[6:7]
	v_mul_f64 v[6:7], v[2:3], v[6:7]
	v_fma_f64 v[18:19], v[2:3], v[0:1], -v[18:19]
	v_fmac_f64_e32 v[6:7], v[4:5], v[0:1]
	scratch_load_dwordx4 v[0:3], off, off offset:992
	s_waitcnt vmcnt(0)
	v_add_f64 v[0:1], v[0:1], -v[18:19]
	v_add_f64 v[2:3], v[2:3], -v[6:7]
	scratch_store_dwordx4 off, v[0:3], off offset:992
.LBB124_949:
	s_or_b64 exec, exec, s[0:1]
	s_barrier
	scratch_load_dwordx4 v[0:3], off, s43
	v_lshl_add_u32 v4, v17, 4, v14
	s_cmp_lt_i32 s52, 42
	s_waitcnt vmcnt(0)
	ds_write2_b64 v4, v[0:1], v[2:3] offset1:1
	s_waitcnt lgkmcnt(0)
	s_barrier
	ds_read2_b64 v[0:3], v14 offset0:80 offset1:81
	v_mov_b32_e32 v4, 40
	s_cbranch_scc1 .LBB124_952
; %bb.950:
	v_add_u32_e32 v5, 0x290, v14
	s_mov_b32 s4, 41
	v_mov_b32_e32 v4, 40
.LBB124_951:                            ; =>This Inner Loop Header: Depth=1
	ds_read2_b64 v[18:21], v5 offset1:1
	s_waitcnt lgkmcnt(1)
	v_xor_b32_e32 v7, 0x80000000, v1
	v_xor_b32_e32 v23, 0x80000000, v3
	v_cmp_gt_f64_e32 vcc, 0, v[2:3]
	v_cmp_gt_f64_e64 s[0:1], 0, v[0:1]
	v_mov_b32_e32 v6, v0
	v_mov_b32_e32 v22, v2
	v_cndmask_b32_e64 v7, v1, v7, s[0:1]
	v_cndmask_b32_e32 v23, v3, v23, vcc
	v_add_f64 v[6:7], v[6:7], v[22:23]
	s_waitcnt lgkmcnt(0)
	v_xor_b32_e32 v23, 0x80000000, v19
	v_xor_b32_e32 v25, 0x80000000, v21
	v_cmp_gt_f64_e32 vcc, 0, v[20:21]
	v_cmp_gt_f64_e64 s[0:1], 0, v[18:19]
	v_mov_b32_e32 v22, v18
	v_mov_b32_e32 v24, v20
	v_cndmask_b32_e64 v23, v19, v23, s[0:1]
	v_cndmask_b32_e32 v25, v21, v25, vcc
	v_add_f64 v[22:23], v[22:23], v[24:25]
	v_mov_b32_e32 v26, s4
	s_add_i32 s4, s4, 1
	v_cmp_lt_f64_e32 vcc, v[6:7], v[22:23]
	v_add_u32_e32 v5, 16, v5
	s_cmp_lg_u32 s52, s4
	v_cndmask_b32_e32 v1, v1, v19, vcc
	v_cndmask_b32_e32 v0, v0, v18, vcc
	;; [unrolled: 1-line block ×5, first 2 shown]
	s_cbranch_scc1 .LBB124_951
.LBB124_952:
	s_waitcnt lgkmcnt(0)
	v_cmp_eq_f64_e32 vcc, 0, v[0:1]
	v_cmp_eq_f64_e64 s[0:1], 0, v[2:3]
	s_and_b64 s[0:1], vcc, s[0:1]
	s_and_saveexec_b64 s[4:5], s[0:1]
	s_xor_b64 s[0:1], exec, s[4:5]
; %bb.953:
	v_cmp_ne_u32_e32 vcc, 0, v15
	s_nop 1
	v_cndmask_b32_e32 v15, 41, v15, vcc
; %bb.954:
	s_andn2_saveexec_b64 s[0:1], s[0:1]
	s_cbranch_execz .LBB124_960
; %bb.955:
	v_cmp_ngt_f64_e64 s[4:5], |v[0:1]|, |v[2:3]|
	s_and_saveexec_b64 s[12:13], s[4:5]
	s_xor_b64 s[12:13], exec, s[12:13]
	s_cbranch_execz .LBB124_957
; %bb.956:
	v_div_scale_f64 v[6:7], s[4:5], v[2:3], v[2:3], v[0:1]
	v_rcp_f64_e32 v[18:19], v[6:7]
	v_div_scale_f64 v[20:21], vcc, v[0:1], v[2:3], v[0:1]
	v_fma_f64 v[22:23], -v[6:7], v[18:19], 1.0
	v_fmac_f64_e32 v[18:19], v[18:19], v[22:23]
	v_fma_f64 v[22:23], -v[6:7], v[18:19], 1.0
	v_fmac_f64_e32 v[18:19], v[18:19], v[22:23]
	v_mul_f64 v[22:23], v[20:21], v[18:19]
	v_fma_f64 v[6:7], -v[6:7], v[22:23], v[20:21]
	v_div_fmas_f64 v[6:7], v[6:7], v[18:19], v[22:23]
	v_div_fixup_f64 v[6:7], v[6:7], v[2:3], v[0:1]
	v_fmac_f64_e32 v[2:3], v[0:1], v[6:7]
	v_div_scale_f64 v[0:1], s[4:5], v[2:3], v[2:3], 1.0
	v_rcp_f64_e32 v[18:19], v[0:1]
	s_nop 0
	v_fma_f64 v[20:21], -v[0:1], v[18:19], 1.0
	v_fmac_f64_e32 v[18:19], v[18:19], v[20:21]
	v_fma_f64 v[20:21], -v[0:1], v[18:19], 1.0
	v_fmac_f64_e32 v[18:19], v[18:19], v[20:21]
	v_div_scale_f64 v[20:21], vcc, 1.0, v[2:3], 1.0
	v_mul_f64 v[22:23], v[20:21], v[18:19]
	v_fma_f64 v[0:1], -v[0:1], v[22:23], v[20:21]
	s_nop 1
	v_div_fmas_f64 v[0:1], v[0:1], v[18:19], v[22:23]
	v_div_fixup_f64 v[2:3], v[0:1], v[2:3], 1.0
	v_mul_f64 v[0:1], v[6:7], v[2:3]
	v_xor_b32_e32 v3, 0x80000000, v3
.LBB124_957:
	s_andn2_saveexec_b64 s[12:13], s[12:13]
	s_cbranch_execz .LBB124_959
; %bb.958:
	v_div_scale_f64 v[6:7], s[4:5], v[0:1], v[0:1], v[2:3]
	v_rcp_f64_e32 v[18:19], v[6:7]
	v_div_scale_f64 v[20:21], vcc, v[2:3], v[0:1], v[2:3]
	v_fma_f64 v[22:23], -v[6:7], v[18:19], 1.0
	v_fmac_f64_e32 v[18:19], v[18:19], v[22:23]
	v_fma_f64 v[22:23], -v[6:7], v[18:19], 1.0
	v_fmac_f64_e32 v[18:19], v[18:19], v[22:23]
	v_mul_f64 v[22:23], v[20:21], v[18:19]
	v_fma_f64 v[6:7], -v[6:7], v[22:23], v[20:21]
	v_div_fmas_f64 v[6:7], v[6:7], v[18:19], v[22:23]
	v_div_fixup_f64 v[6:7], v[6:7], v[0:1], v[2:3]
	v_fmac_f64_e32 v[0:1], v[2:3], v[6:7]
	v_div_scale_f64 v[2:3], s[4:5], v[0:1], v[0:1], 1.0
	v_rcp_f64_e32 v[18:19], v[2:3]
	s_nop 0
	v_fma_f64 v[20:21], -v[2:3], v[18:19], 1.0
	v_fmac_f64_e32 v[18:19], v[18:19], v[20:21]
	v_fma_f64 v[20:21], -v[2:3], v[18:19], 1.0
	v_fmac_f64_e32 v[18:19], v[18:19], v[20:21]
	v_div_scale_f64 v[20:21], vcc, 1.0, v[0:1], 1.0
	v_mul_f64 v[22:23], v[20:21], v[18:19]
	v_fma_f64 v[2:3], -v[2:3], v[22:23], v[20:21]
	s_nop 1
	v_div_fmas_f64 v[2:3], v[2:3], v[18:19], v[22:23]
	v_div_fixup_f64 v[0:1], v[2:3], v[0:1], 1.0
	v_mul_f64 v[2:3], v[6:7], -v[0:1]
.LBB124_959:
	s_or_b64 exec, exec, s[12:13]
.LBB124_960:
	s_or_b64 exec, exec, s[0:1]
	v_cmp_ne_u32_e32 vcc, v17, v4
	s_and_saveexec_b64 s[0:1], vcc
	s_xor_b64 s[0:1], exec, s[0:1]
	s_cbranch_execz .LBB124_966
; %bb.961:
	v_cmp_eq_u32_e32 vcc, 40, v17
	s_and_saveexec_b64 s[12:13], vcc
	s_cbranch_execz .LBB124_965
; %bb.962:
	v_cmp_ne_u32_e32 vcc, 40, v4
	s_xor_b64 s[4:5], s[18:19], -1
	s_and_b64 s[4:5], s[4:5], vcc
	s_and_saveexec_b64 s[14:15], s[4:5]
	s_cbranch_execz .LBB124_964
; %bb.963:
	v_ashrrev_i32_e32 v5, 31, v4
	v_lshl_add_u64 v[6:7], v[4:5], 2, v[10:11]
	global_load_dword v5, v[6:7], off
	global_load_dword v16, v[10:11], off offset:160
	s_waitcnt vmcnt(1)
	global_store_dword v[10:11], v5, off offset:160
	s_waitcnt vmcnt(1)
	global_store_dword v[6:7], v16, off
.LBB124_964:
	s_or_b64 exec, exec, s[14:15]
	v_mov_b32_e32 v17, v4
	v_mov_b32_e32 v16, v4
.LBB124_965:
	s_or_b64 exec, exec, s[12:13]
.LBB124_966:
	s_andn2_saveexec_b64 s[0:1], s[0:1]
	s_cbranch_execz .LBB124_968
; %bb.967:
	scratch_load_dwordx4 v[4:7], off, s42
	scratch_load_dwordx4 v[18:21], off, s41
	;; [unrolled: 1-line block ×22, first 2 shown]
	v_mov_b32_e32 v17, 40
	s_waitcnt vmcnt(21)
	ds_write2_b64 v14, v[4:5], v[6:7] offset0:82 offset1:83
	s_waitcnt vmcnt(20)
	ds_write2_b64 v14, v[18:19], v[20:21] offset0:84 offset1:85
	;; [unrolled: 2-line block ×22, first 2 shown]
.LBB124_968:
	s_or_b64 exec, exec, s[0:1]
	v_cmp_lt_i32_e32 vcc, 40, v17
	s_waitcnt lgkmcnt(0)
	s_barrier
	s_and_saveexec_b64 s[0:1], vcc
	s_cbranch_execz .LBB124_970
; %bb.969:
	scratch_load_dwordx4 v[4:7], off, off offset:640
	s_waitcnt vmcnt(0)
	v_mul_f64 v[18:19], v[2:3], v[6:7]
	v_mul_f64 v[20:21], v[0:1], v[6:7]
	v_fma_f64 v[18:19], v[0:1], v[4:5], -v[18:19]
	v_fmac_f64_e32 v[20:21], v[2:3], v[4:5]
	ds_read2_b64 v[0:3], v14 offset0:82 offset1:83
	scratch_store_dwordx4 off, v[18:21], off offset:640
	s_waitcnt lgkmcnt(0)
	v_mul_f64 v[4:5], v[2:3], v[20:21]
	v_mul_f64 v[6:7], v[0:1], v[20:21]
	v_fma_f64 v[4:5], v[0:1], v[18:19], -v[4:5]
	v_fmac_f64_e32 v[6:7], v[2:3], v[18:19]
	scratch_load_dwordx4 v[0:3], off, off offset:656
	s_waitcnt vmcnt(0)
	v_add_f64 v[0:1], v[0:1], -v[4:5]
	v_add_f64 v[2:3], v[2:3], -v[6:7]
	scratch_store_dwordx4 off, v[0:3], off offset:656
	ds_read2_b64 v[0:3], v14 offset0:84 offset1:85
	s_waitcnt lgkmcnt(0)
	v_mul_f64 v[4:5], v[2:3], v[20:21]
	v_mul_f64 v[6:7], v[0:1], v[20:21]
	v_fma_f64 v[4:5], v[0:1], v[18:19], -v[4:5]
	v_fmac_f64_e32 v[6:7], v[2:3], v[18:19]
	scratch_load_dwordx4 v[0:3], off, off offset:672
	s_waitcnt vmcnt(0)
	v_add_f64 v[0:1], v[0:1], -v[4:5]
	v_add_f64 v[2:3], v[2:3], -v[6:7]
	scratch_store_dwordx4 off, v[0:3], off offset:672
	ds_read2_b64 v[0:3], v14 offset0:86 offset1:87
	;; [unrolled: 11-line block ×6, first 2 shown]
	scratch_load_dwordx2 v[18:19], off, off offset:640
	scratch_load_dwordx4 v[0:3], off, off offset:640
	s_waitcnt vmcnt(0) lgkmcnt(0)
	v_mul_f64 v[20:21], v[6:7], v[2:3]
	v_mul_f64 v[22:23], v[4:5], v[2:3]
	v_fma_f64 v[20:21], v[4:5], v[18:19], -v[20:21]
	v_fmac_f64_e32 v[22:23], v[6:7], v[18:19]
	scratch_load_dwordx4 v[4:7], off, off offset:752
	s_waitcnt vmcnt(0)
	v_add_f64 v[4:5], v[4:5], -v[20:21]
	v_add_f64 v[6:7], v[6:7], -v[22:23]
	scratch_store_dwordx4 off, v[4:7], off offset:752
	ds_read2_b64 v[4:7], v14 offset0:96 offset1:97
	s_waitcnt lgkmcnt(0)
	v_mul_f64 v[20:21], v[6:7], v[2:3]
	v_mul_f64 v[22:23], v[4:5], v[2:3]
	v_fma_f64 v[20:21], v[4:5], v[18:19], -v[20:21]
	v_fmac_f64_e32 v[22:23], v[6:7], v[18:19]
	scratch_load_dwordx4 v[4:7], off, off offset:768
	s_waitcnt vmcnt(0)
	v_add_f64 v[4:5], v[4:5], -v[20:21]
	v_add_f64 v[6:7], v[6:7], -v[22:23]
	scratch_store_dwordx4 off, v[4:7], off offset:768
	ds_read2_b64 v[4:7], v14 offset0:98 offset1:99
	s_waitcnt lgkmcnt(0)
	;; [unrolled: 11-line block ×5, first 2 shown]
	v_mul_f64 v[20:21], v[6:7], v[2:3]
	v_fma_f64 v[20:21], v[4:5], v[18:19], -v[20:21]
	v_mul_f64 v[22:23], v[4:5], v[2:3]
	scratch_load_dwordx4 v[2:5], off, off offset:832
	v_fmac_f64_e32 v[22:23], v[6:7], v[18:19]
	s_waitcnt vmcnt(0)
	v_add_f64 v[2:3], v[2:3], -v[20:21]
	v_add_f64 v[4:5], v[4:5], -v[22:23]
	scratch_store_dwordx4 off, v[2:5], off offset:832
	ds_read2_b64 v[18:21], v14 offset0:106 offset1:107
	scratch_load_dwordx2 v[2:3], off, off offset:640
	scratch_load_dwordx2 v[4:5], off, off offset:648
	s_waitcnt vmcnt(0) lgkmcnt(0)
	v_mul_f64 v[6:7], v[20:21], v[4:5]
	v_mul_f64 v[22:23], v[18:19], v[4:5]
	v_fma_f64 v[6:7], v[18:19], v[2:3], -v[6:7]
	v_fmac_f64_e32 v[22:23], v[20:21], v[2:3]
	scratch_load_dwordx4 v[18:21], off, off offset:848
	s_waitcnt vmcnt(0)
	v_add_f64 v[18:19], v[18:19], -v[6:7]
	v_add_f64 v[20:21], v[20:21], -v[22:23]
	scratch_store_dwordx4 off, v[18:21], off offset:848
	ds_read2_b64 v[18:21], v14 offset0:108 offset1:109
	s_waitcnt lgkmcnt(0)
	v_mul_f64 v[6:7], v[20:21], v[4:5]
	v_mul_f64 v[22:23], v[18:19], v[4:5]
	v_fma_f64 v[6:7], v[18:19], v[2:3], -v[6:7]
	v_fmac_f64_e32 v[22:23], v[20:21], v[2:3]
	scratch_load_dwordx4 v[18:21], off, off offset:864
	s_waitcnt vmcnt(0)
	v_add_f64 v[18:19], v[18:19], -v[6:7]
	v_add_f64 v[20:21], v[20:21], -v[22:23]
	scratch_store_dwordx4 off, v[18:21], off offset:864
	ds_read2_b64 v[18:21], v14 offset0:110 offset1:111
	s_waitcnt lgkmcnt(0)
	;; [unrolled: 11-line block ×5, first 2 shown]
	v_mul_f64 v[6:7], v[20:21], v[4:5]
	v_fma_f64 v[6:7], v[18:19], v[2:3], -v[6:7]
	v_mul_f64 v[18:19], v[18:19], v[4:5]
	v_fmac_f64_e32 v[18:19], v[20:21], v[2:3]
	scratch_load_dwordx4 v[2:5], off, off offset:928
	s_waitcnt vmcnt(0)
	v_add_f64 v[2:3], v[2:3], -v[6:7]
	scratch_load_dwordx2 v[6:7], off, off offset:648
	v_add_f64 v[4:5], v[4:5], -v[18:19]
	scratch_store_dwordx4 off, v[2:5], off offset:928
	ds_read2_b64 v[2:5], v14 offset0:118 offset1:119
	s_waitcnt vmcnt(1) lgkmcnt(0)
	v_mul_f64 v[18:19], v[4:5], v[6:7]
	v_mul_f64 v[20:21], v[2:3], v[6:7]
	v_fma_f64 v[18:19], v[2:3], v[0:1], -v[18:19]
	v_fmac_f64_e32 v[20:21], v[4:5], v[0:1]
	scratch_load_dwordx4 v[2:5], off, off offset:944
	s_waitcnt vmcnt(0)
	v_add_f64 v[2:3], v[2:3], -v[18:19]
	v_add_f64 v[4:5], v[4:5], -v[20:21]
	scratch_store_dwordx4 off, v[2:5], off offset:944
	ds_read2_b64 v[2:5], v14 offset0:120 offset1:121
	s_waitcnt lgkmcnt(0)
	v_mul_f64 v[18:19], v[4:5], v[6:7]
	v_mul_f64 v[20:21], v[2:3], v[6:7]
	v_fma_f64 v[18:19], v[2:3], v[0:1], -v[18:19]
	v_fmac_f64_e32 v[20:21], v[4:5], v[0:1]
	scratch_load_dwordx4 v[2:5], off, off offset:960
	s_waitcnt vmcnt(0)
	v_add_f64 v[2:3], v[2:3], -v[18:19]
	v_add_f64 v[4:5], v[4:5], -v[20:21]
	scratch_store_dwordx4 off, v[2:5], off offset:960
	ds_read2_b64 v[2:5], v14 offset0:122 offset1:123
	s_waitcnt lgkmcnt(0)
	;; [unrolled: 11-line block ×3, first 2 shown]
	v_mul_f64 v[18:19], v[4:5], v[6:7]
	v_mul_f64 v[6:7], v[2:3], v[6:7]
	v_fma_f64 v[18:19], v[2:3], v[0:1], -v[18:19]
	v_fmac_f64_e32 v[6:7], v[4:5], v[0:1]
	scratch_load_dwordx4 v[0:3], off, off offset:992
	s_waitcnt vmcnt(0)
	v_add_f64 v[0:1], v[0:1], -v[18:19]
	v_add_f64 v[2:3], v[2:3], -v[6:7]
	scratch_store_dwordx4 off, v[0:3], off offset:992
.LBB124_970:
	s_or_b64 exec, exec, s[0:1]
	s_barrier
	scratch_load_dwordx4 v[0:3], off, s42
	v_lshl_add_u32 v4, v17, 4, v14
	s_cmp_lt_i32 s52, 43
	s_waitcnt vmcnt(0)
	ds_write2_b64 v4, v[0:1], v[2:3] offset1:1
	s_waitcnt lgkmcnt(0)
	s_barrier
	ds_read2_b64 v[0:3], v14 offset0:82 offset1:83
	v_mov_b32_e32 v4, 41
	s_cbranch_scc1 .LBB124_973
; %bb.971:
	v_add_u32_e32 v5, 0x2a0, v14
	s_mov_b32 s4, 42
	v_mov_b32_e32 v4, 41
.LBB124_972:                            ; =>This Inner Loop Header: Depth=1
	ds_read2_b64 v[18:21], v5 offset1:1
	s_waitcnt lgkmcnt(1)
	v_xor_b32_e32 v7, 0x80000000, v1
	v_xor_b32_e32 v23, 0x80000000, v3
	v_cmp_gt_f64_e32 vcc, 0, v[2:3]
	v_cmp_gt_f64_e64 s[0:1], 0, v[0:1]
	v_mov_b32_e32 v6, v0
	v_mov_b32_e32 v22, v2
	v_cndmask_b32_e64 v7, v1, v7, s[0:1]
	v_cndmask_b32_e32 v23, v3, v23, vcc
	v_add_f64 v[6:7], v[6:7], v[22:23]
	s_waitcnt lgkmcnt(0)
	v_xor_b32_e32 v23, 0x80000000, v19
	v_xor_b32_e32 v25, 0x80000000, v21
	v_cmp_gt_f64_e32 vcc, 0, v[20:21]
	v_cmp_gt_f64_e64 s[0:1], 0, v[18:19]
	v_mov_b32_e32 v22, v18
	v_mov_b32_e32 v24, v20
	v_cndmask_b32_e64 v23, v19, v23, s[0:1]
	v_cndmask_b32_e32 v25, v21, v25, vcc
	v_add_f64 v[22:23], v[22:23], v[24:25]
	v_mov_b32_e32 v26, s4
	s_add_i32 s4, s4, 1
	v_cmp_lt_f64_e32 vcc, v[6:7], v[22:23]
	v_add_u32_e32 v5, 16, v5
	s_cmp_lg_u32 s52, s4
	v_cndmask_b32_e32 v1, v1, v19, vcc
	v_cndmask_b32_e32 v0, v0, v18, vcc
	;; [unrolled: 1-line block ×5, first 2 shown]
	s_cbranch_scc1 .LBB124_972
.LBB124_973:
	s_waitcnt lgkmcnt(0)
	v_cmp_eq_f64_e32 vcc, 0, v[0:1]
	v_cmp_eq_f64_e64 s[0:1], 0, v[2:3]
	s_and_b64 s[0:1], vcc, s[0:1]
	s_and_saveexec_b64 s[4:5], s[0:1]
	s_xor_b64 s[0:1], exec, s[4:5]
; %bb.974:
	v_cmp_ne_u32_e32 vcc, 0, v15
	s_nop 1
	v_cndmask_b32_e32 v15, 42, v15, vcc
; %bb.975:
	s_andn2_saveexec_b64 s[0:1], s[0:1]
	s_cbranch_execz .LBB124_981
; %bb.976:
	v_cmp_ngt_f64_e64 s[4:5], |v[0:1]|, |v[2:3]|
	s_and_saveexec_b64 s[12:13], s[4:5]
	s_xor_b64 s[12:13], exec, s[12:13]
	s_cbranch_execz .LBB124_978
; %bb.977:
	v_div_scale_f64 v[6:7], s[4:5], v[2:3], v[2:3], v[0:1]
	v_rcp_f64_e32 v[18:19], v[6:7]
	v_div_scale_f64 v[20:21], vcc, v[0:1], v[2:3], v[0:1]
	v_fma_f64 v[22:23], -v[6:7], v[18:19], 1.0
	v_fmac_f64_e32 v[18:19], v[18:19], v[22:23]
	v_fma_f64 v[22:23], -v[6:7], v[18:19], 1.0
	v_fmac_f64_e32 v[18:19], v[18:19], v[22:23]
	v_mul_f64 v[22:23], v[20:21], v[18:19]
	v_fma_f64 v[6:7], -v[6:7], v[22:23], v[20:21]
	v_div_fmas_f64 v[6:7], v[6:7], v[18:19], v[22:23]
	v_div_fixup_f64 v[6:7], v[6:7], v[2:3], v[0:1]
	v_fmac_f64_e32 v[2:3], v[0:1], v[6:7]
	v_div_scale_f64 v[0:1], s[4:5], v[2:3], v[2:3], 1.0
	v_rcp_f64_e32 v[18:19], v[0:1]
	s_nop 0
	v_fma_f64 v[20:21], -v[0:1], v[18:19], 1.0
	v_fmac_f64_e32 v[18:19], v[18:19], v[20:21]
	v_fma_f64 v[20:21], -v[0:1], v[18:19], 1.0
	v_fmac_f64_e32 v[18:19], v[18:19], v[20:21]
	v_div_scale_f64 v[20:21], vcc, 1.0, v[2:3], 1.0
	v_mul_f64 v[22:23], v[20:21], v[18:19]
	v_fma_f64 v[0:1], -v[0:1], v[22:23], v[20:21]
	s_nop 1
	v_div_fmas_f64 v[0:1], v[0:1], v[18:19], v[22:23]
	v_div_fixup_f64 v[2:3], v[0:1], v[2:3], 1.0
	v_mul_f64 v[0:1], v[6:7], v[2:3]
	v_xor_b32_e32 v3, 0x80000000, v3
.LBB124_978:
	s_andn2_saveexec_b64 s[12:13], s[12:13]
	s_cbranch_execz .LBB124_980
; %bb.979:
	v_div_scale_f64 v[6:7], s[4:5], v[0:1], v[0:1], v[2:3]
	v_rcp_f64_e32 v[18:19], v[6:7]
	v_div_scale_f64 v[20:21], vcc, v[2:3], v[0:1], v[2:3]
	v_fma_f64 v[22:23], -v[6:7], v[18:19], 1.0
	v_fmac_f64_e32 v[18:19], v[18:19], v[22:23]
	v_fma_f64 v[22:23], -v[6:7], v[18:19], 1.0
	v_fmac_f64_e32 v[18:19], v[18:19], v[22:23]
	v_mul_f64 v[22:23], v[20:21], v[18:19]
	v_fma_f64 v[6:7], -v[6:7], v[22:23], v[20:21]
	v_div_fmas_f64 v[6:7], v[6:7], v[18:19], v[22:23]
	v_div_fixup_f64 v[6:7], v[6:7], v[0:1], v[2:3]
	v_fmac_f64_e32 v[0:1], v[2:3], v[6:7]
	v_div_scale_f64 v[2:3], s[4:5], v[0:1], v[0:1], 1.0
	v_rcp_f64_e32 v[18:19], v[2:3]
	s_nop 0
	v_fma_f64 v[20:21], -v[2:3], v[18:19], 1.0
	v_fmac_f64_e32 v[18:19], v[18:19], v[20:21]
	v_fma_f64 v[20:21], -v[2:3], v[18:19], 1.0
	v_fmac_f64_e32 v[18:19], v[18:19], v[20:21]
	v_div_scale_f64 v[20:21], vcc, 1.0, v[0:1], 1.0
	v_mul_f64 v[22:23], v[20:21], v[18:19]
	v_fma_f64 v[2:3], -v[2:3], v[22:23], v[20:21]
	s_nop 1
	v_div_fmas_f64 v[2:3], v[2:3], v[18:19], v[22:23]
	v_div_fixup_f64 v[0:1], v[2:3], v[0:1], 1.0
	v_mul_f64 v[2:3], v[6:7], -v[0:1]
.LBB124_980:
	s_or_b64 exec, exec, s[12:13]
.LBB124_981:
	s_or_b64 exec, exec, s[0:1]
	v_cmp_ne_u32_e32 vcc, v17, v4
	s_and_saveexec_b64 s[0:1], vcc
	s_xor_b64 s[0:1], exec, s[0:1]
	s_cbranch_execz .LBB124_987
; %bb.982:
	v_cmp_eq_u32_e32 vcc, 41, v17
	s_and_saveexec_b64 s[12:13], vcc
	s_cbranch_execz .LBB124_986
; %bb.983:
	v_cmp_ne_u32_e32 vcc, 41, v4
	s_xor_b64 s[4:5], s[18:19], -1
	s_and_b64 s[4:5], s[4:5], vcc
	s_and_saveexec_b64 s[14:15], s[4:5]
	s_cbranch_execz .LBB124_985
; %bb.984:
	v_ashrrev_i32_e32 v5, 31, v4
	v_lshl_add_u64 v[6:7], v[4:5], 2, v[10:11]
	global_load_dword v5, v[6:7], off
	global_load_dword v16, v[10:11], off offset:164
	s_waitcnt vmcnt(1)
	global_store_dword v[10:11], v5, off offset:164
	s_waitcnt vmcnt(1)
	global_store_dword v[6:7], v16, off
.LBB124_985:
	s_or_b64 exec, exec, s[14:15]
	v_mov_b32_e32 v17, v4
	v_mov_b32_e32 v16, v4
.LBB124_986:
	s_or_b64 exec, exec, s[12:13]
.LBB124_987:
	s_andn2_saveexec_b64 s[0:1], s[0:1]
	s_cbranch_execz .LBB124_989
; %bb.988:
	scratch_load_dwordx4 v[4:7], off, s41
	scratch_load_dwordx4 v[18:21], off, s40
	;; [unrolled: 1-line block ×21, first 2 shown]
	v_mov_b32_e32 v17, 41
	s_waitcnt vmcnt(20)
	ds_write2_b64 v14, v[4:5], v[6:7] offset0:84 offset1:85
	s_waitcnt vmcnt(19)
	ds_write2_b64 v14, v[18:19], v[20:21] offset0:86 offset1:87
	;; [unrolled: 2-line block ×21, first 2 shown]
.LBB124_989:
	s_or_b64 exec, exec, s[0:1]
	v_cmp_lt_i32_e32 vcc, 41, v17
	s_waitcnt lgkmcnt(0)
	s_barrier
	s_and_saveexec_b64 s[0:1], vcc
	s_cbranch_execz .LBB124_991
; %bb.990:
	scratch_load_dwordx4 v[4:7], off, off offset:656
	s_waitcnt vmcnt(0)
	v_mul_f64 v[18:19], v[2:3], v[6:7]
	v_mul_f64 v[20:21], v[0:1], v[6:7]
	v_fma_f64 v[18:19], v[0:1], v[4:5], -v[18:19]
	v_fmac_f64_e32 v[20:21], v[2:3], v[4:5]
	ds_read2_b64 v[0:3], v14 offset0:84 offset1:85
	scratch_store_dwordx4 off, v[18:21], off offset:656
	s_waitcnt lgkmcnt(0)
	v_mul_f64 v[4:5], v[2:3], v[20:21]
	v_mul_f64 v[6:7], v[0:1], v[20:21]
	v_fma_f64 v[4:5], v[0:1], v[18:19], -v[4:5]
	v_fmac_f64_e32 v[6:7], v[2:3], v[18:19]
	scratch_load_dwordx4 v[0:3], off, off offset:672
	s_waitcnt vmcnt(0)
	v_add_f64 v[0:1], v[0:1], -v[4:5]
	v_add_f64 v[2:3], v[2:3], -v[6:7]
	scratch_store_dwordx4 off, v[0:3], off offset:672
	ds_read2_b64 v[0:3], v14 offset0:86 offset1:87
	s_waitcnt lgkmcnt(0)
	v_mul_f64 v[4:5], v[2:3], v[20:21]
	v_mul_f64 v[6:7], v[0:1], v[20:21]
	v_fma_f64 v[4:5], v[0:1], v[18:19], -v[4:5]
	v_fmac_f64_e32 v[6:7], v[2:3], v[18:19]
	scratch_load_dwordx4 v[0:3], off, off offset:688
	s_waitcnt vmcnt(0)
	v_add_f64 v[0:1], v[0:1], -v[4:5]
	v_add_f64 v[2:3], v[2:3], -v[6:7]
	scratch_store_dwordx4 off, v[0:3], off offset:688
	ds_read2_b64 v[0:3], v14 offset0:88 offset1:89
	;; [unrolled: 11-line block ×6, first 2 shown]
	scratch_load_dwordx2 v[18:19], off, off offset:656
	scratch_load_dwordx4 v[0:3], off, off offset:656
	s_waitcnt vmcnt(0) lgkmcnt(0)
	v_mul_f64 v[20:21], v[6:7], v[2:3]
	v_mul_f64 v[22:23], v[4:5], v[2:3]
	v_fma_f64 v[20:21], v[4:5], v[18:19], -v[20:21]
	v_fmac_f64_e32 v[22:23], v[6:7], v[18:19]
	scratch_load_dwordx4 v[4:7], off, off offset:768
	s_waitcnt vmcnt(0)
	v_add_f64 v[4:5], v[4:5], -v[20:21]
	v_add_f64 v[6:7], v[6:7], -v[22:23]
	scratch_store_dwordx4 off, v[4:7], off offset:768
	ds_read2_b64 v[4:7], v14 offset0:98 offset1:99
	s_waitcnt lgkmcnt(0)
	v_mul_f64 v[20:21], v[6:7], v[2:3]
	v_mul_f64 v[22:23], v[4:5], v[2:3]
	v_fma_f64 v[20:21], v[4:5], v[18:19], -v[20:21]
	v_fmac_f64_e32 v[22:23], v[6:7], v[18:19]
	scratch_load_dwordx4 v[4:7], off, off offset:784
	s_waitcnt vmcnt(0)
	v_add_f64 v[4:5], v[4:5], -v[20:21]
	v_add_f64 v[6:7], v[6:7], -v[22:23]
	scratch_store_dwordx4 off, v[4:7], off offset:784
	ds_read2_b64 v[4:7], v14 offset0:100 offset1:101
	s_waitcnt lgkmcnt(0)
	;; [unrolled: 11-line block ×5, first 2 shown]
	v_mul_f64 v[20:21], v[6:7], v[2:3]
	v_fma_f64 v[20:21], v[4:5], v[18:19], -v[20:21]
	v_mul_f64 v[22:23], v[4:5], v[2:3]
	scratch_load_dwordx4 v[2:5], off, off offset:848
	v_fmac_f64_e32 v[22:23], v[6:7], v[18:19]
	s_waitcnt vmcnt(0)
	v_add_f64 v[2:3], v[2:3], -v[20:21]
	v_add_f64 v[4:5], v[4:5], -v[22:23]
	scratch_store_dwordx4 off, v[2:5], off offset:848
	ds_read2_b64 v[18:21], v14 offset0:108 offset1:109
	scratch_load_dwordx2 v[2:3], off, off offset:656
	scratch_load_dwordx2 v[4:5], off, off offset:664
	s_waitcnt vmcnt(0) lgkmcnt(0)
	v_mul_f64 v[6:7], v[20:21], v[4:5]
	v_mul_f64 v[22:23], v[18:19], v[4:5]
	v_fma_f64 v[6:7], v[18:19], v[2:3], -v[6:7]
	v_fmac_f64_e32 v[22:23], v[20:21], v[2:3]
	scratch_load_dwordx4 v[18:21], off, off offset:864
	s_waitcnt vmcnt(0)
	v_add_f64 v[18:19], v[18:19], -v[6:7]
	v_add_f64 v[20:21], v[20:21], -v[22:23]
	scratch_store_dwordx4 off, v[18:21], off offset:864
	ds_read2_b64 v[18:21], v14 offset0:110 offset1:111
	s_waitcnt lgkmcnt(0)
	v_mul_f64 v[6:7], v[20:21], v[4:5]
	v_mul_f64 v[22:23], v[18:19], v[4:5]
	v_fma_f64 v[6:7], v[18:19], v[2:3], -v[6:7]
	v_fmac_f64_e32 v[22:23], v[20:21], v[2:3]
	scratch_load_dwordx4 v[18:21], off, off offset:880
	s_waitcnt vmcnt(0)
	v_add_f64 v[18:19], v[18:19], -v[6:7]
	v_add_f64 v[20:21], v[20:21], -v[22:23]
	scratch_store_dwordx4 off, v[18:21], off offset:880
	ds_read2_b64 v[18:21], v14 offset0:112 offset1:113
	s_waitcnt lgkmcnt(0)
	;; [unrolled: 11-line block ×5, first 2 shown]
	v_mul_f64 v[6:7], v[20:21], v[4:5]
	v_fma_f64 v[6:7], v[18:19], v[2:3], -v[6:7]
	v_mul_f64 v[18:19], v[18:19], v[4:5]
	v_fmac_f64_e32 v[18:19], v[20:21], v[2:3]
	scratch_load_dwordx4 v[2:5], off, off offset:944
	s_waitcnt vmcnt(0)
	v_add_f64 v[4:5], v[4:5], -v[18:19]
	scratch_load_dwordx2 v[18:19], off, off offset:664
	v_add_f64 v[2:3], v[2:3], -v[6:7]
	scratch_store_dwordx4 off, v[2:5], off offset:944
	ds_read2_b64 v[2:5], v14 offset0:120 offset1:121
	s_waitcnt vmcnt(1) lgkmcnt(0)
	v_mul_f64 v[6:7], v[4:5], v[18:19]
	v_mul_f64 v[20:21], v[2:3], v[18:19]
	v_fma_f64 v[6:7], v[2:3], v[0:1], -v[6:7]
	v_fmac_f64_e32 v[20:21], v[4:5], v[0:1]
	scratch_load_dwordx4 v[2:5], off, off offset:960
	s_waitcnt vmcnt(0)
	v_add_f64 v[2:3], v[2:3], -v[6:7]
	v_add_f64 v[4:5], v[4:5], -v[20:21]
	scratch_store_dwordx4 off, v[2:5], off offset:960
	ds_read2_b64 v[2:5], v14 offset0:122 offset1:123
	s_waitcnt lgkmcnt(0)
	v_mul_f64 v[6:7], v[4:5], v[18:19]
	v_mul_f64 v[20:21], v[2:3], v[18:19]
	v_fma_f64 v[6:7], v[2:3], v[0:1], -v[6:7]
	v_fmac_f64_e32 v[20:21], v[4:5], v[0:1]
	scratch_load_dwordx4 v[2:5], off, off offset:976
	s_waitcnt vmcnt(0)
	v_add_f64 v[2:3], v[2:3], -v[6:7]
	v_add_f64 v[4:5], v[4:5], -v[20:21]
	scratch_store_dwordx4 off, v[2:5], off offset:976
	ds_read2_b64 v[4:7], v14 offset0:124 offset1:125
	s_waitcnt lgkmcnt(0)
	v_mul_f64 v[2:3], v[6:7], v[18:19]
	v_fma_f64 v[2:3], v[4:5], v[0:1], -v[2:3]
	v_mul_f64 v[4:5], v[4:5], v[18:19]
	scratch_load_dwordx4 v[18:21], off, off offset:992
	v_fmac_f64_e32 v[4:5], v[6:7], v[0:1]
	s_waitcnt vmcnt(0)
	v_add_f64 v[0:1], v[18:19], -v[2:3]
	v_add_f64 v[2:3], v[20:21], -v[4:5]
	scratch_store_dwordx4 off, v[0:3], off offset:992
.LBB124_991:
	s_or_b64 exec, exec, s[0:1]
	s_barrier
	scratch_load_dwordx4 v[0:3], off, s41
	v_lshl_add_u32 v4, v17, 4, v14
	s_cmp_lt_i32 s52, 44
	s_waitcnt vmcnt(0)
	ds_write2_b64 v4, v[0:1], v[2:3] offset1:1
	s_waitcnt lgkmcnt(0)
	s_barrier
	ds_read2_b64 v[0:3], v14 offset0:84 offset1:85
	v_mov_b32_e32 v4, 42
	s_cbranch_scc1 .LBB124_994
; %bb.992:
	v_add_u32_e32 v5, 0x2b0, v14
	s_mov_b32 s4, 43
	v_mov_b32_e32 v4, 42
.LBB124_993:                            ; =>This Inner Loop Header: Depth=1
	ds_read2_b64 v[18:21], v5 offset1:1
	s_waitcnt lgkmcnt(1)
	v_xor_b32_e32 v7, 0x80000000, v1
	v_xor_b32_e32 v23, 0x80000000, v3
	v_cmp_gt_f64_e32 vcc, 0, v[2:3]
	v_cmp_gt_f64_e64 s[0:1], 0, v[0:1]
	v_mov_b32_e32 v6, v0
	v_mov_b32_e32 v22, v2
	v_cndmask_b32_e64 v7, v1, v7, s[0:1]
	v_cndmask_b32_e32 v23, v3, v23, vcc
	v_add_f64 v[6:7], v[6:7], v[22:23]
	s_waitcnt lgkmcnt(0)
	v_xor_b32_e32 v23, 0x80000000, v19
	v_xor_b32_e32 v25, 0x80000000, v21
	v_cmp_gt_f64_e32 vcc, 0, v[20:21]
	v_cmp_gt_f64_e64 s[0:1], 0, v[18:19]
	v_mov_b32_e32 v22, v18
	v_mov_b32_e32 v24, v20
	v_cndmask_b32_e64 v23, v19, v23, s[0:1]
	v_cndmask_b32_e32 v25, v21, v25, vcc
	v_add_f64 v[22:23], v[22:23], v[24:25]
	v_mov_b32_e32 v26, s4
	s_add_i32 s4, s4, 1
	v_cmp_lt_f64_e32 vcc, v[6:7], v[22:23]
	v_add_u32_e32 v5, 16, v5
	s_cmp_lg_u32 s52, s4
	v_cndmask_b32_e32 v1, v1, v19, vcc
	v_cndmask_b32_e32 v0, v0, v18, vcc
	;; [unrolled: 1-line block ×5, first 2 shown]
	s_cbranch_scc1 .LBB124_993
.LBB124_994:
	s_waitcnt lgkmcnt(0)
	v_cmp_eq_f64_e32 vcc, 0, v[0:1]
	v_cmp_eq_f64_e64 s[0:1], 0, v[2:3]
	s_and_b64 s[0:1], vcc, s[0:1]
	s_and_saveexec_b64 s[4:5], s[0:1]
	s_xor_b64 s[0:1], exec, s[4:5]
; %bb.995:
	v_cmp_ne_u32_e32 vcc, 0, v15
	s_nop 1
	v_cndmask_b32_e32 v15, 43, v15, vcc
; %bb.996:
	s_andn2_saveexec_b64 s[0:1], s[0:1]
	s_cbranch_execz .LBB124_1002
; %bb.997:
	v_cmp_ngt_f64_e64 s[4:5], |v[0:1]|, |v[2:3]|
	s_and_saveexec_b64 s[12:13], s[4:5]
	s_xor_b64 s[12:13], exec, s[12:13]
	s_cbranch_execz .LBB124_999
; %bb.998:
	v_div_scale_f64 v[6:7], s[4:5], v[2:3], v[2:3], v[0:1]
	v_rcp_f64_e32 v[18:19], v[6:7]
	v_div_scale_f64 v[20:21], vcc, v[0:1], v[2:3], v[0:1]
	v_fma_f64 v[22:23], -v[6:7], v[18:19], 1.0
	v_fmac_f64_e32 v[18:19], v[18:19], v[22:23]
	v_fma_f64 v[22:23], -v[6:7], v[18:19], 1.0
	v_fmac_f64_e32 v[18:19], v[18:19], v[22:23]
	v_mul_f64 v[22:23], v[20:21], v[18:19]
	v_fma_f64 v[6:7], -v[6:7], v[22:23], v[20:21]
	v_div_fmas_f64 v[6:7], v[6:7], v[18:19], v[22:23]
	v_div_fixup_f64 v[6:7], v[6:7], v[2:3], v[0:1]
	v_fmac_f64_e32 v[2:3], v[0:1], v[6:7]
	v_div_scale_f64 v[0:1], s[4:5], v[2:3], v[2:3], 1.0
	v_rcp_f64_e32 v[18:19], v[0:1]
	s_nop 0
	v_fma_f64 v[20:21], -v[0:1], v[18:19], 1.0
	v_fmac_f64_e32 v[18:19], v[18:19], v[20:21]
	v_fma_f64 v[20:21], -v[0:1], v[18:19], 1.0
	v_fmac_f64_e32 v[18:19], v[18:19], v[20:21]
	v_div_scale_f64 v[20:21], vcc, 1.0, v[2:3], 1.0
	v_mul_f64 v[22:23], v[20:21], v[18:19]
	v_fma_f64 v[0:1], -v[0:1], v[22:23], v[20:21]
	s_nop 1
	v_div_fmas_f64 v[0:1], v[0:1], v[18:19], v[22:23]
	v_div_fixup_f64 v[2:3], v[0:1], v[2:3], 1.0
	v_mul_f64 v[0:1], v[6:7], v[2:3]
	v_xor_b32_e32 v3, 0x80000000, v3
.LBB124_999:
	s_andn2_saveexec_b64 s[12:13], s[12:13]
	s_cbranch_execz .LBB124_1001
; %bb.1000:
	v_div_scale_f64 v[6:7], s[4:5], v[0:1], v[0:1], v[2:3]
	v_rcp_f64_e32 v[18:19], v[6:7]
	v_div_scale_f64 v[20:21], vcc, v[2:3], v[0:1], v[2:3]
	v_fma_f64 v[22:23], -v[6:7], v[18:19], 1.0
	v_fmac_f64_e32 v[18:19], v[18:19], v[22:23]
	v_fma_f64 v[22:23], -v[6:7], v[18:19], 1.0
	v_fmac_f64_e32 v[18:19], v[18:19], v[22:23]
	v_mul_f64 v[22:23], v[20:21], v[18:19]
	v_fma_f64 v[6:7], -v[6:7], v[22:23], v[20:21]
	v_div_fmas_f64 v[6:7], v[6:7], v[18:19], v[22:23]
	v_div_fixup_f64 v[6:7], v[6:7], v[0:1], v[2:3]
	v_fmac_f64_e32 v[0:1], v[2:3], v[6:7]
	v_div_scale_f64 v[2:3], s[4:5], v[0:1], v[0:1], 1.0
	v_rcp_f64_e32 v[18:19], v[2:3]
	s_nop 0
	v_fma_f64 v[20:21], -v[2:3], v[18:19], 1.0
	v_fmac_f64_e32 v[18:19], v[18:19], v[20:21]
	v_fma_f64 v[20:21], -v[2:3], v[18:19], 1.0
	v_fmac_f64_e32 v[18:19], v[18:19], v[20:21]
	v_div_scale_f64 v[20:21], vcc, 1.0, v[0:1], 1.0
	v_mul_f64 v[22:23], v[20:21], v[18:19]
	v_fma_f64 v[2:3], -v[2:3], v[22:23], v[20:21]
	s_nop 1
	v_div_fmas_f64 v[2:3], v[2:3], v[18:19], v[22:23]
	v_div_fixup_f64 v[0:1], v[2:3], v[0:1], 1.0
	v_mul_f64 v[2:3], v[6:7], -v[0:1]
.LBB124_1001:
	s_or_b64 exec, exec, s[12:13]
.LBB124_1002:
	s_or_b64 exec, exec, s[0:1]
	v_cmp_ne_u32_e32 vcc, v17, v4
	s_and_saveexec_b64 s[0:1], vcc
	s_xor_b64 s[0:1], exec, s[0:1]
	s_cbranch_execz .LBB124_1008
; %bb.1003:
	v_cmp_eq_u32_e32 vcc, 42, v17
	s_and_saveexec_b64 s[12:13], vcc
	s_cbranch_execz .LBB124_1007
; %bb.1004:
	v_cmp_ne_u32_e32 vcc, 42, v4
	s_xor_b64 s[4:5], s[18:19], -1
	s_and_b64 s[4:5], s[4:5], vcc
	s_and_saveexec_b64 s[14:15], s[4:5]
	s_cbranch_execz .LBB124_1006
; %bb.1005:
	v_ashrrev_i32_e32 v5, 31, v4
	v_lshl_add_u64 v[6:7], v[4:5], 2, v[10:11]
	global_load_dword v5, v[6:7], off
	global_load_dword v16, v[10:11], off offset:168
	s_waitcnt vmcnt(1)
	global_store_dword v[10:11], v5, off offset:168
	s_waitcnt vmcnt(1)
	global_store_dword v[6:7], v16, off
.LBB124_1006:
	s_or_b64 exec, exec, s[14:15]
	v_mov_b32_e32 v17, v4
	v_mov_b32_e32 v16, v4
.LBB124_1007:
	s_or_b64 exec, exec, s[12:13]
.LBB124_1008:
	s_andn2_saveexec_b64 s[0:1], s[0:1]
	s_cbranch_execz .LBB124_1010
; %bb.1009:
	scratch_load_dwordx4 v[4:7], off, s40
	scratch_load_dwordx4 v[18:21], off, s39
	;; [unrolled: 1-line block ×20, first 2 shown]
	v_mov_b32_e32 v17, 42
	s_waitcnt vmcnt(19)
	ds_write2_b64 v14, v[4:5], v[6:7] offset0:86 offset1:87
	s_waitcnt vmcnt(18)
	ds_write2_b64 v14, v[18:19], v[20:21] offset0:88 offset1:89
	;; [unrolled: 2-line block ×20, first 2 shown]
.LBB124_1010:
	s_or_b64 exec, exec, s[0:1]
	v_cmp_lt_i32_e32 vcc, 42, v17
	s_waitcnt lgkmcnt(0)
	s_barrier
	s_and_saveexec_b64 s[0:1], vcc
	s_cbranch_execz .LBB124_1012
; %bb.1011:
	scratch_load_dwordx4 v[4:7], off, off offset:672
	s_waitcnt vmcnt(0)
	v_mul_f64 v[18:19], v[2:3], v[6:7]
	v_mul_f64 v[20:21], v[0:1], v[6:7]
	v_fma_f64 v[18:19], v[0:1], v[4:5], -v[18:19]
	v_fmac_f64_e32 v[20:21], v[2:3], v[4:5]
	ds_read2_b64 v[0:3], v14 offset0:86 offset1:87
	scratch_store_dwordx4 off, v[18:21], off offset:672
	s_waitcnt lgkmcnt(0)
	v_mul_f64 v[4:5], v[2:3], v[20:21]
	v_mul_f64 v[6:7], v[0:1], v[20:21]
	v_fma_f64 v[4:5], v[0:1], v[18:19], -v[4:5]
	v_fmac_f64_e32 v[6:7], v[2:3], v[18:19]
	scratch_load_dwordx4 v[0:3], off, off offset:688
	s_waitcnt vmcnt(0)
	v_add_f64 v[0:1], v[0:1], -v[4:5]
	v_add_f64 v[2:3], v[2:3], -v[6:7]
	scratch_store_dwordx4 off, v[0:3], off offset:688
	ds_read2_b64 v[0:3], v14 offset0:88 offset1:89
	s_waitcnt lgkmcnt(0)
	v_mul_f64 v[4:5], v[2:3], v[20:21]
	v_mul_f64 v[6:7], v[0:1], v[20:21]
	v_fma_f64 v[4:5], v[0:1], v[18:19], -v[4:5]
	v_fmac_f64_e32 v[6:7], v[2:3], v[18:19]
	scratch_load_dwordx4 v[0:3], off, off offset:704
	s_waitcnt vmcnt(0)
	v_add_f64 v[0:1], v[0:1], -v[4:5]
	v_add_f64 v[2:3], v[2:3], -v[6:7]
	scratch_store_dwordx4 off, v[0:3], off offset:704
	ds_read2_b64 v[0:3], v14 offset0:90 offset1:91
	;; [unrolled: 11-line block ×6, first 2 shown]
	scratch_load_dwordx2 v[18:19], off, off offset:672
	scratch_load_dwordx4 v[0:3], off, off offset:672
	s_waitcnt vmcnt(0) lgkmcnt(0)
	v_mul_f64 v[20:21], v[6:7], v[2:3]
	v_mul_f64 v[22:23], v[4:5], v[2:3]
	v_fma_f64 v[20:21], v[4:5], v[18:19], -v[20:21]
	v_fmac_f64_e32 v[22:23], v[6:7], v[18:19]
	scratch_load_dwordx4 v[4:7], off, off offset:784
	s_waitcnt vmcnt(0)
	v_add_f64 v[4:5], v[4:5], -v[20:21]
	v_add_f64 v[6:7], v[6:7], -v[22:23]
	scratch_store_dwordx4 off, v[4:7], off offset:784
	ds_read2_b64 v[4:7], v14 offset0:100 offset1:101
	s_waitcnt lgkmcnt(0)
	v_mul_f64 v[20:21], v[6:7], v[2:3]
	v_mul_f64 v[22:23], v[4:5], v[2:3]
	v_fma_f64 v[20:21], v[4:5], v[18:19], -v[20:21]
	v_fmac_f64_e32 v[22:23], v[6:7], v[18:19]
	scratch_load_dwordx4 v[4:7], off, off offset:800
	s_waitcnt vmcnt(0)
	v_add_f64 v[4:5], v[4:5], -v[20:21]
	v_add_f64 v[6:7], v[6:7], -v[22:23]
	scratch_store_dwordx4 off, v[4:7], off offset:800
	ds_read2_b64 v[4:7], v14 offset0:102 offset1:103
	s_waitcnt lgkmcnt(0)
	v_mul_f64 v[20:21], v[6:7], v[2:3]
	v_mul_f64 v[22:23], v[4:5], v[2:3]
	v_fma_f64 v[20:21], v[4:5], v[18:19], -v[20:21]
	v_fmac_f64_e32 v[22:23], v[6:7], v[18:19]
	scratch_load_dwordx4 v[4:7], off, off offset:816
	s_waitcnt vmcnt(0)
	v_add_f64 v[4:5], v[4:5], -v[20:21]
	v_add_f64 v[6:7], v[6:7], -v[22:23]
	scratch_store_dwordx4 off, v[4:7], off offset:816
	ds_read2_b64 v[4:7], v14 offset0:104 offset1:105
	s_waitcnt lgkmcnt(0)
	v_mul_f64 v[20:21], v[6:7], v[2:3]
	v_mul_f64 v[22:23], v[4:5], v[2:3]
	v_fma_f64 v[20:21], v[4:5], v[18:19], -v[20:21]
	v_fmac_f64_e32 v[22:23], v[6:7], v[18:19]
	scratch_load_dwordx4 v[4:7], off, off offset:832
	s_waitcnt vmcnt(0)
	v_add_f64 v[4:5], v[4:5], -v[20:21]
	v_add_f64 v[6:7], v[6:7], -v[22:23]
	scratch_store_dwordx4 off, v[4:7], off offset:832
	ds_read2_b64 v[4:7], v14 offset0:106 offset1:107
	s_waitcnt lgkmcnt(0)
	v_mul_f64 v[20:21], v[6:7], v[2:3]
	v_mul_f64 v[22:23], v[4:5], v[2:3]
	v_fma_f64 v[20:21], v[4:5], v[18:19], -v[20:21]
	v_fmac_f64_e32 v[22:23], v[6:7], v[18:19]
	scratch_load_dwordx4 v[4:7], off, off offset:848
	s_waitcnt vmcnt(0)
	v_add_f64 v[4:5], v[4:5], -v[20:21]
	v_add_f64 v[6:7], v[6:7], -v[22:23]
	scratch_store_dwordx4 off, v[4:7], off offset:848
	ds_read2_b64 v[4:7], v14 offset0:108 offset1:109
	s_waitcnt lgkmcnt(0)
	v_mul_f64 v[20:21], v[6:7], v[2:3]
	v_fma_f64 v[20:21], v[4:5], v[18:19], -v[20:21]
	v_mul_f64 v[22:23], v[4:5], v[2:3]
	scratch_load_dwordx4 v[2:5], off, off offset:864
	v_fmac_f64_e32 v[22:23], v[6:7], v[18:19]
	s_waitcnt vmcnt(0)
	v_add_f64 v[2:3], v[2:3], -v[20:21]
	v_add_f64 v[4:5], v[4:5], -v[22:23]
	scratch_store_dwordx4 off, v[2:5], off offset:864
	ds_read2_b64 v[18:21], v14 offset0:110 offset1:111
	scratch_load_dwordx2 v[2:3], off, off offset:672
	scratch_load_dwordx2 v[4:5], off, off offset:680
	s_waitcnt vmcnt(0) lgkmcnt(0)
	v_mul_f64 v[6:7], v[20:21], v[4:5]
	v_mul_f64 v[22:23], v[18:19], v[4:5]
	v_fma_f64 v[6:7], v[18:19], v[2:3], -v[6:7]
	v_fmac_f64_e32 v[22:23], v[20:21], v[2:3]
	scratch_load_dwordx4 v[18:21], off, off offset:880
	s_waitcnt vmcnt(0)
	v_add_f64 v[18:19], v[18:19], -v[6:7]
	v_add_f64 v[20:21], v[20:21], -v[22:23]
	scratch_store_dwordx4 off, v[18:21], off offset:880
	ds_read2_b64 v[18:21], v14 offset0:112 offset1:113
	s_waitcnt lgkmcnt(0)
	v_mul_f64 v[6:7], v[20:21], v[4:5]
	v_mul_f64 v[22:23], v[18:19], v[4:5]
	v_fma_f64 v[6:7], v[18:19], v[2:3], -v[6:7]
	v_fmac_f64_e32 v[22:23], v[20:21], v[2:3]
	scratch_load_dwordx4 v[18:21], off, off offset:896
	s_waitcnt vmcnt(0)
	v_add_f64 v[18:19], v[18:19], -v[6:7]
	v_add_f64 v[20:21], v[20:21], -v[22:23]
	scratch_store_dwordx4 off, v[18:21], off offset:896
	ds_read2_b64 v[18:21], v14 offset0:114 offset1:115
	s_waitcnt lgkmcnt(0)
	;; [unrolled: 11-line block ×5, first 2 shown]
	v_mul_f64 v[6:7], v[20:21], v[4:5]
	v_fma_f64 v[6:7], v[18:19], v[2:3], -v[6:7]
	v_mul_f64 v[18:19], v[18:19], v[4:5]
	v_fmac_f64_e32 v[18:19], v[20:21], v[2:3]
	scratch_load_dwordx4 v[2:5], off, off offset:960
	s_waitcnt vmcnt(0)
	v_add_f64 v[2:3], v[2:3], -v[6:7]
	scratch_load_dwordx2 v[6:7], off, off offset:680
	v_add_f64 v[4:5], v[4:5], -v[18:19]
	scratch_store_dwordx4 off, v[2:5], off offset:960
	ds_read2_b64 v[2:5], v14 offset0:122 offset1:123
	s_waitcnt vmcnt(1) lgkmcnt(0)
	v_mul_f64 v[18:19], v[4:5], v[6:7]
	v_mul_f64 v[20:21], v[2:3], v[6:7]
	v_fma_f64 v[18:19], v[2:3], v[0:1], -v[18:19]
	v_fmac_f64_e32 v[20:21], v[4:5], v[0:1]
	scratch_load_dwordx4 v[2:5], off, off offset:976
	s_waitcnt vmcnt(0)
	v_add_f64 v[2:3], v[2:3], -v[18:19]
	v_add_f64 v[4:5], v[4:5], -v[20:21]
	scratch_store_dwordx4 off, v[2:5], off offset:976
	ds_read2_b64 v[2:5], v14 offset0:124 offset1:125
	s_waitcnt lgkmcnt(0)
	v_mul_f64 v[18:19], v[4:5], v[6:7]
	v_mul_f64 v[6:7], v[2:3], v[6:7]
	v_fma_f64 v[18:19], v[2:3], v[0:1], -v[18:19]
	v_fmac_f64_e32 v[6:7], v[4:5], v[0:1]
	scratch_load_dwordx4 v[0:3], off, off offset:992
	s_waitcnt vmcnt(0)
	v_add_f64 v[0:1], v[0:1], -v[18:19]
	v_add_f64 v[2:3], v[2:3], -v[6:7]
	scratch_store_dwordx4 off, v[0:3], off offset:992
.LBB124_1012:
	s_or_b64 exec, exec, s[0:1]
	s_barrier
	scratch_load_dwordx4 v[0:3], off, s40
	v_lshl_add_u32 v4, v17, 4, v14
	s_cmp_lt_i32 s52, 45
	s_waitcnt vmcnt(0)
	ds_write2_b64 v4, v[0:1], v[2:3] offset1:1
	s_waitcnt lgkmcnt(0)
	s_barrier
	ds_read2_b64 v[0:3], v14 offset0:86 offset1:87
	v_mov_b32_e32 v4, 43
	s_cbranch_scc1 .LBB124_1015
; %bb.1013:
	v_add_u32_e32 v5, 0x2c0, v14
	s_mov_b32 s4, 44
	v_mov_b32_e32 v4, 43
.LBB124_1014:                           ; =>This Inner Loop Header: Depth=1
	ds_read2_b64 v[18:21], v5 offset1:1
	s_waitcnt lgkmcnt(1)
	v_xor_b32_e32 v7, 0x80000000, v1
	v_xor_b32_e32 v23, 0x80000000, v3
	v_cmp_gt_f64_e32 vcc, 0, v[2:3]
	v_cmp_gt_f64_e64 s[0:1], 0, v[0:1]
	v_mov_b32_e32 v6, v0
	v_mov_b32_e32 v22, v2
	v_cndmask_b32_e64 v7, v1, v7, s[0:1]
	v_cndmask_b32_e32 v23, v3, v23, vcc
	v_add_f64 v[6:7], v[6:7], v[22:23]
	s_waitcnt lgkmcnt(0)
	v_xor_b32_e32 v23, 0x80000000, v19
	v_xor_b32_e32 v25, 0x80000000, v21
	v_cmp_gt_f64_e32 vcc, 0, v[20:21]
	v_cmp_gt_f64_e64 s[0:1], 0, v[18:19]
	v_mov_b32_e32 v22, v18
	v_mov_b32_e32 v24, v20
	v_cndmask_b32_e64 v23, v19, v23, s[0:1]
	v_cndmask_b32_e32 v25, v21, v25, vcc
	v_add_f64 v[22:23], v[22:23], v[24:25]
	v_mov_b32_e32 v26, s4
	s_add_i32 s4, s4, 1
	v_cmp_lt_f64_e32 vcc, v[6:7], v[22:23]
	v_add_u32_e32 v5, 16, v5
	s_cmp_lg_u32 s52, s4
	v_cndmask_b32_e32 v1, v1, v19, vcc
	v_cndmask_b32_e32 v0, v0, v18, vcc
	;; [unrolled: 1-line block ×5, first 2 shown]
	s_cbranch_scc1 .LBB124_1014
.LBB124_1015:
	s_waitcnt lgkmcnt(0)
	v_cmp_eq_f64_e32 vcc, 0, v[0:1]
	v_cmp_eq_f64_e64 s[0:1], 0, v[2:3]
	s_and_b64 s[0:1], vcc, s[0:1]
	s_and_saveexec_b64 s[4:5], s[0:1]
	s_xor_b64 s[0:1], exec, s[4:5]
; %bb.1016:
	v_cmp_ne_u32_e32 vcc, 0, v15
	s_nop 1
	v_cndmask_b32_e32 v15, 44, v15, vcc
; %bb.1017:
	s_andn2_saveexec_b64 s[0:1], s[0:1]
	s_cbranch_execz .LBB124_1023
; %bb.1018:
	v_cmp_ngt_f64_e64 s[4:5], |v[0:1]|, |v[2:3]|
	s_and_saveexec_b64 s[12:13], s[4:5]
	s_xor_b64 s[12:13], exec, s[12:13]
	s_cbranch_execz .LBB124_1020
; %bb.1019:
	v_div_scale_f64 v[6:7], s[4:5], v[2:3], v[2:3], v[0:1]
	v_rcp_f64_e32 v[18:19], v[6:7]
	v_div_scale_f64 v[20:21], vcc, v[0:1], v[2:3], v[0:1]
	v_fma_f64 v[22:23], -v[6:7], v[18:19], 1.0
	v_fmac_f64_e32 v[18:19], v[18:19], v[22:23]
	v_fma_f64 v[22:23], -v[6:7], v[18:19], 1.0
	v_fmac_f64_e32 v[18:19], v[18:19], v[22:23]
	v_mul_f64 v[22:23], v[20:21], v[18:19]
	v_fma_f64 v[6:7], -v[6:7], v[22:23], v[20:21]
	v_div_fmas_f64 v[6:7], v[6:7], v[18:19], v[22:23]
	v_div_fixup_f64 v[6:7], v[6:7], v[2:3], v[0:1]
	v_fmac_f64_e32 v[2:3], v[0:1], v[6:7]
	v_div_scale_f64 v[0:1], s[4:5], v[2:3], v[2:3], 1.0
	v_rcp_f64_e32 v[18:19], v[0:1]
	s_nop 0
	v_fma_f64 v[20:21], -v[0:1], v[18:19], 1.0
	v_fmac_f64_e32 v[18:19], v[18:19], v[20:21]
	v_fma_f64 v[20:21], -v[0:1], v[18:19], 1.0
	v_fmac_f64_e32 v[18:19], v[18:19], v[20:21]
	v_div_scale_f64 v[20:21], vcc, 1.0, v[2:3], 1.0
	v_mul_f64 v[22:23], v[20:21], v[18:19]
	v_fma_f64 v[0:1], -v[0:1], v[22:23], v[20:21]
	s_nop 1
	v_div_fmas_f64 v[0:1], v[0:1], v[18:19], v[22:23]
	v_div_fixup_f64 v[2:3], v[0:1], v[2:3], 1.0
	v_mul_f64 v[0:1], v[6:7], v[2:3]
	v_xor_b32_e32 v3, 0x80000000, v3
.LBB124_1020:
	s_andn2_saveexec_b64 s[12:13], s[12:13]
	s_cbranch_execz .LBB124_1022
; %bb.1021:
	v_div_scale_f64 v[6:7], s[4:5], v[0:1], v[0:1], v[2:3]
	v_rcp_f64_e32 v[18:19], v[6:7]
	v_div_scale_f64 v[20:21], vcc, v[2:3], v[0:1], v[2:3]
	v_fma_f64 v[22:23], -v[6:7], v[18:19], 1.0
	v_fmac_f64_e32 v[18:19], v[18:19], v[22:23]
	v_fma_f64 v[22:23], -v[6:7], v[18:19], 1.0
	v_fmac_f64_e32 v[18:19], v[18:19], v[22:23]
	v_mul_f64 v[22:23], v[20:21], v[18:19]
	v_fma_f64 v[6:7], -v[6:7], v[22:23], v[20:21]
	v_div_fmas_f64 v[6:7], v[6:7], v[18:19], v[22:23]
	v_div_fixup_f64 v[6:7], v[6:7], v[0:1], v[2:3]
	v_fmac_f64_e32 v[0:1], v[2:3], v[6:7]
	v_div_scale_f64 v[2:3], s[4:5], v[0:1], v[0:1], 1.0
	v_rcp_f64_e32 v[18:19], v[2:3]
	s_nop 0
	v_fma_f64 v[20:21], -v[2:3], v[18:19], 1.0
	v_fmac_f64_e32 v[18:19], v[18:19], v[20:21]
	v_fma_f64 v[20:21], -v[2:3], v[18:19], 1.0
	v_fmac_f64_e32 v[18:19], v[18:19], v[20:21]
	v_div_scale_f64 v[20:21], vcc, 1.0, v[0:1], 1.0
	v_mul_f64 v[22:23], v[20:21], v[18:19]
	v_fma_f64 v[2:3], -v[2:3], v[22:23], v[20:21]
	s_nop 1
	v_div_fmas_f64 v[2:3], v[2:3], v[18:19], v[22:23]
	v_div_fixup_f64 v[0:1], v[2:3], v[0:1], 1.0
	v_mul_f64 v[2:3], v[6:7], -v[0:1]
.LBB124_1022:
	s_or_b64 exec, exec, s[12:13]
.LBB124_1023:
	s_or_b64 exec, exec, s[0:1]
	v_cmp_ne_u32_e32 vcc, v17, v4
	s_and_saveexec_b64 s[0:1], vcc
	s_xor_b64 s[0:1], exec, s[0:1]
	s_cbranch_execz .LBB124_1029
; %bb.1024:
	v_cmp_eq_u32_e32 vcc, 43, v17
	s_and_saveexec_b64 s[12:13], vcc
	s_cbranch_execz .LBB124_1028
; %bb.1025:
	v_cmp_ne_u32_e32 vcc, 43, v4
	s_xor_b64 s[4:5], s[18:19], -1
	s_and_b64 s[4:5], s[4:5], vcc
	s_and_saveexec_b64 s[14:15], s[4:5]
	s_cbranch_execz .LBB124_1027
; %bb.1026:
	v_ashrrev_i32_e32 v5, 31, v4
	v_lshl_add_u64 v[6:7], v[4:5], 2, v[10:11]
	global_load_dword v5, v[6:7], off
	global_load_dword v16, v[10:11], off offset:172
	s_waitcnt vmcnt(1)
	global_store_dword v[10:11], v5, off offset:172
	s_waitcnt vmcnt(1)
	global_store_dword v[6:7], v16, off
.LBB124_1027:
	s_or_b64 exec, exec, s[14:15]
	v_mov_b32_e32 v17, v4
	v_mov_b32_e32 v16, v4
.LBB124_1028:
	s_or_b64 exec, exec, s[12:13]
.LBB124_1029:
	s_andn2_saveexec_b64 s[0:1], s[0:1]
	s_cbranch_execz .LBB124_1031
; %bb.1030:
	scratch_load_dwordx4 v[4:7], off, s39
	scratch_load_dwordx4 v[18:21], off, s38
	;; [unrolled: 1-line block ×19, first 2 shown]
	v_mov_b32_e32 v17, 43
	s_waitcnt vmcnt(18)
	ds_write2_b64 v14, v[4:5], v[6:7] offset0:88 offset1:89
	s_waitcnt vmcnt(17)
	ds_write2_b64 v14, v[18:19], v[20:21] offset0:90 offset1:91
	;; [unrolled: 2-line block ×19, first 2 shown]
.LBB124_1031:
	s_or_b64 exec, exec, s[0:1]
	v_cmp_lt_i32_e32 vcc, 43, v17
	s_waitcnt lgkmcnt(0)
	s_barrier
	s_and_saveexec_b64 s[0:1], vcc
	s_cbranch_execz .LBB124_1033
; %bb.1032:
	scratch_load_dwordx4 v[4:7], off, off offset:688
	s_waitcnt vmcnt(0)
	v_mul_f64 v[18:19], v[2:3], v[6:7]
	v_mul_f64 v[20:21], v[0:1], v[6:7]
	v_fma_f64 v[18:19], v[0:1], v[4:5], -v[18:19]
	v_fmac_f64_e32 v[20:21], v[2:3], v[4:5]
	ds_read2_b64 v[0:3], v14 offset0:88 offset1:89
	scratch_store_dwordx4 off, v[18:21], off offset:688
	s_waitcnt lgkmcnt(0)
	v_mul_f64 v[4:5], v[2:3], v[20:21]
	v_mul_f64 v[6:7], v[0:1], v[20:21]
	v_fma_f64 v[4:5], v[0:1], v[18:19], -v[4:5]
	v_fmac_f64_e32 v[6:7], v[2:3], v[18:19]
	scratch_load_dwordx4 v[0:3], off, off offset:704
	s_waitcnt vmcnt(0)
	v_add_f64 v[0:1], v[0:1], -v[4:5]
	v_add_f64 v[2:3], v[2:3], -v[6:7]
	scratch_store_dwordx4 off, v[0:3], off offset:704
	ds_read2_b64 v[0:3], v14 offset0:90 offset1:91
	s_waitcnt lgkmcnt(0)
	v_mul_f64 v[4:5], v[2:3], v[20:21]
	v_mul_f64 v[6:7], v[0:1], v[20:21]
	v_fma_f64 v[4:5], v[0:1], v[18:19], -v[4:5]
	v_fmac_f64_e32 v[6:7], v[2:3], v[18:19]
	scratch_load_dwordx4 v[0:3], off, off offset:720
	s_waitcnt vmcnt(0)
	v_add_f64 v[0:1], v[0:1], -v[4:5]
	v_add_f64 v[2:3], v[2:3], -v[6:7]
	scratch_store_dwordx4 off, v[0:3], off offset:720
	ds_read2_b64 v[0:3], v14 offset0:92 offset1:93
	;; [unrolled: 11-line block ×6, first 2 shown]
	scratch_load_dwordx2 v[18:19], off, off offset:688
	scratch_load_dwordx4 v[0:3], off, off offset:688
	s_waitcnt vmcnt(0) lgkmcnt(0)
	v_mul_f64 v[20:21], v[6:7], v[2:3]
	v_mul_f64 v[22:23], v[4:5], v[2:3]
	v_fma_f64 v[20:21], v[4:5], v[18:19], -v[20:21]
	v_fmac_f64_e32 v[22:23], v[6:7], v[18:19]
	scratch_load_dwordx4 v[4:7], off, off offset:800
	s_waitcnt vmcnt(0)
	v_add_f64 v[4:5], v[4:5], -v[20:21]
	v_add_f64 v[6:7], v[6:7], -v[22:23]
	scratch_store_dwordx4 off, v[4:7], off offset:800
	ds_read2_b64 v[4:7], v14 offset0:102 offset1:103
	s_waitcnt lgkmcnt(0)
	v_mul_f64 v[20:21], v[6:7], v[2:3]
	v_mul_f64 v[22:23], v[4:5], v[2:3]
	v_fma_f64 v[20:21], v[4:5], v[18:19], -v[20:21]
	v_fmac_f64_e32 v[22:23], v[6:7], v[18:19]
	scratch_load_dwordx4 v[4:7], off, off offset:816
	s_waitcnt vmcnt(0)
	v_add_f64 v[4:5], v[4:5], -v[20:21]
	v_add_f64 v[6:7], v[6:7], -v[22:23]
	scratch_store_dwordx4 off, v[4:7], off offset:816
	ds_read2_b64 v[4:7], v14 offset0:104 offset1:105
	s_waitcnt lgkmcnt(0)
	;; [unrolled: 11-line block ×5, first 2 shown]
	v_mul_f64 v[20:21], v[6:7], v[2:3]
	v_fma_f64 v[20:21], v[4:5], v[18:19], -v[20:21]
	v_mul_f64 v[22:23], v[4:5], v[2:3]
	scratch_load_dwordx4 v[2:5], off, off offset:880
	v_fmac_f64_e32 v[22:23], v[6:7], v[18:19]
	s_waitcnt vmcnt(0)
	v_add_f64 v[2:3], v[2:3], -v[20:21]
	v_add_f64 v[4:5], v[4:5], -v[22:23]
	scratch_store_dwordx4 off, v[2:5], off offset:880
	ds_read2_b64 v[18:21], v14 offset0:112 offset1:113
	scratch_load_dwordx2 v[2:3], off, off offset:688
	scratch_load_dwordx2 v[4:5], off, off offset:696
	s_waitcnt vmcnt(0) lgkmcnt(0)
	v_mul_f64 v[6:7], v[20:21], v[4:5]
	v_mul_f64 v[22:23], v[18:19], v[4:5]
	v_fma_f64 v[6:7], v[18:19], v[2:3], -v[6:7]
	v_fmac_f64_e32 v[22:23], v[20:21], v[2:3]
	scratch_load_dwordx4 v[18:21], off, off offset:896
	s_waitcnt vmcnt(0)
	v_add_f64 v[18:19], v[18:19], -v[6:7]
	v_add_f64 v[20:21], v[20:21], -v[22:23]
	scratch_store_dwordx4 off, v[18:21], off offset:896
	ds_read2_b64 v[18:21], v14 offset0:114 offset1:115
	s_waitcnt lgkmcnt(0)
	v_mul_f64 v[6:7], v[20:21], v[4:5]
	v_mul_f64 v[22:23], v[18:19], v[4:5]
	v_fma_f64 v[6:7], v[18:19], v[2:3], -v[6:7]
	v_fmac_f64_e32 v[22:23], v[20:21], v[2:3]
	scratch_load_dwordx4 v[18:21], off, off offset:912
	s_waitcnt vmcnt(0)
	v_add_f64 v[18:19], v[18:19], -v[6:7]
	v_add_f64 v[20:21], v[20:21], -v[22:23]
	scratch_store_dwordx4 off, v[18:21], off offset:912
	ds_read2_b64 v[18:21], v14 offset0:116 offset1:117
	s_waitcnt lgkmcnt(0)
	;; [unrolled: 11-line block ×5, first 2 shown]
	v_mul_f64 v[6:7], v[20:21], v[4:5]
	v_fma_f64 v[6:7], v[18:19], v[2:3], -v[6:7]
	v_mul_f64 v[18:19], v[18:19], v[4:5]
	v_fmac_f64_e32 v[18:19], v[20:21], v[2:3]
	scratch_load_dwordx4 v[2:5], off, off offset:976
	s_waitcnt vmcnt(0)
	v_add_f64 v[2:3], v[2:3], -v[6:7]
	scratch_load_dwordx2 v[6:7], off, off offset:696
	v_add_f64 v[4:5], v[4:5], -v[18:19]
	scratch_store_dwordx4 off, v[2:5], off offset:976
	ds_read2_b64 v[2:5], v14 offset0:124 offset1:125
	s_waitcnt vmcnt(1) lgkmcnt(0)
	v_mul_f64 v[18:19], v[4:5], v[6:7]
	v_mul_f64 v[6:7], v[2:3], v[6:7]
	v_fma_f64 v[18:19], v[2:3], v[0:1], -v[18:19]
	v_fmac_f64_e32 v[6:7], v[4:5], v[0:1]
	scratch_load_dwordx4 v[0:3], off, off offset:992
	s_waitcnt vmcnt(0)
	v_add_f64 v[0:1], v[0:1], -v[18:19]
	v_add_f64 v[2:3], v[2:3], -v[6:7]
	scratch_store_dwordx4 off, v[0:3], off offset:992
.LBB124_1033:
	s_or_b64 exec, exec, s[0:1]
	s_barrier
	scratch_load_dwordx4 v[0:3], off, s39
	v_lshl_add_u32 v4, v17, 4, v14
	s_cmp_lt_i32 s52, 46
	s_waitcnt vmcnt(0)
	ds_write2_b64 v4, v[0:1], v[2:3] offset1:1
	s_waitcnt lgkmcnt(0)
	s_barrier
	ds_read2_b64 v[0:3], v14 offset0:88 offset1:89
	v_mov_b32_e32 v4, 44
	s_cbranch_scc1 .LBB124_1036
; %bb.1034:
	v_add_u32_e32 v5, 0x2d0, v14
	s_mov_b32 s4, 45
	v_mov_b32_e32 v4, 44
.LBB124_1035:                           ; =>This Inner Loop Header: Depth=1
	ds_read2_b64 v[18:21], v5 offset1:1
	s_waitcnt lgkmcnt(1)
	v_xor_b32_e32 v7, 0x80000000, v1
	v_xor_b32_e32 v23, 0x80000000, v3
	v_cmp_gt_f64_e32 vcc, 0, v[2:3]
	v_cmp_gt_f64_e64 s[0:1], 0, v[0:1]
	v_mov_b32_e32 v6, v0
	v_mov_b32_e32 v22, v2
	v_cndmask_b32_e64 v7, v1, v7, s[0:1]
	v_cndmask_b32_e32 v23, v3, v23, vcc
	v_add_f64 v[6:7], v[6:7], v[22:23]
	s_waitcnt lgkmcnt(0)
	v_xor_b32_e32 v23, 0x80000000, v19
	v_xor_b32_e32 v25, 0x80000000, v21
	v_cmp_gt_f64_e32 vcc, 0, v[20:21]
	v_cmp_gt_f64_e64 s[0:1], 0, v[18:19]
	v_mov_b32_e32 v22, v18
	v_mov_b32_e32 v24, v20
	v_cndmask_b32_e64 v23, v19, v23, s[0:1]
	v_cndmask_b32_e32 v25, v21, v25, vcc
	v_add_f64 v[22:23], v[22:23], v[24:25]
	v_mov_b32_e32 v26, s4
	s_add_i32 s4, s4, 1
	v_cmp_lt_f64_e32 vcc, v[6:7], v[22:23]
	v_add_u32_e32 v5, 16, v5
	s_cmp_lg_u32 s52, s4
	v_cndmask_b32_e32 v1, v1, v19, vcc
	v_cndmask_b32_e32 v0, v0, v18, vcc
	;; [unrolled: 1-line block ×5, first 2 shown]
	s_cbranch_scc1 .LBB124_1035
.LBB124_1036:
	s_waitcnt lgkmcnt(0)
	v_cmp_eq_f64_e32 vcc, 0, v[0:1]
	v_cmp_eq_f64_e64 s[0:1], 0, v[2:3]
	s_and_b64 s[0:1], vcc, s[0:1]
	s_and_saveexec_b64 s[4:5], s[0:1]
	s_xor_b64 s[0:1], exec, s[4:5]
; %bb.1037:
	v_cmp_ne_u32_e32 vcc, 0, v15
	s_nop 1
	v_cndmask_b32_e32 v15, 45, v15, vcc
; %bb.1038:
	s_andn2_saveexec_b64 s[0:1], s[0:1]
	s_cbranch_execz .LBB124_1044
; %bb.1039:
	v_cmp_ngt_f64_e64 s[4:5], |v[0:1]|, |v[2:3]|
	s_and_saveexec_b64 s[12:13], s[4:5]
	s_xor_b64 s[12:13], exec, s[12:13]
	s_cbranch_execz .LBB124_1041
; %bb.1040:
	v_div_scale_f64 v[6:7], s[4:5], v[2:3], v[2:3], v[0:1]
	v_rcp_f64_e32 v[18:19], v[6:7]
	v_div_scale_f64 v[20:21], vcc, v[0:1], v[2:3], v[0:1]
	v_fma_f64 v[22:23], -v[6:7], v[18:19], 1.0
	v_fmac_f64_e32 v[18:19], v[18:19], v[22:23]
	v_fma_f64 v[22:23], -v[6:7], v[18:19], 1.0
	v_fmac_f64_e32 v[18:19], v[18:19], v[22:23]
	v_mul_f64 v[22:23], v[20:21], v[18:19]
	v_fma_f64 v[6:7], -v[6:7], v[22:23], v[20:21]
	v_div_fmas_f64 v[6:7], v[6:7], v[18:19], v[22:23]
	v_div_fixup_f64 v[6:7], v[6:7], v[2:3], v[0:1]
	v_fmac_f64_e32 v[2:3], v[0:1], v[6:7]
	v_div_scale_f64 v[0:1], s[4:5], v[2:3], v[2:3], 1.0
	v_rcp_f64_e32 v[18:19], v[0:1]
	s_nop 0
	v_fma_f64 v[20:21], -v[0:1], v[18:19], 1.0
	v_fmac_f64_e32 v[18:19], v[18:19], v[20:21]
	v_fma_f64 v[20:21], -v[0:1], v[18:19], 1.0
	v_fmac_f64_e32 v[18:19], v[18:19], v[20:21]
	v_div_scale_f64 v[20:21], vcc, 1.0, v[2:3], 1.0
	v_mul_f64 v[22:23], v[20:21], v[18:19]
	v_fma_f64 v[0:1], -v[0:1], v[22:23], v[20:21]
	s_nop 1
	v_div_fmas_f64 v[0:1], v[0:1], v[18:19], v[22:23]
	v_div_fixup_f64 v[2:3], v[0:1], v[2:3], 1.0
	v_mul_f64 v[0:1], v[6:7], v[2:3]
	v_xor_b32_e32 v3, 0x80000000, v3
.LBB124_1041:
	s_andn2_saveexec_b64 s[12:13], s[12:13]
	s_cbranch_execz .LBB124_1043
; %bb.1042:
	v_div_scale_f64 v[6:7], s[4:5], v[0:1], v[0:1], v[2:3]
	v_rcp_f64_e32 v[18:19], v[6:7]
	v_div_scale_f64 v[20:21], vcc, v[2:3], v[0:1], v[2:3]
	v_fma_f64 v[22:23], -v[6:7], v[18:19], 1.0
	v_fmac_f64_e32 v[18:19], v[18:19], v[22:23]
	v_fma_f64 v[22:23], -v[6:7], v[18:19], 1.0
	v_fmac_f64_e32 v[18:19], v[18:19], v[22:23]
	v_mul_f64 v[22:23], v[20:21], v[18:19]
	v_fma_f64 v[6:7], -v[6:7], v[22:23], v[20:21]
	v_div_fmas_f64 v[6:7], v[6:7], v[18:19], v[22:23]
	v_div_fixup_f64 v[6:7], v[6:7], v[0:1], v[2:3]
	v_fmac_f64_e32 v[0:1], v[2:3], v[6:7]
	v_div_scale_f64 v[2:3], s[4:5], v[0:1], v[0:1], 1.0
	v_rcp_f64_e32 v[18:19], v[2:3]
	s_nop 0
	v_fma_f64 v[20:21], -v[2:3], v[18:19], 1.0
	v_fmac_f64_e32 v[18:19], v[18:19], v[20:21]
	v_fma_f64 v[20:21], -v[2:3], v[18:19], 1.0
	v_fmac_f64_e32 v[18:19], v[18:19], v[20:21]
	v_div_scale_f64 v[20:21], vcc, 1.0, v[0:1], 1.0
	v_mul_f64 v[22:23], v[20:21], v[18:19]
	v_fma_f64 v[2:3], -v[2:3], v[22:23], v[20:21]
	s_nop 1
	v_div_fmas_f64 v[2:3], v[2:3], v[18:19], v[22:23]
	v_div_fixup_f64 v[0:1], v[2:3], v[0:1], 1.0
	v_mul_f64 v[2:3], v[6:7], -v[0:1]
.LBB124_1043:
	s_or_b64 exec, exec, s[12:13]
.LBB124_1044:
	s_or_b64 exec, exec, s[0:1]
	v_cmp_ne_u32_e32 vcc, v17, v4
	s_and_saveexec_b64 s[0:1], vcc
	s_xor_b64 s[0:1], exec, s[0:1]
	s_cbranch_execz .LBB124_1050
; %bb.1045:
	v_cmp_eq_u32_e32 vcc, 44, v17
	s_and_saveexec_b64 s[12:13], vcc
	s_cbranch_execz .LBB124_1049
; %bb.1046:
	v_cmp_ne_u32_e32 vcc, 44, v4
	s_xor_b64 s[4:5], s[18:19], -1
	s_and_b64 s[4:5], s[4:5], vcc
	s_and_saveexec_b64 s[14:15], s[4:5]
	s_cbranch_execz .LBB124_1048
; %bb.1047:
	v_ashrrev_i32_e32 v5, 31, v4
	v_lshl_add_u64 v[6:7], v[4:5], 2, v[10:11]
	global_load_dword v5, v[6:7], off
	global_load_dword v16, v[10:11], off offset:176
	s_waitcnt vmcnt(1)
	global_store_dword v[10:11], v5, off offset:176
	s_waitcnt vmcnt(1)
	global_store_dword v[6:7], v16, off
.LBB124_1048:
	s_or_b64 exec, exec, s[14:15]
	v_mov_b32_e32 v17, v4
	v_mov_b32_e32 v16, v4
.LBB124_1049:
	s_or_b64 exec, exec, s[12:13]
.LBB124_1050:
	s_andn2_saveexec_b64 s[0:1], s[0:1]
	s_cbranch_execz .LBB124_1052
; %bb.1051:
	scratch_load_dwordx4 v[4:7], off, s38
	scratch_load_dwordx4 v[18:21], off, s37
	;; [unrolled: 1-line block ×18, first 2 shown]
	v_mov_b32_e32 v17, 44
	s_waitcnt vmcnt(17)
	ds_write2_b64 v14, v[4:5], v[6:7] offset0:90 offset1:91
	s_waitcnt vmcnt(16)
	ds_write2_b64 v14, v[18:19], v[20:21] offset0:92 offset1:93
	;; [unrolled: 2-line block ×18, first 2 shown]
.LBB124_1052:
	s_or_b64 exec, exec, s[0:1]
	v_cmp_lt_i32_e32 vcc, 44, v17
	s_waitcnt lgkmcnt(0)
	s_barrier
	s_and_saveexec_b64 s[0:1], vcc
	s_cbranch_execz .LBB124_1054
; %bb.1053:
	scratch_load_dwordx4 v[4:7], off, off offset:704
	s_waitcnt vmcnt(0)
	v_mul_f64 v[18:19], v[2:3], v[6:7]
	v_mul_f64 v[20:21], v[0:1], v[6:7]
	v_fma_f64 v[18:19], v[0:1], v[4:5], -v[18:19]
	v_fmac_f64_e32 v[20:21], v[2:3], v[4:5]
	ds_read2_b64 v[0:3], v14 offset0:90 offset1:91
	scratch_store_dwordx4 off, v[18:21], off offset:704
	s_waitcnt lgkmcnt(0)
	v_mul_f64 v[4:5], v[2:3], v[20:21]
	v_mul_f64 v[6:7], v[0:1], v[20:21]
	v_fma_f64 v[4:5], v[0:1], v[18:19], -v[4:5]
	v_fmac_f64_e32 v[6:7], v[2:3], v[18:19]
	scratch_load_dwordx4 v[0:3], off, off offset:720
	s_waitcnt vmcnt(0)
	v_add_f64 v[0:1], v[0:1], -v[4:5]
	v_add_f64 v[2:3], v[2:3], -v[6:7]
	scratch_store_dwordx4 off, v[0:3], off offset:720
	ds_read2_b64 v[0:3], v14 offset0:92 offset1:93
	s_waitcnt lgkmcnt(0)
	v_mul_f64 v[4:5], v[2:3], v[20:21]
	v_mul_f64 v[6:7], v[0:1], v[20:21]
	v_fma_f64 v[4:5], v[0:1], v[18:19], -v[4:5]
	v_fmac_f64_e32 v[6:7], v[2:3], v[18:19]
	scratch_load_dwordx4 v[0:3], off, off offset:736
	s_waitcnt vmcnt(0)
	v_add_f64 v[0:1], v[0:1], -v[4:5]
	v_add_f64 v[2:3], v[2:3], -v[6:7]
	scratch_store_dwordx4 off, v[0:3], off offset:736
	ds_read2_b64 v[0:3], v14 offset0:94 offset1:95
	;; [unrolled: 11-line block ×6, first 2 shown]
	scratch_load_dwordx2 v[18:19], off, off offset:704
	scratch_load_dwordx4 v[0:3], off, off offset:704
	s_waitcnt vmcnt(0) lgkmcnt(0)
	v_mul_f64 v[20:21], v[6:7], v[2:3]
	v_mul_f64 v[22:23], v[4:5], v[2:3]
	v_fma_f64 v[20:21], v[4:5], v[18:19], -v[20:21]
	v_fmac_f64_e32 v[22:23], v[6:7], v[18:19]
	scratch_load_dwordx4 v[4:7], off, off offset:816
	s_waitcnt vmcnt(0)
	v_add_f64 v[4:5], v[4:5], -v[20:21]
	v_add_f64 v[6:7], v[6:7], -v[22:23]
	scratch_store_dwordx4 off, v[4:7], off offset:816
	ds_read2_b64 v[4:7], v14 offset0:104 offset1:105
	s_waitcnt lgkmcnt(0)
	v_mul_f64 v[20:21], v[6:7], v[2:3]
	v_mul_f64 v[22:23], v[4:5], v[2:3]
	v_fma_f64 v[20:21], v[4:5], v[18:19], -v[20:21]
	v_fmac_f64_e32 v[22:23], v[6:7], v[18:19]
	scratch_load_dwordx4 v[4:7], off, off offset:832
	s_waitcnt vmcnt(0)
	v_add_f64 v[4:5], v[4:5], -v[20:21]
	v_add_f64 v[6:7], v[6:7], -v[22:23]
	scratch_store_dwordx4 off, v[4:7], off offset:832
	ds_read2_b64 v[4:7], v14 offset0:106 offset1:107
	s_waitcnt lgkmcnt(0)
	;; [unrolled: 11-line block ×5, first 2 shown]
	v_mul_f64 v[20:21], v[6:7], v[2:3]
	v_fma_f64 v[20:21], v[4:5], v[18:19], -v[20:21]
	v_mul_f64 v[22:23], v[4:5], v[2:3]
	scratch_load_dwordx4 v[2:5], off, off offset:896
	v_fmac_f64_e32 v[22:23], v[6:7], v[18:19]
	s_waitcnt vmcnt(0)
	v_add_f64 v[2:3], v[2:3], -v[20:21]
	v_add_f64 v[4:5], v[4:5], -v[22:23]
	scratch_store_dwordx4 off, v[2:5], off offset:896
	scratch_load_dwordx2 v[2:3], off, off offset:712
	ds_read2_b64 v[4:7], v14 offset0:114 offset1:115
	s_waitcnt vmcnt(0) lgkmcnt(0)
	v_mul_f64 v[18:19], v[6:7], v[2:3]
	v_mul_f64 v[20:21], v[4:5], v[2:3]
	v_fma_f64 v[18:19], v[4:5], v[0:1], -v[18:19]
	v_fmac_f64_e32 v[20:21], v[6:7], v[0:1]
	scratch_load_dwordx4 v[4:7], off, off offset:912
	s_waitcnt vmcnt(0)
	v_add_f64 v[4:5], v[4:5], -v[18:19]
	v_add_f64 v[6:7], v[6:7], -v[20:21]
	scratch_store_dwordx4 off, v[4:7], off offset:912
	ds_read2_b64 v[4:7], v14 offset0:116 offset1:117
	s_waitcnt lgkmcnt(0)
	v_mul_f64 v[18:19], v[6:7], v[2:3]
	v_mul_f64 v[20:21], v[4:5], v[2:3]
	v_fma_f64 v[18:19], v[4:5], v[0:1], -v[18:19]
	v_fmac_f64_e32 v[20:21], v[6:7], v[0:1]
	scratch_load_dwordx4 v[4:7], off, off offset:928
	s_waitcnt vmcnt(0)
	v_add_f64 v[4:5], v[4:5], -v[18:19]
	v_add_f64 v[6:7], v[6:7], -v[20:21]
	scratch_store_dwordx4 off, v[4:7], off offset:928
	ds_read2_b64 v[4:7], v14 offset0:118 offset1:119
	s_waitcnt lgkmcnt(0)
	;; [unrolled: 11-line block ×5, first 2 shown]
	v_mul_f64 v[18:19], v[6:7], v[2:3]
	v_fma_f64 v[18:19], v[4:5], v[0:1], -v[18:19]
	v_mul_f64 v[4:5], v[4:5], v[2:3]
	v_fmac_f64_e32 v[4:5], v[6:7], v[0:1]
	scratch_load_dwordx4 v[0:3], off, off offset:992
	s_waitcnt vmcnt(0)
	v_add_f64 v[0:1], v[0:1], -v[18:19]
	v_add_f64 v[2:3], v[2:3], -v[4:5]
	scratch_store_dwordx4 off, v[0:3], off offset:992
.LBB124_1054:
	s_or_b64 exec, exec, s[0:1]
	s_barrier
	scratch_load_dwordx4 v[0:3], off, s38
	v_lshl_add_u32 v4, v17, 4, v14
	s_cmp_lt_i32 s52, 47
	s_waitcnt vmcnt(0)
	ds_write2_b64 v4, v[0:1], v[2:3] offset1:1
	s_waitcnt lgkmcnt(0)
	s_barrier
	ds_read2_b64 v[0:3], v14 offset0:90 offset1:91
	v_mov_b32_e32 v4, 45
	s_cbranch_scc1 .LBB124_1057
; %bb.1055:
	v_add_u32_e32 v5, 0x2e0, v14
	s_mov_b32 s4, 46
	v_mov_b32_e32 v4, 45
.LBB124_1056:                           ; =>This Inner Loop Header: Depth=1
	ds_read2_b64 v[18:21], v5 offset1:1
	s_waitcnt lgkmcnt(1)
	v_xor_b32_e32 v7, 0x80000000, v1
	v_xor_b32_e32 v23, 0x80000000, v3
	v_cmp_gt_f64_e32 vcc, 0, v[2:3]
	v_cmp_gt_f64_e64 s[0:1], 0, v[0:1]
	v_mov_b32_e32 v6, v0
	v_mov_b32_e32 v22, v2
	v_cndmask_b32_e64 v7, v1, v7, s[0:1]
	v_cndmask_b32_e32 v23, v3, v23, vcc
	v_add_f64 v[6:7], v[6:7], v[22:23]
	s_waitcnt lgkmcnt(0)
	v_xor_b32_e32 v23, 0x80000000, v19
	v_xor_b32_e32 v25, 0x80000000, v21
	v_cmp_gt_f64_e32 vcc, 0, v[20:21]
	v_cmp_gt_f64_e64 s[0:1], 0, v[18:19]
	v_mov_b32_e32 v22, v18
	v_mov_b32_e32 v24, v20
	v_cndmask_b32_e64 v23, v19, v23, s[0:1]
	v_cndmask_b32_e32 v25, v21, v25, vcc
	v_add_f64 v[22:23], v[22:23], v[24:25]
	v_mov_b32_e32 v26, s4
	s_add_i32 s4, s4, 1
	v_cmp_lt_f64_e32 vcc, v[6:7], v[22:23]
	v_add_u32_e32 v5, 16, v5
	s_cmp_lg_u32 s52, s4
	v_cndmask_b32_e32 v1, v1, v19, vcc
	v_cndmask_b32_e32 v0, v0, v18, vcc
	;; [unrolled: 1-line block ×5, first 2 shown]
	s_cbranch_scc1 .LBB124_1056
.LBB124_1057:
	s_waitcnt lgkmcnt(0)
	v_cmp_eq_f64_e32 vcc, 0, v[0:1]
	v_cmp_eq_f64_e64 s[0:1], 0, v[2:3]
	s_and_b64 s[0:1], vcc, s[0:1]
	s_and_saveexec_b64 s[4:5], s[0:1]
	s_xor_b64 s[0:1], exec, s[4:5]
; %bb.1058:
	v_cmp_ne_u32_e32 vcc, 0, v15
	s_nop 1
	v_cndmask_b32_e32 v15, 46, v15, vcc
; %bb.1059:
	s_andn2_saveexec_b64 s[0:1], s[0:1]
	s_cbranch_execz .LBB124_1065
; %bb.1060:
	v_cmp_ngt_f64_e64 s[4:5], |v[0:1]|, |v[2:3]|
	s_and_saveexec_b64 s[12:13], s[4:5]
	s_xor_b64 s[12:13], exec, s[12:13]
	s_cbranch_execz .LBB124_1062
; %bb.1061:
	v_div_scale_f64 v[6:7], s[4:5], v[2:3], v[2:3], v[0:1]
	v_rcp_f64_e32 v[18:19], v[6:7]
	v_div_scale_f64 v[20:21], vcc, v[0:1], v[2:3], v[0:1]
	v_fma_f64 v[22:23], -v[6:7], v[18:19], 1.0
	v_fmac_f64_e32 v[18:19], v[18:19], v[22:23]
	v_fma_f64 v[22:23], -v[6:7], v[18:19], 1.0
	v_fmac_f64_e32 v[18:19], v[18:19], v[22:23]
	v_mul_f64 v[22:23], v[20:21], v[18:19]
	v_fma_f64 v[6:7], -v[6:7], v[22:23], v[20:21]
	v_div_fmas_f64 v[6:7], v[6:7], v[18:19], v[22:23]
	v_div_fixup_f64 v[6:7], v[6:7], v[2:3], v[0:1]
	v_fmac_f64_e32 v[2:3], v[0:1], v[6:7]
	v_div_scale_f64 v[0:1], s[4:5], v[2:3], v[2:3], 1.0
	v_rcp_f64_e32 v[18:19], v[0:1]
	s_nop 0
	v_fma_f64 v[20:21], -v[0:1], v[18:19], 1.0
	v_fmac_f64_e32 v[18:19], v[18:19], v[20:21]
	v_fma_f64 v[20:21], -v[0:1], v[18:19], 1.0
	v_fmac_f64_e32 v[18:19], v[18:19], v[20:21]
	v_div_scale_f64 v[20:21], vcc, 1.0, v[2:3], 1.0
	v_mul_f64 v[22:23], v[20:21], v[18:19]
	v_fma_f64 v[0:1], -v[0:1], v[22:23], v[20:21]
	s_nop 1
	v_div_fmas_f64 v[0:1], v[0:1], v[18:19], v[22:23]
	v_div_fixup_f64 v[2:3], v[0:1], v[2:3], 1.0
	v_mul_f64 v[0:1], v[6:7], v[2:3]
	v_xor_b32_e32 v3, 0x80000000, v3
.LBB124_1062:
	s_andn2_saveexec_b64 s[12:13], s[12:13]
	s_cbranch_execz .LBB124_1064
; %bb.1063:
	v_div_scale_f64 v[6:7], s[4:5], v[0:1], v[0:1], v[2:3]
	v_rcp_f64_e32 v[18:19], v[6:7]
	v_div_scale_f64 v[20:21], vcc, v[2:3], v[0:1], v[2:3]
	v_fma_f64 v[22:23], -v[6:7], v[18:19], 1.0
	v_fmac_f64_e32 v[18:19], v[18:19], v[22:23]
	v_fma_f64 v[22:23], -v[6:7], v[18:19], 1.0
	v_fmac_f64_e32 v[18:19], v[18:19], v[22:23]
	v_mul_f64 v[22:23], v[20:21], v[18:19]
	v_fma_f64 v[6:7], -v[6:7], v[22:23], v[20:21]
	v_div_fmas_f64 v[6:7], v[6:7], v[18:19], v[22:23]
	v_div_fixup_f64 v[6:7], v[6:7], v[0:1], v[2:3]
	v_fmac_f64_e32 v[0:1], v[2:3], v[6:7]
	v_div_scale_f64 v[2:3], s[4:5], v[0:1], v[0:1], 1.0
	v_rcp_f64_e32 v[18:19], v[2:3]
	s_nop 0
	v_fma_f64 v[20:21], -v[2:3], v[18:19], 1.0
	v_fmac_f64_e32 v[18:19], v[18:19], v[20:21]
	v_fma_f64 v[20:21], -v[2:3], v[18:19], 1.0
	v_fmac_f64_e32 v[18:19], v[18:19], v[20:21]
	v_div_scale_f64 v[20:21], vcc, 1.0, v[0:1], 1.0
	v_mul_f64 v[22:23], v[20:21], v[18:19]
	v_fma_f64 v[2:3], -v[2:3], v[22:23], v[20:21]
	s_nop 1
	v_div_fmas_f64 v[2:3], v[2:3], v[18:19], v[22:23]
	v_div_fixup_f64 v[0:1], v[2:3], v[0:1], 1.0
	v_mul_f64 v[2:3], v[6:7], -v[0:1]
.LBB124_1064:
	s_or_b64 exec, exec, s[12:13]
.LBB124_1065:
	s_or_b64 exec, exec, s[0:1]
	v_cmp_ne_u32_e32 vcc, v17, v4
	s_and_saveexec_b64 s[0:1], vcc
	s_xor_b64 s[0:1], exec, s[0:1]
	s_cbranch_execz .LBB124_1071
; %bb.1066:
	v_cmp_eq_u32_e32 vcc, 45, v17
	s_and_saveexec_b64 s[12:13], vcc
	s_cbranch_execz .LBB124_1070
; %bb.1067:
	v_cmp_ne_u32_e32 vcc, 45, v4
	s_xor_b64 s[4:5], s[18:19], -1
	s_and_b64 s[4:5], s[4:5], vcc
	s_and_saveexec_b64 s[14:15], s[4:5]
	s_cbranch_execz .LBB124_1069
; %bb.1068:
	v_ashrrev_i32_e32 v5, 31, v4
	v_lshl_add_u64 v[6:7], v[4:5], 2, v[10:11]
	global_load_dword v5, v[6:7], off
	global_load_dword v16, v[10:11], off offset:180
	s_waitcnt vmcnt(1)
	global_store_dword v[10:11], v5, off offset:180
	s_waitcnt vmcnt(1)
	global_store_dword v[6:7], v16, off
.LBB124_1069:
	s_or_b64 exec, exec, s[14:15]
	v_mov_b32_e32 v17, v4
	v_mov_b32_e32 v16, v4
.LBB124_1070:
	s_or_b64 exec, exec, s[12:13]
.LBB124_1071:
	s_andn2_saveexec_b64 s[0:1], s[0:1]
	s_cbranch_execz .LBB124_1073
; %bb.1072:
	scratch_load_dwordx4 v[4:7], off, s37
	scratch_load_dwordx4 v[18:21], off, s36
	;; [unrolled: 1-line block ×17, first 2 shown]
	v_mov_b32_e32 v17, 45
	s_waitcnt vmcnt(16)
	ds_write2_b64 v14, v[4:5], v[6:7] offset0:92 offset1:93
	s_waitcnt vmcnt(15)
	ds_write2_b64 v14, v[18:19], v[20:21] offset0:94 offset1:95
	;; [unrolled: 2-line block ×17, first 2 shown]
.LBB124_1073:
	s_or_b64 exec, exec, s[0:1]
	v_cmp_lt_i32_e32 vcc, 45, v17
	s_waitcnt lgkmcnt(0)
	s_barrier
	s_and_saveexec_b64 s[0:1], vcc
	s_cbranch_execz .LBB124_1075
; %bb.1074:
	scratch_load_dwordx4 v[4:7], off, off offset:720
	s_waitcnt vmcnt(0)
	v_mul_f64 v[18:19], v[2:3], v[6:7]
	v_mul_f64 v[20:21], v[0:1], v[6:7]
	v_fma_f64 v[18:19], v[0:1], v[4:5], -v[18:19]
	v_fmac_f64_e32 v[20:21], v[2:3], v[4:5]
	ds_read2_b64 v[0:3], v14 offset0:92 offset1:93
	scratch_store_dwordx4 off, v[18:21], off offset:720
	s_waitcnt lgkmcnt(0)
	v_mul_f64 v[4:5], v[2:3], v[20:21]
	v_mul_f64 v[6:7], v[0:1], v[20:21]
	v_fma_f64 v[4:5], v[0:1], v[18:19], -v[4:5]
	v_fmac_f64_e32 v[6:7], v[2:3], v[18:19]
	scratch_load_dwordx4 v[0:3], off, off offset:736
	s_waitcnt vmcnt(0)
	v_add_f64 v[0:1], v[0:1], -v[4:5]
	v_add_f64 v[2:3], v[2:3], -v[6:7]
	scratch_store_dwordx4 off, v[0:3], off offset:736
	ds_read2_b64 v[0:3], v14 offset0:94 offset1:95
	s_waitcnt lgkmcnt(0)
	v_mul_f64 v[4:5], v[2:3], v[20:21]
	v_mul_f64 v[6:7], v[0:1], v[20:21]
	v_fma_f64 v[4:5], v[0:1], v[18:19], -v[4:5]
	v_fmac_f64_e32 v[6:7], v[2:3], v[18:19]
	scratch_load_dwordx4 v[0:3], off, off offset:752
	s_waitcnt vmcnt(0)
	v_add_f64 v[0:1], v[0:1], -v[4:5]
	v_add_f64 v[2:3], v[2:3], -v[6:7]
	scratch_store_dwordx4 off, v[0:3], off offset:752
	ds_read2_b64 v[0:3], v14 offset0:96 offset1:97
	;; [unrolled: 11-line block ×6, first 2 shown]
	scratch_load_dwordx2 v[18:19], off, off offset:720
	scratch_load_dwordx4 v[0:3], off, off offset:720
	s_waitcnt vmcnt(0) lgkmcnt(0)
	v_mul_f64 v[20:21], v[6:7], v[2:3]
	v_mul_f64 v[22:23], v[4:5], v[2:3]
	v_fma_f64 v[20:21], v[4:5], v[18:19], -v[20:21]
	v_fmac_f64_e32 v[22:23], v[6:7], v[18:19]
	scratch_load_dwordx4 v[4:7], off, off offset:832
	s_waitcnt vmcnt(0)
	v_add_f64 v[4:5], v[4:5], -v[20:21]
	v_add_f64 v[6:7], v[6:7], -v[22:23]
	scratch_store_dwordx4 off, v[4:7], off offset:832
	ds_read2_b64 v[4:7], v14 offset0:106 offset1:107
	s_waitcnt lgkmcnt(0)
	v_mul_f64 v[20:21], v[6:7], v[2:3]
	v_mul_f64 v[22:23], v[4:5], v[2:3]
	v_fma_f64 v[20:21], v[4:5], v[18:19], -v[20:21]
	v_fmac_f64_e32 v[22:23], v[6:7], v[18:19]
	scratch_load_dwordx4 v[4:7], off, off offset:848
	s_waitcnt vmcnt(0)
	v_add_f64 v[4:5], v[4:5], -v[20:21]
	v_add_f64 v[6:7], v[6:7], -v[22:23]
	scratch_store_dwordx4 off, v[4:7], off offset:848
	ds_read2_b64 v[4:7], v14 offset0:108 offset1:109
	s_waitcnt lgkmcnt(0)
	;; [unrolled: 11-line block ×5, first 2 shown]
	v_mul_f64 v[20:21], v[6:7], v[2:3]
	v_fma_f64 v[20:21], v[4:5], v[18:19], -v[20:21]
	v_mul_f64 v[22:23], v[4:5], v[2:3]
	scratch_load_dwordx4 v[2:5], off, off offset:912
	v_fmac_f64_e32 v[22:23], v[6:7], v[18:19]
	scratch_load_dwordx2 v[6:7], off, off offset:728
	s_waitcnt vmcnt(1)
	v_add_f64 v[2:3], v[2:3], -v[20:21]
	v_add_f64 v[4:5], v[4:5], -v[22:23]
	scratch_store_dwordx4 off, v[2:5], off offset:912
	ds_read2_b64 v[2:5], v14 offset0:116 offset1:117
	s_waitcnt vmcnt(1) lgkmcnt(0)
	v_mul_f64 v[18:19], v[4:5], v[6:7]
	v_mul_f64 v[20:21], v[2:3], v[6:7]
	v_fma_f64 v[18:19], v[2:3], v[0:1], -v[18:19]
	v_fmac_f64_e32 v[20:21], v[4:5], v[0:1]
	scratch_load_dwordx4 v[2:5], off, off offset:928
	s_waitcnt vmcnt(0)
	v_add_f64 v[2:3], v[2:3], -v[18:19]
	v_add_f64 v[4:5], v[4:5], -v[20:21]
	scratch_store_dwordx4 off, v[2:5], off offset:928
	ds_read2_b64 v[2:5], v14 offset0:118 offset1:119
	s_waitcnt lgkmcnt(0)
	v_mul_f64 v[18:19], v[4:5], v[6:7]
	v_mul_f64 v[20:21], v[2:3], v[6:7]
	v_fma_f64 v[18:19], v[2:3], v[0:1], -v[18:19]
	v_fmac_f64_e32 v[20:21], v[4:5], v[0:1]
	scratch_load_dwordx4 v[2:5], off, off offset:944
	s_waitcnt vmcnt(0)
	v_add_f64 v[2:3], v[2:3], -v[18:19]
	v_add_f64 v[4:5], v[4:5], -v[20:21]
	scratch_store_dwordx4 off, v[2:5], off offset:944
	ds_read2_b64 v[2:5], v14 offset0:120 offset1:121
	s_waitcnt lgkmcnt(0)
	;; [unrolled: 11-line block ×4, first 2 shown]
	v_mul_f64 v[18:19], v[4:5], v[6:7]
	v_mul_f64 v[6:7], v[2:3], v[6:7]
	v_fma_f64 v[18:19], v[2:3], v[0:1], -v[18:19]
	v_fmac_f64_e32 v[6:7], v[4:5], v[0:1]
	scratch_load_dwordx4 v[0:3], off, off offset:992
	s_waitcnt vmcnt(0)
	v_add_f64 v[0:1], v[0:1], -v[18:19]
	v_add_f64 v[2:3], v[2:3], -v[6:7]
	scratch_store_dwordx4 off, v[0:3], off offset:992
.LBB124_1075:
	s_or_b64 exec, exec, s[0:1]
	s_barrier
	scratch_load_dwordx4 v[0:3], off, s37
	v_lshl_add_u32 v4, v17, 4, v14
	s_cmp_lt_i32 s52, 48
	s_waitcnt vmcnt(0)
	ds_write2_b64 v4, v[0:1], v[2:3] offset1:1
	s_waitcnt lgkmcnt(0)
	s_barrier
	ds_read2_b64 v[0:3], v14 offset0:92 offset1:93
	v_mov_b32_e32 v4, 46
	s_cbranch_scc1 .LBB124_1078
; %bb.1076:
	v_add_u32_e32 v5, 0x2f0, v14
	s_mov_b32 s4, 47
	v_mov_b32_e32 v4, 46
.LBB124_1077:                           ; =>This Inner Loop Header: Depth=1
	ds_read2_b64 v[18:21], v5 offset1:1
	s_waitcnt lgkmcnt(1)
	v_xor_b32_e32 v7, 0x80000000, v1
	v_xor_b32_e32 v23, 0x80000000, v3
	v_cmp_gt_f64_e32 vcc, 0, v[2:3]
	v_cmp_gt_f64_e64 s[0:1], 0, v[0:1]
	v_mov_b32_e32 v6, v0
	v_mov_b32_e32 v22, v2
	v_cndmask_b32_e64 v7, v1, v7, s[0:1]
	v_cndmask_b32_e32 v23, v3, v23, vcc
	v_add_f64 v[6:7], v[6:7], v[22:23]
	s_waitcnt lgkmcnt(0)
	v_xor_b32_e32 v23, 0x80000000, v19
	v_xor_b32_e32 v25, 0x80000000, v21
	v_cmp_gt_f64_e32 vcc, 0, v[20:21]
	v_cmp_gt_f64_e64 s[0:1], 0, v[18:19]
	v_mov_b32_e32 v22, v18
	v_mov_b32_e32 v24, v20
	v_cndmask_b32_e64 v23, v19, v23, s[0:1]
	v_cndmask_b32_e32 v25, v21, v25, vcc
	v_add_f64 v[22:23], v[22:23], v[24:25]
	v_mov_b32_e32 v26, s4
	s_add_i32 s4, s4, 1
	v_cmp_lt_f64_e32 vcc, v[6:7], v[22:23]
	v_add_u32_e32 v5, 16, v5
	s_cmp_lg_u32 s52, s4
	v_cndmask_b32_e32 v1, v1, v19, vcc
	v_cndmask_b32_e32 v0, v0, v18, vcc
	;; [unrolled: 1-line block ×5, first 2 shown]
	s_cbranch_scc1 .LBB124_1077
.LBB124_1078:
	s_waitcnt lgkmcnt(0)
	v_cmp_eq_f64_e32 vcc, 0, v[0:1]
	v_cmp_eq_f64_e64 s[0:1], 0, v[2:3]
	s_and_b64 s[0:1], vcc, s[0:1]
	s_and_saveexec_b64 s[4:5], s[0:1]
	s_xor_b64 s[0:1], exec, s[4:5]
; %bb.1079:
	v_cmp_ne_u32_e32 vcc, 0, v15
	s_nop 1
	v_cndmask_b32_e32 v15, 47, v15, vcc
; %bb.1080:
	s_andn2_saveexec_b64 s[0:1], s[0:1]
	s_cbranch_execz .LBB124_1086
; %bb.1081:
	v_cmp_ngt_f64_e64 s[4:5], |v[0:1]|, |v[2:3]|
	s_and_saveexec_b64 s[12:13], s[4:5]
	s_xor_b64 s[12:13], exec, s[12:13]
	s_cbranch_execz .LBB124_1083
; %bb.1082:
	v_div_scale_f64 v[6:7], s[4:5], v[2:3], v[2:3], v[0:1]
	v_rcp_f64_e32 v[18:19], v[6:7]
	v_div_scale_f64 v[20:21], vcc, v[0:1], v[2:3], v[0:1]
	v_fma_f64 v[22:23], -v[6:7], v[18:19], 1.0
	v_fmac_f64_e32 v[18:19], v[18:19], v[22:23]
	v_fma_f64 v[22:23], -v[6:7], v[18:19], 1.0
	v_fmac_f64_e32 v[18:19], v[18:19], v[22:23]
	v_mul_f64 v[22:23], v[20:21], v[18:19]
	v_fma_f64 v[6:7], -v[6:7], v[22:23], v[20:21]
	v_div_fmas_f64 v[6:7], v[6:7], v[18:19], v[22:23]
	v_div_fixup_f64 v[6:7], v[6:7], v[2:3], v[0:1]
	v_fmac_f64_e32 v[2:3], v[0:1], v[6:7]
	v_div_scale_f64 v[0:1], s[4:5], v[2:3], v[2:3], 1.0
	v_rcp_f64_e32 v[18:19], v[0:1]
	s_nop 0
	v_fma_f64 v[20:21], -v[0:1], v[18:19], 1.0
	v_fmac_f64_e32 v[18:19], v[18:19], v[20:21]
	v_fma_f64 v[20:21], -v[0:1], v[18:19], 1.0
	v_fmac_f64_e32 v[18:19], v[18:19], v[20:21]
	v_div_scale_f64 v[20:21], vcc, 1.0, v[2:3], 1.0
	v_mul_f64 v[22:23], v[20:21], v[18:19]
	v_fma_f64 v[0:1], -v[0:1], v[22:23], v[20:21]
	s_nop 1
	v_div_fmas_f64 v[0:1], v[0:1], v[18:19], v[22:23]
	v_div_fixup_f64 v[2:3], v[0:1], v[2:3], 1.0
	v_mul_f64 v[0:1], v[6:7], v[2:3]
	v_xor_b32_e32 v3, 0x80000000, v3
.LBB124_1083:
	s_andn2_saveexec_b64 s[12:13], s[12:13]
	s_cbranch_execz .LBB124_1085
; %bb.1084:
	v_div_scale_f64 v[6:7], s[4:5], v[0:1], v[0:1], v[2:3]
	v_rcp_f64_e32 v[18:19], v[6:7]
	v_div_scale_f64 v[20:21], vcc, v[2:3], v[0:1], v[2:3]
	v_fma_f64 v[22:23], -v[6:7], v[18:19], 1.0
	v_fmac_f64_e32 v[18:19], v[18:19], v[22:23]
	v_fma_f64 v[22:23], -v[6:7], v[18:19], 1.0
	v_fmac_f64_e32 v[18:19], v[18:19], v[22:23]
	v_mul_f64 v[22:23], v[20:21], v[18:19]
	v_fma_f64 v[6:7], -v[6:7], v[22:23], v[20:21]
	v_div_fmas_f64 v[6:7], v[6:7], v[18:19], v[22:23]
	v_div_fixup_f64 v[6:7], v[6:7], v[0:1], v[2:3]
	v_fmac_f64_e32 v[0:1], v[2:3], v[6:7]
	v_div_scale_f64 v[2:3], s[4:5], v[0:1], v[0:1], 1.0
	v_rcp_f64_e32 v[18:19], v[2:3]
	s_nop 0
	v_fma_f64 v[20:21], -v[2:3], v[18:19], 1.0
	v_fmac_f64_e32 v[18:19], v[18:19], v[20:21]
	v_fma_f64 v[20:21], -v[2:3], v[18:19], 1.0
	v_fmac_f64_e32 v[18:19], v[18:19], v[20:21]
	v_div_scale_f64 v[20:21], vcc, 1.0, v[0:1], 1.0
	v_mul_f64 v[22:23], v[20:21], v[18:19]
	v_fma_f64 v[2:3], -v[2:3], v[22:23], v[20:21]
	s_nop 1
	v_div_fmas_f64 v[2:3], v[2:3], v[18:19], v[22:23]
	v_div_fixup_f64 v[0:1], v[2:3], v[0:1], 1.0
	v_mul_f64 v[2:3], v[6:7], -v[0:1]
.LBB124_1085:
	s_or_b64 exec, exec, s[12:13]
.LBB124_1086:
	s_or_b64 exec, exec, s[0:1]
	v_cmp_ne_u32_e32 vcc, v17, v4
	s_and_saveexec_b64 s[0:1], vcc
	s_xor_b64 s[0:1], exec, s[0:1]
	s_cbranch_execz .LBB124_1092
; %bb.1087:
	v_cmp_eq_u32_e32 vcc, 46, v17
	s_and_saveexec_b64 s[12:13], vcc
	s_cbranch_execz .LBB124_1091
; %bb.1088:
	v_cmp_ne_u32_e32 vcc, 46, v4
	s_xor_b64 s[4:5], s[18:19], -1
	s_and_b64 s[4:5], s[4:5], vcc
	s_and_saveexec_b64 s[14:15], s[4:5]
	s_cbranch_execz .LBB124_1090
; %bb.1089:
	v_ashrrev_i32_e32 v5, 31, v4
	v_lshl_add_u64 v[6:7], v[4:5], 2, v[10:11]
	global_load_dword v5, v[6:7], off
	global_load_dword v16, v[10:11], off offset:184
	s_waitcnt vmcnt(1)
	global_store_dword v[10:11], v5, off offset:184
	s_waitcnt vmcnt(1)
	global_store_dword v[6:7], v16, off
.LBB124_1090:
	s_or_b64 exec, exec, s[14:15]
	v_mov_b32_e32 v17, v4
	v_mov_b32_e32 v16, v4
.LBB124_1091:
	s_or_b64 exec, exec, s[12:13]
.LBB124_1092:
	s_andn2_saveexec_b64 s[0:1], s[0:1]
	s_cbranch_execz .LBB124_1094
; %bb.1093:
	scratch_load_dwordx4 v[4:7], off, s36
	scratch_load_dwordx4 v[18:21], off, s35
	;; [unrolled: 1-line block ×16, first 2 shown]
	v_mov_b32_e32 v17, 46
	s_waitcnt vmcnt(15)
	ds_write2_b64 v14, v[4:5], v[6:7] offset0:94 offset1:95
	s_waitcnt vmcnt(14)
	ds_write2_b64 v14, v[18:19], v[20:21] offset0:96 offset1:97
	s_waitcnt vmcnt(13)
	ds_write2_b64 v14, v[22:23], v[24:25] offset0:98 offset1:99
	s_waitcnt vmcnt(12)
	ds_write2_b64 v14, v[26:27], v[28:29] offset0:100 offset1:101
	s_waitcnt vmcnt(11)
	ds_write2_b64 v14, v[30:31], v[32:33] offset0:102 offset1:103
	s_waitcnt vmcnt(10)
	ds_write2_b64 v14, v[34:35], v[36:37] offset0:104 offset1:105
	s_waitcnt vmcnt(9)
	ds_write2_b64 v14, v[38:39], v[40:41] offset0:106 offset1:107
	s_waitcnt vmcnt(8)
	ds_write2_b64 v14, v[42:43], v[44:45] offset0:108 offset1:109
	s_waitcnt vmcnt(7)
	ds_write2_b64 v14, v[46:47], v[48:49] offset0:110 offset1:111
	s_waitcnt vmcnt(6)
	ds_write2_b64 v14, v[50:51], v[52:53] offset0:112 offset1:113
	s_waitcnt vmcnt(5)
	ds_write2_b64 v14, v[54:55], v[56:57] offset0:114 offset1:115
	s_waitcnt vmcnt(4)
	ds_write2_b64 v14, v[58:59], v[60:61] offset0:116 offset1:117
	s_waitcnt vmcnt(3)
	ds_write2_b64 v14, v[62:63], v[64:65] offset0:118 offset1:119
	s_waitcnt vmcnt(2)
	ds_write2_b64 v14, v[66:67], v[68:69] offset0:120 offset1:121
	s_waitcnt vmcnt(1)
	ds_write2_b64 v14, v[70:71], v[72:73] offset0:122 offset1:123
	s_waitcnt vmcnt(0)
	ds_write2_b64 v14, v[74:75], v[76:77] offset0:124 offset1:125
.LBB124_1094:
	s_or_b64 exec, exec, s[0:1]
	v_cmp_lt_i32_e32 vcc, 46, v17
	s_waitcnt lgkmcnt(0)
	s_barrier
	s_and_saveexec_b64 s[0:1], vcc
	s_cbranch_execz .LBB124_1096
; %bb.1095:
	scratch_load_dwordx4 v[4:7], off, off offset:736
	s_waitcnt vmcnt(0)
	v_mul_f64 v[18:19], v[2:3], v[6:7]
	v_mul_f64 v[20:21], v[0:1], v[6:7]
	v_fma_f64 v[18:19], v[0:1], v[4:5], -v[18:19]
	v_fmac_f64_e32 v[20:21], v[2:3], v[4:5]
	ds_read2_b64 v[0:3], v14 offset0:94 offset1:95
	scratch_store_dwordx4 off, v[18:21], off offset:736
	s_waitcnt lgkmcnt(0)
	v_mul_f64 v[4:5], v[2:3], v[20:21]
	v_mul_f64 v[6:7], v[0:1], v[20:21]
	v_fma_f64 v[4:5], v[0:1], v[18:19], -v[4:5]
	v_fmac_f64_e32 v[6:7], v[2:3], v[18:19]
	scratch_load_dwordx4 v[0:3], off, off offset:752
	s_waitcnt vmcnt(0)
	v_add_f64 v[0:1], v[0:1], -v[4:5]
	v_add_f64 v[2:3], v[2:3], -v[6:7]
	scratch_store_dwordx4 off, v[0:3], off offset:752
	ds_read2_b64 v[0:3], v14 offset0:96 offset1:97
	s_waitcnt lgkmcnt(0)
	v_mul_f64 v[4:5], v[2:3], v[20:21]
	v_mul_f64 v[6:7], v[0:1], v[20:21]
	v_fma_f64 v[4:5], v[0:1], v[18:19], -v[4:5]
	v_fmac_f64_e32 v[6:7], v[2:3], v[18:19]
	scratch_load_dwordx4 v[0:3], off, off offset:768
	s_waitcnt vmcnt(0)
	v_add_f64 v[0:1], v[0:1], -v[4:5]
	v_add_f64 v[2:3], v[2:3], -v[6:7]
	scratch_store_dwordx4 off, v[0:3], off offset:768
	ds_read2_b64 v[0:3], v14 offset0:98 offset1:99
	;; [unrolled: 11-line block ×6, first 2 shown]
	scratch_load_dwordx2 v[18:19], off, off offset:736
	scratch_load_dwordx4 v[0:3], off, off offset:736
	s_waitcnt vmcnt(0) lgkmcnt(0)
	v_mul_f64 v[20:21], v[6:7], v[2:3]
	v_mul_f64 v[22:23], v[4:5], v[2:3]
	v_fma_f64 v[20:21], v[4:5], v[18:19], -v[20:21]
	v_fmac_f64_e32 v[22:23], v[6:7], v[18:19]
	scratch_load_dwordx4 v[4:7], off, off offset:848
	s_waitcnt vmcnt(0)
	v_add_f64 v[4:5], v[4:5], -v[20:21]
	v_add_f64 v[6:7], v[6:7], -v[22:23]
	scratch_store_dwordx4 off, v[4:7], off offset:848
	ds_read2_b64 v[4:7], v14 offset0:108 offset1:109
	s_waitcnt lgkmcnt(0)
	v_mul_f64 v[20:21], v[6:7], v[2:3]
	v_mul_f64 v[22:23], v[4:5], v[2:3]
	v_fma_f64 v[20:21], v[4:5], v[18:19], -v[20:21]
	v_fmac_f64_e32 v[22:23], v[6:7], v[18:19]
	scratch_load_dwordx4 v[4:7], off, off offset:864
	s_waitcnt vmcnt(0)
	v_add_f64 v[4:5], v[4:5], -v[20:21]
	v_add_f64 v[6:7], v[6:7], -v[22:23]
	scratch_store_dwordx4 off, v[4:7], off offset:864
	ds_read2_b64 v[4:7], v14 offset0:110 offset1:111
	s_waitcnt lgkmcnt(0)
	;; [unrolled: 11-line block ×5, first 2 shown]
	v_mul_f64 v[20:21], v[6:7], v[2:3]
	v_fma_f64 v[20:21], v[4:5], v[18:19], -v[20:21]
	v_mul_f64 v[22:23], v[4:5], v[2:3]
	scratch_load_dwordx4 v[2:5], off, off offset:928
	v_fmac_f64_e32 v[22:23], v[6:7], v[18:19]
	scratch_load_dwordx2 v[6:7], off, off offset:744
	s_waitcnt vmcnt(1)
	v_add_f64 v[2:3], v[2:3], -v[20:21]
	v_add_f64 v[4:5], v[4:5], -v[22:23]
	scratch_store_dwordx4 off, v[2:5], off offset:928
	ds_read2_b64 v[2:5], v14 offset0:118 offset1:119
	s_waitcnt vmcnt(1) lgkmcnt(0)
	v_mul_f64 v[18:19], v[4:5], v[6:7]
	v_mul_f64 v[20:21], v[2:3], v[6:7]
	v_fma_f64 v[18:19], v[2:3], v[0:1], -v[18:19]
	v_fmac_f64_e32 v[20:21], v[4:5], v[0:1]
	scratch_load_dwordx4 v[2:5], off, off offset:944
	s_waitcnt vmcnt(0)
	v_add_f64 v[2:3], v[2:3], -v[18:19]
	v_add_f64 v[4:5], v[4:5], -v[20:21]
	scratch_store_dwordx4 off, v[2:5], off offset:944
	ds_read2_b64 v[2:5], v14 offset0:120 offset1:121
	s_waitcnt lgkmcnt(0)
	v_mul_f64 v[18:19], v[4:5], v[6:7]
	v_mul_f64 v[20:21], v[2:3], v[6:7]
	v_fma_f64 v[18:19], v[2:3], v[0:1], -v[18:19]
	v_fmac_f64_e32 v[20:21], v[4:5], v[0:1]
	scratch_load_dwordx4 v[2:5], off, off offset:960
	s_waitcnt vmcnt(0)
	v_add_f64 v[2:3], v[2:3], -v[18:19]
	v_add_f64 v[4:5], v[4:5], -v[20:21]
	scratch_store_dwordx4 off, v[2:5], off offset:960
	ds_read2_b64 v[2:5], v14 offset0:122 offset1:123
	s_waitcnt lgkmcnt(0)
	;; [unrolled: 11-line block ×3, first 2 shown]
	v_mul_f64 v[18:19], v[4:5], v[6:7]
	v_mul_f64 v[6:7], v[2:3], v[6:7]
	v_fma_f64 v[18:19], v[2:3], v[0:1], -v[18:19]
	v_fmac_f64_e32 v[6:7], v[4:5], v[0:1]
	scratch_load_dwordx4 v[0:3], off, off offset:992
	s_waitcnt vmcnt(0)
	v_add_f64 v[0:1], v[0:1], -v[18:19]
	v_add_f64 v[2:3], v[2:3], -v[6:7]
	scratch_store_dwordx4 off, v[0:3], off offset:992
.LBB124_1096:
	s_or_b64 exec, exec, s[0:1]
	s_barrier
	scratch_load_dwordx4 v[0:3], off, s36
	v_lshl_add_u32 v4, v17, 4, v14
	s_cmp_lt_i32 s52, 49
	s_waitcnt vmcnt(0)
	ds_write2_b64 v4, v[0:1], v[2:3] offset1:1
	s_waitcnt lgkmcnt(0)
	s_barrier
	ds_read2_b64 v[0:3], v14 offset0:94 offset1:95
	v_mov_b32_e32 v4, 47
	s_cbranch_scc1 .LBB124_1099
; %bb.1097:
	v_add_u32_e32 v5, 0x300, v14
	s_mov_b32 s4, 48
	v_mov_b32_e32 v4, 47
.LBB124_1098:                           ; =>This Inner Loop Header: Depth=1
	ds_read2_b64 v[18:21], v5 offset1:1
	s_waitcnt lgkmcnt(1)
	v_xor_b32_e32 v7, 0x80000000, v1
	v_xor_b32_e32 v23, 0x80000000, v3
	v_cmp_gt_f64_e32 vcc, 0, v[2:3]
	v_cmp_gt_f64_e64 s[0:1], 0, v[0:1]
	v_mov_b32_e32 v6, v0
	v_mov_b32_e32 v22, v2
	v_cndmask_b32_e64 v7, v1, v7, s[0:1]
	v_cndmask_b32_e32 v23, v3, v23, vcc
	v_add_f64 v[6:7], v[6:7], v[22:23]
	s_waitcnt lgkmcnt(0)
	v_xor_b32_e32 v23, 0x80000000, v19
	v_xor_b32_e32 v25, 0x80000000, v21
	v_cmp_gt_f64_e32 vcc, 0, v[20:21]
	v_cmp_gt_f64_e64 s[0:1], 0, v[18:19]
	v_mov_b32_e32 v22, v18
	v_mov_b32_e32 v24, v20
	v_cndmask_b32_e64 v23, v19, v23, s[0:1]
	v_cndmask_b32_e32 v25, v21, v25, vcc
	v_add_f64 v[22:23], v[22:23], v[24:25]
	v_mov_b32_e32 v26, s4
	s_add_i32 s4, s4, 1
	v_cmp_lt_f64_e32 vcc, v[6:7], v[22:23]
	v_add_u32_e32 v5, 16, v5
	s_cmp_lg_u32 s52, s4
	v_cndmask_b32_e32 v1, v1, v19, vcc
	v_cndmask_b32_e32 v0, v0, v18, vcc
	v_cndmask_b32_e32 v3, v3, v21, vcc
	v_cndmask_b32_e32 v2, v2, v20, vcc
	v_cndmask_b32_e32 v4, v4, v26, vcc
	s_cbranch_scc1 .LBB124_1098
.LBB124_1099:
	s_waitcnt lgkmcnt(0)
	v_cmp_eq_f64_e32 vcc, 0, v[0:1]
	v_cmp_eq_f64_e64 s[0:1], 0, v[2:3]
	s_and_b64 s[0:1], vcc, s[0:1]
	s_and_saveexec_b64 s[4:5], s[0:1]
	s_xor_b64 s[0:1], exec, s[4:5]
; %bb.1100:
	v_cmp_ne_u32_e32 vcc, 0, v15
	s_nop 1
	v_cndmask_b32_e32 v15, 48, v15, vcc
; %bb.1101:
	s_andn2_saveexec_b64 s[0:1], s[0:1]
	s_cbranch_execz .LBB124_1107
; %bb.1102:
	v_cmp_ngt_f64_e64 s[4:5], |v[0:1]|, |v[2:3]|
	s_and_saveexec_b64 s[12:13], s[4:5]
	s_xor_b64 s[12:13], exec, s[12:13]
	s_cbranch_execz .LBB124_1104
; %bb.1103:
	v_div_scale_f64 v[6:7], s[4:5], v[2:3], v[2:3], v[0:1]
	v_rcp_f64_e32 v[18:19], v[6:7]
	v_div_scale_f64 v[20:21], vcc, v[0:1], v[2:3], v[0:1]
	v_fma_f64 v[22:23], -v[6:7], v[18:19], 1.0
	v_fmac_f64_e32 v[18:19], v[18:19], v[22:23]
	v_fma_f64 v[22:23], -v[6:7], v[18:19], 1.0
	v_fmac_f64_e32 v[18:19], v[18:19], v[22:23]
	v_mul_f64 v[22:23], v[20:21], v[18:19]
	v_fma_f64 v[6:7], -v[6:7], v[22:23], v[20:21]
	v_div_fmas_f64 v[6:7], v[6:7], v[18:19], v[22:23]
	v_div_fixup_f64 v[6:7], v[6:7], v[2:3], v[0:1]
	v_fmac_f64_e32 v[2:3], v[0:1], v[6:7]
	v_div_scale_f64 v[0:1], s[4:5], v[2:3], v[2:3], 1.0
	v_rcp_f64_e32 v[18:19], v[0:1]
	s_nop 0
	v_fma_f64 v[20:21], -v[0:1], v[18:19], 1.0
	v_fmac_f64_e32 v[18:19], v[18:19], v[20:21]
	v_fma_f64 v[20:21], -v[0:1], v[18:19], 1.0
	v_fmac_f64_e32 v[18:19], v[18:19], v[20:21]
	v_div_scale_f64 v[20:21], vcc, 1.0, v[2:3], 1.0
	v_mul_f64 v[22:23], v[20:21], v[18:19]
	v_fma_f64 v[0:1], -v[0:1], v[22:23], v[20:21]
	s_nop 1
	v_div_fmas_f64 v[0:1], v[0:1], v[18:19], v[22:23]
	v_div_fixup_f64 v[2:3], v[0:1], v[2:3], 1.0
	v_mul_f64 v[0:1], v[6:7], v[2:3]
	v_xor_b32_e32 v3, 0x80000000, v3
.LBB124_1104:
	s_andn2_saveexec_b64 s[12:13], s[12:13]
	s_cbranch_execz .LBB124_1106
; %bb.1105:
	v_div_scale_f64 v[6:7], s[4:5], v[0:1], v[0:1], v[2:3]
	v_rcp_f64_e32 v[18:19], v[6:7]
	v_div_scale_f64 v[20:21], vcc, v[2:3], v[0:1], v[2:3]
	v_fma_f64 v[22:23], -v[6:7], v[18:19], 1.0
	v_fmac_f64_e32 v[18:19], v[18:19], v[22:23]
	v_fma_f64 v[22:23], -v[6:7], v[18:19], 1.0
	v_fmac_f64_e32 v[18:19], v[18:19], v[22:23]
	v_mul_f64 v[22:23], v[20:21], v[18:19]
	v_fma_f64 v[6:7], -v[6:7], v[22:23], v[20:21]
	v_div_fmas_f64 v[6:7], v[6:7], v[18:19], v[22:23]
	v_div_fixup_f64 v[6:7], v[6:7], v[0:1], v[2:3]
	v_fmac_f64_e32 v[0:1], v[2:3], v[6:7]
	v_div_scale_f64 v[2:3], s[4:5], v[0:1], v[0:1], 1.0
	v_rcp_f64_e32 v[18:19], v[2:3]
	s_nop 0
	v_fma_f64 v[20:21], -v[2:3], v[18:19], 1.0
	v_fmac_f64_e32 v[18:19], v[18:19], v[20:21]
	v_fma_f64 v[20:21], -v[2:3], v[18:19], 1.0
	v_fmac_f64_e32 v[18:19], v[18:19], v[20:21]
	v_div_scale_f64 v[20:21], vcc, 1.0, v[0:1], 1.0
	v_mul_f64 v[22:23], v[20:21], v[18:19]
	v_fma_f64 v[2:3], -v[2:3], v[22:23], v[20:21]
	s_nop 1
	v_div_fmas_f64 v[2:3], v[2:3], v[18:19], v[22:23]
	v_div_fixup_f64 v[0:1], v[2:3], v[0:1], 1.0
	v_mul_f64 v[2:3], v[6:7], -v[0:1]
.LBB124_1106:
	s_or_b64 exec, exec, s[12:13]
.LBB124_1107:
	s_or_b64 exec, exec, s[0:1]
	v_cmp_ne_u32_e32 vcc, v17, v4
	s_and_saveexec_b64 s[0:1], vcc
	s_xor_b64 s[0:1], exec, s[0:1]
	s_cbranch_execz .LBB124_1113
; %bb.1108:
	v_cmp_eq_u32_e32 vcc, 47, v17
	s_and_saveexec_b64 s[12:13], vcc
	s_cbranch_execz .LBB124_1112
; %bb.1109:
	v_cmp_ne_u32_e32 vcc, 47, v4
	s_xor_b64 s[4:5], s[18:19], -1
	s_and_b64 s[4:5], s[4:5], vcc
	s_and_saveexec_b64 s[14:15], s[4:5]
	s_cbranch_execz .LBB124_1111
; %bb.1110:
	v_ashrrev_i32_e32 v5, 31, v4
	v_lshl_add_u64 v[6:7], v[4:5], 2, v[10:11]
	global_load_dword v5, v[6:7], off
	global_load_dword v16, v[10:11], off offset:188
	s_waitcnt vmcnt(1)
	global_store_dword v[10:11], v5, off offset:188
	s_waitcnt vmcnt(1)
	global_store_dword v[6:7], v16, off
.LBB124_1111:
	s_or_b64 exec, exec, s[14:15]
	v_mov_b32_e32 v17, v4
	v_mov_b32_e32 v16, v4
.LBB124_1112:
	s_or_b64 exec, exec, s[12:13]
.LBB124_1113:
	s_andn2_saveexec_b64 s[0:1], s[0:1]
	s_cbranch_execz .LBB124_1115
; %bb.1114:
	scratch_load_dwordx4 v[4:7], off, s35
	scratch_load_dwordx4 v[18:21], off, s34
	scratch_load_dwordx4 v[22:25], off, s33
	scratch_load_dwordx4 v[26:29], off, s31
	scratch_load_dwordx4 v[30:33], off, s30
	scratch_load_dwordx4 v[34:37], off, s29
	scratch_load_dwordx4 v[38:41], off, s28
	scratch_load_dwordx4 v[42:45], off, s27
	scratch_load_dwordx4 v[46:49], off, s26
	scratch_load_dwordx4 v[50:53], off, s25
	scratch_load_dwordx4 v[54:57], off, s24
	scratch_load_dwordx4 v[58:61], off, s23
	scratch_load_dwordx4 v[62:65], off, s22
	scratch_load_dwordx4 v[66:69], off, s21
	scratch_load_dwordx4 v[70:73], off, s20
	v_mov_b32_e32 v17, 47
	s_waitcnt vmcnt(14)
	ds_write2_b64 v14, v[4:5], v[6:7] offset0:96 offset1:97
	s_waitcnt vmcnt(13)
	ds_write2_b64 v14, v[18:19], v[20:21] offset0:98 offset1:99
	;; [unrolled: 2-line block ×15, first 2 shown]
.LBB124_1115:
	s_or_b64 exec, exec, s[0:1]
	v_cmp_lt_i32_e32 vcc, 47, v17
	s_waitcnt lgkmcnt(0)
	s_barrier
	s_and_saveexec_b64 s[0:1], vcc
	s_cbranch_execz .LBB124_1117
; %bb.1116:
	scratch_load_dwordx4 v[4:7], off, off offset:752
	s_waitcnt vmcnt(0)
	v_mul_f64 v[18:19], v[2:3], v[6:7]
	v_mul_f64 v[20:21], v[0:1], v[6:7]
	v_fma_f64 v[18:19], v[0:1], v[4:5], -v[18:19]
	v_fmac_f64_e32 v[20:21], v[2:3], v[4:5]
	ds_read2_b64 v[0:3], v14 offset0:96 offset1:97
	scratch_store_dwordx4 off, v[18:21], off offset:752
	s_waitcnt lgkmcnt(0)
	v_mul_f64 v[4:5], v[2:3], v[20:21]
	v_mul_f64 v[6:7], v[0:1], v[20:21]
	v_fma_f64 v[4:5], v[0:1], v[18:19], -v[4:5]
	v_fmac_f64_e32 v[6:7], v[2:3], v[18:19]
	scratch_load_dwordx4 v[0:3], off, off offset:768
	s_waitcnt vmcnt(0)
	v_add_f64 v[0:1], v[0:1], -v[4:5]
	v_add_f64 v[2:3], v[2:3], -v[6:7]
	scratch_store_dwordx4 off, v[0:3], off offset:768
	ds_read2_b64 v[0:3], v14 offset0:98 offset1:99
	s_waitcnt lgkmcnt(0)
	v_mul_f64 v[4:5], v[2:3], v[20:21]
	v_mul_f64 v[6:7], v[0:1], v[20:21]
	v_fma_f64 v[4:5], v[0:1], v[18:19], -v[4:5]
	v_fmac_f64_e32 v[6:7], v[2:3], v[18:19]
	scratch_load_dwordx4 v[0:3], off, off offset:784
	s_waitcnt vmcnt(0)
	v_add_f64 v[0:1], v[0:1], -v[4:5]
	v_add_f64 v[2:3], v[2:3], -v[6:7]
	scratch_store_dwordx4 off, v[0:3], off offset:784
	ds_read2_b64 v[0:3], v14 offset0:100 offset1:101
	;; [unrolled: 11-line block ×6, first 2 shown]
	scratch_load_dwordx2 v[18:19], off, off offset:752
	scratch_load_dwordx4 v[0:3], off, off offset:752
	s_waitcnt vmcnt(0) lgkmcnt(0)
	v_mul_f64 v[20:21], v[6:7], v[2:3]
	v_mul_f64 v[22:23], v[4:5], v[2:3]
	v_fma_f64 v[20:21], v[4:5], v[18:19], -v[20:21]
	v_fmac_f64_e32 v[22:23], v[6:7], v[18:19]
	scratch_load_dwordx4 v[4:7], off, off offset:864
	s_waitcnt vmcnt(0)
	v_add_f64 v[4:5], v[4:5], -v[20:21]
	v_add_f64 v[6:7], v[6:7], -v[22:23]
	scratch_store_dwordx4 off, v[4:7], off offset:864
	ds_read2_b64 v[4:7], v14 offset0:110 offset1:111
	s_waitcnt lgkmcnt(0)
	v_mul_f64 v[20:21], v[6:7], v[2:3]
	v_mul_f64 v[22:23], v[4:5], v[2:3]
	v_fma_f64 v[20:21], v[4:5], v[18:19], -v[20:21]
	v_fmac_f64_e32 v[22:23], v[6:7], v[18:19]
	scratch_load_dwordx4 v[4:7], off, off offset:880
	s_waitcnt vmcnt(0)
	v_add_f64 v[4:5], v[4:5], -v[20:21]
	v_add_f64 v[6:7], v[6:7], -v[22:23]
	scratch_store_dwordx4 off, v[4:7], off offset:880
	ds_read2_b64 v[4:7], v14 offset0:112 offset1:113
	s_waitcnt lgkmcnt(0)
	;; [unrolled: 11-line block ×5, first 2 shown]
	v_mul_f64 v[20:21], v[6:7], v[2:3]
	v_fma_f64 v[20:21], v[4:5], v[18:19], -v[20:21]
	v_mul_f64 v[22:23], v[4:5], v[2:3]
	scratch_load_dwordx4 v[2:5], off, off offset:944
	v_fmac_f64_e32 v[22:23], v[6:7], v[18:19]
	scratch_load_dwordx2 v[6:7], off, off offset:760
	s_waitcnt vmcnt(1)
	v_add_f64 v[2:3], v[2:3], -v[20:21]
	v_add_f64 v[4:5], v[4:5], -v[22:23]
	scratch_store_dwordx4 off, v[2:5], off offset:944
	ds_read2_b64 v[2:5], v14 offset0:120 offset1:121
	s_waitcnt vmcnt(1) lgkmcnt(0)
	v_mul_f64 v[18:19], v[4:5], v[6:7]
	v_mul_f64 v[20:21], v[2:3], v[6:7]
	v_fma_f64 v[18:19], v[2:3], v[0:1], -v[18:19]
	v_fmac_f64_e32 v[20:21], v[4:5], v[0:1]
	scratch_load_dwordx4 v[2:5], off, off offset:960
	s_waitcnt vmcnt(0)
	v_add_f64 v[2:3], v[2:3], -v[18:19]
	v_add_f64 v[4:5], v[4:5], -v[20:21]
	scratch_store_dwordx4 off, v[2:5], off offset:960
	ds_read2_b64 v[2:5], v14 offset0:122 offset1:123
	s_waitcnt lgkmcnt(0)
	v_mul_f64 v[18:19], v[4:5], v[6:7]
	v_mul_f64 v[20:21], v[2:3], v[6:7]
	v_fma_f64 v[18:19], v[2:3], v[0:1], -v[18:19]
	v_fmac_f64_e32 v[20:21], v[4:5], v[0:1]
	scratch_load_dwordx4 v[2:5], off, off offset:976
	s_waitcnt vmcnt(0)
	v_add_f64 v[2:3], v[2:3], -v[18:19]
	v_add_f64 v[4:5], v[4:5], -v[20:21]
	scratch_store_dwordx4 off, v[2:5], off offset:976
	ds_read2_b64 v[2:5], v14 offset0:124 offset1:125
	s_waitcnt lgkmcnt(0)
	v_mul_f64 v[18:19], v[4:5], v[6:7]
	v_mul_f64 v[6:7], v[2:3], v[6:7]
	v_fma_f64 v[18:19], v[2:3], v[0:1], -v[18:19]
	v_fmac_f64_e32 v[6:7], v[4:5], v[0:1]
	scratch_load_dwordx4 v[0:3], off, off offset:992
	s_waitcnt vmcnt(0)
	v_add_f64 v[0:1], v[0:1], -v[18:19]
	v_add_f64 v[2:3], v[2:3], -v[6:7]
	scratch_store_dwordx4 off, v[0:3], off offset:992
.LBB124_1117:
	s_or_b64 exec, exec, s[0:1]
	s_barrier
	scratch_load_dwordx4 v[0:3], off, s35
	v_lshl_add_u32 v4, v17, 4, v14
	s_cmp_lt_i32 s52, 50
	s_waitcnt vmcnt(0)
	ds_write2_b64 v4, v[0:1], v[2:3] offset1:1
	s_waitcnt lgkmcnt(0)
	s_barrier
	ds_read2_b64 v[0:3], v14 offset0:96 offset1:97
	v_mov_b32_e32 v4, 48
	s_cbranch_scc1 .LBB124_1120
; %bb.1118:
	v_add_u32_e32 v5, 0x310, v14
	s_mov_b32 s4, 49
	v_mov_b32_e32 v4, 48
.LBB124_1119:                           ; =>This Inner Loop Header: Depth=1
	ds_read2_b64 v[18:21], v5 offset1:1
	s_waitcnt lgkmcnt(1)
	v_xor_b32_e32 v7, 0x80000000, v1
	v_xor_b32_e32 v23, 0x80000000, v3
	v_cmp_gt_f64_e32 vcc, 0, v[2:3]
	v_cmp_gt_f64_e64 s[0:1], 0, v[0:1]
	v_mov_b32_e32 v6, v0
	v_mov_b32_e32 v22, v2
	v_cndmask_b32_e64 v7, v1, v7, s[0:1]
	v_cndmask_b32_e32 v23, v3, v23, vcc
	v_add_f64 v[6:7], v[6:7], v[22:23]
	s_waitcnt lgkmcnt(0)
	v_xor_b32_e32 v23, 0x80000000, v19
	v_xor_b32_e32 v25, 0x80000000, v21
	v_cmp_gt_f64_e32 vcc, 0, v[20:21]
	v_cmp_gt_f64_e64 s[0:1], 0, v[18:19]
	v_mov_b32_e32 v22, v18
	v_mov_b32_e32 v24, v20
	v_cndmask_b32_e64 v23, v19, v23, s[0:1]
	v_cndmask_b32_e32 v25, v21, v25, vcc
	v_add_f64 v[22:23], v[22:23], v[24:25]
	v_mov_b32_e32 v26, s4
	s_add_i32 s4, s4, 1
	v_cmp_lt_f64_e32 vcc, v[6:7], v[22:23]
	v_add_u32_e32 v5, 16, v5
	s_cmp_lg_u32 s52, s4
	v_cndmask_b32_e32 v1, v1, v19, vcc
	v_cndmask_b32_e32 v0, v0, v18, vcc
	;; [unrolled: 1-line block ×5, first 2 shown]
	s_cbranch_scc1 .LBB124_1119
.LBB124_1120:
	s_waitcnt lgkmcnt(0)
	v_cmp_eq_f64_e32 vcc, 0, v[0:1]
	v_cmp_eq_f64_e64 s[0:1], 0, v[2:3]
	s_and_b64 s[0:1], vcc, s[0:1]
	s_and_saveexec_b64 s[4:5], s[0:1]
	s_xor_b64 s[0:1], exec, s[4:5]
; %bb.1121:
	v_cmp_ne_u32_e32 vcc, 0, v15
	s_nop 1
	v_cndmask_b32_e32 v15, 49, v15, vcc
; %bb.1122:
	s_andn2_saveexec_b64 s[0:1], s[0:1]
	s_cbranch_execz .LBB124_1128
; %bb.1123:
	v_cmp_ngt_f64_e64 s[4:5], |v[0:1]|, |v[2:3]|
	s_and_saveexec_b64 s[12:13], s[4:5]
	s_xor_b64 s[12:13], exec, s[12:13]
	s_cbranch_execz .LBB124_1125
; %bb.1124:
	v_div_scale_f64 v[6:7], s[4:5], v[2:3], v[2:3], v[0:1]
	v_rcp_f64_e32 v[18:19], v[6:7]
	v_div_scale_f64 v[20:21], vcc, v[0:1], v[2:3], v[0:1]
	v_fma_f64 v[22:23], -v[6:7], v[18:19], 1.0
	v_fmac_f64_e32 v[18:19], v[18:19], v[22:23]
	v_fma_f64 v[22:23], -v[6:7], v[18:19], 1.0
	v_fmac_f64_e32 v[18:19], v[18:19], v[22:23]
	v_mul_f64 v[22:23], v[20:21], v[18:19]
	v_fma_f64 v[6:7], -v[6:7], v[22:23], v[20:21]
	v_div_fmas_f64 v[6:7], v[6:7], v[18:19], v[22:23]
	v_div_fixup_f64 v[6:7], v[6:7], v[2:3], v[0:1]
	v_fmac_f64_e32 v[2:3], v[0:1], v[6:7]
	v_div_scale_f64 v[0:1], s[4:5], v[2:3], v[2:3], 1.0
	v_rcp_f64_e32 v[18:19], v[0:1]
	s_nop 0
	v_fma_f64 v[20:21], -v[0:1], v[18:19], 1.0
	v_fmac_f64_e32 v[18:19], v[18:19], v[20:21]
	v_fma_f64 v[20:21], -v[0:1], v[18:19], 1.0
	v_fmac_f64_e32 v[18:19], v[18:19], v[20:21]
	v_div_scale_f64 v[20:21], vcc, 1.0, v[2:3], 1.0
	v_mul_f64 v[22:23], v[20:21], v[18:19]
	v_fma_f64 v[0:1], -v[0:1], v[22:23], v[20:21]
	s_nop 1
	v_div_fmas_f64 v[0:1], v[0:1], v[18:19], v[22:23]
	v_div_fixup_f64 v[2:3], v[0:1], v[2:3], 1.0
	v_mul_f64 v[0:1], v[6:7], v[2:3]
	v_xor_b32_e32 v3, 0x80000000, v3
.LBB124_1125:
	s_andn2_saveexec_b64 s[12:13], s[12:13]
	s_cbranch_execz .LBB124_1127
; %bb.1126:
	v_div_scale_f64 v[6:7], s[4:5], v[0:1], v[0:1], v[2:3]
	v_rcp_f64_e32 v[18:19], v[6:7]
	v_div_scale_f64 v[20:21], vcc, v[2:3], v[0:1], v[2:3]
	v_fma_f64 v[22:23], -v[6:7], v[18:19], 1.0
	v_fmac_f64_e32 v[18:19], v[18:19], v[22:23]
	v_fma_f64 v[22:23], -v[6:7], v[18:19], 1.0
	v_fmac_f64_e32 v[18:19], v[18:19], v[22:23]
	v_mul_f64 v[22:23], v[20:21], v[18:19]
	v_fma_f64 v[6:7], -v[6:7], v[22:23], v[20:21]
	v_div_fmas_f64 v[6:7], v[6:7], v[18:19], v[22:23]
	v_div_fixup_f64 v[6:7], v[6:7], v[0:1], v[2:3]
	v_fmac_f64_e32 v[0:1], v[2:3], v[6:7]
	v_div_scale_f64 v[2:3], s[4:5], v[0:1], v[0:1], 1.0
	v_rcp_f64_e32 v[18:19], v[2:3]
	s_nop 0
	v_fma_f64 v[20:21], -v[2:3], v[18:19], 1.0
	v_fmac_f64_e32 v[18:19], v[18:19], v[20:21]
	v_fma_f64 v[20:21], -v[2:3], v[18:19], 1.0
	v_fmac_f64_e32 v[18:19], v[18:19], v[20:21]
	v_div_scale_f64 v[20:21], vcc, 1.0, v[0:1], 1.0
	v_mul_f64 v[22:23], v[20:21], v[18:19]
	v_fma_f64 v[2:3], -v[2:3], v[22:23], v[20:21]
	s_nop 1
	v_div_fmas_f64 v[2:3], v[2:3], v[18:19], v[22:23]
	v_div_fixup_f64 v[0:1], v[2:3], v[0:1], 1.0
	v_mul_f64 v[2:3], v[6:7], -v[0:1]
.LBB124_1127:
	s_or_b64 exec, exec, s[12:13]
.LBB124_1128:
	s_or_b64 exec, exec, s[0:1]
	v_cmp_ne_u32_e32 vcc, v17, v4
	s_and_saveexec_b64 s[0:1], vcc
	s_xor_b64 s[0:1], exec, s[0:1]
	s_cbranch_execz .LBB124_1134
; %bb.1129:
	v_cmp_eq_u32_e32 vcc, 48, v17
	s_and_saveexec_b64 s[12:13], vcc
	s_cbranch_execz .LBB124_1133
; %bb.1130:
	v_cmp_ne_u32_e32 vcc, 48, v4
	s_xor_b64 s[4:5], s[18:19], -1
	s_and_b64 s[4:5], s[4:5], vcc
	s_and_saveexec_b64 s[14:15], s[4:5]
	s_cbranch_execz .LBB124_1132
; %bb.1131:
	v_ashrrev_i32_e32 v5, 31, v4
	v_lshl_add_u64 v[6:7], v[4:5], 2, v[10:11]
	global_load_dword v5, v[6:7], off
	global_load_dword v16, v[10:11], off offset:192
	s_waitcnt vmcnt(1)
	global_store_dword v[10:11], v5, off offset:192
	s_waitcnt vmcnt(1)
	global_store_dword v[6:7], v16, off
.LBB124_1132:
	s_or_b64 exec, exec, s[14:15]
	v_mov_b32_e32 v17, v4
	v_mov_b32_e32 v16, v4
.LBB124_1133:
	s_or_b64 exec, exec, s[12:13]
.LBB124_1134:
	s_andn2_saveexec_b64 s[0:1], s[0:1]
	s_cbranch_execz .LBB124_1136
; %bb.1135:
	scratch_load_dwordx4 v[4:7], off, s34
	scratch_load_dwordx4 v[18:21], off, s33
	;; [unrolled: 1-line block ×14, first 2 shown]
	v_mov_b32_e32 v17, 48
	s_waitcnt vmcnt(13)
	ds_write2_b64 v14, v[4:5], v[6:7] offset0:98 offset1:99
	s_waitcnt vmcnt(12)
	ds_write2_b64 v14, v[18:19], v[20:21] offset0:100 offset1:101
	;; [unrolled: 2-line block ×14, first 2 shown]
.LBB124_1136:
	s_or_b64 exec, exec, s[0:1]
	v_cmp_lt_i32_e32 vcc, 48, v17
	s_waitcnt lgkmcnt(0)
	s_barrier
	s_and_saveexec_b64 s[0:1], vcc
	s_cbranch_execz .LBB124_1138
; %bb.1137:
	scratch_load_dwordx4 v[4:7], off, off offset:768
	s_waitcnt vmcnt(0)
	v_mul_f64 v[18:19], v[2:3], v[6:7]
	v_mul_f64 v[20:21], v[0:1], v[6:7]
	v_fma_f64 v[18:19], v[0:1], v[4:5], -v[18:19]
	v_fmac_f64_e32 v[20:21], v[2:3], v[4:5]
	ds_read2_b64 v[0:3], v14 offset0:98 offset1:99
	scratch_store_dwordx4 off, v[18:21], off offset:768
	s_waitcnt lgkmcnt(0)
	v_mul_f64 v[4:5], v[2:3], v[20:21]
	v_mul_f64 v[6:7], v[0:1], v[20:21]
	v_fma_f64 v[4:5], v[0:1], v[18:19], -v[4:5]
	v_fmac_f64_e32 v[6:7], v[2:3], v[18:19]
	scratch_load_dwordx4 v[0:3], off, off offset:784
	s_waitcnt vmcnt(0)
	v_add_f64 v[0:1], v[0:1], -v[4:5]
	v_add_f64 v[2:3], v[2:3], -v[6:7]
	scratch_store_dwordx4 off, v[0:3], off offset:784
	ds_read2_b64 v[0:3], v14 offset0:100 offset1:101
	s_waitcnt lgkmcnt(0)
	v_mul_f64 v[4:5], v[2:3], v[20:21]
	v_mul_f64 v[6:7], v[0:1], v[20:21]
	v_fma_f64 v[4:5], v[0:1], v[18:19], -v[4:5]
	v_fmac_f64_e32 v[6:7], v[2:3], v[18:19]
	scratch_load_dwordx4 v[0:3], off, off offset:800
	s_waitcnt vmcnt(0)
	v_add_f64 v[0:1], v[0:1], -v[4:5]
	v_add_f64 v[2:3], v[2:3], -v[6:7]
	scratch_store_dwordx4 off, v[0:3], off offset:800
	ds_read2_b64 v[0:3], v14 offset0:102 offset1:103
	;; [unrolled: 11-line block ×6, first 2 shown]
	scratch_load_dwordx2 v[18:19], off, off offset:768
	scratch_load_dwordx4 v[0:3], off, off offset:768
	s_waitcnt vmcnt(0) lgkmcnt(0)
	v_mul_f64 v[20:21], v[6:7], v[2:3]
	v_mul_f64 v[22:23], v[4:5], v[2:3]
	v_fma_f64 v[20:21], v[4:5], v[18:19], -v[20:21]
	v_fmac_f64_e32 v[22:23], v[6:7], v[18:19]
	scratch_load_dwordx4 v[4:7], off, off offset:880
	s_waitcnt vmcnt(0)
	v_add_f64 v[4:5], v[4:5], -v[20:21]
	v_add_f64 v[6:7], v[6:7], -v[22:23]
	scratch_store_dwordx4 off, v[4:7], off offset:880
	ds_read2_b64 v[4:7], v14 offset0:112 offset1:113
	s_waitcnt lgkmcnt(0)
	v_mul_f64 v[20:21], v[6:7], v[2:3]
	v_mul_f64 v[22:23], v[4:5], v[2:3]
	v_fma_f64 v[20:21], v[4:5], v[18:19], -v[20:21]
	v_fmac_f64_e32 v[22:23], v[6:7], v[18:19]
	scratch_load_dwordx4 v[4:7], off, off offset:896
	s_waitcnt vmcnt(0)
	v_add_f64 v[4:5], v[4:5], -v[20:21]
	v_add_f64 v[6:7], v[6:7], -v[22:23]
	scratch_store_dwordx4 off, v[4:7], off offset:896
	ds_read2_b64 v[4:7], v14 offset0:114 offset1:115
	s_waitcnt lgkmcnt(0)
	;; [unrolled: 11-line block ×5, first 2 shown]
	v_mul_f64 v[20:21], v[6:7], v[2:3]
	v_fma_f64 v[20:21], v[4:5], v[18:19], -v[20:21]
	v_mul_f64 v[22:23], v[4:5], v[2:3]
	scratch_load_dwordx4 v[2:5], off, off offset:960
	v_fmac_f64_e32 v[22:23], v[6:7], v[18:19]
	scratch_load_dwordx2 v[6:7], off, off offset:776
	s_waitcnt vmcnt(1)
	v_add_f64 v[2:3], v[2:3], -v[20:21]
	v_add_f64 v[4:5], v[4:5], -v[22:23]
	scratch_store_dwordx4 off, v[2:5], off offset:960
	ds_read2_b64 v[2:5], v14 offset0:122 offset1:123
	s_waitcnt vmcnt(1) lgkmcnt(0)
	v_mul_f64 v[18:19], v[4:5], v[6:7]
	v_mul_f64 v[20:21], v[2:3], v[6:7]
	v_fma_f64 v[18:19], v[2:3], v[0:1], -v[18:19]
	v_fmac_f64_e32 v[20:21], v[4:5], v[0:1]
	scratch_load_dwordx4 v[2:5], off, off offset:976
	s_waitcnt vmcnt(0)
	v_add_f64 v[2:3], v[2:3], -v[18:19]
	v_add_f64 v[4:5], v[4:5], -v[20:21]
	scratch_store_dwordx4 off, v[2:5], off offset:976
	ds_read2_b64 v[2:5], v14 offset0:124 offset1:125
	s_waitcnt lgkmcnt(0)
	v_mul_f64 v[18:19], v[4:5], v[6:7]
	v_mul_f64 v[6:7], v[2:3], v[6:7]
	v_fma_f64 v[18:19], v[2:3], v[0:1], -v[18:19]
	v_fmac_f64_e32 v[6:7], v[4:5], v[0:1]
	scratch_load_dwordx4 v[0:3], off, off offset:992
	s_waitcnt vmcnt(0)
	v_add_f64 v[0:1], v[0:1], -v[18:19]
	v_add_f64 v[2:3], v[2:3], -v[6:7]
	scratch_store_dwordx4 off, v[0:3], off offset:992
.LBB124_1138:
	s_or_b64 exec, exec, s[0:1]
	s_barrier
	scratch_load_dwordx4 v[0:3], off, s34
	v_lshl_add_u32 v4, v17, 4, v14
	s_cmp_lt_i32 s52, 51
	s_waitcnt vmcnt(0)
	ds_write2_b64 v4, v[0:1], v[2:3] offset1:1
	s_waitcnt lgkmcnt(0)
	s_barrier
	ds_read2_b64 v[0:3], v14 offset0:98 offset1:99
	v_mov_b32_e32 v4, 49
	s_cbranch_scc1 .LBB124_1141
; %bb.1139:
	v_add_u32_e32 v5, 0x320, v14
	s_mov_b32 s4, 50
	v_mov_b32_e32 v4, 49
.LBB124_1140:                           ; =>This Inner Loop Header: Depth=1
	ds_read2_b64 v[18:21], v5 offset1:1
	s_waitcnt lgkmcnt(1)
	v_xor_b32_e32 v7, 0x80000000, v1
	v_xor_b32_e32 v23, 0x80000000, v3
	v_cmp_gt_f64_e32 vcc, 0, v[2:3]
	v_cmp_gt_f64_e64 s[0:1], 0, v[0:1]
	v_mov_b32_e32 v6, v0
	v_mov_b32_e32 v22, v2
	v_cndmask_b32_e64 v7, v1, v7, s[0:1]
	v_cndmask_b32_e32 v23, v3, v23, vcc
	v_add_f64 v[6:7], v[6:7], v[22:23]
	s_waitcnt lgkmcnt(0)
	v_xor_b32_e32 v23, 0x80000000, v19
	v_xor_b32_e32 v25, 0x80000000, v21
	v_cmp_gt_f64_e32 vcc, 0, v[20:21]
	v_cmp_gt_f64_e64 s[0:1], 0, v[18:19]
	v_mov_b32_e32 v22, v18
	v_mov_b32_e32 v24, v20
	v_cndmask_b32_e64 v23, v19, v23, s[0:1]
	v_cndmask_b32_e32 v25, v21, v25, vcc
	v_add_f64 v[22:23], v[22:23], v[24:25]
	v_mov_b32_e32 v26, s4
	s_add_i32 s4, s4, 1
	v_cmp_lt_f64_e32 vcc, v[6:7], v[22:23]
	v_add_u32_e32 v5, 16, v5
	s_cmp_lg_u32 s52, s4
	v_cndmask_b32_e32 v1, v1, v19, vcc
	v_cndmask_b32_e32 v0, v0, v18, vcc
	;; [unrolled: 1-line block ×5, first 2 shown]
	s_cbranch_scc1 .LBB124_1140
.LBB124_1141:
	s_waitcnt lgkmcnt(0)
	v_cmp_eq_f64_e32 vcc, 0, v[0:1]
	v_cmp_eq_f64_e64 s[0:1], 0, v[2:3]
	s_and_b64 s[0:1], vcc, s[0:1]
	s_and_saveexec_b64 s[4:5], s[0:1]
	s_xor_b64 s[0:1], exec, s[4:5]
; %bb.1142:
	v_cmp_ne_u32_e32 vcc, 0, v15
	s_nop 1
	v_cndmask_b32_e32 v15, 50, v15, vcc
; %bb.1143:
	s_andn2_saveexec_b64 s[0:1], s[0:1]
	s_cbranch_execz .LBB124_1149
; %bb.1144:
	v_cmp_ngt_f64_e64 s[4:5], |v[0:1]|, |v[2:3]|
	s_and_saveexec_b64 s[12:13], s[4:5]
	s_xor_b64 s[12:13], exec, s[12:13]
	s_cbranch_execz .LBB124_1146
; %bb.1145:
	v_div_scale_f64 v[6:7], s[4:5], v[2:3], v[2:3], v[0:1]
	v_rcp_f64_e32 v[18:19], v[6:7]
	v_div_scale_f64 v[20:21], vcc, v[0:1], v[2:3], v[0:1]
	v_fma_f64 v[22:23], -v[6:7], v[18:19], 1.0
	v_fmac_f64_e32 v[18:19], v[18:19], v[22:23]
	v_fma_f64 v[22:23], -v[6:7], v[18:19], 1.0
	v_fmac_f64_e32 v[18:19], v[18:19], v[22:23]
	v_mul_f64 v[22:23], v[20:21], v[18:19]
	v_fma_f64 v[6:7], -v[6:7], v[22:23], v[20:21]
	v_div_fmas_f64 v[6:7], v[6:7], v[18:19], v[22:23]
	v_div_fixup_f64 v[6:7], v[6:7], v[2:3], v[0:1]
	v_fmac_f64_e32 v[2:3], v[0:1], v[6:7]
	v_div_scale_f64 v[0:1], s[4:5], v[2:3], v[2:3], 1.0
	v_rcp_f64_e32 v[18:19], v[0:1]
	s_nop 0
	v_fma_f64 v[20:21], -v[0:1], v[18:19], 1.0
	v_fmac_f64_e32 v[18:19], v[18:19], v[20:21]
	v_fma_f64 v[20:21], -v[0:1], v[18:19], 1.0
	v_fmac_f64_e32 v[18:19], v[18:19], v[20:21]
	v_div_scale_f64 v[20:21], vcc, 1.0, v[2:3], 1.0
	v_mul_f64 v[22:23], v[20:21], v[18:19]
	v_fma_f64 v[0:1], -v[0:1], v[22:23], v[20:21]
	s_nop 1
	v_div_fmas_f64 v[0:1], v[0:1], v[18:19], v[22:23]
	v_div_fixup_f64 v[2:3], v[0:1], v[2:3], 1.0
	v_mul_f64 v[0:1], v[6:7], v[2:3]
	v_xor_b32_e32 v3, 0x80000000, v3
.LBB124_1146:
	s_andn2_saveexec_b64 s[12:13], s[12:13]
	s_cbranch_execz .LBB124_1148
; %bb.1147:
	v_div_scale_f64 v[6:7], s[4:5], v[0:1], v[0:1], v[2:3]
	v_rcp_f64_e32 v[18:19], v[6:7]
	v_div_scale_f64 v[20:21], vcc, v[2:3], v[0:1], v[2:3]
	v_fma_f64 v[22:23], -v[6:7], v[18:19], 1.0
	v_fmac_f64_e32 v[18:19], v[18:19], v[22:23]
	v_fma_f64 v[22:23], -v[6:7], v[18:19], 1.0
	v_fmac_f64_e32 v[18:19], v[18:19], v[22:23]
	v_mul_f64 v[22:23], v[20:21], v[18:19]
	v_fma_f64 v[6:7], -v[6:7], v[22:23], v[20:21]
	v_div_fmas_f64 v[6:7], v[6:7], v[18:19], v[22:23]
	v_div_fixup_f64 v[6:7], v[6:7], v[0:1], v[2:3]
	v_fmac_f64_e32 v[0:1], v[2:3], v[6:7]
	v_div_scale_f64 v[2:3], s[4:5], v[0:1], v[0:1], 1.0
	v_rcp_f64_e32 v[18:19], v[2:3]
	s_nop 0
	v_fma_f64 v[20:21], -v[2:3], v[18:19], 1.0
	v_fmac_f64_e32 v[18:19], v[18:19], v[20:21]
	v_fma_f64 v[20:21], -v[2:3], v[18:19], 1.0
	v_fmac_f64_e32 v[18:19], v[18:19], v[20:21]
	v_div_scale_f64 v[20:21], vcc, 1.0, v[0:1], 1.0
	v_mul_f64 v[22:23], v[20:21], v[18:19]
	v_fma_f64 v[2:3], -v[2:3], v[22:23], v[20:21]
	s_nop 1
	v_div_fmas_f64 v[2:3], v[2:3], v[18:19], v[22:23]
	v_div_fixup_f64 v[0:1], v[2:3], v[0:1], 1.0
	v_mul_f64 v[2:3], v[6:7], -v[0:1]
.LBB124_1148:
	s_or_b64 exec, exec, s[12:13]
.LBB124_1149:
	s_or_b64 exec, exec, s[0:1]
	v_cmp_ne_u32_e32 vcc, v17, v4
	s_and_saveexec_b64 s[0:1], vcc
	s_xor_b64 s[0:1], exec, s[0:1]
	s_cbranch_execz .LBB124_1155
; %bb.1150:
	v_cmp_eq_u32_e32 vcc, 49, v17
	s_and_saveexec_b64 s[12:13], vcc
	s_cbranch_execz .LBB124_1154
; %bb.1151:
	v_cmp_ne_u32_e32 vcc, 49, v4
	s_xor_b64 s[4:5], s[18:19], -1
	s_and_b64 s[4:5], s[4:5], vcc
	s_and_saveexec_b64 s[14:15], s[4:5]
	s_cbranch_execz .LBB124_1153
; %bb.1152:
	v_ashrrev_i32_e32 v5, 31, v4
	v_lshl_add_u64 v[6:7], v[4:5], 2, v[10:11]
	global_load_dword v5, v[6:7], off
	global_load_dword v16, v[10:11], off offset:196
	s_waitcnt vmcnt(1)
	global_store_dword v[10:11], v5, off offset:196
	s_waitcnt vmcnt(1)
	global_store_dword v[6:7], v16, off
.LBB124_1153:
	s_or_b64 exec, exec, s[14:15]
	v_mov_b32_e32 v17, v4
	v_mov_b32_e32 v16, v4
.LBB124_1154:
	s_or_b64 exec, exec, s[12:13]
.LBB124_1155:
	s_andn2_saveexec_b64 s[0:1], s[0:1]
	s_cbranch_execz .LBB124_1157
; %bb.1156:
	scratch_load_dwordx4 v[4:7], off, s33
	scratch_load_dwordx4 v[18:21], off, s31
	;; [unrolled: 1-line block ×13, first 2 shown]
	v_mov_b32_e32 v17, 49
	s_waitcnt vmcnt(12)
	ds_write2_b64 v14, v[4:5], v[6:7] offset0:100 offset1:101
	s_waitcnt vmcnt(11)
	ds_write2_b64 v14, v[18:19], v[20:21] offset0:102 offset1:103
	;; [unrolled: 2-line block ×13, first 2 shown]
.LBB124_1157:
	s_or_b64 exec, exec, s[0:1]
	v_cmp_lt_i32_e32 vcc, 49, v17
	s_waitcnt lgkmcnt(0)
	s_barrier
	s_and_saveexec_b64 s[0:1], vcc
	s_cbranch_execz .LBB124_1159
; %bb.1158:
	scratch_load_dwordx4 v[4:7], off, off offset:784
	s_waitcnt vmcnt(0)
	v_mul_f64 v[18:19], v[2:3], v[6:7]
	v_mul_f64 v[20:21], v[0:1], v[6:7]
	v_fma_f64 v[18:19], v[0:1], v[4:5], -v[18:19]
	v_fmac_f64_e32 v[20:21], v[2:3], v[4:5]
	ds_read2_b64 v[0:3], v14 offset0:100 offset1:101
	scratch_store_dwordx4 off, v[18:21], off offset:784
	s_waitcnt lgkmcnt(0)
	v_mul_f64 v[4:5], v[2:3], v[20:21]
	v_mul_f64 v[6:7], v[0:1], v[20:21]
	v_fma_f64 v[4:5], v[0:1], v[18:19], -v[4:5]
	v_fmac_f64_e32 v[6:7], v[2:3], v[18:19]
	scratch_load_dwordx4 v[0:3], off, off offset:800
	s_waitcnt vmcnt(0)
	v_add_f64 v[0:1], v[0:1], -v[4:5]
	v_add_f64 v[2:3], v[2:3], -v[6:7]
	scratch_store_dwordx4 off, v[0:3], off offset:800
	ds_read2_b64 v[0:3], v14 offset0:102 offset1:103
	s_waitcnt lgkmcnt(0)
	v_mul_f64 v[4:5], v[2:3], v[20:21]
	v_mul_f64 v[6:7], v[0:1], v[20:21]
	v_fma_f64 v[4:5], v[0:1], v[18:19], -v[4:5]
	v_fmac_f64_e32 v[6:7], v[2:3], v[18:19]
	scratch_load_dwordx4 v[0:3], off, off offset:816
	s_waitcnt vmcnt(0)
	v_add_f64 v[0:1], v[0:1], -v[4:5]
	v_add_f64 v[2:3], v[2:3], -v[6:7]
	scratch_store_dwordx4 off, v[0:3], off offset:816
	ds_read2_b64 v[0:3], v14 offset0:104 offset1:105
	;; [unrolled: 11-line block ×6, first 2 shown]
	scratch_load_dwordx2 v[18:19], off, off offset:784
	scratch_load_dwordx4 v[4:7], off, off offset:784
	s_waitcnt vmcnt(0) lgkmcnt(0)
	v_mul_f64 v[20:21], v[2:3], v[6:7]
	v_mul_f64 v[22:23], v[0:1], v[6:7]
	v_fma_f64 v[20:21], v[0:1], v[18:19], -v[20:21]
	v_fmac_f64_e32 v[22:23], v[2:3], v[18:19]
	scratch_load_dwordx4 v[0:3], off, off offset:896
	s_waitcnt vmcnt(0)
	v_add_f64 v[0:1], v[0:1], -v[20:21]
	v_add_f64 v[2:3], v[2:3], -v[22:23]
	scratch_store_dwordx4 off, v[0:3], off offset:896
	ds_read2_b64 v[0:3], v14 offset0:114 offset1:115
	s_waitcnt lgkmcnt(0)
	v_mul_f64 v[20:21], v[2:3], v[6:7]
	v_mul_f64 v[22:23], v[0:1], v[6:7]
	v_fma_f64 v[20:21], v[0:1], v[18:19], -v[20:21]
	v_fmac_f64_e32 v[22:23], v[2:3], v[18:19]
	scratch_load_dwordx4 v[0:3], off, off offset:912
	s_waitcnt vmcnt(0)
	v_add_f64 v[0:1], v[0:1], -v[20:21]
	v_add_f64 v[2:3], v[2:3], -v[22:23]
	scratch_store_dwordx4 off, v[0:3], off offset:912
	ds_read2_b64 v[0:3], v14 offset0:116 offset1:117
	s_waitcnt lgkmcnt(0)
	;; [unrolled: 11-line block ×5, first 2 shown]
	v_mul_f64 v[20:21], v[2:3], v[6:7]
	v_mul_f64 v[6:7], v[0:1], v[6:7]
	v_fma_f64 v[20:21], v[0:1], v[18:19], -v[20:21]
	v_fmac_f64_e32 v[6:7], v[2:3], v[18:19]
	scratch_load_dwordx4 v[0:3], off, off offset:976
	s_waitcnt vmcnt(0)
	v_add_f64 v[2:3], v[2:3], -v[6:7]
	scratch_load_dwordx2 v[6:7], off, off offset:792
	v_add_f64 v[0:1], v[0:1], -v[20:21]
	scratch_store_dwordx4 off, v[0:3], off offset:976
	ds_read2_b64 v[0:3], v14 offset0:124 offset1:125
	s_waitcnt vmcnt(1) lgkmcnt(0)
	v_mul_f64 v[18:19], v[2:3], v[6:7]
	v_mul_f64 v[6:7], v[0:1], v[6:7]
	v_fma_f64 v[18:19], v[0:1], v[4:5], -v[18:19]
	v_fmac_f64_e32 v[6:7], v[2:3], v[4:5]
	scratch_load_dwordx4 v[0:3], off, off offset:992
	s_waitcnt vmcnt(0)
	v_add_f64 v[0:1], v[0:1], -v[18:19]
	v_add_f64 v[2:3], v[2:3], -v[6:7]
	scratch_store_dwordx4 off, v[0:3], off offset:992
.LBB124_1159:
	s_or_b64 exec, exec, s[0:1]
	s_barrier
	scratch_load_dwordx4 v[0:3], off, s33
	v_lshl_add_u32 v4, v17, 4, v14
	s_cmp_lt_i32 s52, 52
	s_waitcnt vmcnt(0)
	ds_write2_b64 v4, v[0:1], v[2:3] offset1:1
	s_waitcnt lgkmcnt(0)
	s_barrier
	ds_read2_b64 v[0:3], v14 offset0:100 offset1:101
	v_mov_b32_e32 v4, 50
	s_cbranch_scc1 .LBB124_1162
; %bb.1160:
	v_add_u32_e32 v5, 0x330, v14
	s_mov_b32 s4, 51
	v_mov_b32_e32 v4, 50
.LBB124_1161:                           ; =>This Inner Loop Header: Depth=1
	ds_read2_b64 v[18:21], v5 offset1:1
	s_waitcnt lgkmcnt(1)
	v_xor_b32_e32 v7, 0x80000000, v1
	v_xor_b32_e32 v23, 0x80000000, v3
	v_cmp_gt_f64_e32 vcc, 0, v[2:3]
	v_cmp_gt_f64_e64 s[0:1], 0, v[0:1]
	v_mov_b32_e32 v6, v0
	v_mov_b32_e32 v22, v2
	v_cndmask_b32_e64 v7, v1, v7, s[0:1]
	v_cndmask_b32_e32 v23, v3, v23, vcc
	v_add_f64 v[6:7], v[6:7], v[22:23]
	s_waitcnt lgkmcnt(0)
	v_xor_b32_e32 v23, 0x80000000, v19
	v_xor_b32_e32 v25, 0x80000000, v21
	v_cmp_gt_f64_e32 vcc, 0, v[20:21]
	v_cmp_gt_f64_e64 s[0:1], 0, v[18:19]
	v_mov_b32_e32 v22, v18
	v_mov_b32_e32 v24, v20
	v_cndmask_b32_e64 v23, v19, v23, s[0:1]
	v_cndmask_b32_e32 v25, v21, v25, vcc
	v_add_f64 v[22:23], v[22:23], v[24:25]
	v_mov_b32_e32 v26, s4
	s_add_i32 s4, s4, 1
	v_cmp_lt_f64_e32 vcc, v[6:7], v[22:23]
	v_add_u32_e32 v5, 16, v5
	s_cmp_lg_u32 s52, s4
	v_cndmask_b32_e32 v1, v1, v19, vcc
	v_cndmask_b32_e32 v0, v0, v18, vcc
	;; [unrolled: 1-line block ×5, first 2 shown]
	s_cbranch_scc1 .LBB124_1161
.LBB124_1162:
	s_waitcnt lgkmcnt(0)
	v_cmp_eq_f64_e32 vcc, 0, v[0:1]
	v_cmp_eq_f64_e64 s[0:1], 0, v[2:3]
	s_and_b64 s[0:1], vcc, s[0:1]
	s_and_saveexec_b64 s[4:5], s[0:1]
	s_xor_b64 s[0:1], exec, s[4:5]
; %bb.1163:
	v_cmp_ne_u32_e32 vcc, 0, v15
	s_nop 1
	v_cndmask_b32_e32 v15, 51, v15, vcc
; %bb.1164:
	s_andn2_saveexec_b64 s[0:1], s[0:1]
	s_cbranch_execz .LBB124_1170
; %bb.1165:
	v_cmp_ngt_f64_e64 s[4:5], |v[0:1]|, |v[2:3]|
	s_and_saveexec_b64 s[12:13], s[4:5]
	s_xor_b64 s[12:13], exec, s[12:13]
	s_cbranch_execz .LBB124_1167
; %bb.1166:
	v_div_scale_f64 v[6:7], s[4:5], v[2:3], v[2:3], v[0:1]
	v_rcp_f64_e32 v[18:19], v[6:7]
	v_div_scale_f64 v[20:21], vcc, v[0:1], v[2:3], v[0:1]
	v_fma_f64 v[22:23], -v[6:7], v[18:19], 1.0
	v_fmac_f64_e32 v[18:19], v[18:19], v[22:23]
	v_fma_f64 v[22:23], -v[6:7], v[18:19], 1.0
	v_fmac_f64_e32 v[18:19], v[18:19], v[22:23]
	v_mul_f64 v[22:23], v[20:21], v[18:19]
	v_fma_f64 v[6:7], -v[6:7], v[22:23], v[20:21]
	v_div_fmas_f64 v[6:7], v[6:7], v[18:19], v[22:23]
	v_div_fixup_f64 v[6:7], v[6:7], v[2:3], v[0:1]
	v_fmac_f64_e32 v[2:3], v[0:1], v[6:7]
	v_div_scale_f64 v[0:1], s[4:5], v[2:3], v[2:3], 1.0
	v_rcp_f64_e32 v[18:19], v[0:1]
	s_nop 0
	v_fma_f64 v[20:21], -v[0:1], v[18:19], 1.0
	v_fmac_f64_e32 v[18:19], v[18:19], v[20:21]
	v_fma_f64 v[20:21], -v[0:1], v[18:19], 1.0
	v_fmac_f64_e32 v[18:19], v[18:19], v[20:21]
	v_div_scale_f64 v[20:21], vcc, 1.0, v[2:3], 1.0
	v_mul_f64 v[22:23], v[20:21], v[18:19]
	v_fma_f64 v[0:1], -v[0:1], v[22:23], v[20:21]
	s_nop 1
	v_div_fmas_f64 v[0:1], v[0:1], v[18:19], v[22:23]
	v_div_fixup_f64 v[2:3], v[0:1], v[2:3], 1.0
	v_mul_f64 v[0:1], v[6:7], v[2:3]
	v_xor_b32_e32 v3, 0x80000000, v3
.LBB124_1167:
	s_andn2_saveexec_b64 s[12:13], s[12:13]
	s_cbranch_execz .LBB124_1169
; %bb.1168:
	v_div_scale_f64 v[6:7], s[4:5], v[0:1], v[0:1], v[2:3]
	v_rcp_f64_e32 v[18:19], v[6:7]
	v_div_scale_f64 v[20:21], vcc, v[2:3], v[0:1], v[2:3]
	v_fma_f64 v[22:23], -v[6:7], v[18:19], 1.0
	v_fmac_f64_e32 v[18:19], v[18:19], v[22:23]
	v_fma_f64 v[22:23], -v[6:7], v[18:19], 1.0
	v_fmac_f64_e32 v[18:19], v[18:19], v[22:23]
	v_mul_f64 v[22:23], v[20:21], v[18:19]
	v_fma_f64 v[6:7], -v[6:7], v[22:23], v[20:21]
	v_div_fmas_f64 v[6:7], v[6:7], v[18:19], v[22:23]
	v_div_fixup_f64 v[6:7], v[6:7], v[0:1], v[2:3]
	v_fmac_f64_e32 v[0:1], v[2:3], v[6:7]
	v_div_scale_f64 v[2:3], s[4:5], v[0:1], v[0:1], 1.0
	v_rcp_f64_e32 v[18:19], v[2:3]
	s_nop 0
	v_fma_f64 v[20:21], -v[2:3], v[18:19], 1.0
	v_fmac_f64_e32 v[18:19], v[18:19], v[20:21]
	v_fma_f64 v[20:21], -v[2:3], v[18:19], 1.0
	v_fmac_f64_e32 v[18:19], v[18:19], v[20:21]
	v_div_scale_f64 v[20:21], vcc, 1.0, v[0:1], 1.0
	v_mul_f64 v[22:23], v[20:21], v[18:19]
	v_fma_f64 v[2:3], -v[2:3], v[22:23], v[20:21]
	s_nop 1
	v_div_fmas_f64 v[2:3], v[2:3], v[18:19], v[22:23]
	v_div_fixup_f64 v[0:1], v[2:3], v[0:1], 1.0
	v_mul_f64 v[2:3], v[6:7], -v[0:1]
.LBB124_1169:
	s_or_b64 exec, exec, s[12:13]
.LBB124_1170:
	s_or_b64 exec, exec, s[0:1]
	v_cmp_ne_u32_e32 vcc, v17, v4
	s_and_saveexec_b64 s[0:1], vcc
	s_xor_b64 s[0:1], exec, s[0:1]
	s_cbranch_execz .LBB124_1176
; %bb.1171:
	v_cmp_eq_u32_e32 vcc, 50, v17
	s_and_saveexec_b64 s[12:13], vcc
	s_cbranch_execz .LBB124_1175
; %bb.1172:
	v_cmp_ne_u32_e32 vcc, 50, v4
	s_xor_b64 s[4:5], s[18:19], -1
	s_and_b64 s[4:5], s[4:5], vcc
	s_and_saveexec_b64 s[14:15], s[4:5]
	s_cbranch_execz .LBB124_1174
; %bb.1173:
	v_ashrrev_i32_e32 v5, 31, v4
	v_lshl_add_u64 v[6:7], v[4:5], 2, v[10:11]
	global_load_dword v5, v[6:7], off
	global_load_dword v16, v[10:11], off offset:200
	s_waitcnt vmcnt(1)
	global_store_dword v[10:11], v5, off offset:200
	s_waitcnt vmcnt(1)
	global_store_dword v[6:7], v16, off
.LBB124_1174:
	s_or_b64 exec, exec, s[14:15]
	v_mov_b32_e32 v17, v4
	v_mov_b32_e32 v16, v4
.LBB124_1175:
	s_or_b64 exec, exec, s[12:13]
.LBB124_1176:
	s_andn2_saveexec_b64 s[0:1], s[0:1]
	s_cbranch_execz .LBB124_1178
; %bb.1177:
	scratch_load_dwordx4 v[4:7], off, s31
	scratch_load_dwordx4 v[18:21], off, s30
	;; [unrolled: 1-line block ×12, first 2 shown]
	v_mov_b32_e32 v17, 50
	s_waitcnt vmcnt(11)
	ds_write2_b64 v14, v[4:5], v[6:7] offset0:102 offset1:103
	s_waitcnt vmcnt(10)
	ds_write2_b64 v14, v[18:19], v[20:21] offset0:104 offset1:105
	;; [unrolled: 2-line block ×12, first 2 shown]
.LBB124_1178:
	s_or_b64 exec, exec, s[0:1]
	v_cmp_lt_i32_e32 vcc, 50, v17
	s_waitcnt lgkmcnt(0)
	s_barrier
	s_and_saveexec_b64 s[0:1], vcc
	s_cbranch_execz .LBB124_1180
; %bb.1179:
	scratch_load_dwordx4 v[4:7], off, off offset:800
	s_waitcnt vmcnt(0)
	v_mul_f64 v[18:19], v[2:3], v[6:7]
	v_mul_f64 v[20:21], v[0:1], v[6:7]
	v_fma_f64 v[18:19], v[0:1], v[4:5], -v[18:19]
	v_fmac_f64_e32 v[20:21], v[2:3], v[4:5]
	ds_read2_b64 v[0:3], v14 offset0:102 offset1:103
	scratch_store_dwordx4 off, v[18:21], off offset:800
	s_waitcnt lgkmcnt(0)
	v_mul_f64 v[4:5], v[2:3], v[20:21]
	v_mul_f64 v[6:7], v[0:1], v[20:21]
	v_fma_f64 v[4:5], v[0:1], v[18:19], -v[4:5]
	v_fmac_f64_e32 v[6:7], v[2:3], v[18:19]
	scratch_load_dwordx4 v[0:3], off, off offset:816
	s_waitcnt vmcnt(0)
	v_add_f64 v[0:1], v[0:1], -v[4:5]
	v_add_f64 v[2:3], v[2:3], -v[6:7]
	scratch_store_dwordx4 off, v[0:3], off offset:816
	ds_read2_b64 v[0:3], v14 offset0:104 offset1:105
	s_waitcnt lgkmcnt(0)
	v_mul_f64 v[4:5], v[2:3], v[20:21]
	v_mul_f64 v[6:7], v[0:1], v[20:21]
	v_fma_f64 v[4:5], v[0:1], v[18:19], -v[4:5]
	v_fmac_f64_e32 v[6:7], v[2:3], v[18:19]
	scratch_load_dwordx4 v[0:3], off, off offset:832
	s_waitcnt vmcnt(0)
	v_add_f64 v[0:1], v[0:1], -v[4:5]
	v_add_f64 v[2:3], v[2:3], -v[6:7]
	scratch_store_dwordx4 off, v[0:3], off offset:832
	ds_read2_b64 v[0:3], v14 offset0:106 offset1:107
	;; [unrolled: 11-line block ×5, first 2 shown]
	s_waitcnt lgkmcnt(0)
	v_mul_f64 v[4:5], v[2:3], v[20:21]
	v_mul_f64 v[6:7], v[0:1], v[20:21]
	v_fma_f64 v[4:5], v[0:1], v[18:19], -v[4:5]
	v_fmac_f64_e32 v[6:7], v[2:3], v[18:19]
	scratch_load_dwordx4 v[0:3], off, off offset:896
	s_waitcnt vmcnt(0)
	v_add_f64 v[0:1], v[0:1], -v[4:5]
	v_add_f64 v[2:3], v[2:3], -v[6:7]
	scratch_load_dwordx4 v[4:7], off, off offset:800
	s_nop 0
	scratch_store_dwordx4 off, v[0:3], off offset:896
	ds_read2_b64 v[0:3], v14 offset0:114 offset1:115
	s_waitcnt vmcnt(1) lgkmcnt(0)
	v_mul_f64 v[18:19], v[2:3], v[6:7]
	v_mul_f64 v[20:21], v[0:1], v[6:7]
	v_fma_f64 v[18:19], v[0:1], v[4:5], -v[18:19]
	v_fmac_f64_e32 v[20:21], v[2:3], v[4:5]
	scratch_load_dwordx4 v[0:3], off, off offset:912
	s_waitcnt vmcnt(0)
	v_add_f64 v[0:1], v[0:1], -v[18:19]
	v_add_f64 v[2:3], v[2:3], -v[20:21]
	scratch_store_dwordx4 off, v[0:3], off offset:912
	ds_read2_b64 v[0:3], v14 offset0:116 offset1:117
	s_waitcnt lgkmcnt(0)
	v_mul_f64 v[18:19], v[2:3], v[6:7]
	v_mul_f64 v[20:21], v[0:1], v[6:7]
	v_fma_f64 v[18:19], v[0:1], v[4:5], -v[18:19]
	v_fmac_f64_e32 v[20:21], v[2:3], v[4:5]
	scratch_load_dwordx4 v[0:3], off, off offset:928
	s_waitcnt vmcnt(0)
	v_add_f64 v[0:1], v[0:1], -v[18:19]
	v_add_f64 v[2:3], v[2:3], -v[20:21]
	scratch_store_dwordx4 off, v[0:3], off offset:928
	ds_read2_b64 v[0:3], v14 offset0:118 offset1:119
	s_waitcnt lgkmcnt(0)
	;; [unrolled: 11-line block ×5, first 2 shown]
	v_mul_f64 v[18:19], v[2:3], v[6:7]
	v_mul_f64 v[6:7], v[0:1], v[6:7]
	v_fma_f64 v[18:19], v[0:1], v[4:5], -v[18:19]
	v_fmac_f64_e32 v[6:7], v[2:3], v[4:5]
	scratch_load_dwordx4 v[0:3], off, off offset:992
	s_waitcnt vmcnt(0)
	v_add_f64 v[0:1], v[0:1], -v[18:19]
	v_add_f64 v[2:3], v[2:3], -v[6:7]
	scratch_store_dwordx4 off, v[0:3], off offset:992
.LBB124_1180:
	s_or_b64 exec, exec, s[0:1]
	s_barrier
	scratch_load_dwordx4 v[0:3], off, s31
	v_lshl_add_u32 v4, v17, 4, v14
	s_cmp_lt_i32 s52, 53
	s_waitcnt vmcnt(0)
	ds_write2_b64 v4, v[0:1], v[2:3] offset1:1
	s_waitcnt lgkmcnt(0)
	s_barrier
	ds_read2_b64 v[0:3], v14 offset0:102 offset1:103
	v_mov_b32_e32 v4, 51
	s_cbranch_scc1 .LBB124_1183
; %bb.1181:
	v_add_u32_e32 v5, 0x340, v14
	s_mov_b32 s4, 52
	v_mov_b32_e32 v4, 51
.LBB124_1182:                           ; =>This Inner Loop Header: Depth=1
	ds_read2_b64 v[18:21], v5 offset1:1
	s_waitcnt lgkmcnt(1)
	v_xor_b32_e32 v7, 0x80000000, v1
	v_xor_b32_e32 v23, 0x80000000, v3
	v_cmp_gt_f64_e32 vcc, 0, v[2:3]
	v_cmp_gt_f64_e64 s[0:1], 0, v[0:1]
	v_mov_b32_e32 v6, v0
	v_mov_b32_e32 v22, v2
	v_cndmask_b32_e64 v7, v1, v7, s[0:1]
	v_cndmask_b32_e32 v23, v3, v23, vcc
	v_add_f64 v[6:7], v[6:7], v[22:23]
	s_waitcnt lgkmcnt(0)
	v_xor_b32_e32 v23, 0x80000000, v19
	v_xor_b32_e32 v25, 0x80000000, v21
	v_cmp_gt_f64_e32 vcc, 0, v[20:21]
	v_cmp_gt_f64_e64 s[0:1], 0, v[18:19]
	v_mov_b32_e32 v22, v18
	v_mov_b32_e32 v24, v20
	v_cndmask_b32_e64 v23, v19, v23, s[0:1]
	v_cndmask_b32_e32 v25, v21, v25, vcc
	v_add_f64 v[22:23], v[22:23], v[24:25]
	v_mov_b32_e32 v26, s4
	s_add_i32 s4, s4, 1
	v_cmp_lt_f64_e32 vcc, v[6:7], v[22:23]
	v_add_u32_e32 v5, 16, v5
	s_cmp_lg_u32 s52, s4
	v_cndmask_b32_e32 v1, v1, v19, vcc
	v_cndmask_b32_e32 v0, v0, v18, vcc
	;; [unrolled: 1-line block ×5, first 2 shown]
	s_cbranch_scc1 .LBB124_1182
.LBB124_1183:
	s_waitcnt lgkmcnt(0)
	v_cmp_eq_f64_e32 vcc, 0, v[0:1]
	v_cmp_eq_f64_e64 s[0:1], 0, v[2:3]
	s_and_b64 s[0:1], vcc, s[0:1]
	s_and_saveexec_b64 s[4:5], s[0:1]
	s_xor_b64 s[0:1], exec, s[4:5]
; %bb.1184:
	v_cmp_ne_u32_e32 vcc, 0, v15
	s_nop 1
	v_cndmask_b32_e32 v15, 52, v15, vcc
; %bb.1185:
	s_andn2_saveexec_b64 s[0:1], s[0:1]
	s_cbranch_execz .LBB124_1191
; %bb.1186:
	v_cmp_ngt_f64_e64 s[4:5], |v[0:1]|, |v[2:3]|
	s_and_saveexec_b64 s[12:13], s[4:5]
	s_xor_b64 s[12:13], exec, s[12:13]
	s_cbranch_execz .LBB124_1188
; %bb.1187:
	v_div_scale_f64 v[6:7], s[4:5], v[2:3], v[2:3], v[0:1]
	v_rcp_f64_e32 v[18:19], v[6:7]
	v_div_scale_f64 v[20:21], vcc, v[0:1], v[2:3], v[0:1]
	v_fma_f64 v[22:23], -v[6:7], v[18:19], 1.0
	v_fmac_f64_e32 v[18:19], v[18:19], v[22:23]
	v_fma_f64 v[22:23], -v[6:7], v[18:19], 1.0
	v_fmac_f64_e32 v[18:19], v[18:19], v[22:23]
	v_mul_f64 v[22:23], v[20:21], v[18:19]
	v_fma_f64 v[6:7], -v[6:7], v[22:23], v[20:21]
	v_div_fmas_f64 v[6:7], v[6:7], v[18:19], v[22:23]
	v_div_fixup_f64 v[6:7], v[6:7], v[2:3], v[0:1]
	v_fmac_f64_e32 v[2:3], v[0:1], v[6:7]
	v_div_scale_f64 v[0:1], s[4:5], v[2:3], v[2:3], 1.0
	v_rcp_f64_e32 v[18:19], v[0:1]
	s_nop 0
	v_fma_f64 v[20:21], -v[0:1], v[18:19], 1.0
	v_fmac_f64_e32 v[18:19], v[18:19], v[20:21]
	v_fma_f64 v[20:21], -v[0:1], v[18:19], 1.0
	v_fmac_f64_e32 v[18:19], v[18:19], v[20:21]
	v_div_scale_f64 v[20:21], vcc, 1.0, v[2:3], 1.0
	v_mul_f64 v[22:23], v[20:21], v[18:19]
	v_fma_f64 v[0:1], -v[0:1], v[22:23], v[20:21]
	s_nop 1
	v_div_fmas_f64 v[0:1], v[0:1], v[18:19], v[22:23]
	v_div_fixup_f64 v[2:3], v[0:1], v[2:3], 1.0
	v_mul_f64 v[0:1], v[6:7], v[2:3]
	v_xor_b32_e32 v3, 0x80000000, v3
.LBB124_1188:
	s_andn2_saveexec_b64 s[12:13], s[12:13]
	s_cbranch_execz .LBB124_1190
; %bb.1189:
	v_div_scale_f64 v[6:7], s[4:5], v[0:1], v[0:1], v[2:3]
	v_rcp_f64_e32 v[18:19], v[6:7]
	v_div_scale_f64 v[20:21], vcc, v[2:3], v[0:1], v[2:3]
	v_fma_f64 v[22:23], -v[6:7], v[18:19], 1.0
	v_fmac_f64_e32 v[18:19], v[18:19], v[22:23]
	v_fma_f64 v[22:23], -v[6:7], v[18:19], 1.0
	v_fmac_f64_e32 v[18:19], v[18:19], v[22:23]
	v_mul_f64 v[22:23], v[20:21], v[18:19]
	v_fma_f64 v[6:7], -v[6:7], v[22:23], v[20:21]
	v_div_fmas_f64 v[6:7], v[6:7], v[18:19], v[22:23]
	v_div_fixup_f64 v[6:7], v[6:7], v[0:1], v[2:3]
	v_fmac_f64_e32 v[0:1], v[2:3], v[6:7]
	v_div_scale_f64 v[2:3], s[4:5], v[0:1], v[0:1], 1.0
	v_rcp_f64_e32 v[18:19], v[2:3]
	s_nop 0
	v_fma_f64 v[20:21], -v[2:3], v[18:19], 1.0
	v_fmac_f64_e32 v[18:19], v[18:19], v[20:21]
	v_fma_f64 v[20:21], -v[2:3], v[18:19], 1.0
	v_fmac_f64_e32 v[18:19], v[18:19], v[20:21]
	v_div_scale_f64 v[20:21], vcc, 1.0, v[0:1], 1.0
	v_mul_f64 v[22:23], v[20:21], v[18:19]
	v_fma_f64 v[2:3], -v[2:3], v[22:23], v[20:21]
	s_nop 1
	v_div_fmas_f64 v[2:3], v[2:3], v[18:19], v[22:23]
	v_div_fixup_f64 v[0:1], v[2:3], v[0:1], 1.0
	v_mul_f64 v[2:3], v[6:7], -v[0:1]
.LBB124_1190:
	s_or_b64 exec, exec, s[12:13]
.LBB124_1191:
	s_or_b64 exec, exec, s[0:1]
	v_cmp_ne_u32_e32 vcc, v17, v4
	s_and_saveexec_b64 s[0:1], vcc
	s_xor_b64 s[0:1], exec, s[0:1]
	s_cbranch_execz .LBB124_1197
; %bb.1192:
	v_cmp_eq_u32_e32 vcc, 51, v17
	s_and_saveexec_b64 s[12:13], vcc
	s_cbranch_execz .LBB124_1196
; %bb.1193:
	v_cmp_ne_u32_e32 vcc, 51, v4
	s_xor_b64 s[4:5], s[18:19], -1
	s_and_b64 s[4:5], s[4:5], vcc
	s_and_saveexec_b64 s[14:15], s[4:5]
	s_cbranch_execz .LBB124_1195
; %bb.1194:
	v_ashrrev_i32_e32 v5, 31, v4
	v_lshl_add_u64 v[6:7], v[4:5], 2, v[10:11]
	global_load_dword v5, v[6:7], off
	global_load_dword v16, v[10:11], off offset:204
	s_waitcnt vmcnt(1)
	global_store_dword v[10:11], v5, off offset:204
	s_waitcnt vmcnt(1)
	global_store_dword v[6:7], v16, off
.LBB124_1195:
	s_or_b64 exec, exec, s[14:15]
	v_mov_b32_e32 v17, v4
	v_mov_b32_e32 v16, v4
.LBB124_1196:
	s_or_b64 exec, exec, s[12:13]
.LBB124_1197:
	s_andn2_saveexec_b64 s[0:1], s[0:1]
	s_cbranch_execz .LBB124_1199
; %bb.1198:
	scratch_load_dwordx4 v[4:7], off, s30
	scratch_load_dwordx4 v[18:21], off, s29
	;; [unrolled: 1-line block ×11, first 2 shown]
	v_mov_b32_e32 v17, 51
	s_waitcnt vmcnt(10)
	ds_write2_b64 v14, v[4:5], v[6:7] offset0:104 offset1:105
	s_waitcnt vmcnt(9)
	ds_write2_b64 v14, v[18:19], v[20:21] offset0:106 offset1:107
	s_waitcnt vmcnt(8)
	ds_write2_b64 v14, v[22:23], v[24:25] offset0:108 offset1:109
	s_waitcnt vmcnt(7)
	ds_write2_b64 v14, v[26:27], v[28:29] offset0:110 offset1:111
	s_waitcnt vmcnt(6)
	ds_write2_b64 v14, v[30:31], v[32:33] offset0:112 offset1:113
	s_waitcnt vmcnt(5)
	ds_write2_b64 v14, v[34:35], v[36:37] offset0:114 offset1:115
	s_waitcnt vmcnt(4)
	ds_write2_b64 v14, v[38:39], v[40:41] offset0:116 offset1:117
	s_waitcnt vmcnt(3)
	ds_write2_b64 v14, v[42:43], v[44:45] offset0:118 offset1:119
	s_waitcnt vmcnt(2)
	ds_write2_b64 v14, v[46:47], v[48:49] offset0:120 offset1:121
	s_waitcnt vmcnt(1)
	ds_write2_b64 v14, v[50:51], v[52:53] offset0:122 offset1:123
	s_waitcnt vmcnt(0)
	ds_write2_b64 v14, v[54:55], v[56:57] offset0:124 offset1:125
.LBB124_1199:
	s_or_b64 exec, exec, s[0:1]
	v_cmp_lt_i32_e32 vcc, 51, v17
	s_waitcnt lgkmcnt(0)
	s_barrier
	s_and_saveexec_b64 s[0:1], vcc
	s_cbranch_execz .LBB124_1201
; %bb.1200:
	scratch_load_dwordx4 v[4:7], off, off offset:816
	s_waitcnt vmcnt(0)
	v_mul_f64 v[18:19], v[2:3], v[6:7]
	v_mul_f64 v[20:21], v[0:1], v[6:7]
	v_fma_f64 v[18:19], v[0:1], v[4:5], -v[18:19]
	v_fmac_f64_e32 v[20:21], v[2:3], v[4:5]
	ds_read2_b64 v[0:3], v14 offset0:104 offset1:105
	scratch_store_dwordx4 off, v[18:21], off offset:816
	s_waitcnt lgkmcnt(0)
	v_mul_f64 v[4:5], v[2:3], v[20:21]
	v_mul_f64 v[6:7], v[0:1], v[20:21]
	v_fma_f64 v[4:5], v[0:1], v[18:19], -v[4:5]
	v_fmac_f64_e32 v[6:7], v[2:3], v[18:19]
	scratch_load_dwordx4 v[0:3], off, off offset:832
	s_waitcnt vmcnt(0)
	v_add_f64 v[0:1], v[0:1], -v[4:5]
	v_add_f64 v[2:3], v[2:3], -v[6:7]
	scratch_store_dwordx4 off, v[0:3], off offset:832
	ds_read2_b64 v[0:3], v14 offset0:106 offset1:107
	s_waitcnt lgkmcnt(0)
	v_mul_f64 v[4:5], v[2:3], v[20:21]
	v_mul_f64 v[6:7], v[0:1], v[20:21]
	v_fma_f64 v[4:5], v[0:1], v[18:19], -v[4:5]
	v_fmac_f64_e32 v[6:7], v[2:3], v[18:19]
	scratch_load_dwordx4 v[0:3], off, off offset:848
	s_waitcnt vmcnt(0)
	v_add_f64 v[0:1], v[0:1], -v[4:5]
	v_add_f64 v[2:3], v[2:3], -v[6:7]
	scratch_store_dwordx4 off, v[0:3], off offset:848
	ds_read2_b64 v[0:3], v14 offset0:108 offset1:109
	;; [unrolled: 11-line block ×5, first 2 shown]
	s_waitcnt lgkmcnt(0)
	v_mul_f64 v[4:5], v[2:3], v[20:21]
	v_mul_f64 v[6:7], v[0:1], v[20:21]
	v_fma_f64 v[4:5], v[0:1], v[18:19], -v[4:5]
	v_fmac_f64_e32 v[6:7], v[2:3], v[18:19]
	scratch_load_dwordx4 v[0:3], off, off offset:912
	s_waitcnt vmcnt(0)
	v_add_f64 v[0:1], v[0:1], -v[4:5]
	v_add_f64 v[2:3], v[2:3], -v[6:7]
	scratch_load_dwordx4 v[4:7], off, off offset:816
	s_nop 0
	scratch_store_dwordx4 off, v[0:3], off offset:912
	ds_read2_b64 v[0:3], v14 offset0:116 offset1:117
	s_waitcnt vmcnt(1) lgkmcnt(0)
	v_mul_f64 v[18:19], v[2:3], v[6:7]
	v_mul_f64 v[20:21], v[0:1], v[6:7]
	v_fma_f64 v[18:19], v[0:1], v[4:5], -v[18:19]
	v_fmac_f64_e32 v[20:21], v[2:3], v[4:5]
	scratch_load_dwordx4 v[0:3], off, off offset:928
	s_waitcnt vmcnt(0)
	v_add_f64 v[0:1], v[0:1], -v[18:19]
	v_add_f64 v[2:3], v[2:3], -v[20:21]
	scratch_store_dwordx4 off, v[0:3], off offset:928
	ds_read2_b64 v[0:3], v14 offset0:118 offset1:119
	s_waitcnt lgkmcnt(0)
	v_mul_f64 v[18:19], v[2:3], v[6:7]
	v_mul_f64 v[20:21], v[0:1], v[6:7]
	v_fma_f64 v[18:19], v[0:1], v[4:5], -v[18:19]
	v_fmac_f64_e32 v[20:21], v[2:3], v[4:5]
	scratch_load_dwordx4 v[0:3], off, off offset:944
	s_waitcnt vmcnt(0)
	v_add_f64 v[0:1], v[0:1], -v[18:19]
	v_add_f64 v[2:3], v[2:3], -v[20:21]
	scratch_store_dwordx4 off, v[0:3], off offset:944
	ds_read2_b64 v[0:3], v14 offset0:120 offset1:121
	s_waitcnt lgkmcnt(0)
	;; [unrolled: 11-line block ×4, first 2 shown]
	v_mul_f64 v[18:19], v[2:3], v[6:7]
	v_mul_f64 v[6:7], v[0:1], v[6:7]
	v_fma_f64 v[18:19], v[0:1], v[4:5], -v[18:19]
	v_fmac_f64_e32 v[6:7], v[2:3], v[4:5]
	scratch_load_dwordx4 v[0:3], off, off offset:992
	s_waitcnt vmcnt(0)
	v_add_f64 v[0:1], v[0:1], -v[18:19]
	v_add_f64 v[2:3], v[2:3], -v[6:7]
	scratch_store_dwordx4 off, v[0:3], off offset:992
.LBB124_1201:
	s_or_b64 exec, exec, s[0:1]
	s_barrier
	scratch_load_dwordx4 v[0:3], off, s30
	v_lshl_add_u32 v4, v17, 4, v14
	s_cmp_lt_i32 s52, 54
	s_waitcnt vmcnt(0)
	ds_write2_b64 v4, v[0:1], v[2:3] offset1:1
	s_waitcnt lgkmcnt(0)
	s_barrier
	ds_read2_b64 v[0:3], v14 offset0:104 offset1:105
	v_mov_b32_e32 v4, 52
	s_cbranch_scc1 .LBB124_1204
; %bb.1202:
	v_add_u32_e32 v5, 0x350, v14
	s_mov_b32 s4, 53
	v_mov_b32_e32 v4, 52
.LBB124_1203:                           ; =>This Inner Loop Header: Depth=1
	ds_read2_b64 v[18:21], v5 offset1:1
	s_waitcnt lgkmcnt(1)
	v_xor_b32_e32 v7, 0x80000000, v1
	v_xor_b32_e32 v23, 0x80000000, v3
	v_cmp_gt_f64_e32 vcc, 0, v[2:3]
	v_cmp_gt_f64_e64 s[0:1], 0, v[0:1]
	v_mov_b32_e32 v6, v0
	v_mov_b32_e32 v22, v2
	v_cndmask_b32_e64 v7, v1, v7, s[0:1]
	v_cndmask_b32_e32 v23, v3, v23, vcc
	v_add_f64 v[6:7], v[6:7], v[22:23]
	s_waitcnt lgkmcnt(0)
	v_xor_b32_e32 v23, 0x80000000, v19
	v_xor_b32_e32 v25, 0x80000000, v21
	v_cmp_gt_f64_e32 vcc, 0, v[20:21]
	v_cmp_gt_f64_e64 s[0:1], 0, v[18:19]
	v_mov_b32_e32 v22, v18
	v_mov_b32_e32 v24, v20
	v_cndmask_b32_e64 v23, v19, v23, s[0:1]
	v_cndmask_b32_e32 v25, v21, v25, vcc
	v_add_f64 v[22:23], v[22:23], v[24:25]
	v_mov_b32_e32 v26, s4
	s_add_i32 s4, s4, 1
	v_cmp_lt_f64_e32 vcc, v[6:7], v[22:23]
	v_add_u32_e32 v5, 16, v5
	s_cmp_lg_u32 s52, s4
	v_cndmask_b32_e32 v1, v1, v19, vcc
	v_cndmask_b32_e32 v0, v0, v18, vcc
	;; [unrolled: 1-line block ×5, first 2 shown]
	s_cbranch_scc1 .LBB124_1203
.LBB124_1204:
	s_waitcnt lgkmcnt(0)
	v_cmp_eq_f64_e32 vcc, 0, v[0:1]
	v_cmp_eq_f64_e64 s[0:1], 0, v[2:3]
	s_and_b64 s[0:1], vcc, s[0:1]
	s_and_saveexec_b64 s[4:5], s[0:1]
	s_xor_b64 s[0:1], exec, s[4:5]
; %bb.1205:
	v_cmp_ne_u32_e32 vcc, 0, v15
	s_nop 1
	v_cndmask_b32_e32 v15, 53, v15, vcc
; %bb.1206:
	s_andn2_saveexec_b64 s[0:1], s[0:1]
	s_cbranch_execz .LBB124_1212
; %bb.1207:
	v_cmp_ngt_f64_e64 s[4:5], |v[0:1]|, |v[2:3]|
	s_and_saveexec_b64 s[12:13], s[4:5]
	s_xor_b64 s[12:13], exec, s[12:13]
	s_cbranch_execz .LBB124_1209
; %bb.1208:
	v_div_scale_f64 v[6:7], s[4:5], v[2:3], v[2:3], v[0:1]
	v_rcp_f64_e32 v[18:19], v[6:7]
	v_div_scale_f64 v[20:21], vcc, v[0:1], v[2:3], v[0:1]
	v_fma_f64 v[22:23], -v[6:7], v[18:19], 1.0
	v_fmac_f64_e32 v[18:19], v[18:19], v[22:23]
	v_fma_f64 v[22:23], -v[6:7], v[18:19], 1.0
	v_fmac_f64_e32 v[18:19], v[18:19], v[22:23]
	v_mul_f64 v[22:23], v[20:21], v[18:19]
	v_fma_f64 v[6:7], -v[6:7], v[22:23], v[20:21]
	v_div_fmas_f64 v[6:7], v[6:7], v[18:19], v[22:23]
	v_div_fixup_f64 v[6:7], v[6:7], v[2:3], v[0:1]
	v_fmac_f64_e32 v[2:3], v[0:1], v[6:7]
	v_div_scale_f64 v[0:1], s[4:5], v[2:3], v[2:3], 1.0
	v_rcp_f64_e32 v[18:19], v[0:1]
	s_nop 0
	v_fma_f64 v[20:21], -v[0:1], v[18:19], 1.0
	v_fmac_f64_e32 v[18:19], v[18:19], v[20:21]
	v_fma_f64 v[20:21], -v[0:1], v[18:19], 1.0
	v_fmac_f64_e32 v[18:19], v[18:19], v[20:21]
	v_div_scale_f64 v[20:21], vcc, 1.0, v[2:3], 1.0
	v_mul_f64 v[22:23], v[20:21], v[18:19]
	v_fma_f64 v[0:1], -v[0:1], v[22:23], v[20:21]
	s_nop 1
	v_div_fmas_f64 v[0:1], v[0:1], v[18:19], v[22:23]
	v_div_fixup_f64 v[2:3], v[0:1], v[2:3], 1.0
	v_mul_f64 v[0:1], v[6:7], v[2:3]
	v_xor_b32_e32 v3, 0x80000000, v3
.LBB124_1209:
	s_andn2_saveexec_b64 s[12:13], s[12:13]
	s_cbranch_execz .LBB124_1211
; %bb.1210:
	v_div_scale_f64 v[6:7], s[4:5], v[0:1], v[0:1], v[2:3]
	v_rcp_f64_e32 v[18:19], v[6:7]
	v_div_scale_f64 v[20:21], vcc, v[2:3], v[0:1], v[2:3]
	v_fma_f64 v[22:23], -v[6:7], v[18:19], 1.0
	v_fmac_f64_e32 v[18:19], v[18:19], v[22:23]
	v_fma_f64 v[22:23], -v[6:7], v[18:19], 1.0
	v_fmac_f64_e32 v[18:19], v[18:19], v[22:23]
	v_mul_f64 v[22:23], v[20:21], v[18:19]
	v_fma_f64 v[6:7], -v[6:7], v[22:23], v[20:21]
	v_div_fmas_f64 v[6:7], v[6:7], v[18:19], v[22:23]
	v_div_fixup_f64 v[6:7], v[6:7], v[0:1], v[2:3]
	v_fmac_f64_e32 v[0:1], v[2:3], v[6:7]
	v_div_scale_f64 v[2:3], s[4:5], v[0:1], v[0:1], 1.0
	v_rcp_f64_e32 v[18:19], v[2:3]
	s_nop 0
	v_fma_f64 v[20:21], -v[2:3], v[18:19], 1.0
	v_fmac_f64_e32 v[18:19], v[18:19], v[20:21]
	v_fma_f64 v[20:21], -v[2:3], v[18:19], 1.0
	v_fmac_f64_e32 v[18:19], v[18:19], v[20:21]
	v_div_scale_f64 v[20:21], vcc, 1.0, v[0:1], 1.0
	v_mul_f64 v[22:23], v[20:21], v[18:19]
	v_fma_f64 v[2:3], -v[2:3], v[22:23], v[20:21]
	s_nop 1
	v_div_fmas_f64 v[2:3], v[2:3], v[18:19], v[22:23]
	v_div_fixup_f64 v[0:1], v[2:3], v[0:1], 1.0
	v_mul_f64 v[2:3], v[6:7], -v[0:1]
.LBB124_1211:
	s_or_b64 exec, exec, s[12:13]
.LBB124_1212:
	s_or_b64 exec, exec, s[0:1]
	v_cmp_ne_u32_e32 vcc, v17, v4
	s_and_saveexec_b64 s[0:1], vcc
	s_xor_b64 s[0:1], exec, s[0:1]
	s_cbranch_execz .LBB124_1218
; %bb.1213:
	v_cmp_eq_u32_e32 vcc, 52, v17
	s_and_saveexec_b64 s[12:13], vcc
	s_cbranch_execz .LBB124_1217
; %bb.1214:
	v_cmp_ne_u32_e32 vcc, 52, v4
	s_xor_b64 s[4:5], s[18:19], -1
	s_and_b64 s[4:5], s[4:5], vcc
	s_and_saveexec_b64 s[14:15], s[4:5]
	s_cbranch_execz .LBB124_1216
; %bb.1215:
	v_ashrrev_i32_e32 v5, 31, v4
	v_lshl_add_u64 v[6:7], v[4:5], 2, v[10:11]
	global_load_dword v5, v[6:7], off
	global_load_dword v16, v[10:11], off offset:208
	s_waitcnt vmcnt(1)
	global_store_dword v[10:11], v5, off offset:208
	s_waitcnt vmcnt(1)
	global_store_dword v[6:7], v16, off
.LBB124_1216:
	s_or_b64 exec, exec, s[14:15]
	v_mov_b32_e32 v17, v4
	v_mov_b32_e32 v16, v4
.LBB124_1217:
	s_or_b64 exec, exec, s[12:13]
.LBB124_1218:
	s_andn2_saveexec_b64 s[0:1], s[0:1]
	s_cbranch_execz .LBB124_1220
; %bb.1219:
	scratch_load_dwordx4 v[4:7], off, s29
	scratch_load_dwordx4 v[18:21], off, s28
	;; [unrolled: 1-line block ×10, first 2 shown]
	v_mov_b32_e32 v17, 52
	s_waitcnt vmcnt(9)
	ds_write2_b64 v14, v[4:5], v[6:7] offset0:106 offset1:107
	s_waitcnt vmcnt(8)
	ds_write2_b64 v14, v[18:19], v[20:21] offset0:108 offset1:109
	s_waitcnt vmcnt(7)
	ds_write2_b64 v14, v[22:23], v[24:25] offset0:110 offset1:111
	s_waitcnt vmcnt(6)
	ds_write2_b64 v14, v[26:27], v[28:29] offset0:112 offset1:113
	s_waitcnt vmcnt(5)
	ds_write2_b64 v14, v[30:31], v[32:33] offset0:114 offset1:115
	s_waitcnt vmcnt(4)
	ds_write2_b64 v14, v[34:35], v[36:37] offset0:116 offset1:117
	s_waitcnt vmcnt(3)
	ds_write2_b64 v14, v[38:39], v[40:41] offset0:118 offset1:119
	s_waitcnt vmcnt(2)
	ds_write2_b64 v14, v[42:43], v[44:45] offset0:120 offset1:121
	s_waitcnt vmcnt(1)
	ds_write2_b64 v14, v[46:47], v[48:49] offset0:122 offset1:123
	s_waitcnt vmcnt(0)
	ds_write2_b64 v14, v[50:51], v[52:53] offset0:124 offset1:125
.LBB124_1220:
	s_or_b64 exec, exec, s[0:1]
	v_cmp_lt_i32_e32 vcc, 52, v17
	s_waitcnt lgkmcnt(0)
	s_barrier
	s_and_saveexec_b64 s[0:1], vcc
	s_cbranch_execz .LBB124_1222
; %bb.1221:
	scratch_load_dwordx4 v[4:7], off, off offset:832
	scratch_load_dwordx4 v[18:21], off, off offset:848
	;; [unrolled: 1-line block ×7, first 2 shown]
	s_waitcnt vmcnt(6)
	v_mul_f64 v[42:43], v[2:3], v[6:7]
	v_mul_f64 v[44:45], v[0:1], v[6:7]
	v_fma_f64 v[42:43], v[0:1], v[4:5], -v[42:43]
	v_fmac_f64_e32 v[44:45], v[2:3], v[4:5]
	scratch_store_dwordx4 off, v[42:45], off offset:832
	scratch_load_dwordx4 v[0:3], off, off offset:832
	scratch_load_dwordx4 v[4:7], off, off offset:944
	;; [unrolled: 1-line block ×5, first 2 shown]
	ds_read2_b64 v[58:61], v14 offset0:106 offset1:107
	ds_read2_b64 v[62:65], v14 offset0:108 offset1:109
	;; [unrolled: 1-line block ×10, first 2 shown]
	s_waitcnt lgkmcnt(9)
	v_mul_f64 v[98:99], v[60:61], v[44:45]
	v_mul_f64 v[100:101], v[58:59], v[44:45]
	s_waitcnt lgkmcnt(8)
	v_mul_f64 v[102:103], v[64:65], v[44:45]
	v_mul_f64 v[104:105], v[62:63], v[44:45]
	;; [unrolled: 3-line block ×6, first 2 shown]
	v_fma_f64 v[58:59], v[58:59], v[42:43], -v[98:99]
	v_fmac_f64_e32 v[100:101], v[60:61], v[42:43]
	v_fma_f64 v[60:61], v[62:63], v[42:43], -v[102:103]
	v_fmac_f64_e32 v[104:105], v[64:65], v[42:43]
	;; [unrolled: 2-line block ×6, first 2 shown]
	s_waitcnt vmcnt(11)
	v_add_f64 v[18:19], v[18:19], -v[58:59]
	v_add_f64 v[20:21], v[20:21], -v[100:101]
	s_waitcnt vmcnt(10)
	v_add_f64 v[22:23], v[22:23], -v[60:61]
	v_add_f64 v[24:25], v[24:25], -v[104:105]
	;; [unrolled: 3-line block ×6, first 2 shown]
	scratch_store_dwordx4 off, v[18:21], off offset:848
	scratch_store_dwordx4 off, v[22:25], off offset:864
	;; [unrolled: 1-line block ×6, first 2 shown]
	s_waitcnt vmcnt(10) lgkmcnt(3)
	v_mul_f64 v[18:19], v[84:85], v[2:3]
	v_mul_f64 v[20:21], v[82:83], v[2:3]
	s_waitcnt lgkmcnt(2)
	v_mul_f64 v[22:23], v[88:89], v[2:3]
	v_mul_f64 v[24:25], v[86:87], v[2:3]
	s_waitcnt lgkmcnt(1)
	;; [unrolled: 3-line block ×3, first 2 shown]
	v_mul_f64 v[30:31], v[96:97], v[2:3]
	v_mul_f64 v[32:33], v[94:95], v[2:3]
	v_fma_f64 v[2:3], v[82:83], v[0:1], -v[18:19]
	v_fmac_f64_e32 v[20:21], v[84:85], v[0:1]
	v_fma_f64 v[18:19], v[86:87], v[0:1], -v[22:23]
	v_fmac_f64_e32 v[24:25], v[88:89], v[0:1]
	;; [unrolled: 2-line block ×4, first 2 shown]
	s_waitcnt vmcnt(9)
	v_add_f64 v[0:1], v[4:5], -v[2:3]
	v_add_f64 v[2:3], v[6:7], -v[20:21]
	s_waitcnt vmcnt(8)
	v_add_f64 v[4:5], v[46:47], -v[18:19]
	v_add_f64 v[6:7], v[48:49], -v[24:25]
	;; [unrolled: 3-line block ×4, first 2 shown]
	scratch_store_dwordx4 off, v[0:3], off offset:944
	scratch_store_dwordx4 off, v[4:7], off offset:960
	;; [unrolled: 1-line block ×4, first 2 shown]
.LBB124_1222:
	s_or_b64 exec, exec, s[0:1]
	s_barrier
	scratch_load_dwordx4 v[0:3], off, s29
	v_lshl_add_u32 v4, v17, 4, v14
	s_cmp_lt_i32 s52, 55
	s_waitcnt vmcnt(0)
	ds_write2_b64 v4, v[0:1], v[2:3] offset1:1
	s_waitcnt lgkmcnt(0)
	s_barrier
	ds_read2_b64 v[0:3], v14 offset0:106 offset1:107
	v_mov_b32_e32 v4, 53
	s_cbranch_scc1 .LBB124_1225
; %bb.1223:
	v_add_u32_e32 v5, 0x360, v14
	s_mov_b32 s4, 54
	v_mov_b32_e32 v4, 53
.LBB124_1224:                           ; =>This Inner Loop Header: Depth=1
	ds_read2_b64 v[18:21], v5 offset1:1
	s_waitcnt lgkmcnt(1)
	v_xor_b32_e32 v7, 0x80000000, v1
	v_xor_b32_e32 v23, 0x80000000, v3
	v_cmp_gt_f64_e32 vcc, 0, v[2:3]
	v_cmp_gt_f64_e64 s[0:1], 0, v[0:1]
	v_mov_b32_e32 v6, v0
	v_mov_b32_e32 v22, v2
	v_cndmask_b32_e64 v7, v1, v7, s[0:1]
	v_cndmask_b32_e32 v23, v3, v23, vcc
	v_add_f64 v[6:7], v[6:7], v[22:23]
	s_waitcnt lgkmcnt(0)
	v_xor_b32_e32 v23, 0x80000000, v19
	v_xor_b32_e32 v25, 0x80000000, v21
	v_cmp_gt_f64_e32 vcc, 0, v[20:21]
	v_cmp_gt_f64_e64 s[0:1], 0, v[18:19]
	v_mov_b32_e32 v22, v18
	v_mov_b32_e32 v24, v20
	v_cndmask_b32_e64 v23, v19, v23, s[0:1]
	v_cndmask_b32_e32 v25, v21, v25, vcc
	v_add_f64 v[22:23], v[22:23], v[24:25]
	v_mov_b32_e32 v26, s4
	s_add_i32 s4, s4, 1
	v_cmp_lt_f64_e32 vcc, v[6:7], v[22:23]
	v_add_u32_e32 v5, 16, v5
	s_cmp_lg_u32 s52, s4
	v_cndmask_b32_e32 v1, v1, v19, vcc
	v_cndmask_b32_e32 v0, v0, v18, vcc
	;; [unrolled: 1-line block ×5, first 2 shown]
	s_cbranch_scc1 .LBB124_1224
.LBB124_1225:
	s_waitcnt lgkmcnt(0)
	v_cmp_eq_f64_e32 vcc, 0, v[0:1]
	v_cmp_eq_f64_e64 s[0:1], 0, v[2:3]
	s_and_b64 s[0:1], vcc, s[0:1]
	s_and_saveexec_b64 s[4:5], s[0:1]
	s_xor_b64 s[0:1], exec, s[4:5]
; %bb.1226:
	v_cmp_ne_u32_e32 vcc, 0, v15
	s_nop 1
	v_cndmask_b32_e32 v15, 54, v15, vcc
; %bb.1227:
	s_andn2_saveexec_b64 s[0:1], s[0:1]
	s_cbranch_execz .LBB124_1233
; %bb.1228:
	v_cmp_ngt_f64_e64 s[4:5], |v[0:1]|, |v[2:3]|
	s_and_saveexec_b64 s[12:13], s[4:5]
	s_xor_b64 s[12:13], exec, s[12:13]
	s_cbranch_execz .LBB124_1230
; %bb.1229:
	v_div_scale_f64 v[6:7], s[4:5], v[2:3], v[2:3], v[0:1]
	v_rcp_f64_e32 v[18:19], v[6:7]
	v_div_scale_f64 v[20:21], vcc, v[0:1], v[2:3], v[0:1]
	v_fma_f64 v[22:23], -v[6:7], v[18:19], 1.0
	v_fmac_f64_e32 v[18:19], v[18:19], v[22:23]
	v_fma_f64 v[22:23], -v[6:7], v[18:19], 1.0
	v_fmac_f64_e32 v[18:19], v[18:19], v[22:23]
	v_mul_f64 v[22:23], v[20:21], v[18:19]
	v_fma_f64 v[6:7], -v[6:7], v[22:23], v[20:21]
	v_div_fmas_f64 v[6:7], v[6:7], v[18:19], v[22:23]
	v_div_fixup_f64 v[6:7], v[6:7], v[2:3], v[0:1]
	v_fmac_f64_e32 v[2:3], v[0:1], v[6:7]
	v_div_scale_f64 v[0:1], s[4:5], v[2:3], v[2:3], 1.0
	v_rcp_f64_e32 v[18:19], v[0:1]
	s_nop 0
	v_fma_f64 v[20:21], -v[0:1], v[18:19], 1.0
	v_fmac_f64_e32 v[18:19], v[18:19], v[20:21]
	v_fma_f64 v[20:21], -v[0:1], v[18:19], 1.0
	v_fmac_f64_e32 v[18:19], v[18:19], v[20:21]
	v_div_scale_f64 v[20:21], vcc, 1.0, v[2:3], 1.0
	v_mul_f64 v[22:23], v[20:21], v[18:19]
	v_fma_f64 v[0:1], -v[0:1], v[22:23], v[20:21]
	s_nop 1
	v_div_fmas_f64 v[0:1], v[0:1], v[18:19], v[22:23]
	v_div_fixup_f64 v[2:3], v[0:1], v[2:3], 1.0
	v_mul_f64 v[0:1], v[6:7], v[2:3]
	v_xor_b32_e32 v3, 0x80000000, v3
.LBB124_1230:
	s_andn2_saveexec_b64 s[12:13], s[12:13]
	s_cbranch_execz .LBB124_1232
; %bb.1231:
	v_div_scale_f64 v[6:7], s[4:5], v[0:1], v[0:1], v[2:3]
	v_rcp_f64_e32 v[18:19], v[6:7]
	v_div_scale_f64 v[20:21], vcc, v[2:3], v[0:1], v[2:3]
	v_fma_f64 v[22:23], -v[6:7], v[18:19], 1.0
	v_fmac_f64_e32 v[18:19], v[18:19], v[22:23]
	v_fma_f64 v[22:23], -v[6:7], v[18:19], 1.0
	v_fmac_f64_e32 v[18:19], v[18:19], v[22:23]
	v_mul_f64 v[22:23], v[20:21], v[18:19]
	v_fma_f64 v[6:7], -v[6:7], v[22:23], v[20:21]
	v_div_fmas_f64 v[6:7], v[6:7], v[18:19], v[22:23]
	v_div_fixup_f64 v[6:7], v[6:7], v[0:1], v[2:3]
	v_fmac_f64_e32 v[0:1], v[2:3], v[6:7]
	v_div_scale_f64 v[2:3], s[4:5], v[0:1], v[0:1], 1.0
	v_rcp_f64_e32 v[18:19], v[2:3]
	s_nop 0
	v_fma_f64 v[20:21], -v[2:3], v[18:19], 1.0
	v_fmac_f64_e32 v[18:19], v[18:19], v[20:21]
	v_fma_f64 v[20:21], -v[2:3], v[18:19], 1.0
	v_fmac_f64_e32 v[18:19], v[18:19], v[20:21]
	v_div_scale_f64 v[20:21], vcc, 1.0, v[0:1], 1.0
	v_mul_f64 v[22:23], v[20:21], v[18:19]
	v_fma_f64 v[2:3], -v[2:3], v[22:23], v[20:21]
	s_nop 1
	v_div_fmas_f64 v[2:3], v[2:3], v[18:19], v[22:23]
	v_div_fixup_f64 v[0:1], v[2:3], v[0:1], 1.0
	v_mul_f64 v[2:3], v[6:7], -v[0:1]
.LBB124_1232:
	s_or_b64 exec, exec, s[12:13]
.LBB124_1233:
	s_or_b64 exec, exec, s[0:1]
	v_cmp_ne_u32_e32 vcc, v17, v4
	s_and_saveexec_b64 s[0:1], vcc
	s_xor_b64 s[0:1], exec, s[0:1]
	s_cbranch_execz .LBB124_1239
; %bb.1234:
	v_cmp_eq_u32_e32 vcc, 53, v17
	s_and_saveexec_b64 s[12:13], vcc
	s_cbranch_execz .LBB124_1238
; %bb.1235:
	v_cmp_ne_u32_e32 vcc, 53, v4
	s_xor_b64 s[4:5], s[18:19], -1
	s_and_b64 s[4:5], s[4:5], vcc
	s_and_saveexec_b64 s[14:15], s[4:5]
	s_cbranch_execz .LBB124_1237
; %bb.1236:
	v_ashrrev_i32_e32 v5, 31, v4
	v_lshl_add_u64 v[6:7], v[4:5], 2, v[10:11]
	global_load_dword v5, v[6:7], off
	global_load_dword v16, v[10:11], off offset:212
	s_waitcnt vmcnt(1)
	global_store_dword v[10:11], v5, off offset:212
	s_waitcnt vmcnt(1)
	global_store_dword v[6:7], v16, off
.LBB124_1237:
	s_or_b64 exec, exec, s[14:15]
	v_mov_b32_e32 v17, v4
	v_mov_b32_e32 v16, v4
.LBB124_1238:
	s_or_b64 exec, exec, s[12:13]
.LBB124_1239:
	s_andn2_saveexec_b64 s[0:1], s[0:1]
	s_cbranch_execz .LBB124_1241
; %bb.1240:
	scratch_load_dwordx4 v[4:7], off, s28
	scratch_load_dwordx4 v[18:21], off, s27
	;; [unrolled: 1-line block ×9, first 2 shown]
	v_mov_b32_e32 v17, 53
	s_waitcnt vmcnt(8)
	ds_write2_b64 v14, v[4:5], v[6:7] offset0:108 offset1:109
	s_waitcnt vmcnt(7)
	ds_write2_b64 v14, v[18:19], v[20:21] offset0:110 offset1:111
	;; [unrolled: 2-line block ×9, first 2 shown]
.LBB124_1241:
	s_or_b64 exec, exec, s[0:1]
	v_cmp_lt_i32_e32 vcc, 53, v17
	s_waitcnt lgkmcnt(0)
	s_barrier
	s_and_saveexec_b64 s[0:1], vcc
	s_cbranch_execz .LBB124_1243
; %bb.1242:
	scratch_load_dwordx4 v[4:7], off, off offset:848
	scratch_load_dwordx4 v[18:21], off, off offset:864
	;; [unrolled: 1-line block ×7, first 2 shown]
	s_waitcnt vmcnt(6)
	v_mul_f64 v[42:43], v[2:3], v[6:7]
	v_mul_f64 v[44:45], v[0:1], v[6:7]
	v_fma_f64 v[42:43], v[0:1], v[4:5], -v[42:43]
	v_fmac_f64_e32 v[44:45], v[2:3], v[4:5]
	scratch_store_dwordx4 off, v[42:45], off offset:848
	scratch_load_dwordx4 v[0:3], off, off offset:848
	scratch_load_dwordx4 v[4:7], off, off offset:960
	;; [unrolled: 1-line block ×4, first 2 shown]
	ds_read2_b64 v[54:57], v14 offset0:108 offset1:109
	ds_read2_b64 v[58:61], v14 offset0:110 offset1:111
	ds_read2_b64 v[62:65], v14 offset0:112 offset1:113
	ds_read2_b64 v[66:69], v14 offset0:114 offset1:115
	ds_read2_b64 v[70:73], v14 offset0:116 offset1:117
	ds_read2_b64 v[74:77], v14 offset0:118 offset1:119
	ds_read2_b64 v[78:81], v14 offset0:120 offset1:121
	ds_read2_b64 v[82:85], v14 offset0:122 offset1:123
	ds_read2_b64 v[86:89], v14 offset0:124 offset1:125
	s_waitcnt lgkmcnt(8)
	v_mul_f64 v[90:91], v[56:57], v[44:45]
	v_mul_f64 v[92:93], v[54:55], v[44:45]
	s_waitcnt lgkmcnt(7)
	v_mul_f64 v[94:95], v[60:61], v[44:45]
	v_mul_f64 v[96:97], v[58:59], v[44:45]
	;; [unrolled: 3-line block ×6, first 2 shown]
	v_fma_f64 v[54:55], v[54:55], v[42:43], -v[90:91]
	v_fmac_f64_e32 v[92:93], v[56:57], v[42:43]
	v_fma_f64 v[56:57], v[58:59], v[42:43], -v[94:95]
	v_fmac_f64_e32 v[96:97], v[60:61], v[42:43]
	;; [unrolled: 2-line block ×6, first 2 shown]
	s_waitcnt vmcnt(10)
	v_add_f64 v[18:19], v[18:19], -v[54:55]
	v_add_f64 v[20:21], v[20:21], -v[92:93]
	s_waitcnt vmcnt(9)
	v_add_f64 v[22:23], v[22:23], -v[56:57]
	v_add_f64 v[24:25], v[24:25], -v[96:97]
	;; [unrolled: 3-line block ×6, first 2 shown]
	scratch_store_dwordx4 off, v[18:21], off offset:864
	scratch_store_dwordx4 off, v[22:25], off offset:880
	;; [unrolled: 1-line block ×6, first 2 shown]
	s_waitcnt vmcnt(9) lgkmcnt(2)
	v_mul_f64 v[18:19], v[80:81], v[2:3]
	v_mul_f64 v[20:21], v[78:79], v[2:3]
	s_waitcnt lgkmcnt(1)
	v_mul_f64 v[22:23], v[84:85], v[2:3]
	v_mul_f64 v[24:25], v[82:83], v[2:3]
	s_waitcnt lgkmcnt(0)
	v_mul_f64 v[26:27], v[88:89], v[2:3]
	v_mul_f64 v[28:29], v[86:87], v[2:3]
	v_fma_f64 v[2:3], v[78:79], v[0:1], -v[18:19]
	v_fmac_f64_e32 v[20:21], v[80:81], v[0:1]
	v_fma_f64 v[18:19], v[82:83], v[0:1], -v[22:23]
	v_fmac_f64_e32 v[24:25], v[84:85], v[0:1]
	;; [unrolled: 2-line block ×3, first 2 shown]
	s_waitcnt vmcnt(8)
	v_add_f64 v[0:1], v[4:5], -v[2:3]
	v_add_f64 v[2:3], v[6:7], -v[20:21]
	s_waitcnt vmcnt(7)
	v_add_f64 v[4:5], v[46:47], -v[18:19]
	v_add_f64 v[6:7], v[48:49], -v[24:25]
	;; [unrolled: 3-line block ×3, first 2 shown]
	scratch_store_dwordx4 off, v[0:3], off offset:960
	scratch_store_dwordx4 off, v[4:7], off offset:976
	;; [unrolled: 1-line block ×3, first 2 shown]
.LBB124_1243:
	s_or_b64 exec, exec, s[0:1]
	s_barrier
	scratch_load_dwordx4 v[0:3], off, s28
	v_lshl_add_u32 v4, v17, 4, v14
	s_cmp_lt_i32 s52, 56
	s_waitcnt vmcnt(0)
	ds_write2_b64 v4, v[0:1], v[2:3] offset1:1
	s_waitcnt lgkmcnt(0)
	s_barrier
	ds_read2_b64 v[0:3], v14 offset0:108 offset1:109
	v_mov_b32_e32 v4, 54
	s_cbranch_scc1 .LBB124_1246
; %bb.1244:
	v_add_u32_e32 v5, 0x370, v14
	s_mov_b32 s4, 55
	v_mov_b32_e32 v4, 54
.LBB124_1245:                           ; =>This Inner Loop Header: Depth=1
	ds_read2_b64 v[18:21], v5 offset1:1
	s_waitcnt lgkmcnt(1)
	v_xor_b32_e32 v7, 0x80000000, v1
	v_xor_b32_e32 v23, 0x80000000, v3
	v_cmp_gt_f64_e32 vcc, 0, v[2:3]
	v_cmp_gt_f64_e64 s[0:1], 0, v[0:1]
	v_mov_b32_e32 v6, v0
	v_mov_b32_e32 v22, v2
	v_cndmask_b32_e64 v7, v1, v7, s[0:1]
	v_cndmask_b32_e32 v23, v3, v23, vcc
	v_add_f64 v[6:7], v[6:7], v[22:23]
	s_waitcnt lgkmcnt(0)
	v_xor_b32_e32 v23, 0x80000000, v19
	v_xor_b32_e32 v25, 0x80000000, v21
	v_cmp_gt_f64_e32 vcc, 0, v[20:21]
	v_cmp_gt_f64_e64 s[0:1], 0, v[18:19]
	v_mov_b32_e32 v22, v18
	v_mov_b32_e32 v24, v20
	v_cndmask_b32_e64 v23, v19, v23, s[0:1]
	v_cndmask_b32_e32 v25, v21, v25, vcc
	v_add_f64 v[22:23], v[22:23], v[24:25]
	v_mov_b32_e32 v26, s4
	s_add_i32 s4, s4, 1
	v_cmp_lt_f64_e32 vcc, v[6:7], v[22:23]
	v_add_u32_e32 v5, 16, v5
	s_cmp_lg_u32 s52, s4
	v_cndmask_b32_e32 v1, v1, v19, vcc
	v_cndmask_b32_e32 v0, v0, v18, vcc
	;; [unrolled: 1-line block ×5, first 2 shown]
	s_cbranch_scc1 .LBB124_1245
.LBB124_1246:
	s_waitcnt lgkmcnt(0)
	v_cmp_eq_f64_e32 vcc, 0, v[0:1]
	v_cmp_eq_f64_e64 s[0:1], 0, v[2:3]
	s_and_b64 s[0:1], vcc, s[0:1]
	s_and_saveexec_b64 s[4:5], s[0:1]
	s_xor_b64 s[0:1], exec, s[4:5]
; %bb.1247:
	v_cmp_ne_u32_e32 vcc, 0, v15
	s_nop 1
	v_cndmask_b32_e32 v15, 55, v15, vcc
; %bb.1248:
	s_andn2_saveexec_b64 s[0:1], s[0:1]
	s_cbranch_execz .LBB124_1254
; %bb.1249:
	v_cmp_ngt_f64_e64 s[4:5], |v[0:1]|, |v[2:3]|
	s_and_saveexec_b64 s[12:13], s[4:5]
	s_xor_b64 s[12:13], exec, s[12:13]
	s_cbranch_execz .LBB124_1251
; %bb.1250:
	v_div_scale_f64 v[6:7], s[4:5], v[2:3], v[2:3], v[0:1]
	v_rcp_f64_e32 v[18:19], v[6:7]
	v_div_scale_f64 v[20:21], vcc, v[0:1], v[2:3], v[0:1]
	v_fma_f64 v[22:23], -v[6:7], v[18:19], 1.0
	v_fmac_f64_e32 v[18:19], v[18:19], v[22:23]
	v_fma_f64 v[22:23], -v[6:7], v[18:19], 1.0
	v_fmac_f64_e32 v[18:19], v[18:19], v[22:23]
	v_mul_f64 v[22:23], v[20:21], v[18:19]
	v_fma_f64 v[6:7], -v[6:7], v[22:23], v[20:21]
	v_div_fmas_f64 v[6:7], v[6:7], v[18:19], v[22:23]
	v_div_fixup_f64 v[6:7], v[6:7], v[2:3], v[0:1]
	v_fmac_f64_e32 v[2:3], v[0:1], v[6:7]
	v_div_scale_f64 v[0:1], s[4:5], v[2:3], v[2:3], 1.0
	v_rcp_f64_e32 v[18:19], v[0:1]
	s_nop 0
	v_fma_f64 v[20:21], -v[0:1], v[18:19], 1.0
	v_fmac_f64_e32 v[18:19], v[18:19], v[20:21]
	v_fma_f64 v[20:21], -v[0:1], v[18:19], 1.0
	v_fmac_f64_e32 v[18:19], v[18:19], v[20:21]
	v_div_scale_f64 v[20:21], vcc, 1.0, v[2:3], 1.0
	v_mul_f64 v[22:23], v[20:21], v[18:19]
	v_fma_f64 v[0:1], -v[0:1], v[22:23], v[20:21]
	s_nop 1
	v_div_fmas_f64 v[0:1], v[0:1], v[18:19], v[22:23]
	v_div_fixup_f64 v[2:3], v[0:1], v[2:3], 1.0
	v_mul_f64 v[0:1], v[6:7], v[2:3]
	v_xor_b32_e32 v3, 0x80000000, v3
.LBB124_1251:
	s_andn2_saveexec_b64 s[12:13], s[12:13]
	s_cbranch_execz .LBB124_1253
; %bb.1252:
	v_div_scale_f64 v[6:7], s[4:5], v[0:1], v[0:1], v[2:3]
	v_rcp_f64_e32 v[18:19], v[6:7]
	v_div_scale_f64 v[20:21], vcc, v[2:3], v[0:1], v[2:3]
	v_fma_f64 v[22:23], -v[6:7], v[18:19], 1.0
	v_fmac_f64_e32 v[18:19], v[18:19], v[22:23]
	v_fma_f64 v[22:23], -v[6:7], v[18:19], 1.0
	v_fmac_f64_e32 v[18:19], v[18:19], v[22:23]
	v_mul_f64 v[22:23], v[20:21], v[18:19]
	v_fma_f64 v[6:7], -v[6:7], v[22:23], v[20:21]
	v_div_fmas_f64 v[6:7], v[6:7], v[18:19], v[22:23]
	v_div_fixup_f64 v[6:7], v[6:7], v[0:1], v[2:3]
	v_fmac_f64_e32 v[0:1], v[2:3], v[6:7]
	v_div_scale_f64 v[2:3], s[4:5], v[0:1], v[0:1], 1.0
	v_rcp_f64_e32 v[18:19], v[2:3]
	s_nop 0
	v_fma_f64 v[20:21], -v[2:3], v[18:19], 1.0
	v_fmac_f64_e32 v[18:19], v[18:19], v[20:21]
	v_fma_f64 v[20:21], -v[2:3], v[18:19], 1.0
	v_fmac_f64_e32 v[18:19], v[18:19], v[20:21]
	v_div_scale_f64 v[20:21], vcc, 1.0, v[0:1], 1.0
	v_mul_f64 v[22:23], v[20:21], v[18:19]
	v_fma_f64 v[2:3], -v[2:3], v[22:23], v[20:21]
	s_nop 1
	v_div_fmas_f64 v[2:3], v[2:3], v[18:19], v[22:23]
	v_div_fixup_f64 v[0:1], v[2:3], v[0:1], 1.0
	v_mul_f64 v[2:3], v[6:7], -v[0:1]
.LBB124_1253:
	s_or_b64 exec, exec, s[12:13]
.LBB124_1254:
	s_or_b64 exec, exec, s[0:1]
	v_cmp_ne_u32_e32 vcc, v17, v4
	s_and_saveexec_b64 s[0:1], vcc
	s_xor_b64 s[0:1], exec, s[0:1]
	s_cbranch_execz .LBB124_1260
; %bb.1255:
	v_cmp_eq_u32_e32 vcc, 54, v17
	s_and_saveexec_b64 s[12:13], vcc
	s_cbranch_execz .LBB124_1259
; %bb.1256:
	v_cmp_ne_u32_e32 vcc, 54, v4
	s_xor_b64 s[4:5], s[18:19], -1
	s_and_b64 s[4:5], s[4:5], vcc
	s_and_saveexec_b64 s[14:15], s[4:5]
	s_cbranch_execz .LBB124_1258
; %bb.1257:
	v_ashrrev_i32_e32 v5, 31, v4
	v_lshl_add_u64 v[6:7], v[4:5], 2, v[10:11]
	global_load_dword v5, v[6:7], off
	global_load_dword v16, v[10:11], off offset:216
	s_waitcnt vmcnt(1)
	global_store_dword v[10:11], v5, off offset:216
	s_waitcnt vmcnt(1)
	global_store_dword v[6:7], v16, off
.LBB124_1258:
	s_or_b64 exec, exec, s[14:15]
	v_mov_b32_e32 v17, v4
	v_mov_b32_e32 v16, v4
.LBB124_1259:
	s_or_b64 exec, exec, s[12:13]
.LBB124_1260:
	s_andn2_saveexec_b64 s[0:1], s[0:1]
	s_cbranch_execz .LBB124_1262
; %bb.1261:
	scratch_load_dwordx4 v[4:7], off, s27
	scratch_load_dwordx4 v[18:21], off, s26
	;; [unrolled: 1-line block ×8, first 2 shown]
	v_mov_b32_e32 v17, 54
	s_waitcnt vmcnt(7)
	ds_write2_b64 v14, v[4:5], v[6:7] offset0:110 offset1:111
	s_waitcnt vmcnt(6)
	ds_write2_b64 v14, v[18:19], v[20:21] offset0:112 offset1:113
	;; [unrolled: 2-line block ×8, first 2 shown]
.LBB124_1262:
	s_or_b64 exec, exec, s[0:1]
	v_cmp_lt_i32_e32 vcc, 54, v17
	s_waitcnt lgkmcnt(0)
	s_barrier
	s_and_saveexec_b64 s[0:1], vcc
	s_cbranch_execz .LBB124_1264
; %bb.1263:
	scratch_load_dwordx4 v[4:7], off, off offset:864
	scratch_load_dwordx4 v[18:21], off, off offset:880
	;; [unrolled: 1-line block ×7, first 2 shown]
	s_waitcnt vmcnt(6)
	v_mul_f64 v[42:43], v[2:3], v[6:7]
	v_mul_f64 v[44:45], v[0:1], v[6:7]
	v_fma_f64 v[42:43], v[0:1], v[4:5], -v[42:43]
	v_fmac_f64_e32 v[44:45], v[2:3], v[4:5]
	scratch_store_dwordx4 off, v[42:45], off offset:864
	scratch_load_dwordx4 v[0:3], off, off offset:864
	scratch_load_dwordx4 v[4:7], off, off offset:976
	;; [unrolled: 1-line block ×3, first 2 shown]
	ds_read2_b64 v[50:53], v14 offset0:110 offset1:111
	ds_read2_b64 v[54:57], v14 offset0:112 offset1:113
	;; [unrolled: 1-line block ×8, first 2 shown]
	s_waitcnt lgkmcnt(7)
	v_mul_f64 v[82:83], v[52:53], v[44:45]
	v_mul_f64 v[84:85], v[50:51], v[44:45]
	s_waitcnt lgkmcnt(6)
	v_mul_f64 v[86:87], v[56:57], v[44:45]
	v_mul_f64 v[88:89], v[54:55], v[44:45]
	;; [unrolled: 3-line block ×6, first 2 shown]
	v_fma_f64 v[50:51], v[50:51], v[42:43], -v[82:83]
	v_fmac_f64_e32 v[84:85], v[52:53], v[42:43]
	v_fma_f64 v[52:53], v[54:55], v[42:43], -v[86:87]
	v_fmac_f64_e32 v[88:89], v[56:57], v[42:43]
	;; [unrolled: 2-line block ×6, first 2 shown]
	s_waitcnt vmcnt(9)
	v_add_f64 v[18:19], v[18:19], -v[50:51]
	v_add_f64 v[20:21], v[20:21], -v[84:85]
	s_waitcnt vmcnt(8)
	v_add_f64 v[22:23], v[22:23], -v[52:53]
	v_add_f64 v[24:25], v[24:25], -v[88:89]
	;; [unrolled: 3-line block ×6, first 2 shown]
	scratch_store_dwordx4 off, v[18:21], off offset:880
	scratch_store_dwordx4 off, v[22:25], off offset:896
	;; [unrolled: 1-line block ×6, first 2 shown]
	s_waitcnt vmcnt(8) lgkmcnt(1)
	v_mul_f64 v[18:19], v[76:77], v[2:3]
	v_mul_f64 v[20:21], v[74:75], v[2:3]
	s_waitcnt lgkmcnt(0)
	v_mul_f64 v[22:23], v[80:81], v[2:3]
	v_mul_f64 v[24:25], v[78:79], v[2:3]
	v_fma_f64 v[2:3], v[74:75], v[0:1], -v[18:19]
	v_fmac_f64_e32 v[20:21], v[76:77], v[0:1]
	v_fma_f64 v[18:19], v[78:79], v[0:1], -v[22:23]
	v_fmac_f64_e32 v[24:25], v[80:81], v[0:1]
	s_waitcnt vmcnt(7)
	v_add_f64 v[0:1], v[4:5], -v[2:3]
	v_add_f64 v[2:3], v[6:7], -v[20:21]
	s_waitcnt vmcnt(6)
	v_add_f64 v[4:5], v[46:47], -v[18:19]
	v_add_f64 v[6:7], v[48:49], -v[24:25]
	scratch_store_dwordx4 off, v[0:3], off offset:976
	scratch_store_dwordx4 off, v[4:7], off offset:992
.LBB124_1264:
	s_or_b64 exec, exec, s[0:1]
	s_barrier
	scratch_load_dwordx4 v[0:3], off, s27
	v_lshl_add_u32 v4, v17, 4, v14
	s_cmp_lt_i32 s52, 57
	s_waitcnt vmcnt(0)
	ds_write2_b64 v4, v[0:1], v[2:3] offset1:1
	s_waitcnt lgkmcnt(0)
	s_barrier
	ds_read2_b64 v[0:3], v14 offset0:110 offset1:111
	v_mov_b32_e32 v4, 55
	s_cbranch_scc1 .LBB124_1267
; %bb.1265:
	v_add_u32_e32 v5, 0x380, v14
	s_mov_b32 s4, 56
	v_mov_b32_e32 v4, 55
.LBB124_1266:                           ; =>This Inner Loop Header: Depth=1
	ds_read2_b64 v[18:21], v5 offset1:1
	s_waitcnt lgkmcnt(1)
	v_xor_b32_e32 v7, 0x80000000, v1
	v_xor_b32_e32 v23, 0x80000000, v3
	v_cmp_gt_f64_e32 vcc, 0, v[2:3]
	v_cmp_gt_f64_e64 s[0:1], 0, v[0:1]
	v_mov_b32_e32 v6, v0
	v_mov_b32_e32 v22, v2
	v_cndmask_b32_e64 v7, v1, v7, s[0:1]
	v_cndmask_b32_e32 v23, v3, v23, vcc
	v_add_f64 v[6:7], v[6:7], v[22:23]
	s_waitcnt lgkmcnt(0)
	v_xor_b32_e32 v23, 0x80000000, v19
	v_xor_b32_e32 v25, 0x80000000, v21
	v_cmp_gt_f64_e32 vcc, 0, v[20:21]
	v_cmp_gt_f64_e64 s[0:1], 0, v[18:19]
	v_mov_b32_e32 v22, v18
	v_mov_b32_e32 v24, v20
	v_cndmask_b32_e64 v23, v19, v23, s[0:1]
	v_cndmask_b32_e32 v25, v21, v25, vcc
	v_add_f64 v[22:23], v[22:23], v[24:25]
	v_mov_b32_e32 v26, s4
	s_add_i32 s4, s4, 1
	v_cmp_lt_f64_e32 vcc, v[6:7], v[22:23]
	v_add_u32_e32 v5, 16, v5
	s_cmp_lg_u32 s52, s4
	v_cndmask_b32_e32 v1, v1, v19, vcc
	v_cndmask_b32_e32 v0, v0, v18, vcc
	;; [unrolled: 1-line block ×5, first 2 shown]
	s_cbranch_scc1 .LBB124_1266
.LBB124_1267:
	s_waitcnt lgkmcnt(0)
	v_cmp_eq_f64_e32 vcc, 0, v[0:1]
	v_cmp_eq_f64_e64 s[0:1], 0, v[2:3]
	s_and_b64 s[0:1], vcc, s[0:1]
	s_and_saveexec_b64 s[4:5], s[0:1]
	s_xor_b64 s[0:1], exec, s[4:5]
; %bb.1268:
	v_cmp_ne_u32_e32 vcc, 0, v15
	s_nop 1
	v_cndmask_b32_e32 v15, 56, v15, vcc
; %bb.1269:
	s_andn2_saveexec_b64 s[0:1], s[0:1]
	s_cbranch_execz .LBB124_1275
; %bb.1270:
	v_cmp_ngt_f64_e64 s[4:5], |v[0:1]|, |v[2:3]|
	s_and_saveexec_b64 s[12:13], s[4:5]
	s_xor_b64 s[12:13], exec, s[12:13]
	s_cbranch_execz .LBB124_1272
; %bb.1271:
	v_div_scale_f64 v[6:7], s[4:5], v[2:3], v[2:3], v[0:1]
	v_rcp_f64_e32 v[18:19], v[6:7]
	v_div_scale_f64 v[20:21], vcc, v[0:1], v[2:3], v[0:1]
	v_fma_f64 v[22:23], -v[6:7], v[18:19], 1.0
	v_fmac_f64_e32 v[18:19], v[18:19], v[22:23]
	v_fma_f64 v[22:23], -v[6:7], v[18:19], 1.0
	v_fmac_f64_e32 v[18:19], v[18:19], v[22:23]
	v_mul_f64 v[22:23], v[20:21], v[18:19]
	v_fma_f64 v[6:7], -v[6:7], v[22:23], v[20:21]
	v_div_fmas_f64 v[6:7], v[6:7], v[18:19], v[22:23]
	v_div_fixup_f64 v[6:7], v[6:7], v[2:3], v[0:1]
	v_fmac_f64_e32 v[2:3], v[0:1], v[6:7]
	v_div_scale_f64 v[0:1], s[4:5], v[2:3], v[2:3], 1.0
	v_rcp_f64_e32 v[18:19], v[0:1]
	s_nop 0
	v_fma_f64 v[20:21], -v[0:1], v[18:19], 1.0
	v_fmac_f64_e32 v[18:19], v[18:19], v[20:21]
	v_fma_f64 v[20:21], -v[0:1], v[18:19], 1.0
	v_fmac_f64_e32 v[18:19], v[18:19], v[20:21]
	v_div_scale_f64 v[20:21], vcc, 1.0, v[2:3], 1.0
	v_mul_f64 v[22:23], v[20:21], v[18:19]
	v_fma_f64 v[0:1], -v[0:1], v[22:23], v[20:21]
	s_nop 1
	v_div_fmas_f64 v[0:1], v[0:1], v[18:19], v[22:23]
	v_div_fixup_f64 v[2:3], v[0:1], v[2:3], 1.0
	v_mul_f64 v[0:1], v[6:7], v[2:3]
	v_xor_b32_e32 v3, 0x80000000, v3
.LBB124_1272:
	s_andn2_saveexec_b64 s[12:13], s[12:13]
	s_cbranch_execz .LBB124_1274
; %bb.1273:
	v_div_scale_f64 v[6:7], s[4:5], v[0:1], v[0:1], v[2:3]
	v_rcp_f64_e32 v[18:19], v[6:7]
	v_div_scale_f64 v[20:21], vcc, v[2:3], v[0:1], v[2:3]
	v_fma_f64 v[22:23], -v[6:7], v[18:19], 1.0
	v_fmac_f64_e32 v[18:19], v[18:19], v[22:23]
	v_fma_f64 v[22:23], -v[6:7], v[18:19], 1.0
	v_fmac_f64_e32 v[18:19], v[18:19], v[22:23]
	v_mul_f64 v[22:23], v[20:21], v[18:19]
	v_fma_f64 v[6:7], -v[6:7], v[22:23], v[20:21]
	v_div_fmas_f64 v[6:7], v[6:7], v[18:19], v[22:23]
	v_div_fixup_f64 v[6:7], v[6:7], v[0:1], v[2:3]
	v_fmac_f64_e32 v[0:1], v[2:3], v[6:7]
	v_div_scale_f64 v[2:3], s[4:5], v[0:1], v[0:1], 1.0
	v_rcp_f64_e32 v[18:19], v[2:3]
	s_nop 0
	v_fma_f64 v[20:21], -v[2:3], v[18:19], 1.0
	v_fmac_f64_e32 v[18:19], v[18:19], v[20:21]
	v_fma_f64 v[20:21], -v[2:3], v[18:19], 1.0
	v_fmac_f64_e32 v[18:19], v[18:19], v[20:21]
	v_div_scale_f64 v[20:21], vcc, 1.0, v[0:1], 1.0
	v_mul_f64 v[22:23], v[20:21], v[18:19]
	v_fma_f64 v[2:3], -v[2:3], v[22:23], v[20:21]
	s_nop 1
	v_div_fmas_f64 v[2:3], v[2:3], v[18:19], v[22:23]
	v_div_fixup_f64 v[0:1], v[2:3], v[0:1], 1.0
	v_mul_f64 v[2:3], v[6:7], -v[0:1]
.LBB124_1274:
	s_or_b64 exec, exec, s[12:13]
.LBB124_1275:
	s_or_b64 exec, exec, s[0:1]
	v_cmp_ne_u32_e32 vcc, v17, v4
	s_and_saveexec_b64 s[0:1], vcc
	s_xor_b64 s[0:1], exec, s[0:1]
	s_cbranch_execz .LBB124_1281
; %bb.1276:
	v_cmp_eq_u32_e32 vcc, 55, v17
	s_and_saveexec_b64 s[12:13], vcc
	s_cbranch_execz .LBB124_1280
; %bb.1277:
	v_cmp_ne_u32_e32 vcc, 55, v4
	s_xor_b64 s[4:5], s[18:19], -1
	s_and_b64 s[4:5], s[4:5], vcc
	s_and_saveexec_b64 s[14:15], s[4:5]
	s_cbranch_execz .LBB124_1279
; %bb.1278:
	v_ashrrev_i32_e32 v5, 31, v4
	v_lshl_add_u64 v[6:7], v[4:5], 2, v[10:11]
	global_load_dword v5, v[6:7], off
	global_load_dword v16, v[10:11], off offset:220
	s_waitcnt vmcnt(1)
	global_store_dword v[10:11], v5, off offset:220
	s_waitcnt vmcnt(1)
	global_store_dword v[6:7], v16, off
.LBB124_1279:
	s_or_b64 exec, exec, s[14:15]
	v_mov_b32_e32 v17, v4
	v_mov_b32_e32 v16, v4
.LBB124_1280:
	s_or_b64 exec, exec, s[12:13]
.LBB124_1281:
	s_andn2_saveexec_b64 s[0:1], s[0:1]
	s_cbranch_execz .LBB124_1283
; %bb.1282:
	scratch_load_dwordx4 v[4:7], off, s26
	scratch_load_dwordx4 v[18:21], off, s25
	;; [unrolled: 1-line block ×7, first 2 shown]
	v_mov_b32_e32 v17, 55
	s_waitcnt vmcnt(6)
	ds_write2_b64 v14, v[4:5], v[6:7] offset0:112 offset1:113
	s_waitcnt vmcnt(5)
	ds_write2_b64 v14, v[18:19], v[20:21] offset0:114 offset1:115
	;; [unrolled: 2-line block ×7, first 2 shown]
.LBB124_1283:
	s_or_b64 exec, exec, s[0:1]
	v_cmp_lt_i32_e32 vcc, 55, v17
	s_waitcnt lgkmcnt(0)
	s_barrier
	s_and_saveexec_b64 s[0:1], vcc
	s_cbranch_execz .LBB124_1285
; %bb.1284:
	scratch_load_dwordx4 v[4:7], off, off offset:880
	scratch_load_dwordx4 v[18:21], off, off offset:896
	;; [unrolled: 1-line block ×7, first 2 shown]
	s_waitcnt vmcnt(6)
	v_mul_f64 v[42:43], v[2:3], v[6:7]
	v_mul_f64 v[44:45], v[0:1], v[6:7]
	v_fma_f64 v[42:43], v[0:1], v[4:5], -v[42:43]
	v_fmac_f64_e32 v[44:45], v[2:3], v[4:5]
	scratch_store_dwordx4 off, v[42:45], off offset:880
	scratch_load_dwordx4 v[0:3], off, off offset:880
	scratch_load_dwordx4 v[4:7], off, off offset:992
	ds_read2_b64 v[46:49], v14 offset0:112 offset1:113
	ds_read2_b64 v[50:53], v14 offset0:114 offset1:115
	;; [unrolled: 1-line block ×7, first 2 shown]
	s_waitcnt lgkmcnt(6)
	v_mul_f64 v[74:75], v[48:49], v[44:45]
	v_mul_f64 v[76:77], v[46:47], v[44:45]
	s_waitcnt lgkmcnt(5)
	v_mul_f64 v[78:79], v[52:53], v[44:45]
	v_mul_f64 v[80:81], v[50:51], v[44:45]
	;; [unrolled: 3-line block ×6, first 2 shown]
	v_fma_f64 v[46:47], v[46:47], v[42:43], -v[74:75]
	v_fmac_f64_e32 v[76:77], v[48:49], v[42:43]
	v_fma_f64 v[48:49], v[50:51], v[42:43], -v[78:79]
	v_fmac_f64_e32 v[80:81], v[52:53], v[42:43]
	;; [unrolled: 2-line block ×6, first 2 shown]
	s_waitcnt vmcnt(8)
	v_add_f64 v[18:19], v[18:19], -v[46:47]
	v_add_f64 v[20:21], v[20:21], -v[76:77]
	s_waitcnt vmcnt(7)
	v_add_f64 v[22:23], v[22:23], -v[48:49]
	v_add_f64 v[24:25], v[24:25], -v[80:81]
	;; [unrolled: 3-line block ×6, first 2 shown]
	scratch_store_dwordx4 off, v[18:21], off offset:896
	scratch_store_dwordx4 off, v[22:25], off offset:912
	;; [unrolled: 1-line block ×6, first 2 shown]
	s_waitcnt vmcnt(7) lgkmcnt(0)
	v_mul_f64 v[18:19], v[72:73], v[2:3]
	v_mul_f64 v[2:3], v[70:71], v[2:3]
	v_fma_f64 v[18:19], v[70:71], v[0:1], -v[18:19]
	v_fmac_f64_e32 v[2:3], v[72:73], v[0:1]
	s_waitcnt vmcnt(6)
	v_add_f64 v[0:1], v[4:5], -v[18:19]
	v_add_f64 v[2:3], v[6:7], -v[2:3]
	scratch_store_dwordx4 off, v[0:3], off offset:992
.LBB124_1285:
	s_or_b64 exec, exec, s[0:1]
	s_barrier
	scratch_load_dwordx4 v[0:3], off, s26
	v_lshl_add_u32 v4, v17, 4, v14
	s_cmp_lt_i32 s52, 58
	s_waitcnt vmcnt(0)
	ds_write2_b64 v4, v[0:1], v[2:3] offset1:1
	s_waitcnt lgkmcnt(0)
	s_barrier
	ds_read2_b64 v[0:3], v14 offset0:112 offset1:113
	v_mov_b32_e32 v4, 56
	s_cbranch_scc1 .LBB124_1288
; %bb.1286:
	v_add_u32_e32 v5, 0x390, v14
	s_mov_b32 s4, 57
	v_mov_b32_e32 v4, 56
.LBB124_1287:                           ; =>This Inner Loop Header: Depth=1
	ds_read2_b64 v[18:21], v5 offset1:1
	s_waitcnt lgkmcnt(1)
	v_xor_b32_e32 v7, 0x80000000, v1
	v_xor_b32_e32 v23, 0x80000000, v3
	v_cmp_gt_f64_e32 vcc, 0, v[2:3]
	v_cmp_gt_f64_e64 s[0:1], 0, v[0:1]
	v_mov_b32_e32 v6, v0
	v_mov_b32_e32 v22, v2
	v_cndmask_b32_e64 v7, v1, v7, s[0:1]
	v_cndmask_b32_e32 v23, v3, v23, vcc
	v_add_f64 v[6:7], v[6:7], v[22:23]
	s_waitcnt lgkmcnt(0)
	v_xor_b32_e32 v23, 0x80000000, v19
	v_xor_b32_e32 v25, 0x80000000, v21
	v_cmp_gt_f64_e32 vcc, 0, v[20:21]
	v_cmp_gt_f64_e64 s[0:1], 0, v[18:19]
	v_mov_b32_e32 v22, v18
	v_mov_b32_e32 v24, v20
	v_cndmask_b32_e64 v23, v19, v23, s[0:1]
	v_cndmask_b32_e32 v25, v21, v25, vcc
	v_add_f64 v[22:23], v[22:23], v[24:25]
	v_mov_b32_e32 v26, s4
	s_add_i32 s4, s4, 1
	v_cmp_lt_f64_e32 vcc, v[6:7], v[22:23]
	v_add_u32_e32 v5, 16, v5
	s_cmp_lg_u32 s52, s4
	v_cndmask_b32_e32 v1, v1, v19, vcc
	v_cndmask_b32_e32 v0, v0, v18, vcc
	;; [unrolled: 1-line block ×5, first 2 shown]
	s_cbranch_scc1 .LBB124_1287
.LBB124_1288:
	s_waitcnt lgkmcnt(0)
	v_cmp_eq_f64_e32 vcc, 0, v[0:1]
	v_cmp_eq_f64_e64 s[0:1], 0, v[2:3]
	s_and_b64 s[0:1], vcc, s[0:1]
	s_and_saveexec_b64 s[4:5], s[0:1]
	s_xor_b64 s[0:1], exec, s[4:5]
; %bb.1289:
	v_cmp_ne_u32_e32 vcc, 0, v15
	s_nop 1
	v_cndmask_b32_e32 v15, 57, v15, vcc
; %bb.1290:
	s_andn2_saveexec_b64 s[0:1], s[0:1]
	s_cbranch_execz .LBB124_1296
; %bb.1291:
	v_cmp_ngt_f64_e64 s[4:5], |v[0:1]|, |v[2:3]|
	s_and_saveexec_b64 s[12:13], s[4:5]
	s_xor_b64 s[12:13], exec, s[12:13]
	s_cbranch_execz .LBB124_1293
; %bb.1292:
	v_div_scale_f64 v[6:7], s[4:5], v[2:3], v[2:3], v[0:1]
	v_rcp_f64_e32 v[18:19], v[6:7]
	v_div_scale_f64 v[20:21], vcc, v[0:1], v[2:3], v[0:1]
	v_fma_f64 v[22:23], -v[6:7], v[18:19], 1.0
	v_fmac_f64_e32 v[18:19], v[18:19], v[22:23]
	v_fma_f64 v[22:23], -v[6:7], v[18:19], 1.0
	v_fmac_f64_e32 v[18:19], v[18:19], v[22:23]
	v_mul_f64 v[22:23], v[20:21], v[18:19]
	v_fma_f64 v[6:7], -v[6:7], v[22:23], v[20:21]
	v_div_fmas_f64 v[6:7], v[6:7], v[18:19], v[22:23]
	v_div_fixup_f64 v[6:7], v[6:7], v[2:3], v[0:1]
	v_fmac_f64_e32 v[2:3], v[0:1], v[6:7]
	v_div_scale_f64 v[0:1], s[4:5], v[2:3], v[2:3], 1.0
	v_rcp_f64_e32 v[18:19], v[0:1]
	s_nop 0
	v_fma_f64 v[20:21], -v[0:1], v[18:19], 1.0
	v_fmac_f64_e32 v[18:19], v[18:19], v[20:21]
	v_fma_f64 v[20:21], -v[0:1], v[18:19], 1.0
	v_fmac_f64_e32 v[18:19], v[18:19], v[20:21]
	v_div_scale_f64 v[20:21], vcc, 1.0, v[2:3], 1.0
	v_mul_f64 v[22:23], v[20:21], v[18:19]
	v_fma_f64 v[0:1], -v[0:1], v[22:23], v[20:21]
	s_nop 1
	v_div_fmas_f64 v[0:1], v[0:1], v[18:19], v[22:23]
	v_div_fixup_f64 v[2:3], v[0:1], v[2:3], 1.0
	v_mul_f64 v[0:1], v[6:7], v[2:3]
	v_xor_b32_e32 v3, 0x80000000, v3
.LBB124_1293:
	s_andn2_saveexec_b64 s[12:13], s[12:13]
	s_cbranch_execz .LBB124_1295
; %bb.1294:
	v_div_scale_f64 v[6:7], s[4:5], v[0:1], v[0:1], v[2:3]
	v_rcp_f64_e32 v[18:19], v[6:7]
	v_div_scale_f64 v[20:21], vcc, v[2:3], v[0:1], v[2:3]
	v_fma_f64 v[22:23], -v[6:7], v[18:19], 1.0
	v_fmac_f64_e32 v[18:19], v[18:19], v[22:23]
	v_fma_f64 v[22:23], -v[6:7], v[18:19], 1.0
	v_fmac_f64_e32 v[18:19], v[18:19], v[22:23]
	v_mul_f64 v[22:23], v[20:21], v[18:19]
	v_fma_f64 v[6:7], -v[6:7], v[22:23], v[20:21]
	v_div_fmas_f64 v[6:7], v[6:7], v[18:19], v[22:23]
	v_div_fixup_f64 v[6:7], v[6:7], v[0:1], v[2:3]
	v_fmac_f64_e32 v[0:1], v[2:3], v[6:7]
	v_div_scale_f64 v[2:3], s[4:5], v[0:1], v[0:1], 1.0
	v_rcp_f64_e32 v[18:19], v[2:3]
	s_nop 0
	v_fma_f64 v[20:21], -v[2:3], v[18:19], 1.0
	v_fmac_f64_e32 v[18:19], v[18:19], v[20:21]
	v_fma_f64 v[20:21], -v[2:3], v[18:19], 1.0
	v_fmac_f64_e32 v[18:19], v[18:19], v[20:21]
	v_div_scale_f64 v[20:21], vcc, 1.0, v[0:1], 1.0
	v_mul_f64 v[22:23], v[20:21], v[18:19]
	v_fma_f64 v[2:3], -v[2:3], v[22:23], v[20:21]
	s_nop 1
	v_div_fmas_f64 v[2:3], v[2:3], v[18:19], v[22:23]
	v_div_fixup_f64 v[0:1], v[2:3], v[0:1], 1.0
	v_mul_f64 v[2:3], v[6:7], -v[0:1]
.LBB124_1295:
	s_or_b64 exec, exec, s[12:13]
.LBB124_1296:
	s_or_b64 exec, exec, s[0:1]
	v_cmp_ne_u32_e32 vcc, v17, v4
	s_and_saveexec_b64 s[0:1], vcc
	s_xor_b64 s[0:1], exec, s[0:1]
	s_cbranch_execz .LBB124_1302
; %bb.1297:
	v_cmp_eq_u32_e32 vcc, 56, v17
	s_and_saveexec_b64 s[12:13], vcc
	s_cbranch_execz .LBB124_1301
; %bb.1298:
	v_cmp_ne_u32_e32 vcc, 56, v4
	s_xor_b64 s[4:5], s[18:19], -1
	s_and_b64 s[4:5], s[4:5], vcc
	s_and_saveexec_b64 s[14:15], s[4:5]
	s_cbranch_execz .LBB124_1300
; %bb.1299:
	v_ashrrev_i32_e32 v5, 31, v4
	v_lshl_add_u64 v[6:7], v[4:5], 2, v[10:11]
	global_load_dword v5, v[6:7], off
	global_load_dword v16, v[10:11], off offset:224
	s_waitcnt vmcnt(1)
	global_store_dword v[10:11], v5, off offset:224
	s_waitcnt vmcnt(1)
	global_store_dword v[6:7], v16, off
.LBB124_1300:
	s_or_b64 exec, exec, s[14:15]
	v_mov_b32_e32 v17, v4
	v_mov_b32_e32 v16, v4
.LBB124_1301:
	s_or_b64 exec, exec, s[12:13]
.LBB124_1302:
	s_andn2_saveexec_b64 s[0:1], s[0:1]
	s_cbranch_execz .LBB124_1304
; %bb.1303:
	scratch_load_dwordx4 v[4:7], off, s25
	scratch_load_dwordx4 v[18:21], off, s24
	;; [unrolled: 1-line block ×6, first 2 shown]
	v_mov_b32_e32 v17, 56
	s_waitcnt vmcnt(5)
	ds_write2_b64 v14, v[4:5], v[6:7] offset0:114 offset1:115
	s_waitcnt vmcnt(4)
	ds_write2_b64 v14, v[18:19], v[20:21] offset0:116 offset1:117
	;; [unrolled: 2-line block ×6, first 2 shown]
.LBB124_1304:
	s_or_b64 exec, exec, s[0:1]
	v_cmp_lt_i32_e32 vcc, 56, v17
	s_waitcnt lgkmcnt(0)
	s_barrier
	s_and_saveexec_b64 s[0:1], vcc
	s_cbranch_execz .LBB124_1306
; %bb.1305:
	scratch_load_dwordx4 v[4:7], off, off offset:896
	scratch_load_dwordx4 v[18:21], off, off offset:912
	;; [unrolled: 1-line block ×7, first 2 shown]
	ds_read2_b64 v[42:45], v14 offset0:114 offset1:115
	ds_read2_b64 v[46:49], v14 offset0:116 offset1:117
	ds_read2_b64 v[50:53], v14 offset0:118 offset1:119
	ds_read2_b64 v[54:57], v14 offset0:120 offset1:121
	ds_read2_b64 v[58:61], v14 offset0:122 offset1:123
	ds_read2_b64 v[62:65], v14 offset0:124 offset1:125
	s_waitcnt vmcnt(6)
	v_mul_f64 v[68:69], v[0:1], v[6:7]
	v_mul_f64 v[66:67], v[2:3], v[6:7]
	v_fmac_f64_e32 v[68:69], v[2:3], v[4:5]
	v_fma_f64 v[66:67], v[0:1], v[4:5], -v[66:67]
	s_waitcnt lgkmcnt(5)
	v_mul_f64 v[0:1], v[44:45], v[68:69]
	v_mul_f64 v[2:3], v[42:43], v[68:69]
	scratch_store_dwordx4 off, v[66:69], off offset:896
	s_waitcnt lgkmcnt(4)
	v_mul_f64 v[4:5], v[48:49], v[68:69]
	v_mul_f64 v[6:7], v[46:47], v[68:69]
	s_waitcnt lgkmcnt(3)
	v_mul_f64 v[70:71], v[52:53], v[68:69]
	v_mul_f64 v[72:73], v[50:51], v[68:69]
	s_waitcnt lgkmcnt(2)
	v_mul_f64 v[74:75], v[56:57], v[68:69]
	v_mul_f64 v[76:77], v[54:55], v[68:69]
	s_waitcnt lgkmcnt(1)
	v_mul_f64 v[78:79], v[60:61], v[68:69]
	v_mul_f64 v[80:81], v[58:59], v[68:69]
	s_waitcnt lgkmcnt(0)
	v_mul_f64 v[82:83], v[64:65], v[68:69]
	v_mul_f64 v[68:69], v[62:63], v[68:69]
	v_fma_f64 v[0:1], v[42:43], v[66:67], -v[0:1]
	v_fmac_f64_e32 v[2:3], v[44:45], v[66:67]
	v_fma_f64 v[4:5], v[46:47], v[66:67], -v[4:5]
	v_fmac_f64_e32 v[6:7], v[48:49], v[66:67]
	;; [unrolled: 2-line block ×6, first 2 shown]
	s_waitcnt vmcnt(6)
	v_add_f64 v[0:1], v[18:19], -v[0:1]
	v_add_f64 v[2:3], v[20:21], -v[2:3]
	s_waitcnt vmcnt(5)
	v_add_f64 v[4:5], v[22:23], -v[4:5]
	v_add_f64 v[6:7], v[24:25], -v[6:7]
	;; [unrolled: 3-line block ×6, first 2 shown]
	scratch_store_dwordx4 off, v[0:3], off offset:912
	scratch_store_dwordx4 off, v[4:7], off offset:928
	scratch_store_dwordx4 off, v[18:21], off offset:944
	scratch_store_dwordx4 off, v[22:25], off offset:960
	scratch_store_dwordx4 off, v[26:29], off offset:976
	scratch_store_dwordx4 off, v[30:33], off offset:992
.LBB124_1306:
	s_or_b64 exec, exec, s[0:1]
	s_barrier
	scratch_load_dwordx4 v[0:3], off, s25
	v_lshl_add_u32 v4, v17, 4, v14
	s_cmp_lt_i32 s52, 59
	s_waitcnt vmcnt(0)
	ds_write2_b64 v4, v[0:1], v[2:3] offset1:1
	s_waitcnt lgkmcnt(0)
	s_barrier
	ds_read2_b64 v[0:3], v14 offset0:114 offset1:115
	v_mov_b32_e32 v4, 57
	s_cbranch_scc1 .LBB124_1309
; %bb.1307:
	v_add_u32_e32 v5, 0x3a0, v14
	s_mov_b32 s4, 58
	v_mov_b32_e32 v4, 57
.LBB124_1308:                           ; =>This Inner Loop Header: Depth=1
	ds_read2_b64 v[18:21], v5 offset1:1
	s_waitcnt lgkmcnt(1)
	v_xor_b32_e32 v7, 0x80000000, v1
	v_xor_b32_e32 v23, 0x80000000, v3
	v_cmp_gt_f64_e32 vcc, 0, v[2:3]
	v_cmp_gt_f64_e64 s[0:1], 0, v[0:1]
	v_mov_b32_e32 v6, v0
	v_mov_b32_e32 v22, v2
	v_cndmask_b32_e64 v7, v1, v7, s[0:1]
	v_cndmask_b32_e32 v23, v3, v23, vcc
	v_add_f64 v[6:7], v[6:7], v[22:23]
	s_waitcnt lgkmcnt(0)
	v_xor_b32_e32 v23, 0x80000000, v19
	v_xor_b32_e32 v25, 0x80000000, v21
	v_cmp_gt_f64_e32 vcc, 0, v[20:21]
	v_cmp_gt_f64_e64 s[0:1], 0, v[18:19]
	v_mov_b32_e32 v22, v18
	v_mov_b32_e32 v24, v20
	v_cndmask_b32_e64 v23, v19, v23, s[0:1]
	v_cndmask_b32_e32 v25, v21, v25, vcc
	v_add_f64 v[22:23], v[22:23], v[24:25]
	v_mov_b32_e32 v26, s4
	s_add_i32 s4, s4, 1
	v_cmp_lt_f64_e32 vcc, v[6:7], v[22:23]
	v_add_u32_e32 v5, 16, v5
	s_cmp_lg_u32 s52, s4
	v_cndmask_b32_e32 v1, v1, v19, vcc
	v_cndmask_b32_e32 v0, v0, v18, vcc
	;; [unrolled: 1-line block ×5, first 2 shown]
	s_cbranch_scc1 .LBB124_1308
.LBB124_1309:
	s_waitcnt lgkmcnt(0)
	v_cmp_eq_f64_e32 vcc, 0, v[0:1]
	v_cmp_eq_f64_e64 s[0:1], 0, v[2:3]
	s_and_b64 s[0:1], vcc, s[0:1]
	s_and_saveexec_b64 s[4:5], s[0:1]
	s_xor_b64 s[0:1], exec, s[4:5]
; %bb.1310:
	v_cmp_ne_u32_e32 vcc, 0, v15
	s_nop 1
	v_cndmask_b32_e32 v15, 58, v15, vcc
; %bb.1311:
	s_andn2_saveexec_b64 s[0:1], s[0:1]
	s_cbranch_execz .LBB124_1317
; %bb.1312:
	v_cmp_ngt_f64_e64 s[4:5], |v[0:1]|, |v[2:3]|
	s_and_saveexec_b64 s[12:13], s[4:5]
	s_xor_b64 s[12:13], exec, s[12:13]
	s_cbranch_execz .LBB124_1314
; %bb.1313:
	v_div_scale_f64 v[6:7], s[4:5], v[2:3], v[2:3], v[0:1]
	v_rcp_f64_e32 v[18:19], v[6:7]
	v_div_scale_f64 v[20:21], vcc, v[0:1], v[2:3], v[0:1]
	v_fma_f64 v[22:23], -v[6:7], v[18:19], 1.0
	v_fmac_f64_e32 v[18:19], v[18:19], v[22:23]
	v_fma_f64 v[22:23], -v[6:7], v[18:19], 1.0
	v_fmac_f64_e32 v[18:19], v[18:19], v[22:23]
	v_mul_f64 v[22:23], v[20:21], v[18:19]
	v_fma_f64 v[6:7], -v[6:7], v[22:23], v[20:21]
	v_div_fmas_f64 v[6:7], v[6:7], v[18:19], v[22:23]
	v_div_fixup_f64 v[6:7], v[6:7], v[2:3], v[0:1]
	v_fmac_f64_e32 v[2:3], v[0:1], v[6:7]
	v_div_scale_f64 v[0:1], s[4:5], v[2:3], v[2:3], 1.0
	v_rcp_f64_e32 v[18:19], v[0:1]
	s_nop 0
	v_fma_f64 v[20:21], -v[0:1], v[18:19], 1.0
	v_fmac_f64_e32 v[18:19], v[18:19], v[20:21]
	v_fma_f64 v[20:21], -v[0:1], v[18:19], 1.0
	v_fmac_f64_e32 v[18:19], v[18:19], v[20:21]
	v_div_scale_f64 v[20:21], vcc, 1.0, v[2:3], 1.0
	v_mul_f64 v[22:23], v[20:21], v[18:19]
	v_fma_f64 v[0:1], -v[0:1], v[22:23], v[20:21]
	s_nop 1
	v_div_fmas_f64 v[0:1], v[0:1], v[18:19], v[22:23]
	v_div_fixup_f64 v[2:3], v[0:1], v[2:3], 1.0
	v_mul_f64 v[0:1], v[6:7], v[2:3]
	v_xor_b32_e32 v3, 0x80000000, v3
.LBB124_1314:
	s_andn2_saveexec_b64 s[12:13], s[12:13]
	s_cbranch_execz .LBB124_1316
; %bb.1315:
	v_div_scale_f64 v[6:7], s[4:5], v[0:1], v[0:1], v[2:3]
	v_rcp_f64_e32 v[18:19], v[6:7]
	v_div_scale_f64 v[20:21], vcc, v[2:3], v[0:1], v[2:3]
	v_fma_f64 v[22:23], -v[6:7], v[18:19], 1.0
	v_fmac_f64_e32 v[18:19], v[18:19], v[22:23]
	v_fma_f64 v[22:23], -v[6:7], v[18:19], 1.0
	v_fmac_f64_e32 v[18:19], v[18:19], v[22:23]
	v_mul_f64 v[22:23], v[20:21], v[18:19]
	v_fma_f64 v[6:7], -v[6:7], v[22:23], v[20:21]
	v_div_fmas_f64 v[6:7], v[6:7], v[18:19], v[22:23]
	v_div_fixup_f64 v[6:7], v[6:7], v[0:1], v[2:3]
	v_fmac_f64_e32 v[0:1], v[2:3], v[6:7]
	v_div_scale_f64 v[2:3], s[4:5], v[0:1], v[0:1], 1.0
	v_rcp_f64_e32 v[18:19], v[2:3]
	s_nop 0
	v_fma_f64 v[20:21], -v[2:3], v[18:19], 1.0
	v_fmac_f64_e32 v[18:19], v[18:19], v[20:21]
	v_fma_f64 v[20:21], -v[2:3], v[18:19], 1.0
	v_fmac_f64_e32 v[18:19], v[18:19], v[20:21]
	v_div_scale_f64 v[20:21], vcc, 1.0, v[0:1], 1.0
	v_mul_f64 v[22:23], v[20:21], v[18:19]
	v_fma_f64 v[2:3], -v[2:3], v[22:23], v[20:21]
	s_nop 1
	v_div_fmas_f64 v[2:3], v[2:3], v[18:19], v[22:23]
	v_div_fixup_f64 v[0:1], v[2:3], v[0:1], 1.0
	v_mul_f64 v[2:3], v[6:7], -v[0:1]
.LBB124_1316:
	s_or_b64 exec, exec, s[12:13]
.LBB124_1317:
	s_or_b64 exec, exec, s[0:1]
	v_cmp_ne_u32_e32 vcc, v17, v4
	s_and_saveexec_b64 s[0:1], vcc
	s_xor_b64 s[0:1], exec, s[0:1]
	s_cbranch_execz .LBB124_1323
; %bb.1318:
	v_cmp_eq_u32_e32 vcc, 57, v17
	s_and_saveexec_b64 s[12:13], vcc
	s_cbranch_execz .LBB124_1322
; %bb.1319:
	v_cmp_ne_u32_e32 vcc, 57, v4
	s_xor_b64 s[4:5], s[18:19], -1
	s_and_b64 s[4:5], s[4:5], vcc
	s_and_saveexec_b64 s[14:15], s[4:5]
	s_cbranch_execz .LBB124_1321
; %bb.1320:
	v_ashrrev_i32_e32 v5, 31, v4
	v_lshl_add_u64 v[6:7], v[4:5], 2, v[10:11]
	global_load_dword v5, v[6:7], off
	global_load_dword v16, v[10:11], off offset:228
	s_waitcnt vmcnt(1)
	global_store_dword v[10:11], v5, off offset:228
	s_waitcnt vmcnt(1)
	global_store_dword v[6:7], v16, off
.LBB124_1321:
	s_or_b64 exec, exec, s[14:15]
	v_mov_b32_e32 v17, v4
	v_mov_b32_e32 v16, v4
.LBB124_1322:
	s_or_b64 exec, exec, s[12:13]
.LBB124_1323:
	s_andn2_saveexec_b64 s[0:1], s[0:1]
	s_cbranch_execz .LBB124_1325
; %bb.1324:
	scratch_load_dwordx4 v[4:7], off, s24
	scratch_load_dwordx4 v[18:21], off, s23
	;; [unrolled: 1-line block ×5, first 2 shown]
	v_mov_b32_e32 v17, 57
	s_waitcnt vmcnt(4)
	ds_write2_b64 v14, v[4:5], v[6:7] offset0:116 offset1:117
	s_waitcnt vmcnt(3)
	ds_write2_b64 v14, v[18:19], v[20:21] offset0:118 offset1:119
	;; [unrolled: 2-line block ×5, first 2 shown]
.LBB124_1325:
	s_or_b64 exec, exec, s[0:1]
	v_cmp_lt_i32_e32 vcc, 57, v17
	s_waitcnt lgkmcnt(0)
	s_barrier
	s_and_saveexec_b64 s[0:1], vcc
	s_cbranch_execz .LBB124_1327
; %bb.1326:
	scratch_load_dwordx4 v[4:7], off, off offset:912
	scratch_load_dwordx4 v[18:21], off, off offset:928
	;; [unrolled: 1-line block ×6, first 2 shown]
	ds_read2_b64 v[38:41], v14 offset0:116 offset1:117
	ds_read2_b64 v[42:45], v14 offset0:118 offset1:119
	;; [unrolled: 1-line block ×5, first 2 shown]
	s_waitcnt vmcnt(5)
	v_mul_f64 v[60:61], v[0:1], v[6:7]
	v_mul_f64 v[58:59], v[2:3], v[6:7]
	v_fmac_f64_e32 v[60:61], v[2:3], v[4:5]
	v_fma_f64 v[58:59], v[0:1], v[4:5], -v[58:59]
	s_waitcnt lgkmcnt(4)
	v_mul_f64 v[0:1], v[40:41], v[60:61]
	v_mul_f64 v[2:3], v[38:39], v[60:61]
	scratch_store_dwordx4 off, v[58:61], off offset:912
	s_waitcnt lgkmcnt(3)
	v_mul_f64 v[4:5], v[44:45], v[60:61]
	v_mul_f64 v[6:7], v[42:43], v[60:61]
	s_waitcnt lgkmcnt(2)
	v_mul_f64 v[62:63], v[48:49], v[60:61]
	v_mul_f64 v[64:65], v[46:47], v[60:61]
	;; [unrolled: 3-line block ×4, first 2 shown]
	v_fma_f64 v[0:1], v[38:39], v[58:59], -v[0:1]
	v_fmac_f64_e32 v[2:3], v[40:41], v[58:59]
	v_fma_f64 v[4:5], v[42:43], v[58:59], -v[4:5]
	v_fmac_f64_e32 v[6:7], v[44:45], v[58:59]
	;; [unrolled: 2-line block ×5, first 2 shown]
	s_waitcnt vmcnt(5)
	v_add_f64 v[0:1], v[18:19], -v[0:1]
	v_add_f64 v[2:3], v[20:21], -v[2:3]
	s_waitcnt vmcnt(4)
	v_add_f64 v[4:5], v[22:23], -v[4:5]
	v_add_f64 v[6:7], v[24:25], -v[6:7]
	;; [unrolled: 3-line block ×5, first 2 shown]
	scratch_store_dwordx4 off, v[0:3], off offset:928
	scratch_store_dwordx4 off, v[4:7], off offset:944
	;; [unrolled: 1-line block ×5, first 2 shown]
.LBB124_1327:
	s_or_b64 exec, exec, s[0:1]
	s_barrier
	scratch_load_dwordx4 v[0:3], off, s24
	v_lshl_add_u32 v4, v17, 4, v14
	s_cmp_lt_i32 s52, 60
	s_waitcnt vmcnt(0)
	ds_write2_b64 v4, v[0:1], v[2:3] offset1:1
	s_waitcnt lgkmcnt(0)
	s_barrier
	ds_read2_b64 v[0:3], v14 offset0:116 offset1:117
	v_mov_b32_e32 v4, 58
	s_cbranch_scc1 .LBB124_1330
; %bb.1328:
	v_add_u32_e32 v5, 0x3b0, v14
	s_mov_b32 s4, 59
	v_mov_b32_e32 v4, 58
.LBB124_1329:                           ; =>This Inner Loop Header: Depth=1
	ds_read2_b64 v[18:21], v5 offset1:1
	s_waitcnt lgkmcnt(1)
	v_xor_b32_e32 v7, 0x80000000, v1
	v_xor_b32_e32 v23, 0x80000000, v3
	v_cmp_gt_f64_e32 vcc, 0, v[2:3]
	v_cmp_gt_f64_e64 s[0:1], 0, v[0:1]
	v_mov_b32_e32 v6, v0
	v_mov_b32_e32 v22, v2
	v_cndmask_b32_e64 v7, v1, v7, s[0:1]
	v_cndmask_b32_e32 v23, v3, v23, vcc
	v_add_f64 v[6:7], v[6:7], v[22:23]
	s_waitcnt lgkmcnt(0)
	v_xor_b32_e32 v23, 0x80000000, v19
	v_xor_b32_e32 v25, 0x80000000, v21
	v_cmp_gt_f64_e32 vcc, 0, v[20:21]
	v_cmp_gt_f64_e64 s[0:1], 0, v[18:19]
	v_mov_b32_e32 v22, v18
	v_mov_b32_e32 v24, v20
	v_cndmask_b32_e64 v23, v19, v23, s[0:1]
	v_cndmask_b32_e32 v25, v21, v25, vcc
	v_add_f64 v[22:23], v[22:23], v[24:25]
	v_mov_b32_e32 v26, s4
	s_add_i32 s4, s4, 1
	v_cmp_lt_f64_e32 vcc, v[6:7], v[22:23]
	v_add_u32_e32 v5, 16, v5
	s_cmp_lg_u32 s52, s4
	v_cndmask_b32_e32 v1, v1, v19, vcc
	v_cndmask_b32_e32 v0, v0, v18, vcc
	v_cndmask_b32_e32 v3, v3, v21, vcc
	v_cndmask_b32_e32 v2, v2, v20, vcc
	v_cndmask_b32_e32 v4, v4, v26, vcc
	s_cbranch_scc1 .LBB124_1329
.LBB124_1330:
	s_waitcnt lgkmcnt(0)
	v_cmp_eq_f64_e32 vcc, 0, v[0:1]
	v_cmp_eq_f64_e64 s[0:1], 0, v[2:3]
	s_and_b64 s[0:1], vcc, s[0:1]
	s_and_saveexec_b64 s[4:5], s[0:1]
	s_xor_b64 s[0:1], exec, s[4:5]
; %bb.1331:
	v_cmp_ne_u32_e32 vcc, 0, v15
	s_nop 1
	v_cndmask_b32_e32 v15, 59, v15, vcc
; %bb.1332:
	s_andn2_saveexec_b64 s[0:1], s[0:1]
	s_cbranch_execz .LBB124_1338
; %bb.1333:
	v_cmp_ngt_f64_e64 s[4:5], |v[0:1]|, |v[2:3]|
	s_and_saveexec_b64 s[12:13], s[4:5]
	s_xor_b64 s[12:13], exec, s[12:13]
	s_cbranch_execz .LBB124_1335
; %bb.1334:
	v_div_scale_f64 v[6:7], s[4:5], v[2:3], v[2:3], v[0:1]
	v_rcp_f64_e32 v[18:19], v[6:7]
	v_div_scale_f64 v[20:21], vcc, v[0:1], v[2:3], v[0:1]
	v_fma_f64 v[22:23], -v[6:7], v[18:19], 1.0
	v_fmac_f64_e32 v[18:19], v[18:19], v[22:23]
	v_fma_f64 v[22:23], -v[6:7], v[18:19], 1.0
	v_fmac_f64_e32 v[18:19], v[18:19], v[22:23]
	v_mul_f64 v[22:23], v[20:21], v[18:19]
	v_fma_f64 v[6:7], -v[6:7], v[22:23], v[20:21]
	v_div_fmas_f64 v[6:7], v[6:7], v[18:19], v[22:23]
	v_div_fixup_f64 v[6:7], v[6:7], v[2:3], v[0:1]
	v_fmac_f64_e32 v[2:3], v[0:1], v[6:7]
	v_div_scale_f64 v[0:1], s[4:5], v[2:3], v[2:3], 1.0
	v_rcp_f64_e32 v[18:19], v[0:1]
	s_nop 0
	v_fma_f64 v[20:21], -v[0:1], v[18:19], 1.0
	v_fmac_f64_e32 v[18:19], v[18:19], v[20:21]
	v_fma_f64 v[20:21], -v[0:1], v[18:19], 1.0
	v_fmac_f64_e32 v[18:19], v[18:19], v[20:21]
	v_div_scale_f64 v[20:21], vcc, 1.0, v[2:3], 1.0
	v_mul_f64 v[22:23], v[20:21], v[18:19]
	v_fma_f64 v[0:1], -v[0:1], v[22:23], v[20:21]
	s_nop 1
	v_div_fmas_f64 v[0:1], v[0:1], v[18:19], v[22:23]
	v_div_fixup_f64 v[2:3], v[0:1], v[2:3], 1.0
	v_mul_f64 v[0:1], v[6:7], v[2:3]
	v_xor_b32_e32 v3, 0x80000000, v3
.LBB124_1335:
	s_andn2_saveexec_b64 s[12:13], s[12:13]
	s_cbranch_execz .LBB124_1337
; %bb.1336:
	v_div_scale_f64 v[6:7], s[4:5], v[0:1], v[0:1], v[2:3]
	v_rcp_f64_e32 v[18:19], v[6:7]
	v_div_scale_f64 v[20:21], vcc, v[2:3], v[0:1], v[2:3]
	v_fma_f64 v[22:23], -v[6:7], v[18:19], 1.0
	v_fmac_f64_e32 v[18:19], v[18:19], v[22:23]
	v_fma_f64 v[22:23], -v[6:7], v[18:19], 1.0
	v_fmac_f64_e32 v[18:19], v[18:19], v[22:23]
	v_mul_f64 v[22:23], v[20:21], v[18:19]
	v_fma_f64 v[6:7], -v[6:7], v[22:23], v[20:21]
	v_div_fmas_f64 v[6:7], v[6:7], v[18:19], v[22:23]
	v_div_fixup_f64 v[6:7], v[6:7], v[0:1], v[2:3]
	v_fmac_f64_e32 v[0:1], v[2:3], v[6:7]
	v_div_scale_f64 v[2:3], s[4:5], v[0:1], v[0:1], 1.0
	v_rcp_f64_e32 v[18:19], v[2:3]
	s_nop 0
	v_fma_f64 v[20:21], -v[2:3], v[18:19], 1.0
	v_fmac_f64_e32 v[18:19], v[18:19], v[20:21]
	v_fma_f64 v[20:21], -v[2:3], v[18:19], 1.0
	v_fmac_f64_e32 v[18:19], v[18:19], v[20:21]
	v_div_scale_f64 v[20:21], vcc, 1.0, v[0:1], 1.0
	v_mul_f64 v[22:23], v[20:21], v[18:19]
	v_fma_f64 v[2:3], -v[2:3], v[22:23], v[20:21]
	s_nop 1
	v_div_fmas_f64 v[2:3], v[2:3], v[18:19], v[22:23]
	v_div_fixup_f64 v[0:1], v[2:3], v[0:1], 1.0
	v_mul_f64 v[2:3], v[6:7], -v[0:1]
.LBB124_1337:
	s_or_b64 exec, exec, s[12:13]
.LBB124_1338:
	s_or_b64 exec, exec, s[0:1]
	v_cmp_ne_u32_e32 vcc, v17, v4
	s_and_saveexec_b64 s[0:1], vcc
	s_xor_b64 s[0:1], exec, s[0:1]
	s_cbranch_execz .LBB124_1344
; %bb.1339:
	v_cmp_eq_u32_e32 vcc, 58, v17
	s_and_saveexec_b64 s[12:13], vcc
	s_cbranch_execz .LBB124_1343
; %bb.1340:
	v_cmp_ne_u32_e32 vcc, 58, v4
	s_xor_b64 s[4:5], s[18:19], -1
	s_and_b64 s[4:5], s[4:5], vcc
	s_and_saveexec_b64 s[14:15], s[4:5]
	s_cbranch_execz .LBB124_1342
; %bb.1341:
	v_ashrrev_i32_e32 v5, 31, v4
	v_lshl_add_u64 v[6:7], v[4:5], 2, v[10:11]
	global_load_dword v5, v[6:7], off
	global_load_dword v16, v[10:11], off offset:232
	s_waitcnt vmcnt(1)
	global_store_dword v[10:11], v5, off offset:232
	s_waitcnt vmcnt(1)
	global_store_dword v[6:7], v16, off
.LBB124_1342:
	s_or_b64 exec, exec, s[14:15]
	v_mov_b32_e32 v17, v4
	v_mov_b32_e32 v16, v4
.LBB124_1343:
	s_or_b64 exec, exec, s[12:13]
.LBB124_1344:
	s_andn2_saveexec_b64 s[0:1], s[0:1]
	s_cbranch_execz .LBB124_1346
; %bb.1345:
	scratch_load_dwordx4 v[4:7], off, s23
	scratch_load_dwordx4 v[18:21], off, s22
	;; [unrolled: 1-line block ×4, first 2 shown]
	v_mov_b32_e32 v17, 58
	s_waitcnt vmcnt(3)
	ds_write2_b64 v14, v[4:5], v[6:7] offset0:118 offset1:119
	s_waitcnt vmcnt(2)
	ds_write2_b64 v14, v[18:19], v[20:21] offset0:120 offset1:121
	;; [unrolled: 2-line block ×4, first 2 shown]
.LBB124_1346:
	s_or_b64 exec, exec, s[0:1]
	v_cmp_lt_i32_e32 vcc, 58, v17
	s_waitcnt lgkmcnt(0)
	s_barrier
	s_and_saveexec_b64 s[0:1], vcc
	s_cbranch_execz .LBB124_1348
; %bb.1347:
	scratch_load_dwordx4 v[4:7], off, off offset:928
	scratch_load_dwordx4 v[18:21], off, off offset:944
	scratch_load_dwordx4 v[22:25], off, off offset:960
	scratch_load_dwordx4 v[26:29], off, off offset:976
	scratch_load_dwordx4 v[30:33], off, off offset:992
	ds_read2_b64 v[34:37], v14 offset0:118 offset1:119
	ds_read2_b64 v[38:41], v14 offset0:120 offset1:121
	;; [unrolled: 1-line block ×4, first 2 shown]
	s_waitcnt vmcnt(4)
	v_mul_f64 v[52:53], v[0:1], v[6:7]
	v_mul_f64 v[50:51], v[2:3], v[6:7]
	v_fmac_f64_e32 v[52:53], v[2:3], v[4:5]
	v_fma_f64 v[50:51], v[0:1], v[4:5], -v[50:51]
	s_waitcnt lgkmcnt(3)
	v_mul_f64 v[0:1], v[36:37], v[52:53]
	v_mul_f64 v[2:3], v[34:35], v[52:53]
	scratch_store_dwordx4 off, v[50:53], off offset:928
	s_waitcnt lgkmcnt(2)
	v_mul_f64 v[4:5], v[40:41], v[52:53]
	v_mul_f64 v[6:7], v[38:39], v[52:53]
	s_waitcnt lgkmcnt(1)
	v_mul_f64 v[54:55], v[44:45], v[52:53]
	v_mul_f64 v[56:57], v[42:43], v[52:53]
	s_waitcnt lgkmcnt(0)
	v_mul_f64 v[58:59], v[48:49], v[52:53]
	v_mul_f64 v[52:53], v[46:47], v[52:53]
	v_fma_f64 v[0:1], v[34:35], v[50:51], -v[0:1]
	v_fmac_f64_e32 v[2:3], v[36:37], v[50:51]
	v_fma_f64 v[4:5], v[38:39], v[50:51], -v[4:5]
	v_fmac_f64_e32 v[6:7], v[40:41], v[50:51]
	v_fma_f64 v[34:35], v[42:43], v[50:51], -v[54:55]
	v_fmac_f64_e32 v[56:57], v[44:45], v[50:51]
	v_fma_f64 v[36:37], v[46:47], v[50:51], -v[58:59]
	v_fmac_f64_e32 v[52:53], v[48:49], v[50:51]
	s_waitcnt vmcnt(4)
	v_add_f64 v[0:1], v[18:19], -v[0:1]
	v_add_f64 v[2:3], v[20:21], -v[2:3]
	s_waitcnt vmcnt(3)
	v_add_f64 v[4:5], v[22:23], -v[4:5]
	v_add_f64 v[6:7], v[24:25], -v[6:7]
	;; [unrolled: 3-line block ×4, first 2 shown]
	scratch_store_dwordx4 off, v[0:3], off offset:944
	scratch_store_dwordx4 off, v[4:7], off offset:960
	;; [unrolled: 1-line block ×4, first 2 shown]
.LBB124_1348:
	s_or_b64 exec, exec, s[0:1]
	s_barrier
	scratch_load_dwordx4 v[0:3], off, s23
	v_lshl_add_u32 v4, v17, 4, v14
	s_cmp_lt_i32 s52, 61
	s_waitcnt vmcnt(0)
	ds_write2_b64 v4, v[0:1], v[2:3] offset1:1
	s_waitcnt lgkmcnt(0)
	s_barrier
	ds_read2_b64 v[0:3], v14 offset0:118 offset1:119
	v_mov_b32_e32 v4, 59
	s_cbranch_scc1 .LBB124_1351
; %bb.1349:
	v_add_u32_e32 v5, 0x3c0, v14
	s_mov_b32 s4, 60
	v_mov_b32_e32 v4, 59
.LBB124_1350:                           ; =>This Inner Loop Header: Depth=1
	ds_read2_b64 v[18:21], v5 offset1:1
	s_waitcnt lgkmcnt(1)
	v_xor_b32_e32 v7, 0x80000000, v1
	v_xor_b32_e32 v23, 0x80000000, v3
	v_cmp_gt_f64_e32 vcc, 0, v[2:3]
	v_cmp_gt_f64_e64 s[0:1], 0, v[0:1]
	v_mov_b32_e32 v6, v0
	v_mov_b32_e32 v22, v2
	v_cndmask_b32_e64 v7, v1, v7, s[0:1]
	v_cndmask_b32_e32 v23, v3, v23, vcc
	v_add_f64 v[6:7], v[6:7], v[22:23]
	s_waitcnt lgkmcnt(0)
	v_xor_b32_e32 v23, 0x80000000, v19
	v_xor_b32_e32 v25, 0x80000000, v21
	v_cmp_gt_f64_e32 vcc, 0, v[20:21]
	v_cmp_gt_f64_e64 s[0:1], 0, v[18:19]
	v_mov_b32_e32 v22, v18
	v_mov_b32_e32 v24, v20
	v_cndmask_b32_e64 v23, v19, v23, s[0:1]
	v_cndmask_b32_e32 v25, v21, v25, vcc
	v_add_f64 v[22:23], v[22:23], v[24:25]
	v_mov_b32_e32 v26, s4
	s_add_i32 s4, s4, 1
	v_cmp_lt_f64_e32 vcc, v[6:7], v[22:23]
	v_add_u32_e32 v5, 16, v5
	s_cmp_lg_u32 s52, s4
	v_cndmask_b32_e32 v1, v1, v19, vcc
	v_cndmask_b32_e32 v0, v0, v18, vcc
	;; [unrolled: 1-line block ×5, first 2 shown]
	s_cbranch_scc1 .LBB124_1350
.LBB124_1351:
	s_waitcnt lgkmcnt(0)
	v_cmp_eq_f64_e32 vcc, 0, v[0:1]
	v_cmp_eq_f64_e64 s[0:1], 0, v[2:3]
	s_and_b64 s[0:1], vcc, s[0:1]
	s_and_saveexec_b64 s[4:5], s[0:1]
	s_xor_b64 s[0:1], exec, s[4:5]
; %bb.1352:
	v_cmp_ne_u32_e32 vcc, 0, v15
	s_nop 1
	v_cndmask_b32_e32 v15, 60, v15, vcc
; %bb.1353:
	s_andn2_saveexec_b64 s[0:1], s[0:1]
	s_cbranch_execz .LBB124_1359
; %bb.1354:
	v_cmp_ngt_f64_e64 s[4:5], |v[0:1]|, |v[2:3]|
	s_and_saveexec_b64 s[12:13], s[4:5]
	s_xor_b64 s[12:13], exec, s[12:13]
	s_cbranch_execz .LBB124_1356
; %bb.1355:
	v_div_scale_f64 v[6:7], s[4:5], v[2:3], v[2:3], v[0:1]
	v_rcp_f64_e32 v[18:19], v[6:7]
	v_div_scale_f64 v[20:21], vcc, v[0:1], v[2:3], v[0:1]
	v_fma_f64 v[22:23], -v[6:7], v[18:19], 1.0
	v_fmac_f64_e32 v[18:19], v[18:19], v[22:23]
	v_fma_f64 v[22:23], -v[6:7], v[18:19], 1.0
	v_fmac_f64_e32 v[18:19], v[18:19], v[22:23]
	v_mul_f64 v[22:23], v[20:21], v[18:19]
	v_fma_f64 v[6:7], -v[6:7], v[22:23], v[20:21]
	v_div_fmas_f64 v[6:7], v[6:7], v[18:19], v[22:23]
	v_div_fixup_f64 v[6:7], v[6:7], v[2:3], v[0:1]
	v_fmac_f64_e32 v[2:3], v[0:1], v[6:7]
	v_div_scale_f64 v[0:1], s[4:5], v[2:3], v[2:3], 1.0
	v_rcp_f64_e32 v[18:19], v[0:1]
	s_nop 0
	v_fma_f64 v[20:21], -v[0:1], v[18:19], 1.0
	v_fmac_f64_e32 v[18:19], v[18:19], v[20:21]
	v_fma_f64 v[20:21], -v[0:1], v[18:19], 1.0
	v_fmac_f64_e32 v[18:19], v[18:19], v[20:21]
	v_div_scale_f64 v[20:21], vcc, 1.0, v[2:3], 1.0
	v_mul_f64 v[22:23], v[20:21], v[18:19]
	v_fma_f64 v[0:1], -v[0:1], v[22:23], v[20:21]
	s_nop 1
	v_div_fmas_f64 v[0:1], v[0:1], v[18:19], v[22:23]
	v_div_fixup_f64 v[2:3], v[0:1], v[2:3], 1.0
	v_mul_f64 v[0:1], v[6:7], v[2:3]
	v_xor_b32_e32 v3, 0x80000000, v3
.LBB124_1356:
	s_andn2_saveexec_b64 s[12:13], s[12:13]
	s_cbranch_execz .LBB124_1358
; %bb.1357:
	v_div_scale_f64 v[6:7], s[4:5], v[0:1], v[0:1], v[2:3]
	v_rcp_f64_e32 v[18:19], v[6:7]
	v_div_scale_f64 v[20:21], vcc, v[2:3], v[0:1], v[2:3]
	v_fma_f64 v[22:23], -v[6:7], v[18:19], 1.0
	v_fmac_f64_e32 v[18:19], v[18:19], v[22:23]
	v_fma_f64 v[22:23], -v[6:7], v[18:19], 1.0
	v_fmac_f64_e32 v[18:19], v[18:19], v[22:23]
	v_mul_f64 v[22:23], v[20:21], v[18:19]
	v_fma_f64 v[6:7], -v[6:7], v[22:23], v[20:21]
	v_div_fmas_f64 v[6:7], v[6:7], v[18:19], v[22:23]
	v_div_fixup_f64 v[6:7], v[6:7], v[0:1], v[2:3]
	v_fmac_f64_e32 v[0:1], v[2:3], v[6:7]
	v_div_scale_f64 v[2:3], s[4:5], v[0:1], v[0:1], 1.0
	v_rcp_f64_e32 v[18:19], v[2:3]
	s_nop 0
	v_fma_f64 v[20:21], -v[2:3], v[18:19], 1.0
	v_fmac_f64_e32 v[18:19], v[18:19], v[20:21]
	v_fma_f64 v[20:21], -v[2:3], v[18:19], 1.0
	v_fmac_f64_e32 v[18:19], v[18:19], v[20:21]
	v_div_scale_f64 v[20:21], vcc, 1.0, v[0:1], 1.0
	v_mul_f64 v[22:23], v[20:21], v[18:19]
	v_fma_f64 v[2:3], -v[2:3], v[22:23], v[20:21]
	s_nop 1
	v_div_fmas_f64 v[2:3], v[2:3], v[18:19], v[22:23]
	v_div_fixup_f64 v[0:1], v[2:3], v[0:1], 1.0
	v_mul_f64 v[2:3], v[6:7], -v[0:1]
.LBB124_1358:
	s_or_b64 exec, exec, s[12:13]
.LBB124_1359:
	s_or_b64 exec, exec, s[0:1]
	v_cmp_ne_u32_e32 vcc, v17, v4
	s_and_saveexec_b64 s[0:1], vcc
	s_xor_b64 s[0:1], exec, s[0:1]
	s_cbranch_execz .LBB124_1365
; %bb.1360:
	v_cmp_eq_u32_e32 vcc, 59, v17
	s_and_saveexec_b64 s[12:13], vcc
	s_cbranch_execz .LBB124_1364
; %bb.1361:
	v_cmp_ne_u32_e32 vcc, 59, v4
	s_xor_b64 s[4:5], s[18:19], -1
	s_and_b64 s[4:5], s[4:5], vcc
	s_and_saveexec_b64 s[14:15], s[4:5]
	s_cbranch_execz .LBB124_1363
; %bb.1362:
	v_ashrrev_i32_e32 v5, 31, v4
	v_lshl_add_u64 v[6:7], v[4:5], 2, v[10:11]
	global_load_dword v5, v[6:7], off
	global_load_dword v16, v[10:11], off offset:236
	s_waitcnt vmcnt(1)
	global_store_dword v[10:11], v5, off offset:236
	s_waitcnt vmcnt(1)
	global_store_dword v[6:7], v16, off
.LBB124_1363:
	s_or_b64 exec, exec, s[14:15]
	v_mov_b32_e32 v17, v4
	v_mov_b32_e32 v16, v4
.LBB124_1364:
	s_or_b64 exec, exec, s[12:13]
.LBB124_1365:
	s_andn2_saveexec_b64 s[0:1], s[0:1]
	s_cbranch_execz .LBB124_1367
; %bb.1366:
	scratch_load_dwordx4 v[4:7], off, s22
	scratch_load_dwordx4 v[18:21], off, s21
	;; [unrolled: 1-line block ×3, first 2 shown]
	v_mov_b32_e32 v17, 59
	s_waitcnt vmcnt(2)
	ds_write2_b64 v14, v[4:5], v[6:7] offset0:120 offset1:121
	s_waitcnt vmcnt(1)
	ds_write2_b64 v14, v[18:19], v[20:21] offset0:122 offset1:123
	;; [unrolled: 2-line block ×3, first 2 shown]
.LBB124_1367:
	s_or_b64 exec, exec, s[0:1]
	v_cmp_lt_i32_e32 vcc, 59, v17
	s_waitcnt lgkmcnt(0)
	s_barrier
	s_and_saveexec_b64 s[0:1], vcc
	s_cbranch_execz .LBB124_1369
; %bb.1368:
	scratch_load_dwordx4 v[4:7], off, off offset:944
	scratch_load_dwordx4 v[18:21], off, off offset:960
	;; [unrolled: 1-line block ×4, first 2 shown]
	ds_read2_b64 v[30:33], v14 offset0:120 offset1:121
	ds_read2_b64 v[34:37], v14 offset0:122 offset1:123
	ds_read2_b64 v[38:41], v14 offset0:124 offset1:125
	s_waitcnt vmcnt(3)
	v_mul_f64 v[44:45], v[0:1], v[6:7]
	v_mul_f64 v[42:43], v[2:3], v[6:7]
	v_fmac_f64_e32 v[44:45], v[2:3], v[4:5]
	v_fma_f64 v[42:43], v[0:1], v[4:5], -v[42:43]
	s_waitcnt lgkmcnt(2)
	v_mul_f64 v[0:1], v[32:33], v[44:45]
	v_mul_f64 v[2:3], v[30:31], v[44:45]
	scratch_store_dwordx4 off, v[42:45], off offset:944
	s_waitcnt lgkmcnt(1)
	v_mul_f64 v[4:5], v[36:37], v[44:45]
	v_mul_f64 v[6:7], v[34:35], v[44:45]
	s_waitcnt lgkmcnt(0)
	v_mul_f64 v[46:47], v[40:41], v[44:45]
	v_mul_f64 v[44:45], v[38:39], v[44:45]
	v_fma_f64 v[0:1], v[30:31], v[42:43], -v[0:1]
	v_fmac_f64_e32 v[2:3], v[32:33], v[42:43]
	v_fma_f64 v[4:5], v[34:35], v[42:43], -v[4:5]
	v_fmac_f64_e32 v[6:7], v[36:37], v[42:43]
	;; [unrolled: 2-line block ×3, first 2 shown]
	s_waitcnt vmcnt(3)
	v_add_f64 v[0:1], v[18:19], -v[0:1]
	v_add_f64 v[2:3], v[20:21], -v[2:3]
	s_waitcnt vmcnt(2)
	v_add_f64 v[4:5], v[22:23], -v[4:5]
	v_add_f64 v[6:7], v[24:25], -v[6:7]
	;; [unrolled: 3-line block ×3, first 2 shown]
	scratch_store_dwordx4 off, v[0:3], off offset:960
	scratch_store_dwordx4 off, v[4:7], off offset:976
	;; [unrolled: 1-line block ×3, first 2 shown]
.LBB124_1369:
	s_or_b64 exec, exec, s[0:1]
	s_barrier
	scratch_load_dwordx4 v[0:3], off, s22
	v_lshl_add_u32 v4, v17, 4, v14
	s_cmp_lt_i32 s52, 62
	s_waitcnt vmcnt(0)
	ds_write2_b64 v4, v[0:1], v[2:3] offset1:1
	s_waitcnt lgkmcnt(0)
	s_barrier
	ds_read2_b64 v[0:3], v14 offset0:120 offset1:121
	v_mov_b32_e32 v4, 60
	s_cbranch_scc1 .LBB124_1372
; %bb.1370:
	v_add_u32_e32 v5, 0x3d0, v14
	s_mov_b32 s4, 61
	v_mov_b32_e32 v4, 60
.LBB124_1371:                           ; =>This Inner Loop Header: Depth=1
	ds_read2_b64 v[18:21], v5 offset1:1
	s_waitcnt lgkmcnt(1)
	v_xor_b32_e32 v7, 0x80000000, v1
	v_xor_b32_e32 v23, 0x80000000, v3
	v_cmp_gt_f64_e32 vcc, 0, v[2:3]
	v_cmp_gt_f64_e64 s[0:1], 0, v[0:1]
	v_mov_b32_e32 v6, v0
	v_mov_b32_e32 v22, v2
	v_cndmask_b32_e64 v7, v1, v7, s[0:1]
	v_cndmask_b32_e32 v23, v3, v23, vcc
	v_add_f64 v[6:7], v[6:7], v[22:23]
	s_waitcnt lgkmcnt(0)
	v_xor_b32_e32 v23, 0x80000000, v19
	v_xor_b32_e32 v25, 0x80000000, v21
	v_cmp_gt_f64_e32 vcc, 0, v[20:21]
	v_cmp_gt_f64_e64 s[0:1], 0, v[18:19]
	v_mov_b32_e32 v22, v18
	v_mov_b32_e32 v24, v20
	v_cndmask_b32_e64 v23, v19, v23, s[0:1]
	v_cndmask_b32_e32 v25, v21, v25, vcc
	v_add_f64 v[22:23], v[22:23], v[24:25]
	v_mov_b32_e32 v26, s4
	s_add_i32 s4, s4, 1
	v_cmp_lt_f64_e32 vcc, v[6:7], v[22:23]
	v_add_u32_e32 v5, 16, v5
	s_cmp_lg_u32 s52, s4
	v_cndmask_b32_e32 v1, v1, v19, vcc
	v_cndmask_b32_e32 v0, v0, v18, vcc
	;; [unrolled: 1-line block ×5, first 2 shown]
	s_cbranch_scc1 .LBB124_1371
.LBB124_1372:
	s_waitcnt lgkmcnt(0)
	v_cmp_eq_f64_e32 vcc, 0, v[0:1]
	v_cmp_eq_f64_e64 s[0:1], 0, v[2:3]
	s_and_b64 s[0:1], vcc, s[0:1]
	s_and_saveexec_b64 s[4:5], s[0:1]
	s_xor_b64 s[0:1], exec, s[4:5]
; %bb.1373:
	v_cmp_ne_u32_e32 vcc, 0, v15
	s_nop 1
	v_cndmask_b32_e32 v15, 61, v15, vcc
; %bb.1374:
	s_andn2_saveexec_b64 s[0:1], s[0:1]
	s_cbranch_execz .LBB124_1380
; %bb.1375:
	v_cmp_ngt_f64_e64 s[4:5], |v[0:1]|, |v[2:3]|
	s_and_saveexec_b64 s[12:13], s[4:5]
	s_xor_b64 s[12:13], exec, s[12:13]
	s_cbranch_execz .LBB124_1377
; %bb.1376:
	v_div_scale_f64 v[6:7], s[4:5], v[2:3], v[2:3], v[0:1]
	v_rcp_f64_e32 v[18:19], v[6:7]
	v_div_scale_f64 v[20:21], vcc, v[0:1], v[2:3], v[0:1]
	v_fma_f64 v[22:23], -v[6:7], v[18:19], 1.0
	v_fmac_f64_e32 v[18:19], v[18:19], v[22:23]
	v_fma_f64 v[22:23], -v[6:7], v[18:19], 1.0
	v_fmac_f64_e32 v[18:19], v[18:19], v[22:23]
	v_mul_f64 v[22:23], v[20:21], v[18:19]
	v_fma_f64 v[6:7], -v[6:7], v[22:23], v[20:21]
	v_div_fmas_f64 v[6:7], v[6:7], v[18:19], v[22:23]
	v_div_fixup_f64 v[6:7], v[6:7], v[2:3], v[0:1]
	v_fmac_f64_e32 v[2:3], v[0:1], v[6:7]
	v_div_scale_f64 v[0:1], s[4:5], v[2:3], v[2:3], 1.0
	v_rcp_f64_e32 v[18:19], v[0:1]
	s_nop 0
	v_fma_f64 v[20:21], -v[0:1], v[18:19], 1.0
	v_fmac_f64_e32 v[18:19], v[18:19], v[20:21]
	v_fma_f64 v[20:21], -v[0:1], v[18:19], 1.0
	v_fmac_f64_e32 v[18:19], v[18:19], v[20:21]
	v_div_scale_f64 v[20:21], vcc, 1.0, v[2:3], 1.0
	v_mul_f64 v[22:23], v[20:21], v[18:19]
	v_fma_f64 v[0:1], -v[0:1], v[22:23], v[20:21]
	s_nop 1
	v_div_fmas_f64 v[0:1], v[0:1], v[18:19], v[22:23]
	v_div_fixup_f64 v[2:3], v[0:1], v[2:3], 1.0
	v_mul_f64 v[0:1], v[6:7], v[2:3]
	v_xor_b32_e32 v3, 0x80000000, v3
.LBB124_1377:
	s_andn2_saveexec_b64 s[12:13], s[12:13]
	s_cbranch_execz .LBB124_1379
; %bb.1378:
	v_div_scale_f64 v[6:7], s[4:5], v[0:1], v[0:1], v[2:3]
	v_rcp_f64_e32 v[18:19], v[6:7]
	v_div_scale_f64 v[20:21], vcc, v[2:3], v[0:1], v[2:3]
	v_fma_f64 v[22:23], -v[6:7], v[18:19], 1.0
	v_fmac_f64_e32 v[18:19], v[18:19], v[22:23]
	v_fma_f64 v[22:23], -v[6:7], v[18:19], 1.0
	v_fmac_f64_e32 v[18:19], v[18:19], v[22:23]
	v_mul_f64 v[22:23], v[20:21], v[18:19]
	v_fma_f64 v[6:7], -v[6:7], v[22:23], v[20:21]
	v_div_fmas_f64 v[6:7], v[6:7], v[18:19], v[22:23]
	v_div_fixup_f64 v[6:7], v[6:7], v[0:1], v[2:3]
	v_fmac_f64_e32 v[0:1], v[2:3], v[6:7]
	v_div_scale_f64 v[2:3], s[4:5], v[0:1], v[0:1], 1.0
	v_rcp_f64_e32 v[18:19], v[2:3]
	s_nop 0
	v_fma_f64 v[20:21], -v[2:3], v[18:19], 1.0
	v_fmac_f64_e32 v[18:19], v[18:19], v[20:21]
	v_fma_f64 v[20:21], -v[2:3], v[18:19], 1.0
	v_fmac_f64_e32 v[18:19], v[18:19], v[20:21]
	v_div_scale_f64 v[20:21], vcc, 1.0, v[0:1], 1.0
	v_mul_f64 v[22:23], v[20:21], v[18:19]
	v_fma_f64 v[2:3], -v[2:3], v[22:23], v[20:21]
	s_nop 1
	v_div_fmas_f64 v[2:3], v[2:3], v[18:19], v[22:23]
	v_div_fixup_f64 v[0:1], v[2:3], v[0:1], 1.0
	v_mul_f64 v[2:3], v[6:7], -v[0:1]
.LBB124_1379:
	s_or_b64 exec, exec, s[12:13]
.LBB124_1380:
	s_or_b64 exec, exec, s[0:1]
	v_cmp_ne_u32_e32 vcc, v17, v4
	s_and_saveexec_b64 s[0:1], vcc
	s_xor_b64 s[0:1], exec, s[0:1]
	s_cbranch_execz .LBB124_1386
; %bb.1381:
	v_cmp_eq_u32_e32 vcc, 60, v17
	s_and_saveexec_b64 s[12:13], vcc
	s_cbranch_execz .LBB124_1385
; %bb.1382:
	v_cmp_ne_u32_e32 vcc, 60, v4
	s_xor_b64 s[4:5], s[18:19], -1
	s_and_b64 s[4:5], s[4:5], vcc
	s_and_saveexec_b64 s[14:15], s[4:5]
	s_cbranch_execz .LBB124_1384
; %bb.1383:
	v_ashrrev_i32_e32 v5, 31, v4
	v_lshl_add_u64 v[6:7], v[4:5], 2, v[10:11]
	global_load_dword v5, v[6:7], off
	global_load_dword v16, v[10:11], off offset:240
	s_waitcnt vmcnt(1)
	global_store_dword v[10:11], v5, off offset:240
	s_waitcnt vmcnt(1)
	global_store_dword v[6:7], v16, off
.LBB124_1384:
	s_or_b64 exec, exec, s[14:15]
	v_mov_b32_e32 v17, v4
	v_mov_b32_e32 v16, v4
.LBB124_1385:
	s_or_b64 exec, exec, s[12:13]
.LBB124_1386:
	s_andn2_saveexec_b64 s[0:1], s[0:1]
	s_cbranch_execz .LBB124_1388
; %bb.1387:
	scratch_load_dwordx4 v[4:7], off, s21
	scratch_load_dwordx4 v[18:21], off, s20
	v_mov_b32_e32 v17, 60
	s_waitcnt vmcnt(1)
	ds_write2_b64 v14, v[4:5], v[6:7] offset0:122 offset1:123
	s_waitcnt vmcnt(0)
	ds_write2_b64 v14, v[18:19], v[20:21] offset0:124 offset1:125
.LBB124_1388:
	s_or_b64 exec, exec, s[0:1]
	v_cmp_lt_i32_e32 vcc, 60, v17
	s_waitcnt lgkmcnt(0)
	s_barrier
	s_and_saveexec_b64 s[0:1], vcc
	s_cbranch_execz .LBB124_1390
; %bb.1389:
	scratch_load_dwordx4 v[4:7], off, off offset:960
	scratch_load_dwordx4 v[18:21], off, off offset:976
	;; [unrolled: 1-line block ×3, first 2 shown]
	ds_read2_b64 v[26:29], v14 offset0:122 offset1:123
	ds_read2_b64 v[30:33], v14 offset0:124 offset1:125
	s_waitcnt vmcnt(2)
	v_mul_f64 v[36:37], v[0:1], v[6:7]
	v_mul_f64 v[34:35], v[2:3], v[6:7]
	v_fmac_f64_e32 v[36:37], v[2:3], v[4:5]
	v_fma_f64 v[34:35], v[0:1], v[4:5], -v[34:35]
	s_waitcnt lgkmcnt(1)
	v_mul_f64 v[0:1], v[28:29], v[36:37]
	v_mul_f64 v[2:3], v[26:27], v[36:37]
	s_waitcnt lgkmcnt(0)
	v_mul_f64 v[4:5], v[32:33], v[36:37]
	v_mul_f64 v[6:7], v[30:31], v[36:37]
	v_fma_f64 v[0:1], v[26:27], v[34:35], -v[0:1]
	v_fmac_f64_e32 v[2:3], v[28:29], v[34:35]
	v_fma_f64 v[4:5], v[30:31], v[34:35], -v[4:5]
	v_fmac_f64_e32 v[6:7], v[32:33], v[34:35]
	s_waitcnt vmcnt(1)
	v_add_f64 v[0:1], v[18:19], -v[0:1]
	v_add_f64 v[2:3], v[20:21], -v[2:3]
	scratch_store_dwordx4 off, v[34:37], off offset:960
	s_waitcnt vmcnt(1)
	v_add_f64 v[4:5], v[22:23], -v[4:5]
	v_add_f64 v[6:7], v[24:25], -v[6:7]
	scratch_store_dwordx4 off, v[0:3], off offset:976
	scratch_store_dwordx4 off, v[4:7], off offset:992
.LBB124_1390:
	s_or_b64 exec, exec, s[0:1]
	s_barrier
	scratch_load_dwordx4 v[0:3], off, s21
	v_lshl_add_u32 v4, v17, 4, v14
	s_cmp_lt_i32 s52, 63
	s_waitcnt vmcnt(0)
	ds_write2_b64 v4, v[0:1], v[2:3] offset1:1
	s_waitcnt lgkmcnt(0)
	s_barrier
	ds_read2_b64 v[0:3], v14 offset0:122 offset1:123
	v_mov_b32_e32 v4, 61
	s_cbranch_scc1 .LBB124_1393
; %bb.1391:
	v_add_u32_e32 v5, 0x3e0, v14
	s_mov_b32 s4, 62
	v_mov_b32_e32 v4, 61
.LBB124_1392:                           ; =>This Inner Loop Header: Depth=1
	ds_read2_b64 v[18:21], v5 offset1:1
	s_waitcnt lgkmcnt(1)
	v_xor_b32_e32 v7, 0x80000000, v1
	v_xor_b32_e32 v23, 0x80000000, v3
	v_cmp_gt_f64_e32 vcc, 0, v[2:3]
	v_cmp_gt_f64_e64 s[0:1], 0, v[0:1]
	v_mov_b32_e32 v6, v0
	v_mov_b32_e32 v22, v2
	v_cndmask_b32_e64 v7, v1, v7, s[0:1]
	v_cndmask_b32_e32 v23, v3, v23, vcc
	v_add_f64 v[6:7], v[6:7], v[22:23]
	s_waitcnt lgkmcnt(0)
	v_xor_b32_e32 v23, 0x80000000, v19
	v_xor_b32_e32 v25, 0x80000000, v21
	v_cmp_gt_f64_e32 vcc, 0, v[20:21]
	v_cmp_gt_f64_e64 s[0:1], 0, v[18:19]
	v_mov_b32_e32 v22, v18
	v_mov_b32_e32 v24, v20
	v_cndmask_b32_e64 v23, v19, v23, s[0:1]
	v_cndmask_b32_e32 v25, v21, v25, vcc
	v_add_f64 v[22:23], v[22:23], v[24:25]
	v_mov_b32_e32 v26, s4
	s_add_i32 s4, s4, 1
	v_cmp_lt_f64_e32 vcc, v[6:7], v[22:23]
	v_add_u32_e32 v5, 16, v5
	s_cmp_lg_u32 s52, s4
	v_cndmask_b32_e32 v1, v1, v19, vcc
	v_cndmask_b32_e32 v0, v0, v18, vcc
	;; [unrolled: 1-line block ×5, first 2 shown]
	s_cbranch_scc1 .LBB124_1392
.LBB124_1393:
	s_waitcnt lgkmcnt(0)
	v_cmp_eq_f64_e32 vcc, 0, v[0:1]
	v_cmp_eq_f64_e64 s[0:1], 0, v[2:3]
	s_and_b64 s[0:1], vcc, s[0:1]
	s_and_saveexec_b64 s[4:5], s[0:1]
	s_xor_b64 s[0:1], exec, s[4:5]
; %bb.1394:
	v_cmp_ne_u32_e32 vcc, 0, v15
	s_nop 1
	v_cndmask_b32_e32 v15, 62, v15, vcc
; %bb.1395:
	s_andn2_saveexec_b64 s[0:1], s[0:1]
	s_cbranch_execz .LBB124_1401
; %bb.1396:
	v_cmp_ngt_f64_e64 s[4:5], |v[0:1]|, |v[2:3]|
	s_and_saveexec_b64 s[12:13], s[4:5]
	s_xor_b64 s[12:13], exec, s[12:13]
	s_cbranch_execz .LBB124_1398
; %bb.1397:
	v_div_scale_f64 v[6:7], s[4:5], v[2:3], v[2:3], v[0:1]
	v_rcp_f64_e32 v[18:19], v[6:7]
	v_div_scale_f64 v[20:21], vcc, v[0:1], v[2:3], v[0:1]
	v_fma_f64 v[22:23], -v[6:7], v[18:19], 1.0
	v_fmac_f64_e32 v[18:19], v[18:19], v[22:23]
	v_fma_f64 v[22:23], -v[6:7], v[18:19], 1.0
	v_fmac_f64_e32 v[18:19], v[18:19], v[22:23]
	v_mul_f64 v[22:23], v[20:21], v[18:19]
	v_fma_f64 v[6:7], -v[6:7], v[22:23], v[20:21]
	v_div_fmas_f64 v[6:7], v[6:7], v[18:19], v[22:23]
	v_div_fixup_f64 v[6:7], v[6:7], v[2:3], v[0:1]
	v_fmac_f64_e32 v[2:3], v[0:1], v[6:7]
	v_div_scale_f64 v[0:1], s[4:5], v[2:3], v[2:3], 1.0
	v_rcp_f64_e32 v[18:19], v[0:1]
	s_nop 0
	v_fma_f64 v[20:21], -v[0:1], v[18:19], 1.0
	v_fmac_f64_e32 v[18:19], v[18:19], v[20:21]
	v_fma_f64 v[20:21], -v[0:1], v[18:19], 1.0
	v_fmac_f64_e32 v[18:19], v[18:19], v[20:21]
	v_div_scale_f64 v[20:21], vcc, 1.0, v[2:3], 1.0
	v_mul_f64 v[22:23], v[20:21], v[18:19]
	v_fma_f64 v[0:1], -v[0:1], v[22:23], v[20:21]
	s_nop 1
	v_div_fmas_f64 v[0:1], v[0:1], v[18:19], v[22:23]
	v_div_fixup_f64 v[2:3], v[0:1], v[2:3], 1.0
	v_mul_f64 v[0:1], v[6:7], v[2:3]
	v_xor_b32_e32 v3, 0x80000000, v3
.LBB124_1398:
	s_andn2_saveexec_b64 s[12:13], s[12:13]
	s_cbranch_execz .LBB124_1400
; %bb.1399:
	v_div_scale_f64 v[6:7], s[4:5], v[0:1], v[0:1], v[2:3]
	v_rcp_f64_e32 v[18:19], v[6:7]
	v_div_scale_f64 v[20:21], vcc, v[2:3], v[0:1], v[2:3]
	v_fma_f64 v[22:23], -v[6:7], v[18:19], 1.0
	v_fmac_f64_e32 v[18:19], v[18:19], v[22:23]
	v_fma_f64 v[22:23], -v[6:7], v[18:19], 1.0
	v_fmac_f64_e32 v[18:19], v[18:19], v[22:23]
	v_mul_f64 v[22:23], v[20:21], v[18:19]
	v_fma_f64 v[6:7], -v[6:7], v[22:23], v[20:21]
	v_div_fmas_f64 v[6:7], v[6:7], v[18:19], v[22:23]
	v_div_fixup_f64 v[6:7], v[6:7], v[0:1], v[2:3]
	v_fmac_f64_e32 v[0:1], v[2:3], v[6:7]
	v_div_scale_f64 v[2:3], s[4:5], v[0:1], v[0:1], 1.0
	v_rcp_f64_e32 v[18:19], v[2:3]
	s_nop 0
	v_fma_f64 v[20:21], -v[2:3], v[18:19], 1.0
	v_fmac_f64_e32 v[18:19], v[18:19], v[20:21]
	v_fma_f64 v[20:21], -v[2:3], v[18:19], 1.0
	v_fmac_f64_e32 v[18:19], v[18:19], v[20:21]
	v_div_scale_f64 v[20:21], vcc, 1.0, v[0:1], 1.0
	v_mul_f64 v[22:23], v[20:21], v[18:19]
	v_fma_f64 v[2:3], -v[2:3], v[22:23], v[20:21]
	s_nop 1
	v_div_fmas_f64 v[2:3], v[2:3], v[18:19], v[22:23]
	v_div_fixup_f64 v[0:1], v[2:3], v[0:1], 1.0
	v_mul_f64 v[2:3], v[6:7], -v[0:1]
.LBB124_1400:
	s_or_b64 exec, exec, s[12:13]
.LBB124_1401:
	s_or_b64 exec, exec, s[0:1]
	v_cmp_ne_u32_e32 vcc, v17, v4
	s_and_saveexec_b64 s[0:1], vcc
	s_xor_b64 s[0:1], exec, s[0:1]
	s_cbranch_execz .LBB124_1407
; %bb.1402:
	v_cmp_eq_u32_e32 vcc, 61, v17
	s_and_saveexec_b64 s[12:13], vcc
	s_cbranch_execz .LBB124_1406
; %bb.1403:
	v_cmp_ne_u32_e32 vcc, 61, v4
	s_xor_b64 s[4:5], s[18:19], -1
	s_and_b64 s[4:5], s[4:5], vcc
	s_and_saveexec_b64 s[14:15], s[4:5]
	s_cbranch_execz .LBB124_1405
; %bb.1404:
	v_ashrrev_i32_e32 v5, 31, v4
	v_lshl_add_u64 v[6:7], v[4:5], 2, v[10:11]
	global_load_dword v5, v[6:7], off
	global_load_dword v16, v[10:11], off offset:244
	s_waitcnt vmcnt(1)
	global_store_dword v[10:11], v5, off offset:244
	s_waitcnt vmcnt(1)
	global_store_dword v[6:7], v16, off
.LBB124_1405:
	s_or_b64 exec, exec, s[14:15]
	v_mov_b32_e32 v17, v4
	v_mov_b32_e32 v16, v4
.LBB124_1406:
	s_or_b64 exec, exec, s[12:13]
.LBB124_1407:
	s_andn2_saveexec_b64 s[0:1], s[0:1]
	s_cbranch_execz .LBB124_1409
; %bb.1408:
	scratch_load_dwordx4 v[4:7], off, s20
	v_mov_b32_e32 v17, 61
	s_waitcnt vmcnt(0)
	ds_write2_b64 v14, v[4:5], v[6:7] offset0:124 offset1:125
.LBB124_1409:
	s_or_b64 exec, exec, s[0:1]
	v_cmp_lt_i32_e32 vcc, 61, v17
	s_waitcnt lgkmcnt(0)
	s_barrier
	s_and_saveexec_b64 s[0:1], vcc
	s_cbranch_execz .LBB124_1411
; %bb.1410:
	scratch_load_dwordx4 v[4:7], off, off offset:976
	scratch_load_dwordx4 v[18:21], off, off offset:992
	ds_read2_b64 v[22:25], v14 offset0:124 offset1:125
	s_waitcnt vmcnt(1)
	v_mul_f64 v[28:29], v[0:1], v[6:7]
	v_mul_f64 v[26:27], v[2:3], v[6:7]
	v_fmac_f64_e32 v[28:29], v[2:3], v[4:5]
	v_fma_f64 v[26:27], v[0:1], v[4:5], -v[26:27]
	s_waitcnt lgkmcnt(0)
	v_mul_f64 v[0:1], v[24:25], v[28:29]
	v_mul_f64 v[2:3], v[22:23], v[28:29]
	v_fma_f64 v[0:1], v[22:23], v[26:27], -v[0:1]
	v_fmac_f64_e32 v[2:3], v[24:25], v[26:27]
	s_waitcnt vmcnt(0)
	v_add_f64 v[0:1], v[18:19], -v[0:1]
	v_add_f64 v[2:3], v[20:21], -v[2:3]
	scratch_store_dwordx4 off, v[26:29], off offset:976
	scratch_store_dwordx4 off, v[0:3], off offset:992
.LBB124_1411:
	s_or_b64 exec, exec, s[0:1]
	s_barrier
	scratch_load_dwordx4 v[0:3], off, s20
	v_lshl_add_u32 v4, v17, 4, v14
	s_cmp_lt_i32 s52, 64
	s_waitcnt vmcnt(0)
	ds_write2_b64 v4, v[0:1], v[2:3] offset1:1
	s_waitcnt lgkmcnt(0)
	s_barrier
	ds_read2_b64 v[0:3], v14 offset0:124 offset1:125
	v_mov_b32_e32 v4, 62
	s_cbranch_scc1 .LBB124_1414
; %bb.1412:
	v_add_u32_e32 v5, 0x3f0, v14
	s_mov_b32 s4, 63
	v_mov_b32_e32 v4, 62
.LBB124_1413:                           ; =>This Inner Loop Header: Depth=1
	ds_read2_b64 v[18:21], v5 offset1:1
	s_waitcnt lgkmcnt(1)
	v_xor_b32_e32 v7, 0x80000000, v1
	v_xor_b32_e32 v14, 0x80000000, v3
	v_cmp_gt_f64_e32 vcc, 0, v[2:3]
	v_cmp_gt_f64_e64 s[0:1], 0, v[0:1]
	v_mov_b32_e32 v6, v0
	v_mov_b32_e32 v22, v2
	v_cndmask_b32_e64 v7, v1, v7, s[0:1]
	v_cndmask_b32_e32 v23, v3, v14, vcc
	s_waitcnt lgkmcnt(0)
	v_xor_b32_e32 v14, 0x80000000, v19
	v_xor_b32_e32 v25, 0x80000000, v21
	v_cmp_gt_f64_e32 vcc, 0, v[20:21]
	v_cmp_gt_f64_e64 s[0:1], 0, v[18:19]
	v_add_f64 v[6:7], v[6:7], v[22:23]
	v_mov_b32_e32 v22, v18
	v_mov_b32_e32 v24, v20
	v_cndmask_b32_e64 v23, v19, v14, s[0:1]
	v_cndmask_b32_e32 v25, v21, v25, vcc
	v_add_f64 v[22:23], v[22:23], v[24:25]
	v_mov_b32_e32 v26, s4
	s_add_i32 s4, s4, 1
	v_cmp_lt_f64_e32 vcc, v[6:7], v[22:23]
	v_add_u32_e32 v5, 16, v5
	s_cmp_lg_u32 s52, s4
	v_cndmask_b32_e32 v1, v1, v19, vcc
	v_cndmask_b32_e32 v0, v0, v18, vcc
	;; [unrolled: 1-line block ×5, first 2 shown]
	s_cbranch_scc1 .LBB124_1413
.LBB124_1414:
	s_waitcnt lgkmcnt(0)
	v_cmp_eq_f64_e32 vcc, 0, v[0:1]
	v_cmp_eq_f64_e64 s[0:1], 0, v[2:3]
	s_and_b64 s[0:1], vcc, s[0:1]
	s_and_saveexec_b64 s[4:5], s[0:1]
	s_xor_b64 s[0:1], exec, s[4:5]
; %bb.1415:
	v_cmp_ne_u32_e32 vcc, 0, v15
	s_nop 1
	v_cndmask_b32_e32 v15, 63, v15, vcc
; %bb.1416:
	s_andn2_saveexec_b64 s[0:1], s[0:1]
	s_cbranch_execz .LBB124_1422
; %bb.1417:
	v_cmp_ngt_f64_e64 s[4:5], |v[0:1]|, |v[2:3]|
	s_and_saveexec_b64 s[12:13], s[4:5]
	s_xor_b64 s[12:13], exec, s[12:13]
	s_cbranch_execz .LBB124_1419
; %bb.1418:
	v_div_scale_f64 v[6:7], s[4:5], v[2:3], v[2:3], v[0:1]
	v_rcp_f64_e32 v[18:19], v[6:7]
	v_div_scale_f64 v[20:21], vcc, v[0:1], v[2:3], v[0:1]
	v_fma_f64 v[22:23], -v[6:7], v[18:19], 1.0
	v_fmac_f64_e32 v[18:19], v[18:19], v[22:23]
	v_fma_f64 v[22:23], -v[6:7], v[18:19], 1.0
	v_fmac_f64_e32 v[18:19], v[18:19], v[22:23]
	v_mul_f64 v[22:23], v[20:21], v[18:19]
	v_fma_f64 v[6:7], -v[6:7], v[22:23], v[20:21]
	v_div_fmas_f64 v[6:7], v[6:7], v[18:19], v[22:23]
	v_div_fixup_f64 v[6:7], v[6:7], v[2:3], v[0:1]
	v_fmac_f64_e32 v[2:3], v[0:1], v[6:7]
	v_div_scale_f64 v[0:1], s[4:5], v[2:3], v[2:3], 1.0
	v_rcp_f64_e32 v[18:19], v[0:1]
	s_nop 0
	v_fma_f64 v[20:21], -v[0:1], v[18:19], 1.0
	v_fmac_f64_e32 v[18:19], v[18:19], v[20:21]
	v_fma_f64 v[20:21], -v[0:1], v[18:19], 1.0
	v_fmac_f64_e32 v[18:19], v[18:19], v[20:21]
	v_div_scale_f64 v[20:21], vcc, 1.0, v[2:3], 1.0
	v_mul_f64 v[22:23], v[20:21], v[18:19]
	v_fma_f64 v[0:1], -v[0:1], v[22:23], v[20:21]
	s_nop 1
	v_div_fmas_f64 v[0:1], v[0:1], v[18:19], v[22:23]
	v_div_fixup_f64 v[2:3], v[0:1], v[2:3], 1.0
	v_mul_f64 v[0:1], v[6:7], v[2:3]
	v_xor_b32_e32 v3, 0x80000000, v3
.LBB124_1419:
	s_andn2_saveexec_b64 s[12:13], s[12:13]
	s_cbranch_execz .LBB124_1421
; %bb.1420:
	v_div_scale_f64 v[6:7], s[4:5], v[0:1], v[0:1], v[2:3]
	v_rcp_f64_e32 v[18:19], v[6:7]
	v_div_scale_f64 v[20:21], vcc, v[2:3], v[0:1], v[2:3]
	v_fma_f64 v[22:23], -v[6:7], v[18:19], 1.0
	v_fmac_f64_e32 v[18:19], v[18:19], v[22:23]
	v_fma_f64 v[22:23], -v[6:7], v[18:19], 1.0
	v_fmac_f64_e32 v[18:19], v[18:19], v[22:23]
	v_mul_f64 v[22:23], v[20:21], v[18:19]
	v_fma_f64 v[6:7], -v[6:7], v[22:23], v[20:21]
	v_div_fmas_f64 v[6:7], v[6:7], v[18:19], v[22:23]
	v_div_fixup_f64 v[6:7], v[6:7], v[0:1], v[2:3]
	v_fmac_f64_e32 v[0:1], v[2:3], v[6:7]
	v_div_scale_f64 v[2:3], s[4:5], v[0:1], v[0:1], 1.0
	v_rcp_f64_e32 v[18:19], v[2:3]
	s_nop 0
	v_fma_f64 v[20:21], -v[2:3], v[18:19], 1.0
	v_fmac_f64_e32 v[18:19], v[18:19], v[20:21]
	v_fma_f64 v[20:21], -v[2:3], v[18:19], 1.0
	v_fmac_f64_e32 v[18:19], v[18:19], v[20:21]
	v_div_scale_f64 v[20:21], vcc, 1.0, v[0:1], 1.0
	v_mul_f64 v[22:23], v[20:21], v[18:19]
	v_fma_f64 v[2:3], -v[2:3], v[22:23], v[20:21]
	s_nop 1
	v_div_fmas_f64 v[2:3], v[2:3], v[18:19], v[22:23]
	v_div_fixup_f64 v[0:1], v[2:3], v[0:1], 1.0
	v_mul_f64 v[2:3], v[6:7], -v[0:1]
.LBB124_1421:
	s_or_b64 exec, exec, s[12:13]
.LBB124_1422:
	s_or_b64 exec, exec, s[0:1]
	v_cmp_ne_u32_e32 vcc, v17, v4
	v_mov_b32_e32 v6, 62
	s_and_saveexec_b64 s[0:1], vcc
	s_cbranch_execz .LBB124_1428
; %bb.1423:
	v_cmp_eq_u32_e32 vcc, 62, v17
	s_and_saveexec_b64 s[12:13], vcc
	s_cbranch_execz .LBB124_1427
; %bb.1424:
	v_cmp_ne_u32_e32 vcc, 62, v4
	s_xor_b64 s[4:5], s[18:19], -1
	s_and_b64 s[4:5], s[4:5], vcc
	s_and_saveexec_b64 s[14:15], s[4:5]
	s_cbranch_execz .LBB124_1426
; %bb.1425:
	v_ashrrev_i32_e32 v5, 31, v4
	v_lshl_add_u64 v[6:7], v[4:5], 2, v[10:11]
	global_load_dword v5, v[6:7], off
	global_load_dword v14, v[10:11], off offset:248
	s_waitcnt vmcnt(1)
	global_store_dword v[10:11], v5, off offset:248
	s_waitcnt vmcnt(1)
	global_store_dword v[6:7], v14, off
.LBB124_1426:
	s_or_b64 exec, exec, s[14:15]
	v_mov_b32_e32 v17, v4
	v_mov_b32_e32 v16, v4
.LBB124_1427:
	s_or_b64 exec, exec, s[12:13]
	v_mov_b32_e32 v6, v17
.LBB124_1428:
	s_or_b64 exec, exec, s[0:1]
	v_cmp_lt_i32_e32 vcc, 62, v6
	s_barrier
	s_and_saveexec_b64 s[0:1], vcc
	s_cbranch_execz .LBB124_1430
; %bb.1429:
	scratch_load_dwordx4 v[18:21], off, off offset:992
	s_waitcnt vmcnt(0)
	v_mul_f64 v[4:5], v[2:3], v[20:21]
	v_mul_f64 v[22:23], v[0:1], v[20:21]
	v_fma_f64 v[20:21], v[0:1], v[18:19], -v[4:5]
	v_fmac_f64_e32 v[22:23], v[2:3], v[18:19]
	scratch_store_dwordx4 off, v[20:23], off offset:992
.LBB124_1430:
	s_or_b64 exec, exec, s[0:1]
	v_cmp_gt_i32_e32 vcc, 63, v6
	v_ashrrev_i32_e32 v7, 31, v6
	s_barrier
	s_and_saveexec_b64 s[0:1], vcc
	s_cbranch_execz .LBB124_1432
; %bb.1431:
	v_readlane_b32 s4, v128, 2
	v_readlane_b32 s5, v128, 3
	;; [unrolled: 1-line block ×6, first 2 shown]
	v_mul_lo_u32 v4, s11, v8
	v_mul_lo_u32 v5, s10, v9
	v_mad_u64_u32 v[2:3], s[4:5], s10, v8, 0
	v_mov_b32_e32 v0, s6
	v_mov_b32_e32 v1, s7
	v_add3_u32 v3, v3, v5, v4
	v_readlane_b32 s8, v128, 6
	v_readlane_b32 s9, v128, 7
	v_lshl_add_u64 v[0:1], v[2:3], 2, v[0:1]
	v_add3_u32 v2, v16, s17, 1
	v_lshl_add_u64 v[0:1], s[8:9], 2, v[0:1]
	v_lshl_add_u64 v[0:1], v[6:7], 2, v[0:1]
	global_store_dword v[0:1], v2, off
.LBB124_1432:
	s_or_b64 exec, exec, s[0:1]
	v_cmp_eq_u32_e32 vcc, 0, v6
	s_and_saveexec_b64 s[6:7], vcc
	s_cbranch_execz .LBB124_1435
; %bb.1433:
	v_readlane_b32 s0, v128, 11
	v_readlane_b32 s1, v128, 12
	s_nop 0
	v_mov_b32_e32 v0, s0
	v_mov_b32_e32 v1, s1
	v_lshl_add_u64 v[0:1], v[8:9], 2, v[0:1]
	global_load_dword v2, v[0:1], off
	v_cmp_ne_u32_e64 s[0:1], 0, v15
	s_waitcnt vmcnt(0)
	v_cmp_eq_u32_e32 vcc, 0, v2
	s_and_b64 s[0:1], vcc, s[0:1]
	s_and_b64 exec, exec, s[0:1]
	s_cbranch_execz .LBB124_1435
; %bb.1434:
	v_add_u32_e32 v2, s17, v15
	global_store_dword v[0:1], v2, off
.LBB124_1435:
	s_or_b64 exec, exec, s[6:7]
	scratch_load_dwordx4 v[0:3], off, off
	scratch_load_dwordx4 v[8:11], off, s95
	scratch_load_dwordx4 v[14:17], off, s94
	;; [unrolled: 1-line block ×16, first 2 shown]
	v_readlane_b32 s0, v128, 10
	v_lshl_add_u64 v[118:119], v[6:7], 4, v[12:13]
	s_nop 0
	v_add_u32_e32 v120, s0, v6
	scratch_load_dwordx4 v[4:7], off, s86
	scratch_load_dwordx4 v[74:77], off, s58
	;; [unrolled: 1-line block ×12, first 2 shown]
	v_add_u32_e32 v122, s2, v120
	v_ashrrev_i32_e32 v121, 31, v120
	v_ashrrev_i32_e32 v123, 31, v122
	v_lshl_add_u64 v[120:121], v[120:121], 4, v[12:13]
	s_waitcnt vmcnt(28)
	global_store_dwordx4 v[118:119], v[0:3], off
	v_lshl_add_u64 v[118:119], s[2:3], 4, v[118:119]
	s_waitcnt vmcnt(28)
	global_store_dwordx4 v[118:119], v[8:11], off
	s_waitcnt vmcnt(28)
	global_store_dwordx4 v[120:121], v[14:17], off
	scratch_load_dwordx4 v[0:3], off, s55
	v_add_u32_e32 v8, s2, v122
	v_add_u32_e32 v118, s2, v8
	v_lshl_add_u64 v[10:11], v[122:123], 4, v[12:13]
	v_add_u32_e32 v122, s2, v118
	v_add_u32_e32 v14, s2, v122
	v_ashrrev_i32_e32 v123, 31, v122
	v_add_u32_e32 v120, s2, v14
	v_lshl_add_u64 v[16:17], v[122:123], 4, v[12:13]
	v_add_u32_e32 v122, s2, v120
	s_waitcnt vmcnt(29)
	global_store_dwordx4 v[10:11], v[18:21], off
	v_add_u32_e32 v10, s2, v122
	v_ashrrev_i32_e32 v9, 31, v8
	v_ashrrev_i32_e32 v123, 31, v122
	v_add_u32_e32 v20, s2, v10
	v_lshl_add_u64 v[8:9], v[8:9], 4, v[12:13]
	v_lshl_add_u64 v[18:19], v[122:123], 4, v[12:13]
	v_add_u32_e32 v122, s2, v20
	v_ashrrev_i32_e32 v119, 31, v118
	s_waitcnt vmcnt(29)
	global_store_dwordx4 v[8:9], v[22:25], off
	v_add_u32_e32 v8, s2, v122
	v_lshl_add_u64 v[118:119], v[118:119], 4, v[12:13]
	v_ashrrev_i32_e32 v15, 31, v14
	v_ashrrev_i32_e32 v121, 31, v120
	;; [unrolled: 1-line block ×6, first 2 shown]
	v_lshl_add_u64 v[14:15], v[14:15], 4, v[12:13]
	v_lshl_add_u64 v[120:121], v[120:121], 4, v[12:13]
	;; [unrolled: 1-line block ×6, first 2 shown]
	s_waitcnt vmcnt(29)
	global_store_dwordx4 v[118:119], v[26:29], off
	s_waitcnt vmcnt(29)
	global_store_dwordx4 v[16:17], v[30:33], off
	;; [unrolled: 2-line block ×9, first 2 shown]
	v_add_u32_e32 v14, s2, v8
	scratch_load_dwordx4 v[8:11], off, s54
	v_add_u32_e32 v18, s2, v14
	v_ashrrev_i32_e32 v15, 31, v14
	v_ashrrev_i32_e32 v19, 31, v18
	v_lshl_add_u64 v[16:17], v[14:15], 4, v[12:13]
	v_lshl_add_u64 v[14:15], v[18:19], 4, v[12:13]
	v_add_u32_e32 v22, s2, v18
	s_waitcnt vmcnt(30)
	global_store_dwordx4 v[16:17], v[62:65], off
	s_waitcnt vmcnt(30)
	global_store_dwordx4 v[14:15], v[66:69], off
	scratch_load_dwordx4 v[14:17], off, s53
	v_ashrrev_i32_e32 v23, 31, v22
	v_lshl_add_u64 v[18:19], v[22:23], 4, v[12:13]
	v_add_u32_e32 v22, s2, v22
	s_waitcnt vmcnt(31)
	global_store_dwordx4 v[18:19], v[70:73], off
	scratch_load_dwordx4 v[18:21], off, s51
	v_ashrrev_i32_e32 v23, 31, v22
	v_lshl_add_u64 v[24:25], v[22:23], 4, v[12:13]
	s_waitcnt vmcnt(32)
	global_store_dwordx4 v[24:25], v[4:7], off
	scratch_load_dwordx4 v[4:7], off, s50
	v_add_u32_e32 v22, s2, v22
	v_ashrrev_i32_e32 v23, 31, v22
	v_lshl_add_u64 v[24:25], v[22:23], 4, v[12:13]
	v_add_u32_e32 v26, s2, v22
	s_waitcnt vmcnt(33)
	global_store_dwordx4 v[24:25], v[74:77], off
	scratch_load_dwordx4 v[22:25], off, s49
	v_ashrrev_i32_e32 v27, 31, v26
	v_lshl_add_u64 v[28:29], v[26:27], 4, v[12:13]
	v_add_u32_e32 v30, s2, v26
	s_waitcnt vmcnt(34)
	global_store_dwordx4 v[28:29], v[78:81], off
	scratch_load_dwordx4 v[26:29], off, s48
	v_ashrrev_i32_e32 v31, 31, v30
	v_lshl_add_u64 v[32:33], v[30:31], 4, v[12:13]
	s_waitcnt vmcnt(35)
	global_store_dwordx4 v[32:33], v[82:85], off
	v_add_u32_e32 v34, s2, v30
	scratch_load_dwordx4 v[30:33], off, s47
	v_ashrrev_i32_e32 v35, 31, v34
	v_lshl_add_u64 v[36:37], v[34:35], 4, v[12:13]
	v_add_u32_e32 v38, s2, v34
	s_waitcnt vmcnt(36)
	global_store_dwordx4 v[36:37], v[86:89], off
	v_ashrrev_i32_e32 v39, 31, v38
	scratch_load_dwordx4 v[34:37], off, s46
	v_lshl_add_u64 v[40:41], v[38:39], 4, v[12:13]
	v_add_u32_e32 v42, s2, v38
	s_waitcnt vmcnt(37)
	global_store_dwordx4 v[40:41], v[90:93], off
	v_ashrrev_i32_e32 v43, 31, v42
	scratch_load_dwordx4 v[38:41], off, s45
	v_lshl_add_u64 v[44:45], v[42:43], 4, v[12:13]
	s_waitcnt vmcnt(38)
	global_store_dwordx4 v[44:45], v[94:97], off
	v_add_u32_e32 v46, s2, v42
	scratch_load_dwordx4 v[42:45], off, s44
	v_ashrrev_i32_e32 v47, 31, v46
	v_lshl_add_u64 v[48:49], v[46:47], 4, v[12:13]
	v_add_u32_e32 v50, s2, v46
	s_waitcnt vmcnt(39)
	global_store_dwordx4 v[48:49], v[98:101], off
	v_ashrrev_i32_e32 v51, 31, v50
	scratch_load_dwordx4 v[46:49], off, s43
	v_add_u32_e32 v54, s2, v50
	v_lshl_add_u64 v[52:53], v[50:51], 4, v[12:13]
	v_ashrrev_i32_e32 v55, 31, v54
	s_waitcnt vmcnt(40)
	global_store_dwordx4 v[52:53], v[102:105], off
	v_lshl_add_u64 v[56:57], v[54:55], 4, v[12:13]
	scratch_load_dwordx4 v[50:53], off, s42
	v_add_u32_e32 v58, s2, v54
	s_waitcnt vmcnt(41)
	global_store_dwordx4 v[56:57], v[106:109], off
	scratch_load_dwordx4 v[54:57], off, s41
	v_ashrrev_i32_e32 v59, 31, v58
	v_lshl_add_u64 v[60:61], v[58:59], 4, v[12:13]
	s_waitcnt vmcnt(42)
	global_store_dwordx4 v[60:61], v[110:113], off
	v_add_u32_e32 v62, s2, v58
	scratch_load_dwordx4 v[58:61], off, s40
	v_ashrrev_i32_e32 v63, 31, v62
	v_add_u32_e32 v66, s2, v62
	v_lshl_add_u64 v[64:65], v[62:63], 4, v[12:13]
	v_ashrrev_i32_e32 v67, 31, v66
	s_waitcnt vmcnt(43)
	global_store_dwordx4 v[64:65], v[114:117], off
	scratch_load_dwordx4 v[62:65], off, s39
	v_lshl_add_u64 v[68:69], v[66:67], 4, v[12:13]
	s_waitcnt vmcnt(41)
	global_store_dwordx4 v[68:69], v[0:3], off
	scratch_load_dwordx4 v[0:3], off, s38
	v_add_u32_e32 v66, s2, v66
	v_ashrrev_i32_e32 v67, 31, v66
	v_lshl_add_u64 v[68:69], v[66:67], 4, v[12:13]
	s_waitcnt vmcnt(31)
	global_store_dwordx4 v[68:69], v[8:11], off
	scratch_load_dwordx4 v[8:11], off, s37
	v_add_u32_e32 v70, s2, v66
	v_ashrrev_i32_e32 v71, 31, v70
	scratch_load_dwordx4 v[66:69], off, s36
	v_lshl_add_u64 v[72:73], v[70:71], 4, v[12:13]
	v_add_u32_e32 v70, s2, v70
	s_waitcnt vmcnt(31)
	global_store_dwordx4 v[72:73], v[14:17], off
	v_ashrrev_i32_e32 v71, 31, v70
	scratch_load_dwordx4 v[14:17], off, s35
	v_lshl_add_u64 v[72:73], v[70:71], 4, v[12:13]
	v_add_u32_e32 v70, s2, v70
	s_waitcnt vmcnt(31)
	global_store_dwordx4 v[72:73], v[18:21], off
	scratch_load_dwordx4 v[18:21], off, s34
	v_ashrrev_i32_e32 v71, 31, v70
	v_lshl_add_u64 v[72:73], v[70:71], 4, v[12:13]
	s_waitcnt vmcnt(31)
	global_store_dwordx4 v[72:73], v[4:7], off
	scratch_load_dwordx4 v[4:7], off, s33
	v_add_u32_e32 v74, s2, v70
	v_ashrrev_i32_e32 v75, 31, v74
	scratch_load_dwordx4 v[70:73], off, s31
	v_lshl_add_u64 v[76:77], v[74:75], 4, v[12:13]
	v_add_u32_e32 v74, s2, v74
	s_waitcnt vmcnt(32)
	global_store_dwordx4 v[76:77], v[22:25], off
	v_ashrrev_i32_e32 v75, 31, v74
	scratch_load_dwordx4 v[22:25], off, s30
	v_lshl_add_u64 v[76:77], v[74:75], 4, v[12:13]
	v_add_u32_e32 v74, s2, v74
	s_waitcnt vmcnt(32)
	global_store_dwordx4 v[76:77], v[26:29], off
	scratch_load_dwordx4 v[26:29], off, s29
	;; [unrolled: 19-line block ×3, first 2 shown]
	v_ashrrev_i32_e32 v79, 31, v78
	v_lshl_add_u64 v[80:81], v[78:79], 4, v[12:13]
	s_waitcnt vmcnt(33)
	global_store_dwordx4 v[80:81], v[42:45], off
	scratch_load_dwordx4 v[42:45], off, s24
	v_add_u32_e32 v82, s2, v78
	v_ashrrev_i32_e32 v83, 31, v82
	v_lshl_add_u64 v[84:85], v[82:83], 4, v[12:13]
	scratch_load_dwordx4 v[78:81], off, s23
	v_add_u32_e32 v82, s2, v82
	v_ashrrev_i32_e32 v83, 31, v82
	s_waitcnt vmcnt(34)
	global_store_dwordx4 v[84:85], v[46:49], off
	scratch_load_dwordx4 v[46:49], off, s22
	v_lshl_add_u64 v[84:85], v[82:83], 4, v[12:13]
	v_add_u32_e32 v82, s2, v82
	v_ashrrev_i32_e32 v83, 31, v82
	s_waitcnt vmcnt(34)
	global_store_dwordx4 v[84:85], v[50:53], off
	v_lshl_add_u64 v[84:85], v[82:83], 4, v[12:13]
	scratch_load_dwordx4 v[50:53], off, s21
	v_add_u32_e32 v82, s2, v82
	s_waitcnt vmcnt(34)
	global_store_dwordx4 v[84:85], v[54:57], off
	scratch_load_dwordx4 v[54:57], off, s20
	v_ashrrev_i32_e32 v83, 31, v82
	v_lshl_add_u64 v[84:85], v[82:83], 4, v[12:13]
	s_waitcnt vmcnt(34)
	global_store_dwordx4 v[84:85], v[58:61], off
	s_nop 1
	v_add_u32_e32 v58, s2, v82
	v_ashrrev_i32_e32 v59, 31, v58
	v_lshl_add_u64 v[60:61], v[58:59], 4, v[12:13]
	v_add_u32_e32 v58, s2, v58
	v_ashrrev_i32_e32 v59, 31, v58
	s_waitcnt vmcnt(33)
	global_store_dwordx4 v[60:61], v[62:65], off
	v_lshl_add_u64 v[60:61], v[58:59], 4, v[12:13]
	s_waitcnt vmcnt(32)
	global_store_dwordx4 v[60:61], v[0:3], off
	s_nop 1
	v_add_u32_e32 v0, s2, v58
	v_ashrrev_i32_e32 v1, 31, v0
	v_lshl_add_u64 v[2:3], v[0:1], 4, v[12:13]
	v_add_u32_e32 v0, s2, v0
	v_ashrrev_i32_e32 v1, 31, v0
	s_waitcnt vmcnt(31)
	global_store_dwordx4 v[2:3], v[8:11], off
	v_lshl_add_u64 v[2:3], v[0:1], 4, v[12:13]
	v_add_u32_e32 v0, s2, v0
	v_ashrrev_i32_e32 v1, 31, v0
	s_waitcnt vmcnt(31)
	global_store_dwordx4 v[2:3], v[66:69], off
	;; [unrolled: 5-line block ×15, first 2 shown]
	v_lshl_add_u64 v[2:3], v[0:1], 4, v[12:13]
	v_add_u32_e32 v0, s2, v0
	v_ashrrev_i32_e32 v1, 31, v0
	v_lshl_add_u64 v[0:1], v[0:1], 4, v[12:13]
	s_waitcnt vmcnt(20)
	global_store_dwordx4 v[2:3], v[50:53], off
	s_waitcnt vmcnt(19)
	global_store_dwordx4 v[0:1], v[54:57], off
.LBB124_1436:
	s_endpgm
	.section	.rodata,"a",@progbits
	.p2align	6, 0x0
	.amdhsa_kernel _ZN9rocsolver6v33100L18getf2_small_kernelILi63E19rocblas_complex_numIdEiiPS3_EEvT1_T3_lS5_lPS5_llPT2_S5_S5_S7_l
		.amdhsa_group_segment_fixed_size 0
		.amdhsa_private_segment_fixed_size 1024
		.amdhsa_kernarg_size 352
		.amdhsa_user_sgpr_count 2
		.amdhsa_user_sgpr_dispatch_ptr 0
		.amdhsa_user_sgpr_queue_ptr 0
		.amdhsa_user_sgpr_kernarg_segment_ptr 1
		.amdhsa_user_sgpr_dispatch_id 0
		.amdhsa_user_sgpr_kernarg_preload_length 0
		.amdhsa_user_sgpr_kernarg_preload_offset 0
		.amdhsa_user_sgpr_private_segment_size 0
		.amdhsa_uses_dynamic_stack 0
		.amdhsa_enable_private_segment 1
		.amdhsa_system_sgpr_workgroup_id_x 1
		.amdhsa_system_sgpr_workgroup_id_y 1
		.amdhsa_system_sgpr_workgroup_id_z 0
		.amdhsa_system_sgpr_workgroup_info 0
		.amdhsa_system_vgpr_workitem_id 1
		.amdhsa_next_free_vgpr 129
		.amdhsa_next_free_sgpr 100
		.amdhsa_accum_offset 132
		.amdhsa_reserve_vcc 1
		.amdhsa_float_round_mode_32 0
		.amdhsa_float_round_mode_16_64 0
		.amdhsa_float_denorm_mode_32 3
		.amdhsa_float_denorm_mode_16_64 3
		.amdhsa_dx10_clamp 1
		.amdhsa_ieee_mode 1
		.amdhsa_fp16_overflow 0
		.amdhsa_tg_split 0
		.amdhsa_exception_fp_ieee_invalid_op 0
		.amdhsa_exception_fp_denorm_src 0
		.amdhsa_exception_fp_ieee_div_zero 0
		.amdhsa_exception_fp_ieee_overflow 0
		.amdhsa_exception_fp_ieee_underflow 0
		.amdhsa_exception_fp_ieee_inexact 0
		.amdhsa_exception_int_div_zero 0
	.end_amdhsa_kernel
	.section	.text._ZN9rocsolver6v33100L18getf2_small_kernelILi63E19rocblas_complex_numIdEiiPS3_EEvT1_T3_lS5_lPS5_llPT2_S5_S5_S7_l,"axG",@progbits,_ZN9rocsolver6v33100L18getf2_small_kernelILi63E19rocblas_complex_numIdEiiPS3_EEvT1_T3_lS5_lPS5_llPT2_S5_S5_S7_l,comdat
.Lfunc_end124:
	.size	_ZN9rocsolver6v33100L18getf2_small_kernelILi63E19rocblas_complex_numIdEiiPS3_EEvT1_T3_lS5_lPS5_llPT2_S5_S5_S7_l, .Lfunc_end124-_ZN9rocsolver6v33100L18getf2_small_kernelILi63E19rocblas_complex_numIdEiiPS3_EEvT1_T3_lS5_lPS5_llPT2_S5_S5_S7_l
                                        ; -- End function
	.set _ZN9rocsolver6v33100L18getf2_small_kernelILi63E19rocblas_complex_numIdEiiPS3_EEvT1_T3_lS5_lPS5_llPT2_S5_S5_S7_l.num_vgpr, 129
	.set _ZN9rocsolver6v33100L18getf2_small_kernelILi63E19rocblas_complex_numIdEiiPS3_EEvT1_T3_lS5_lPS5_llPT2_S5_S5_S7_l.num_agpr, 0
	.set _ZN9rocsolver6v33100L18getf2_small_kernelILi63E19rocblas_complex_numIdEiiPS3_EEvT1_T3_lS5_lPS5_llPT2_S5_S5_S7_l.numbered_sgpr, 100
	.set _ZN9rocsolver6v33100L18getf2_small_kernelILi63E19rocblas_complex_numIdEiiPS3_EEvT1_T3_lS5_lPS5_llPT2_S5_S5_S7_l.num_named_barrier, 0
	.set _ZN9rocsolver6v33100L18getf2_small_kernelILi63E19rocblas_complex_numIdEiiPS3_EEvT1_T3_lS5_lPS5_llPT2_S5_S5_S7_l.private_seg_size, 1024
	.set _ZN9rocsolver6v33100L18getf2_small_kernelILi63E19rocblas_complex_numIdEiiPS3_EEvT1_T3_lS5_lPS5_llPT2_S5_S5_S7_l.uses_vcc, 1
	.set _ZN9rocsolver6v33100L18getf2_small_kernelILi63E19rocblas_complex_numIdEiiPS3_EEvT1_T3_lS5_lPS5_llPT2_S5_S5_S7_l.uses_flat_scratch, 0
	.set _ZN9rocsolver6v33100L18getf2_small_kernelILi63E19rocblas_complex_numIdEiiPS3_EEvT1_T3_lS5_lPS5_llPT2_S5_S5_S7_l.has_dyn_sized_stack, 0
	.set _ZN9rocsolver6v33100L18getf2_small_kernelILi63E19rocblas_complex_numIdEiiPS3_EEvT1_T3_lS5_lPS5_llPT2_S5_S5_S7_l.has_recursion, 0
	.set _ZN9rocsolver6v33100L18getf2_small_kernelILi63E19rocblas_complex_numIdEiiPS3_EEvT1_T3_lS5_lPS5_llPT2_S5_S5_S7_l.has_indirect_call, 0
	.section	.AMDGPU.csdata,"",@progbits
; Kernel info:
; codeLenInByte = 139544
; TotalNumSgprs: 106
; NumVgprs: 129
; NumAgprs: 0
; TotalNumVgprs: 129
; ScratchSize: 1024
; MemoryBound: 0
; FloatMode: 240
; IeeeMode: 1
; LDSByteSize: 0 bytes/workgroup (compile time only)
; SGPRBlocks: 13
; VGPRBlocks: 16
; NumSGPRsForWavesPerEU: 106
; NumVGPRsForWavesPerEU: 129
; AccumOffset: 132
; Occupancy: 3
; WaveLimiterHint : 1
; COMPUTE_PGM_RSRC2:SCRATCH_EN: 1
; COMPUTE_PGM_RSRC2:USER_SGPR: 2
; COMPUTE_PGM_RSRC2:TRAP_HANDLER: 0
; COMPUTE_PGM_RSRC2:TGID_X_EN: 1
; COMPUTE_PGM_RSRC2:TGID_Y_EN: 1
; COMPUTE_PGM_RSRC2:TGID_Z_EN: 0
; COMPUTE_PGM_RSRC2:TIDIG_COMP_CNT: 1
; COMPUTE_PGM_RSRC3_GFX90A:ACCUM_OFFSET: 32
; COMPUTE_PGM_RSRC3_GFX90A:TG_SPLIT: 0
	.section	.text._ZN9rocsolver6v33100L23getf2_npvt_small_kernelILi63E19rocblas_complex_numIdEiiPS3_EEvT1_T3_lS5_lPT2_S5_S5_,"axG",@progbits,_ZN9rocsolver6v33100L23getf2_npvt_small_kernelILi63E19rocblas_complex_numIdEiiPS3_EEvT1_T3_lS5_lPT2_S5_S5_,comdat
	.globl	_ZN9rocsolver6v33100L23getf2_npvt_small_kernelILi63E19rocblas_complex_numIdEiiPS3_EEvT1_T3_lS5_lPT2_S5_S5_ ; -- Begin function _ZN9rocsolver6v33100L23getf2_npvt_small_kernelILi63E19rocblas_complex_numIdEiiPS3_EEvT1_T3_lS5_lPT2_S5_S5_
	.p2align	8
	.type	_ZN9rocsolver6v33100L23getf2_npvt_small_kernelILi63E19rocblas_complex_numIdEiiPS3_EEvT1_T3_lS5_lPT2_S5_S5_,@function
_ZN9rocsolver6v33100L23getf2_npvt_small_kernelILi63E19rocblas_complex_numIdEiiPS3_EEvT1_T3_lS5_lPT2_S5_S5_: ; @_ZN9rocsolver6v33100L23getf2_npvt_small_kernelILi63E19rocblas_complex_numIdEiiPS3_EEvT1_T3_lS5_lPT2_S5_S5_
; %bb.0:
	s_load_dword s2, s[0:1], 0x44
	s_load_dwordx2 s[8:9], s[0:1], 0x30
	v_bfe_u32 v34, v0, 10, 10
	s_waitcnt lgkmcnt(0)
	s_lshr_b32 s10, s2, 16
	s_mul_i32 s3, s3, s10
	v_add_u32_e32 v6, s3, v34
	v_cmp_gt_i32_e32 vcc, s8, v6
	s_and_saveexec_b64 s[2:3], vcc
	s_cbranch_execz .LBB125_682
; %bb.1:
	s_load_dwordx4 s[12:15], s[0:1], 0x8
	s_load_dword s2, s[0:1], 0x18
	s_load_dwordx4 s[4:7], s[0:1], 0x20
	v_ashrrev_i32_e32 v7, 31, v6
	v_and_b32_e32 v254, 0x3ff, v0
	s_waitcnt lgkmcnt(0)
	v_mov_b32_e32 v2, s12
	v_mov_b32_e32 v3, s13
	v_mul_lo_u32 v4, s5, v6
	v_mul_lo_u32 v5, s4, v7
	v_mad_u64_u32 v[0:1], s[0:1], s4, v6, 0
	v_add3_u32 v1, v1, v5, v4
	v_lshl_add_u64 v[0:1], v[0:1], 4, v[2:3]
	v_lshl_add_u64 v[32:33], s[14:15], 4, v[0:1]
	v_lshlrev_b32_e32 v0, 4, v254
	v_mov_b32_e32 v1, 0
	s_add_i32 s0, s2, s2
	v_lshl_add_u64 v[8:9], v[32:33], 0, v[0:1]
	v_add_u32_e32 v0, s0, v254
	v_add_u32_e32 v16, s2, v0
	v_ashrrev_i32_e32 v17, 31, v16
	v_lshl_add_u64 v[4:5], v[16:17], 4, v[32:33]
	v_add_u32_e32 v16, s2, v16
	v_add_u32_e32 v24, s2, v16
	v_ashrrev_i32_e32 v25, 31, v24
	v_lshl_add_u64 v[20:21], v[24:25], 4, v[32:33]
	v_add_u32_e32 v24, s2, v24
	v_ashrrev_i32_e32 v25, 31, v24
	v_lshl_add_u64 v[26:27], v[24:25], 4, v[32:33]
	v_add_u32_e32 v24, s2, v24
	v_add_u32_e32 v36, s2, v24
	;; [unrolled: 1-line block ×3, first 2 shown]
	v_ashrrev_i32_e32 v1, 31, v0
	v_add_u32_e32 v44, s2, v38
	v_lshl_add_u64 v[2:3], v[0:1], 4, v[32:33]
	global_load_dwordx4 v[12:15], v[8:9], off
	v_add_u32_e32 v46, s2, v44
	s_ashr_i32 s3, s2, 31
	scratch_store_dwordx2 off, v[2:3], off offset:1016 ; 8-byte Folded Spill
	global_load_dwordx4 v[0:3], v[2:3], off
	v_ashrrev_i32_e32 v17, 31, v16
	v_add_u32_e32 v52, s2, v46
	scratch_store_dwordx2 off, v[6:7], off offset:1512 ; 8-byte Folded Spill
	scratch_store_dwordx2 off, v[4:5], off offset:1024 ; 8-byte Folded Spill
	global_load_dwordx4 v[4:7], v[4:5], off
	v_lshl_add_u64 v[10:11], s[2:3], 4, v[8:9]
	v_lshl_add_u64 v[18:19], v[16:17], 4, v[32:33]
	v_ashrrev_i32_e32 v53, 31, v52
	scratch_store_dwordx2 off, v[8:9], off offset:1008 ; 8-byte Folded Spill
	scratch_store_dwordx2 off, v[10:11], off offset:1048 ; 8-byte Folded Spill
	;; [unrolled: 1-line block ×3, first 2 shown]
	global_load_dwordx4 v[16:19], v[18:19], off
	v_lshl_add_u64 v[54:55], v[52:53], 4, v[32:33]
	global_load_dwordx4 v[8:11], v[10:11], off
	v_add_u32_e32 v52, s2, v52
	v_add_u32_e32 v60, s2, v52
	scratch_store_dwordx2 off, v[20:21], off offset:1040 ; 8-byte Folded Spill
	global_load_dwordx4 v[20:23], v[20:21], off
	v_ashrrev_i32_e32 v25, 31, v24
	v_add_u32_e32 v62, s2, v60
	v_lshl_add_u64 v[28:29], v[24:25], 4, v[32:33]
	v_ashrrev_i32_e32 v37, 31, v36
	scratch_store_dwordx2 off, v[26:27], off offset:1056 ; 8-byte Folded Spill
	global_load_dwordx4 v[24:27], v[26:27], off
	v_add_u32_e32 v68, s2, v62
	scratch_store_dwordx2 off, v[28:29], off offset:1064 ; 8-byte Folded Spill
	global_load_dwordx4 v[28:31], v[28:29], off
	v_lshl_add_u64 v[36:37], v[36:37], 4, v[32:33]
	v_ashrrev_i32_e32 v39, 31, v38
	v_ashrrev_i32_e32 v69, 31, v68
	v_lshl_add_u64 v[40:41], v[38:39], 4, v[32:33]
	v_ashrrev_i32_e32 v45, 31, v44
	scratch_store_dwordx2 off, v[36:37], off offset:1072 ; 8-byte Folded Spill
	global_load_dwordx4 v[36:39], v[36:37], off
	v_lshl_add_u64 v[70:71], v[68:69], 4, v[32:33]
	v_add_u32_e32 v68, s2, v68
	scratch_store_dwordx2 off, v[40:41], off offset:1080 ; 8-byte Folded Spill
	global_load_dwordx4 v[40:43], v[40:41], off
	v_lshl_add_u64 v[44:45], v[44:45], 4, v[32:33]
	v_ashrrev_i32_e32 v47, 31, v46
	v_add_u32_e32 v76, s2, v68
	v_lshl_add_u64 v[48:49], v[46:47], 4, v[32:33]
	scratch_store_dwordx2 off, v[44:45], off offset:1088 ; 8-byte Folded Spill
	global_load_dwordx4 v[44:47], v[44:45], off
	v_add_u32_e32 v84, s2, v76
	scratch_store_dwordx2 off, v[48:49], off offset:1096 ; 8-byte Folded Spill
	global_load_dwordx4 v[48:51], v[48:49], off
	v_ashrrev_i32_e32 v53, 31, v52
	v_ashrrev_i32_e32 v85, 31, v84
	v_lshl_add_u64 v[56:57], v[52:53], 4, v[32:33]
	v_ashrrev_i32_e32 v61, 31, v60
	scratch_store_dwordx2 off, v[54:55], off offset:1104 ; 8-byte Folded Spill
	global_load_dwordx4 v[52:55], v[54:55], off
	v_lshl_add_u64 v[80:81], v[84:85], 4, v[32:33]
	v_add_u32_e32 v84, s2, v84
	scratch_store_dwordx2 off, v[56:57], off offset:1112 ; 8-byte Folded Spill
	global_load_dwordx4 v[56:59], v[56:57], off
	v_lshl_add_u64 v[60:61], v[60:61], 4, v[32:33]
	v_ashrrev_i32_e32 v63, 31, v62
	v_add_u32_e32 v92, s2, v84
	v_lshl_add_u64 v[64:65], v[62:63], 4, v[32:33]
	scratch_store_dwordx2 off, v[60:61], off offset:1120 ; 8-byte Folded Spill
	global_load_dwordx4 v[60:63], v[60:61], off
	v_ashrrev_i32_e32 v93, 31, v92
	scratch_store_dwordx2 off, v[64:65], off offset:1128 ; 8-byte Folded Spill
	global_load_dwordx4 v[64:67], v[64:65], off
	v_ashrrev_i32_e32 v69, 31, v68
	v_lshl_add_u64 v[88:89], v[92:93], 4, v[32:33]
	v_add_u32_e32 v92, s2, v92
	v_lshl_add_u64 v[72:73], v[68:69], 4, v[32:33]
	scratch_store_dwordx2 off, v[70:71], off offset:1136 ; 8-byte Folded Spill
	global_load_dwordx4 v[68:71], v[70:71], off
	v_ashrrev_i32_e32 v77, 31, v76
	v_add_u32_e32 v100, s2, v92
	scratch_store_dwordx2 off, v[72:73], off offset:1144 ; 8-byte Folded Spill
	global_load_dwordx4 v[72:75], v[72:73], off
	v_lshl_add_u64 v[78:79], v[76:77], 4, v[32:33]
	v_ashrrev_i32_e32 v101, 31, v100
	scratch_store_dwordx2 off, v[78:79], off offset:1152 ; 8-byte Folded Spill
	global_load_dwordx4 v[76:79], v[78:79], off
	v_ashrrev_i32_e32 v85, 31, v84
	v_lshl_add_u64 v[96:97], v[100:101], 4, v[32:33]
	v_add_u32_e32 v100, s2, v100
	scratch_store_dwordx2 off, v[80:81], off offset:1160 ; 8-byte Folded Spill
	global_load_dwordx4 v[80:83], v[80:81], off
	v_lshl_add_u64 v[86:87], v[84:85], 4, v[32:33]
	v_add_u32_e32 v108, s2, v100
	scratch_store_dwordx2 off, v[86:87], off offset:1176 ; 8-byte Folded Spill
	global_load_dwordx4 v[84:87], v[86:87], off
	v_ashrrev_i32_e32 v93, 31, v92
	v_ashrrev_i32_e32 v109, 31, v108
	scratch_store_dwordx2 off, v[88:89], off offset:1168 ; 8-byte Folded Spill
	global_load_dwordx4 v[88:91], v[88:89], off
	v_lshl_add_u64 v[94:95], v[92:93], 4, v[32:33]
	v_lshl_add_u64 v[104:105], v[108:109], 4, v[32:33]
	v_add_u32_e32 v108, s2, v108
	scratch_store_dwordx2 off, v[94:95], off offset:1184 ; 8-byte Folded Spill
	global_load_dwordx4 v[92:95], v[94:95], off
	v_ashrrev_i32_e32 v101, 31, v100
	v_add_u32_e32 v116, s2, v108
	scratch_store_dwordx2 off, v[96:97], off offset:1192 ; 8-byte Folded Spill
	global_load_dwordx4 v[96:99], v[96:97], off
	v_lshl_add_u64 v[102:103], v[100:101], 4, v[32:33]
	v_ashrrev_i32_e32 v117, 31, v116
	scratch_store_dwordx2 off, v[102:103], off offset:1200 ; 8-byte Folded Spill
	global_load_dwordx4 v[100:103], v[102:103], off
	v_ashrrev_i32_e32 v109, 31, v108
	v_lshl_add_u64 v[112:113], v[116:117], 4, v[32:33]
	v_add_u32_e32 v116, s2, v116
	scratch_store_dwordx2 off, v[104:105], off offset:1208 ; 8-byte Folded Spill
	global_load_dwordx4 v[104:107], v[104:105], off
	v_lshl_add_u64 v[110:111], v[108:109], 4, v[32:33]
	v_add_u32_e32 v124, s2, v116
	scratch_store_dwordx2 off, v[110:111], off offset:1216 ; 8-byte Folded Spill
	global_load_dwordx4 v[108:111], v[110:111], off
	v_ashrrev_i32_e32 v117, 31, v116
	v_ashrrev_i32_e32 v125, 31, v124
	scratch_store_dwordx2 off, v[112:113], off offset:1224 ; 8-byte Folded Spill
	global_load_dwordx4 v[112:115], v[112:113], off
	v_lshl_add_u64 v[118:119], v[116:117], 4, v[32:33]
	v_lshl_add_u64 v[120:121], v[124:125], 4, v[32:33]
	v_add_u32_e32 v124, s2, v124
	scratch_store_dwordx2 off, v[118:119], off offset:1232 ; 8-byte Folded Spill
	global_load_dwordx4 v[116:119], v[118:119], off
	v_ashrrev_i32_e32 v125, 31, v124
	v_add_u32_e32 v132, s2, v124
	scratch_store_dwordx2 off, v[120:121], off offset:1240 ; 8-byte Folded Spill
	global_load_dwordx4 v[120:123], v[120:121], off
	v_lshl_add_u64 v[126:127], v[124:125], 4, v[32:33]
	v_ashrrev_i32_e32 v133, 31, v132
	v_lshl_add_u64 v[128:129], v[132:133], 4, v[32:33]
	scratch_store_dwordx2 off, v[126:127], off offset:1248 ; 8-byte Folded Spill
	global_load_dwordx4 v[124:127], v[126:127], off
	v_add_u32_e32 v136, s2, v132
	scratch_store_dwordx2 off, v[128:129], off offset:1256 ; 8-byte Folded Spill
	global_load_dwordx4 v[128:131], v[128:129], off
	v_ashrrev_i32_e32 v137, 31, v136
	v_lshl_add_u64 v[132:133], v[136:137], 4, v[32:33]
	scratch_store_dwordx2 off, v[132:133], off offset:1264 ; 8-byte Folded Spill
	global_load_dwordx4 v[132:135], v[132:133], off
	s_waitcnt vmcnt(62)
	scratch_store_dwordx4 off, v[12:15], off
	scratch_store_dwordx4 off, v[0:3], off offset:32
	s_waitcnt vmcnt(62)
	scratch_store_dwordx4 off, v[4:7], off offset:48
	s_waitcnt vmcnt(59)
	scratch_store_dwordx4 off, v[8:11], off offset:16
	scratch_store_dwordx4 off, v[16:19], off offset:64
	s_waitcnt vmcnt(59)
	scratch_store_dwordx4 off, v[20:23], off offset:80
	s_waitcnt vmcnt(58)
	;; [unrolled: 2-line block ×27, first 2 shown]
	scratch_store_dwordx4 off, v[128:131], off offset:496
	v_add_u32_e32 v4, s2, v136
	v_ashrrev_i32_e32 v5, 31, v4
	v_lshl_add_u64 v[0:1], v[4:5], 4, v[32:33]
	v_add_u32_e32 v4, s2, v4
	v_add_u32_e32 v12, s2, v4
	v_ashrrev_i32_e32 v13, 31, v12
	v_lshl_add_u64 v[8:9], v[12:13], 4, v[32:33]
	v_add_u32_e32 v12, s2, v12
	;; [unrolled: 4-line block ×5, first 2 shown]
	v_add_u32_e32 v48, s2, v40
	v_ashrrev_i32_e32 v49, 31, v48
	v_ashrrev_i32_e32 v5, 31, v4
	v_lshl_add_u64 v[44:45], v[48:49], 4, v[32:33]
	v_add_u32_e32 v48, s2, v48
	scratch_store_dwordx2 off, v[0:1], off offset:1272 ; 8-byte Folded Spill
	global_load_dwordx4 v[0:3], v[0:1], off
	v_lshl_add_u64 v[6:7], v[4:5], 4, v[32:33]
	v_add_u32_e32 v56, s2, v48
	scratch_store_dwordx2 off, v[6:7], off offset:1280 ; 8-byte Folded Spill
	global_load_dwordx4 v[4:7], v[6:7], off
	v_ashrrev_i32_e32 v13, 31, v12
	v_ashrrev_i32_e32 v57, 31, v56
	scratch_store_dwordx2 off, v[8:9], off offset:1288 ; 8-byte Folded Spill
	global_load_dwordx4 v[8:11], v[8:9], off
	v_lshl_add_u64 v[14:15], v[12:13], 4, v[32:33]
	v_lshl_add_u64 v[52:53], v[56:57], 4, v[32:33]
	v_add_u32_e32 v56, s2, v56
	scratch_store_dwordx2 off, v[14:15], off offset:1296 ; 8-byte Folded Spill
	global_load_dwordx4 v[12:15], v[14:15], off
	v_ashrrev_i32_e32 v21, 31, v20
	v_add_u32_e32 v64, s2, v56
	scratch_store_dwordx2 off, v[16:17], off offset:1304 ; 8-byte Folded Spill
	global_load_dwordx4 v[16:19], v[16:17], off
	v_lshl_add_u64 v[22:23], v[20:21], 4, v[32:33]
	v_ashrrev_i32_e32 v65, 31, v64
	scratch_store_dwordx2 off, v[22:23], off offset:1312 ; 8-byte Folded Spill
	global_load_dwordx4 v[20:23], v[22:23], off
	v_ashrrev_i32_e32 v29, 31, v28
	v_lshl_add_u64 v[60:61], v[64:65], 4, v[32:33]
	v_add_u32_e32 v64, s2, v64
	scratch_store_dwordx2 off, v[24:25], off offset:1320 ; 8-byte Folded Spill
	global_load_dwordx4 v[24:27], v[24:25], off
	v_lshl_add_u64 v[30:31], v[28:29], 4, v[32:33]
	v_add_u32_e32 v72, s2, v64
	scratch_store_dwordx2 off, v[30:31], off offset:1328 ; 8-byte Folded Spill
	global_load_dwordx4 v[28:31], v[30:31], off
	v_ashrrev_i32_e32 v41, 31, v40
	v_ashrrev_i32_e32 v73, 31, v72
	scratch_store_dwordx2 off, v[36:37], off offset:1336 ; 8-byte Folded Spill
	global_load_dwordx4 v[36:39], v[36:37], off
	v_lshl_add_u64 v[42:43], v[40:41], 4, v[32:33]
	v_lshl_add_u64 v[68:69], v[72:73], 4, v[32:33]
	v_add_u32_e32 v72, s2, v72
	scratch_store_dwordx2 off, v[42:43], off offset:1344 ; 8-byte Folded Spill
	global_load_dwordx4 v[40:43], v[42:43], off
	v_ashrrev_i32_e32 v49, 31, v48
	v_add_u32_e32 v80, s2, v72
	scratch_store_dwordx2 off, v[44:45], off offset:1352 ; 8-byte Folded Spill
	global_load_dwordx4 v[44:47], v[44:45], off
	v_lshl_add_u64 v[50:51], v[48:49], 4, v[32:33]
	v_ashrrev_i32_e32 v81, 31, v80
	scratch_store_dwordx2 off, v[50:51], off offset:1360 ; 8-byte Folded Spill
	global_load_dwordx4 v[48:51], v[50:51], off
	;; [unrolled: 26-line block ×4, first 2 shown]
	v_ashrrev_i32_e32 v105, 31, v104
	v_lshl_add_u64 v[108:109], v[112:113], 4, v[32:33]
	v_add_u32_e32 v112, s2, v112
	scratch_store_dwordx2 off, v[100:101], off offset:1464 ; 8-byte Folded Spill
	global_load_dwordx4 v[100:103], v[100:101], off
	v_lshl_add_u64 v[106:107], v[104:105], 4, v[32:33]
	v_add_u32_e32 v120, s2, v112
	scratch_store_dwordx2 off, v[106:107], off offset:1472 ; 8-byte Folded Spill
	global_load_dwordx4 v[104:107], v[106:107], off
	v_ashrrev_i32_e32 v113, 31, v112
	v_ashrrev_i32_e32 v121, 31, v120
	scratch_store_dwordx2 off, v[108:109], off offset:1480 ; 8-byte Folded Spill
	global_load_dwordx4 v[108:111], v[108:109], off
	v_lshl_add_u64 v[114:115], v[112:113], 4, v[32:33]
	v_lshl_add_u64 v[116:117], v[120:121], 4, v[32:33]
	v_add_u32_e32 v120, s2, v120
	scratch_store_dwordx2 off, v[114:115], off offset:1488 ; 8-byte Folded Spill
	global_load_dwordx4 v[112:115], v[114:115], off
	v_ashrrev_i32_e32 v121, 31, v120
	scratch_store_dwordx2 off, v[116:117], off offset:1496 ; 8-byte Folded Spill
	global_load_dwordx4 v[116:119], v[116:117], off
	v_lshl_add_u64 v[32:33], v[120:121], 4, v[32:33]
	global_load_dwordx4 v[120:123], v[32:33], off
	s_mulk_i32 s10, 0x3f0
	s_waitcnt vmcnt(62)
	scratch_store_dwordx4 off, v[132:135], off offset:512
	scratch_store_dwordx2 off, v[32:33], off offset:1504 ; 8-byte Folded Spill
	s_waitcnt vmcnt(59)
	scratch_store_dwordx4 off, v[0:3], off offset:528
	s_waitcnt vmcnt(58)
	scratch_store_dwordx4 off, v[4:7], off offset:544
	;; [unrolled: 2-line block ×30, first 2 shown]
	s_add_i32 s0, s10, 0
	v_mul_u32_u24_e32 v20, 0x3f0, v34
	s_movk_i32 s8, 0x50
	s_movk_i32 s12, 0x60
	;; [unrolled: 1-line block ×58, first 2 shown]
	s_mov_b32 s4, 0
	v_lshl_add_u32 v252, v34, 4, s0
	v_cmp_ne_u32_e64 s[2:3], 0, v254
	v_add3_u32 v8, v20, 0, 16
	v_cmp_eq_u32_e64 s[40:41], 0, v254
	s_mov_b64 s[10:11], exec
                                        ; implicit-def: $vgpr253 : SGPR spill to VGPR lane
	s_nop 0
	v_writelane_b32 v253, s40, 0
	s_nop 1
	v_writelane_b32 v253, s41, 1
	s_and_b64 s[40:41], s[10:11], s[40:41]
	s_mov_b64 exec, s[40:41]
	s_cbranch_execz .LBB125_10
; %bb.2:
	scratch_load_dwordx2 v[0:1], off, off offset:1008 ; 8-byte Folded Reload
	s_waitcnt vmcnt(0)
	global_load_dwordx4 v[0:3], v[0:1], off
	s_waitcnt vmcnt(0)
	ds_write2_b64 v252, v[0:1], v[2:3] offset1:1
.LBB125_3:                              ; =>This Inner Loop Header: Depth=1
	s_add_i32 s40, s4, 16
	s_add_i32 s5, s4, 32
	scratch_load_dwordx4 v[0:3], off, s40
	scratch_load_dwordx4 v[4:7], off, s5
	v_add_u32_e32 v9, s4, v8
	s_add_i32 s4, s4, 32
	s_cmpk_eq_i32 s4, 0x3e0
	s_waitcnt vmcnt(1)
	ds_write2_b64 v9, v[0:1], v[2:3] offset1:1
	s_waitcnt vmcnt(0)
	ds_write2_b64 v9, v[4:5], v[6:7] offset0:2 offset1:3
	s_cbranch_scc0 .LBB125_3
; %bb.4:
	ds_read2_b64 v[0:3], v252 offset1:1
	s_waitcnt lgkmcnt(0)
	v_cmp_neq_f64_e32 vcc, 0, v[0:1]
	v_cmp_neq_f64_e64 s[4:5], 0, v[2:3]
	s_or_b64 s[4:5], vcc, s[4:5]
	s_and_b64 exec, exec, s[4:5]
	s_cbranch_execz .LBB125_10
; %bb.5:
	v_cmp_ngt_f64_e64 s[4:5], |v[0:1]|, |v[2:3]|
                                        ; implicit-def: $vgpr4_vgpr5
	s_and_saveexec_b64 s[40:41], s[4:5]
	s_xor_b64 s[4:5], exec, s[40:41]
                                        ; implicit-def: $vgpr6_vgpr7
	s_cbranch_execz .LBB125_7
; %bb.6:
	v_div_scale_f64 v[4:5], s[40:41], v[2:3], v[2:3], v[0:1]
	v_rcp_f64_e32 v[6:7], v[4:5]
	v_div_scale_f64 v[10:11], vcc, v[0:1], v[2:3], v[0:1]
	v_fma_f64 v[12:13], -v[4:5], v[6:7], 1.0
	v_fmac_f64_e32 v[6:7], v[6:7], v[12:13]
	v_fma_f64 v[12:13], -v[4:5], v[6:7], 1.0
	v_fmac_f64_e32 v[6:7], v[6:7], v[12:13]
	v_mul_f64 v[12:13], v[10:11], v[6:7]
	v_fma_f64 v[4:5], -v[4:5], v[12:13], v[10:11]
	v_div_fmas_f64 v[4:5], v[4:5], v[6:7], v[12:13]
	v_div_fixup_f64 v[4:5], v[4:5], v[2:3], v[0:1]
	v_fmac_f64_e32 v[2:3], v[0:1], v[4:5]
	v_div_scale_f64 v[0:1], s[40:41], v[2:3], v[2:3], 1.0
	v_rcp_f64_e32 v[6:7], v[0:1]
	s_nop 0
	v_fma_f64 v[10:11], -v[0:1], v[6:7], 1.0
	v_fmac_f64_e32 v[6:7], v[6:7], v[10:11]
	v_fma_f64 v[10:11], -v[0:1], v[6:7], 1.0
	v_fmac_f64_e32 v[6:7], v[6:7], v[10:11]
	v_div_scale_f64 v[10:11], vcc, 1.0, v[2:3], 1.0
	v_mul_f64 v[12:13], v[10:11], v[6:7]
	v_fma_f64 v[0:1], -v[0:1], v[12:13], v[10:11]
	s_nop 1
	v_div_fmas_f64 v[0:1], v[0:1], v[6:7], v[12:13]
	v_div_fixup_f64 v[6:7], v[0:1], v[2:3], 1.0
	v_mul_f64 v[4:5], v[4:5], v[6:7]
	v_xor_b32_e32 v7, 0x80000000, v7
                                        ; implicit-def: $vgpr0_vgpr1
.LBB125_7:
	s_andn2_saveexec_b64 s[4:5], s[4:5]
	s_cbranch_execz .LBB125_9
; %bb.8:
	v_div_scale_f64 v[4:5], s[40:41], v[0:1], v[0:1], v[2:3]
	v_rcp_f64_e32 v[6:7], v[4:5]
	v_div_scale_f64 v[10:11], vcc, v[2:3], v[0:1], v[2:3]
	v_fma_f64 v[12:13], -v[4:5], v[6:7], 1.0
	v_fmac_f64_e32 v[6:7], v[6:7], v[12:13]
	v_fma_f64 v[12:13], -v[4:5], v[6:7], 1.0
	v_fmac_f64_e32 v[6:7], v[6:7], v[12:13]
	v_mul_f64 v[12:13], v[10:11], v[6:7]
	v_fma_f64 v[4:5], -v[4:5], v[12:13], v[10:11]
	v_div_fmas_f64 v[4:5], v[4:5], v[6:7], v[12:13]
	v_div_fixup_f64 v[6:7], v[4:5], v[0:1], v[2:3]
	v_fmac_f64_e32 v[0:1], v[2:3], v[6:7]
	v_div_scale_f64 v[2:3], s[40:41], v[0:1], v[0:1], 1.0
	v_rcp_f64_e32 v[4:5], v[2:3]
	s_nop 0
	v_fma_f64 v[10:11], -v[2:3], v[4:5], 1.0
	v_fmac_f64_e32 v[4:5], v[4:5], v[10:11]
	v_fma_f64 v[10:11], -v[2:3], v[4:5], 1.0
	v_fmac_f64_e32 v[4:5], v[4:5], v[10:11]
	v_div_scale_f64 v[10:11], vcc, 1.0, v[0:1], 1.0
	v_mul_f64 v[12:13], v[10:11], v[4:5]
	v_fma_f64 v[2:3], -v[2:3], v[12:13], v[10:11]
	s_nop 1
	v_div_fmas_f64 v[2:3], v[2:3], v[4:5], v[12:13]
	v_div_fixup_f64 v[4:5], v[2:3], v[0:1], 1.0
	v_mul_f64 v[6:7], v[6:7], -v[4:5]
.LBB125_9:
	s_or_b64 exec, exec, s[4:5]
	ds_write2_b64 v252, v[4:5], v[6:7] offset1:1
.LBB125_10:
	s_or_b64 exec, exec, s[10:11]
	s_waitcnt lgkmcnt(0)
	s_barrier
	ds_read2_b64 v[34:37], v252 offset1:1
	s_mov_b32 s0, 16
	s_mov_b32 s71, 32
	;; [unrolled: 1-line block ×23, first 2 shown]
	s_mov_b32 vcc_hi, s30
	s_mov_b32 vcc_lo, s31
	s_mov_b32 s50, s33
	s_mov_b32 s45, s34
	;; [unrolled: 1-line block ×37, first 2 shown]
	s_and_saveexec_b64 s[4:5], s[2:3]
	s_cbranch_execz .LBB125_13
; %bb.11:
	scratch_load_dwordx4 v[0:3], off, off
	s_mov_b32 s2, 0
	s_waitcnt vmcnt(0) lgkmcnt(0)
	v_mul_f64 v[4:5], v[36:37], v[2:3]
	v_mul_f64 v[6:7], v[34:35], v[2:3]
	v_fma_f64 v[4:5], v[34:35], v[0:1], -v[4:5]
	v_fmac_f64_e32 v[6:7], v[36:37], v[0:1]
	scratch_store_dwordx4 off, v[4:7], off
.LBB125_12:                             ; =>This Inner Loop Header: Depth=1
	s_add_i32 s46, s2, 16
	s_add_i32 s3, s2, 32
	scratch_load_dwordx4 v[0:3], off, s46
	scratch_load_dwordx4 v[10:13], off, s3
	v_add_u32_e32 v9, s2, v8
	ds_read2_b64 v[14:17], v9 offset1:1
	ds_read2_b64 v[22:25], v9 offset0:2 offset1:3
	s_add_i32 s2, s2, 32
	s_cmpk_lg_i32 s2, 0x3e0
	s_waitcnt lgkmcnt(1)
	v_mul_f64 v[18:19], v[16:17], v[6:7]
	v_mul_f64 v[26:27], v[14:15], v[6:7]
	s_waitcnt lgkmcnt(0)
	v_mul_f64 v[28:29], v[24:25], v[6:7]
	v_mul_f64 v[30:31], v[22:23], v[6:7]
	v_fma_f64 v[14:15], v[14:15], v[4:5], -v[18:19]
	v_fmac_f64_e32 v[26:27], v[16:17], v[4:5]
	v_fma_f64 v[16:17], v[22:23], v[4:5], -v[28:29]
	v_fmac_f64_e32 v[30:31], v[24:25], v[4:5]
	s_waitcnt vmcnt(1)
	v_add_f64 v[0:1], v[0:1], -v[14:15]
	v_add_f64 v[2:3], v[2:3], -v[26:27]
	s_waitcnt vmcnt(0)
	v_add_f64 v[10:11], v[10:11], -v[16:17]
	v_add_f64 v[12:13], v[12:13], -v[30:31]
	scratch_store_dwordx4 off, v[0:3], s46
	scratch_store_dwordx4 off, v[10:13], s3
	s_cbranch_scc1 .LBB125_12
.LBB125_13:
	s_or_b64 exec, exec, s[4:5]
	s_mov_b32 s85, vcc_lo
	s_mov_b32 s86, vcc_hi
	s_mov_b32 s88, s0
	v_cmp_eq_u32_e32 vcc, 1, v254
	v_add3_u32 v12, v20, 0, 32
	s_waitcnt lgkmcnt(0)
	s_barrier
	s_and_saveexec_b64 s[4:5], vcc
	s_cbranch_execz .LBB125_24
; %bb.14:
	scratch_load_dwordx4 v[0:3], off, s88
	s_mov_b32 s46, 0
	s_waitcnt vmcnt(0)
	ds_write2_b64 v252, v[0:1], v[2:3] offset1:1
	s_branch .LBB125_16
.LBB125_15:                             ;   in Loop: Header=BB125_16 Depth=1
	s_andn2_b64 vcc, exec, s[2:3]
	s_cbranch_vccz .LBB125_18
.LBB125_16:                             ; =>This Inner Loop Header: Depth=1
	s_add_i32 s2, s46, 32
	s_add_i32 s3, s46, 48
	scratch_load_dwordx4 v[2:5], off, s2
	scratch_load_dwordx4 v[6:9], off, s3
	s_add_i32 s2, s46, 64
	s_add_i32 s3, s46, 0x50
	scratch_load_dwordx4 v[14:17], off, s2
	scratch_load_dwordx4 v[22:25], off, s3
	s_add_i32 s2, s46, 0x60
	scratch_load_dwordx4 v[26:29], off, s2
	s_mov_b32 s47, s46
	v_add_u32_e32 v0, s46, v12
	s_cmpk_eq_i32 s46, 0x380
	s_mov_b64 s[2:3], -1
	s_waitcnt vmcnt(4)
	ds_write2_b64 v0, v[2:3], v[4:5] offset1:1
	s_waitcnt vmcnt(3)
	ds_write2_b64 v0, v[6:7], v[8:9] offset0:2 offset1:3
	s_waitcnt vmcnt(2)
	ds_write2_b64 v0, v[14:15], v[16:17] offset0:4 offset1:5
	;; [unrolled: 2-line block ×4, first 2 shown]
	s_cbranch_scc1 .LBB125_15
; %bb.17:                               ;   in Loop: Header=BB125_16 Depth=1
	s_add_i32 s2, s47, 0x70
	s_add_i32 s3, s47, 0x80
	scratch_load_dwordx4 v[2:5], off, s2
	scratch_load_dwordx4 v[6:9], off, s3
	s_addk_i32 s47, 0x90
	scratch_load_dwordx4 v[14:17], off, s47
	s_addk_i32 s46, 0x80
	s_mov_b64 s[2:3], 0
	s_waitcnt vmcnt(2)
	ds_write2_b64 v0, v[2:3], v[4:5] offset0:10 offset1:11
	s_waitcnt vmcnt(1)
	ds_write2_b64 v0, v[6:7], v[8:9] offset0:12 offset1:13
	;; [unrolled: 2-line block ×3, first 2 shown]
	s_branch .LBB125_15
.LBB125_18:
	ds_read2_b64 v[4:7], v252 offset1:1
	s_waitcnt lgkmcnt(0)
	v_cmp_neq_f64_e32 vcc, 0, v[4:5]
	v_cmp_neq_f64_e64 s[2:3], 0, v[6:7]
	s_or_b64 s[2:3], vcc, s[2:3]
	s_and_b64 exec, exec, s[2:3]
	s_cbranch_execz .LBB125_24
; %bb.19:
	v_cmp_ngt_f64_e64 s[2:3], |v[4:5]|, |v[6:7]|
                                        ; implicit-def: $vgpr0_vgpr1
	s_and_saveexec_b64 s[46:47], s[2:3]
	s_xor_b64 s[2:3], exec, s[46:47]
                                        ; implicit-def: $vgpr2_vgpr3
	s_cbranch_execz .LBB125_21
; %bb.20:
	v_div_scale_f64 v[0:1], s[46:47], v[6:7], v[6:7], v[4:5]
	v_rcp_f64_e32 v[2:3], v[0:1]
	v_div_scale_f64 v[8:9], vcc, v[4:5], v[6:7], v[4:5]
	v_fma_f64 v[10:11], -v[0:1], v[2:3], 1.0
	v_fmac_f64_e32 v[2:3], v[2:3], v[10:11]
	v_fma_f64 v[10:11], -v[0:1], v[2:3], 1.0
	v_fmac_f64_e32 v[2:3], v[2:3], v[10:11]
	v_mul_f64 v[10:11], v[8:9], v[2:3]
	v_fma_f64 v[0:1], -v[0:1], v[10:11], v[8:9]
	v_div_fmas_f64 v[0:1], v[0:1], v[2:3], v[10:11]
	v_div_fixup_f64 v[0:1], v[0:1], v[6:7], v[4:5]
	v_fmac_f64_e32 v[6:7], v[4:5], v[0:1]
	v_div_scale_f64 v[2:3], s[46:47], v[6:7], v[6:7], 1.0
	v_rcp_f64_e32 v[4:5], v[2:3]
	s_nop 0
	v_fma_f64 v[8:9], -v[2:3], v[4:5], 1.0
	v_fmac_f64_e32 v[4:5], v[4:5], v[8:9]
	v_fma_f64 v[8:9], -v[2:3], v[4:5], 1.0
	v_fmac_f64_e32 v[4:5], v[4:5], v[8:9]
	v_div_scale_f64 v[8:9], vcc, 1.0, v[6:7], 1.0
	v_mul_f64 v[10:11], v[8:9], v[4:5]
	v_fma_f64 v[2:3], -v[2:3], v[10:11], v[8:9]
	s_nop 1
	v_div_fmas_f64 v[2:3], v[2:3], v[4:5], v[10:11]
	v_div_fixup_f64 v[2:3], v[2:3], v[6:7], 1.0
	v_mul_f64 v[0:1], v[0:1], v[2:3]
	v_xor_b32_e32 v3, 0x80000000, v3
                                        ; implicit-def: $vgpr4_vgpr5
.LBB125_21:
	s_andn2_saveexec_b64 s[2:3], s[2:3]
	s_cbranch_execz .LBB125_23
; %bb.22:
	v_div_scale_f64 v[0:1], s[46:47], v[4:5], v[4:5], v[6:7]
	v_rcp_f64_e32 v[2:3], v[0:1]
	v_div_scale_f64 v[8:9], vcc, v[6:7], v[4:5], v[6:7]
	v_fma_f64 v[10:11], -v[0:1], v[2:3], 1.0
	v_fmac_f64_e32 v[2:3], v[2:3], v[10:11]
	v_fma_f64 v[10:11], -v[0:1], v[2:3], 1.0
	v_fmac_f64_e32 v[2:3], v[2:3], v[10:11]
	v_mul_f64 v[10:11], v[8:9], v[2:3]
	v_fma_f64 v[0:1], -v[0:1], v[10:11], v[8:9]
	v_div_fmas_f64 v[0:1], v[0:1], v[2:3], v[10:11]
	v_div_fixup_f64 v[2:3], v[0:1], v[4:5], v[6:7]
	v_fmac_f64_e32 v[4:5], v[6:7], v[2:3]
	v_div_scale_f64 v[0:1], s[46:47], v[4:5], v[4:5], 1.0
	v_rcp_f64_e32 v[6:7], v[0:1]
	s_nop 0
	v_fma_f64 v[8:9], -v[0:1], v[6:7], 1.0
	v_fmac_f64_e32 v[6:7], v[6:7], v[8:9]
	v_fma_f64 v[8:9], -v[0:1], v[6:7], 1.0
	v_fmac_f64_e32 v[6:7], v[6:7], v[8:9]
	v_div_scale_f64 v[8:9], vcc, 1.0, v[4:5], 1.0
	v_mul_f64 v[10:11], v[8:9], v[6:7]
	v_fma_f64 v[0:1], -v[0:1], v[10:11], v[8:9]
	s_nop 1
	v_div_fmas_f64 v[0:1], v[0:1], v[6:7], v[10:11]
	v_div_fixup_f64 v[0:1], v[0:1], v[4:5], 1.0
	v_mul_f64 v[2:3], v[2:3], -v[0:1]
.LBB125_23:
	s_or_b64 exec, exec, s[2:3]
	ds_write2_b64 v252, v[0:1], v[2:3] offset1:1
.LBB125_24:
	s_or_b64 exec, exec, s[4:5]
	s_waitcnt lgkmcnt(0)
	s_barrier
	ds_read2_b64 v[38:41], v252 offset1:1
	v_cmp_lt_u32_e32 vcc, 1, v254
	s_and_saveexec_b64 s[2:3], vcc
	s_cbranch_execz .LBB125_29
; %bb.25:
	scratch_load_dwordx4 v[0:3], off, off offset:16
	s_mov_b32 s72, 0
	s_waitcnt vmcnt(0) lgkmcnt(0)
	v_mul_f64 v[4:5], v[40:41], v[2:3]
	v_mul_f64 v[10:11], v[38:39], v[2:3]
	v_fma_f64 v[8:9], v[38:39], v[0:1], -v[4:5]
	v_fmac_f64_e32 v[10:11], v[40:41], v[0:1]
	scratch_store_dwordx4 off, v[8:11], off offset:16
	s_branch .LBB125_27
.LBB125_26:                             ;   in Loop: Header=BB125_27 Depth=1
	s_andn2_b64 vcc, exec, s[4:5]
	s_cbranch_vccz .LBB125_29
.LBB125_27:                             ; =>This Inner Loop Header: Depth=1
	v_add_u32_e32 v0, s72, v12
	ds_read2_b64 v[14:17], v0 offset1:1
	s_add_i32 s4, s72, 32
	s_mov_b32 s73, s72
	s_waitcnt lgkmcnt(0)
	v_mul_f64 v[2:3], v[16:17], v[10:11]
	v_mul_f64 v[4:5], v[14:15], v[10:11]
	v_fma_f64 v[2:3], v[14:15], v[8:9], -v[2:3]
	v_fmac_f64_e32 v[4:5], v[16:17], v[8:9]
	scratch_load_dwordx4 v[14:17], off, s4
	s_waitcnt vmcnt(0)
	v_add_f64 v[14:15], v[14:15], -v[2:3]
	v_add_f64 v[16:17], v[16:17], -v[4:5]
	scratch_store_dwordx4 off, v[14:17], s4
	ds_read2_b64 v[14:17], v0 offset0:2 offset1:3
	s_add_i32 s4, s72, 48
	s_waitcnt lgkmcnt(0)
	v_mul_f64 v[2:3], v[16:17], v[10:11]
	v_mul_f64 v[4:5], v[14:15], v[10:11]
	v_fma_f64 v[2:3], v[14:15], v[8:9], -v[2:3]
	v_fmac_f64_e32 v[4:5], v[16:17], v[8:9]
	scratch_load_dwordx4 v[14:17], off, s4
	s_waitcnt vmcnt(0)
	v_add_f64 v[14:15], v[14:15], -v[2:3]
	v_add_f64 v[16:17], v[16:17], -v[4:5]
	scratch_store_dwordx4 off, v[14:17], s4
	ds_read2_b64 v[14:17], v0 offset0:4 offset1:5
	s_add_i32 s4, s72, 64
	;; [unrolled: 12-line block ×4, first 2 shown]
	s_cmpk_eq_i32 s72, 0x380
	s_waitcnt lgkmcnt(0)
	v_mul_f64 v[2:3], v[16:17], v[10:11]
	v_mul_f64 v[4:5], v[14:15], v[10:11]
	v_fma_f64 v[2:3], v[14:15], v[8:9], -v[2:3]
	v_fmac_f64_e32 v[4:5], v[16:17], v[8:9]
	scratch_load_dwordx4 v[14:17], off, s4
	s_waitcnt vmcnt(0)
	v_add_f64 v[14:15], v[14:15], -v[2:3]
	v_add_f64 v[16:17], v[16:17], -v[4:5]
	scratch_store_dwordx4 off, v[14:17], s4
	s_mov_b64 s[4:5], -1
	s_cbranch_scc1 .LBB125_26
; %bb.28:                               ;   in Loop: Header=BB125_27 Depth=1
	ds_read2_b64 v[14:17], v0 offset0:10 offset1:11
	s_add_i32 s4, s73, 0x70
	s_addk_i32 s72, 0x80
	s_waitcnt lgkmcnt(0)
	v_mul_f64 v[2:3], v[16:17], v[10:11]
	v_mul_f64 v[4:5], v[14:15], v[10:11]
	v_fma_f64 v[2:3], v[14:15], v[8:9], -v[2:3]
	v_fmac_f64_e32 v[4:5], v[16:17], v[8:9]
	scratch_load_dwordx4 v[14:17], off, s4
	s_waitcnt vmcnt(0)
	v_add_f64 v[14:15], v[14:15], -v[2:3]
	v_add_f64 v[16:17], v[16:17], -v[4:5]
	scratch_store_dwordx4 off, v[14:17], s4
	ds_read2_b64 v[14:17], v0 offset0:12 offset1:13
	s_add_i32 s4, s73, 0x80
	s_addk_i32 s73, 0x90
	s_waitcnt lgkmcnt(0)
	v_mul_f64 v[2:3], v[16:17], v[10:11]
	v_mul_f64 v[4:5], v[14:15], v[10:11]
	v_fma_f64 v[2:3], v[14:15], v[8:9], -v[2:3]
	v_fmac_f64_e32 v[4:5], v[16:17], v[8:9]
	scratch_load_dwordx4 v[14:17], off, s4
	s_waitcnt vmcnt(0)
	v_add_f64 v[14:15], v[14:15], -v[2:3]
	ds_read2_b64 v[0:3], v0 offset0:14 offset1:15
	v_add_f64 v[16:17], v[16:17], -v[4:5]
	scratch_store_dwordx4 off, v[14:17], s4
	s_mov_b64 s[4:5], 0
	s_waitcnt lgkmcnt(0)
	v_mul_f64 v[4:5], v[2:3], v[10:11]
	v_mul_f64 v[6:7], v[0:1], v[10:11]
	v_fma_f64 v[4:5], v[0:1], v[8:9], -v[4:5]
	v_fmac_f64_e32 v[6:7], v[2:3], v[8:9]
	scratch_load_dwordx4 v[0:3], off, s73
	s_waitcnt vmcnt(0)
	v_add_f64 v[0:1], v[0:1], -v[4:5]
	v_add_f64 v[2:3], v[2:3], -v[6:7]
	scratch_store_dwordx4 off, v[0:3], s73
	s_branch .LBB125_26
.LBB125_29:
	s_or_b64 exec, exec, s[2:3]
	v_cmp_eq_u32_e32 vcc, 2, v254
	v_add3_u32 v16, v20, 0, 48
	s_waitcnt lgkmcnt(0)
	s_barrier
	s_and_saveexec_b64 s[4:5], vcc
	s_cbranch_execz .LBB125_38
; %bb.30:
	scratch_load_dwordx4 v[0:3], off, s71
	s_movk_i32 s2, 0xfc40
	s_waitcnt vmcnt(0)
	ds_write2_b64 v252, v[0:1], v[2:3] offset1:1
.LBB125_31:                             ; =>This Inner Loop Header: Depth=1
	s_add_i32 s46, s2, 0x3f0
	scratch_load_dwordx4 v[0:3], off, s46
	v_add_u32_e32 v4, s2, v16
	s_add_i32 s46, s2, 0x400
	s_add_i32 s3, s2, 0x4d0
	s_waitcnt vmcnt(0)
	ds_write2_b64 v4, v[0:1], v[2:3] offset0:120 offset1:121
	scratch_load_dwordx4 v[0:3], off, s46
	s_add_i32 s46, s2, 0x410
	s_waitcnt vmcnt(0)
	ds_write2_b64 v4, v[0:1], v[2:3] offset0:122 offset1:123
	scratch_load_dwordx4 v[0:3], off, s46
	;; [unrolled: 4-line block ×12, first 2 shown]
	s_add_i32 s46, s2, 0x4c0
	s_addk_i32 s2, 0xf0
	s_cmp_lg_u32 s2, 0
	s_waitcnt vmcnt(0)
	ds_write2_b64 v4, v[0:1], v[2:3] offset0:144 offset1:145
	scratch_load_dwordx4 v[0:3], off, s46
	s_waitcnt vmcnt(0)
	ds_write2_b64 v4, v[0:1], v[2:3] offset0:146 offset1:147
	scratch_load_dwordx4 v[0:3], off, s3
	s_waitcnt vmcnt(0)
	ds_write2_b64 v4, v[0:1], v[2:3] offset0:148 offset1:149
	s_cbranch_scc1 .LBB125_31
; %bb.32:
	ds_read2_b64 v[8:11], v252 offset1:1
	s_waitcnt lgkmcnt(0)
	v_cmp_neq_f64_e32 vcc, 0, v[8:9]
	v_cmp_neq_f64_e64 s[2:3], 0, v[10:11]
	s_or_b64 s[2:3], vcc, s[2:3]
	s_and_b64 exec, exec, s[2:3]
	s_cbranch_execz .LBB125_38
; %bb.33:
	v_cmp_ngt_f64_e64 s[2:3], |v[8:9]|, |v[10:11]|
                                        ; implicit-def: $vgpr0_vgpr1
	s_and_saveexec_b64 s[46:47], s[2:3]
	s_xor_b64 s[2:3], exec, s[46:47]
                                        ; implicit-def: $vgpr2_vgpr3
	s_cbranch_execz .LBB125_35
; %bb.34:
	v_div_scale_f64 v[0:1], s[46:47], v[10:11], v[10:11], v[8:9]
	v_rcp_f64_e32 v[2:3], v[0:1]
	v_div_scale_f64 v[4:5], vcc, v[8:9], v[10:11], v[8:9]
	v_fma_f64 v[6:7], -v[0:1], v[2:3], 1.0
	v_fmac_f64_e32 v[2:3], v[2:3], v[6:7]
	v_fma_f64 v[6:7], -v[0:1], v[2:3], 1.0
	v_fmac_f64_e32 v[2:3], v[2:3], v[6:7]
	v_mul_f64 v[6:7], v[4:5], v[2:3]
	v_fma_f64 v[0:1], -v[0:1], v[6:7], v[4:5]
	v_div_fmas_f64 v[0:1], v[0:1], v[2:3], v[6:7]
	v_div_fixup_f64 v[0:1], v[0:1], v[10:11], v[8:9]
	v_fmac_f64_e32 v[10:11], v[8:9], v[0:1]
	v_div_scale_f64 v[2:3], s[46:47], v[10:11], v[10:11], 1.0
	v_rcp_f64_e32 v[4:5], v[2:3]
	s_nop 0
	v_fma_f64 v[6:7], -v[2:3], v[4:5], 1.0
	v_fmac_f64_e32 v[4:5], v[4:5], v[6:7]
	v_fma_f64 v[6:7], -v[2:3], v[4:5], 1.0
	v_fmac_f64_e32 v[4:5], v[4:5], v[6:7]
	v_div_scale_f64 v[6:7], vcc, 1.0, v[10:11], 1.0
	v_mul_f64 v[8:9], v[6:7], v[4:5]
	v_fma_f64 v[2:3], -v[2:3], v[8:9], v[6:7]
	s_nop 1
	v_div_fmas_f64 v[2:3], v[2:3], v[4:5], v[8:9]
	v_div_fixup_f64 v[2:3], v[2:3], v[10:11], 1.0
	v_mul_f64 v[0:1], v[0:1], v[2:3]
	v_xor_b32_e32 v3, 0x80000000, v3
                                        ; implicit-def: $vgpr8_vgpr9
.LBB125_35:
	s_andn2_saveexec_b64 s[2:3], s[2:3]
	s_cbranch_execz .LBB125_37
; %bb.36:
	v_div_scale_f64 v[0:1], s[46:47], v[8:9], v[8:9], v[10:11]
	v_rcp_f64_e32 v[2:3], v[0:1]
	v_div_scale_f64 v[4:5], vcc, v[10:11], v[8:9], v[10:11]
	v_fma_f64 v[6:7], -v[0:1], v[2:3], 1.0
	v_fmac_f64_e32 v[2:3], v[2:3], v[6:7]
	v_fma_f64 v[6:7], -v[0:1], v[2:3], 1.0
	v_fmac_f64_e32 v[2:3], v[2:3], v[6:7]
	v_mul_f64 v[6:7], v[4:5], v[2:3]
	v_fma_f64 v[0:1], -v[0:1], v[6:7], v[4:5]
	v_div_fmas_f64 v[0:1], v[0:1], v[2:3], v[6:7]
	v_div_fixup_f64 v[2:3], v[0:1], v[8:9], v[10:11]
	v_fmac_f64_e32 v[8:9], v[10:11], v[2:3]
	v_div_scale_f64 v[0:1], s[46:47], v[8:9], v[8:9], 1.0
	v_rcp_f64_e32 v[4:5], v[0:1]
	s_nop 0
	v_fma_f64 v[6:7], -v[0:1], v[4:5], 1.0
	v_fmac_f64_e32 v[4:5], v[4:5], v[6:7]
	v_fma_f64 v[6:7], -v[0:1], v[4:5], 1.0
	v_fmac_f64_e32 v[4:5], v[4:5], v[6:7]
	v_div_scale_f64 v[6:7], vcc, 1.0, v[8:9], 1.0
	v_mul_f64 v[10:11], v[6:7], v[4:5]
	v_fma_f64 v[0:1], -v[0:1], v[10:11], v[6:7]
	s_nop 1
	v_div_fmas_f64 v[0:1], v[0:1], v[4:5], v[10:11]
	v_div_fixup_f64 v[0:1], v[0:1], v[8:9], 1.0
	v_mul_f64 v[2:3], v[2:3], -v[0:1]
.LBB125_37:
	s_or_b64 exec, exec, s[2:3]
	ds_write2_b64 v252, v[0:1], v[2:3] offset1:1
.LBB125_38:
	s_or_b64 exec, exec, s[4:5]
	s_waitcnt lgkmcnt(0)
	s_barrier
	ds_read2_b64 v[8:11], v252 offset1:1
	v_cmp_lt_u32_e32 vcc, 2, v254
	s_and_saveexec_b64 s[2:3], vcc
	s_cbranch_execz .LBB125_41
; %bb.39:
	scratch_load_dwordx4 v[0:3], off, off offset:32
	s_movk_i32 s4, 0xfc40
	s_waitcnt vmcnt(0) lgkmcnt(0)
	v_mul_f64 v[4:5], v[10:11], v[2:3]
	v_mul_f64 v[14:15], v[8:9], v[2:3]
	v_fma_f64 v[12:13], v[8:9], v[0:1], -v[4:5]
	v_fmac_f64_e32 v[14:15], v[10:11], v[0:1]
	scratch_store_dwordx4 off, v[12:15], off offset:32
.LBB125_40:                             ; =>This Inner Loop Header: Depth=1
	v_add_u32_e32 v17, s4, v16
	ds_read2_b64 v[0:3], v17 offset0:120 offset1:121
	s_add_i32 s46, s4, 0x3f0
	s_add_i32 s5, s4, 0x440
	s_waitcnt lgkmcnt(0)
	v_mul_f64 v[4:5], v[2:3], v[14:15]
	v_mul_f64 v[6:7], v[0:1], v[14:15]
	v_fma_f64 v[4:5], v[0:1], v[12:13], -v[4:5]
	v_fmac_f64_e32 v[6:7], v[2:3], v[12:13]
	scratch_load_dwordx4 v[0:3], off, s46
	s_waitcnt vmcnt(0)
	v_add_f64 v[0:1], v[0:1], -v[4:5]
	v_add_f64 v[2:3], v[2:3], -v[6:7]
	scratch_store_dwordx4 off, v[0:3], s46
	scratch_load_dwordx4 v[12:15], off, off offset:32
	ds_read2_b64 v[0:3], v17 offset0:122 offset1:123
	s_add_i32 s46, s4, 0x400
	s_waitcnt vmcnt(0) lgkmcnt(0)
	v_mul_f64 v[4:5], v[2:3], v[14:15]
	v_mul_f64 v[6:7], v[0:1], v[14:15]
	v_fma_f64 v[4:5], v[0:1], v[12:13], -v[4:5]
	v_fmac_f64_e32 v[6:7], v[2:3], v[12:13]
	scratch_load_dwordx4 v[0:3], off, s46
	s_waitcnt vmcnt(0)
	v_add_f64 v[0:1], v[0:1], -v[4:5]
	v_add_f64 v[2:3], v[2:3], -v[6:7]
	scratch_store_dwordx4 off, v[0:3], s46
	ds_read2_b64 v[0:3], v17 offset0:124 offset1:125
	s_add_i32 s46, s4, 0x410
	s_waitcnt lgkmcnt(0)
	v_mul_f64 v[4:5], v[2:3], v[14:15]
	v_mul_f64 v[6:7], v[0:1], v[14:15]
	v_fma_f64 v[4:5], v[0:1], v[12:13], -v[4:5]
	v_fmac_f64_e32 v[6:7], v[2:3], v[12:13]
	scratch_load_dwordx4 v[0:3], off, s46
	s_waitcnt vmcnt(0)
	v_add_f64 v[0:1], v[0:1], -v[4:5]
	v_add_f64 v[2:3], v[2:3], -v[6:7]
	scratch_store_dwordx4 off, v[0:3], s46
	ds_read2_b64 v[0:3], v17 offset0:126 offset1:127
	s_add_i32 s46, s4, 0x420
	s_waitcnt lgkmcnt(0)
	v_mul_f64 v[4:5], v[2:3], v[14:15]
	v_mul_f64 v[6:7], v[0:1], v[14:15]
	v_fma_f64 v[4:5], v[0:1], v[12:13], -v[4:5]
	v_fmac_f64_e32 v[6:7], v[2:3], v[12:13]
	scratch_load_dwordx4 v[0:3], off, s46
	s_waitcnt vmcnt(0)
	v_add_f64 v[0:1], v[0:1], -v[4:5]
	v_add_f64 v[2:3], v[2:3], -v[6:7]
	scratch_store_dwordx4 off, v[0:3], s46
	ds_read2_b64 v[0:3], v17 offset0:128 offset1:129
	s_add_i32 s46, s4, 0x430
	s_addk_i32 s4, 0x60
	s_cmp_lg_u32 s4, 0
	s_waitcnt lgkmcnt(0)
	v_mul_f64 v[4:5], v[2:3], v[14:15]
	v_mul_f64 v[6:7], v[0:1], v[14:15]
	v_fma_f64 v[4:5], v[0:1], v[12:13], -v[4:5]
	v_fmac_f64_e32 v[6:7], v[2:3], v[12:13]
	scratch_load_dwordx4 v[0:3], off, s46
	s_waitcnt vmcnt(0)
	v_add_f64 v[0:1], v[0:1], -v[4:5]
	v_add_f64 v[2:3], v[2:3], -v[6:7]
	scratch_store_dwordx4 off, v[0:3], s46
	ds_read2_b64 v[0:3], v17 offset0:130 offset1:131
	s_waitcnt lgkmcnt(0)
	v_mul_f64 v[4:5], v[2:3], v[14:15]
	v_mul_f64 v[6:7], v[0:1], v[14:15]
	v_fma_f64 v[4:5], v[0:1], v[12:13], -v[4:5]
	v_fmac_f64_e32 v[6:7], v[2:3], v[12:13]
	scratch_load_dwordx4 v[0:3], off, s5
	s_waitcnt vmcnt(0)
	v_add_f64 v[0:1], v[0:1], -v[4:5]
	v_add_f64 v[2:3], v[2:3], -v[6:7]
	scratch_store_dwordx4 off, v[0:3], s5
	s_cbranch_scc1 .LBB125_40
.LBB125_41:
	s_or_b64 exec, exec, s[2:3]
	v_cmp_eq_u32_e32 vcc, 3, v254
	v_add3_u32 v21, v20, 0, 64
	s_waitcnt lgkmcnt(0)
	s_barrier
	s_and_saveexec_b64 s[4:5], vcc
	s_cbranch_execz .LBB125_52
; %bb.42:
	scratch_load_dwordx4 v[0:3], off, s70
	s_mov_b32 s46, 0
	s_waitcnt vmcnt(0)
	ds_write2_b64 v252, v[0:1], v[2:3] offset1:1
	s_branch .LBB125_44
.LBB125_43:                             ;   in Loop: Header=BB125_44 Depth=1
	s_andn2_b64 vcc, exec, s[2:3]
	s_cbranch_vccz .LBB125_46
.LBB125_44:                             ; =>This Inner Loop Header: Depth=1
	s_add_i32 s2, s46, 64
	s_add_i32 s3, s46, 0x50
	scratch_load_dwordx4 v[12:15], off, s2
	scratch_load_dwordx4 v[16:19], off, s3
	s_add_i32 s2, s46, 0x60
	scratch_load_dwordx4 v[22:25], off, s2
	s_mov_b32 s47, s46
	v_add_u32_e32 v0, s46, v21
	s_cmpk_eq_i32 s46, 0x380
	s_mov_b64 s[2:3], -1
	s_waitcnt vmcnt(2)
	ds_write2_b64 v0, v[12:13], v[14:15] offset1:1
	s_waitcnt vmcnt(1)
	ds_write2_b64 v0, v[16:17], v[18:19] offset0:2 offset1:3
	s_waitcnt vmcnt(0)
	ds_write2_b64 v0, v[22:23], v[24:25] offset0:4 offset1:5
	s_cbranch_scc1 .LBB125_43
; %bb.45:                               ;   in Loop: Header=BB125_44 Depth=1
	s_add_i32 s2, s47, 0x70
	s_add_i32 s3, s47, 0x80
	scratch_load_dwordx4 v[12:15], off, s2
	scratch_load_dwordx4 v[16:19], off, s3
	s_add_i32 s2, s47, 0x90
	s_add_i32 s3, s47, 0xa0
	scratch_load_dwordx4 v[22:25], off, s2
	scratch_load_dwordx4 v[26:29], off, s3
	s_addk_i32 s47, 0xb0
	scratch_load_dwordx4 v[30:33], off, s47
	s_addk_i32 s46, 0x80
	s_mov_b64 s[2:3], 0
	s_waitcnt vmcnt(4)
	ds_write2_b64 v0, v[12:13], v[14:15] offset0:6 offset1:7
	s_waitcnt vmcnt(3)
	ds_write2_b64 v0, v[16:17], v[18:19] offset0:8 offset1:9
	;; [unrolled: 2-line block ×5, first 2 shown]
	s_branch .LBB125_43
.LBB125_46:
	ds_read2_b64 v[12:15], v252 offset1:1
	s_waitcnt lgkmcnt(0)
	v_cmp_neq_f64_e32 vcc, 0, v[12:13]
	v_cmp_neq_f64_e64 s[2:3], 0, v[14:15]
	s_or_b64 s[2:3], vcc, s[2:3]
	s_and_b64 exec, exec, s[2:3]
	s_cbranch_execz .LBB125_52
; %bb.47:
	v_cmp_ngt_f64_e64 s[2:3], |v[12:13]|, |v[14:15]|
                                        ; implicit-def: $vgpr0_vgpr1
	s_and_saveexec_b64 s[46:47], s[2:3]
	s_xor_b64 s[2:3], exec, s[46:47]
                                        ; implicit-def: $vgpr2_vgpr3
	s_cbranch_execz .LBB125_49
; %bb.48:
	v_div_scale_f64 v[0:1], s[46:47], v[14:15], v[14:15], v[12:13]
	v_rcp_f64_e32 v[2:3], v[0:1]
	v_div_scale_f64 v[4:5], vcc, v[12:13], v[14:15], v[12:13]
	v_fma_f64 v[6:7], -v[0:1], v[2:3], 1.0
	v_fmac_f64_e32 v[2:3], v[2:3], v[6:7]
	v_fma_f64 v[6:7], -v[0:1], v[2:3], 1.0
	v_fmac_f64_e32 v[2:3], v[2:3], v[6:7]
	v_mul_f64 v[6:7], v[4:5], v[2:3]
	v_fma_f64 v[0:1], -v[0:1], v[6:7], v[4:5]
	v_div_fmas_f64 v[0:1], v[0:1], v[2:3], v[6:7]
	v_div_fixup_f64 v[0:1], v[0:1], v[14:15], v[12:13]
	v_fmac_f64_e32 v[14:15], v[12:13], v[0:1]
	v_div_scale_f64 v[2:3], s[46:47], v[14:15], v[14:15], 1.0
	v_rcp_f64_e32 v[4:5], v[2:3]
	s_nop 0
	v_fma_f64 v[6:7], -v[2:3], v[4:5], 1.0
	v_fmac_f64_e32 v[4:5], v[4:5], v[6:7]
	v_fma_f64 v[6:7], -v[2:3], v[4:5], 1.0
	v_fmac_f64_e32 v[4:5], v[4:5], v[6:7]
	v_div_scale_f64 v[6:7], vcc, 1.0, v[14:15], 1.0
	v_mul_f64 v[12:13], v[6:7], v[4:5]
	v_fma_f64 v[2:3], -v[2:3], v[12:13], v[6:7]
	s_nop 1
	v_div_fmas_f64 v[2:3], v[2:3], v[4:5], v[12:13]
	v_div_fixup_f64 v[2:3], v[2:3], v[14:15], 1.0
	v_mul_f64 v[0:1], v[0:1], v[2:3]
	v_xor_b32_e32 v3, 0x80000000, v3
                                        ; implicit-def: $vgpr12_vgpr13
.LBB125_49:
	s_andn2_saveexec_b64 s[2:3], s[2:3]
	s_cbranch_execz .LBB125_51
; %bb.50:
	v_div_scale_f64 v[0:1], s[46:47], v[12:13], v[12:13], v[14:15]
	v_rcp_f64_e32 v[2:3], v[0:1]
	v_div_scale_f64 v[4:5], vcc, v[14:15], v[12:13], v[14:15]
	v_fma_f64 v[6:7], -v[0:1], v[2:3], 1.0
	v_fmac_f64_e32 v[2:3], v[2:3], v[6:7]
	v_fma_f64 v[6:7], -v[0:1], v[2:3], 1.0
	v_fmac_f64_e32 v[2:3], v[2:3], v[6:7]
	v_mul_f64 v[6:7], v[4:5], v[2:3]
	v_fma_f64 v[0:1], -v[0:1], v[6:7], v[4:5]
	v_div_fmas_f64 v[0:1], v[0:1], v[2:3], v[6:7]
	v_div_fixup_f64 v[2:3], v[0:1], v[12:13], v[14:15]
	v_fmac_f64_e32 v[12:13], v[14:15], v[2:3]
	v_div_scale_f64 v[0:1], s[46:47], v[12:13], v[12:13], 1.0
	v_rcp_f64_e32 v[4:5], v[0:1]
	s_nop 0
	v_fma_f64 v[6:7], -v[0:1], v[4:5], 1.0
	v_fmac_f64_e32 v[4:5], v[4:5], v[6:7]
	v_fma_f64 v[6:7], -v[0:1], v[4:5], 1.0
	v_fmac_f64_e32 v[4:5], v[4:5], v[6:7]
	v_div_scale_f64 v[6:7], vcc, 1.0, v[12:13], 1.0
	v_mul_f64 v[14:15], v[6:7], v[4:5]
	v_fma_f64 v[0:1], -v[0:1], v[14:15], v[6:7]
	s_nop 1
	v_div_fmas_f64 v[0:1], v[0:1], v[4:5], v[14:15]
	v_div_fixup_f64 v[0:1], v[0:1], v[12:13], 1.0
	v_mul_f64 v[2:3], v[2:3], -v[0:1]
.LBB125_51:
	s_or_b64 exec, exec, s[2:3]
	ds_write2_b64 v252, v[0:1], v[2:3] offset1:1
.LBB125_52:
	s_or_b64 exec, exec, s[4:5]
	s_waitcnt lgkmcnt(0)
	s_barrier
	ds_read2_b64 v[12:15], v252 offset1:1
	v_cmp_lt_u32_e32 vcc, 3, v254
	s_and_saveexec_b64 s[2:3], vcc
	s_cbranch_execz .LBB125_57
; %bb.53:
	scratch_load_dwordx4 v[0:3], off, off offset:48
	s_mov_b32 s72, 0
	s_waitcnt vmcnt(0) lgkmcnt(0)
	v_mul_f64 v[4:5], v[14:15], v[2:3]
	v_mul_f64 v[18:19], v[12:13], v[2:3]
	v_fma_f64 v[16:17], v[12:13], v[0:1], -v[4:5]
	v_fmac_f64_e32 v[18:19], v[14:15], v[0:1]
	scratch_store_dwordx4 off, v[16:19], off offset:48
	s_branch .LBB125_55
.LBB125_54:                             ;   in Loop: Header=BB125_55 Depth=1
	s_andn2_b64 vcc, exec, s[4:5]
	s_cbranch_vccz .LBB125_57
.LBB125_55:                             ; =>This Inner Loop Header: Depth=1
	v_add_u32_e32 v0, s72, v21
	ds_read2_b64 v[22:25], v0 offset1:1
	s_add_i32 s4, s72, 64
	s_mov_b32 s73, s72
	s_waitcnt lgkmcnt(0)
	v_mul_f64 v[2:3], v[24:25], v[18:19]
	v_mul_f64 v[4:5], v[22:23], v[18:19]
	v_fma_f64 v[2:3], v[22:23], v[16:17], -v[2:3]
	v_fmac_f64_e32 v[4:5], v[24:25], v[16:17]
	scratch_load_dwordx4 v[22:25], off, s4
	s_waitcnt vmcnt(0)
	v_add_f64 v[22:23], v[22:23], -v[2:3]
	v_add_f64 v[24:25], v[24:25], -v[4:5]
	scratch_store_dwordx4 off, v[22:25], s4
	ds_read2_b64 v[22:25], v0 offset0:2 offset1:3
	s_add_i32 s4, s72, 0x50
	s_waitcnt lgkmcnt(0)
	v_mul_f64 v[2:3], v[24:25], v[18:19]
	v_mul_f64 v[4:5], v[22:23], v[18:19]
	v_fma_f64 v[2:3], v[22:23], v[16:17], -v[2:3]
	v_fmac_f64_e32 v[4:5], v[24:25], v[16:17]
	scratch_load_dwordx4 v[22:25], off, s4
	s_waitcnt vmcnt(0)
	v_add_f64 v[22:23], v[22:23], -v[2:3]
	v_add_f64 v[24:25], v[24:25], -v[4:5]
	scratch_store_dwordx4 off, v[22:25], s4
	ds_read2_b64 v[22:25], v0 offset0:4 offset1:5
	s_add_i32 s4, s72, 0x60
	s_cmpk_eq_i32 s72, 0x380
	s_waitcnt lgkmcnt(0)
	v_mul_f64 v[2:3], v[24:25], v[18:19]
	v_mul_f64 v[4:5], v[22:23], v[18:19]
	v_fma_f64 v[2:3], v[22:23], v[16:17], -v[2:3]
	v_fmac_f64_e32 v[4:5], v[24:25], v[16:17]
	scratch_load_dwordx4 v[22:25], off, s4
	s_waitcnt vmcnt(0)
	v_add_f64 v[22:23], v[22:23], -v[2:3]
	v_add_f64 v[24:25], v[24:25], -v[4:5]
	scratch_store_dwordx4 off, v[22:25], s4
	s_mov_b64 s[4:5], -1
	s_cbranch_scc1 .LBB125_54
; %bb.56:                               ;   in Loop: Header=BB125_55 Depth=1
	ds_read2_b64 v[22:25], v0 offset0:6 offset1:7
	s_add_i32 s4, s73, 0x70
	s_addk_i32 s72, 0x80
	s_waitcnt lgkmcnt(0)
	v_mul_f64 v[2:3], v[24:25], v[18:19]
	v_mul_f64 v[4:5], v[22:23], v[18:19]
	v_fma_f64 v[2:3], v[22:23], v[16:17], -v[2:3]
	v_fmac_f64_e32 v[4:5], v[24:25], v[16:17]
	scratch_load_dwordx4 v[22:25], off, s4
	s_waitcnt vmcnt(0)
	v_add_f64 v[22:23], v[22:23], -v[2:3]
	v_add_f64 v[24:25], v[24:25], -v[4:5]
	scratch_store_dwordx4 off, v[22:25], s4
	ds_read2_b64 v[22:25], v0 offset0:8 offset1:9
	s_add_i32 s4, s73, 0x80
	s_waitcnt lgkmcnt(0)
	v_mul_f64 v[2:3], v[24:25], v[18:19]
	v_mul_f64 v[4:5], v[22:23], v[18:19]
	v_fma_f64 v[2:3], v[22:23], v[16:17], -v[2:3]
	v_fmac_f64_e32 v[4:5], v[24:25], v[16:17]
	scratch_load_dwordx4 v[22:25], off, s4
	s_waitcnt vmcnt(0)
	v_add_f64 v[22:23], v[22:23], -v[2:3]
	v_add_f64 v[24:25], v[24:25], -v[4:5]
	scratch_store_dwordx4 off, v[22:25], s4
	ds_read2_b64 v[22:25], v0 offset0:10 offset1:11
	s_add_i32 s4, s73, 0x90
	;; [unrolled: 12-line block ×3, first 2 shown]
	s_addk_i32 s73, 0xb0
	s_waitcnt lgkmcnt(0)
	v_mul_f64 v[2:3], v[24:25], v[18:19]
	v_mul_f64 v[4:5], v[22:23], v[18:19]
	v_fma_f64 v[2:3], v[22:23], v[16:17], -v[2:3]
	v_fmac_f64_e32 v[4:5], v[24:25], v[16:17]
	scratch_load_dwordx4 v[22:25], off, s4
	s_waitcnt vmcnt(0)
	v_add_f64 v[22:23], v[22:23], -v[2:3]
	ds_read2_b64 v[0:3], v0 offset0:14 offset1:15
	v_add_f64 v[24:25], v[24:25], -v[4:5]
	scratch_store_dwordx4 off, v[22:25], s4
	s_mov_b64 s[4:5], 0
	s_waitcnt lgkmcnt(0)
	v_mul_f64 v[4:5], v[2:3], v[18:19]
	v_mul_f64 v[6:7], v[0:1], v[18:19]
	v_fma_f64 v[4:5], v[0:1], v[16:17], -v[4:5]
	v_fmac_f64_e32 v[6:7], v[2:3], v[16:17]
	scratch_load_dwordx4 v[0:3], off, s73
	s_waitcnt vmcnt(0)
	v_add_f64 v[0:1], v[0:1], -v[4:5]
	v_add_f64 v[2:3], v[2:3], -v[6:7]
	scratch_store_dwordx4 off, v[0:3], s73
	s_branch .LBB125_54
.LBB125_57:
	s_or_b64 exec, exec, s[2:3]
	v_cmp_eq_u32_e32 vcc, 4, v254
	v_add_u32_e32 v248, 0, v20
	s_waitcnt lgkmcnt(0)
	s_barrier
	s_and_saveexec_b64 s[4:5], vcc
	s_cbranch_execz .LBB125_66
; %bb.58:
	scratch_load_dwordx4 v[0:3], off, s69
	s_mov_b32 s2, 0
	s_waitcnt vmcnt(0)
	ds_write2_b64 v252, v[0:1], v[2:3] offset1:1
	v_add_u32_e32 v0, 0x50, v248
.LBB125_59:                             ; =>This Inner Loop Header: Depth=1
	s_add_i32 s46, s2, 0x50
	s_add_i32 s3, s2, 0x60
	scratch_load_dwordx4 v[16:19], off, s46
	scratch_load_dwordx4 v[20:23], off, s3
	v_add_u32_e32 v1, s2, v0
	s_add_i32 s2, s2, 32
	s_cmpk_lg_i32 s2, 0x3a0
	s_waitcnt vmcnt(1)
	ds_write2_b64 v1, v[16:17], v[18:19] offset1:1
	s_waitcnt vmcnt(0)
	ds_write2_b64 v1, v[20:21], v[22:23] offset0:2 offset1:3
	s_cbranch_scc1 .LBB125_59
; %bb.60:
	ds_read2_b64 v[16:19], v252 offset1:1
	s_waitcnt lgkmcnt(0)
	v_cmp_neq_f64_e32 vcc, 0, v[16:17]
	v_cmp_neq_f64_e64 s[2:3], 0, v[18:19]
	s_or_b64 s[2:3], vcc, s[2:3]
	s_and_b64 exec, exec, s[2:3]
	s_cbranch_execz .LBB125_66
; %bb.61:
	v_cmp_ngt_f64_e64 s[2:3], |v[16:17]|, |v[18:19]|
                                        ; implicit-def: $vgpr0_vgpr1
	s_and_saveexec_b64 s[46:47], s[2:3]
	s_xor_b64 s[2:3], exec, s[46:47]
                                        ; implicit-def: $vgpr2_vgpr3
	s_cbranch_execz .LBB125_63
; %bb.62:
	v_div_scale_f64 v[0:1], s[46:47], v[18:19], v[18:19], v[16:17]
	v_rcp_f64_e32 v[2:3], v[0:1]
	v_div_scale_f64 v[4:5], vcc, v[16:17], v[18:19], v[16:17]
	v_fma_f64 v[6:7], -v[0:1], v[2:3], 1.0
	v_fmac_f64_e32 v[2:3], v[2:3], v[6:7]
	v_fma_f64 v[6:7], -v[0:1], v[2:3], 1.0
	v_fmac_f64_e32 v[2:3], v[2:3], v[6:7]
	v_mul_f64 v[6:7], v[4:5], v[2:3]
	v_fma_f64 v[0:1], -v[0:1], v[6:7], v[4:5]
	v_div_fmas_f64 v[0:1], v[0:1], v[2:3], v[6:7]
	v_div_fixup_f64 v[0:1], v[0:1], v[18:19], v[16:17]
	v_fmac_f64_e32 v[18:19], v[16:17], v[0:1]
	v_div_scale_f64 v[2:3], s[46:47], v[18:19], v[18:19], 1.0
	v_rcp_f64_e32 v[4:5], v[2:3]
	s_nop 0
	v_fma_f64 v[6:7], -v[2:3], v[4:5], 1.0
	v_fmac_f64_e32 v[4:5], v[4:5], v[6:7]
	v_fma_f64 v[6:7], -v[2:3], v[4:5], 1.0
	v_fmac_f64_e32 v[4:5], v[4:5], v[6:7]
	v_div_scale_f64 v[6:7], vcc, 1.0, v[18:19], 1.0
	v_mul_f64 v[16:17], v[6:7], v[4:5]
	v_fma_f64 v[2:3], -v[2:3], v[16:17], v[6:7]
	s_nop 1
	v_div_fmas_f64 v[2:3], v[2:3], v[4:5], v[16:17]
	v_div_fixup_f64 v[2:3], v[2:3], v[18:19], 1.0
	v_mul_f64 v[0:1], v[0:1], v[2:3]
	v_xor_b32_e32 v3, 0x80000000, v3
                                        ; implicit-def: $vgpr16_vgpr17
.LBB125_63:
	s_andn2_saveexec_b64 s[2:3], s[2:3]
	s_cbranch_execz .LBB125_65
; %bb.64:
	v_div_scale_f64 v[0:1], s[46:47], v[16:17], v[16:17], v[18:19]
	v_rcp_f64_e32 v[2:3], v[0:1]
	v_div_scale_f64 v[4:5], vcc, v[18:19], v[16:17], v[18:19]
	v_fma_f64 v[6:7], -v[0:1], v[2:3], 1.0
	v_fmac_f64_e32 v[2:3], v[2:3], v[6:7]
	v_fma_f64 v[6:7], -v[0:1], v[2:3], 1.0
	v_fmac_f64_e32 v[2:3], v[2:3], v[6:7]
	v_mul_f64 v[6:7], v[4:5], v[2:3]
	v_fma_f64 v[0:1], -v[0:1], v[6:7], v[4:5]
	v_div_fmas_f64 v[0:1], v[0:1], v[2:3], v[6:7]
	v_div_fixup_f64 v[2:3], v[0:1], v[16:17], v[18:19]
	v_fmac_f64_e32 v[16:17], v[18:19], v[2:3]
	v_div_scale_f64 v[0:1], s[46:47], v[16:17], v[16:17], 1.0
	v_rcp_f64_e32 v[4:5], v[0:1]
	s_nop 0
	v_fma_f64 v[6:7], -v[0:1], v[4:5], 1.0
	v_fmac_f64_e32 v[4:5], v[4:5], v[6:7]
	v_fma_f64 v[6:7], -v[0:1], v[4:5], 1.0
	v_fmac_f64_e32 v[4:5], v[4:5], v[6:7]
	v_div_scale_f64 v[6:7], vcc, 1.0, v[16:17], 1.0
	v_mul_f64 v[18:19], v[6:7], v[4:5]
	v_fma_f64 v[0:1], -v[0:1], v[18:19], v[6:7]
	s_nop 1
	v_div_fmas_f64 v[0:1], v[0:1], v[4:5], v[18:19]
	v_div_fixup_f64 v[0:1], v[0:1], v[16:17], 1.0
	v_mul_f64 v[2:3], v[2:3], -v[0:1]
.LBB125_65:
	s_or_b64 exec, exec, s[2:3]
	ds_write2_b64 v252, v[0:1], v[2:3] offset1:1
.LBB125_66:
	s_or_b64 exec, exec, s[4:5]
	s_waitcnt lgkmcnt(0)
	s_barrier
	ds_read2_b64 v[16:19], v252 offset1:1
	v_cmp_lt_u32_e32 vcc, 4, v254
	s_and_saveexec_b64 s[2:3], vcc
	s_cbranch_execz .LBB125_69
; %bb.67:
	scratch_load_dwordx4 v[0:3], off, off offset:64
	s_mov_b32 s4, 0
	s_waitcnt vmcnt(0) lgkmcnt(0)
	v_mul_f64 v[4:5], v[18:19], v[2:3]
	v_mul_f64 v[22:23], v[16:17], v[2:3]
	v_fma_f64 v[20:21], v[16:17], v[0:1], -v[4:5]
	v_fmac_f64_e32 v[22:23], v[18:19], v[0:1]
	v_add_u32_e32 v0, 0x50, v248
	scratch_store_dwordx4 off, v[20:23], off offset:64
.LBB125_68:                             ; =>This Inner Loop Header: Depth=1
	v_add_u32_e32 v1, s4, v0
	ds_read2_b64 v[24:27], v1 offset1:1
	s_add_i32 s46, s4, 0x50
	s_add_i32 s5, s4, 0x60
	s_add_i32 s4, s4, 32
	s_cmpk_lg_i32 s4, 0x3a0
	s_waitcnt lgkmcnt(0)
	v_mul_f64 v[2:3], v[26:27], v[22:23]
	v_mul_f64 v[4:5], v[24:25], v[22:23]
	v_fma_f64 v[2:3], v[24:25], v[20:21], -v[2:3]
	v_fmac_f64_e32 v[4:5], v[26:27], v[20:21]
	scratch_load_dwordx4 v[24:27], off, s46
	s_waitcnt vmcnt(0)
	v_add_f64 v[24:25], v[24:25], -v[2:3]
	v_add_f64 v[26:27], v[26:27], -v[4:5]
	scratch_store_dwordx4 off, v[24:27], s46
	ds_read2_b64 v[24:27], v1 offset0:2 offset1:3
	s_waitcnt lgkmcnt(0)
	v_mul_f64 v[2:3], v[26:27], v[22:23]
	v_mul_f64 v[4:5], v[24:25], v[22:23]
	v_fma_f64 v[2:3], v[24:25], v[20:21], -v[2:3]
	v_fmac_f64_e32 v[4:5], v[26:27], v[20:21]
	scratch_load_dwordx4 v[24:27], off, s5
	s_waitcnt vmcnt(0)
	v_add_f64 v[24:25], v[24:25], -v[2:3]
	v_add_f64 v[26:27], v[26:27], -v[4:5]
	scratch_store_dwordx4 off, v[24:27], s5
	s_cbranch_scc1 .LBB125_68
.LBB125_69:
	s_or_b64 exec, exec, s[2:3]
	v_cmp_eq_u32_e32 vcc, 5, v254
	s_waitcnt lgkmcnt(0)
	s_barrier
	s_and_saveexec_b64 s[4:5], vcc
	s_cbranch_execz .LBB125_78
; %bb.70:
	scratch_load_dwordx4 v[0:3], off, s68
	s_mov_b32 s2, 0
	s_waitcnt vmcnt(0)
	ds_write2_b64 v252, v[0:1], v[2:3] offset1:1
	v_add_u32_e32 v0, 0x60, v248
.LBB125_71:                             ; =>This Inner Loop Header: Depth=1
	s_add_i32 s46, s2, 0x60
	s_add_i32 s47, s2, 0x70
	;; [unrolled: 1-line block ×3, first 2 shown]
	scratch_load_dwordx4 v[20:23], off, s46
	scratch_load_dwordx4 v[24:27], off, s47
	;; [unrolled: 1-line block ×3, first 2 shown]
	v_add_u32_e32 v1, s2, v0
	s_add_i32 s2, s2, 48
	s_cmpk_lg_i32 s2, 0x390
	s_waitcnt vmcnt(2)
	ds_write2_b64 v1, v[20:21], v[22:23] offset1:1
	s_waitcnt vmcnt(1)
	ds_write2_b64 v1, v[24:25], v[26:27] offset0:2 offset1:3
	s_waitcnt vmcnt(0)
	ds_write2_b64 v1, v[28:29], v[30:31] offset0:4 offset1:5
	s_cbranch_scc1 .LBB125_71
; %bb.72:
	ds_read2_b64 v[20:23], v252 offset1:1
	s_waitcnt lgkmcnt(0)
	v_cmp_neq_f64_e32 vcc, 0, v[20:21]
	v_cmp_neq_f64_e64 s[2:3], 0, v[22:23]
	s_or_b64 s[2:3], vcc, s[2:3]
	s_and_b64 exec, exec, s[2:3]
	s_cbranch_execz .LBB125_78
; %bb.73:
	v_cmp_ngt_f64_e64 s[2:3], |v[20:21]|, |v[22:23]|
                                        ; implicit-def: $vgpr0_vgpr1
	s_and_saveexec_b64 s[46:47], s[2:3]
	s_xor_b64 s[2:3], exec, s[46:47]
                                        ; implicit-def: $vgpr2_vgpr3
	s_cbranch_execz .LBB125_75
; %bb.74:
	v_div_scale_f64 v[0:1], s[46:47], v[22:23], v[22:23], v[20:21]
	v_rcp_f64_e32 v[2:3], v[0:1]
	v_div_scale_f64 v[4:5], vcc, v[20:21], v[22:23], v[20:21]
	v_fma_f64 v[6:7], -v[0:1], v[2:3], 1.0
	v_fmac_f64_e32 v[2:3], v[2:3], v[6:7]
	v_fma_f64 v[6:7], -v[0:1], v[2:3], 1.0
	v_fmac_f64_e32 v[2:3], v[2:3], v[6:7]
	v_mul_f64 v[6:7], v[4:5], v[2:3]
	v_fma_f64 v[0:1], -v[0:1], v[6:7], v[4:5]
	v_div_fmas_f64 v[0:1], v[0:1], v[2:3], v[6:7]
	v_div_fixup_f64 v[0:1], v[0:1], v[22:23], v[20:21]
	v_fmac_f64_e32 v[22:23], v[20:21], v[0:1]
	v_div_scale_f64 v[2:3], s[46:47], v[22:23], v[22:23], 1.0
	v_rcp_f64_e32 v[4:5], v[2:3]
	s_nop 0
	v_fma_f64 v[6:7], -v[2:3], v[4:5], 1.0
	v_fmac_f64_e32 v[4:5], v[4:5], v[6:7]
	v_fma_f64 v[6:7], -v[2:3], v[4:5], 1.0
	v_fmac_f64_e32 v[4:5], v[4:5], v[6:7]
	v_div_scale_f64 v[6:7], vcc, 1.0, v[22:23], 1.0
	v_mul_f64 v[20:21], v[6:7], v[4:5]
	v_fma_f64 v[2:3], -v[2:3], v[20:21], v[6:7]
	s_nop 1
	v_div_fmas_f64 v[2:3], v[2:3], v[4:5], v[20:21]
	v_div_fixup_f64 v[2:3], v[2:3], v[22:23], 1.0
	v_mul_f64 v[0:1], v[0:1], v[2:3]
	v_xor_b32_e32 v3, 0x80000000, v3
                                        ; implicit-def: $vgpr20_vgpr21
.LBB125_75:
	s_andn2_saveexec_b64 s[2:3], s[2:3]
	s_cbranch_execz .LBB125_77
; %bb.76:
	v_div_scale_f64 v[0:1], s[46:47], v[20:21], v[20:21], v[22:23]
	v_rcp_f64_e32 v[2:3], v[0:1]
	v_div_scale_f64 v[4:5], vcc, v[22:23], v[20:21], v[22:23]
	v_fma_f64 v[6:7], -v[0:1], v[2:3], 1.0
	v_fmac_f64_e32 v[2:3], v[2:3], v[6:7]
	v_fma_f64 v[6:7], -v[0:1], v[2:3], 1.0
	v_fmac_f64_e32 v[2:3], v[2:3], v[6:7]
	v_mul_f64 v[6:7], v[4:5], v[2:3]
	v_fma_f64 v[0:1], -v[0:1], v[6:7], v[4:5]
	v_div_fmas_f64 v[0:1], v[0:1], v[2:3], v[6:7]
	v_div_fixup_f64 v[2:3], v[0:1], v[20:21], v[22:23]
	v_fmac_f64_e32 v[20:21], v[22:23], v[2:3]
	v_div_scale_f64 v[0:1], s[46:47], v[20:21], v[20:21], 1.0
	v_rcp_f64_e32 v[4:5], v[0:1]
	s_nop 0
	v_fma_f64 v[6:7], -v[0:1], v[4:5], 1.0
	v_fmac_f64_e32 v[4:5], v[4:5], v[6:7]
	v_fma_f64 v[6:7], -v[0:1], v[4:5], 1.0
	v_fmac_f64_e32 v[4:5], v[4:5], v[6:7]
	v_div_scale_f64 v[6:7], vcc, 1.0, v[20:21], 1.0
	v_mul_f64 v[22:23], v[6:7], v[4:5]
	v_fma_f64 v[0:1], -v[0:1], v[22:23], v[6:7]
	s_nop 1
	v_div_fmas_f64 v[0:1], v[0:1], v[4:5], v[22:23]
	v_div_fixup_f64 v[0:1], v[0:1], v[20:21], 1.0
	v_mul_f64 v[2:3], v[2:3], -v[0:1]
.LBB125_77:
	s_or_b64 exec, exec, s[2:3]
	ds_write2_b64 v252, v[0:1], v[2:3] offset1:1
.LBB125_78:
	s_or_b64 exec, exec, s[4:5]
	scratch_store_dwordx4 off, v[38:41], off offset:1536 ; 16-byte Folded Spill
	scratch_store_dwordx4 off, v[34:37], off offset:1520 ; 16-byte Folded Spill
	s_waitcnt lgkmcnt(0)
	s_barrier
	ds_read2_b64 v[20:23], v252 offset1:1
	v_cmp_lt_u32_e32 vcc, 5, v254
	s_and_saveexec_b64 s[2:3], vcc
	s_cbranch_execz .LBB125_81
; %bb.79:
	scratch_load_dwordx4 v[24:27], off, off offset:80
	v_add_u32_e32 v0, 0x60, v248
	s_movk_i32 s4, 0xfc70
	s_waitcnt vmcnt(0) lgkmcnt(0)
	v_mul_f64 v[2:3], v[22:23], v[26:27]
	v_mul_f64 v[28:29], v[20:21], v[26:27]
	v_fma_f64 v[26:27], v[20:21], v[24:25], -v[2:3]
	v_fmac_f64_e32 v[28:29], v[22:23], v[24:25]
	scratch_store_dwordx4 off, v[26:29], off offset:80
.LBB125_80:                             ; =>This Inner Loop Header: Depth=1
	scratch_load_dwordx4 v[24:27], off, off offset:80
	s_add_i32 s46, s4, 0x3f0
	scratch_load_dwordx4 v[28:31], off, s46
	v_add_u32_e32 v1, s4, v0
	ds_read2_b64 v[32:35], v1 offset0:114 offset1:115
	ds_read2_b64 v[36:39], v1 offset0:116 offset1:117
	s_add_i32 s47, s4, 0x400
	s_add_i32 s5, s4, 0x410
	scratch_load_dwordx4 v[40:43], off, s47
	scratch_load_dwordx4 v[44:47], off, s5
	s_add_i32 s4, s4, 48
	s_cmp_lg_u32 s4, 0
	s_waitcnt vmcnt(3) lgkmcnt(1)
	v_mul_f64 v[2:3], v[34:35], v[26:27]
	v_mul_f64 v[4:5], v[32:33], v[26:27]
	v_fma_f64 v[2:3], v[32:33], v[24:25], -v[2:3]
	v_fmac_f64_e32 v[4:5], v[34:35], v[24:25]
	s_waitcnt vmcnt(2)
	v_add_f64 v[24:25], v[28:29], -v[2:3]
	v_add_f64 v[26:27], v[30:31], -v[4:5]
	scratch_store_dwordx4 off, v[24:27], s46
	scratch_load_dwordx4 v[24:27], off, off offset:80
	ds_read2_b64 v[28:31], v1 offset0:118 offset1:119
	s_waitcnt vmcnt(0) lgkmcnt(1)
	v_mul_f64 v[2:3], v[38:39], v[26:27]
	v_mul_f64 v[4:5], v[36:37], v[26:27]
	v_fma_f64 v[2:3], v[36:37], v[24:25], -v[2:3]
	v_fmac_f64_e32 v[4:5], v[38:39], v[24:25]
	v_add_f64 v[24:25], v[40:41], -v[2:3]
	v_add_f64 v[26:27], v[42:43], -v[4:5]
	scratch_store_dwordx4 off, v[24:27], s47
	scratch_load_dwordx4 v[24:27], off, off offset:80
	s_waitcnt vmcnt(0) lgkmcnt(0)
	v_mul_f64 v[2:3], v[30:31], v[26:27]
	v_mul_f64 v[4:5], v[28:29], v[26:27]
	v_fma_f64 v[2:3], v[28:29], v[24:25], -v[2:3]
	v_fmac_f64_e32 v[4:5], v[30:31], v[24:25]
	v_add_f64 v[24:25], v[44:45], -v[2:3]
	v_add_f64 v[26:27], v[46:47], -v[4:5]
	scratch_store_dwordx4 off, v[24:27], s5
	s_cbranch_scc1 .LBB125_80
.LBB125_81:
	s_or_b64 exec, exec, s[2:3]
	v_cmp_eq_u32_e32 vcc, 6, v254
	s_waitcnt lgkmcnt(0)
	s_barrier
	s_and_saveexec_b64 s[4:5], vcc
	s_cbranch_execz .LBB125_90
; %bb.82:
	scratch_load_dwordx4 v[24:27], off, s67
	v_add_u32_e32 v0, 0x70, v248
	s_movk_i32 s2, 0xfc80
	s_waitcnt vmcnt(0)
	ds_write2_b64 v252, v[24:25], v[26:27] offset1:1
.LBB125_83:                             ; =>This Inner Loop Header: Depth=1
	s_add_i32 s46, s2, 0x3f0
	s_add_i32 s47, s2, 0x400
	;; [unrolled: 1-line block ×14, first 2 shown]
	scratch_load_dwordx4 v[24:27], off, s46
	scratch_load_dwordx4 v[28:31], off, s47
	scratch_load_dwordx4 v[32:35], off, s48
	scratch_load_dwordx4 v[36:39], off, s49
	scratch_load_dwordx4 v[40:43], off, s72
	scratch_load_dwordx4 v[44:47], off, s73
	scratch_load_dwordx4 v[48:51], off, s74
	scratch_load_dwordx4 v[52:55], off, s75
	scratch_load_dwordx4 v[56:59], off, s76
	scratch_load_dwordx4 v[60:63], off, s77
	scratch_load_dwordx4 v[64:67], off, s78
	scratch_load_dwordx4 v[68:71], off, s79
	scratch_load_dwordx4 v[72:75], off, s80
	scratch_load_dwordx4 v[76:79], off, s3
	v_add_u32_e32 v1, s2, v0
	s_addk_i32 s2, 0xe0
	s_cmp_lg_u32 s2, 0
	s_waitcnt vmcnt(13)
	ds_write2_b64 v1, v[24:25], v[26:27] offset0:112 offset1:113
	s_waitcnt vmcnt(12)
	ds_write2_b64 v1, v[28:29], v[30:31] offset0:114 offset1:115
	;; [unrolled: 2-line block ×14, first 2 shown]
	s_cbranch_scc1 .LBB125_83
; %bb.84:
	ds_read2_b64 v[24:27], v252 offset1:1
	s_waitcnt lgkmcnt(0)
	v_cmp_neq_f64_e32 vcc, 0, v[24:25]
	v_cmp_neq_f64_e64 s[2:3], 0, v[26:27]
	s_or_b64 s[2:3], vcc, s[2:3]
	s_and_b64 exec, exec, s[2:3]
	s_cbranch_execz .LBB125_90
; %bb.85:
	v_cmp_ngt_f64_e64 s[2:3], |v[24:25]|, |v[26:27]|
                                        ; implicit-def: $vgpr0_vgpr1
	s_and_saveexec_b64 s[46:47], s[2:3]
	s_xor_b64 s[2:3], exec, s[46:47]
                                        ; implicit-def: $vgpr2_vgpr3
	s_cbranch_execz .LBB125_87
; %bb.86:
	v_div_scale_f64 v[0:1], s[46:47], v[26:27], v[26:27], v[24:25]
	v_rcp_f64_e32 v[2:3], v[0:1]
	v_div_scale_f64 v[4:5], vcc, v[24:25], v[26:27], v[24:25]
	v_fma_f64 v[6:7], -v[0:1], v[2:3], 1.0
	v_fmac_f64_e32 v[2:3], v[2:3], v[6:7]
	v_fma_f64 v[6:7], -v[0:1], v[2:3], 1.0
	v_fmac_f64_e32 v[2:3], v[2:3], v[6:7]
	v_mul_f64 v[6:7], v[4:5], v[2:3]
	v_fma_f64 v[0:1], -v[0:1], v[6:7], v[4:5]
	v_div_fmas_f64 v[0:1], v[0:1], v[2:3], v[6:7]
	v_div_fixup_f64 v[0:1], v[0:1], v[26:27], v[24:25]
	v_fmac_f64_e32 v[26:27], v[24:25], v[0:1]
	v_div_scale_f64 v[2:3], s[46:47], v[26:27], v[26:27], 1.0
	v_rcp_f64_e32 v[4:5], v[2:3]
	s_nop 0
	v_fma_f64 v[6:7], -v[2:3], v[4:5], 1.0
	v_fmac_f64_e32 v[4:5], v[4:5], v[6:7]
	v_fma_f64 v[6:7], -v[2:3], v[4:5], 1.0
	v_fmac_f64_e32 v[4:5], v[4:5], v[6:7]
	v_div_scale_f64 v[6:7], vcc, 1.0, v[26:27], 1.0
	v_mul_f64 v[24:25], v[6:7], v[4:5]
	v_fma_f64 v[2:3], -v[2:3], v[24:25], v[6:7]
	s_nop 1
	v_div_fmas_f64 v[2:3], v[2:3], v[4:5], v[24:25]
	v_div_fixup_f64 v[2:3], v[2:3], v[26:27], 1.0
	v_mul_f64 v[0:1], v[0:1], v[2:3]
	v_xor_b32_e32 v3, 0x80000000, v3
                                        ; implicit-def: $vgpr24_vgpr25
.LBB125_87:
	s_andn2_saveexec_b64 s[2:3], s[2:3]
	s_cbranch_execz .LBB125_89
; %bb.88:
	v_div_scale_f64 v[0:1], s[46:47], v[24:25], v[24:25], v[26:27]
	v_rcp_f64_e32 v[2:3], v[0:1]
	v_div_scale_f64 v[4:5], vcc, v[26:27], v[24:25], v[26:27]
	v_fma_f64 v[6:7], -v[0:1], v[2:3], 1.0
	v_fmac_f64_e32 v[2:3], v[2:3], v[6:7]
	v_fma_f64 v[6:7], -v[0:1], v[2:3], 1.0
	v_fmac_f64_e32 v[2:3], v[2:3], v[6:7]
	v_mul_f64 v[6:7], v[4:5], v[2:3]
	v_fma_f64 v[0:1], -v[0:1], v[6:7], v[4:5]
	v_div_fmas_f64 v[0:1], v[0:1], v[2:3], v[6:7]
	v_div_fixup_f64 v[2:3], v[0:1], v[24:25], v[26:27]
	v_fmac_f64_e32 v[24:25], v[26:27], v[2:3]
	v_div_scale_f64 v[0:1], s[46:47], v[24:25], v[24:25], 1.0
	v_rcp_f64_e32 v[4:5], v[0:1]
	s_nop 0
	v_fma_f64 v[6:7], -v[0:1], v[4:5], 1.0
	v_fmac_f64_e32 v[4:5], v[4:5], v[6:7]
	v_fma_f64 v[6:7], -v[0:1], v[4:5], 1.0
	v_fmac_f64_e32 v[4:5], v[4:5], v[6:7]
	v_div_scale_f64 v[6:7], vcc, 1.0, v[24:25], 1.0
	v_mul_f64 v[26:27], v[6:7], v[4:5]
	v_fma_f64 v[0:1], -v[0:1], v[26:27], v[6:7]
	s_nop 1
	v_div_fmas_f64 v[0:1], v[0:1], v[4:5], v[26:27]
	v_div_fixup_f64 v[0:1], v[0:1], v[24:25], 1.0
	v_mul_f64 v[2:3], v[2:3], -v[0:1]
.LBB125_89:
	s_or_b64 exec, exec, s[2:3]
	ds_write2_b64 v252, v[0:1], v[2:3] offset1:1
.LBB125_90:
	s_or_b64 exec, exec, s[4:5]
	s_waitcnt lgkmcnt(0)
	s_barrier
	ds_read2_b64 v[24:27], v252 offset1:1
	v_cmp_lt_u32_e32 vcc, 6, v254
	s_and_saveexec_b64 s[2:3], vcc
	s_cbranch_execz .LBB125_93
; %bb.91:
	scratch_load_dwordx4 v[32:35], off, off offset:96
	v_add_u32_e32 v0, 0x70, v248
	s_movk_i32 s4, 0xfc80
	s_waitcnt vmcnt(0) lgkmcnt(0)
	v_mul_f64 v[2:3], v[26:27], v[34:35]
	v_mul_f64 v[30:31], v[24:25], v[34:35]
	v_fma_f64 v[28:29], v[24:25], v[32:33], -v[2:3]
	v_fmac_f64_e32 v[30:31], v[26:27], v[32:33]
	scratch_store_dwordx4 off, v[28:31], off offset:96
.LBB125_92:                             ; =>This Inner Loop Header: Depth=1
	s_add_i32 s46, s4, 0x3f0
	scratch_load_dwordx4 v[32:35], off, s46
	v_add_u32_e32 v1, s4, v0
	ds_read2_b64 v[36:39], v1 offset0:112 offset1:113
	ds_read2_b64 v[40:43], v1 offset0:114 offset1:115
	s_add_i32 s47, s4, 0x400
	scratch_load_dwordx4 v[44:47], off, s47
	s_add_i32 s48, s4, 0x450
	s_waitcnt lgkmcnt(1)
	v_mul_f64 v[2:3], v[38:39], v[30:31]
	v_mul_f64 v[4:5], v[36:37], v[30:31]
	v_fma_f64 v[2:3], v[36:37], v[28:29], -v[2:3]
	v_fmac_f64_e32 v[4:5], v[38:39], v[28:29]
	s_add_i32 s5, s4, 0x460
	s_waitcnt vmcnt(1)
	v_add_f64 v[28:29], v[32:33], -v[2:3]
	v_add_f64 v[30:31], v[34:35], -v[4:5]
	scratch_store_dwordx4 off, v[28:31], s46
	scratch_load_dwordx4 v[28:31], off, off offset:96
	s_add_i32 s46, s4, 0x410
	s_waitcnt vmcnt(0) lgkmcnt(0)
	v_mul_f64 v[2:3], v[42:43], v[30:31]
	v_mul_f64 v[4:5], v[40:41], v[30:31]
	v_fma_f64 v[2:3], v[40:41], v[28:29], -v[2:3]
	v_fmac_f64_e32 v[4:5], v[42:43], v[28:29]
	v_add_f64 v[28:29], v[44:45], -v[2:3]
	v_add_f64 v[30:31], v[46:47], -v[4:5]
	scratch_store_dwordx4 off, v[28:31], s47
	scratch_load_dwordx4 v[28:31], off, off offset:96
	s_nop 0
	scratch_load_dwordx4 v[32:35], off, s46
	ds_read2_b64 v[36:39], v1 offset0:116 offset1:117
	ds_read2_b64 v[40:43], v1 offset0:118 offset1:119
	s_add_i32 s47, s4, 0x420
	scratch_load_dwordx4 v[44:47], off, s47
	s_waitcnt vmcnt(2) lgkmcnt(1)
	v_mul_f64 v[2:3], v[38:39], v[30:31]
	v_mul_f64 v[4:5], v[36:37], v[30:31]
	v_fma_f64 v[2:3], v[36:37], v[28:29], -v[2:3]
	v_fmac_f64_e32 v[4:5], v[38:39], v[28:29]
	s_waitcnt vmcnt(1)
	v_add_f64 v[28:29], v[32:33], -v[2:3]
	v_add_f64 v[30:31], v[34:35], -v[4:5]
	scratch_store_dwordx4 off, v[28:31], s46
	scratch_load_dwordx4 v[28:31], off, off offset:96
	s_add_i32 s46, s4, 0x430
	s_waitcnt vmcnt(0) lgkmcnt(0)
	v_mul_f64 v[2:3], v[42:43], v[30:31]
	v_mul_f64 v[4:5], v[40:41], v[30:31]
	v_fma_f64 v[2:3], v[40:41], v[28:29], -v[2:3]
	v_fmac_f64_e32 v[4:5], v[42:43], v[28:29]
	v_add_f64 v[28:29], v[44:45], -v[2:3]
	v_add_f64 v[30:31], v[46:47], -v[4:5]
	scratch_store_dwordx4 off, v[28:31], s47
	scratch_load_dwordx4 v[28:31], off, off offset:96
	s_nop 0
	scratch_load_dwordx4 v[32:35], off, s46
	ds_read2_b64 v[36:39], v1 offset0:120 offset1:121
	ds_read2_b64 v[40:43], v1 offset0:122 offset1:123
	s_add_i32 s47, s4, 0x440
	scratch_load_dwordx4 v[44:47], off, s47
	scratch_load_dwordx4 v[48:51], off, s48
	s_addk_i32 s4, 0x80
	s_cmp_lg_u32 s4, 0
	s_waitcnt vmcnt(3) lgkmcnt(1)
	v_mul_f64 v[2:3], v[38:39], v[30:31]
	v_mul_f64 v[4:5], v[36:37], v[30:31]
	v_fma_f64 v[2:3], v[36:37], v[28:29], -v[2:3]
	v_fmac_f64_e32 v[4:5], v[38:39], v[28:29]
	s_waitcnt vmcnt(2)
	v_add_f64 v[28:29], v[32:33], -v[2:3]
	v_add_f64 v[30:31], v[34:35], -v[4:5]
	scratch_store_dwordx4 off, v[28:31], s46
	scratch_load_dwordx4 v[28:31], off, off offset:96
	s_nop 0
	scratch_load_dwordx4 v[32:35], off, s5
	ds_read2_b64 v[36:39], v1 offset0:124 offset1:125
	ds_read2_b64 v[52:55], v1 offset0:126 offset1:127
	s_waitcnt vmcnt(1) lgkmcnt(2)
	v_mul_f64 v[2:3], v[42:43], v[30:31]
	v_mul_f64 v[4:5], v[40:41], v[30:31]
	s_waitcnt lgkmcnt(1)
	v_mul_f64 v[6:7], v[38:39], v[30:31]
	v_mul_f64 v[56:57], v[36:37], v[30:31]
	s_waitcnt lgkmcnt(0)
	v_mul_f64 v[58:59], v[54:55], v[30:31]
	v_mul_f64 v[60:61], v[52:53], v[30:31]
	v_fma_f64 v[2:3], v[40:41], v[28:29], -v[2:3]
	v_fmac_f64_e32 v[4:5], v[42:43], v[28:29]
	v_fma_f64 v[6:7], v[36:37], v[28:29], -v[6:7]
	v_fmac_f64_e32 v[56:57], v[38:39], v[28:29]
	;; [unrolled: 2-line block ×3, first 2 shown]
	v_add_f64 v[36:37], v[44:45], -v[2:3]
	v_add_f64 v[38:39], v[46:47], -v[4:5]
	;; [unrolled: 1-line block ×4, first 2 shown]
	s_waitcnt vmcnt(0)
	v_add_f64 v[32:33], v[32:33], -v[52:53]
	v_add_f64 v[34:35], v[34:35], -v[60:61]
	scratch_store_dwordx4 off, v[36:39], s47
	scratch_store_dwordx4 off, v[40:43], s48
	scratch_store_dwordx4 off, v[32:35], s5
	s_cbranch_scc1 .LBB125_92
.LBB125_93:
	s_or_b64 exec, exec, s[2:3]
	v_cmp_eq_u32_e32 vcc, 7, v254
	s_waitcnt lgkmcnt(0)
	s_barrier
	s_and_saveexec_b64 s[4:5], vcc
	s_cbranch_execz .LBB125_102
; %bb.94:
	scratch_load_dwordx4 v[28:31], off, s66
	v_add_u32_e32 v0, 0x80, v248
	s_movk_i32 s2, 0xfc90
	s_waitcnt vmcnt(0)
	ds_write2_b64 v252, v[28:29], v[30:31] offset1:1
.LBB125_95:                             ; =>This Inner Loop Header: Depth=1
	s_add_i32 s46, s2, 0x3f0
	s_add_i32 s47, s2, 0x400
	;; [unrolled: 1-line block ×11, first 2 shown]
	scratch_load_dwordx4 v[28:31], off, s46
	scratch_load_dwordx4 v[32:35], off, s47
	;; [unrolled: 1-line block ×11, first 2 shown]
	v_add_u32_e32 v1, s2, v0
	s_addk_i32 s2, 0xb0
	s_cmp_lg_u32 s2, 0
	s_waitcnt vmcnt(10)
	ds_write2_b64 v1, v[28:29], v[30:31] offset0:110 offset1:111
	s_waitcnt vmcnt(9)
	ds_write2_b64 v1, v[32:33], v[34:35] offset0:112 offset1:113
	s_waitcnt vmcnt(8)
	ds_write2_b64 v1, v[36:37], v[38:39] offset0:114 offset1:115
	s_waitcnt vmcnt(7)
	ds_write2_b64 v1, v[40:41], v[42:43] offset0:116 offset1:117
	s_waitcnt vmcnt(6)
	ds_write2_b64 v1, v[44:45], v[46:47] offset0:118 offset1:119
	s_waitcnt vmcnt(5)
	ds_write2_b64 v1, v[48:49], v[50:51] offset0:120 offset1:121
	s_waitcnt vmcnt(4)
	ds_write2_b64 v1, v[52:53], v[54:55] offset0:122 offset1:123
	s_waitcnt vmcnt(3)
	ds_write2_b64 v1, v[56:57], v[58:59] offset0:124 offset1:125
	s_waitcnt vmcnt(2)
	ds_write2_b64 v1, v[60:61], v[62:63] offset0:126 offset1:127
	s_waitcnt vmcnt(1)
	ds_write2_b64 v1, v[64:65], v[66:67] offset0:128 offset1:129
	s_waitcnt vmcnt(0)
	ds_write2_b64 v1, v[68:69], v[70:71] offset0:130 offset1:131
	s_cbranch_scc1 .LBB125_95
; %bb.96:
	ds_read2_b64 v[28:31], v252 offset1:1
	s_waitcnt lgkmcnt(0)
	v_cmp_neq_f64_e32 vcc, 0, v[28:29]
	v_cmp_neq_f64_e64 s[2:3], 0, v[30:31]
	s_or_b64 s[2:3], vcc, s[2:3]
	s_and_b64 exec, exec, s[2:3]
	s_cbranch_execz .LBB125_102
; %bb.97:
	v_cmp_ngt_f64_e64 s[2:3], |v[28:29]|, |v[30:31]|
                                        ; implicit-def: $vgpr0_vgpr1
	s_and_saveexec_b64 s[46:47], s[2:3]
	s_xor_b64 s[2:3], exec, s[46:47]
                                        ; implicit-def: $vgpr2_vgpr3
	s_cbranch_execz .LBB125_99
; %bb.98:
	v_div_scale_f64 v[0:1], s[46:47], v[30:31], v[30:31], v[28:29]
	v_rcp_f64_e32 v[2:3], v[0:1]
	v_div_scale_f64 v[4:5], vcc, v[28:29], v[30:31], v[28:29]
	v_fma_f64 v[6:7], -v[0:1], v[2:3], 1.0
	v_fmac_f64_e32 v[2:3], v[2:3], v[6:7]
	v_fma_f64 v[6:7], -v[0:1], v[2:3], 1.0
	v_fmac_f64_e32 v[2:3], v[2:3], v[6:7]
	v_mul_f64 v[6:7], v[4:5], v[2:3]
	v_fma_f64 v[0:1], -v[0:1], v[6:7], v[4:5]
	v_div_fmas_f64 v[0:1], v[0:1], v[2:3], v[6:7]
	v_div_fixup_f64 v[0:1], v[0:1], v[30:31], v[28:29]
	v_fmac_f64_e32 v[30:31], v[28:29], v[0:1]
	v_div_scale_f64 v[2:3], s[46:47], v[30:31], v[30:31], 1.0
	v_rcp_f64_e32 v[4:5], v[2:3]
	s_nop 0
	v_fma_f64 v[6:7], -v[2:3], v[4:5], 1.0
	v_fmac_f64_e32 v[4:5], v[4:5], v[6:7]
	v_fma_f64 v[6:7], -v[2:3], v[4:5], 1.0
	v_fmac_f64_e32 v[4:5], v[4:5], v[6:7]
	v_div_scale_f64 v[6:7], vcc, 1.0, v[30:31], 1.0
	v_mul_f64 v[28:29], v[6:7], v[4:5]
	v_fma_f64 v[2:3], -v[2:3], v[28:29], v[6:7]
	s_nop 1
	v_div_fmas_f64 v[2:3], v[2:3], v[4:5], v[28:29]
	v_div_fixup_f64 v[2:3], v[2:3], v[30:31], 1.0
	v_mul_f64 v[0:1], v[0:1], v[2:3]
	v_xor_b32_e32 v3, 0x80000000, v3
                                        ; implicit-def: $vgpr28_vgpr29
.LBB125_99:
	s_andn2_saveexec_b64 s[2:3], s[2:3]
	s_cbranch_execz .LBB125_101
; %bb.100:
	v_div_scale_f64 v[0:1], s[46:47], v[28:29], v[28:29], v[30:31]
	v_rcp_f64_e32 v[2:3], v[0:1]
	v_div_scale_f64 v[4:5], vcc, v[30:31], v[28:29], v[30:31]
	v_fma_f64 v[6:7], -v[0:1], v[2:3], 1.0
	v_fmac_f64_e32 v[2:3], v[2:3], v[6:7]
	v_fma_f64 v[6:7], -v[0:1], v[2:3], 1.0
	v_fmac_f64_e32 v[2:3], v[2:3], v[6:7]
	v_mul_f64 v[6:7], v[4:5], v[2:3]
	v_fma_f64 v[0:1], -v[0:1], v[6:7], v[4:5]
	v_div_fmas_f64 v[0:1], v[0:1], v[2:3], v[6:7]
	v_div_fixup_f64 v[2:3], v[0:1], v[28:29], v[30:31]
	v_fmac_f64_e32 v[28:29], v[30:31], v[2:3]
	v_div_scale_f64 v[0:1], s[46:47], v[28:29], v[28:29], 1.0
	v_rcp_f64_e32 v[4:5], v[0:1]
	s_nop 0
	v_fma_f64 v[6:7], -v[0:1], v[4:5], 1.0
	v_fmac_f64_e32 v[4:5], v[4:5], v[6:7]
	v_fma_f64 v[6:7], -v[0:1], v[4:5], 1.0
	v_fmac_f64_e32 v[4:5], v[4:5], v[6:7]
	v_div_scale_f64 v[6:7], vcc, 1.0, v[28:29], 1.0
	v_mul_f64 v[30:31], v[6:7], v[4:5]
	v_fma_f64 v[0:1], -v[0:1], v[30:31], v[6:7]
	s_nop 1
	v_div_fmas_f64 v[0:1], v[0:1], v[4:5], v[30:31]
	v_div_fixup_f64 v[0:1], v[0:1], v[28:29], 1.0
	v_mul_f64 v[2:3], v[2:3], -v[0:1]
.LBB125_101:
	s_or_b64 exec, exec, s[2:3]
	ds_write2_b64 v252, v[0:1], v[2:3] offset1:1
.LBB125_102:
	s_or_b64 exec, exec, s[4:5]
	s_waitcnt lgkmcnt(0)
	s_barrier
	ds_read2_b64 v[28:31], v252 offset1:1
	v_cmp_lt_u32_e32 vcc, 7, v254
	s_and_saveexec_b64 s[2:3], vcc
	s_cbranch_execz .LBB125_105
; %bb.103:
	scratch_load_dwordx4 v[32:35], off, off offset:112
	v_add_u32_e32 v0, 0x80, v248
	s_movk_i32 s4, 0xfc90
	s_waitcnt vmcnt(0) lgkmcnt(0)
	v_mul_f64 v[2:3], v[30:31], v[34:35]
	v_mul_f64 v[36:37], v[28:29], v[34:35]
	v_fma_f64 v[34:35], v[28:29], v[32:33], -v[2:3]
	v_fmac_f64_e32 v[36:37], v[30:31], v[32:33]
	scratch_store_dwordx4 off, v[34:37], off offset:112
.LBB125_104:                            ; =>This Inner Loop Header: Depth=1
	scratch_load_dwordx4 v[32:35], off, off offset:112
	s_add_i32 s46, s4, 0x3f0
	scratch_load_dwordx4 v[36:39], off, s46
	v_add_u32_e32 v1, s4, v0
	ds_read2_b64 v[40:43], v1 offset0:110 offset1:111
	ds_read2_b64 v[44:47], v1 offset0:112 offset1:113
	s_add_i32 s47, s4, 0x400
	s_add_i32 s48, s4, 0x430
	scratch_load_dwordx4 v[48:51], off, s47
	scratch_load_dwordx4 v[52:55], off, s48
	s_add_i32 s5, s4, 0x420
	s_waitcnt vmcnt(3) lgkmcnt(1)
	v_mul_f64 v[2:3], v[42:43], v[34:35]
	v_mul_f64 v[4:5], v[40:41], v[34:35]
	v_fma_f64 v[2:3], v[40:41], v[32:33], -v[2:3]
	v_fmac_f64_e32 v[4:5], v[42:43], v[32:33]
	s_waitcnt vmcnt(2)
	v_add_f64 v[32:33], v[36:37], -v[2:3]
	v_add_f64 v[34:35], v[38:39], -v[4:5]
	scratch_store_dwordx4 off, v[32:35], s46
	scratch_load_dwordx4 v[32:35], off, off offset:112
	s_add_i32 s46, s4, 0x410
	s_addk_i32 s4, 0x50
	s_cmp_lg_u32 s4, 0
	s_waitcnt vmcnt(0) lgkmcnt(0)
	v_mul_f64 v[2:3], v[46:47], v[34:35]
	v_mul_f64 v[4:5], v[44:45], v[34:35]
	v_fma_f64 v[2:3], v[44:45], v[32:33], -v[2:3]
	v_fmac_f64_e32 v[4:5], v[46:47], v[32:33]
	v_add_f64 v[32:33], v[48:49], -v[2:3]
	v_add_f64 v[34:35], v[50:51], -v[4:5]
	scratch_store_dwordx4 off, v[32:35], s47
	scratch_load_dwordx4 v[32:35], off, off offset:112
	s_nop 0
	scratch_load_dwordx4 v[36:39], off, s46
	ds_read2_b64 v[40:43], v1 offset0:114 offset1:115
	ds_read2_b64 v[44:47], v1 offset0:116 offset1:117
	scratch_load_dwordx4 v[48:51], off, s5
	s_waitcnt vmcnt(2) lgkmcnt(1)
	v_mul_f64 v[2:3], v[42:43], v[34:35]
	v_mul_f64 v[4:5], v[40:41], v[34:35]
	v_fma_f64 v[2:3], v[40:41], v[32:33], -v[2:3]
	v_fmac_f64_e32 v[4:5], v[42:43], v[32:33]
	s_waitcnt vmcnt(1)
	v_add_f64 v[32:33], v[36:37], -v[2:3]
	v_add_f64 v[34:35], v[38:39], -v[4:5]
	scratch_store_dwordx4 off, v[32:35], s46
	scratch_load_dwordx4 v[32:35], off, off offset:112
	ds_read2_b64 v[36:39], v1 offset0:118 offset1:119
	s_waitcnt vmcnt(0) lgkmcnt(1)
	v_mul_f64 v[2:3], v[46:47], v[34:35]
	v_mul_f64 v[4:5], v[44:45], v[34:35]
	v_fma_f64 v[2:3], v[44:45], v[32:33], -v[2:3]
	v_fmac_f64_e32 v[4:5], v[46:47], v[32:33]
	v_add_f64 v[32:33], v[48:49], -v[2:3]
	v_add_f64 v[34:35], v[50:51], -v[4:5]
	scratch_store_dwordx4 off, v[32:35], s5
	scratch_load_dwordx4 v[32:35], off, off offset:112
	s_waitcnt vmcnt(0) lgkmcnt(0)
	v_mul_f64 v[2:3], v[38:39], v[34:35]
	v_mul_f64 v[4:5], v[36:37], v[34:35]
	v_fma_f64 v[2:3], v[36:37], v[32:33], -v[2:3]
	v_fmac_f64_e32 v[4:5], v[38:39], v[32:33]
	v_add_f64 v[32:33], v[52:53], -v[2:3]
	v_add_f64 v[34:35], v[54:55], -v[4:5]
	scratch_store_dwordx4 off, v[32:35], s48
	s_cbranch_scc1 .LBB125_104
.LBB125_105:
	s_or_b64 exec, exec, s[2:3]
	v_cmp_eq_u32_e32 vcc, 8, v254
	s_waitcnt lgkmcnt(0)
	s_barrier
	s_and_saveexec_b64 s[4:5], vcc
	s_cbranch_execz .LBB125_114
; %bb.106:
	scratch_load_dwordx4 v[32:35], off, s65
	v_add_u32_e32 v0, 0x90, v248
	s_movk_i32 s2, 0xfca0
	s_waitcnt vmcnt(0)
	ds_write2_b64 v252, v[32:33], v[34:35] offset1:1
.LBB125_107:                            ; =>This Inner Loop Header: Depth=1
	s_add_i32 s46, s2, 0x3f0
	s_add_i32 s47, s2, 0x400
	;; [unrolled: 1-line block ×18, first 2 shown]
	scratch_load_dwordx4 v[32:35], off, s46
	scratch_load_dwordx4 v[36:39], off, s47
	;; [unrolled: 1-line block ×18, first 2 shown]
	v_add_u32_e32 v1, s2, v0
	s_addk_i32 s2, 0x120
	s_cmp_lg_u32 s2, 0
	s_waitcnt vmcnt(17)
	ds_write2_b64 v1, v[32:33], v[34:35] offset0:108 offset1:109
	s_waitcnt vmcnt(16)
	ds_write2_b64 v1, v[36:37], v[38:39] offset0:110 offset1:111
	;; [unrolled: 2-line block ×18, first 2 shown]
	s_cbranch_scc1 .LBB125_107
; %bb.108:
	ds_read2_b64 v[32:35], v252 offset1:1
	s_waitcnt lgkmcnt(0)
	v_cmp_neq_f64_e32 vcc, 0, v[32:33]
	v_cmp_neq_f64_e64 s[2:3], 0, v[34:35]
	s_or_b64 s[2:3], vcc, s[2:3]
	s_and_b64 exec, exec, s[2:3]
	s_cbranch_execz .LBB125_114
; %bb.109:
	v_cmp_ngt_f64_e64 s[2:3], |v[32:33]|, |v[34:35]|
                                        ; implicit-def: $vgpr0_vgpr1
	s_and_saveexec_b64 s[46:47], s[2:3]
	s_xor_b64 s[2:3], exec, s[46:47]
                                        ; implicit-def: $vgpr2_vgpr3
	s_cbranch_execz .LBB125_111
; %bb.110:
	v_div_scale_f64 v[0:1], s[46:47], v[34:35], v[34:35], v[32:33]
	v_rcp_f64_e32 v[2:3], v[0:1]
	v_div_scale_f64 v[4:5], vcc, v[32:33], v[34:35], v[32:33]
	v_fma_f64 v[6:7], -v[0:1], v[2:3], 1.0
	v_fmac_f64_e32 v[2:3], v[2:3], v[6:7]
	v_fma_f64 v[6:7], -v[0:1], v[2:3], 1.0
	v_fmac_f64_e32 v[2:3], v[2:3], v[6:7]
	v_mul_f64 v[6:7], v[4:5], v[2:3]
	v_fma_f64 v[0:1], -v[0:1], v[6:7], v[4:5]
	v_div_fmas_f64 v[0:1], v[0:1], v[2:3], v[6:7]
	v_div_fixup_f64 v[0:1], v[0:1], v[34:35], v[32:33]
	v_fmac_f64_e32 v[34:35], v[32:33], v[0:1]
	v_div_scale_f64 v[2:3], s[46:47], v[34:35], v[34:35], 1.0
	v_rcp_f64_e32 v[4:5], v[2:3]
	s_nop 0
	v_fma_f64 v[6:7], -v[2:3], v[4:5], 1.0
	v_fmac_f64_e32 v[4:5], v[4:5], v[6:7]
	v_fma_f64 v[6:7], -v[2:3], v[4:5], 1.0
	v_fmac_f64_e32 v[4:5], v[4:5], v[6:7]
	v_div_scale_f64 v[6:7], vcc, 1.0, v[34:35], 1.0
	v_mul_f64 v[32:33], v[6:7], v[4:5]
	v_fma_f64 v[2:3], -v[2:3], v[32:33], v[6:7]
	s_nop 1
	v_div_fmas_f64 v[2:3], v[2:3], v[4:5], v[32:33]
	v_div_fixup_f64 v[2:3], v[2:3], v[34:35], 1.0
	v_mul_f64 v[0:1], v[0:1], v[2:3]
	v_xor_b32_e32 v3, 0x80000000, v3
                                        ; implicit-def: $vgpr32_vgpr33
.LBB125_111:
	s_andn2_saveexec_b64 s[2:3], s[2:3]
	s_cbranch_execz .LBB125_113
; %bb.112:
	v_div_scale_f64 v[0:1], s[46:47], v[32:33], v[32:33], v[34:35]
	v_rcp_f64_e32 v[2:3], v[0:1]
	v_div_scale_f64 v[4:5], vcc, v[34:35], v[32:33], v[34:35]
	v_fma_f64 v[6:7], -v[0:1], v[2:3], 1.0
	v_fmac_f64_e32 v[2:3], v[2:3], v[6:7]
	v_fma_f64 v[6:7], -v[0:1], v[2:3], 1.0
	v_fmac_f64_e32 v[2:3], v[2:3], v[6:7]
	v_mul_f64 v[6:7], v[4:5], v[2:3]
	v_fma_f64 v[0:1], -v[0:1], v[6:7], v[4:5]
	v_div_fmas_f64 v[0:1], v[0:1], v[2:3], v[6:7]
	v_div_fixup_f64 v[2:3], v[0:1], v[32:33], v[34:35]
	v_fmac_f64_e32 v[32:33], v[34:35], v[2:3]
	v_div_scale_f64 v[0:1], s[46:47], v[32:33], v[32:33], 1.0
	v_rcp_f64_e32 v[4:5], v[0:1]
	s_nop 0
	v_fma_f64 v[6:7], -v[0:1], v[4:5], 1.0
	v_fmac_f64_e32 v[4:5], v[4:5], v[6:7]
	v_fma_f64 v[6:7], -v[0:1], v[4:5], 1.0
	v_fmac_f64_e32 v[4:5], v[4:5], v[6:7]
	v_div_scale_f64 v[6:7], vcc, 1.0, v[32:33], 1.0
	v_mul_f64 v[34:35], v[6:7], v[4:5]
	v_fma_f64 v[0:1], -v[0:1], v[34:35], v[6:7]
	s_nop 1
	v_div_fmas_f64 v[0:1], v[0:1], v[4:5], v[34:35]
	v_div_fixup_f64 v[0:1], v[0:1], v[32:33], 1.0
	v_mul_f64 v[2:3], v[2:3], -v[0:1]
.LBB125_113:
	s_or_b64 exec, exec, s[2:3]
	ds_write2_b64 v252, v[0:1], v[2:3] offset1:1
.LBB125_114:
	s_or_b64 exec, exec, s[4:5]
	s_waitcnt lgkmcnt(0)
	s_barrier
	ds_read2_b64 v[32:35], v252 offset1:1
	v_cmp_lt_u32_e32 vcc, 8, v254
	s_and_saveexec_b64 s[2:3], vcc
	s_cbranch_execz .LBB125_117
; %bb.115:
	scratch_load_dwordx4 v[40:43], off, off offset:128
	v_add_u32_e32 v0, 0x90, v248
	s_movk_i32 s4, 0xfca0
	s_waitcnt vmcnt(0) lgkmcnt(0)
	v_mul_f64 v[2:3], v[34:35], v[42:43]
	v_mul_f64 v[38:39], v[32:33], v[42:43]
	v_fma_f64 v[36:37], v[32:33], v[40:41], -v[2:3]
	v_fmac_f64_e32 v[38:39], v[34:35], v[40:41]
	scratch_store_dwordx4 off, v[36:39], off offset:128
.LBB125_116:                            ; =>This Inner Loop Header: Depth=1
	s_add_i32 s47, s4, 0x3f0
	scratch_load_dwordx4 v[40:43], off, s47
	v_add_u32_e32 v1, s4, v0
	ds_read2_b64 v[44:47], v1 offset0:108 offset1:109
	ds_read2_b64 v[48:51], v1 offset0:110 offset1:111
	s_add_i32 s46, s4, 0x400
	scratch_load_dwordx4 v[52:55], off, s46
	s_add_i32 s48, s4, 0x470
	s_waitcnt lgkmcnt(1)
	v_mul_f64 v[2:3], v[46:47], v[38:39]
	v_mul_f64 v[4:5], v[44:45], v[38:39]
	v_fma_f64 v[2:3], v[44:45], v[36:37], -v[2:3]
	v_fmac_f64_e32 v[4:5], v[46:47], v[36:37]
	s_add_i32 s5, s4, 0x460
	s_waitcnt vmcnt(1)
	v_add_f64 v[36:37], v[40:41], -v[2:3]
	v_add_f64 v[38:39], v[42:43], -v[4:5]
	scratch_store_dwordx4 off, v[36:39], s47
	scratch_load_dwordx4 v[36:39], off, off offset:128
	s_add_i32 s47, s4, 0x410
	scratch_load_dwordx4 v[40:43], off, s48
	s_waitcnt vmcnt(1) lgkmcnt(0)
	v_mul_f64 v[2:3], v[50:51], v[38:39]
	v_mul_f64 v[4:5], v[48:49], v[38:39]
	v_fma_f64 v[2:3], v[48:49], v[36:37], -v[2:3]
	v_fmac_f64_e32 v[4:5], v[50:51], v[36:37]
	v_add_f64 v[36:37], v[52:53], -v[2:3]
	v_add_f64 v[38:39], v[54:55], -v[4:5]
	scratch_store_dwordx4 off, v[36:39], s46
	scratch_load_dwordx4 v[36:39], off, off offset:128
	s_nop 0
	scratch_load_dwordx4 v[44:47], off, s47
	ds_read2_b64 v[48:51], v1 offset0:112 offset1:113
	ds_read2_b64 v[52:55], v1 offset0:114 offset1:115
	s_add_i32 s46, s4, 0x420
	scratch_load_dwordx4 v[56:59], off, s46
	s_waitcnt vmcnt(2) lgkmcnt(1)
	v_mul_f64 v[2:3], v[50:51], v[38:39]
	v_mul_f64 v[4:5], v[48:49], v[38:39]
	v_fma_f64 v[2:3], v[48:49], v[36:37], -v[2:3]
	v_fmac_f64_e32 v[4:5], v[50:51], v[36:37]
	s_waitcnt vmcnt(1)
	v_add_f64 v[36:37], v[44:45], -v[2:3]
	v_add_f64 v[38:39], v[46:47], -v[4:5]
	scratch_store_dwordx4 off, v[36:39], s47
	scratch_load_dwordx4 v[36:39], off, off offset:128
	s_add_i32 s47, s4, 0x430
	s_waitcnt vmcnt(0) lgkmcnt(0)
	v_mul_f64 v[2:3], v[54:55], v[38:39]
	v_mul_f64 v[4:5], v[52:53], v[38:39]
	v_fma_f64 v[2:3], v[52:53], v[36:37], -v[2:3]
	v_fmac_f64_e32 v[4:5], v[54:55], v[36:37]
	v_add_f64 v[36:37], v[56:57], -v[2:3]
	v_add_f64 v[38:39], v[58:59], -v[4:5]
	scratch_store_dwordx4 off, v[36:39], s46
	scratch_load_dwordx4 v[36:39], off, off offset:128
	s_nop 0
	scratch_load_dwordx4 v[44:47], off, s47
	ds_read2_b64 v[48:51], v1 offset0:116 offset1:117
	ds_read2_b64 v[52:55], v1 offset0:118 offset1:119
	s_add_i32 s46, s4, 0x440
	scratch_load_dwordx4 v[56:59], off, s46
	s_waitcnt vmcnt(2) lgkmcnt(1)
	v_mul_f64 v[2:3], v[50:51], v[38:39]
	v_mul_f64 v[4:5], v[48:49], v[38:39]
	v_fma_f64 v[2:3], v[48:49], v[36:37], -v[2:3]
	v_fmac_f64_e32 v[4:5], v[50:51], v[36:37]
	s_waitcnt vmcnt(1)
	v_add_f64 v[36:37], v[44:45], -v[2:3]
	v_add_f64 v[38:39], v[46:47], -v[4:5]
	scratch_store_dwordx4 off, v[36:39], s47
	scratch_load_dwordx4 v[36:39], off, off offset:128
	s_add_i32 s47, s4, 0x450
	s_addk_i32 s4, 0x90
	s_cmp_lg_u32 s4, 0
	s_waitcnt vmcnt(0) lgkmcnt(0)
	v_mul_f64 v[2:3], v[54:55], v[38:39]
	v_mul_f64 v[4:5], v[52:53], v[38:39]
	v_fma_f64 v[2:3], v[52:53], v[36:37], -v[2:3]
	v_fmac_f64_e32 v[4:5], v[54:55], v[36:37]
	v_add_f64 v[36:37], v[56:57], -v[2:3]
	v_add_f64 v[38:39], v[58:59], -v[4:5]
	scratch_store_dwordx4 off, v[36:39], s46
	scratch_load_dwordx4 v[36:39], off, off offset:128
	s_nop 0
	scratch_load_dwordx4 v[44:47], off, s47
	ds_read2_b64 v[48:51], v1 offset0:120 offset1:121
	ds_read2_b64 v[52:55], v1 offset0:122 offset1:123
	scratch_load_dwordx4 v[56:59], off, s5
	s_waitcnt vmcnt(2) lgkmcnt(1)
	v_mul_f64 v[2:3], v[50:51], v[38:39]
	v_mul_f64 v[4:5], v[48:49], v[38:39]
	v_fma_f64 v[2:3], v[48:49], v[36:37], -v[2:3]
	v_fmac_f64_e32 v[4:5], v[50:51], v[36:37]
	s_waitcnt vmcnt(1)
	v_add_f64 v[36:37], v[44:45], -v[2:3]
	v_add_f64 v[38:39], v[46:47], -v[4:5]
	scratch_store_dwordx4 off, v[36:39], s47
	scratch_load_dwordx4 v[36:39], off, off offset:128
	ds_read2_b64 v[44:47], v1 offset0:124 offset1:125
	s_waitcnt vmcnt(0) lgkmcnt(1)
	v_mul_f64 v[2:3], v[54:55], v[38:39]
	v_mul_f64 v[4:5], v[52:53], v[38:39]
	s_waitcnt lgkmcnt(0)
	v_mul_f64 v[6:7], v[46:47], v[38:39]
	v_mul_f64 v[48:49], v[44:45], v[38:39]
	v_fma_f64 v[2:3], v[52:53], v[36:37], -v[2:3]
	v_fmac_f64_e32 v[4:5], v[54:55], v[36:37]
	v_fma_f64 v[6:7], v[44:45], v[36:37], -v[6:7]
	v_fmac_f64_e32 v[48:49], v[46:47], v[36:37]
	v_add_f64 v[44:45], v[56:57], -v[2:3]
	v_add_f64 v[46:47], v[58:59], -v[4:5]
	;; [unrolled: 1-line block ×4, first 2 shown]
	scratch_store_dwordx4 off, v[44:47], s5
	scratch_store_dwordx4 off, v[40:43], s48
	s_cbranch_scc1 .LBB125_116
.LBB125_117:
	s_or_b64 exec, exec, s[2:3]
	v_cmp_eq_u32_e32 vcc, 9, v254
	s_waitcnt lgkmcnt(0)
	s_barrier
	s_and_saveexec_b64 s[4:5], vcc
	s_cbranch_execz .LBB125_128
; %bb.118:
	scratch_load_dwordx4 v[0:3], off, s64
	s_mov_b32 s46, 0
	s_waitcnt vmcnt(0)
	ds_write2_b64 v252, v[0:1], v[2:3] offset1:1
	v_add_u32_e32 v0, 0xa0, v248
	s_branch .LBB125_120
.LBB125_119:                            ;   in Loop: Header=BB125_120 Depth=1
	s_andn2_b64 vcc, exec, s[2:3]
	s_cbranch_vccz .LBB125_122
.LBB125_120:                            ; =>This Inner Loop Header: Depth=1
	s_add_i32 s2, s46, 0xa0
	s_add_i32 s3, s46, 0xb0
	scratch_load_dwordx4 v[36:39], off, s2
	scratch_load_dwordx4 v[40:43], off, s3
	s_add_i32 s2, s46, 0xc0
	s_add_i32 s3, s46, 0xd0
	scratch_load_dwordx4 v[44:47], off, s2
	scratch_load_dwordx4 v[48:51], off, s3
	s_add_i32 s2, s46, 0xe0
	scratch_load_dwordx4 v[52:55], off, s2
	s_mov_b32 s47, s46
	v_add_u32_e32 v1, s46, v0
	s_cmpk_eq_i32 s46, 0x300
	s_mov_b64 s[2:3], -1
	s_waitcnt vmcnt(4)
	ds_write2_b64 v1, v[36:37], v[38:39] offset1:1
	s_waitcnt vmcnt(3)
	ds_write2_b64 v1, v[40:41], v[42:43] offset0:2 offset1:3
	s_waitcnt vmcnt(2)
	ds_write2_b64 v1, v[44:45], v[46:47] offset0:4 offset1:5
	;; [unrolled: 2-line block ×4, first 2 shown]
	s_cbranch_scc1 .LBB125_119
; %bb.121:                              ;   in Loop: Header=BB125_120 Depth=1
	s_add_i32 s2, s47, 0xf0
	s_add_i32 s3, s47, 0x100
	scratch_load_dwordx4 v[36:39], off, s2
	scratch_load_dwordx4 v[40:43], off, s3
	s_addk_i32 s47, 0x110
	scratch_load_dwordx4 v[44:47], off, s47
	s_addk_i32 s46, 0x80
	s_mov_b64 s[2:3], 0
	s_waitcnt vmcnt(2)
	ds_write2_b64 v1, v[36:37], v[38:39] offset0:10 offset1:11
	s_waitcnt vmcnt(1)
	ds_write2_b64 v1, v[40:41], v[42:43] offset0:12 offset1:13
	;; [unrolled: 2-line block ×3, first 2 shown]
	s_branch .LBB125_119
.LBB125_122:
	ds_read2_b64 v[36:39], v252 offset1:1
	s_waitcnt lgkmcnt(0)
	v_cmp_neq_f64_e32 vcc, 0, v[36:37]
	v_cmp_neq_f64_e64 s[2:3], 0, v[38:39]
	s_or_b64 s[2:3], vcc, s[2:3]
	s_and_b64 exec, exec, s[2:3]
	s_cbranch_execz .LBB125_128
; %bb.123:
	v_cmp_ngt_f64_e64 s[2:3], |v[36:37]|, |v[38:39]|
                                        ; implicit-def: $vgpr0_vgpr1
	s_and_saveexec_b64 s[46:47], s[2:3]
	s_xor_b64 s[2:3], exec, s[46:47]
                                        ; implicit-def: $vgpr2_vgpr3
	s_cbranch_execz .LBB125_125
; %bb.124:
	v_div_scale_f64 v[0:1], s[46:47], v[38:39], v[38:39], v[36:37]
	v_rcp_f64_e32 v[2:3], v[0:1]
	v_div_scale_f64 v[4:5], vcc, v[36:37], v[38:39], v[36:37]
	v_fma_f64 v[6:7], -v[0:1], v[2:3], 1.0
	v_fmac_f64_e32 v[2:3], v[2:3], v[6:7]
	v_fma_f64 v[6:7], -v[0:1], v[2:3], 1.0
	v_fmac_f64_e32 v[2:3], v[2:3], v[6:7]
	v_mul_f64 v[6:7], v[4:5], v[2:3]
	v_fma_f64 v[0:1], -v[0:1], v[6:7], v[4:5]
	v_div_fmas_f64 v[0:1], v[0:1], v[2:3], v[6:7]
	v_div_fixup_f64 v[0:1], v[0:1], v[38:39], v[36:37]
	v_fmac_f64_e32 v[38:39], v[36:37], v[0:1]
	v_div_scale_f64 v[2:3], s[46:47], v[38:39], v[38:39], 1.0
	v_rcp_f64_e32 v[4:5], v[2:3]
	s_nop 0
	v_fma_f64 v[6:7], -v[2:3], v[4:5], 1.0
	v_fmac_f64_e32 v[4:5], v[4:5], v[6:7]
	v_fma_f64 v[6:7], -v[2:3], v[4:5], 1.0
	v_fmac_f64_e32 v[4:5], v[4:5], v[6:7]
	v_div_scale_f64 v[6:7], vcc, 1.0, v[38:39], 1.0
	v_mul_f64 v[36:37], v[6:7], v[4:5]
	v_fma_f64 v[2:3], -v[2:3], v[36:37], v[6:7]
	s_nop 1
	v_div_fmas_f64 v[2:3], v[2:3], v[4:5], v[36:37]
	v_div_fixup_f64 v[2:3], v[2:3], v[38:39], 1.0
	v_mul_f64 v[0:1], v[0:1], v[2:3]
	v_xor_b32_e32 v3, 0x80000000, v3
                                        ; implicit-def: $vgpr36_vgpr37
.LBB125_125:
	s_andn2_saveexec_b64 s[2:3], s[2:3]
	s_cbranch_execz .LBB125_127
; %bb.126:
	v_div_scale_f64 v[0:1], s[46:47], v[36:37], v[36:37], v[38:39]
	v_rcp_f64_e32 v[2:3], v[0:1]
	v_div_scale_f64 v[4:5], vcc, v[38:39], v[36:37], v[38:39]
	v_fma_f64 v[6:7], -v[0:1], v[2:3], 1.0
	v_fmac_f64_e32 v[2:3], v[2:3], v[6:7]
	v_fma_f64 v[6:7], -v[0:1], v[2:3], 1.0
	v_fmac_f64_e32 v[2:3], v[2:3], v[6:7]
	v_mul_f64 v[6:7], v[4:5], v[2:3]
	v_fma_f64 v[0:1], -v[0:1], v[6:7], v[4:5]
	v_div_fmas_f64 v[0:1], v[0:1], v[2:3], v[6:7]
	v_div_fixup_f64 v[2:3], v[0:1], v[36:37], v[38:39]
	v_fmac_f64_e32 v[36:37], v[38:39], v[2:3]
	v_div_scale_f64 v[0:1], s[46:47], v[36:37], v[36:37], 1.0
	v_rcp_f64_e32 v[4:5], v[0:1]
	s_nop 0
	v_fma_f64 v[6:7], -v[0:1], v[4:5], 1.0
	v_fmac_f64_e32 v[4:5], v[4:5], v[6:7]
	v_fma_f64 v[6:7], -v[0:1], v[4:5], 1.0
	v_fmac_f64_e32 v[4:5], v[4:5], v[6:7]
	v_div_scale_f64 v[6:7], vcc, 1.0, v[36:37], 1.0
	v_mul_f64 v[38:39], v[6:7], v[4:5]
	v_fma_f64 v[0:1], -v[0:1], v[38:39], v[6:7]
	s_nop 1
	v_div_fmas_f64 v[0:1], v[0:1], v[4:5], v[38:39]
	v_div_fixup_f64 v[0:1], v[0:1], v[36:37], 1.0
	v_mul_f64 v[2:3], v[2:3], -v[0:1]
.LBB125_127:
	s_or_b64 exec, exec, s[2:3]
	ds_write2_b64 v252, v[0:1], v[2:3] offset1:1
.LBB125_128:
	s_or_b64 exec, exec, s[4:5]
	s_waitcnt lgkmcnt(0)
	s_barrier
	ds_read2_b64 v[36:39], v252 offset1:1
	v_cmp_lt_u32_e32 vcc, 9, v254
	s_and_saveexec_b64 s[2:3], vcc
	s_cbranch_execz .LBB125_133
; %bb.129:
	scratch_load_dwordx4 v[0:3], off, off offset:144
	s_mov_b32 s72, 0
	s_waitcnt vmcnt(0) lgkmcnt(0)
	v_mul_f64 v[4:5], v[38:39], v[2:3]
	v_mul_f64 v[42:43], v[36:37], v[2:3]
	v_fma_f64 v[40:41], v[36:37], v[0:1], -v[4:5]
	v_fmac_f64_e32 v[42:43], v[38:39], v[0:1]
	v_add_u32_e32 v0, 0xa0, v248
	scratch_store_dwordx4 off, v[40:43], off offset:144
	s_branch .LBB125_131
.LBB125_130:                            ;   in Loop: Header=BB125_131 Depth=1
	s_andn2_b64 vcc, exec, s[4:5]
	s_cbranch_vccz .LBB125_133
.LBB125_131:                            ; =>This Inner Loop Header: Depth=1
	s_add_i32 s4, s72, 0xa0
	scratch_load_dwordx4 v[44:47], off, s4
	s_add_i32 s5, s72, 0xb0
	s_add_i32 s47, s72, 0xc0
	;; [unrolled: 1-line block ×4, first 2 shown]
	scratch_load_dwordx4 v[48:51], off, s5
	scratch_load_dwordx4 v[52:55], off, s47
	;; [unrolled: 1-line block ×4, first 2 shown]
	v_add_u32_e32 v1, s72, v0
	ds_read2_b64 v[64:67], v1 offset1:1
	ds_read2_b64 v[68:71], v1 offset0:2 offset1:3
	ds_read2_b64 v[72:75], v1 offset0:4 offset1:5
	;; [unrolled: 1-line block ×4, first 2 shown]
	s_waitcnt lgkmcnt(4)
	v_mul_f64 v[2:3], v[66:67], v[42:43]
	v_mul_f64 v[4:5], v[64:65], v[42:43]
	s_waitcnt lgkmcnt(3)
	v_mul_f64 v[6:7], v[70:71], v[42:43]
	v_mul_f64 v[84:85], v[68:69], v[42:43]
	;; [unrolled: 3-line block ×5, first 2 shown]
	v_fma_f64 v[2:3], v[64:65], v[40:41], -v[2:3]
	v_fmac_f64_e32 v[4:5], v[66:67], v[40:41]
	v_fma_f64 v[6:7], v[68:69], v[40:41], -v[6:7]
	v_fmac_f64_e32 v[84:85], v[70:71], v[40:41]
	v_fma_f64 v[64:65], v[72:73], v[40:41], -v[86:87]
	v_fmac_f64_e32 v[88:89], v[74:75], v[40:41]
	v_fma_f64 v[66:67], v[76:77], v[40:41], -v[90:91]
	v_fmac_f64_e32 v[92:93], v[78:79], v[40:41]
	v_fma_f64 v[68:69], v[80:81], v[40:41], -v[94:95]
	v_fmac_f64_e32 v[96:97], v[82:83], v[40:41]
	s_mov_b32 s46, s72
	s_cmpk_eq_i32 s72, 0x300
	s_waitcnt vmcnt(4)
	v_add_f64 v[44:45], v[44:45], -v[2:3]
	v_add_f64 v[46:47], v[46:47], -v[4:5]
	s_waitcnt vmcnt(3)
	v_add_f64 v[48:49], v[48:49], -v[6:7]
	v_add_f64 v[50:51], v[50:51], -v[84:85]
	;; [unrolled: 3-line block ×5, first 2 shown]
	scratch_store_dwordx4 off, v[44:47], s4
	scratch_store_dwordx4 off, v[48:51], s5
	;; [unrolled: 1-line block ×5, first 2 shown]
	s_mov_b64 s[4:5], -1
	s_cbranch_scc1 .LBB125_130
; %bb.132:                              ;   in Loop: Header=BB125_131 Depth=1
	s_add_i32 s4, s46, 0xf0
	scratch_load_dwordx4 v[44:47], off, s4
	s_add_i32 s5, s46, 0x100
	s_addk_i32 s46, 0x110
	scratch_load_dwordx4 v[48:51], off, s5
	scratch_load_dwordx4 v[52:55], off, s46
	ds_read2_b64 v[56:59], v1 offset0:10 offset1:11
	ds_read2_b64 v[60:63], v1 offset0:12 offset1:13
	;; [unrolled: 1-line block ×3, first 2 shown]
	s_addk_i32 s72, 0x80
	s_waitcnt lgkmcnt(2)
	v_mul_f64 v[2:3], v[58:59], v[42:43]
	v_mul_f64 v[4:5], v[56:57], v[42:43]
	s_waitcnt lgkmcnt(1)
	v_mul_f64 v[6:7], v[62:63], v[42:43]
	v_mul_f64 v[68:69], v[60:61], v[42:43]
	;; [unrolled: 3-line block ×3, first 2 shown]
	v_fma_f64 v[2:3], v[56:57], v[40:41], -v[2:3]
	v_fmac_f64_e32 v[4:5], v[58:59], v[40:41]
	v_fma_f64 v[6:7], v[60:61], v[40:41], -v[6:7]
	v_fmac_f64_e32 v[68:69], v[62:63], v[40:41]
	v_fma_f64 v[56:57], v[64:65], v[40:41], -v[70:71]
	v_fmac_f64_e32 v[72:73], v[66:67], v[40:41]
	s_waitcnt vmcnt(2)
	v_add_f64 v[44:45], v[44:45], -v[2:3]
	v_add_f64 v[46:47], v[46:47], -v[4:5]
	s_waitcnt vmcnt(1)
	v_add_f64 v[48:49], v[48:49], -v[6:7]
	v_add_f64 v[50:51], v[50:51], -v[68:69]
	;; [unrolled: 3-line block ×3, first 2 shown]
	scratch_store_dwordx4 off, v[44:47], s4
	scratch_store_dwordx4 off, v[48:51], s5
	;; [unrolled: 1-line block ×3, first 2 shown]
	s_mov_b64 s[4:5], 0
	s_branch .LBB125_130
.LBB125_133:
	s_or_b64 exec, exec, s[2:3]
	v_cmp_eq_u32_e32 vcc, 10, v254
	s_waitcnt lgkmcnt(0)
	s_barrier
	s_and_saveexec_b64 s[4:5], vcc
	s_cbranch_execz .LBB125_142
; %bb.134:
	scratch_load_dwordx4 v[40:43], off, s63
	v_add_u32_e32 v0, 0xb0, v248
	s_movk_i32 s2, 0xfcc0
	s_waitcnt vmcnt(0)
	ds_write2_b64 v252, v[40:41], v[42:43] offset1:1
.LBB125_135:                            ; =>This Inner Loop Header: Depth=1
	s_add_i32 s46, s2, 0x3f0
	s_add_i32 s47, s2, 0x400
	;; [unrolled: 1-line block ×13, first 2 shown]
	scratch_load_dwordx4 v[40:43], off, s46
	scratch_load_dwordx4 v[44:47], off, s47
	;; [unrolled: 1-line block ×13, first 2 shown]
	v_add_u32_e32 v1, s2, v0
	s_addk_i32 s2, 0xd0
	s_cmp_lg_u32 s2, 0
	s_waitcnt vmcnt(12)
	ds_write2_b64 v1, v[40:41], v[42:43] offset0:104 offset1:105
	s_waitcnt vmcnt(11)
	ds_write2_b64 v1, v[44:45], v[46:47] offset0:106 offset1:107
	;; [unrolled: 2-line block ×13, first 2 shown]
	s_cbranch_scc1 .LBB125_135
; %bb.136:
	ds_read2_b64 v[40:43], v252 offset1:1
	s_waitcnt lgkmcnt(0)
	v_cmp_neq_f64_e32 vcc, 0, v[40:41]
	v_cmp_neq_f64_e64 s[2:3], 0, v[42:43]
	s_or_b64 s[2:3], vcc, s[2:3]
	s_and_b64 exec, exec, s[2:3]
	s_cbranch_execz .LBB125_142
; %bb.137:
	v_cmp_ngt_f64_e64 s[2:3], |v[40:41]|, |v[42:43]|
                                        ; implicit-def: $vgpr0_vgpr1
	s_and_saveexec_b64 s[46:47], s[2:3]
	s_xor_b64 s[2:3], exec, s[46:47]
                                        ; implicit-def: $vgpr2_vgpr3
	s_cbranch_execz .LBB125_139
; %bb.138:
	v_div_scale_f64 v[0:1], s[46:47], v[42:43], v[42:43], v[40:41]
	v_rcp_f64_e32 v[2:3], v[0:1]
	v_div_scale_f64 v[4:5], vcc, v[40:41], v[42:43], v[40:41]
	v_fma_f64 v[6:7], -v[0:1], v[2:3], 1.0
	v_fmac_f64_e32 v[2:3], v[2:3], v[6:7]
	v_fma_f64 v[6:7], -v[0:1], v[2:3], 1.0
	v_fmac_f64_e32 v[2:3], v[2:3], v[6:7]
	v_mul_f64 v[6:7], v[4:5], v[2:3]
	v_fma_f64 v[0:1], -v[0:1], v[6:7], v[4:5]
	v_div_fmas_f64 v[0:1], v[0:1], v[2:3], v[6:7]
	v_div_fixup_f64 v[0:1], v[0:1], v[42:43], v[40:41]
	v_fmac_f64_e32 v[42:43], v[40:41], v[0:1]
	v_div_scale_f64 v[2:3], s[46:47], v[42:43], v[42:43], 1.0
	v_rcp_f64_e32 v[4:5], v[2:3]
	s_nop 0
	v_fma_f64 v[6:7], -v[2:3], v[4:5], 1.0
	v_fmac_f64_e32 v[4:5], v[4:5], v[6:7]
	v_fma_f64 v[6:7], -v[2:3], v[4:5], 1.0
	v_fmac_f64_e32 v[4:5], v[4:5], v[6:7]
	v_div_scale_f64 v[6:7], vcc, 1.0, v[42:43], 1.0
	v_mul_f64 v[40:41], v[6:7], v[4:5]
	v_fma_f64 v[2:3], -v[2:3], v[40:41], v[6:7]
	s_nop 1
	v_div_fmas_f64 v[2:3], v[2:3], v[4:5], v[40:41]
	v_div_fixup_f64 v[2:3], v[2:3], v[42:43], 1.0
	v_mul_f64 v[0:1], v[0:1], v[2:3]
	v_xor_b32_e32 v3, 0x80000000, v3
                                        ; implicit-def: $vgpr40_vgpr41
.LBB125_139:
	s_andn2_saveexec_b64 s[2:3], s[2:3]
	s_cbranch_execz .LBB125_141
; %bb.140:
	v_div_scale_f64 v[0:1], s[46:47], v[40:41], v[40:41], v[42:43]
	v_rcp_f64_e32 v[2:3], v[0:1]
	v_div_scale_f64 v[4:5], vcc, v[42:43], v[40:41], v[42:43]
	v_fma_f64 v[6:7], -v[0:1], v[2:3], 1.0
	v_fmac_f64_e32 v[2:3], v[2:3], v[6:7]
	v_fma_f64 v[6:7], -v[0:1], v[2:3], 1.0
	v_fmac_f64_e32 v[2:3], v[2:3], v[6:7]
	v_mul_f64 v[6:7], v[4:5], v[2:3]
	v_fma_f64 v[0:1], -v[0:1], v[6:7], v[4:5]
	v_div_fmas_f64 v[0:1], v[0:1], v[2:3], v[6:7]
	v_div_fixup_f64 v[2:3], v[0:1], v[40:41], v[42:43]
	v_fmac_f64_e32 v[40:41], v[42:43], v[2:3]
	v_div_scale_f64 v[0:1], s[46:47], v[40:41], v[40:41], 1.0
	v_rcp_f64_e32 v[4:5], v[0:1]
	s_nop 0
	v_fma_f64 v[6:7], -v[0:1], v[4:5], 1.0
	v_fmac_f64_e32 v[4:5], v[4:5], v[6:7]
	v_fma_f64 v[6:7], -v[0:1], v[4:5], 1.0
	v_fmac_f64_e32 v[4:5], v[4:5], v[6:7]
	v_div_scale_f64 v[6:7], vcc, 1.0, v[40:41], 1.0
	v_mul_f64 v[42:43], v[6:7], v[4:5]
	v_fma_f64 v[0:1], -v[0:1], v[42:43], v[6:7]
	s_nop 1
	v_div_fmas_f64 v[0:1], v[0:1], v[4:5], v[42:43]
	v_div_fixup_f64 v[0:1], v[0:1], v[40:41], 1.0
	v_mul_f64 v[2:3], v[2:3], -v[0:1]
.LBB125_141:
	s_or_b64 exec, exec, s[2:3]
	ds_write2_b64 v252, v[0:1], v[2:3] offset1:1
.LBB125_142:
	s_or_b64 exec, exec, s[4:5]
	s_waitcnt lgkmcnt(0)
	s_barrier
	ds_read2_b64 v[40:43], v252 offset1:1
	v_cmp_lt_u32_e32 vcc, 10, v254
	s_and_saveexec_b64 s[2:3], vcc
	s_cbranch_execz .LBB125_145
; %bb.143:
	scratch_load_dwordx4 v[44:47], off, off offset:160
	v_add_u32_e32 v0, 0xb0, v248
	s_movk_i32 s4, 0xfcc0
	s_waitcnt vmcnt(0) lgkmcnt(0)
	v_mul_f64 v[2:3], v[42:43], v[46:47]
	v_mul_f64 v[48:49], v[40:41], v[46:47]
	v_fma_f64 v[46:47], v[40:41], v[44:45], -v[2:3]
	v_fmac_f64_e32 v[48:49], v[42:43], v[44:45]
	scratch_store_dwordx4 off, v[46:49], off offset:160
.LBB125_144:                            ; =>This Inner Loop Header: Depth=1
	scratch_load_dwordx4 v[44:47], off, off offset:160
	s_add_i32 s46, s4, 0x3f0
	scratch_load_dwordx4 v[48:51], off, s46
	v_add_u32_e32 v1, s4, v0
	ds_read2_b64 v[52:55], v1 offset0:104 offset1:105
	ds_read2_b64 v[56:59], v1 offset0:106 offset1:107
	s_add_i32 s47, s4, 0x400
	scratch_load_dwordx4 v[60:63], off, s47
	s_add_i32 s5, s4, 0x420
	s_waitcnt vmcnt(2) lgkmcnt(1)
	v_mul_f64 v[2:3], v[54:55], v[46:47]
	v_mul_f64 v[4:5], v[52:53], v[46:47]
	v_fma_f64 v[2:3], v[52:53], v[44:45], -v[2:3]
	v_fmac_f64_e32 v[4:5], v[54:55], v[44:45]
	s_waitcnt vmcnt(1)
	v_add_f64 v[44:45], v[48:49], -v[2:3]
	v_add_f64 v[46:47], v[50:51], -v[4:5]
	scratch_store_dwordx4 off, v[44:47], s46
	scratch_load_dwordx4 v[44:47], off, off offset:160
	s_add_i32 s46, s4, 0x410
	s_add_i32 s4, s4, 64
	s_cmp_lg_u32 s4, 0
	s_waitcnt vmcnt(0) lgkmcnt(0)
	v_mul_f64 v[2:3], v[58:59], v[46:47]
	v_mul_f64 v[4:5], v[56:57], v[46:47]
	v_fma_f64 v[2:3], v[56:57], v[44:45], -v[2:3]
	v_fmac_f64_e32 v[4:5], v[58:59], v[44:45]
	v_add_f64 v[44:45], v[60:61], -v[2:3]
	v_add_f64 v[46:47], v[62:63], -v[4:5]
	scratch_store_dwordx4 off, v[44:47], s47
	scratch_load_dwordx4 v[44:47], off, off offset:160
	s_nop 0
	scratch_load_dwordx4 v[48:51], off, s46
	ds_read2_b64 v[52:55], v1 offset0:108 offset1:109
	ds_read2_b64 v[56:59], v1 offset0:110 offset1:111
	scratch_load_dwordx4 v[60:63], off, s5
	s_waitcnt vmcnt(2) lgkmcnt(1)
	v_mul_f64 v[2:3], v[54:55], v[46:47]
	v_mul_f64 v[4:5], v[52:53], v[46:47]
	v_fma_f64 v[2:3], v[52:53], v[44:45], -v[2:3]
	v_fmac_f64_e32 v[4:5], v[54:55], v[44:45]
	s_waitcnt vmcnt(1)
	v_add_f64 v[44:45], v[48:49], -v[2:3]
	v_add_f64 v[46:47], v[50:51], -v[4:5]
	scratch_store_dwordx4 off, v[44:47], s46
	scratch_load_dwordx4 v[44:47], off, off offset:160
	s_waitcnt vmcnt(0) lgkmcnt(0)
	v_mul_f64 v[2:3], v[58:59], v[46:47]
	v_mul_f64 v[4:5], v[56:57], v[46:47]
	v_fma_f64 v[2:3], v[56:57], v[44:45], -v[2:3]
	v_fmac_f64_e32 v[4:5], v[58:59], v[44:45]
	v_add_f64 v[44:45], v[60:61], -v[2:3]
	v_add_f64 v[46:47], v[62:63], -v[4:5]
	scratch_store_dwordx4 off, v[44:47], s5
	s_cbranch_scc1 .LBB125_144
.LBB125_145:
	s_or_b64 exec, exec, s[2:3]
	v_cmp_eq_u32_e32 vcc, 11, v254
	s_waitcnt lgkmcnt(0)
	s_barrier
	s_and_saveexec_b64 s[4:5], vcc
	s_cbranch_execz .LBB125_154
; %bb.146:
	scratch_load_dwordx4 v[44:47], off, s62
	v_add_u32_e32 v0, 0xc0, v248
	s_movk_i32 s2, 0xfcd0
	s_waitcnt vmcnt(0)
	ds_write2_b64 v252, v[44:45], v[46:47] offset1:1
.LBB125_147:                            ; =>This Inner Loop Header: Depth=1
	s_add_i32 s46, s2, 0x3f0
	s_add_i32 s47, s2, 0x400
	;; [unrolled: 1-line block ×17, first 2 shown]
	scratch_load_dwordx4 v[44:47], off, s46
	scratch_load_dwordx4 v[48:51], off, s47
	;; [unrolled: 1-line block ×17, first 2 shown]
	v_add_u32_e32 v1, s2, v0
	s_addk_i32 s2, 0x110
	s_cmp_lg_u32 s2, 0
	s_waitcnt vmcnt(16)
	ds_write2_b64 v1, v[44:45], v[46:47] offset0:102 offset1:103
	s_waitcnt vmcnt(15)
	ds_write2_b64 v1, v[48:49], v[50:51] offset0:104 offset1:105
	;; [unrolled: 2-line block ×17, first 2 shown]
	s_cbranch_scc1 .LBB125_147
; %bb.148:
	ds_read2_b64 v[44:47], v252 offset1:1
	s_waitcnt lgkmcnt(0)
	v_cmp_neq_f64_e32 vcc, 0, v[44:45]
	v_cmp_neq_f64_e64 s[2:3], 0, v[46:47]
	s_or_b64 s[2:3], vcc, s[2:3]
	s_and_b64 exec, exec, s[2:3]
	s_cbranch_execz .LBB125_154
; %bb.149:
	v_cmp_ngt_f64_e64 s[2:3], |v[44:45]|, |v[46:47]|
                                        ; implicit-def: $vgpr0_vgpr1
	s_and_saveexec_b64 s[46:47], s[2:3]
	s_xor_b64 s[2:3], exec, s[46:47]
                                        ; implicit-def: $vgpr2_vgpr3
	s_cbranch_execz .LBB125_151
; %bb.150:
	v_div_scale_f64 v[0:1], s[46:47], v[46:47], v[46:47], v[44:45]
	v_rcp_f64_e32 v[2:3], v[0:1]
	v_div_scale_f64 v[4:5], vcc, v[44:45], v[46:47], v[44:45]
	v_fma_f64 v[6:7], -v[0:1], v[2:3], 1.0
	v_fmac_f64_e32 v[2:3], v[2:3], v[6:7]
	v_fma_f64 v[6:7], -v[0:1], v[2:3], 1.0
	v_fmac_f64_e32 v[2:3], v[2:3], v[6:7]
	v_mul_f64 v[6:7], v[4:5], v[2:3]
	v_fma_f64 v[0:1], -v[0:1], v[6:7], v[4:5]
	v_div_fmas_f64 v[0:1], v[0:1], v[2:3], v[6:7]
	v_div_fixup_f64 v[0:1], v[0:1], v[46:47], v[44:45]
	v_fmac_f64_e32 v[46:47], v[44:45], v[0:1]
	v_div_scale_f64 v[2:3], s[46:47], v[46:47], v[46:47], 1.0
	v_rcp_f64_e32 v[4:5], v[2:3]
	s_nop 0
	v_fma_f64 v[6:7], -v[2:3], v[4:5], 1.0
	v_fmac_f64_e32 v[4:5], v[4:5], v[6:7]
	v_fma_f64 v[6:7], -v[2:3], v[4:5], 1.0
	v_fmac_f64_e32 v[4:5], v[4:5], v[6:7]
	v_div_scale_f64 v[6:7], vcc, 1.0, v[46:47], 1.0
	v_mul_f64 v[44:45], v[6:7], v[4:5]
	v_fma_f64 v[2:3], -v[2:3], v[44:45], v[6:7]
	s_nop 1
	v_div_fmas_f64 v[2:3], v[2:3], v[4:5], v[44:45]
	v_div_fixup_f64 v[2:3], v[2:3], v[46:47], 1.0
	v_mul_f64 v[0:1], v[0:1], v[2:3]
	v_xor_b32_e32 v3, 0x80000000, v3
                                        ; implicit-def: $vgpr44_vgpr45
.LBB125_151:
	s_andn2_saveexec_b64 s[2:3], s[2:3]
	s_cbranch_execz .LBB125_153
; %bb.152:
	v_div_scale_f64 v[0:1], s[46:47], v[44:45], v[44:45], v[46:47]
	v_rcp_f64_e32 v[2:3], v[0:1]
	v_div_scale_f64 v[4:5], vcc, v[46:47], v[44:45], v[46:47]
	v_fma_f64 v[6:7], -v[0:1], v[2:3], 1.0
	v_fmac_f64_e32 v[2:3], v[2:3], v[6:7]
	v_fma_f64 v[6:7], -v[0:1], v[2:3], 1.0
	v_fmac_f64_e32 v[2:3], v[2:3], v[6:7]
	v_mul_f64 v[6:7], v[4:5], v[2:3]
	v_fma_f64 v[0:1], -v[0:1], v[6:7], v[4:5]
	v_div_fmas_f64 v[0:1], v[0:1], v[2:3], v[6:7]
	v_div_fixup_f64 v[2:3], v[0:1], v[44:45], v[46:47]
	v_fmac_f64_e32 v[44:45], v[46:47], v[2:3]
	v_div_scale_f64 v[0:1], s[46:47], v[44:45], v[44:45], 1.0
	v_rcp_f64_e32 v[4:5], v[0:1]
	s_nop 0
	v_fma_f64 v[6:7], -v[0:1], v[4:5], 1.0
	v_fmac_f64_e32 v[4:5], v[4:5], v[6:7]
	v_fma_f64 v[6:7], -v[0:1], v[4:5], 1.0
	v_fmac_f64_e32 v[4:5], v[4:5], v[6:7]
	v_div_scale_f64 v[6:7], vcc, 1.0, v[44:45], 1.0
	v_mul_f64 v[46:47], v[6:7], v[4:5]
	v_fma_f64 v[0:1], -v[0:1], v[46:47], v[6:7]
	s_nop 1
	v_div_fmas_f64 v[0:1], v[0:1], v[4:5], v[46:47]
	v_div_fixup_f64 v[0:1], v[0:1], v[44:45], 1.0
	v_mul_f64 v[2:3], v[2:3], -v[0:1]
.LBB125_153:
	s_or_b64 exec, exec, s[2:3]
	ds_write2_b64 v252, v[0:1], v[2:3] offset1:1
.LBB125_154:
	s_or_b64 exec, exec, s[4:5]
	s_waitcnt lgkmcnt(0)
	s_barrier
	ds_read2_b64 v[44:47], v252 offset1:1
	v_cmp_lt_u32_e32 vcc, 11, v254
	s_and_saveexec_b64 s[2:3], vcc
	s_cbranch_execz .LBB125_157
; %bb.155:
	scratch_load_dwordx4 v[48:51], off, off offset:176
	v_add_u32_e32 v0, 0xc0, v248
	s_movk_i32 s4, 0xfcd0
	s_waitcnt vmcnt(0) lgkmcnt(0)
	v_mul_f64 v[2:3], v[46:47], v[50:51]
	v_mul_f64 v[52:53], v[44:45], v[50:51]
	v_fma_f64 v[50:51], v[44:45], v[48:49], -v[2:3]
	v_fmac_f64_e32 v[52:53], v[46:47], v[48:49]
	scratch_store_dwordx4 off, v[50:53], off offset:176
.LBB125_156:                            ; =>This Inner Loop Header: Depth=1
	scratch_load_dwordx4 v[48:51], off, off offset:176
	s_add_i32 s46, s4, 0x3f0
	scratch_load_dwordx4 v[52:55], off, s46
	v_add_u32_e32 v1, s4, v0
	ds_read2_b64 v[56:59], v1 offset0:102 offset1:103
	ds_read2_b64 v[60:63], v1 offset0:104 offset1:105
	s_add_i32 s47, s4, 0x400
	s_add_i32 s5, s4, 0x410
	scratch_load_dwordx4 v[64:67], off, s47
	scratch_load_dwordx4 v[68:71], off, s5
	s_add_i32 s4, s4, 48
	s_cmp_lg_u32 s4, 0
	s_waitcnt vmcnt(3) lgkmcnt(1)
	v_mul_f64 v[2:3], v[58:59], v[50:51]
	v_mul_f64 v[4:5], v[56:57], v[50:51]
	v_fma_f64 v[2:3], v[56:57], v[48:49], -v[2:3]
	v_fmac_f64_e32 v[4:5], v[58:59], v[48:49]
	s_waitcnt vmcnt(2)
	v_add_f64 v[48:49], v[52:53], -v[2:3]
	v_add_f64 v[50:51], v[54:55], -v[4:5]
	scratch_store_dwordx4 off, v[48:51], s46
	scratch_load_dwordx4 v[48:51], off, off offset:176
	ds_read2_b64 v[52:55], v1 offset0:106 offset1:107
	s_waitcnt vmcnt(0) lgkmcnt(1)
	v_mul_f64 v[2:3], v[62:63], v[50:51]
	v_mul_f64 v[4:5], v[60:61], v[50:51]
	v_fma_f64 v[2:3], v[60:61], v[48:49], -v[2:3]
	v_fmac_f64_e32 v[4:5], v[62:63], v[48:49]
	v_add_f64 v[48:49], v[64:65], -v[2:3]
	v_add_f64 v[50:51], v[66:67], -v[4:5]
	scratch_store_dwordx4 off, v[48:51], s47
	scratch_load_dwordx4 v[48:51], off, off offset:176
	s_waitcnt vmcnt(0) lgkmcnt(0)
	v_mul_f64 v[2:3], v[54:55], v[50:51]
	v_mul_f64 v[4:5], v[52:53], v[50:51]
	v_fma_f64 v[2:3], v[52:53], v[48:49], -v[2:3]
	v_fmac_f64_e32 v[4:5], v[54:55], v[48:49]
	v_add_f64 v[48:49], v[68:69], -v[2:3]
	v_add_f64 v[50:51], v[70:71], -v[4:5]
	scratch_store_dwordx4 off, v[48:51], s5
	s_cbranch_scc1 .LBB125_156
.LBB125_157:
	s_or_b64 exec, exec, s[2:3]
	v_cmp_eq_u32_e32 vcc, 12, v254
	s_waitcnt lgkmcnt(0)
	s_barrier
	s_and_saveexec_b64 s[4:5], vcc
	s_cbranch_execz .LBB125_166
; %bb.158:
	scratch_load_dwordx4 v[48:51], off, s61
	v_add_u32_e32 v0, 0xd0, v248
	s_movk_i32 s2, 0xfce0
	s_waitcnt vmcnt(0)
	ds_write2_b64 v252, v[48:49], v[50:51] offset1:1
.LBB125_159:                            ; =>This Inner Loop Header: Depth=1
	s_add_i32 s46, s2, 0x3f0
	s_add_i32 s47, s2, 0x400
	;; [unrolled: 1-line block ×10, first 2 shown]
	scratch_load_dwordx4 v[48:51], off, s46
	scratch_load_dwordx4 v[52:55], off, s47
	;; [unrolled: 1-line block ×10, first 2 shown]
	v_add_u32_e32 v1, s2, v0
	s_addk_i32 s2, 0xa0
	s_cmp_lg_u32 s2, 0
	s_waitcnt vmcnt(9)
	ds_write2_b64 v1, v[48:49], v[50:51] offset0:100 offset1:101
	s_waitcnt vmcnt(8)
	ds_write2_b64 v1, v[52:53], v[54:55] offset0:102 offset1:103
	;; [unrolled: 2-line block ×10, first 2 shown]
	s_cbranch_scc1 .LBB125_159
; %bb.160:
	ds_read2_b64 v[48:51], v252 offset1:1
	s_waitcnt lgkmcnt(0)
	v_cmp_neq_f64_e32 vcc, 0, v[48:49]
	v_cmp_neq_f64_e64 s[2:3], 0, v[50:51]
	s_or_b64 s[2:3], vcc, s[2:3]
	s_and_b64 exec, exec, s[2:3]
	s_cbranch_execz .LBB125_166
; %bb.161:
	v_cmp_ngt_f64_e64 s[2:3], |v[48:49]|, |v[50:51]|
                                        ; implicit-def: $vgpr0_vgpr1
	s_and_saveexec_b64 s[46:47], s[2:3]
	s_xor_b64 s[2:3], exec, s[46:47]
                                        ; implicit-def: $vgpr2_vgpr3
	s_cbranch_execz .LBB125_163
; %bb.162:
	v_div_scale_f64 v[0:1], s[46:47], v[50:51], v[50:51], v[48:49]
	v_rcp_f64_e32 v[2:3], v[0:1]
	v_div_scale_f64 v[4:5], vcc, v[48:49], v[50:51], v[48:49]
	v_fma_f64 v[6:7], -v[0:1], v[2:3], 1.0
	v_fmac_f64_e32 v[2:3], v[2:3], v[6:7]
	v_fma_f64 v[6:7], -v[0:1], v[2:3], 1.0
	v_fmac_f64_e32 v[2:3], v[2:3], v[6:7]
	v_mul_f64 v[6:7], v[4:5], v[2:3]
	v_fma_f64 v[0:1], -v[0:1], v[6:7], v[4:5]
	v_div_fmas_f64 v[0:1], v[0:1], v[2:3], v[6:7]
	v_div_fixup_f64 v[0:1], v[0:1], v[50:51], v[48:49]
	v_fmac_f64_e32 v[50:51], v[48:49], v[0:1]
	v_div_scale_f64 v[2:3], s[46:47], v[50:51], v[50:51], 1.0
	v_rcp_f64_e32 v[4:5], v[2:3]
	s_nop 0
	v_fma_f64 v[6:7], -v[2:3], v[4:5], 1.0
	v_fmac_f64_e32 v[4:5], v[4:5], v[6:7]
	v_fma_f64 v[6:7], -v[2:3], v[4:5], 1.0
	v_fmac_f64_e32 v[4:5], v[4:5], v[6:7]
	v_div_scale_f64 v[6:7], vcc, 1.0, v[50:51], 1.0
	v_mul_f64 v[48:49], v[6:7], v[4:5]
	v_fma_f64 v[2:3], -v[2:3], v[48:49], v[6:7]
	s_nop 1
	v_div_fmas_f64 v[2:3], v[2:3], v[4:5], v[48:49]
	v_div_fixup_f64 v[2:3], v[2:3], v[50:51], 1.0
	v_mul_f64 v[0:1], v[0:1], v[2:3]
	v_xor_b32_e32 v3, 0x80000000, v3
                                        ; implicit-def: $vgpr48_vgpr49
.LBB125_163:
	s_andn2_saveexec_b64 s[2:3], s[2:3]
	s_cbranch_execz .LBB125_165
; %bb.164:
	v_div_scale_f64 v[0:1], s[46:47], v[48:49], v[48:49], v[50:51]
	v_rcp_f64_e32 v[2:3], v[0:1]
	v_div_scale_f64 v[4:5], vcc, v[50:51], v[48:49], v[50:51]
	v_fma_f64 v[6:7], -v[0:1], v[2:3], 1.0
	v_fmac_f64_e32 v[2:3], v[2:3], v[6:7]
	v_fma_f64 v[6:7], -v[0:1], v[2:3], 1.0
	v_fmac_f64_e32 v[2:3], v[2:3], v[6:7]
	v_mul_f64 v[6:7], v[4:5], v[2:3]
	v_fma_f64 v[0:1], -v[0:1], v[6:7], v[4:5]
	v_div_fmas_f64 v[0:1], v[0:1], v[2:3], v[6:7]
	v_div_fixup_f64 v[2:3], v[0:1], v[48:49], v[50:51]
	v_fmac_f64_e32 v[48:49], v[50:51], v[2:3]
	v_div_scale_f64 v[0:1], s[46:47], v[48:49], v[48:49], 1.0
	v_rcp_f64_e32 v[4:5], v[0:1]
	s_nop 0
	v_fma_f64 v[6:7], -v[0:1], v[4:5], 1.0
	v_fmac_f64_e32 v[4:5], v[4:5], v[6:7]
	v_fma_f64 v[6:7], -v[0:1], v[4:5], 1.0
	v_fmac_f64_e32 v[4:5], v[4:5], v[6:7]
	v_div_scale_f64 v[6:7], vcc, 1.0, v[48:49], 1.0
	v_mul_f64 v[50:51], v[6:7], v[4:5]
	v_fma_f64 v[0:1], -v[0:1], v[50:51], v[6:7]
	s_nop 1
	v_div_fmas_f64 v[0:1], v[0:1], v[4:5], v[50:51]
	v_div_fixup_f64 v[0:1], v[0:1], v[48:49], 1.0
	v_mul_f64 v[2:3], v[2:3], -v[0:1]
.LBB125_165:
	s_or_b64 exec, exec, s[2:3]
	ds_write2_b64 v252, v[0:1], v[2:3] offset1:1
.LBB125_166:
	s_or_b64 exec, exec, s[4:5]
	s_waitcnt lgkmcnt(0)
	s_barrier
	ds_read2_b64 v[48:51], v252 offset1:1
	v_cmp_lt_u32_e32 vcc, 12, v254
	s_and_saveexec_b64 s[2:3], vcc
	s_cbranch_execz .LBB125_169
; %bb.167:
	scratch_load_dwordx4 v[52:55], off, off offset:192
	v_add_u32_e32 v0, 0xd0, v248
	s_movk_i32 s4, 0xfce0
	s_waitcnt vmcnt(0) lgkmcnt(0)
	v_mul_f64 v[2:3], v[50:51], v[54:55]
	v_mul_f64 v[56:57], v[48:49], v[54:55]
	v_fma_f64 v[54:55], v[48:49], v[52:53], -v[2:3]
	v_fmac_f64_e32 v[56:57], v[50:51], v[52:53]
	scratch_store_dwordx4 off, v[54:57], off offset:192
.LBB125_168:                            ; =>This Inner Loop Header: Depth=1
	scratch_load_dwordx4 v[52:55], off, off offset:192
	s_add_i32 s46, s4, 0x3f0
	scratch_load_dwordx4 v[56:59], off, s46
	v_add_u32_e32 v1, s4, v0
	ds_read2_b64 v[60:63], v1 offset0:100 offset1:101
	ds_read2_b64 v[64:67], v1 offset0:102 offset1:103
	s_add_i32 s47, s4, 0x400
	s_add_i32 s48, s4, 0x430
	scratch_load_dwordx4 v[68:71], off, s47
	scratch_load_dwordx4 v[72:75], off, s48
	s_add_i32 s5, s4, 0x420
	s_waitcnt vmcnt(3) lgkmcnt(1)
	v_mul_f64 v[2:3], v[62:63], v[54:55]
	v_mul_f64 v[4:5], v[60:61], v[54:55]
	v_fma_f64 v[2:3], v[60:61], v[52:53], -v[2:3]
	v_fmac_f64_e32 v[4:5], v[62:63], v[52:53]
	s_waitcnt vmcnt(2)
	v_add_f64 v[52:53], v[56:57], -v[2:3]
	v_add_f64 v[54:55], v[58:59], -v[4:5]
	scratch_store_dwordx4 off, v[52:55], s46
	scratch_load_dwordx4 v[52:55], off, off offset:192
	s_add_i32 s46, s4, 0x410
	s_addk_i32 s4, 0x50
	s_cmp_lg_u32 s4, 0
	s_waitcnt vmcnt(0) lgkmcnt(0)
	v_mul_f64 v[2:3], v[66:67], v[54:55]
	v_mul_f64 v[4:5], v[64:65], v[54:55]
	v_fma_f64 v[2:3], v[64:65], v[52:53], -v[2:3]
	v_fmac_f64_e32 v[4:5], v[66:67], v[52:53]
	v_add_f64 v[52:53], v[68:69], -v[2:3]
	v_add_f64 v[54:55], v[70:71], -v[4:5]
	scratch_store_dwordx4 off, v[52:55], s47
	scratch_load_dwordx4 v[52:55], off, off offset:192
	s_nop 0
	scratch_load_dwordx4 v[56:59], off, s46
	ds_read2_b64 v[60:63], v1 offset0:104 offset1:105
	ds_read2_b64 v[64:67], v1 offset0:106 offset1:107
	scratch_load_dwordx4 v[68:71], off, s5
	s_waitcnt vmcnt(2) lgkmcnt(1)
	v_mul_f64 v[2:3], v[62:63], v[54:55]
	v_mul_f64 v[4:5], v[60:61], v[54:55]
	v_fma_f64 v[2:3], v[60:61], v[52:53], -v[2:3]
	v_fmac_f64_e32 v[4:5], v[62:63], v[52:53]
	s_waitcnt vmcnt(1)
	v_add_f64 v[52:53], v[56:57], -v[2:3]
	v_add_f64 v[54:55], v[58:59], -v[4:5]
	scratch_store_dwordx4 off, v[52:55], s46
	scratch_load_dwordx4 v[52:55], off, off offset:192
	ds_read2_b64 v[56:59], v1 offset0:108 offset1:109
	s_waitcnt vmcnt(0) lgkmcnt(1)
	v_mul_f64 v[2:3], v[66:67], v[54:55]
	v_mul_f64 v[4:5], v[64:65], v[54:55]
	v_fma_f64 v[2:3], v[64:65], v[52:53], -v[2:3]
	v_fmac_f64_e32 v[4:5], v[66:67], v[52:53]
	v_add_f64 v[52:53], v[68:69], -v[2:3]
	v_add_f64 v[54:55], v[70:71], -v[4:5]
	scratch_store_dwordx4 off, v[52:55], s5
	scratch_load_dwordx4 v[52:55], off, off offset:192
	s_waitcnt vmcnt(0) lgkmcnt(0)
	v_mul_f64 v[2:3], v[58:59], v[54:55]
	v_mul_f64 v[4:5], v[56:57], v[54:55]
	v_fma_f64 v[2:3], v[56:57], v[52:53], -v[2:3]
	v_fmac_f64_e32 v[4:5], v[58:59], v[52:53]
	v_add_f64 v[52:53], v[72:73], -v[2:3]
	v_add_f64 v[54:55], v[74:75], -v[4:5]
	scratch_store_dwordx4 off, v[52:55], s48
	s_cbranch_scc1 .LBB125_168
.LBB125_169:
	s_or_b64 exec, exec, s[2:3]
	v_cmp_eq_u32_e32 vcc, 13, v254
	s_waitcnt lgkmcnt(0)
	s_barrier
	s_and_saveexec_b64 s[4:5], vcc
	s_cbranch_execz .LBB125_178
; %bb.170:
	scratch_load_dwordx4 v[52:55], off, s60
	v_add_u32_e32 v0, 0xe0, v248
	s_movk_i32 s2, 0xfcf0
	s_waitcnt vmcnt(0)
	ds_write2_b64 v252, v[52:53], v[54:55] offset1:1
.LBB125_171:                            ; =>This Inner Loop Header: Depth=1
	s_add_i32 s46, s2, 0x3f0
	s_add_i32 s47, s2, 0x400
	;; [unrolled: 1-line block ×7, first 2 shown]
	scratch_load_dwordx4 v[52:55], off, s46
	scratch_load_dwordx4 v[56:59], off, s47
	;; [unrolled: 1-line block ×7, first 2 shown]
	v_add_u32_e32 v1, s2, v0
	s_addk_i32 s2, 0x70
	s_cmp_lg_u32 s2, 0
	s_waitcnt vmcnt(6)
	ds_write2_b64 v1, v[52:53], v[54:55] offset0:98 offset1:99
	s_waitcnt vmcnt(5)
	ds_write2_b64 v1, v[56:57], v[58:59] offset0:100 offset1:101
	;; [unrolled: 2-line block ×7, first 2 shown]
	s_cbranch_scc1 .LBB125_171
; %bb.172:
	ds_read2_b64 v[52:55], v252 offset1:1
	s_waitcnt lgkmcnt(0)
	v_cmp_neq_f64_e32 vcc, 0, v[52:53]
	v_cmp_neq_f64_e64 s[2:3], 0, v[54:55]
	s_or_b64 s[2:3], vcc, s[2:3]
	s_and_b64 exec, exec, s[2:3]
	s_cbranch_execz .LBB125_178
; %bb.173:
	v_cmp_ngt_f64_e64 s[2:3], |v[52:53]|, |v[54:55]|
                                        ; implicit-def: $vgpr0_vgpr1
	s_and_saveexec_b64 s[46:47], s[2:3]
	s_xor_b64 s[2:3], exec, s[46:47]
                                        ; implicit-def: $vgpr2_vgpr3
	s_cbranch_execz .LBB125_175
; %bb.174:
	v_div_scale_f64 v[0:1], s[46:47], v[54:55], v[54:55], v[52:53]
	v_rcp_f64_e32 v[2:3], v[0:1]
	v_div_scale_f64 v[4:5], vcc, v[52:53], v[54:55], v[52:53]
	v_fma_f64 v[6:7], -v[0:1], v[2:3], 1.0
	v_fmac_f64_e32 v[2:3], v[2:3], v[6:7]
	v_fma_f64 v[6:7], -v[0:1], v[2:3], 1.0
	v_fmac_f64_e32 v[2:3], v[2:3], v[6:7]
	v_mul_f64 v[6:7], v[4:5], v[2:3]
	v_fma_f64 v[0:1], -v[0:1], v[6:7], v[4:5]
	v_div_fmas_f64 v[0:1], v[0:1], v[2:3], v[6:7]
	v_div_fixup_f64 v[0:1], v[0:1], v[54:55], v[52:53]
	v_fmac_f64_e32 v[54:55], v[52:53], v[0:1]
	v_div_scale_f64 v[2:3], s[46:47], v[54:55], v[54:55], 1.0
	v_rcp_f64_e32 v[4:5], v[2:3]
	s_nop 0
	v_fma_f64 v[6:7], -v[2:3], v[4:5], 1.0
	v_fmac_f64_e32 v[4:5], v[4:5], v[6:7]
	v_fma_f64 v[6:7], -v[2:3], v[4:5], 1.0
	v_fmac_f64_e32 v[4:5], v[4:5], v[6:7]
	v_div_scale_f64 v[6:7], vcc, 1.0, v[54:55], 1.0
	v_mul_f64 v[52:53], v[6:7], v[4:5]
	v_fma_f64 v[2:3], -v[2:3], v[52:53], v[6:7]
	s_nop 1
	v_div_fmas_f64 v[2:3], v[2:3], v[4:5], v[52:53]
	v_div_fixup_f64 v[2:3], v[2:3], v[54:55], 1.0
	v_mul_f64 v[0:1], v[0:1], v[2:3]
	v_xor_b32_e32 v3, 0x80000000, v3
                                        ; implicit-def: $vgpr52_vgpr53
.LBB125_175:
	s_andn2_saveexec_b64 s[2:3], s[2:3]
	s_cbranch_execz .LBB125_177
; %bb.176:
	v_div_scale_f64 v[0:1], s[46:47], v[52:53], v[52:53], v[54:55]
	v_rcp_f64_e32 v[2:3], v[0:1]
	v_div_scale_f64 v[4:5], vcc, v[54:55], v[52:53], v[54:55]
	v_fma_f64 v[6:7], -v[0:1], v[2:3], 1.0
	v_fmac_f64_e32 v[2:3], v[2:3], v[6:7]
	v_fma_f64 v[6:7], -v[0:1], v[2:3], 1.0
	v_fmac_f64_e32 v[2:3], v[2:3], v[6:7]
	v_mul_f64 v[6:7], v[4:5], v[2:3]
	v_fma_f64 v[0:1], -v[0:1], v[6:7], v[4:5]
	v_div_fmas_f64 v[0:1], v[0:1], v[2:3], v[6:7]
	v_div_fixup_f64 v[2:3], v[0:1], v[52:53], v[54:55]
	v_fmac_f64_e32 v[52:53], v[54:55], v[2:3]
	v_div_scale_f64 v[0:1], s[46:47], v[52:53], v[52:53], 1.0
	v_rcp_f64_e32 v[4:5], v[0:1]
	s_nop 0
	v_fma_f64 v[6:7], -v[0:1], v[4:5], 1.0
	v_fmac_f64_e32 v[4:5], v[4:5], v[6:7]
	v_fma_f64 v[6:7], -v[0:1], v[4:5], 1.0
	v_fmac_f64_e32 v[4:5], v[4:5], v[6:7]
	v_div_scale_f64 v[6:7], vcc, 1.0, v[52:53], 1.0
	v_mul_f64 v[54:55], v[6:7], v[4:5]
	v_fma_f64 v[0:1], -v[0:1], v[54:55], v[6:7]
	s_nop 1
	v_div_fmas_f64 v[0:1], v[0:1], v[4:5], v[54:55]
	v_div_fixup_f64 v[0:1], v[0:1], v[52:53], 1.0
	v_mul_f64 v[2:3], v[2:3], -v[0:1]
.LBB125_177:
	s_or_b64 exec, exec, s[2:3]
	ds_write2_b64 v252, v[0:1], v[2:3] offset1:1
.LBB125_178:
	s_or_b64 exec, exec, s[4:5]
	s_waitcnt lgkmcnt(0)
	s_barrier
	ds_read2_b64 v[52:55], v252 offset1:1
	v_cmp_lt_u32_e32 vcc, 13, v254
	s_and_saveexec_b64 s[2:3], vcc
	s_cbranch_execz .LBB125_181
; %bb.179:
	scratch_load_dwordx4 v[56:59], off, off offset:208
	v_add_u32_e32 v0, 0xe0, v248
	s_movk_i32 s4, 0xfcf0
	s_waitcnt vmcnt(0) lgkmcnt(0)
	v_mul_f64 v[2:3], v[54:55], v[58:59]
	v_mul_f64 v[60:61], v[52:53], v[58:59]
	v_fma_f64 v[58:59], v[52:53], v[56:57], -v[2:3]
	v_fmac_f64_e32 v[60:61], v[54:55], v[56:57]
	scratch_store_dwordx4 off, v[58:61], off offset:208
.LBB125_180:                            ; =>This Inner Loop Header: Depth=1
	scratch_load_dwordx4 v[56:59], off, off offset:208
	s_add_i32 s46, s4, 0x3f0
	scratch_load_dwordx4 v[60:63], off, s46
	v_add_u32_e32 v1, s4, v0
	ds_read2_b64 v[64:67], v1 offset0:98 offset1:99
	ds_read2_b64 v[68:71], v1 offset0:100 offset1:101
	s_add_i32 s47, s4, 0x400
	s_add_i32 s48, s4, 0x450
	scratch_load_dwordx4 v[72:75], off, s47
	scratch_load_dwordx4 v[76:79], off, s48
	s_add_i32 s5, s4, 0x440
	s_waitcnt vmcnt(3) lgkmcnt(1)
	v_mul_f64 v[2:3], v[66:67], v[58:59]
	v_mul_f64 v[4:5], v[64:65], v[58:59]
	v_fma_f64 v[2:3], v[64:65], v[56:57], -v[2:3]
	v_fmac_f64_e32 v[4:5], v[66:67], v[56:57]
	s_waitcnt vmcnt(2)
	v_add_f64 v[56:57], v[60:61], -v[2:3]
	v_add_f64 v[58:59], v[62:63], -v[4:5]
	scratch_store_dwordx4 off, v[56:59], s46
	scratch_load_dwordx4 v[56:59], off, off offset:208
	s_add_i32 s46, s4, 0x410
	s_waitcnt vmcnt(0) lgkmcnt(0)
	v_mul_f64 v[2:3], v[70:71], v[58:59]
	v_mul_f64 v[4:5], v[68:69], v[58:59]
	v_fma_f64 v[2:3], v[68:69], v[56:57], -v[2:3]
	v_fmac_f64_e32 v[4:5], v[70:71], v[56:57]
	v_add_f64 v[56:57], v[72:73], -v[2:3]
	v_add_f64 v[58:59], v[74:75], -v[4:5]
	scratch_store_dwordx4 off, v[56:59], s47
	scratch_load_dwordx4 v[56:59], off, off offset:208
	s_nop 0
	scratch_load_dwordx4 v[60:63], off, s46
	ds_read2_b64 v[64:67], v1 offset0:102 offset1:103
	ds_read2_b64 v[68:71], v1 offset0:104 offset1:105
	s_add_i32 s47, s4, 0x420
	scratch_load_dwordx4 v[72:75], off, s47
	s_waitcnt vmcnt(2) lgkmcnt(1)
	v_mul_f64 v[2:3], v[66:67], v[58:59]
	v_mul_f64 v[4:5], v[64:65], v[58:59]
	v_fma_f64 v[2:3], v[64:65], v[56:57], -v[2:3]
	v_fmac_f64_e32 v[4:5], v[66:67], v[56:57]
	s_waitcnt vmcnt(1)
	v_add_f64 v[56:57], v[60:61], -v[2:3]
	v_add_f64 v[58:59], v[62:63], -v[4:5]
	scratch_store_dwordx4 off, v[56:59], s46
	scratch_load_dwordx4 v[56:59], off, off offset:208
	s_add_i32 s46, s4, 0x430
	s_addk_i32 s4, 0x70
	s_cmp_lg_u32 s4, 0
	s_waitcnt vmcnt(0) lgkmcnt(0)
	v_mul_f64 v[2:3], v[70:71], v[58:59]
	v_mul_f64 v[4:5], v[68:69], v[58:59]
	v_fma_f64 v[2:3], v[68:69], v[56:57], -v[2:3]
	v_fmac_f64_e32 v[4:5], v[70:71], v[56:57]
	v_add_f64 v[56:57], v[72:73], -v[2:3]
	v_add_f64 v[58:59], v[74:75], -v[4:5]
	scratch_store_dwordx4 off, v[56:59], s47
	scratch_load_dwordx4 v[56:59], off, off offset:208
	s_nop 0
	scratch_load_dwordx4 v[60:63], off, s46
	ds_read2_b64 v[64:67], v1 offset0:106 offset1:107
	ds_read2_b64 v[68:71], v1 offset0:108 offset1:109
	scratch_load_dwordx4 v[72:75], off, s5
	s_waitcnt vmcnt(2) lgkmcnt(1)
	v_mul_f64 v[2:3], v[66:67], v[58:59]
	v_mul_f64 v[4:5], v[64:65], v[58:59]
	v_fma_f64 v[2:3], v[64:65], v[56:57], -v[2:3]
	v_fmac_f64_e32 v[4:5], v[66:67], v[56:57]
	s_waitcnt vmcnt(1)
	v_add_f64 v[56:57], v[60:61], -v[2:3]
	v_add_f64 v[58:59], v[62:63], -v[4:5]
	scratch_store_dwordx4 off, v[56:59], s46
	scratch_load_dwordx4 v[56:59], off, off offset:208
	ds_read2_b64 v[60:63], v1 offset0:110 offset1:111
	s_waitcnt vmcnt(0) lgkmcnt(1)
	v_mul_f64 v[2:3], v[70:71], v[58:59]
	v_mul_f64 v[4:5], v[68:69], v[58:59]
	v_fma_f64 v[2:3], v[68:69], v[56:57], -v[2:3]
	v_fmac_f64_e32 v[4:5], v[70:71], v[56:57]
	v_add_f64 v[56:57], v[72:73], -v[2:3]
	v_add_f64 v[58:59], v[74:75], -v[4:5]
	scratch_store_dwordx4 off, v[56:59], s5
	scratch_load_dwordx4 v[56:59], off, off offset:208
	s_waitcnt vmcnt(0) lgkmcnt(0)
	v_mul_f64 v[2:3], v[62:63], v[58:59]
	v_mul_f64 v[4:5], v[60:61], v[58:59]
	v_fma_f64 v[2:3], v[60:61], v[56:57], -v[2:3]
	v_fmac_f64_e32 v[4:5], v[62:63], v[56:57]
	v_add_f64 v[56:57], v[76:77], -v[2:3]
	v_add_f64 v[58:59], v[78:79], -v[4:5]
	scratch_store_dwordx4 off, v[56:59], s48
	s_cbranch_scc1 .LBB125_180
.LBB125_181:
	s_or_b64 exec, exec, s[2:3]
	v_cmp_eq_u32_e32 vcc, 14, v254
	s_waitcnt lgkmcnt(0)
	s_barrier
	s_and_saveexec_b64 s[4:5], vcc
	s_cbranch_execz .LBB125_190
; %bb.182:
	scratch_load_dwordx4 v[56:59], off, s59
	v_add_u32_e32 v0, 0xf0, v248
	s_movk_i32 s2, 0xfd00
	s_waitcnt vmcnt(0)
	ds_write2_b64 v252, v[56:57], v[58:59] offset1:1
.LBB125_183:                            ; =>This Inner Loop Header: Depth=1
	s_add_i32 s46, s2, 0x3f0
	s_add_i32 s47, s2, 0x400
	;; [unrolled: 1-line block ×16, first 2 shown]
	scratch_load_dwordx4 v[56:59], off, s46
	scratch_load_dwordx4 v[60:63], off, s47
	;; [unrolled: 1-line block ×16, first 2 shown]
	v_add_u32_e32 v1, s2, v0
	s_addk_i32 s2, 0x100
	s_cmp_lg_u32 s2, 0
	s_waitcnt vmcnt(15)
	ds_write2_b64 v1, v[56:57], v[58:59] offset0:96 offset1:97
	s_waitcnt vmcnt(14)
	ds_write2_b64 v1, v[60:61], v[62:63] offset0:98 offset1:99
	;; [unrolled: 2-line block ×16, first 2 shown]
	s_cbranch_scc1 .LBB125_183
; %bb.184:
	ds_read2_b64 v[56:59], v252 offset1:1
	s_waitcnt lgkmcnt(0)
	v_cmp_neq_f64_e32 vcc, 0, v[56:57]
	v_cmp_neq_f64_e64 s[2:3], 0, v[58:59]
	s_or_b64 s[2:3], vcc, s[2:3]
	s_and_b64 exec, exec, s[2:3]
	s_cbranch_execz .LBB125_190
; %bb.185:
	v_cmp_ngt_f64_e64 s[2:3], |v[56:57]|, |v[58:59]|
                                        ; implicit-def: $vgpr0_vgpr1
	s_and_saveexec_b64 s[46:47], s[2:3]
	s_xor_b64 s[2:3], exec, s[46:47]
                                        ; implicit-def: $vgpr2_vgpr3
	s_cbranch_execz .LBB125_187
; %bb.186:
	v_div_scale_f64 v[0:1], s[46:47], v[58:59], v[58:59], v[56:57]
	v_rcp_f64_e32 v[2:3], v[0:1]
	v_div_scale_f64 v[4:5], vcc, v[56:57], v[58:59], v[56:57]
	v_fma_f64 v[6:7], -v[0:1], v[2:3], 1.0
	v_fmac_f64_e32 v[2:3], v[2:3], v[6:7]
	v_fma_f64 v[6:7], -v[0:1], v[2:3], 1.0
	v_fmac_f64_e32 v[2:3], v[2:3], v[6:7]
	v_mul_f64 v[6:7], v[4:5], v[2:3]
	v_fma_f64 v[0:1], -v[0:1], v[6:7], v[4:5]
	v_div_fmas_f64 v[0:1], v[0:1], v[2:3], v[6:7]
	v_div_fixup_f64 v[0:1], v[0:1], v[58:59], v[56:57]
	v_fmac_f64_e32 v[58:59], v[56:57], v[0:1]
	v_div_scale_f64 v[2:3], s[46:47], v[58:59], v[58:59], 1.0
	v_rcp_f64_e32 v[4:5], v[2:3]
	s_nop 0
	v_fma_f64 v[6:7], -v[2:3], v[4:5], 1.0
	v_fmac_f64_e32 v[4:5], v[4:5], v[6:7]
	v_fma_f64 v[6:7], -v[2:3], v[4:5], 1.0
	v_fmac_f64_e32 v[4:5], v[4:5], v[6:7]
	v_div_scale_f64 v[6:7], vcc, 1.0, v[58:59], 1.0
	v_mul_f64 v[56:57], v[6:7], v[4:5]
	v_fma_f64 v[2:3], -v[2:3], v[56:57], v[6:7]
	s_nop 1
	v_div_fmas_f64 v[2:3], v[2:3], v[4:5], v[56:57]
	v_div_fixup_f64 v[2:3], v[2:3], v[58:59], 1.0
	v_mul_f64 v[0:1], v[0:1], v[2:3]
	v_xor_b32_e32 v3, 0x80000000, v3
                                        ; implicit-def: $vgpr56_vgpr57
.LBB125_187:
	s_andn2_saveexec_b64 s[2:3], s[2:3]
	s_cbranch_execz .LBB125_189
; %bb.188:
	v_div_scale_f64 v[0:1], s[46:47], v[56:57], v[56:57], v[58:59]
	v_rcp_f64_e32 v[2:3], v[0:1]
	v_div_scale_f64 v[4:5], vcc, v[58:59], v[56:57], v[58:59]
	v_fma_f64 v[6:7], -v[0:1], v[2:3], 1.0
	v_fmac_f64_e32 v[2:3], v[2:3], v[6:7]
	v_fma_f64 v[6:7], -v[0:1], v[2:3], 1.0
	v_fmac_f64_e32 v[2:3], v[2:3], v[6:7]
	v_mul_f64 v[6:7], v[4:5], v[2:3]
	v_fma_f64 v[0:1], -v[0:1], v[6:7], v[4:5]
	v_div_fmas_f64 v[0:1], v[0:1], v[2:3], v[6:7]
	v_div_fixup_f64 v[2:3], v[0:1], v[56:57], v[58:59]
	v_fmac_f64_e32 v[56:57], v[58:59], v[2:3]
	v_div_scale_f64 v[0:1], s[46:47], v[56:57], v[56:57], 1.0
	v_rcp_f64_e32 v[4:5], v[0:1]
	s_nop 0
	v_fma_f64 v[6:7], -v[0:1], v[4:5], 1.0
	v_fmac_f64_e32 v[4:5], v[4:5], v[6:7]
	v_fma_f64 v[6:7], -v[0:1], v[4:5], 1.0
	v_fmac_f64_e32 v[4:5], v[4:5], v[6:7]
	v_div_scale_f64 v[6:7], vcc, 1.0, v[56:57], 1.0
	v_mul_f64 v[58:59], v[6:7], v[4:5]
	v_fma_f64 v[0:1], -v[0:1], v[58:59], v[6:7]
	s_nop 1
	v_div_fmas_f64 v[0:1], v[0:1], v[4:5], v[58:59]
	v_div_fixup_f64 v[0:1], v[0:1], v[56:57], 1.0
	v_mul_f64 v[2:3], v[2:3], -v[0:1]
.LBB125_189:
	s_or_b64 exec, exec, s[2:3]
	ds_write2_b64 v252, v[0:1], v[2:3] offset1:1
.LBB125_190:
	s_or_b64 exec, exec, s[4:5]
	s_waitcnt lgkmcnt(0)
	s_barrier
	ds_read2_b64 v[56:59], v252 offset1:1
	v_cmp_lt_u32_e32 vcc, 14, v254
	s_and_saveexec_b64 s[2:3], vcc
	s_cbranch_execz .LBB125_193
; %bb.191:
	scratch_load_dwordx4 v[60:63], off, off offset:224
	v_add_u32_e32 v0, 0xf0, v248
	s_movk_i32 s4, 0xfd00
	s_waitcnt vmcnt(0) lgkmcnt(0)
	v_mul_f64 v[2:3], v[58:59], v[62:63]
	v_mul_f64 v[64:65], v[56:57], v[62:63]
	v_fma_f64 v[62:63], v[56:57], v[60:61], -v[2:3]
	v_fmac_f64_e32 v[64:65], v[58:59], v[60:61]
	scratch_store_dwordx4 off, v[62:65], off offset:224
.LBB125_192:                            ; =>This Inner Loop Header: Depth=1
	scratch_load_dwordx4 v[60:63], off, off offset:224
	s_add_i32 s46, s4, 0x3f0
	scratch_load_dwordx4 v[64:67], off, s46
	v_add_u32_e32 v1, s4, v0
	ds_read2_b64 v[68:71], v1 offset0:96 offset1:97
	ds_read2_b64 v[72:75], v1 offset0:98 offset1:99
	s_add_i32 s47, s4, 0x400
	scratch_load_dwordx4 v[76:79], off, s47
	s_add_i32 s5, s4, 0x460
	s_waitcnt vmcnt(2) lgkmcnt(1)
	v_mul_f64 v[2:3], v[70:71], v[62:63]
	v_mul_f64 v[4:5], v[68:69], v[62:63]
	v_fma_f64 v[2:3], v[68:69], v[60:61], -v[2:3]
	v_fmac_f64_e32 v[4:5], v[70:71], v[60:61]
	s_waitcnt vmcnt(1)
	v_add_f64 v[60:61], v[64:65], -v[2:3]
	v_add_f64 v[62:63], v[66:67], -v[4:5]
	scratch_store_dwordx4 off, v[60:63], s46
	scratch_load_dwordx4 v[60:63], off, off offset:224
	s_add_i32 s46, s4, 0x410
	s_waitcnt vmcnt(0) lgkmcnt(0)
	v_mul_f64 v[2:3], v[74:75], v[62:63]
	v_mul_f64 v[4:5], v[72:73], v[62:63]
	v_fma_f64 v[2:3], v[72:73], v[60:61], -v[2:3]
	v_fmac_f64_e32 v[4:5], v[74:75], v[60:61]
	v_add_f64 v[60:61], v[76:77], -v[2:3]
	v_add_f64 v[62:63], v[78:79], -v[4:5]
	scratch_store_dwordx4 off, v[60:63], s47
	scratch_load_dwordx4 v[60:63], off, off offset:224
	s_nop 0
	scratch_load_dwordx4 v[64:67], off, s46
	ds_read2_b64 v[68:71], v1 offset0:100 offset1:101
	ds_read2_b64 v[72:75], v1 offset0:102 offset1:103
	s_add_i32 s47, s4, 0x420
	scratch_load_dwordx4 v[76:79], off, s47
	s_waitcnt vmcnt(2) lgkmcnt(1)
	v_mul_f64 v[2:3], v[70:71], v[62:63]
	v_mul_f64 v[4:5], v[68:69], v[62:63]
	v_fma_f64 v[2:3], v[68:69], v[60:61], -v[2:3]
	v_fmac_f64_e32 v[4:5], v[70:71], v[60:61]
	s_waitcnt vmcnt(1)
	v_add_f64 v[60:61], v[64:65], -v[2:3]
	v_add_f64 v[62:63], v[66:67], -v[4:5]
	scratch_store_dwordx4 off, v[60:63], s46
	scratch_load_dwordx4 v[60:63], off, off offset:224
	s_add_i32 s46, s4, 0x430
	s_waitcnt vmcnt(0) lgkmcnt(0)
	v_mul_f64 v[2:3], v[74:75], v[62:63]
	v_mul_f64 v[4:5], v[72:73], v[62:63]
	v_fma_f64 v[2:3], v[72:73], v[60:61], -v[2:3]
	v_fmac_f64_e32 v[4:5], v[74:75], v[60:61]
	v_add_f64 v[60:61], v[76:77], -v[2:3]
	v_add_f64 v[62:63], v[78:79], -v[4:5]
	scratch_store_dwordx4 off, v[60:63], s47
	scratch_load_dwordx4 v[60:63], off, off offset:224
	s_nop 0
	scratch_load_dwordx4 v[64:67], off, s46
	ds_read2_b64 v[68:71], v1 offset0:104 offset1:105
	ds_read2_b64 v[72:75], v1 offset0:106 offset1:107
	s_add_i32 s47, s4, 0x440
	scratch_load_dwordx4 v[76:79], off, s47
	s_waitcnt vmcnt(2) lgkmcnt(1)
	v_mul_f64 v[2:3], v[70:71], v[62:63]
	v_mul_f64 v[4:5], v[68:69], v[62:63]
	v_fma_f64 v[2:3], v[68:69], v[60:61], -v[2:3]
	v_fmac_f64_e32 v[4:5], v[70:71], v[60:61]
	s_waitcnt vmcnt(1)
	v_add_f64 v[60:61], v[64:65], -v[2:3]
	v_add_f64 v[62:63], v[66:67], -v[4:5]
	scratch_store_dwordx4 off, v[60:63], s46
	scratch_load_dwordx4 v[60:63], off, off offset:224
	s_add_i32 s46, s4, 0x450
	s_addk_i32 s4, 0x80
	s_cmp_lg_u32 s4, 0
	s_waitcnt vmcnt(0) lgkmcnt(0)
	v_mul_f64 v[2:3], v[74:75], v[62:63]
	v_mul_f64 v[4:5], v[72:73], v[62:63]
	v_fma_f64 v[2:3], v[72:73], v[60:61], -v[2:3]
	v_fmac_f64_e32 v[4:5], v[74:75], v[60:61]
	v_add_f64 v[60:61], v[76:77], -v[2:3]
	v_add_f64 v[62:63], v[78:79], -v[4:5]
	scratch_store_dwordx4 off, v[60:63], s47
	scratch_load_dwordx4 v[60:63], off, off offset:224
	s_nop 0
	scratch_load_dwordx4 v[64:67], off, s46
	ds_read2_b64 v[68:71], v1 offset0:108 offset1:109
	ds_read2_b64 v[72:75], v1 offset0:110 offset1:111
	scratch_load_dwordx4 v[76:79], off, s5
	s_waitcnt vmcnt(2) lgkmcnt(1)
	v_mul_f64 v[2:3], v[70:71], v[62:63]
	v_mul_f64 v[4:5], v[68:69], v[62:63]
	v_fma_f64 v[2:3], v[68:69], v[60:61], -v[2:3]
	v_fmac_f64_e32 v[4:5], v[70:71], v[60:61]
	s_waitcnt vmcnt(1)
	v_add_f64 v[60:61], v[64:65], -v[2:3]
	v_add_f64 v[62:63], v[66:67], -v[4:5]
	scratch_store_dwordx4 off, v[60:63], s46
	scratch_load_dwordx4 v[60:63], off, off offset:224
	s_waitcnt vmcnt(0) lgkmcnt(0)
	v_mul_f64 v[2:3], v[74:75], v[62:63]
	v_mul_f64 v[4:5], v[72:73], v[62:63]
	v_fma_f64 v[2:3], v[72:73], v[60:61], -v[2:3]
	v_fmac_f64_e32 v[4:5], v[74:75], v[60:61]
	v_add_f64 v[60:61], v[76:77], -v[2:3]
	v_add_f64 v[62:63], v[78:79], -v[4:5]
	scratch_store_dwordx4 off, v[60:63], s5
	s_cbranch_scc1 .LBB125_192
.LBB125_193:
	s_or_b64 exec, exec, s[2:3]
	v_cmp_eq_u32_e32 vcc, 15, v254
	s_waitcnt lgkmcnt(0)
	s_barrier
	s_and_saveexec_b64 s[4:5], vcc
	s_cbranch_execz .LBB125_204
; %bb.194:
	scratch_load_dwordx4 v[0:3], off, s58
	s_mov_b32 s46, 0
	s_waitcnt vmcnt(0)
	ds_write2_b64 v252, v[0:1], v[2:3] offset1:1
	v_add_u32_e32 v0, 0x100, v248
	s_branch .LBB125_196
.LBB125_195:                            ;   in Loop: Header=BB125_196 Depth=1
	s_andn2_b64 vcc, exec, s[2:3]
	s_cbranch_vccz .LBB125_198
.LBB125_196:                            ; =>This Inner Loop Header: Depth=1
	s_add_i32 s2, s46, 0x100
	s_add_i32 s3, s46, 0x110
	scratch_load_dwordx4 v[60:63], off, s2
	scratch_load_dwordx4 v[64:67], off, s3
	s_add_i32 s2, s46, 0x120
	s_add_i32 s3, s46, 0x130
	scratch_load_dwordx4 v[68:71], off, s2
	scratch_load_dwordx4 v[72:75], off, s3
	;; [unrolled: 4-line block ×3, first 2 shown]
	s_add_i32 s2, s46, 0x160
	scratch_load_dwordx4 v[84:87], off, s2
	s_mov_b32 s47, s46
	v_add_u32_e32 v1, s46, v0
	s_cmpk_eq_i32 s46, 0x280
	s_mov_b64 s[2:3], -1
	s_waitcnt vmcnt(6)
	ds_write2_b64 v1, v[60:61], v[62:63] offset1:1
	s_waitcnt vmcnt(5)
	ds_write2_b64 v1, v[64:65], v[66:67] offset0:2 offset1:3
	s_waitcnt vmcnt(4)
	ds_write2_b64 v1, v[68:69], v[70:71] offset0:4 offset1:5
	;; [unrolled: 2-line block ×6, first 2 shown]
	s_cbranch_scc1 .LBB125_195
; %bb.197:                              ;   in Loop: Header=BB125_196 Depth=1
	s_addk_i32 s47, 0x170
	scratch_load_dwordx4 v[60:63], off, s47
	s_addk_i32 s46, 0x80
	s_mov_b64 s[2:3], 0
	s_waitcnt vmcnt(0)
	ds_write2_b64 v1, v[60:61], v[62:63] offset0:14 offset1:15
	s_branch .LBB125_195
.LBB125_198:
	ds_read2_b64 v[60:63], v252 offset1:1
	s_waitcnt lgkmcnt(0)
	v_cmp_neq_f64_e32 vcc, 0, v[60:61]
	v_cmp_neq_f64_e64 s[2:3], 0, v[62:63]
	s_or_b64 s[2:3], vcc, s[2:3]
	s_and_b64 exec, exec, s[2:3]
	s_cbranch_execz .LBB125_204
; %bb.199:
	v_cmp_ngt_f64_e64 s[2:3], |v[60:61]|, |v[62:63]|
                                        ; implicit-def: $vgpr0_vgpr1
	s_and_saveexec_b64 s[46:47], s[2:3]
	s_xor_b64 s[2:3], exec, s[46:47]
                                        ; implicit-def: $vgpr2_vgpr3
	s_cbranch_execz .LBB125_201
; %bb.200:
	v_div_scale_f64 v[0:1], s[46:47], v[62:63], v[62:63], v[60:61]
	v_rcp_f64_e32 v[2:3], v[0:1]
	v_div_scale_f64 v[4:5], vcc, v[60:61], v[62:63], v[60:61]
	v_fma_f64 v[6:7], -v[0:1], v[2:3], 1.0
	v_fmac_f64_e32 v[2:3], v[2:3], v[6:7]
	v_fma_f64 v[6:7], -v[0:1], v[2:3], 1.0
	v_fmac_f64_e32 v[2:3], v[2:3], v[6:7]
	v_mul_f64 v[6:7], v[4:5], v[2:3]
	v_fma_f64 v[0:1], -v[0:1], v[6:7], v[4:5]
	v_div_fmas_f64 v[0:1], v[0:1], v[2:3], v[6:7]
	v_div_fixup_f64 v[0:1], v[0:1], v[62:63], v[60:61]
	v_fmac_f64_e32 v[62:63], v[60:61], v[0:1]
	v_div_scale_f64 v[2:3], s[46:47], v[62:63], v[62:63], 1.0
	v_rcp_f64_e32 v[4:5], v[2:3]
	s_nop 0
	v_fma_f64 v[6:7], -v[2:3], v[4:5], 1.0
	v_fmac_f64_e32 v[4:5], v[4:5], v[6:7]
	v_fma_f64 v[6:7], -v[2:3], v[4:5], 1.0
	v_fmac_f64_e32 v[4:5], v[4:5], v[6:7]
	v_div_scale_f64 v[6:7], vcc, 1.0, v[62:63], 1.0
	v_mul_f64 v[60:61], v[6:7], v[4:5]
	v_fma_f64 v[2:3], -v[2:3], v[60:61], v[6:7]
	s_nop 1
	v_div_fmas_f64 v[2:3], v[2:3], v[4:5], v[60:61]
	v_div_fixup_f64 v[2:3], v[2:3], v[62:63], 1.0
	v_mul_f64 v[0:1], v[0:1], v[2:3]
	v_xor_b32_e32 v3, 0x80000000, v3
                                        ; implicit-def: $vgpr60_vgpr61
.LBB125_201:
	s_andn2_saveexec_b64 s[2:3], s[2:3]
	s_cbranch_execz .LBB125_203
; %bb.202:
	v_div_scale_f64 v[0:1], s[46:47], v[60:61], v[60:61], v[62:63]
	v_rcp_f64_e32 v[2:3], v[0:1]
	v_div_scale_f64 v[4:5], vcc, v[62:63], v[60:61], v[62:63]
	v_fma_f64 v[6:7], -v[0:1], v[2:3], 1.0
	v_fmac_f64_e32 v[2:3], v[2:3], v[6:7]
	v_fma_f64 v[6:7], -v[0:1], v[2:3], 1.0
	v_fmac_f64_e32 v[2:3], v[2:3], v[6:7]
	v_mul_f64 v[6:7], v[4:5], v[2:3]
	v_fma_f64 v[0:1], -v[0:1], v[6:7], v[4:5]
	v_div_fmas_f64 v[0:1], v[0:1], v[2:3], v[6:7]
	v_div_fixup_f64 v[2:3], v[0:1], v[60:61], v[62:63]
	v_fmac_f64_e32 v[60:61], v[62:63], v[2:3]
	v_div_scale_f64 v[0:1], s[46:47], v[60:61], v[60:61], 1.0
	v_rcp_f64_e32 v[4:5], v[0:1]
	s_nop 0
	v_fma_f64 v[6:7], -v[0:1], v[4:5], 1.0
	v_fmac_f64_e32 v[4:5], v[4:5], v[6:7]
	v_fma_f64 v[6:7], -v[0:1], v[4:5], 1.0
	v_fmac_f64_e32 v[4:5], v[4:5], v[6:7]
	v_div_scale_f64 v[6:7], vcc, 1.0, v[60:61], 1.0
	v_mul_f64 v[62:63], v[6:7], v[4:5]
	v_fma_f64 v[0:1], -v[0:1], v[62:63], v[6:7]
	s_nop 1
	v_div_fmas_f64 v[0:1], v[0:1], v[4:5], v[62:63]
	v_div_fixup_f64 v[0:1], v[0:1], v[60:61], 1.0
	v_mul_f64 v[2:3], v[2:3], -v[0:1]
.LBB125_203:
	s_or_b64 exec, exec, s[2:3]
	ds_write2_b64 v252, v[0:1], v[2:3] offset1:1
.LBB125_204:
	s_or_b64 exec, exec, s[4:5]
	s_waitcnt lgkmcnt(0)
	s_barrier
	ds_read2_b64 v[60:63], v252 offset1:1
	v_cmp_lt_u32_e32 vcc, 15, v254
	s_and_saveexec_b64 s[2:3], vcc
	s_cbranch_execz .LBB125_209
; %bb.205:
	scratch_load_dwordx4 v[0:3], off, off offset:240
	s_mov_b32 s72, 0
	s_waitcnt vmcnt(0) lgkmcnt(0)
	v_mul_f64 v[4:5], v[62:63], v[2:3]
	v_mul_f64 v[66:67], v[60:61], v[2:3]
	v_fma_f64 v[64:65], v[60:61], v[0:1], -v[4:5]
	v_fmac_f64_e32 v[66:67], v[62:63], v[0:1]
	v_add_u32_e32 v0, 0x100, v248
	scratch_store_dwordx4 off, v[64:67], off offset:240
	s_branch .LBB125_207
.LBB125_206:                            ;   in Loop: Header=BB125_207 Depth=1
	s_andn2_b64 vcc, exec, s[4:5]
	s_cbranch_vccz .LBB125_209
.LBB125_207:                            ; =>This Inner Loop Header: Depth=1
	v_add_u32_e32 v1, s72, v0
	ds_read2_b64 v[68:71], v1 offset1:1
	s_add_i32 s4, s72, 0x100
	s_mov_b32 s73, s72
	s_waitcnt lgkmcnt(0)
	v_mul_f64 v[2:3], v[70:71], v[66:67]
	v_mul_f64 v[4:5], v[68:69], v[66:67]
	v_fma_f64 v[2:3], v[68:69], v[64:65], -v[2:3]
	v_fmac_f64_e32 v[4:5], v[70:71], v[64:65]
	scratch_load_dwordx4 v[68:71], off, s4
	s_waitcnt vmcnt(0)
	v_add_f64 v[68:69], v[68:69], -v[2:3]
	v_add_f64 v[70:71], v[70:71], -v[4:5]
	scratch_store_dwordx4 off, v[68:71], s4
	ds_read2_b64 v[68:71], v1 offset0:2 offset1:3
	s_add_i32 s4, s72, 0x110
	s_waitcnt lgkmcnt(0)
	v_mul_f64 v[2:3], v[70:71], v[66:67]
	v_mul_f64 v[4:5], v[68:69], v[66:67]
	v_fma_f64 v[2:3], v[68:69], v[64:65], -v[2:3]
	v_fmac_f64_e32 v[4:5], v[70:71], v[64:65]
	scratch_load_dwordx4 v[68:71], off, s4
	s_waitcnt vmcnt(0)
	v_add_f64 v[68:69], v[68:69], -v[2:3]
	v_add_f64 v[70:71], v[70:71], -v[4:5]
	scratch_store_dwordx4 off, v[68:71], s4
	ds_read2_b64 v[68:71], v1 offset0:4 offset1:5
	s_add_i32 s4, s72, 0x120
	;; [unrolled: 12-line block ×5, first 2 shown]
	s_waitcnt lgkmcnt(0)
	v_mul_f64 v[2:3], v[70:71], v[66:67]
	v_mul_f64 v[4:5], v[68:69], v[66:67]
	v_fma_f64 v[2:3], v[68:69], v[64:65], -v[2:3]
	v_fmac_f64_e32 v[4:5], v[70:71], v[64:65]
	scratch_load_dwordx4 v[64:67], off, s4
	ds_read2_b64 v[68:71], v1 offset0:12 offset1:13
	s_waitcnt vmcnt(0)
	v_add_f64 v[64:65], v[64:65], -v[2:3]
	v_add_f64 v[66:67], v[66:67], -v[4:5]
	scratch_store_dwordx4 off, v[64:67], s4
	scratch_load_dwordx4 v[64:67], off, off offset:240
	s_add_i32 s4, s72, 0x160
	s_cmpk_eq_i32 s72, 0x280
	s_waitcnt vmcnt(0) lgkmcnt(0)
	v_mul_f64 v[2:3], v[70:71], v[66:67]
	v_mul_f64 v[4:5], v[68:69], v[66:67]
	v_fma_f64 v[2:3], v[68:69], v[64:65], -v[2:3]
	v_fmac_f64_e32 v[4:5], v[70:71], v[64:65]
	scratch_load_dwordx4 v[68:71], off, s4
	s_waitcnt vmcnt(0)
	v_add_f64 v[68:69], v[68:69], -v[2:3]
	v_add_f64 v[70:71], v[70:71], -v[4:5]
	scratch_store_dwordx4 off, v[68:71], s4
	s_mov_b64 s[4:5], -1
	s_cbranch_scc1 .LBB125_206
; %bb.208:                              ;   in Loop: Header=BB125_207 Depth=1
	s_addk_i32 s73, 0x170
	scratch_load_dwordx4 v[68:71], off, s73
	ds_read2_b64 v[72:75], v1 offset0:14 offset1:15
	s_addk_i32 s72, 0x80
	s_mov_b64 s[4:5], 0
	s_waitcnt lgkmcnt(0)
	v_mul_f64 v[2:3], v[74:75], v[66:67]
	v_mul_f64 v[4:5], v[72:73], v[66:67]
	v_fma_f64 v[2:3], v[72:73], v[64:65], -v[2:3]
	v_fmac_f64_e32 v[4:5], v[74:75], v[64:65]
	s_waitcnt vmcnt(0)
	v_add_f64 v[68:69], v[68:69], -v[2:3]
	v_add_f64 v[70:71], v[70:71], -v[4:5]
	scratch_store_dwordx4 off, v[68:71], s73
	s_branch .LBB125_206
.LBB125_209:
	s_or_b64 exec, exec, s[2:3]
	v_cmp_eq_u32_e32 vcc, 16, v254
	s_waitcnt lgkmcnt(0)
	s_barrier
	s_and_saveexec_b64 s[4:5], vcc
	s_cbranch_execz .LBB125_218
; %bb.210:
	scratch_load_dwordx4 v[0:3], off, s57
	s_mov_b32 s2, 0
	s_waitcnt vmcnt(0)
	ds_write2_b64 v252, v[0:1], v[2:3] offset1:1
	v_add_u32_e32 v0, 0x110, v248
.LBB125_211:                            ; =>This Inner Loop Header: Depth=1
	s_add_i32 s46, s2, 0x110
	s_add_i32 s3, s2, 0x120
	scratch_load_dwordx4 v[64:67], off, s46
	scratch_load_dwordx4 v[68:71], off, s3
	v_add_u32_e32 v1, s2, v0
	s_add_i32 s2, s2, 32
	s_cmpk_lg_i32 s2, 0x2e0
	s_waitcnt vmcnt(1)
	ds_write2_b64 v1, v[64:65], v[66:67] offset1:1
	s_waitcnt vmcnt(0)
	ds_write2_b64 v1, v[68:69], v[70:71] offset0:2 offset1:3
	s_cbranch_scc1 .LBB125_211
; %bb.212:
	ds_read2_b64 v[64:67], v252 offset1:1
	s_waitcnt lgkmcnt(0)
	v_cmp_neq_f64_e32 vcc, 0, v[64:65]
	v_cmp_neq_f64_e64 s[2:3], 0, v[66:67]
	s_or_b64 s[2:3], vcc, s[2:3]
	s_and_b64 exec, exec, s[2:3]
	s_cbranch_execz .LBB125_218
; %bb.213:
	v_cmp_ngt_f64_e64 s[2:3], |v[64:65]|, |v[66:67]|
                                        ; implicit-def: $vgpr0_vgpr1
	s_and_saveexec_b64 s[46:47], s[2:3]
	s_xor_b64 s[2:3], exec, s[46:47]
                                        ; implicit-def: $vgpr2_vgpr3
	s_cbranch_execz .LBB125_215
; %bb.214:
	v_div_scale_f64 v[0:1], s[46:47], v[66:67], v[66:67], v[64:65]
	v_rcp_f64_e32 v[2:3], v[0:1]
	v_div_scale_f64 v[4:5], vcc, v[64:65], v[66:67], v[64:65]
	v_fma_f64 v[6:7], -v[0:1], v[2:3], 1.0
	v_fmac_f64_e32 v[2:3], v[2:3], v[6:7]
	v_fma_f64 v[6:7], -v[0:1], v[2:3], 1.0
	v_fmac_f64_e32 v[2:3], v[2:3], v[6:7]
	v_mul_f64 v[6:7], v[4:5], v[2:3]
	v_fma_f64 v[0:1], -v[0:1], v[6:7], v[4:5]
	v_div_fmas_f64 v[0:1], v[0:1], v[2:3], v[6:7]
	v_div_fixup_f64 v[0:1], v[0:1], v[66:67], v[64:65]
	v_fmac_f64_e32 v[66:67], v[64:65], v[0:1]
	v_div_scale_f64 v[2:3], s[46:47], v[66:67], v[66:67], 1.0
	v_rcp_f64_e32 v[4:5], v[2:3]
	s_nop 0
	v_fma_f64 v[6:7], -v[2:3], v[4:5], 1.0
	v_fmac_f64_e32 v[4:5], v[4:5], v[6:7]
	v_fma_f64 v[6:7], -v[2:3], v[4:5], 1.0
	v_fmac_f64_e32 v[4:5], v[4:5], v[6:7]
	v_div_scale_f64 v[6:7], vcc, 1.0, v[66:67], 1.0
	v_mul_f64 v[64:65], v[6:7], v[4:5]
	v_fma_f64 v[2:3], -v[2:3], v[64:65], v[6:7]
	s_nop 1
	v_div_fmas_f64 v[2:3], v[2:3], v[4:5], v[64:65]
	v_div_fixup_f64 v[2:3], v[2:3], v[66:67], 1.0
	v_mul_f64 v[0:1], v[0:1], v[2:3]
	v_xor_b32_e32 v3, 0x80000000, v3
                                        ; implicit-def: $vgpr64_vgpr65
.LBB125_215:
	s_andn2_saveexec_b64 s[2:3], s[2:3]
	s_cbranch_execz .LBB125_217
; %bb.216:
	v_div_scale_f64 v[0:1], s[46:47], v[64:65], v[64:65], v[66:67]
	v_rcp_f64_e32 v[2:3], v[0:1]
	v_div_scale_f64 v[4:5], vcc, v[66:67], v[64:65], v[66:67]
	v_fma_f64 v[6:7], -v[0:1], v[2:3], 1.0
	v_fmac_f64_e32 v[2:3], v[2:3], v[6:7]
	v_fma_f64 v[6:7], -v[0:1], v[2:3], 1.0
	v_fmac_f64_e32 v[2:3], v[2:3], v[6:7]
	v_mul_f64 v[6:7], v[4:5], v[2:3]
	v_fma_f64 v[0:1], -v[0:1], v[6:7], v[4:5]
	v_div_fmas_f64 v[0:1], v[0:1], v[2:3], v[6:7]
	v_div_fixup_f64 v[2:3], v[0:1], v[64:65], v[66:67]
	v_fmac_f64_e32 v[64:65], v[66:67], v[2:3]
	v_div_scale_f64 v[0:1], s[46:47], v[64:65], v[64:65], 1.0
	v_rcp_f64_e32 v[4:5], v[0:1]
	s_nop 0
	v_fma_f64 v[6:7], -v[0:1], v[4:5], 1.0
	v_fmac_f64_e32 v[4:5], v[4:5], v[6:7]
	v_fma_f64 v[6:7], -v[0:1], v[4:5], 1.0
	v_fmac_f64_e32 v[4:5], v[4:5], v[6:7]
	v_div_scale_f64 v[6:7], vcc, 1.0, v[64:65], 1.0
	v_mul_f64 v[66:67], v[6:7], v[4:5]
	v_fma_f64 v[0:1], -v[0:1], v[66:67], v[6:7]
	s_nop 1
	v_div_fmas_f64 v[0:1], v[0:1], v[4:5], v[66:67]
	v_div_fixup_f64 v[0:1], v[0:1], v[64:65], 1.0
	v_mul_f64 v[2:3], v[2:3], -v[0:1]
.LBB125_217:
	s_or_b64 exec, exec, s[2:3]
	ds_write2_b64 v252, v[0:1], v[2:3] offset1:1
.LBB125_218:
	s_or_b64 exec, exec, s[4:5]
	s_waitcnt lgkmcnt(0)
	s_barrier
	ds_read2_b64 v[64:67], v252 offset1:1
	v_cmp_lt_u32_e32 vcc, 16, v254
	s_and_saveexec_b64 s[2:3], vcc
	s_cbranch_execz .LBB125_221
; %bb.219:
	scratch_load_dwordx4 v[0:3], off, off offset:256
	s_mov_b32 s4, 0
	s_waitcnt vmcnt(0) lgkmcnt(0)
	v_mul_f64 v[4:5], v[66:67], v[2:3]
	v_mul_f64 v[70:71], v[64:65], v[2:3]
	v_fma_f64 v[68:69], v[64:65], v[0:1], -v[4:5]
	v_fmac_f64_e32 v[70:71], v[66:67], v[0:1]
	v_add_u32_e32 v0, 0x110, v248
	scratch_store_dwordx4 off, v[68:71], off offset:256
.LBB125_220:                            ; =>This Inner Loop Header: Depth=1
	s_add_i32 s46, s4, 0x110
	s_add_i32 s5, s4, 0x120
	scratch_load_dwordx4 v[72:75], off, s46
	scratch_load_dwordx4 v[76:79], off, s5
	v_add_u32_e32 v1, s4, v0
	ds_read2_b64 v[80:83], v1 offset1:1
	ds_read2_b64 v[84:87], v1 offset0:2 offset1:3
	s_add_i32 s4, s4, 32
	s_cmpk_lg_i32 s4, 0x2e0
	s_waitcnt lgkmcnt(1)
	v_mul_f64 v[2:3], v[82:83], v[70:71]
	v_mul_f64 v[4:5], v[80:81], v[70:71]
	s_waitcnt lgkmcnt(0)
	v_mul_f64 v[6:7], v[86:87], v[70:71]
	v_mul_f64 v[88:89], v[84:85], v[70:71]
	v_fma_f64 v[2:3], v[80:81], v[68:69], -v[2:3]
	v_fmac_f64_e32 v[4:5], v[82:83], v[68:69]
	v_fma_f64 v[6:7], v[84:85], v[68:69], -v[6:7]
	v_fmac_f64_e32 v[88:89], v[86:87], v[68:69]
	s_waitcnt vmcnt(1)
	v_add_f64 v[72:73], v[72:73], -v[2:3]
	v_add_f64 v[74:75], v[74:75], -v[4:5]
	s_waitcnt vmcnt(0)
	v_add_f64 v[76:77], v[76:77], -v[6:7]
	v_add_f64 v[78:79], v[78:79], -v[88:89]
	scratch_store_dwordx4 off, v[72:75], s46
	scratch_store_dwordx4 off, v[76:79], s5
	s_cbranch_scc1 .LBB125_220
.LBB125_221:
	s_or_b64 exec, exec, s[2:3]
	v_cmp_eq_u32_e32 vcc, 17, v254
	s_waitcnt lgkmcnt(0)
	s_barrier
	s_and_saveexec_b64 s[4:5], vcc
	s_cbranch_execz .LBB125_230
; %bb.222:
	scratch_load_dwordx4 v[68:71], off, s56
	v_add_u32_e32 v0, 0x120, v248
	s_movk_i32 s2, 0xfd30
	s_waitcnt vmcnt(0)
	ds_write2_b64 v252, v[68:69], v[70:71] offset1:1
.LBB125_223:                            ; =>This Inner Loop Header: Depth=1
	s_add_i32 s46, s2, 0x3f0
	scratch_load_dwordx4 v[68:71], off, s46
	v_add_u32_e32 v1, s2, v0
	s_add_i32 s46, s2, 0x400
	s_add_i32 s3, s2, 0x4d0
	s_waitcnt vmcnt(0)
	ds_write2_b64 v1, v[68:69], v[70:71] offset0:90 offset1:91
	scratch_load_dwordx4 v[68:71], off, s46
	s_add_i32 s46, s2, 0x410
	s_waitcnt vmcnt(0)
	ds_write2_b64 v1, v[68:69], v[70:71] offset0:92 offset1:93
	scratch_load_dwordx4 v[68:71], off, s46
	;; [unrolled: 4-line block ×12, first 2 shown]
	s_add_i32 s46, s2, 0x4c0
	s_addk_i32 s2, 0xf0
	s_cmp_lg_u32 s2, 0
	s_waitcnt vmcnt(0)
	ds_write2_b64 v1, v[68:69], v[70:71] offset0:114 offset1:115
	scratch_load_dwordx4 v[68:71], off, s46
	s_waitcnt vmcnt(0)
	ds_write2_b64 v1, v[68:69], v[70:71] offset0:116 offset1:117
	scratch_load_dwordx4 v[68:71], off, s3
	s_waitcnt vmcnt(0)
	ds_write2_b64 v1, v[68:69], v[70:71] offset0:118 offset1:119
	s_cbranch_scc1 .LBB125_223
; %bb.224:
	ds_read2_b64 v[68:71], v252 offset1:1
	s_waitcnt lgkmcnt(0)
	v_cmp_neq_f64_e32 vcc, 0, v[68:69]
	v_cmp_neq_f64_e64 s[2:3], 0, v[70:71]
	s_or_b64 s[2:3], vcc, s[2:3]
	s_and_b64 exec, exec, s[2:3]
	s_cbranch_execz .LBB125_230
; %bb.225:
	v_cmp_ngt_f64_e64 s[2:3], |v[68:69]|, |v[70:71]|
                                        ; implicit-def: $vgpr0_vgpr1
	s_and_saveexec_b64 s[46:47], s[2:3]
	s_xor_b64 s[2:3], exec, s[46:47]
                                        ; implicit-def: $vgpr2_vgpr3
	s_cbranch_execz .LBB125_227
; %bb.226:
	v_div_scale_f64 v[0:1], s[46:47], v[70:71], v[70:71], v[68:69]
	v_rcp_f64_e32 v[2:3], v[0:1]
	v_div_scale_f64 v[4:5], vcc, v[68:69], v[70:71], v[68:69]
	v_fma_f64 v[6:7], -v[0:1], v[2:3], 1.0
	v_fmac_f64_e32 v[2:3], v[2:3], v[6:7]
	v_fma_f64 v[6:7], -v[0:1], v[2:3], 1.0
	v_fmac_f64_e32 v[2:3], v[2:3], v[6:7]
	v_mul_f64 v[6:7], v[4:5], v[2:3]
	v_fma_f64 v[0:1], -v[0:1], v[6:7], v[4:5]
	v_div_fmas_f64 v[0:1], v[0:1], v[2:3], v[6:7]
	v_div_fixup_f64 v[0:1], v[0:1], v[70:71], v[68:69]
	v_fmac_f64_e32 v[70:71], v[68:69], v[0:1]
	v_div_scale_f64 v[2:3], s[46:47], v[70:71], v[70:71], 1.0
	v_rcp_f64_e32 v[4:5], v[2:3]
	s_nop 0
	v_fma_f64 v[6:7], -v[2:3], v[4:5], 1.0
	v_fmac_f64_e32 v[4:5], v[4:5], v[6:7]
	v_fma_f64 v[6:7], -v[2:3], v[4:5], 1.0
	v_fmac_f64_e32 v[4:5], v[4:5], v[6:7]
	v_div_scale_f64 v[6:7], vcc, 1.0, v[70:71], 1.0
	v_mul_f64 v[68:69], v[6:7], v[4:5]
	v_fma_f64 v[2:3], -v[2:3], v[68:69], v[6:7]
	s_nop 1
	v_div_fmas_f64 v[2:3], v[2:3], v[4:5], v[68:69]
	v_div_fixup_f64 v[2:3], v[2:3], v[70:71], 1.0
	v_mul_f64 v[0:1], v[0:1], v[2:3]
	v_xor_b32_e32 v3, 0x80000000, v3
                                        ; implicit-def: $vgpr68_vgpr69
.LBB125_227:
	s_andn2_saveexec_b64 s[2:3], s[2:3]
	s_cbranch_execz .LBB125_229
; %bb.228:
	v_div_scale_f64 v[0:1], s[46:47], v[68:69], v[68:69], v[70:71]
	v_rcp_f64_e32 v[2:3], v[0:1]
	v_div_scale_f64 v[4:5], vcc, v[70:71], v[68:69], v[70:71]
	v_fma_f64 v[6:7], -v[0:1], v[2:3], 1.0
	v_fmac_f64_e32 v[2:3], v[2:3], v[6:7]
	v_fma_f64 v[6:7], -v[0:1], v[2:3], 1.0
	v_fmac_f64_e32 v[2:3], v[2:3], v[6:7]
	v_mul_f64 v[6:7], v[4:5], v[2:3]
	v_fma_f64 v[0:1], -v[0:1], v[6:7], v[4:5]
	v_div_fmas_f64 v[0:1], v[0:1], v[2:3], v[6:7]
	v_div_fixup_f64 v[2:3], v[0:1], v[68:69], v[70:71]
	v_fmac_f64_e32 v[68:69], v[70:71], v[2:3]
	v_div_scale_f64 v[0:1], s[46:47], v[68:69], v[68:69], 1.0
	v_rcp_f64_e32 v[4:5], v[0:1]
	s_nop 0
	v_fma_f64 v[6:7], -v[0:1], v[4:5], 1.0
	v_fmac_f64_e32 v[4:5], v[4:5], v[6:7]
	v_fma_f64 v[6:7], -v[0:1], v[4:5], 1.0
	v_fmac_f64_e32 v[4:5], v[4:5], v[6:7]
	v_div_scale_f64 v[6:7], vcc, 1.0, v[68:69], 1.0
	v_mul_f64 v[70:71], v[6:7], v[4:5]
	v_fma_f64 v[0:1], -v[0:1], v[70:71], v[6:7]
	s_nop 1
	v_div_fmas_f64 v[0:1], v[0:1], v[4:5], v[70:71]
	v_div_fixup_f64 v[0:1], v[0:1], v[68:69], 1.0
	v_mul_f64 v[2:3], v[2:3], -v[0:1]
.LBB125_229:
	s_or_b64 exec, exec, s[2:3]
	ds_write2_b64 v252, v[0:1], v[2:3] offset1:1
.LBB125_230:
	s_or_b64 exec, exec, s[4:5]
	s_waitcnt lgkmcnt(0)
	s_barrier
	ds_read2_b64 v[68:71], v252 offset1:1
	v_cmp_lt_u32_e32 vcc, 17, v254
	s_and_saveexec_b64 s[2:3], vcc
	s_cbranch_execz .LBB125_233
; %bb.231:
	scratch_load_dwordx4 v[72:75], off, off offset:272
	v_add_u32_e32 v0, 0x120, v248
	s_movk_i32 s4, 0xfd30
	s_waitcnt vmcnt(0) lgkmcnt(0)
	v_mul_f64 v[2:3], v[70:71], v[74:75]
	v_mul_f64 v[76:77], v[68:69], v[74:75]
	v_fma_f64 v[74:75], v[68:69], v[72:73], -v[2:3]
	v_fmac_f64_e32 v[76:77], v[70:71], v[72:73]
	scratch_store_dwordx4 off, v[74:77], off offset:272
.LBB125_232:                            ; =>This Inner Loop Header: Depth=1
	scratch_load_dwordx4 v[72:75], off, off offset:272
	s_add_i32 s72, s4, 0x3f0
	scratch_load_dwordx4 v[76:79], off, s72
	v_add_u32_e32 v1, s4, v0
	ds_read2_b64 v[80:83], v1 offset0:90 offset1:91
	ds_read2_b64 v[84:87], v1 offset0:92 offset1:93
	s_add_i32 s46, s4, 0x400
	s_add_i32 s47, s4, 0x470
	scratch_load_dwordx4 v[88:91], off, s46
	scratch_load_dwordx4 v[92:95], off, s47
	s_add_i32 s48, s4, 0x410
	s_add_i32 s5, s4, 0x460
	s_waitcnt vmcnt(3) lgkmcnt(1)
	v_mul_f64 v[2:3], v[82:83], v[74:75]
	v_mul_f64 v[4:5], v[80:81], v[74:75]
	v_fma_f64 v[2:3], v[80:81], v[72:73], -v[2:3]
	v_fmac_f64_e32 v[4:5], v[82:83], v[72:73]
	s_waitcnt vmcnt(2)
	v_add_f64 v[72:73], v[76:77], -v[2:3]
	v_add_f64 v[74:75], v[78:79], -v[4:5]
	scratch_store_dwordx4 off, v[72:75], s72
	scratch_load_dwordx4 v[72:75], off, off offset:272
	s_waitcnt vmcnt(0) lgkmcnt(0)
	v_mul_f64 v[2:3], v[86:87], v[74:75]
	v_mul_f64 v[4:5], v[84:85], v[74:75]
	v_fma_f64 v[2:3], v[84:85], v[72:73], -v[2:3]
	v_fmac_f64_e32 v[4:5], v[86:87], v[72:73]
	v_add_f64 v[72:73], v[88:89], -v[2:3]
	v_add_f64 v[74:75], v[90:91], -v[4:5]
	scratch_store_dwordx4 off, v[72:75], s46
	scratch_load_dwordx4 v[72:75], off, off offset:272
	s_nop 0
	scratch_load_dwordx4 v[76:79], off, s48
	ds_read2_b64 v[80:83], v1 offset0:94 offset1:95
	ds_read2_b64 v[84:87], v1 offset0:96 offset1:97
	s_add_i32 s46, s4, 0x420
	scratch_load_dwordx4 v[88:91], off, s46
	s_waitcnt vmcnt(2) lgkmcnt(1)
	v_mul_f64 v[2:3], v[82:83], v[74:75]
	v_mul_f64 v[4:5], v[80:81], v[74:75]
	v_fma_f64 v[2:3], v[80:81], v[72:73], -v[2:3]
	v_fmac_f64_e32 v[4:5], v[82:83], v[72:73]
	s_waitcnt vmcnt(1)
	v_add_f64 v[72:73], v[76:77], -v[2:3]
	v_add_f64 v[74:75], v[78:79], -v[4:5]
	scratch_store_dwordx4 off, v[72:75], s48
	scratch_load_dwordx4 v[72:75], off, off offset:272
	s_add_i32 s48, s4, 0x430
	s_waitcnt vmcnt(0) lgkmcnt(0)
	v_mul_f64 v[2:3], v[86:87], v[74:75]
	v_mul_f64 v[4:5], v[84:85], v[74:75]
	v_fma_f64 v[2:3], v[84:85], v[72:73], -v[2:3]
	v_fmac_f64_e32 v[4:5], v[86:87], v[72:73]
	v_add_f64 v[72:73], v[88:89], -v[2:3]
	v_add_f64 v[74:75], v[90:91], -v[4:5]
	scratch_store_dwordx4 off, v[72:75], s46
	scratch_load_dwordx4 v[72:75], off, off offset:272
	s_nop 0
	scratch_load_dwordx4 v[76:79], off, s48
	ds_read2_b64 v[80:83], v1 offset0:98 offset1:99
	ds_read2_b64 v[84:87], v1 offset0:100 offset1:101
	s_add_i32 s46, s4, 0x440
	scratch_load_dwordx4 v[88:91], off, s46
	s_waitcnt vmcnt(2) lgkmcnt(1)
	v_mul_f64 v[2:3], v[82:83], v[74:75]
	v_mul_f64 v[4:5], v[80:81], v[74:75]
	v_fma_f64 v[2:3], v[80:81], v[72:73], -v[2:3]
	v_fmac_f64_e32 v[4:5], v[82:83], v[72:73]
	s_waitcnt vmcnt(1)
	v_add_f64 v[72:73], v[76:77], -v[2:3]
	v_add_f64 v[74:75], v[78:79], -v[4:5]
	scratch_store_dwordx4 off, v[72:75], s48
	scratch_load_dwordx4 v[72:75], off, off offset:272
	s_add_i32 s48, s4, 0x450
	s_addk_i32 s4, 0x90
	s_cmp_lg_u32 s4, 0
	s_waitcnt vmcnt(0) lgkmcnt(0)
	v_mul_f64 v[2:3], v[86:87], v[74:75]
	v_mul_f64 v[4:5], v[84:85], v[74:75]
	v_fma_f64 v[2:3], v[84:85], v[72:73], -v[2:3]
	v_fmac_f64_e32 v[4:5], v[86:87], v[72:73]
	v_add_f64 v[72:73], v[88:89], -v[2:3]
	v_add_f64 v[74:75], v[90:91], -v[4:5]
	scratch_store_dwordx4 off, v[72:75], s46
	scratch_load_dwordx4 v[72:75], off, off offset:272
	s_nop 0
	scratch_load_dwordx4 v[76:79], off, s48
	ds_read2_b64 v[80:83], v1 offset0:102 offset1:103
	ds_read2_b64 v[84:87], v1 offset0:104 offset1:105
	scratch_load_dwordx4 v[88:91], off, s5
	s_waitcnt vmcnt(2) lgkmcnt(1)
	v_mul_f64 v[2:3], v[82:83], v[74:75]
	v_mul_f64 v[4:5], v[80:81], v[74:75]
	v_fma_f64 v[2:3], v[80:81], v[72:73], -v[2:3]
	v_fmac_f64_e32 v[4:5], v[82:83], v[72:73]
	s_waitcnt vmcnt(1)
	v_add_f64 v[72:73], v[76:77], -v[2:3]
	v_add_f64 v[74:75], v[78:79], -v[4:5]
	scratch_store_dwordx4 off, v[72:75], s48
	scratch_load_dwordx4 v[72:75], off, off offset:272
	ds_read2_b64 v[76:79], v1 offset0:106 offset1:107
	s_waitcnt vmcnt(0) lgkmcnt(1)
	v_mul_f64 v[2:3], v[86:87], v[74:75]
	v_mul_f64 v[4:5], v[84:85], v[74:75]
	v_fma_f64 v[2:3], v[84:85], v[72:73], -v[2:3]
	v_fmac_f64_e32 v[4:5], v[86:87], v[72:73]
	v_add_f64 v[72:73], v[88:89], -v[2:3]
	v_add_f64 v[74:75], v[90:91], -v[4:5]
	scratch_store_dwordx4 off, v[72:75], s5
	scratch_load_dwordx4 v[72:75], off, off offset:272
	s_waitcnt vmcnt(0) lgkmcnt(0)
	v_mul_f64 v[2:3], v[78:79], v[74:75]
	v_mul_f64 v[4:5], v[76:77], v[74:75]
	v_fma_f64 v[2:3], v[76:77], v[72:73], -v[2:3]
	v_fmac_f64_e32 v[4:5], v[78:79], v[72:73]
	v_add_f64 v[72:73], v[92:93], -v[2:3]
	v_add_f64 v[74:75], v[94:95], -v[4:5]
	scratch_store_dwordx4 off, v[72:75], s47
	s_cbranch_scc1 .LBB125_232
.LBB125_233:
	s_or_b64 exec, exec, s[2:3]
	v_cmp_eq_u32_e32 vcc, 18, v254
	s_waitcnt lgkmcnt(0)
	s_barrier
	s_and_saveexec_b64 s[4:5], vcc
	s_cbranch_execz .LBB125_242
; %bb.234:
	scratch_load_dwordx4 v[72:75], off, s55
	v_add_u32_e32 v0, 0x130, v248
	s_movk_i32 s2, 0xfd40
	s_waitcnt vmcnt(0)
	ds_write2_b64 v252, v[72:73], v[74:75] offset1:1
.LBB125_235:                            ; =>This Inner Loop Header: Depth=1
	s_add_i32 s46, s2, 0x3f0
	s_add_i32 s47, s2, 0x400
	;; [unrolled: 1-line block ×11, first 2 shown]
	scratch_load_dwordx4 v[72:75], off, s46
	scratch_load_dwordx4 v[76:79], off, s47
	;; [unrolled: 1-line block ×11, first 2 shown]
	v_add_u32_e32 v1, s2, v0
	s_addk_i32 s2, 0xb0
	s_cmp_lg_u32 s2, 0
	s_waitcnt vmcnt(10)
	ds_write2_b64 v1, v[72:73], v[74:75] offset0:88 offset1:89
	s_waitcnt vmcnt(9)
	ds_write2_b64 v1, v[76:77], v[78:79] offset0:90 offset1:91
	;; [unrolled: 2-line block ×11, first 2 shown]
	s_cbranch_scc1 .LBB125_235
; %bb.236:
	ds_read2_b64 v[72:75], v252 offset1:1
	s_waitcnt lgkmcnt(0)
	v_cmp_neq_f64_e32 vcc, 0, v[72:73]
	v_cmp_neq_f64_e64 s[2:3], 0, v[74:75]
	s_or_b64 s[2:3], vcc, s[2:3]
	s_and_b64 exec, exec, s[2:3]
	s_cbranch_execz .LBB125_242
; %bb.237:
	v_cmp_ngt_f64_e64 s[2:3], |v[72:73]|, |v[74:75]|
                                        ; implicit-def: $vgpr0_vgpr1
	s_and_saveexec_b64 s[46:47], s[2:3]
	s_xor_b64 s[2:3], exec, s[46:47]
                                        ; implicit-def: $vgpr2_vgpr3
	s_cbranch_execz .LBB125_239
; %bb.238:
	v_div_scale_f64 v[0:1], s[46:47], v[74:75], v[74:75], v[72:73]
	v_rcp_f64_e32 v[2:3], v[0:1]
	v_div_scale_f64 v[4:5], vcc, v[72:73], v[74:75], v[72:73]
	v_fma_f64 v[6:7], -v[0:1], v[2:3], 1.0
	v_fmac_f64_e32 v[2:3], v[2:3], v[6:7]
	v_fma_f64 v[6:7], -v[0:1], v[2:3], 1.0
	v_fmac_f64_e32 v[2:3], v[2:3], v[6:7]
	v_mul_f64 v[6:7], v[4:5], v[2:3]
	v_fma_f64 v[0:1], -v[0:1], v[6:7], v[4:5]
	v_div_fmas_f64 v[0:1], v[0:1], v[2:3], v[6:7]
	v_div_fixup_f64 v[0:1], v[0:1], v[74:75], v[72:73]
	v_fmac_f64_e32 v[74:75], v[72:73], v[0:1]
	v_div_scale_f64 v[2:3], s[46:47], v[74:75], v[74:75], 1.0
	v_rcp_f64_e32 v[4:5], v[2:3]
	s_nop 0
	v_fma_f64 v[6:7], -v[2:3], v[4:5], 1.0
	v_fmac_f64_e32 v[4:5], v[4:5], v[6:7]
	v_fma_f64 v[6:7], -v[2:3], v[4:5], 1.0
	v_fmac_f64_e32 v[4:5], v[4:5], v[6:7]
	v_div_scale_f64 v[6:7], vcc, 1.0, v[74:75], 1.0
	v_mul_f64 v[72:73], v[6:7], v[4:5]
	v_fma_f64 v[2:3], -v[2:3], v[72:73], v[6:7]
	s_nop 1
	v_div_fmas_f64 v[2:3], v[2:3], v[4:5], v[72:73]
	v_div_fixup_f64 v[2:3], v[2:3], v[74:75], 1.0
	v_mul_f64 v[0:1], v[0:1], v[2:3]
	v_xor_b32_e32 v3, 0x80000000, v3
                                        ; implicit-def: $vgpr72_vgpr73
.LBB125_239:
	s_andn2_saveexec_b64 s[2:3], s[2:3]
	s_cbranch_execz .LBB125_241
; %bb.240:
	v_div_scale_f64 v[0:1], s[46:47], v[72:73], v[72:73], v[74:75]
	v_rcp_f64_e32 v[2:3], v[0:1]
	v_div_scale_f64 v[4:5], vcc, v[74:75], v[72:73], v[74:75]
	v_fma_f64 v[6:7], -v[0:1], v[2:3], 1.0
	v_fmac_f64_e32 v[2:3], v[2:3], v[6:7]
	v_fma_f64 v[6:7], -v[0:1], v[2:3], 1.0
	v_fmac_f64_e32 v[2:3], v[2:3], v[6:7]
	v_mul_f64 v[6:7], v[4:5], v[2:3]
	v_fma_f64 v[0:1], -v[0:1], v[6:7], v[4:5]
	v_div_fmas_f64 v[0:1], v[0:1], v[2:3], v[6:7]
	v_div_fixup_f64 v[2:3], v[0:1], v[72:73], v[74:75]
	v_fmac_f64_e32 v[72:73], v[74:75], v[2:3]
	v_div_scale_f64 v[0:1], s[46:47], v[72:73], v[72:73], 1.0
	v_rcp_f64_e32 v[4:5], v[0:1]
	s_nop 0
	v_fma_f64 v[6:7], -v[0:1], v[4:5], 1.0
	v_fmac_f64_e32 v[4:5], v[4:5], v[6:7]
	v_fma_f64 v[6:7], -v[0:1], v[4:5], 1.0
	v_fmac_f64_e32 v[4:5], v[4:5], v[6:7]
	v_div_scale_f64 v[6:7], vcc, 1.0, v[72:73], 1.0
	v_mul_f64 v[74:75], v[6:7], v[4:5]
	v_fma_f64 v[0:1], -v[0:1], v[74:75], v[6:7]
	s_nop 1
	v_div_fmas_f64 v[0:1], v[0:1], v[4:5], v[74:75]
	v_div_fixup_f64 v[0:1], v[0:1], v[72:73], 1.0
	v_mul_f64 v[2:3], v[2:3], -v[0:1]
.LBB125_241:
	s_or_b64 exec, exec, s[2:3]
	ds_write2_b64 v252, v[0:1], v[2:3] offset1:1
.LBB125_242:
	s_or_b64 exec, exec, s[4:5]
	s_waitcnt lgkmcnt(0)
	s_barrier
	ds_read2_b64 v[72:75], v252 offset1:1
	v_cmp_lt_u32_e32 vcc, 18, v254
	s_and_saveexec_b64 s[2:3], vcc
	s_cbranch_execz .LBB125_245
; %bb.243:
	scratch_load_dwordx4 v[76:79], off, off offset:288
	v_add_u32_e32 v0, 0x130, v248
	s_movk_i32 s4, 0xfd40
	s_waitcnt vmcnt(0) lgkmcnt(0)
	v_mul_f64 v[2:3], v[74:75], v[78:79]
	v_mul_f64 v[80:81], v[72:73], v[78:79]
	v_fma_f64 v[78:79], v[72:73], v[76:77], -v[2:3]
	v_fmac_f64_e32 v[80:81], v[74:75], v[76:77]
	scratch_store_dwordx4 off, v[78:81], off offset:288
.LBB125_244:                            ; =>This Inner Loop Header: Depth=1
	scratch_load_dwordx4 v[76:79], off, off offset:288
	s_add_i32 s46, s4, 0x3f0
	scratch_load_dwordx4 v[80:83], off, s46
	v_add_u32_e32 v1, s4, v0
	ds_read2_b64 v[84:87], v1 offset0:88 offset1:89
	ds_read2_b64 v[88:91], v1 offset0:90 offset1:91
	s_add_i32 s47, s4, 0x400
	scratch_load_dwordx4 v[92:95], off, s47
	s_add_i32 s5, s4, 0x420
	s_waitcnt vmcnt(2) lgkmcnt(1)
	v_mul_f64 v[2:3], v[86:87], v[78:79]
	v_mul_f64 v[4:5], v[84:85], v[78:79]
	v_fma_f64 v[2:3], v[84:85], v[76:77], -v[2:3]
	v_fmac_f64_e32 v[4:5], v[86:87], v[76:77]
	s_waitcnt vmcnt(1)
	v_add_f64 v[76:77], v[80:81], -v[2:3]
	v_add_f64 v[78:79], v[82:83], -v[4:5]
	scratch_store_dwordx4 off, v[76:79], s46
	scratch_load_dwordx4 v[76:79], off, off offset:288
	s_add_i32 s46, s4, 0x410
	s_add_i32 s4, s4, 64
	s_cmp_lg_u32 s4, 0
	s_waitcnt vmcnt(0) lgkmcnt(0)
	v_mul_f64 v[2:3], v[90:91], v[78:79]
	v_mul_f64 v[4:5], v[88:89], v[78:79]
	v_fma_f64 v[2:3], v[88:89], v[76:77], -v[2:3]
	v_fmac_f64_e32 v[4:5], v[90:91], v[76:77]
	v_add_f64 v[76:77], v[92:93], -v[2:3]
	v_add_f64 v[78:79], v[94:95], -v[4:5]
	scratch_store_dwordx4 off, v[76:79], s47
	scratch_load_dwordx4 v[76:79], off, off offset:288
	s_nop 0
	scratch_load_dwordx4 v[80:83], off, s46
	ds_read2_b64 v[84:87], v1 offset0:92 offset1:93
	ds_read2_b64 v[88:91], v1 offset0:94 offset1:95
	scratch_load_dwordx4 v[92:95], off, s5
	s_waitcnt vmcnt(2) lgkmcnt(1)
	v_mul_f64 v[2:3], v[86:87], v[78:79]
	v_mul_f64 v[4:5], v[84:85], v[78:79]
	v_fma_f64 v[2:3], v[84:85], v[76:77], -v[2:3]
	v_fmac_f64_e32 v[4:5], v[86:87], v[76:77]
	s_waitcnt vmcnt(1)
	v_add_f64 v[76:77], v[80:81], -v[2:3]
	v_add_f64 v[78:79], v[82:83], -v[4:5]
	scratch_store_dwordx4 off, v[76:79], s46
	scratch_load_dwordx4 v[76:79], off, off offset:288
	s_waitcnt vmcnt(0) lgkmcnt(0)
	v_mul_f64 v[2:3], v[90:91], v[78:79]
	v_mul_f64 v[4:5], v[88:89], v[78:79]
	v_fma_f64 v[2:3], v[88:89], v[76:77], -v[2:3]
	v_fmac_f64_e32 v[4:5], v[90:91], v[76:77]
	v_add_f64 v[76:77], v[92:93], -v[2:3]
	v_add_f64 v[78:79], v[94:95], -v[4:5]
	scratch_store_dwordx4 off, v[76:79], s5
	s_cbranch_scc1 .LBB125_244
.LBB125_245:
	s_or_b64 exec, exec, s[2:3]
	v_cmp_eq_u32_e32 vcc, 19, v254
	s_waitcnt lgkmcnt(0)
	s_barrier
	s_and_saveexec_b64 s[4:5], vcc
	s_cbranch_execz .LBB125_256
; %bb.246:
	scratch_load_dwordx4 v[0:3], off, s54
	s_mov_b32 s46, 0
	s_waitcnt vmcnt(0)
	ds_write2_b64 v252, v[0:1], v[2:3] offset1:1
	v_add_u32_e32 v0, 0x140, v248
	s_branch .LBB125_248
.LBB125_247:                            ;   in Loop: Header=BB125_248 Depth=1
	s_andn2_b64 vcc, exec, s[2:3]
	s_cbranch_vccz .LBB125_250
.LBB125_248:                            ; =>This Inner Loop Header: Depth=1
	s_add_i32 s2, s46, 0x140
	s_add_i32 s3, s46, 0x150
	scratch_load_dwordx4 v[76:79], off, s2
	scratch_load_dwordx4 v[80:83], off, s3
	s_add_i32 s2, s46, 0x160
	scratch_load_dwordx4 v[84:87], off, s2
	s_mov_b32 s47, s46
	v_add_u32_e32 v1, s46, v0
	s_cmpk_eq_i32 s46, 0x280
	s_mov_b64 s[2:3], -1
	s_waitcnt vmcnt(2)
	ds_write2_b64 v1, v[76:77], v[78:79] offset1:1
	s_waitcnt vmcnt(1)
	ds_write2_b64 v1, v[80:81], v[82:83] offset0:2 offset1:3
	s_waitcnt vmcnt(0)
	ds_write2_b64 v1, v[84:85], v[86:87] offset0:4 offset1:5
	s_cbranch_scc1 .LBB125_247
; %bb.249:                              ;   in Loop: Header=BB125_248 Depth=1
	s_add_i32 s2, s47, 0x170
	s_add_i32 s3, s47, 0x180
	scratch_load_dwordx4 v[76:79], off, s2
	scratch_load_dwordx4 v[80:83], off, s3
	s_add_i32 s2, s47, 0x190
	s_add_i32 s3, s47, 0x1a0
	scratch_load_dwordx4 v[84:87], off, s2
	scratch_load_dwordx4 v[88:91], off, s3
	s_addk_i32 s47, 0x1b0
	scratch_load_dwordx4 v[92:95], off, s47
	s_addk_i32 s46, 0x80
	s_mov_b64 s[2:3], 0
	s_waitcnt vmcnt(4)
	ds_write2_b64 v1, v[76:77], v[78:79] offset0:6 offset1:7
	s_waitcnt vmcnt(3)
	ds_write2_b64 v1, v[80:81], v[82:83] offset0:8 offset1:9
	;; [unrolled: 2-line block ×5, first 2 shown]
	s_branch .LBB125_247
.LBB125_250:
	ds_read2_b64 v[76:79], v252 offset1:1
	s_waitcnt lgkmcnt(0)
	v_cmp_neq_f64_e32 vcc, 0, v[76:77]
	v_cmp_neq_f64_e64 s[2:3], 0, v[78:79]
	s_or_b64 s[2:3], vcc, s[2:3]
	s_and_b64 exec, exec, s[2:3]
	s_cbranch_execz .LBB125_256
; %bb.251:
	v_cmp_ngt_f64_e64 s[2:3], |v[76:77]|, |v[78:79]|
                                        ; implicit-def: $vgpr0_vgpr1
	s_and_saveexec_b64 s[46:47], s[2:3]
	s_xor_b64 s[2:3], exec, s[46:47]
                                        ; implicit-def: $vgpr2_vgpr3
	s_cbranch_execz .LBB125_253
; %bb.252:
	v_div_scale_f64 v[0:1], s[46:47], v[78:79], v[78:79], v[76:77]
	v_rcp_f64_e32 v[2:3], v[0:1]
	v_div_scale_f64 v[4:5], vcc, v[76:77], v[78:79], v[76:77]
	v_fma_f64 v[6:7], -v[0:1], v[2:3], 1.0
	v_fmac_f64_e32 v[2:3], v[2:3], v[6:7]
	v_fma_f64 v[6:7], -v[0:1], v[2:3], 1.0
	v_fmac_f64_e32 v[2:3], v[2:3], v[6:7]
	v_mul_f64 v[6:7], v[4:5], v[2:3]
	v_fma_f64 v[0:1], -v[0:1], v[6:7], v[4:5]
	v_div_fmas_f64 v[0:1], v[0:1], v[2:3], v[6:7]
	v_div_fixup_f64 v[0:1], v[0:1], v[78:79], v[76:77]
	v_fmac_f64_e32 v[78:79], v[76:77], v[0:1]
	v_div_scale_f64 v[2:3], s[46:47], v[78:79], v[78:79], 1.0
	v_rcp_f64_e32 v[4:5], v[2:3]
	s_nop 0
	v_fma_f64 v[6:7], -v[2:3], v[4:5], 1.0
	v_fmac_f64_e32 v[4:5], v[4:5], v[6:7]
	v_fma_f64 v[6:7], -v[2:3], v[4:5], 1.0
	v_fmac_f64_e32 v[4:5], v[4:5], v[6:7]
	v_div_scale_f64 v[6:7], vcc, 1.0, v[78:79], 1.0
	v_mul_f64 v[76:77], v[6:7], v[4:5]
	v_fma_f64 v[2:3], -v[2:3], v[76:77], v[6:7]
	s_nop 1
	v_div_fmas_f64 v[2:3], v[2:3], v[4:5], v[76:77]
	v_div_fixup_f64 v[2:3], v[2:3], v[78:79], 1.0
	v_mul_f64 v[0:1], v[0:1], v[2:3]
	v_xor_b32_e32 v3, 0x80000000, v3
                                        ; implicit-def: $vgpr76_vgpr77
.LBB125_253:
	s_andn2_saveexec_b64 s[2:3], s[2:3]
	s_cbranch_execz .LBB125_255
; %bb.254:
	v_div_scale_f64 v[0:1], s[46:47], v[76:77], v[76:77], v[78:79]
	v_rcp_f64_e32 v[2:3], v[0:1]
	v_div_scale_f64 v[4:5], vcc, v[78:79], v[76:77], v[78:79]
	v_fma_f64 v[6:7], -v[0:1], v[2:3], 1.0
	v_fmac_f64_e32 v[2:3], v[2:3], v[6:7]
	v_fma_f64 v[6:7], -v[0:1], v[2:3], 1.0
	v_fmac_f64_e32 v[2:3], v[2:3], v[6:7]
	v_mul_f64 v[6:7], v[4:5], v[2:3]
	v_fma_f64 v[0:1], -v[0:1], v[6:7], v[4:5]
	v_div_fmas_f64 v[0:1], v[0:1], v[2:3], v[6:7]
	v_div_fixup_f64 v[2:3], v[0:1], v[76:77], v[78:79]
	v_fmac_f64_e32 v[76:77], v[78:79], v[2:3]
	v_div_scale_f64 v[0:1], s[46:47], v[76:77], v[76:77], 1.0
	v_rcp_f64_e32 v[4:5], v[0:1]
	s_nop 0
	v_fma_f64 v[6:7], -v[0:1], v[4:5], 1.0
	v_fmac_f64_e32 v[4:5], v[4:5], v[6:7]
	v_fma_f64 v[6:7], -v[0:1], v[4:5], 1.0
	v_fmac_f64_e32 v[4:5], v[4:5], v[6:7]
	v_div_scale_f64 v[6:7], vcc, 1.0, v[76:77], 1.0
	v_mul_f64 v[78:79], v[6:7], v[4:5]
	v_fma_f64 v[0:1], -v[0:1], v[78:79], v[6:7]
	s_nop 1
	v_div_fmas_f64 v[0:1], v[0:1], v[4:5], v[78:79]
	v_div_fixup_f64 v[0:1], v[0:1], v[76:77], 1.0
	v_mul_f64 v[2:3], v[2:3], -v[0:1]
.LBB125_255:
	s_or_b64 exec, exec, s[2:3]
	ds_write2_b64 v252, v[0:1], v[2:3] offset1:1
.LBB125_256:
	s_or_b64 exec, exec, s[4:5]
	s_waitcnt lgkmcnt(0)
	s_barrier
	ds_read2_b64 v[76:79], v252 offset1:1
	v_cmp_lt_u32_e32 vcc, 19, v254
	s_and_saveexec_b64 s[2:3], vcc
	s_cbranch_execz .LBB125_261
; %bb.257:
	scratch_load_dwordx4 v[0:3], off, off offset:304
	s_mov_b32 s72, 0
	s_waitcnt vmcnt(0) lgkmcnt(0)
	v_mul_f64 v[4:5], v[78:79], v[2:3]
	v_mul_f64 v[82:83], v[76:77], v[2:3]
	v_fma_f64 v[80:81], v[76:77], v[0:1], -v[4:5]
	v_fmac_f64_e32 v[82:83], v[78:79], v[0:1]
	v_add_u32_e32 v0, 0x140, v248
	scratch_store_dwordx4 off, v[80:83], off offset:304
	s_branch .LBB125_259
.LBB125_258:                            ;   in Loop: Header=BB125_259 Depth=1
	s_andn2_b64 vcc, exec, s[4:5]
	s_cbranch_vccz .LBB125_261
.LBB125_259:                            ; =>This Inner Loop Header: Depth=1
	s_add_i32 s4, s72, 0x140
	scratch_load_dwordx4 v[84:87], off, s4
	s_add_i32 s5, s72, 0x150
	s_add_i32 s46, s72, 0x160
	scratch_load_dwordx4 v[88:91], off, s5
	scratch_load_dwordx4 v[92:95], off, s46
	v_add_u32_e32 v1, s72, v0
	ds_read2_b64 v[96:99], v1 offset1:1
	ds_read2_b64 v[100:103], v1 offset0:2 offset1:3
	ds_read2_b64 v[104:107], v1 offset0:4 offset1:5
	s_mov_b32 s73, s72
	s_cmpk_eq_i32 s72, 0x280
	s_waitcnt lgkmcnt(2)
	v_mul_f64 v[2:3], v[98:99], v[82:83]
	v_mul_f64 v[4:5], v[96:97], v[82:83]
	s_waitcnt lgkmcnt(1)
	v_mul_f64 v[6:7], v[102:103], v[82:83]
	v_mul_f64 v[108:109], v[100:101], v[82:83]
	;; [unrolled: 3-line block ×3, first 2 shown]
	v_fma_f64 v[2:3], v[96:97], v[80:81], -v[2:3]
	v_fmac_f64_e32 v[4:5], v[98:99], v[80:81]
	v_fma_f64 v[6:7], v[100:101], v[80:81], -v[6:7]
	v_fmac_f64_e32 v[108:109], v[102:103], v[80:81]
	;; [unrolled: 2-line block ×3, first 2 shown]
	s_waitcnt vmcnt(2)
	v_add_f64 v[84:85], v[84:85], -v[2:3]
	v_add_f64 v[86:87], v[86:87], -v[4:5]
	s_waitcnt vmcnt(1)
	v_add_f64 v[88:89], v[88:89], -v[6:7]
	v_add_f64 v[90:91], v[90:91], -v[108:109]
	;; [unrolled: 3-line block ×3, first 2 shown]
	scratch_store_dwordx4 off, v[84:87], s4
	scratch_store_dwordx4 off, v[88:91], s5
	;; [unrolled: 1-line block ×3, first 2 shown]
	s_mov_b64 s[4:5], -1
	s_cbranch_scc1 .LBB125_258
; %bb.260:                              ;   in Loop: Header=BB125_259 Depth=1
	ds_read2_b64 v[84:87], v1 offset0:6 offset1:7
	s_add_i32 s4, s73, 0x170
	s_addk_i32 s72, 0x80
	s_waitcnt lgkmcnt(0)
	v_mul_f64 v[2:3], v[86:87], v[82:83]
	v_mul_f64 v[4:5], v[84:85], v[82:83]
	v_fma_f64 v[2:3], v[84:85], v[80:81], -v[2:3]
	v_fmac_f64_e32 v[4:5], v[86:87], v[80:81]
	scratch_load_dwordx4 v[84:87], off, s4
	s_waitcnt vmcnt(0)
	v_add_f64 v[84:85], v[84:85], -v[2:3]
	v_add_f64 v[86:87], v[86:87], -v[4:5]
	scratch_store_dwordx4 off, v[84:87], s4
	ds_read2_b64 v[84:87], v1 offset0:8 offset1:9
	s_add_i32 s4, s73, 0x180
	s_waitcnt lgkmcnt(0)
	v_mul_f64 v[2:3], v[86:87], v[82:83]
	v_mul_f64 v[4:5], v[84:85], v[82:83]
	v_fma_f64 v[2:3], v[84:85], v[80:81], -v[2:3]
	v_fmac_f64_e32 v[4:5], v[86:87], v[80:81]
	scratch_load_dwordx4 v[84:87], off, s4
	s_waitcnt vmcnt(0)
	v_add_f64 v[84:85], v[84:85], -v[2:3]
	v_add_f64 v[86:87], v[86:87], -v[4:5]
	scratch_store_dwordx4 off, v[84:87], s4
	ds_read2_b64 v[84:87], v1 offset0:10 offset1:11
	s_add_i32 s4, s73, 0x190
	s_waitcnt lgkmcnt(0)
	v_mul_f64 v[2:3], v[86:87], v[82:83]
	v_mul_f64 v[4:5], v[84:85], v[82:83]
	v_fma_f64 v[2:3], v[84:85], v[80:81], -v[2:3]
	v_fmac_f64_e32 v[4:5], v[86:87], v[80:81]
	scratch_load_dwordx4 v[84:87], off, s4
	s_waitcnt vmcnt(0)
	v_add_f64 v[84:85], v[84:85], -v[2:3]
	v_add_f64 v[86:87], v[86:87], -v[4:5]
	scratch_store_dwordx4 off, v[84:87], s4
	ds_read2_b64 v[84:87], v1 offset0:12 offset1:13
	s_add_i32 s4, s73, 0x1a0
	s_addk_i32 s73, 0x1b0
	s_waitcnt lgkmcnt(0)
	v_mul_f64 v[2:3], v[86:87], v[82:83]
	v_mul_f64 v[4:5], v[84:85], v[82:83]
	v_fma_f64 v[2:3], v[84:85], v[80:81], -v[2:3]
	v_fmac_f64_e32 v[4:5], v[86:87], v[80:81]
	scratch_load_dwordx4 v[84:87], off, s4
	s_waitcnt vmcnt(0)
	v_add_f64 v[84:85], v[84:85], -v[2:3]
	v_add_f64 v[86:87], v[86:87], -v[4:5]
	scratch_store_dwordx4 off, v[84:87], s4
	ds_read2_b64 v[84:87], v1 offset0:14 offset1:15
	s_mov_b64 s[4:5], 0
	s_waitcnt lgkmcnt(0)
	v_mul_f64 v[2:3], v[86:87], v[82:83]
	v_mul_f64 v[4:5], v[84:85], v[82:83]
	v_fma_f64 v[2:3], v[84:85], v[80:81], -v[2:3]
	v_fmac_f64_e32 v[4:5], v[86:87], v[80:81]
	scratch_load_dwordx4 v[84:87], off, s73
	s_waitcnt vmcnt(0)
	v_add_f64 v[84:85], v[84:85], -v[2:3]
	v_add_f64 v[86:87], v[86:87], -v[4:5]
	scratch_store_dwordx4 off, v[84:87], s73
	s_branch .LBB125_258
.LBB125_261:
	s_or_b64 exec, exec, s[2:3]
	v_cmp_eq_u32_e32 vcc, 20, v254
	s_waitcnt lgkmcnt(0)
	s_barrier
	s_and_saveexec_b64 s[4:5], vcc
	s_cbranch_execz .LBB125_270
; %bb.262:
	scratch_load_dwordx4 v[80:83], off, s53
	v_add_u32_e32 v0, 0x150, v248
	s_movk_i32 s2, 0xfd60
	s_waitcnt vmcnt(0)
	ds_write2_b64 v252, v[80:81], v[82:83] offset1:1
.LBB125_263:                            ; =>This Inner Loop Header: Depth=1
	s_add_i32 s46, s2, 0x3f0
	scratch_load_dwordx4 v[80:83], off, s46
	v_add_u32_e32 v1, s2, v0
	s_add_i32 s46, s2, 0x400
	s_add_i32 s3, s2, 0x4c0
	s_waitcnt vmcnt(0)
	ds_write2_b64 v1, v[80:81], v[82:83] offset0:84 offset1:85
	scratch_load_dwordx4 v[80:83], off, s46
	s_add_i32 s46, s2, 0x410
	s_waitcnt vmcnt(0)
	ds_write2_b64 v1, v[80:81], v[82:83] offset0:86 offset1:87
	scratch_load_dwordx4 v[80:83], off, s46
	;; [unrolled: 4-line block ×11, first 2 shown]
	s_add_i32 s46, s2, 0x4b0
	s_addk_i32 s2, 0xe0
	s_cmp_lg_u32 s2, 0
	s_waitcnt vmcnt(0)
	ds_write2_b64 v1, v[80:81], v[82:83] offset0:106 offset1:107
	scratch_load_dwordx4 v[80:83], off, s46
	s_waitcnt vmcnt(0)
	ds_write2_b64 v1, v[80:81], v[82:83] offset0:108 offset1:109
	scratch_load_dwordx4 v[80:83], off, s3
	s_waitcnt vmcnt(0)
	ds_write2_b64 v1, v[80:81], v[82:83] offset0:110 offset1:111
	s_cbranch_scc1 .LBB125_263
; %bb.264:
	ds_read2_b64 v[80:83], v252 offset1:1
	s_waitcnt lgkmcnt(0)
	v_cmp_neq_f64_e32 vcc, 0, v[80:81]
	v_cmp_neq_f64_e64 s[2:3], 0, v[82:83]
	s_or_b64 s[2:3], vcc, s[2:3]
	s_and_b64 exec, exec, s[2:3]
	s_cbranch_execz .LBB125_270
; %bb.265:
	v_cmp_ngt_f64_e64 s[2:3], |v[80:81]|, |v[82:83]|
                                        ; implicit-def: $vgpr0_vgpr1
	s_and_saveexec_b64 s[46:47], s[2:3]
	s_xor_b64 s[2:3], exec, s[46:47]
                                        ; implicit-def: $vgpr2_vgpr3
	s_cbranch_execz .LBB125_267
; %bb.266:
	v_div_scale_f64 v[0:1], s[46:47], v[82:83], v[82:83], v[80:81]
	v_rcp_f64_e32 v[2:3], v[0:1]
	v_div_scale_f64 v[4:5], vcc, v[80:81], v[82:83], v[80:81]
	v_fma_f64 v[6:7], -v[0:1], v[2:3], 1.0
	v_fmac_f64_e32 v[2:3], v[2:3], v[6:7]
	v_fma_f64 v[6:7], -v[0:1], v[2:3], 1.0
	v_fmac_f64_e32 v[2:3], v[2:3], v[6:7]
	v_mul_f64 v[6:7], v[4:5], v[2:3]
	v_fma_f64 v[0:1], -v[0:1], v[6:7], v[4:5]
	v_div_fmas_f64 v[0:1], v[0:1], v[2:3], v[6:7]
	v_div_fixup_f64 v[0:1], v[0:1], v[82:83], v[80:81]
	v_fmac_f64_e32 v[82:83], v[80:81], v[0:1]
	v_div_scale_f64 v[2:3], s[46:47], v[82:83], v[82:83], 1.0
	v_rcp_f64_e32 v[4:5], v[2:3]
	s_nop 0
	v_fma_f64 v[6:7], -v[2:3], v[4:5], 1.0
	v_fmac_f64_e32 v[4:5], v[4:5], v[6:7]
	v_fma_f64 v[6:7], -v[2:3], v[4:5], 1.0
	v_fmac_f64_e32 v[4:5], v[4:5], v[6:7]
	v_div_scale_f64 v[6:7], vcc, 1.0, v[82:83], 1.0
	v_mul_f64 v[80:81], v[6:7], v[4:5]
	v_fma_f64 v[2:3], -v[2:3], v[80:81], v[6:7]
	s_nop 1
	v_div_fmas_f64 v[2:3], v[2:3], v[4:5], v[80:81]
	v_div_fixup_f64 v[2:3], v[2:3], v[82:83], 1.0
	v_mul_f64 v[0:1], v[0:1], v[2:3]
	v_xor_b32_e32 v3, 0x80000000, v3
                                        ; implicit-def: $vgpr80_vgpr81
.LBB125_267:
	s_andn2_saveexec_b64 s[2:3], s[2:3]
	s_cbranch_execz .LBB125_269
; %bb.268:
	v_div_scale_f64 v[0:1], s[46:47], v[80:81], v[80:81], v[82:83]
	v_rcp_f64_e32 v[2:3], v[0:1]
	v_div_scale_f64 v[4:5], vcc, v[82:83], v[80:81], v[82:83]
	v_fma_f64 v[6:7], -v[0:1], v[2:3], 1.0
	v_fmac_f64_e32 v[2:3], v[2:3], v[6:7]
	v_fma_f64 v[6:7], -v[0:1], v[2:3], 1.0
	v_fmac_f64_e32 v[2:3], v[2:3], v[6:7]
	v_mul_f64 v[6:7], v[4:5], v[2:3]
	v_fma_f64 v[0:1], -v[0:1], v[6:7], v[4:5]
	v_div_fmas_f64 v[0:1], v[0:1], v[2:3], v[6:7]
	v_div_fixup_f64 v[2:3], v[0:1], v[80:81], v[82:83]
	v_fmac_f64_e32 v[80:81], v[82:83], v[2:3]
	v_div_scale_f64 v[0:1], s[46:47], v[80:81], v[80:81], 1.0
	v_rcp_f64_e32 v[4:5], v[0:1]
	s_nop 0
	v_fma_f64 v[6:7], -v[0:1], v[4:5], 1.0
	v_fmac_f64_e32 v[4:5], v[4:5], v[6:7]
	v_fma_f64 v[6:7], -v[0:1], v[4:5], 1.0
	v_fmac_f64_e32 v[4:5], v[4:5], v[6:7]
	v_div_scale_f64 v[6:7], vcc, 1.0, v[80:81], 1.0
	v_mul_f64 v[82:83], v[6:7], v[4:5]
	v_fma_f64 v[0:1], -v[0:1], v[82:83], v[6:7]
	s_nop 1
	v_div_fmas_f64 v[0:1], v[0:1], v[4:5], v[82:83]
	v_div_fixup_f64 v[0:1], v[0:1], v[80:81], 1.0
	v_mul_f64 v[2:3], v[2:3], -v[0:1]
.LBB125_269:
	s_or_b64 exec, exec, s[2:3]
	ds_write2_b64 v252, v[0:1], v[2:3] offset1:1
.LBB125_270:
	s_or_b64 exec, exec, s[4:5]
	s_waitcnt lgkmcnt(0)
	s_barrier
	ds_read2_b64 v[80:83], v252 offset1:1
	v_cmp_lt_u32_e32 vcc, 20, v254
	s_and_saveexec_b64 s[2:3], vcc
	s_cbranch_execz .LBB125_273
; %bb.271:
	scratch_load_dwordx4 v[84:87], off, off offset:320
	v_add_u32_e32 v0, 0x150, v248
	s_movk_i32 s4, 0xfd60
	s_waitcnt vmcnt(0) lgkmcnt(0)
	v_mul_f64 v[2:3], v[82:83], v[86:87]
	v_mul_f64 v[88:89], v[80:81], v[86:87]
	v_fma_f64 v[86:87], v[80:81], v[84:85], -v[2:3]
	v_fmac_f64_e32 v[88:89], v[82:83], v[84:85]
	scratch_store_dwordx4 off, v[86:89], off offset:320
.LBB125_272:                            ; =>This Inner Loop Header: Depth=1
	scratch_load_dwordx4 v[84:87], off, off offset:320
	s_add_i32 s46, s4, 0x3f0
	scratch_load_dwordx4 v[88:91], off, s46
	v_add_u32_e32 v1, s4, v0
	ds_read2_b64 v[92:95], v1 offset0:84 offset1:85
	ds_read2_b64 v[96:99], v1 offset0:86 offset1:87
	s_add_i32 s47, s4, 0x400
	s_add_i32 s48, s4, 0x450
	scratch_load_dwordx4 v[100:103], off, s47
	scratch_load_dwordx4 v[104:107], off, s48
	s_add_i32 s5, s4, 0x440
	s_waitcnt vmcnt(3) lgkmcnt(1)
	v_mul_f64 v[2:3], v[94:95], v[86:87]
	v_mul_f64 v[4:5], v[92:93], v[86:87]
	v_fma_f64 v[2:3], v[92:93], v[84:85], -v[2:3]
	v_fmac_f64_e32 v[4:5], v[94:95], v[84:85]
	s_waitcnt vmcnt(2)
	v_add_f64 v[84:85], v[88:89], -v[2:3]
	v_add_f64 v[86:87], v[90:91], -v[4:5]
	scratch_store_dwordx4 off, v[84:87], s46
	scratch_load_dwordx4 v[84:87], off, off offset:320
	s_add_i32 s46, s4, 0x410
	s_waitcnt vmcnt(0) lgkmcnt(0)
	v_mul_f64 v[2:3], v[98:99], v[86:87]
	v_mul_f64 v[4:5], v[96:97], v[86:87]
	v_fma_f64 v[2:3], v[96:97], v[84:85], -v[2:3]
	v_fmac_f64_e32 v[4:5], v[98:99], v[84:85]
	v_add_f64 v[84:85], v[100:101], -v[2:3]
	v_add_f64 v[86:87], v[102:103], -v[4:5]
	scratch_store_dwordx4 off, v[84:87], s47
	scratch_load_dwordx4 v[84:87], off, off offset:320
	s_nop 0
	scratch_load_dwordx4 v[88:91], off, s46
	ds_read2_b64 v[92:95], v1 offset0:88 offset1:89
	ds_read2_b64 v[96:99], v1 offset0:90 offset1:91
	s_add_i32 s47, s4, 0x420
	scratch_load_dwordx4 v[100:103], off, s47
	s_waitcnt vmcnt(2) lgkmcnt(1)
	v_mul_f64 v[2:3], v[94:95], v[86:87]
	v_mul_f64 v[4:5], v[92:93], v[86:87]
	v_fma_f64 v[2:3], v[92:93], v[84:85], -v[2:3]
	v_fmac_f64_e32 v[4:5], v[94:95], v[84:85]
	s_waitcnt vmcnt(1)
	v_add_f64 v[84:85], v[88:89], -v[2:3]
	v_add_f64 v[86:87], v[90:91], -v[4:5]
	scratch_store_dwordx4 off, v[84:87], s46
	scratch_load_dwordx4 v[84:87], off, off offset:320
	s_add_i32 s46, s4, 0x430
	s_addk_i32 s4, 0x70
	s_cmp_lg_u32 s4, 0
	s_waitcnt vmcnt(0) lgkmcnt(0)
	v_mul_f64 v[2:3], v[98:99], v[86:87]
	v_mul_f64 v[4:5], v[96:97], v[86:87]
	v_fma_f64 v[2:3], v[96:97], v[84:85], -v[2:3]
	v_fmac_f64_e32 v[4:5], v[98:99], v[84:85]
	v_add_f64 v[84:85], v[100:101], -v[2:3]
	v_add_f64 v[86:87], v[102:103], -v[4:5]
	scratch_store_dwordx4 off, v[84:87], s47
	scratch_load_dwordx4 v[84:87], off, off offset:320
	s_nop 0
	scratch_load_dwordx4 v[88:91], off, s46
	ds_read2_b64 v[92:95], v1 offset0:92 offset1:93
	ds_read2_b64 v[96:99], v1 offset0:94 offset1:95
	scratch_load_dwordx4 v[100:103], off, s5
	s_waitcnt vmcnt(2) lgkmcnt(1)
	v_mul_f64 v[2:3], v[94:95], v[86:87]
	v_mul_f64 v[4:5], v[92:93], v[86:87]
	v_fma_f64 v[2:3], v[92:93], v[84:85], -v[2:3]
	v_fmac_f64_e32 v[4:5], v[94:95], v[84:85]
	s_waitcnt vmcnt(1)
	v_add_f64 v[84:85], v[88:89], -v[2:3]
	v_add_f64 v[86:87], v[90:91], -v[4:5]
	scratch_store_dwordx4 off, v[84:87], s46
	scratch_load_dwordx4 v[84:87], off, off offset:320
	ds_read2_b64 v[88:91], v1 offset0:96 offset1:97
	s_waitcnt vmcnt(0) lgkmcnt(1)
	v_mul_f64 v[2:3], v[98:99], v[86:87]
	v_mul_f64 v[4:5], v[96:97], v[86:87]
	v_fma_f64 v[2:3], v[96:97], v[84:85], -v[2:3]
	v_fmac_f64_e32 v[4:5], v[98:99], v[84:85]
	v_add_f64 v[84:85], v[100:101], -v[2:3]
	v_add_f64 v[86:87], v[102:103], -v[4:5]
	scratch_store_dwordx4 off, v[84:87], s5
	scratch_load_dwordx4 v[84:87], off, off offset:320
	s_waitcnt vmcnt(0) lgkmcnt(0)
	v_mul_f64 v[2:3], v[90:91], v[86:87]
	v_mul_f64 v[4:5], v[88:89], v[86:87]
	v_fma_f64 v[2:3], v[88:89], v[84:85], -v[2:3]
	v_fmac_f64_e32 v[4:5], v[90:91], v[84:85]
	v_add_f64 v[84:85], v[104:105], -v[2:3]
	v_add_f64 v[86:87], v[106:107], -v[4:5]
	scratch_store_dwordx4 off, v[84:87], s48
	s_cbranch_scc1 .LBB125_272
.LBB125_273:
	s_or_b64 exec, exec, s[2:3]
	v_cmp_eq_u32_e32 vcc, 21, v254
	s_waitcnt lgkmcnt(0)
	s_barrier
	s_and_saveexec_b64 s[4:5], vcc
	s_cbranch_execz .LBB125_284
; %bb.274:
	scratch_load_dwordx4 v[0:3], off, s52
	s_mov_b32 s46, 0
	s_waitcnt vmcnt(0)
	ds_write2_b64 v252, v[0:1], v[2:3] offset1:1
	v_add_u32_e32 v0, 0x160, v248
	s_branch .LBB125_276
.LBB125_275:                            ;   in Loop: Header=BB125_276 Depth=1
	s_andn2_b64 vcc, exec, s[2:3]
	s_cbranch_vccz .LBB125_278
.LBB125_276:                            ; =>This Inner Loop Header: Depth=1
	s_add_i32 s2, s46, 0x160
	scratch_load_dwordx4 v[84:87], off, s2
	s_mov_b32 s47, s46
	v_add_u32_e32 v1, s46, v0
	s_cmpk_eq_i32 s46, 0x280
	s_mov_b64 s[2:3], -1
	s_waitcnt vmcnt(0)
	ds_write2_b64 v1, v[84:85], v[86:87] offset1:1
	s_cbranch_scc1 .LBB125_275
; %bb.277:                              ;   in Loop: Header=BB125_276 Depth=1
	s_add_i32 s2, s47, 0x170
	s_add_i32 s3, s47, 0x180
	scratch_load_dwordx4 v[84:87], off, s2
	scratch_load_dwordx4 v[88:91], off, s3
	s_add_i32 s2, s47, 0x190
	s_add_i32 s3, s47, 0x1a0
	scratch_load_dwordx4 v[92:95], off, s2
	scratch_load_dwordx4 v[96:99], off, s3
	;; [unrolled: 4-line block ×3, first 2 shown]
	s_addk_i32 s47, 0x1d0
	scratch_load_dwordx4 v[108:111], off, s47
	s_addk_i32 s46, 0x80
	s_mov_b64 s[2:3], 0
	s_waitcnt vmcnt(6)
	ds_write2_b64 v1, v[84:85], v[86:87] offset0:2 offset1:3
	s_waitcnt vmcnt(5)
	ds_write2_b64 v1, v[88:89], v[90:91] offset0:4 offset1:5
	;; [unrolled: 2-line block ×7, first 2 shown]
	s_branch .LBB125_275
.LBB125_278:
	ds_read2_b64 v[84:87], v252 offset1:1
	s_waitcnt lgkmcnt(0)
	v_cmp_neq_f64_e32 vcc, 0, v[84:85]
	v_cmp_neq_f64_e64 s[2:3], 0, v[86:87]
	s_or_b64 s[2:3], vcc, s[2:3]
	s_and_b64 exec, exec, s[2:3]
	s_cbranch_execz .LBB125_284
; %bb.279:
	v_cmp_ngt_f64_e64 s[2:3], |v[84:85]|, |v[86:87]|
                                        ; implicit-def: $vgpr0_vgpr1
	s_and_saveexec_b64 s[46:47], s[2:3]
	s_xor_b64 s[2:3], exec, s[46:47]
                                        ; implicit-def: $vgpr2_vgpr3
	s_cbranch_execz .LBB125_281
; %bb.280:
	v_div_scale_f64 v[0:1], s[46:47], v[86:87], v[86:87], v[84:85]
	v_rcp_f64_e32 v[2:3], v[0:1]
	v_div_scale_f64 v[4:5], vcc, v[84:85], v[86:87], v[84:85]
	v_fma_f64 v[6:7], -v[0:1], v[2:3], 1.0
	v_fmac_f64_e32 v[2:3], v[2:3], v[6:7]
	v_fma_f64 v[6:7], -v[0:1], v[2:3], 1.0
	v_fmac_f64_e32 v[2:3], v[2:3], v[6:7]
	v_mul_f64 v[6:7], v[4:5], v[2:3]
	v_fma_f64 v[0:1], -v[0:1], v[6:7], v[4:5]
	v_div_fmas_f64 v[0:1], v[0:1], v[2:3], v[6:7]
	v_div_fixup_f64 v[0:1], v[0:1], v[86:87], v[84:85]
	v_fmac_f64_e32 v[86:87], v[84:85], v[0:1]
	v_div_scale_f64 v[2:3], s[46:47], v[86:87], v[86:87], 1.0
	v_rcp_f64_e32 v[4:5], v[2:3]
	s_nop 0
	v_fma_f64 v[6:7], -v[2:3], v[4:5], 1.0
	v_fmac_f64_e32 v[4:5], v[4:5], v[6:7]
	v_fma_f64 v[6:7], -v[2:3], v[4:5], 1.0
	v_fmac_f64_e32 v[4:5], v[4:5], v[6:7]
	v_div_scale_f64 v[6:7], vcc, 1.0, v[86:87], 1.0
	v_mul_f64 v[84:85], v[6:7], v[4:5]
	v_fma_f64 v[2:3], -v[2:3], v[84:85], v[6:7]
	s_nop 1
	v_div_fmas_f64 v[2:3], v[2:3], v[4:5], v[84:85]
	v_div_fixup_f64 v[2:3], v[2:3], v[86:87], 1.0
	v_mul_f64 v[0:1], v[0:1], v[2:3]
	v_xor_b32_e32 v3, 0x80000000, v3
                                        ; implicit-def: $vgpr84_vgpr85
.LBB125_281:
	s_andn2_saveexec_b64 s[2:3], s[2:3]
	s_cbranch_execz .LBB125_283
; %bb.282:
	v_div_scale_f64 v[0:1], s[46:47], v[84:85], v[84:85], v[86:87]
	v_rcp_f64_e32 v[2:3], v[0:1]
	v_div_scale_f64 v[4:5], vcc, v[86:87], v[84:85], v[86:87]
	v_fma_f64 v[6:7], -v[0:1], v[2:3], 1.0
	v_fmac_f64_e32 v[2:3], v[2:3], v[6:7]
	v_fma_f64 v[6:7], -v[0:1], v[2:3], 1.0
	v_fmac_f64_e32 v[2:3], v[2:3], v[6:7]
	v_mul_f64 v[6:7], v[4:5], v[2:3]
	v_fma_f64 v[0:1], -v[0:1], v[6:7], v[4:5]
	v_div_fmas_f64 v[0:1], v[0:1], v[2:3], v[6:7]
	v_div_fixup_f64 v[2:3], v[0:1], v[84:85], v[86:87]
	v_fmac_f64_e32 v[84:85], v[86:87], v[2:3]
	v_div_scale_f64 v[0:1], s[46:47], v[84:85], v[84:85], 1.0
	v_rcp_f64_e32 v[4:5], v[0:1]
	s_nop 0
	v_fma_f64 v[6:7], -v[0:1], v[4:5], 1.0
	v_fmac_f64_e32 v[4:5], v[4:5], v[6:7]
	v_fma_f64 v[6:7], -v[0:1], v[4:5], 1.0
	v_fmac_f64_e32 v[4:5], v[4:5], v[6:7]
	v_div_scale_f64 v[6:7], vcc, 1.0, v[84:85], 1.0
	v_mul_f64 v[86:87], v[6:7], v[4:5]
	v_fma_f64 v[0:1], -v[0:1], v[86:87], v[6:7]
	s_nop 1
	v_div_fmas_f64 v[0:1], v[0:1], v[4:5], v[86:87]
	v_div_fixup_f64 v[0:1], v[0:1], v[84:85], 1.0
	v_mul_f64 v[2:3], v[2:3], -v[0:1]
.LBB125_283:
	s_or_b64 exec, exec, s[2:3]
	ds_write2_b64 v252, v[0:1], v[2:3] offset1:1
.LBB125_284:
	s_or_b64 exec, exec, s[4:5]
	s_waitcnt lgkmcnt(0)
	s_barrier
	ds_read2_b64 v[84:87], v252 offset1:1
	v_cmp_lt_u32_e32 vcc, 21, v254
	s_and_saveexec_b64 s[2:3], vcc
	s_cbranch_execz .LBB125_289
; %bb.285:
	scratch_load_dwordx4 v[0:3], off, off offset:336
	s_mov_b32 s72, 0
	s_waitcnt vmcnt(0) lgkmcnt(0)
	v_mul_f64 v[4:5], v[86:87], v[2:3]
	v_mul_f64 v[90:91], v[84:85], v[2:3]
	v_fma_f64 v[88:89], v[84:85], v[0:1], -v[4:5]
	v_fmac_f64_e32 v[90:91], v[86:87], v[0:1]
	v_add_u32_e32 v0, 0x160, v248
	scratch_store_dwordx4 off, v[88:91], off offset:336
	s_branch .LBB125_287
.LBB125_286:                            ;   in Loop: Header=BB125_287 Depth=1
	s_andn2_b64 vcc, exec, s[4:5]
	s_cbranch_vccz .LBB125_289
.LBB125_287:                            ; =>This Inner Loop Header: Depth=1
	s_add_i32 s4, s72, 0x160
	scratch_load_dwordx4 v[92:95], off, s4
	v_add_u32_e32 v1, s72, v0
	ds_read2_b64 v[96:99], v1 offset1:1
	s_mov_b32 s73, s72
	s_cmpk_eq_i32 s72, 0x280
	s_waitcnt lgkmcnt(0)
	v_mul_f64 v[2:3], v[98:99], v[90:91]
	v_mul_f64 v[4:5], v[96:97], v[90:91]
	v_fma_f64 v[2:3], v[96:97], v[88:89], -v[2:3]
	v_fmac_f64_e32 v[4:5], v[98:99], v[88:89]
	s_waitcnt vmcnt(0)
	v_add_f64 v[92:93], v[92:93], -v[2:3]
	v_add_f64 v[94:95], v[94:95], -v[4:5]
	scratch_store_dwordx4 off, v[92:95], s4
	s_mov_b64 s[4:5], -1
	s_cbranch_scc1 .LBB125_286
; %bb.288:                              ;   in Loop: Header=BB125_287 Depth=1
	ds_read2_b64 v[92:95], v1 offset0:2 offset1:3
	s_add_i32 s4, s73, 0x170
	s_addk_i32 s72, 0x80
	s_waitcnt lgkmcnt(0)
	v_mul_f64 v[2:3], v[94:95], v[90:91]
	v_mul_f64 v[4:5], v[92:93], v[90:91]
	v_fma_f64 v[2:3], v[92:93], v[88:89], -v[2:3]
	v_fmac_f64_e32 v[4:5], v[94:95], v[88:89]
	scratch_load_dwordx4 v[92:95], off, s4
	s_waitcnt vmcnt(0)
	v_add_f64 v[92:93], v[92:93], -v[2:3]
	v_add_f64 v[94:95], v[94:95], -v[4:5]
	scratch_store_dwordx4 off, v[92:95], s4
	ds_read2_b64 v[92:95], v1 offset0:4 offset1:5
	s_add_i32 s4, s73, 0x180
	s_waitcnt lgkmcnt(0)
	v_mul_f64 v[2:3], v[94:95], v[90:91]
	v_mul_f64 v[4:5], v[92:93], v[90:91]
	v_fma_f64 v[2:3], v[92:93], v[88:89], -v[2:3]
	v_fmac_f64_e32 v[4:5], v[94:95], v[88:89]
	scratch_load_dwordx4 v[92:95], off, s4
	s_waitcnt vmcnt(0)
	v_add_f64 v[92:93], v[92:93], -v[2:3]
	v_add_f64 v[94:95], v[94:95], -v[4:5]
	scratch_store_dwordx4 off, v[92:95], s4
	ds_read2_b64 v[92:95], v1 offset0:6 offset1:7
	s_add_i32 s4, s73, 0x190
	;; [unrolled: 12-line block ×5, first 2 shown]
	s_addk_i32 s73, 0x1d0
	s_waitcnt lgkmcnt(0)
	v_mul_f64 v[2:3], v[94:95], v[90:91]
	v_mul_f64 v[4:5], v[92:93], v[90:91]
	v_fma_f64 v[2:3], v[92:93], v[88:89], -v[2:3]
	v_fmac_f64_e32 v[4:5], v[94:95], v[88:89]
	scratch_load_dwordx4 v[88:91], off, s4
	ds_read2_b64 v[92:95], v1 offset0:14 offset1:15
	s_waitcnt vmcnt(0)
	v_add_f64 v[88:89], v[88:89], -v[2:3]
	v_add_f64 v[90:91], v[90:91], -v[4:5]
	scratch_store_dwordx4 off, v[88:91], s4
	scratch_load_dwordx4 v[88:91], off, off offset:336
	s_mov_b64 s[4:5], 0
	s_waitcnt vmcnt(0) lgkmcnt(0)
	v_mul_f64 v[2:3], v[94:95], v[90:91]
	v_mul_f64 v[4:5], v[92:93], v[90:91]
	v_fma_f64 v[2:3], v[92:93], v[88:89], -v[2:3]
	v_fmac_f64_e32 v[4:5], v[94:95], v[88:89]
	scratch_load_dwordx4 v[92:95], off, s73
	s_waitcnt vmcnt(0)
	v_add_f64 v[92:93], v[92:93], -v[2:3]
	v_add_f64 v[94:95], v[94:95], -v[4:5]
	scratch_store_dwordx4 off, v[92:95], s73
	s_branch .LBB125_286
.LBB125_289:
	s_or_b64 exec, exec, s[2:3]
	v_cmp_eq_u32_e32 vcc, 22, v254
	s_waitcnt lgkmcnt(0)
	s_barrier
	s_and_saveexec_b64 s[4:5], vcc
	s_cbranch_execz .LBB125_298
; %bb.290:
	scratch_load_dwordx4 v[88:91], off, s51
	v_add_u32_e32 v0, 0x170, v248
	s_movk_i32 s2, 0xfd80
	s_waitcnt vmcnt(0)
	ds_write2_b64 v252, v[88:89], v[90:91] offset1:1
.LBB125_291:                            ; =>This Inner Loop Header: Depth=1
	s_add_i32 s46, s2, 0x3f0
	scratch_load_dwordx4 v[88:91], off, s46
	v_add_u32_e32 v1, s2, v0
	s_add_i32 s46, s2, 0x400
	s_add_i32 s3, s2, 0x480
	s_waitcnt vmcnt(0)
	ds_write2_b64 v1, v[88:89], v[90:91] offset0:80 offset1:81
	scratch_load_dwordx4 v[88:91], off, s46
	s_add_i32 s46, s2, 0x410
	s_waitcnt vmcnt(0)
	ds_write2_b64 v1, v[88:89], v[90:91] offset0:82 offset1:83
	scratch_load_dwordx4 v[88:91], off, s46
	;; [unrolled: 4-line block ×7, first 2 shown]
	s_add_i32 s46, s2, 0x470
	s_addk_i32 s2, 0xa0
	s_cmp_lg_u32 s2, 0
	s_waitcnt vmcnt(0)
	ds_write2_b64 v1, v[88:89], v[90:91] offset0:94 offset1:95
	scratch_load_dwordx4 v[88:91], off, s46
	s_waitcnt vmcnt(0)
	ds_write2_b64 v1, v[88:89], v[90:91] offset0:96 offset1:97
	scratch_load_dwordx4 v[88:91], off, s3
	s_waitcnt vmcnt(0)
	ds_write2_b64 v1, v[88:89], v[90:91] offset0:98 offset1:99
	s_cbranch_scc1 .LBB125_291
; %bb.292:
	ds_read2_b64 v[88:91], v252 offset1:1
	s_waitcnt lgkmcnt(0)
	v_cmp_neq_f64_e32 vcc, 0, v[88:89]
	v_cmp_neq_f64_e64 s[2:3], 0, v[90:91]
	s_or_b64 s[2:3], vcc, s[2:3]
	s_and_b64 exec, exec, s[2:3]
	s_cbranch_execz .LBB125_298
; %bb.293:
	v_cmp_ngt_f64_e64 s[2:3], |v[88:89]|, |v[90:91]|
                                        ; implicit-def: $vgpr0_vgpr1
	s_and_saveexec_b64 s[46:47], s[2:3]
	s_xor_b64 s[2:3], exec, s[46:47]
                                        ; implicit-def: $vgpr2_vgpr3
	s_cbranch_execz .LBB125_295
; %bb.294:
	v_div_scale_f64 v[0:1], s[46:47], v[90:91], v[90:91], v[88:89]
	v_rcp_f64_e32 v[2:3], v[0:1]
	v_div_scale_f64 v[4:5], vcc, v[88:89], v[90:91], v[88:89]
	v_fma_f64 v[6:7], -v[0:1], v[2:3], 1.0
	v_fmac_f64_e32 v[2:3], v[2:3], v[6:7]
	v_fma_f64 v[6:7], -v[0:1], v[2:3], 1.0
	v_fmac_f64_e32 v[2:3], v[2:3], v[6:7]
	v_mul_f64 v[6:7], v[4:5], v[2:3]
	v_fma_f64 v[0:1], -v[0:1], v[6:7], v[4:5]
	v_div_fmas_f64 v[0:1], v[0:1], v[2:3], v[6:7]
	v_div_fixup_f64 v[0:1], v[0:1], v[90:91], v[88:89]
	v_fmac_f64_e32 v[90:91], v[88:89], v[0:1]
	v_div_scale_f64 v[2:3], s[46:47], v[90:91], v[90:91], 1.0
	v_rcp_f64_e32 v[4:5], v[2:3]
	s_nop 0
	v_fma_f64 v[6:7], -v[2:3], v[4:5], 1.0
	v_fmac_f64_e32 v[4:5], v[4:5], v[6:7]
	v_fma_f64 v[6:7], -v[2:3], v[4:5], 1.0
	v_fmac_f64_e32 v[4:5], v[4:5], v[6:7]
	v_div_scale_f64 v[6:7], vcc, 1.0, v[90:91], 1.0
	v_mul_f64 v[88:89], v[6:7], v[4:5]
	v_fma_f64 v[2:3], -v[2:3], v[88:89], v[6:7]
	s_nop 1
	v_div_fmas_f64 v[2:3], v[2:3], v[4:5], v[88:89]
	v_div_fixup_f64 v[2:3], v[2:3], v[90:91], 1.0
	v_mul_f64 v[0:1], v[0:1], v[2:3]
	v_xor_b32_e32 v3, 0x80000000, v3
                                        ; implicit-def: $vgpr88_vgpr89
.LBB125_295:
	s_andn2_saveexec_b64 s[2:3], s[2:3]
	s_cbranch_execz .LBB125_297
; %bb.296:
	v_div_scale_f64 v[0:1], s[46:47], v[88:89], v[88:89], v[90:91]
	v_rcp_f64_e32 v[2:3], v[0:1]
	v_div_scale_f64 v[4:5], vcc, v[90:91], v[88:89], v[90:91]
	v_fma_f64 v[6:7], -v[0:1], v[2:3], 1.0
	v_fmac_f64_e32 v[2:3], v[2:3], v[6:7]
	v_fma_f64 v[6:7], -v[0:1], v[2:3], 1.0
	v_fmac_f64_e32 v[2:3], v[2:3], v[6:7]
	v_mul_f64 v[6:7], v[4:5], v[2:3]
	v_fma_f64 v[0:1], -v[0:1], v[6:7], v[4:5]
	v_div_fmas_f64 v[0:1], v[0:1], v[2:3], v[6:7]
	v_div_fixup_f64 v[2:3], v[0:1], v[88:89], v[90:91]
	v_fmac_f64_e32 v[88:89], v[90:91], v[2:3]
	v_div_scale_f64 v[0:1], s[46:47], v[88:89], v[88:89], 1.0
	v_rcp_f64_e32 v[4:5], v[0:1]
	s_nop 0
	v_fma_f64 v[6:7], -v[0:1], v[4:5], 1.0
	v_fmac_f64_e32 v[4:5], v[4:5], v[6:7]
	v_fma_f64 v[6:7], -v[0:1], v[4:5], 1.0
	v_fmac_f64_e32 v[4:5], v[4:5], v[6:7]
	v_div_scale_f64 v[6:7], vcc, 1.0, v[88:89], 1.0
	v_mul_f64 v[90:91], v[6:7], v[4:5]
	v_fma_f64 v[0:1], -v[0:1], v[90:91], v[6:7]
	s_nop 1
	v_div_fmas_f64 v[0:1], v[0:1], v[4:5], v[90:91]
	v_div_fixup_f64 v[0:1], v[0:1], v[88:89], 1.0
	v_mul_f64 v[2:3], v[2:3], -v[0:1]
.LBB125_297:
	s_or_b64 exec, exec, s[2:3]
	ds_write2_b64 v252, v[0:1], v[2:3] offset1:1
.LBB125_298:
	s_or_b64 exec, exec, s[4:5]
	s_waitcnt lgkmcnt(0)
	s_barrier
	ds_read2_b64 v[88:91], v252 offset1:1
	v_cmp_lt_u32_e32 vcc, 22, v254
	s_and_saveexec_b64 s[2:3], vcc
	s_cbranch_execz .LBB125_301
; %bb.299:
	scratch_load_dwordx4 v[92:95], off, off offset:352
	v_add_u32_e32 v0, 0x170, v248
	s_movk_i32 s4, 0xfd80
	s_waitcnt vmcnt(0) lgkmcnt(0)
	v_mul_f64 v[2:3], v[90:91], v[94:95]
	v_mul_f64 v[96:97], v[88:89], v[94:95]
	v_fma_f64 v[94:95], v[88:89], v[92:93], -v[2:3]
	v_fmac_f64_e32 v[96:97], v[90:91], v[92:93]
	scratch_store_dwordx4 off, v[94:97], off offset:352
.LBB125_300:                            ; =>This Inner Loop Header: Depth=1
	scratch_load_dwordx4 v[92:95], off, off offset:352
	s_add_i32 s46, s4, 0x3f0
	scratch_load_dwordx4 v[96:99], off, s46
	v_add_u32_e32 v1, s4, v0
	ds_read2_b64 v[100:103], v1 offset0:80 offset1:81
	ds_read2_b64 v[104:107], v1 offset0:82 offset1:83
	s_add_i32 s47, s4, 0x400
	scratch_load_dwordx4 v[108:111], off, s47
	s_add_i32 s5, s4, 0x460
	s_waitcnt vmcnt(2) lgkmcnt(1)
	v_mul_f64 v[2:3], v[102:103], v[94:95]
	v_mul_f64 v[4:5], v[100:101], v[94:95]
	v_fma_f64 v[2:3], v[100:101], v[92:93], -v[2:3]
	v_fmac_f64_e32 v[4:5], v[102:103], v[92:93]
	s_waitcnt vmcnt(1)
	v_add_f64 v[92:93], v[96:97], -v[2:3]
	v_add_f64 v[94:95], v[98:99], -v[4:5]
	scratch_store_dwordx4 off, v[92:95], s46
	scratch_load_dwordx4 v[92:95], off, off offset:352
	s_add_i32 s46, s4, 0x410
	s_waitcnt vmcnt(0) lgkmcnt(0)
	v_mul_f64 v[2:3], v[106:107], v[94:95]
	v_mul_f64 v[4:5], v[104:105], v[94:95]
	v_fma_f64 v[2:3], v[104:105], v[92:93], -v[2:3]
	v_fmac_f64_e32 v[4:5], v[106:107], v[92:93]
	v_add_f64 v[92:93], v[108:109], -v[2:3]
	v_add_f64 v[94:95], v[110:111], -v[4:5]
	scratch_store_dwordx4 off, v[92:95], s47
	scratch_load_dwordx4 v[92:95], off, off offset:352
	s_nop 0
	scratch_load_dwordx4 v[96:99], off, s46
	ds_read2_b64 v[100:103], v1 offset0:84 offset1:85
	ds_read2_b64 v[104:107], v1 offset0:86 offset1:87
	s_add_i32 s47, s4, 0x420
	scratch_load_dwordx4 v[108:111], off, s47
	s_waitcnt vmcnt(2) lgkmcnt(1)
	v_mul_f64 v[2:3], v[102:103], v[94:95]
	v_mul_f64 v[4:5], v[100:101], v[94:95]
	v_fma_f64 v[2:3], v[100:101], v[92:93], -v[2:3]
	v_fmac_f64_e32 v[4:5], v[102:103], v[92:93]
	s_waitcnt vmcnt(1)
	v_add_f64 v[92:93], v[96:97], -v[2:3]
	v_add_f64 v[94:95], v[98:99], -v[4:5]
	scratch_store_dwordx4 off, v[92:95], s46
	scratch_load_dwordx4 v[92:95], off, off offset:352
	s_add_i32 s46, s4, 0x430
	s_waitcnt vmcnt(0) lgkmcnt(0)
	v_mul_f64 v[2:3], v[106:107], v[94:95]
	v_mul_f64 v[4:5], v[104:105], v[94:95]
	v_fma_f64 v[2:3], v[104:105], v[92:93], -v[2:3]
	v_fmac_f64_e32 v[4:5], v[106:107], v[92:93]
	v_add_f64 v[92:93], v[108:109], -v[2:3]
	v_add_f64 v[94:95], v[110:111], -v[4:5]
	scratch_store_dwordx4 off, v[92:95], s47
	scratch_load_dwordx4 v[92:95], off, off offset:352
	s_nop 0
	scratch_load_dwordx4 v[96:99], off, s46
	ds_read2_b64 v[100:103], v1 offset0:88 offset1:89
	ds_read2_b64 v[104:107], v1 offset0:90 offset1:91
	s_add_i32 s47, s4, 0x440
	scratch_load_dwordx4 v[108:111], off, s47
	s_waitcnt vmcnt(2) lgkmcnt(1)
	v_mul_f64 v[2:3], v[102:103], v[94:95]
	v_mul_f64 v[4:5], v[100:101], v[94:95]
	v_fma_f64 v[2:3], v[100:101], v[92:93], -v[2:3]
	v_fmac_f64_e32 v[4:5], v[102:103], v[92:93]
	s_waitcnt vmcnt(1)
	v_add_f64 v[92:93], v[96:97], -v[2:3]
	v_add_f64 v[94:95], v[98:99], -v[4:5]
	scratch_store_dwordx4 off, v[92:95], s46
	scratch_load_dwordx4 v[92:95], off, off offset:352
	s_add_i32 s46, s4, 0x450
	s_addk_i32 s4, 0x80
	s_cmp_lg_u32 s4, 0
	s_waitcnt vmcnt(0) lgkmcnt(0)
	v_mul_f64 v[2:3], v[106:107], v[94:95]
	v_mul_f64 v[4:5], v[104:105], v[94:95]
	v_fma_f64 v[2:3], v[104:105], v[92:93], -v[2:3]
	v_fmac_f64_e32 v[4:5], v[106:107], v[92:93]
	v_add_f64 v[92:93], v[108:109], -v[2:3]
	v_add_f64 v[94:95], v[110:111], -v[4:5]
	scratch_store_dwordx4 off, v[92:95], s47
	scratch_load_dwordx4 v[92:95], off, off offset:352
	s_nop 0
	scratch_load_dwordx4 v[96:99], off, s46
	ds_read2_b64 v[100:103], v1 offset0:92 offset1:93
	ds_read2_b64 v[104:107], v1 offset0:94 offset1:95
	scratch_load_dwordx4 v[108:111], off, s5
	s_waitcnt vmcnt(2) lgkmcnt(1)
	v_mul_f64 v[2:3], v[102:103], v[94:95]
	v_mul_f64 v[4:5], v[100:101], v[94:95]
	v_fma_f64 v[2:3], v[100:101], v[92:93], -v[2:3]
	v_fmac_f64_e32 v[4:5], v[102:103], v[92:93]
	s_waitcnt vmcnt(1)
	v_add_f64 v[92:93], v[96:97], -v[2:3]
	v_add_f64 v[94:95], v[98:99], -v[4:5]
	scratch_store_dwordx4 off, v[92:95], s46
	scratch_load_dwordx4 v[92:95], off, off offset:352
	s_waitcnt vmcnt(0) lgkmcnt(0)
	v_mul_f64 v[2:3], v[106:107], v[94:95]
	v_mul_f64 v[4:5], v[104:105], v[94:95]
	v_fma_f64 v[2:3], v[104:105], v[92:93], -v[2:3]
	v_fmac_f64_e32 v[4:5], v[106:107], v[92:93]
	v_add_f64 v[92:93], v[108:109], -v[2:3]
	v_add_f64 v[94:95], v[110:111], -v[4:5]
	scratch_store_dwordx4 off, v[92:95], s5
	s_cbranch_scc1 .LBB125_300
.LBB125_301:
	s_or_b64 exec, exec, s[2:3]
	v_cmp_eq_u32_e32 vcc, 23, v254
	s_waitcnt lgkmcnt(0)
	s_barrier
	s_and_saveexec_b64 s[4:5], vcc
	s_cbranch_execz .LBB125_310
; %bb.302:
	scratch_load_dwordx4 v[92:95], off, s87
	v_add_u32_e32 v0, 0x180, v248
	s_movk_i32 s2, 0xfd90
	s_waitcnt vmcnt(0)
	ds_write2_b64 v252, v[92:93], v[94:95] offset1:1
.LBB125_303:                            ; =>This Inner Loop Header: Depth=1
	s_add_i32 s46, s2, 0x3f0
	scratch_load_dwordx4 v[92:95], off, s46
	v_add_u32_e32 v1, s2, v0
	s_add_i32 s46, s2, 0x400
	s_add_i32 s3, s2, 0x4b0
	s_waitcnt vmcnt(0)
	ds_write2_b64 v1, v[92:93], v[94:95] offset0:78 offset1:79
	scratch_load_dwordx4 v[92:95], off, s46
	s_add_i32 s46, s2, 0x410
	s_waitcnt vmcnt(0)
	ds_write2_b64 v1, v[92:93], v[94:95] offset0:80 offset1:81
	scratch_load_dwordx4 v[92:95], off, s46
	;; [unrolled: 4-line block ×10, first 2 shown]
	s_add_i32 s46, s2, 0x4a0
	s_addk_i32 s2, 0xd0
	s_cmp_lg_u32 s2, 0
	s_waitcnt vmcnt(0)
	ds_write2_b64 v1, v[92:93], v[94:95] offset0:98 offset1:99
	scratch_load_dwordx4 v[92:95], off, s46
	s_waitcnt vmcnt(0)
	ds_write2_b64 v1, v[92:93], v[94:95] offset0:100 offset1:101
	scratch_load_dwordx4 v[92:95], off, s3
	s_waitcnt vmcnt(0)
	ds_write2_b64 v1, v[92:93], v[94:95] offset0:102 offset1:103
	s_cbranch_scc1 .LBB125_303
; %bb.304:
	ds_read2_b64 v[92:95], v252 offset1:1
	s_waitcnt lgkmcnt(0)
	v_cmp_neq_f64_e32 vcc, 0, v[92:93]
	v_cmp_neq_f64_e64 s[2:3], 0, v[94:95]
	s_or_b64 s[2:3], vcc, s[2:3]
	s_and_b64 exec, exec, s[2:3]
	s_cbranch_execz .LBB125_310
; %bb.305:
	v_cmp_ngt_f64_e64 s[2:3], |v[92:93]|, |v[94:95]|
                                        ; implicit-def: $vgpr0_vgpr1
	s_and_saveexec_b64 s[46:47], s[2:3]
	s_xor_b64 s[2:3], exec, s[46:47]
                                        ; implicit-def: $vgpr2_vgpr3
	s_cbranch_execz .LBB125_307
; %bb.306:
	v_div_scale_f64 v[0:1], s[46:47], v[94:95], v[94:95], v[92:93]
	v_rcp_f64_e32 v[2:3], v[0:1]
	v_div_scale_f64 v[4:5], vcc, v[92:93], v[94:95], v[92:93]
	v_fma_f64 v[6:7], -v[0:1], v[2:3], 1.0
	v_fmac_f64_e32 v[2:3], v[2:3], v[6:7]
	v_fma_f64 v[6:7], -v[0:1], v[2:3], 1.0
	v_fmac_f64_e32 v[2:3], v[2:3], v[6:7]
	v_mul_f64 v[6:7], v[4:5], v[2:3]
	v_fma_f64 v[0:1], -v[0:1], v[6:7], v[4:5]
	v_div_fmas_f64 v[0:1], v[0:1], v[2:3], v[6:7]
	v_div_fixup_f64 v[0:1], v[0:1], v[94:95], v[92:93]
	v_fmac_f64_e32 v[94:95], v[92:93], v[0:1]
	v_div_scale_f64 v[2:3], s[46:47], v[94:95], v[94:95], 1.0
	v_rcp_f64_e32 v[4:5], v[2:3]
	s_nop 0
	v_fma_f64 v[6:7], -v[2:3], v[4:5], 1.0
	v_fmac_f64_e32 v[4:5], v[4:5], v[6:7]
	v_fma_f64 v[6:7], -v[2:3], v[4:5], 1.0
	v_fmac_f64_e32 v[4:5], v[4:5], v[6:7]
	v_div_scale_f64 v[6:7], vcc, 1.0, v[94:95], 1.0
	v_mul_f64 v[92:93], v[6:7], v[4:5]
	v_fma_f64 v[2:3], -v[2:3], v[92:93], v[6:7]
	s_nop 1
	v_div_fmas_f64 v[2:3], v[2:3], v[4:5], v[92:93]
	v_div_fixup_f64 v[2:3], v[2:3], v[94:95], 1.0
	v_mul_f64 v[0:1], v[0:1], v[2:3]
	v_xor_b32_e32 v3, 0x80000000, v3
                                        ; implicit-def: $vgpr92_vgpr93
.LBB125_307:
	s_andn2_saveexec_b64 s[2:3], s[2:3]
	s_cbranch_execz .LBB125_309
; %bb.308:
	v_div_scale_f64 v[0:1], s[46:47], v[92:93], v[92:93], v[94:95]
	v_rcp_f64_e32 v[2:3], v[0:1]
	v_div_scale_f64 v[4:5], vcc, v[94:95], v[92:93], v[94:95]
	v_fma_f64 v[6:7], -v[0:1], v[2:3], 1.0
	v_fmac_f64_e32 v[2:3], v[2:3], v[6:7]
	v_fma_f64 v[6:7], -v[0:1], v[2:3], 1.0
	v_fmac_f64_e32 v[2:3], v[2:3], v[6:7]
	v_mul_f64 v[6:7], v[4:5], v[2:3]
	v_fma_f64 v[0:1], -v[0:1], v[6:7], v[4:5]
	v_div_fmas_f64 v[0:1], v[0:1], v[2:3], v[6:7]
	v_div_fixup_f64 v[2:3], v[0:1], v[92:93], v[94:95]
	v_fmac_f64_e32 v[92:93], v[94:95], v[2:3]
	v_div_scale_f64 v[0:1], s[46:47], v[92:93], v[92:93], 1.0
	v_rcp_f64_e32 v[4:5], v[0:1]
	s_nop 0
	v_fma_f64 v[6:7], -v[0:1], v[4:5], 1.0
	v_fmac_f64_e32 v[4:5], v[4:5], v[6:7]
	v_fma_f64 v[6:7], -v[0:1], v[4:5], 1.0
	v_fmac_f64_e32 v[4:5], v[4:5], v[6:7]
	v_div_scale_f64 v[6:7], vcc, 1.0, v[92:93], 1.0
	v_mul_f64 v[94:95], v[6:7], v[4:5]
	v_fma_f64 v[0:1], -v[0:1], v[94:95], v[6:7]
	s_nop 1
	v_div_fmas_f64 v[0:1], v[0:1], v[4:5], v[94:95]
	v_div_fixup_f64 v[0:1], v[0:1], v[92:93], 1.0
	v_mul_f64 v[2:3], v[2:3], -v[0:1]
.LBB125_309:
	s_or_b64 exec, exec, s[2:3]
	ds_write2_b64 v252, v[0:1], v[2:3] offset1:1
.LBB125_310:
	s_or_b64 exec, exec, s[4:5]
	s_waitcnt lgkmcnt(0)
	s_barrier
	ds_read2_b64 v[92:95], v252 offset1:1
	v_cmp_lt_u32_e32 vcc, 23, v254
	s_and_saveexec_b64 s[2:3], vcc
	s_cbranch_execz .LBB125_313
; %bb.311:
	scratch_load_dwordx4 v[96:99], off, off offset:368
	v_add_u32_e32 v0, 0x180, v248
	s_movk_i32 s4, 0xfd90
	s_waitcnt vmcnt(0) lgkmcnt(0)
	v_mul_f64 v[2:3], v[94:95], v[98:99]
	v_mul_f64 v[100:101], v[92:93], v[98:99]
	v_fma_f64 v[98:99], v[92:93], v[96:97], -v[2:3]
	v_fmac_f64_e32 v[100:101], v[94:95], v[96:97]
	scratch_store_dwordx4 off, v[98:101], off offset:368
.LBB125_312:                            ; =>This Inner Loop Header: Depth=1
	scratch_load_dwordx4 v[96:99], off, off offset:368
	s_add_i32 s46, s4, 0x3f0
	scratch_load_dwordx4 v[100:103], off, s46
	v_add_u32_e32 v1, s4, v0
	ds_read2_b64 v[104:107], v1 offset0:78 offset1:79
	s_add_i32 s47, s4, 0x400
	s_add_i32 s5, s4, 0x410
	;; [unrolled: 1-line block ×3, first 2 shown]
	s_cmp_lg_u32 s4, 0
	s_waitcnt vmcnt(1) lgkmcnt(0)
	v_mul_f64 v[2:3], v[106:107], v[98:99]
	v_mul_f64 v[4:5], v[104:105], v[98:99]
	v_fma_f64 v[2:3], v[104:105], v[96:97], -v[2:3]
	v_fmac_f64_e32 v[4:5], v[106:107], v[96:97]
	s_waitcnt vmcnt(0)
	v_add_f64 v[96:97], v[100:101], -v[2:3]
	v_add_f64 v[98:99], v[102:103], -v[4:5]
	scratch_store_dwordx4 off, v[96:99], s46
	scratch_load_dwordx4 v[96:99], off, off offset:368
	s_nop 0
	scratch_load_dwordx4 v[100:103], off, s47
	ds_read2_b64 v[104:107], v1 offset0:80 offset1:81
	s_waitcnt vmcnt(1) lgkmcnt(0)
	v_mul_f64 v[2:3], v[106:107], v[98:99]
	v_mul_f64 v[4:5], v[104:105], v[98:99]
	v_fma_f64 v[2:3], v[104:105], v[96:97], -v[2:3]
	v_fmac_f64_e32 v[4:5], v[106:107], v[96:97]
	s_waitcnt vmcnt(0)
	v_add_f64 v[96:97], v[100:101], -v[2:3]
	v_add_f64 v[98:99], v[102:103], -v[4:5]
	scratch_store_dwordx4 off, v[96:99], s47
	scratch_load_dwordx4 v[96:99], off, off offset:368
	s_nop 0
	scratch_load_dwordx4 v[100:103], off, s5
	ds_read2_b64 v[104:107], v1 offset0:82 offset1:83
	s_waitcnt vmcnt(1) lgkmcnt(0)
	v_mul_f64 v[2:3], v[106:107], v[98:99]
	v_mul_f64 v[4:5], v[104:105], v[98:99]
	v_fma_f64 v[2:3], v[104:105], v[96:97], -v[2:3]
	v_fmac_f64_e32 v[4:5], v[106:107], v[96:97]
	s_waitcnt vmcnt(0)
	v_add_f64 v[96:97], v[100:101], -v[2:3]
	v_add_f64 v[98:99], v[102:103], -v[4:5]
	scratch_store_dwordx4 off, v[96:99], s5
	s_cbranch_scc1 .LBB125_312
.LBB125_313:
	s_or_b64 exec, exec, s[2:3]
	v_cmp_eq_u32_e32 vcc, 24, v254
	s_waitcnt lgkmcnt(0)
	s_barrier
	s_and_saveexec_b64 s[4:5], vcc
	s_cbranch_execz .LBB125_322
; %bb.314:
	scratch_load_dwordx4 v[0:3], off, s86
	s_mov_b32 s2, 0
	s_waitcnt vmcnt(0)
	ds_write2_b64 v252, v[0:1], v[2:3] offset1:1
	v_add_u32_e32 v0, 0x190, v248
.LBB125_315:                            ; =>This Inner Loop Header: Depth=1
	s_add_i32 s46, s2, 0x190
	s_add_i32 s3, s2, 0x1a0
	scratch_load_dwordx4 v[96:99], off, s46
	scratch_load_dwordx4 v[100:103], off, s3
	v_add_u32_e32 v1, s2, v0
	s_add_i32 s2, s2, 32
	s_cmpk_lg_i32 s2, 0x260
	s_waitcnt vmcnt(1)
	ds_write2_b64 v1, v[96:97], v[98:99] offset1:1
	s_waitcnt vmcnt(0)
	ds_write2_b64 v1, v[100:101], v[102:103] offset0:2 offset1:3
	s_cbranch_scc1 .LBB125_315
; %bb.316:
	ds_read2_b64 v[96:99], v252 offset1:1
	s_waitcnt lgkmcnt(0)
	v_cmp_neq_f64_e32 vcc, 0, v[96:97]
	v_cmp_neq_f64_e64 s[2:3], 0, v[98:99]
	s_or_b64 s[2:3], vcc, s[2:3]
	s_and_b64 exec, exec, s[2:3]
	s_cbranch_execz .LBB125_322
; %bb.317:
	v_cmp_ngt_f64_e64 s[2:3], |v[96:97]|, |v[98:99]|
                                        ; implicit-def: $vgpr0_vgpr1
	s_and_saveexec_b64 s[46:47], s[2:3]
	s_xor_b64 s[2:3], exec, s[46:47]
                                        ; implicit-def: $vgpr2_vgpr3
	s_cbranch_execz .LBB125_319
; %bb.318:
	v_div_scale_f64 v[0:1], s[46:47], v[98:99], v[98:99], v[96:97]
	v_rcp_f64_e32 v[2:3], v[0:1]
	v_div_scale_f64 v[4:5], vcc, v[96:97], v[98:99], v[96:97]
	v_fma_f64 v[6:7], -v[0:1], v[2:3], 1.0
	v_fmac_f64_e32 v[2:3], v[2:3], v[6:7]
	v_fma_f64 v[6:7], -v[0:1], v[2:3], 1.0
	v_fmac_f64_e32 v[2:3], v[2:3], v[6:7]
	v_mul_f64 v[6:7], v[4:5], v[2:3]
	v_fma_f64 v[0:1], -v[0:1], v[6:7], v[4:5]
	v_div_fmas_f64 v[0:1], v[0:1], v[2:3], v[6:7]
	v_div_fixup_f64 v[0:1], v[0:1], v[98:99], v[96:97]
	v_fmac_f64_e32 v[98:99], v[96:97], v[0:1]
	v_div_scale_f64 v[2:3], s[46:47], v[98:99], v[98:99], 1.0
	v_rcp_f64_e32 v[4:5], v[2:3]
	s_nop 0
	v_fma_f64 v[6:7], -v[2:3], v[4:5], 1.0
	v_fmac_f64_e32 v[4:5], v[4:5], v[6:7]
	v_fma_f64 v[6:7], -v[2:3], v[4:5], 1.0
	v_fmac_f64_e32 v[4:5], v[4:5], v[6:7]
	v_div_scale_f64 v[6:7], vcc, 1.0, v[98:99], 1.0
	v_mul_f64 v[96:97], v[6:7], v[4:5]
	v_fma_f64 v[2:3], -v[2:3], v[96:97], v[6:7]
	s_nop 1
	v_div_fmas_f64 v[2:3], v[2:3], v[4:5], v[96:97]
	v_div_fixup_f64 v[2:3], v[2:3], v[98:99], 1.0
	v_mul_f64 v[0:1], v[0:1], v[2:3]
	v_xor_b32_e32 v3, 0x80000000, v3
                                        ; implicit-def: $vgpr96_vgpr97
.LBB125_319:
	s_andn2_saveexec_b64 s[2:3], s[2:3]
	s_cbranch_execz .LBB125_321
; %bb.320:
	v_div_scale_f64 v[0:1], s[46:47], v[96:97], v[96:97], v[98:99]
	v_rcp_f64_e32 v[2:3], v[0:1]
	v_div_scale_f64 v[4:5], vcc, v[98:99], v[96:97], v[98:99]
	v_fma_f64 v[6:7], -v[0:1], v[2:3], 1.0
	v_fmac_f64_e32 v[2:3], v[2:3], v[6:7]
	v_fma_f64 v[6:7], -v[0:1], v[2:3], 1.0
	v_fmac_f64_e32 v[2:3], v[2:3], v[6:7]
	v_mul_f64 v[6:7], v[4:5], v[2:3]
	v_fma_f64 v[0:1], -v[0:1], v[6:7], v[4:5]
	v_div_fmas_f64 v[0:1], v[0:1], v[2:3], v[6:7]
	v_div_fixup_f64 v[2:3], v[0:1], v[96:97], v[98:99]
	v_fmac_f64_e32 v[96:97], v[98:99], v[2:3]
	v_div_scale_f64 v[0:1], s[46:47], v[96:97], v[96:97], 1.0
	v_rcp_f64_e32 v[4:5], v[0:1]
	s_nop 0
	v_fma_f64 v[6:7], -v[0:1], v[4:5], 1.0
	v_fmac_f64_e32 v[4:5], v[4:5], v[6:7]
	v_fma_f64 v[6:7], -v[0:1], v[4:5], 1.0
	v_fmac_f64_e32 v[4:5], v[4:5], v[6:7]
	v_div_scale_f64 v[6:7], vcc, 1.0, v[96:97], 1.0
	v_mul_f64 v[98:99], v[6:7], v[4:5]
	v_fma_f64 v[0:1], -v[0:1], v[98:99], v[6:7]
	s_nop 1
	v_div_fmas_f64 v[0:1], v[0:1], v[4:5], v[98:99]
	v_div_fixup_f64 v[0:1], v[0:1], v[96:97], 1.0
	v_mul_f64 v[2:3], v[2:3], -v[0:1]
.LBB125_321:
	s_or_b64 exec, exec, s[2:3]
	ds_write2_b64 v252, v[0:1], v[2:3] offset1:1
.LBB125_322:
	s_or_b64 exec, exec, s[4:5]
	s_waitcnt lgkmcnt(0)
	s_barrier
	ds_read2_b64 v[96:99], v252 offset1:1
	v_cmp_lt_u32_e32 vcc, 24, v254
	s_and_saveexec_b64 s[2:3], vcc
	s_cbranch_execz .LBB125_325
; %bb.323:
	scratch_load_dwordx4 v[0:3], off, off offset:384
	s_mov_b32 s4, 0
	s_waitcnt vmcnt(0) lgkmcnt(0)
	v_mul_f64 v[4:5], v[98:99], v[2:3]
	v_mul_f64 v[102:103], v[96:97], v[2:3]
	v_fma_f64 v[100:101], v[96:97], v[0:1], -v[4:5]
	v_fmac_f64_e32 v[102:103], v[98:99], v[0:1]
	v_add_u32_e32 v0, 0x190, v248
	scratch_store_dwordx4 off, v[100:103], off offset:384
.LBB125_324:                            ; =>This Inner Loop Header: Depth=1
	v_add_u32_e32 v1, s4, v0
	ds_read2_b64 v[104:107], v1 offset1:1
	s_add_i32 s46, s4, 0x190
	s_add_i32 s5, s4, 0x1a0
	;; [unrolled: 1-line block ×3, first 2 shown]
	s_cmpk_lg_i32 s4, 0x260
	s_waitcnt lgkmcnt(0)
	v_mul_f64 v[2:3], v[106:107], v[102:103]
	v_mul_f64 v[4:5], v[104:105], v[102:103]
	v_fma_f64 v[2:3], v[104:105], v[100:101], -v[2:3]
	v_fmac_f64_e32 v[4:5], v[106:107], v[100:101]
	scratch_load_dwordx4 v[104:107], off, s46
	s_waitcnt vmcnt(0)
	v_add_f64 v[104:105], v[104:105], -v[2:3]
	v_add_f64 v[106:107], v[106:107], -v[4:5]
	scratch_store_dwordx4 off, v[104:107], s46
	ds_read2_b64 v[104:107], v1 offset0:2 offset1:3
	s_waitcnt lgkmcnt(0)
	v_mul_f64 v[2:3], v[106:107], v[102:103]
	v_mul_f64 v[4:5], v[104:105], v[102:103]
	v_fma_f64 v[2:3], v[104:105], v[100:101], -v[2:3]
	v_fmac_f64_e32 v[4:5], v[106:107], v[100:101]
	scratch_load_dwordx4 v[104:107], off, s5
	s_waitcnt vmcnt(0)
	v_add_f64 v[104:105], v[104:105], -v[2:3]
	v_add_f64 v[106:107], v[106:107], -v[4:5]
	scratch_store_dwordx4 off, v[104:107], s5
	s_cbranch_scc1 .LBB125_324
.LBB125_325:
	s_or_b64 exec, exec, s[2:3]
	v_cmp_eq_u32_e32 vcc, 25, v254
	s_waitcnt lgkmcnt(0)
	s_barrier
	s_and_saveexec_b64 s[4:5], vcc
	s_cbranch_execz .LBB125_336
; %bb.326:
	scratch_load_dwordx4 v[0:3], off, s85
	s_mov_b32 s46, 0
	s_waitcnt vmcnt(0)
	ds_write2_b64 v252, v[0:1], v[2:3] offset1:1
	v_add_u32_e32 v0, 0x1a0, v248
	s_branch .LBB125_328
.LBB125_327:                            ;   in Loop: Header=BB125_328 Depth=1
	s_andn2_b64 vcc, exec, s[2:3]
	s_cbranch_vccz .LBB125_330
.LBB125_328:                            ; =>This Inner Loop Header: Depth=1
	s_add_i32 s2, s46, 0x1a0
	s_add_i32 s3, s46, 0x1b0
	scratch_load_dwordx4 v[100:103], off, s2
	scratch_load_dwordx4 v[104:107], off, s3
	s_add_i32 s2, s46, 0x1c0
	s_add_i32 s3, s46, 0x1d0
	scratch_load_dwordx4 v[108:111], off, s2
	scratch_load_dwordx4 v[112:115], off, s3
	s_add_i32 s2, s46, 0x1e0
	scratch_load_dwordx4 v[116:119], off, s2
	s_mov_b32 s47, s46
	v_add_u32_e32 v1, s46, v0
	s_cmpk_eq_i32 s46, 0x200
	s_mov_b64 s[2:3], -1
	s_waitcnt vmcnt(4)
	ds_write2_b64 v1, v[100:101], v[102:103] offset1:1
	s_waitcnt vmcnt(3)
	ds_write2_b64 v1, v[104:105], v[106:107] offset0:2 offset1:3
	s_waitcnt vmcnt(2)
	ds_write2_b64 v1, v[108:109], v[110:111] offset0:4 offset1:5
	s_waitcnt vmcnt(1)
	ds_write2_b64 v1, v[112:113], v[114:115] offset0:6 offset1:7
	s_waitcnt vmcnt(0)
	ds_write2_b64 v1, v[116:117], v[118:119] offset0:8 offset1:9
	s_cbranch_scc1 .LBB125_327
; %bb.329:                              ;   in Loop: Header=BB125_328 Depth=1
	s_add_i32 s2, s47, 0x1f0
	s_add_i32 s3, s47, 0x200
	scratch_load_dwordx4 v[100:103], off, s2
	scratch_load_dwordx4 v[104:107], off, s3
	s_addk_i32 s47, 0x210
	scratch_load_dwordx4 v[108:111], off, s47
	s_addk_i32 s46, 0x80
	s_mov_b64 s[2:3], 0
	s_waitcnt vmcnt(2)
	ds_write2_b64 v1, v[100:101], v[102:103] offset0:10 offset1:11
	s_waitcnt vmcnt(1)
	ds_write2_b64 v1, v[104:105], v[106:107] offset0:12 offset1:13
	;; [unrolled: 2-line block ×3, first 2 shown]
	s_branch .LBB125_327
.LBB125_330:
	ds_read2_b64 v[100:103], v252 offset1:1
	s_waitcnt lgkmcnt(0)
	v_cmp_neq_f64_e32 vcc, 0, v[100:101]
	v_cmp_neq_f64_e64 s[2:3], 0, v[102:103]
	s_or_b64 s[2:3], vcc, s[2:3]
	s_and_b64 exec, exec, s[2:3]
	s_cbranch_execz .LBB125_336
; %bb.331:
	v_cmp_ngt_f64_e64 s[2:3], |v[100:101]|, |v[102:103]|
                                        ; implicit-def: $vgpr0_vgpr1
	s_and_saveexec_b64 s[46:47], s[2:3]
	s_xor_b64 s[2:3], exec, s[46:47]
                                        ; implicit-def: $vgpr2_vgpr3
	s_cbranch_execz .LBB125_333
; %bb.332:
	v_div_scale_f64 v[0:1], s[46:47], v[102:103], v[102:103], v[100:101]
	v_rcp_f64_e32 v[2:3], v[0:1]
	v_div_scale_f64 v[4:5], vcc, v[100:101], v[102:103], v[100:101]
	v_fma_f64 v[6:7], -v[0:1], v[2:3], 1.0
	v_fmac_f64_e32 v[2:3], v[2:3], v[6:7]
	v_fma_f64 v[6:7], -v[0:1], v[2:3], 1.0
	v_fmac_f64_e32 v[2:3], v[2:3], v[6:7]
	v_mul_f64 v[6:7], v[4:5], v[2:3]
	v_fma_f64 v[0:1], -v[0:1], v[6:7], v[4:5]
	v_div_fmas_f64 v[0:1], v[0:1], v[2:3], v[6:7]
	v_div_fixup_f64 v[0:1], v[0:1], v[102:103], v[100:101]
	v_fmac_f64_e32 v[102:103], v[100:101], v[0:1]
	v_div_scale_f64 v[2:3], s[46:47], v[102:103], v[102:103], 1.0
	v_rcp_f64_e32 v[4:5], v[2:3]
	s_nop 0
	v_fma_f64 v[6:7], -v[2:3], v[4:5], 1.0
	v_fmac_f64_e32 v[4:5], v[4:5], v[6:7]
	v_fma_f64 v[6:7], -v[2:3], v[4:5], 1.0
	v_fmac_f64_e32 v[4:5], v[4:5], v[6:7]
	v_div_scale_f64 v[6:7], vcc, 1.0, v[102:103], 1.0
	v_mul_f64 v[100:101], v[6:7], v[4:5]
	v_fma_f64 v[2:3], -v[2:3], v[100:101], v[6:7]
	s_nop 1
	v_div_fmas_f64 v[2:3], v[2:3], v[4:5], v[100:101]
	v_div_fixup_f64 v[2:3], v[2:3], v[102:103], 1.0
	v_mul_f64 v[0:1], v[0:1], v[2:3]
	v_xor_b32_e32 v3, 0x80000000, v3
                                        ; implicit-def: $vgpr100_vgpr101
.LBB125_333:
	s_andn2_saveexec_b64 s[2:3], s[2:3]
	s_cbranch_execz .LBB125_335
; %bb.334:
	v_div_scale_f64 v[0:1], s[46:47], v[100:101], v[100:101], v[102:103]
	v_rcp_f64_e32 v[2:3], v[0:1]
	v_div_scale_f64 v[4:5], vcc, v[102:103], v[100:101], v[102:103]
	v_fma_f64 v[6:7], -v[0:1], v[2:3], 1.0
	v_fmac_f64_e32 v[2:3], v[2:3], v[6:7]
	v_fma_f64 v[6:7], -v[0:1], v[2:3], 1.0
	v_fmac_f64_e32 v[2:3], v[2:3], v[6:7]
	v_mul_f64 v[6:7], v[4:5], v[2:3]
	v_fma_f64 v[0:1], -v[0:1], v[6:7], v[4:5]
	v_div_fmas_f64 v[0:1], v[0:1], v[2:3], v[6:7]
	v_div_fixup_f64 v[2:3], v[0:1], v[100:101], v[102:103]
	v_fmac_f64_e32 v[100:101], v[102:103], v[2:3]
	v_div_scale_f64 v[0:1], s[46:47], v[100:101], v[100:101], 1.0
	v_rcp_f64_e32 v[4:5], v[0:1]
	s_nop 0
	v_fma_f64 v[6:7], -v[0:1], v[4:5], 1.0
	v_fmac_f64_e32 v[4:5], v[4:5], v[6:7]
	v_fma_f64 v[6:7], -v[0:1], v[4:5], 1.0
	v_fmac_f64_e32 v[4:5], v[4:5], v[6:7]
	v_div_scale_f64 v[6:7], vcc, 1.0, v[100:101], 1.0
	v_mul_f64 v[102:103], v[6:7], v[4:5]
	v_fma_f64 v[0:1], -v[0:1], v[102:103], v[6:7]
	s_nop 1
	v_div_fmas_f64 v[0:1], v[0:1], v[4:5], v[102:103]
	v_div_fixup_f64 v[0:1], v[0:1], v[100:101], 1.0
	v_mul_f64 v[2:3], v[2:3], -v[0:1]
.LBB125_335:
	s_or_b64 exec, exec, s[2:3]
	ds_write2_b64 v252, v[0:1], v[2:3] offset1:1
.LBB125_336:
	s_or_b64 exec, exec, s[4:5]
	s_waitcnt lgkmcnt(0)
	s_barrier
	ds_read2_b64 v[100:103], v252 offset1:1
	v_cmp_lt_u32_e32 vcc, 25, v254
	s_and_saveexec_b64 s[2:3], vcc
	s_cbranch_execz .LBB125_341
; %bb.337:
	scratch_load_dwordx4 v[0:3], off, off offset:400
	s_mov_b32 s72, 0
	s_waitcnt vmcnt(0) lgkmcnt(0)
	v_mul_f64 v[4:5], v[102:103], v[2:3]
	v_mul_f64 v[106:107], v[100:101], v[2:3]
	v_fma_f64 v[104:105], v[100:101], v[0:1], -v[4:5]
	v_fmac_f64_e32 v[106:107], v[102:103], v[0:1]
	v_add_u32_e32 v0, 0x1a0, v248
	scratch_store_dwordx4 off, v[104:107], off offset:400
	s_branch .LBB125_339
.LBB125_338:                            ;   in Loop: Header=BB125_339 Depth=1
	s_andn2_b64 vcc, exec, s[4:5]
	s_cbranch_vccz .LBB125_341
.LBB125_339:                            ; =>This Inner Loop Header: Depth=1
	v_add_u32_e32 v1, s72, v0
	ds_read2_b64 v[108:111], v1 offset1:1
	s_add_i32 s4, s72, 0x1a0
	s_mov_b32 s73, s72
	s_waitcnt lgkmcnt(0)
	v_mul_f64 v[2:3], v[110:111], v[106:107]
	v_mul_f64 v[4:5], v[108:109], v[106:107]
	v_fma_f64 v[2:3], v[108:109], v[104:105], -v[2:3]
	v_fmac_f64_e32 v[4:5], v[110:111], v[104:105]
	scratch_load_dwordx4 v[108:111], off, s4
	s_waitcnt vmcnt(0)
	v_add_f64 v[108:109], v[108:109], -v[2:3]
	v_add_f64 v[110:111], v[110:111], -v[4:5]
	scratch_store_dwordx4 off, v[108:111], s4
	ds_read2_b64 v[108:111], v1 offset0:2 offset1:3
	s_add_i32 s4, s72, 0x1b0
	s_waitcnt lgkmcnt(0)
	v_mul_f64 v[2:3], v[110:111], v[106:107]
	v_mul_f64 v[4:5], v[108:109], v[106:107]
	v_fma_f64 v[2:3], v[108:109], v[104:105], -v[2:3]
	v_fmac_f64_e32 v[4:5], v[110:111], v[104:105]
	scratch_load_dwordx4 v[108:111], off, s4
	s_waitcnt vmcnt(0)
	v_add_f64 v[108:109], v[108:109], -v[2:3]
	v_add_f64 v[110:111], v[110:111], -v[4:5]
	scratch_store_dwordx4 off, v[108:111], s4
	ds_read2_b64 v[108:111], v1 offset0:4 offset1:5
	s_add_i32 s4, s72, 0x1c0
	;; [unrolled: 12-line block ×4, first 2 shown]
	s_cmpk_eq_i32 s72, 0x200
	s_waitcnt lgkmcnt(0)
	v_mul_f64 v[2:3], v[110:111], v[106:107]
	v_mul_f64 v[4:5], v[108:109], v[106:107]
	v_fma_f64 v[2:3], v[108:109], v[104:105], -v[2:3]
	v_fmac_f64_e32 v[4:5], v[110:111], v[104:105]
	scratch_load_dwordx4 v[108:111], off, s4
	s_waitcnt vmcnt(0)
	v_add_f64 v[108:109], v[108:109], -v[2:3]
	v_add_f64 v[110:111], v[110:111], -v[4:5]
	scratch_store_dwordx4 off, v[108:111], s4
	s_mov_b64 s[4:5], -1
	s_cbranch_scc1 .LBB125_338
; %bb.340:                              ;   in Loop: Header=BB125_339 Depth=1
	ds_read2_b64 v[108:111], v1 offset0:10 offset1:11
	s_add_i32 s4, s73, 0x1f0
	s_addk_i32 s72, 0x80
	s_waitcnt lgkmcnt(0)
	v_mul_f64 v[2:3], v[110:111], v[106:107]
	v_mul_f64 v[4:5], v[108:109], v[106:107]
	v_fma_f64 v[2:3], v[108:109], v[104:105], -v[2:3]
	v_fmac_f64_e32 v[4:5], v[110:111], v[104:105]
	scratch_load_dwordx4 v[108:111], off, s4
	s_waitcnt vmcnt(0)
	v_add_f64 v[108:109], v[108:109], -v[2:3]
	v_add_f64 v[110:111], v[110:111], -v[4:5]
	scratch_store_dwordx4 off, v[108:111], s4
	ds_read2_b64 v[108:111], v1 offset0:12 offset1:13
	s_add_i32 s4, s73, 0x200
	s_addk_i32 s73, 0x210
	s_waitcnt lgkmcnt(0)
	v_mul_f64 v[2:3], v[110:111], v[106:107]
	v_mul_f64 v[4:5], v[108:109], v[106:107]
	v_fma_f64 v[2:3], v[108:109], v[104:105], -v[2:3]
	v_fmac_f64_e32 v[4:5], v[110:111], v[104:105]
	scratch_load_dwordx4 v[108:111], off, s4
	s_waitcnt vmcnt(0)
	v_add_f64 v[108:109], v[108:109], -v[2:3]
	v_add_f64 v[110:111], v[110:111], -v[4:5]
	scratch_store_dwordx4 off, v[108:111], s4
	ds_read2_b64 v[108:111], v1 offset0:14 offset1:15
	s_mov_b64 s[4:5], 0
	s_waitcnt lgkmcnt(0)
	v_mul_f64 v[2:3], v[110:111], v[106:107]
	v_mul_f64 v[4:5], v[108:109], v[106:107]
	v_fma_f64 v[2:3], v[108:109], v[104:105], -v[2:3]
	v_fmac_f64_e32 v[4:5], v[110:111], v[104:105]
	scratch_load_dwordx4 v[108:111], off, s73
	s_waitcnt vmcnt(0)
	v_add_f64 v[108:109], v[108:109], -v[2:3]
	v_add_f64 v[110:111], v[110:111], -v[4:5]
	scratch_store_dwordx4 off, v[108:111], s73
	s_branch .LBB125_338
.LBB125_341:
	s_or_b64 exec, exec, s[2:3]
	v_cmp_eq_u32_e32 vcc, 26, v254
	s_waitcnt lgkmcnt(0)
	s_barrier
	s_and_saveexec_b64 s[4:5], vcc
	s_cbranch_execz .LBB125_348
; %bb.342:
	scratch_load_dwordx4 v[0:3], off, s50
	s_waitcnt vmcnt(0)
	ds_write2_b64 v252, v[0:1], v[2:3] offset1:1
	scratch_load_dwordx4 v[0:3], off, s45
	s_waitcnt vmcnt(0)
	ds_write2_b64 v248, v[0:1], v[2:3] offset0:54 offset1:55
	scratch_load_dwordx4 v[0:3], off, s44
	s_waitcnt vmcnt(0)
	ds_write2_b64 v248, v[0:1], v[2:3] offset0:56 offset1:57
	;; [unrolled: 3-line block ×36, first 2 shown]
	ds_read2_b64 v[104:107], v252 offset1:1
	s_waitcnt lgkmcnt(0)
	v_cmp_neq_f64_e32 vcc, 0, v[104:105]
	v_cmp_neq_f64_e64 s[2:3], 0, v[106:107]
	s_or_b64 s[2:3], vcc, s[2:3]
	s_and_b64 exec, exec, s[2:3]
	s_cbranch_execz .LBB125_348
; %bb.343:
	v_cmp_ngt_f64_e64 s[2:3], |v[104:105]|, |v[106:107]|
                                        ; implicit-def: $vgpr0_vgpr1
	s_and_saveexec_b64 s[46:47], s[2:3]
	s_xor_b64 s[2:3], exec, s[46:47]
                                        ; implicit-def: $vgpr2_vgpr3
	s_cbranch_execz .LBB125_345
; %bb.344:
	v_div_scale_f64 v[0:1], s[46:47], v[106:107], v[106:107], v[104:105]
	v_rcp_f64_e32 v[2:3], v[0:1]
	v_div_scale_f64 v[4:5], vcc, v[104:105], v[106:107], v[104:105]
	v_fma_f64 v[6:7], -v[0:1], v[2:3], 1.0
	v_fmac_f64_e32 v[2:3], v[2:3], v[6:7]
	v_fma_f64 v[6:7], -v[0:1], v[2:3], 1.0
	v_fmac_f64_e32 v[2:3], v[2:3], v[6:7]
	v_mul_f64 v[6:7], v[4:5], v[2:3]
	v_fma_f64 v[0:1], -v[0:1], v[6:7], v[4:5]
	v_div_fmas_f64 v[0:1], v[0:1], v[2:3], v[6:7]
	v_div_fixup_f64 v[0:1], v[0:1], v[106:107], v[104:105]
	v_fmac_f64_e32 v[106:107], v[104:105], v[0:1]
	v_div_scale_f64 v[2:3], s[46:47], v[106:107], v[106:107], 1.0
	v_rcp_f64_e32 v[4:5], v[2:3]
	s_nop 0
	v_fma_f64 v[6:7], -v[2:3], v[4:5], 1.0
	v_fmac_f64_e32 v[4:5], v[4:5], v[6:7]
	v_fma_f64 v[6:7], -v[2:3], v[4:5], 1.0
	v_fmac_f64_e32 v[4:5], v[4:5], v[6:7]
	v_div_scale_f64 v[6:7], vcc, 1.0, v[106:107], 1.0
	v_mul_f64 v[104:105], v[6:7], v[4:5]
	v_fma_f64 v[2:3], -v[2:3], v[104:105], v[6:7]
	s_nop 1
	v_div_fmas_f64 v[2:3], v[2:3], v[4:5], v[104:105]
	v_div_fixup_f64 v[2:3], v[2:3], v[106:107], 1.0
	v_mul_f64 v[0:1], v[0:1], v[2:3]
	v_xor_b32_e32 v3, 0x80000000, v3
                                        ; implicit-def: $vgpr104_vgpr105
.LBB125_345:
	s_andn2_saveexec_b64 s[2:3], s[2:3]
	s_cbranch_execz .LBB125_347
; %bb.346:
	v_div_scale_f64 v[0:1], s[46:47], v[104:105], v[104:105], v[106:107]
	v_rcp_f64_e32 v[2:3], v[0:1]
	v_div_scale_f64 v[4:5], vcc, v[106:107], v[104:105], v[106:107]
	v_fma_f64 v[6:7], -v[0:1], v[2:3], 1.0
	v_fmac_f64_e32 v[2:3], v[2:3], v[6:7]
	v_fma_f64 v[6:7], -v[0:1], v[2:3], 1.0
	v_fmac_f64_e32 v[2:3], v[2:3], v[6:7]
	v_mul_f64 v[6:7], v[4:5], v[2:3]
	v_fma_f64 v[0:1], -v[0:1], v[6:7], v[4:5]
	v_div_fmas_f64 v[0:1], v[0:1], v[2:3], v[6:7]
	v_div_fixup_f64 v[2:3], v[0:1], v[104:105], v[106:107]
	v_fmac_f64_e32 v[104:105], v[106:107], v[2:3]
	v_div_scale_f64 v[0:1], s[46:47], v[104:105], v[104:105], 1.0
	v_rcp_f64_e32 v[4:5], v[0:1]
	s_nop 0
	v_fma_f64 v[6:7], -v[0:1], v[4:5], 1.0
	v_fmac_f64_e32 v[4:5], v[4:5], v[6:7]
	v_fma_f64 v[6:7], -v[0:1], v[4:5], 1.0
	v_fmac_f64_e32 v[4:5], v[4:5], v[6:7]
	v_div_scale_f64 v[6:7], vcc, 1.0, v[104:105], 1.0
	v_mul_f64 v[106:107], v[6:7], v[4:5]
	v_fma_f64 v[0:1], -v[0:1], v[106:107], v[6:7]
	s_nop 1
	v_div_fmas_f64 v[0:1], v[0:1], v[4:5], v[106:107]
	v_div_fixup_f64 v[0:1], v[0:1], v[104:105], 1.0
	v_mul_f64 v[2:3], v[2:3], -v[0:1]
.LBB125_347:
	s_or_b64 exec, exec, s[2:3]
	ds_write2_b64 v252, v[0:1], v[2:3] offset1:1
.LBB125_348:
	s_or_b64 exec, exec, s[4:5]
	s_waitcnt lgkmcnt(0)
	s_barrier
	ds_read2_b64 v[104:107], v252 offset1:1
	v_cmp_lt_u32_e32 vcc, 26, v254
	s_and_saveexec_b64 s[2:3], vcc
	s_cbranch_execz .LBB125_351
; %bb.349:
	scratch_load_dwordx4 v[108:111], off, off offset:416
	v_add_u32_e32 v0, 0x1b0, v248
	s_movk_i32 s4, 0xfdc0
	s_waitcnt vmcnt(0) lgkmcnt(0)
	v_mul_f64 v[2:3], v[106:107], v[110:111]
	v_mul_f64 v[112:113], v[104:105], v[110:111]
	v_fma_f64 v[110:111], v[104:105], v[108:109], -v[2:3]
	v_fmac_f64_e32 v[112:113], v[106:107], v[108:109]
	scratch_store_dwordx4 off, v[110:113], off offset:416
.LBB125_350:                            ; =>This Inner Loop Header: Depth=1
	scratch_load_dwordx4 v[112:115], off, off offset:416
	v_add_u32_e32 v1, s4, v0
	ds_read2_b64 v[108:111], v1 offset0:72 offset1:73
	s_add_i32 s46, s4, 0x3f0
	s_add_i32 s5, s4, 0x470
	s_waitcnt vmcnt(0) lgkmcnt(0)
	v_mul_f64 v[2:3], v[110:111], v[114:115]
	v_mul_f64 v[4:5], v[108:109], v[114:115]
	v_fma_f64 v[2:3], v[108:109], v[112:113], -v[2:3]
	v_fmac_f64_e32 v[4:5], v[110:111], v[112:113]
	scratch_load_dwordx4 v[108:111], off, s46
	s_waitcnt vmcnt(0)
	v_add_f64 v[108:109], v[108:109], -v[2:3]
	v_add_f64 v[110:111], v[110:111], -v[4:5]
	scratch_store_dwordx4 off, v[108:111], s46
	scratch_load_dwordx4 v[112:115], off, off offset:416
	ds_read2_b64 v[108:111], v1 offset0:74 offset1:75
	s_add_i32 s46, s4, 0x400
	s_waitcnt vmcnt(0) lgkmcnt(0)
	v_mul_f64 v[2:3], v[110:111], v[114:115]
	v_mul_f64 v[4:5], v[108:109], v[114:115]
	v_fma_f64 v[2:3], v[108:109], v[112:113], -v[2:3]
	v_fmac_f64_e32 v[4:5], v[110:111], v[112:113]
	scratch_load_dwordx4 v[108:111], off, s46
	s_waitcnt vmcnt(0)
	v_add_f64 v[108:109], v[108:109], -v[2:3]
	v_add_f64 v[110:111], v[110:111], -v[4:5]
	scratch_store_dwordx4 off, v[108:111], s46
	scratch_load_dwordx4 v[112:115], off, off offset:416
	ds_read2_b64 v[108:111], v1 offset0:76 offset1:77
	s_add_i32 s46, s4, 0x410
	s_waitcnt vmcnt(0) lgkmcnt(0)
	v_mul_f64 v[2:3], v[110:111], v[114:115]
	v_mul_f64 v[4:5], v[108:109], v[114:115]
	v_fma_f64 v[2:3], v[108:109], v[112:113], -v[2:3]
	v_fmac_f64_e32 v[4:5], v[110:111], v[112:113]
	scratch_load_dwordx4 v[108:111], off, s46
	s_waitcnt vmcnt(0)
	v_add_f64 v[108:109], v[108:109], -v[2:3]
	v_add_f64 v[110:111], v[110:111], -v[4:5]
	scratch_store_dwordx4 off, v[108:111], s46
	scratch_load_dwordx4 v[112:115], off, off offset:416
	ds_read2_b64 v[108:111], v1 offset0:78 offset1:79
	s_add_i32 s46, s4, 0x420
	s_waitcnt vmcnt(0) lgkmcnt(0)
	v_mul_f64 v[2:3], v[110:111], v[114:115]
	v_mul_f64 v[4:5], v[108:109], v[114:115]
	v_fma_f64 v[2:3], v[108:109], v[112:113], -v[2:3]
	v_fmac_f64_e32 v[4:5], v[110:111], v[112:113]
	scratch_load_dwordx4 v[108:111], off, s46
	s_waitcnt vmcnt(0)
	v_add_f64 v[108:109], v[108:109], -v[2:3]
	v_add_f64 v[110:111], v[110:111], -v[4:5]
	scratch_store_dwordx4 off, v[108:111], s46
	scratch_load_dwordx4 v[112:115], off, off offset:416
	ds_read2_b64 v[108:111], v1 offset0:80 offset1:81
	s_add_i32 s46, s4, 0x430
	s_waitcnt vmcnt(0) lgkmcnt(0)
	v_mul_f64 v[2:3], v[110:111], v[114:115]
	v_mul_f64 v[4:5], v[108:109], v[114:115]
	v_fma_f64 v[2:3], v[108:109], v[112:113], -v[2:3]
	v_fmac_f64_e32 v[4:5], v[110:111], v[112:113]
	scratch_load_dwordx4 v[108:111], off, s46
	s_waitcnt vmcnt(0)
	v_add_f64 v[108:109], v[108:109], -v[2:3]
	v_add_f64 v[110:111], v[110:111], -v[4:5]
	scratch_store_dwordx4 off, v[108:111], s46
	scratch_load_dwordx4 v[112:115], off, off offset:416
	ds_read2_b64 v[108:111], v1 offset0:82 offset1:83
	s_add_i32 s46, s4, 0x440
	s_waitcnt vmcnt(0) lgkmcnt(0)
	v_mul_f64 v[2:3], v[110:111], v[114:115]
	v_mul_f64 v[4:5], v[108:109], v[114:115]
	v_fma_f64 v[2:3], v[108:109], v[112:113], -v[2:3]
	v_fmac_f64_e32 v[4:5], v[110:111], v[112:113]
	scratch_load_dwordx4 v[108:111], off, s46
	s_waitcnt vmcnt(0)
	v_add_f64 v[108:109], v[108:109], -v[2:3]
	v_add_f64 v[110:111], v[110:111], -v[4:5]
	scratch_store_dwordx4 off, v[108:111], s46
	scratch_load_dwordx4 v[112:115], off, off offset:416
	ds_read2_b64 v[108:111], v1 offset0:84 offset1:85
	s_add_i32 s46, s4, 0x450
	s_waitcnt vmcnt(0) lgkmcnt(0)
	v_mul_f64 v[2:3], v[110:111], v[114:115]
	v_mul_f64 v[4:5], v[108:109], v[114:115]
	v_fma_f64 v[2:3], v[108:109], v[112:113], -v[2:3]
	v_fmac_f64_e32 v[4:5], v[110:111], v[112:113]
	scratch_load_dwordx4 v[108:111], off, s46
	s_waitcnt vmcnt(0)
	v_add_f64 v[108:109], v[108:109], -v[2:3]
	v_add_f64 v[110:111], v[110:111], -v[4:5]
	scratch_store_dwordx4 off, v[108:111], s46
	scratch_load_dwordx4 v[112:115], off, off offset:416
	ds_read2_b64 v[108:111], v1 offset0:86 offset1:87
	s_add_i32 s46, s4, 0x460
	s_addk_i32 s4, 0x90
	s_cmp_lg_u32 s4, 0
	s_waitcnt vmcnt(0) lgkmcnt(0)
	v_mul_f64 v[2:3], v[110:111], v[114:115]
	v_mul_f64 v[4:5], v[108:109], v[114:115]
	v_fma_f64 v[2:3], v[108:109], v[112:113], -v[2:3]
	v_fmac_f64_e32 v[4:5], v[110:111], v[112:113]
	scratch_load_dwordx4 v[108:111], off, s46
	s_waitcnt vmcnt(0)
	v_add_f64 v[108:109], v[108:109], -v[2:3]
	v_add_f64 v[110:111], v[110:111], -v[4:5]
	scratch_store_dwordx4 off, v[108:111], s46
	scratch_load_dwordx4 v[114:117], off, off offset:416
	ds_read2_b64 v[110:113], v1 offset0:88 offset1:89
	s_waitcnt vmcnt(0) lgkmcnt(0)
	v_mul_f64 v[2:3], v[112:113], v[116:117]
	v_fma_f64 v[108:109], v[110:111], v[114:115], -v[2:3]
	v_mul_f64 v[110:111], v[110:111], v[116:117]
	v_fmac_f64_e32 v[110:111], v[112:113], v[114:115]
	scratch_load_dwordx4 v[112:115], off, s5
	s_waitcnt vmcnt(0)
	v_add_f64 v[108:109], v[112:113], -v[108:109]
	v_add_f64 v[110:111], v[114:115], -v[110:111]
	scratch_store_dwordx4 off, v[108:111], s5
	s_cbranch_scc1 .LBB125_350
.LBB125_351:
	s_or_b64 exec, exec, s[2:3]
	v_cmp_eq_u32_e32 vcc, 27, v254
	s_waitcnt lgkmcnt(0)
	s_barrier
	s_and_saveexec_b64 s[4:5], vcc
	s_cbranch_execz .LBB125_358
; %bb.352:
	scratch_load_dwordx4 v[0:3], off, s45
	s_waitcnt vmcnt(0)
	ds_write2_b64 v252, v[0:1], v[2:3] offset1:1
	scratch_load_dwordx4 v[0:3], off, s44
	s_waitcnt vmcnt(0)
	ds_write2_b64 v248, v[0:1], v[2:3] offset0:56 offset1:57
	scratch_load_dwordx4 v[0:3], off, s43
	s_waitcnt vmcnt(0)
	ds_write2_b64 v248, v[0:1], v[2:3] offset0:58 offset1:59
	;; [unrolled: 3-line block ×35, first 2 shown]
	ds_read2_b64 v[108:111], v252 offset1:1
	s_waitcnt lgkmcnt(0)
	v_cmp_neq_f64_e32 vcc, 0, v[108:109]
	v_cmp_neq_f64_e64 s[2:3], 0, v[110:111]
	s_or_b64 s[2:3], vcc, s[2:3]
	s_and_b64 exec, exec, s[2:3]
	s_cbranch_execz .LBB125_358
; %bb.353:
	v_cmp_ngt_f64_e64 s[2:3], |v[108:109]|, |v[110:111]|
                                        ; implicit-def: $vgpr0_vgpr1
	s_and_saveexec_b64 s[46:47], s[2:3]
	s_xor_b64 s[2:3], exec, s[46:47]
                                        ; implicit-def: $vgpr2_vgpr3
	s_cbranch_execz .LBB125_355
; %bb.354:
	v_div_scale_f64 v[0:1], s[46:47], v[110:111], v[110:111], v[108:109]
	v_rcp_f64_e32 v[2:3], v[0:1]
	v_div_scale_f64 v[4:5], vcc, v[108:109], v[110:111], v[108:109]
	v_fma_f64 v[6:7], -v[0:1], v[2:3], 1.0
	v_fmac_f64_e32 v[2:3], v[2:3], v[6:7]
	v_fma_f64 v[6:7], -v[0:1], v[2:3], 1.0
	v_fmac_f64_e32 v[2:3], v[2:3], v[6:7]
	v_mul_f64 v[6:7], v[4:5], v[2:3]
	v_fma_f64 v[0:1], -v[0:1], v[6:7], v[4:5]
	v_div_fmas_f64 v[0:1], v[0:1], v[2:3], v[6:7]
	v_div_fixup_f64 v[0:1], v[0:1], v[110:111], v[108:109]
	v_fmac_f64_e32 v[110:111], v[108:109], v[0:1]
	v_div_scale_f64 v[2:3], s[46:47], v[110:111], v[110:111], 1.0
	v_rcp_f64_e32 v[4:5], v[2:3]
	s_nop 0
	v_fma_f64 v[6:7], -v[2:3], v[4:5], 1.0
	v_fmac_f64_e32 v[4:5], v[4:5], v[6:7]
	v_fma_f64 v[6:7], -v[2:3], v[4:5], 1.0
	v_fmac_f64_e32 v[4:5], v[4:5], v[6:7]
	v_div_scale_f64 v[6:7], vcc, 1.0, v[110:111], 1.0
	v_mul_f64 v[108:109], v[6:7], v[4:5]
	v_fma_f64 v[2:3], -v[2:3], v[108:109], v[6:7]
	s_nop 1
	v_div_fmas_f64 v[2:3], v[2:3], v[4:5], v[108:109]
	v_div_fixup_f64 v[2:3], v[2:3], v[110:111], 1.0
	v_mul_f64 v[0:1], v[0:1], v[2:3]
	v_xor_b32_e32 v3, 0x80000000, v3
                                        ; implicit-def: $vgpr108_vgpr109
.LBB125_355:
	s_andn2_saveexec_b64 s[2:3], s[2:3]
	s_cbranch_execz .LBB125_357
; %bb.356:
	v_div_scale_f64 v[0:1], s[46:47], v[108:109], v[108:109], v[110:111]
	v_rcp_f64_e32 v[2:3], v[0:1]
	v_div_scale_f64 v[4:5], vcc, v[110:111], v[108:109], v[110:111]
	v_fma_f64 v[6:7], -v[0:1], v[2:3], 1.0
	v_fmac_f64_e32 v[2:3], v[2:3], v[6:7]
	v_fma_f64 v[6:7], -v[0:1], v[2:3], 1.0
	v_fmac_f64_e32 v[2:3], v[2:3], v[6:7]
	v_mul_f64 v[6:7], v[4:5], v[2:3]
	v_fma_f64 v[0:1], -v[0:1], v[6:7], v[4:5]
	v_div_fmas_f64 v[0:1], v[0:1], v[2:3], v[6:7]
	v_div_fixup_f64 v[2:3], v[0:1], v[108:109], v[110:111]
	v_fmac_f64_e32 v[108:109], v[110:111], v[2:3]
	v_div_scale_f64 v[0:1], s[46:47], v[108:109], v[108:109], 1.0
	v_rcp_f64_e32 v[4:5], v[0:1]
	s_nop 0
	v_fma_f64 v[6:7], -v[0:1], v[4:5], 1.0
	v_fmac_f64_e32 v[4:5], v[4:5], v[6:7]
	v_fma_f64 v[6:7], -v[0:1], v[4:5], 1.0
	v_fmac_f64_e32 v[4:5], v[4:5], v[6:7]
	v_div_scale_f64 v[6:7], vcc, 1.0, v[108:109], 1.0
	v_mul_f64 v[110:111], v[6:7], v[4:5]
	v_fma_f64 v[0:1], -v[0:1], v[110:111], v[6:7]
	s_nop 1
	v_div_fmas_f64 v[0:1], v[0:1], v[4:5], v[110:111]
	v_div_fixup_f64 v[0:1], v[0:1], v[108:109], 1.0
	v_mul_f64 v[2:3], v[2:3], -v[0:1]
.LBB125_357:
	s_or_b64 exec, exec, s[2:3]
	ds_write2_b64 v252, v[0:1], v[2:3] offset1:1
.LBB125_358:
	s_or_b64 exec, exec, s[4:5]
	s_waitcnt lgkmcnt(0)
	s_barrier
	ds_read2_b64 v[108:111], v252 offset1:1
	v_cmp_lt_u32_e32 vcc, 27, v254
	s_and_saveexec_b64 s[2:3], vcc
	s_cbranch_execz .LBB125_361
; %bb.359:
	scratch_load_dwordx4 v[0:3], off, off offset:432
	s_movk_i32 s4, 0xfdd0
	s_waitcnt vmcnt(0) lgkmcnt(0)
	v_mul_f64 v[4:5], v[110:111], v[2:3]
	v_mul_f64 v[114:115], v[108:109], v[2:3]
	v_fma_f64 v[112:113], v[108:109], v[0:1], -v[4:5]
	v_fmac_f64_e32 v[114:115], v[110:111], v[0:1]
	scratch_store_dwordx4 off, v[112:115], off offset:432
.LBB125_360:                            ; =>This Inner Loop Header: Depth=1
	scratch_load_dwordx4 v[112:115], off, off offset:432
	v_add_u32_e32 v0, 0x1c0, v248
	v_add_u32_e32 v116, s4, v0
	ds_read2_b64 v[0:3], v116 offset0:70 offset1:71
	s_add_i32 s46, s4, 0x3f0
	s_add_i32 s5, s4, 0x450
	s_waitcnt vmcnt(0) lgkmcnt(0)
	v_mul_f64 v[4:5], v[2:3], v[114:115]
	v_mul_f64 v[6:7], v[0:1], v[114:115]
	v_fma_f64 v[4:5], v[0:1], v[112:113], -v[4:5]
	v_fmac_f64_e32 v[6:7], v[2:3], v[112:113]
	scratch_load_dwordx4 v[0:3], off, s46
	s_waitcnt vmcnt(0)
	v_add_f64 v[0:1], v[0:1], -v[4:5]
	v_add_f64 v[2:3], v[2:3], -v[6:7]
	scratch_store_dwordx4 off, v[0:3], s46
	scratch_load_dwordx4 v[112:115], off, off offset:432
	ds_read2_b64 v[0:3], v116 offset0:72 offset1:73
	s_add_i32 s46, s4, 0x400
	s_waitcnt vmcnt(0) lgkmcnt(0)
	v_mul_f64 v[4:5], v[2:3], v[114:115]
	v_mul_f64 v[6:7], v[0:1], v[114:115]
	v_fma_f64 v[4:5], v[0:1], v[112:113], -v[4:5]
	v_fmac_f64_e32 v[6:7], v[2:3], v[112:113]
	scratch_load_dwordx4 v[0:3], off, s46
	s_waitcnt vmcnt(0)
	v_add_f64 v[0:1], v[0:1], -v[4:5]
	v_add_f64 v[2:3], v[2:3], -v[6:7]
	scratch_store_dwordx4 off, v[0:3], s46
	scratch_load_dwordx4 v[112:115], off, off offset:432
	ds_read2_b64 v[0:3], v116 offset0:74 offset1:75
	;; [unrolled: 13-line block ×5, first 2 shown]
	s_add_i32 s46, s4, 0x440
	s_addk_i32 s4, 0x70
	s_cmp_lg_u32 s4, 0
	s_waitcnt vmcnt(0) lgkmcnt(0)
	v_mul_f64 v[4:5], v[2:3], v[114:115]
	v_mul_f64 v[6:7], v[0:1], v[114:115]
	v_fma_f64 v[4:5], v[0:1], v[112:113], -v[4:5]
	v_fmac_f64_e32 v[6:7], v[2:3], v[112:113]
	scratch_load_dwordx4 v[0:3], off, s46
	s_waitcnt vmcnt(0)
	v_add_f64 v[0:1], v[0:1], -v[4:5]
	v_add_f64 v[2:3], v[2:3], -v[6:7]
	scratch_store_dwordx4 off, v[0:3], s46
	ds_read2_b64 v[0:3], v116 offset0:82 offset1:83
	scratch_load_dwordx4 v[116:119], off, off offset:432
	s_waitcnt vmcnt(0) lgkmcnt(0)
	v_mul_f64 v[4:5], v[2:3], v[118:119]
	v_mul_f64 v[114:115], v[0:1], v[118:119]
	v_fma_f64 v[112:113], v[0:1], v[116:117], -v[4:5]
	v_fmac_f64_e32 v[114:115], v[2:3], v[116:117]
	scratch_load_dwordx4 v[0:3], off, s5
	s_waitcnt vmcnt(0)
	v_add_f64 v[0:1], v[0:1], -v[112:113]
	v_add_f64 v[2:3], v[2:3], -v[114:115]
	scratch_store_dwordx4 off, v[0:3], s5
	s_cbranch_scc1 .LBB125_360
.LBB125_361:
	s_or_b64 exec, exec, s[2:3]
	v_cmp_eq_u32_e32 vcc, 28, v254
	s_waitcnt lgkmcnt(0)
	s_barrier
	s_and_saveexec_b64 s[4:5], vcc
	s_cbranch_execz .LBB125_368
; %bb.362:
	scratch_load_dwordx4 v[0:3], off, s44
	s_waitcnt vmcnt(0)
	ds_write2_b64 v252, v[0:1], v[2:3] offset1:1
	scratch_load_dwordx4 v[0:3], off, s43
	s_waitcnt vmcnt(0)
	ds_write2_b64 v248, v[0:1], v[2:3] offset0:58 offset1:59
	scratch_load_dwordx4 v[0:3], off, s42
	s_waitcnt vmcnt(0)
	ds_write2_b64 v248, v[0:1], v[2:3] offset0:60 offset1:61
	;; [unrolled: 3-line block ×34, first 2 shown]
	ds_read2_b64 v[112:115], v252 offset1:1
	s_waitcnt lgkmcnt(0)
	v_cmp_neq_f64_e32 vcc, 0, v[112:113]
	v_cmp_neq_f64_e64 s[2:3], 0, v[114:115]
	s_or_b64 s[2:3], vcc, s[2:3]
	s_and_b64 exec, exec, s[2:3]
	s_cbranch_execz .LBB125_368
; %bb.363:
	v_cmp_ngt_f64_e64 s[2:3], |v[112:113]|, |v[114:115]|
                                        ; implicit-def: $vgpr0_vgpr1
	s_and_saveexec_b64 s[46:47], s[2:3]
	s_xor_b64 s[2:3], exec, s[46:47]
                                        ; implicit-def: $vgpr2_vgpr3
	s_cbranch_execz .LBB125_365
; %bb.364:
	v_div_scale_f64 v[0:1], s[46:47], v[114:115], v[114:115], v[112:113]
	v_rcp_f64_e32 v[2:3], v[0:1]
	v_div_scale_f64 v[4:5], vcc, v[112:113], v[114:115], v[112:113]
	v_fma_f64 v[6:7], -v[0:1], v[2:3], 1.0
	v_fmac_f64_e32 v[2:3], v[2:3], v[6:7]
	v_fma_f64 v[6:7], -v[0:1], v[2:3], 1.0
	v_fmac_f64_e32 v[2:3], v[2:3], v[6:7]
	v_mul_f64 v[6:7], v[4:5], v[2:3]
	v_fma_f64 v[0:1], -v[0:1], v[6:7], v[4:5]
	v_div_fmas_f64 v[0:1], v[0:1], v[2:3], v[6:7]
	v_div_fixup_f64 v[0:1], v[0:1], v[114:115], v[112:113]
	v_fmac_f64_e32 v[114:115], v[112:113], v[0:1]
	v_div_scale_f64 v[2:3], s[46:47], v[114:115], v[114:115], 1.0
	v_rcp_f64_e32 v[4:5], v[2:3]
	s_nop 0
	v_fma_f64 v[6:7], -v[2:3], v[4:5], 1.0
	v_fmac_f64_e32 v[4:5], v[4:5], v[6:7]
	v_fma_f64 v[6:7], -v[2:3], v[4:5], 1.0
	v_fmac_f64_e32 v[4:5], v[4:5], v[6:7]
	v_div_scale_f64 v[6:7], vcc, 1.0, v[114:115], 1.0
	v_mul_f64 v[112:113], v[6:7], v[4:5]
	v_fma_f64 v[2:3], -v[2:3], v[112:113], v[6:7]
	s_nop 1
	v_div_fmas_f64 v[2:3], v[2:3], v[4:5], v[112:113]
	v_div_fixup_f64 v[2:3], v[2:3], v[114:115], 1.0
	v_mul_f64 v[0:1], v[0:1], v[2:3]
	v_xor_b32_e32 v3, 0x80000000, v3
                                        ; implicit-def: $vgpr112_vgpr113
.LBB125_365:
	s_andn2_saveexec_b64 s[2:3], s[2:3]
	s_cbranch_execz .LBB125_367
; %bb.366:
	v_div_scale_f64 v[0:1], s[46:47], v[112:113], v[112:113], v[114:115]
	v_rcp_f64_e32 v[2:3], v[0:1]
	v_div_scale_f64 v[4:5], vcc, v[114:115], v[112:113], v[114:115]
	v_fma_f64 v[6:7], -v[0:1], v[2:3], 1.0
	v_fmac_f64_e32 v[2:3], v[2:3], v[6:7]
	v_fma_f64 v[6:7], -v[0:1], v[2:3], 1.0
	v_fmac_f64_e32 v[2:3], v[2:3], v[6:7]
	v_mul_f64 v[6:7], v[4:5], v[2:3]
	v_fma_f64 v[0:1], -v[0:1], v[6:7], v[4:5]
	v_div_fmas_f64 v[0:1], v[0:1], v[2:3], v[6:7]
	v_div_fixup_f64 v[2:3], v[0:1], v[112:113], v[114:115]
	v_fmac_f64_e32 v[112:113], v[114:115], v[2:3]
	v_div_scale_f64 v[0:1], s[46:47], v[112:113], v[112:113], 1.0
	v_rcp_f64_e32 v[4:5], v[0:1]
	s_nop 0
	v_fma_f64 v[6:7], -v[0:1], v[4:5], 1.0
	v_fmac_f64_e32 v[4:5], v[4:5], v[6:7]
	v_fma_f64 v[6:7], -v[0:1], v[4:5], 1.0
	v_fmac_f64_e32 v[4:5], v[4:5], v[6:7]
	v_div_scale_f64 v[6:7], vcc, 1.0, v[112:113], 1.0
	v_mul_f64 v[114:115], v[6:7], v[4:5]
	v_fma_f64 v[0:1], -v[0:1], v[114:115], v[6:7]
	s_nop 1
	v_div_fmas_f64 v[0:1], v[0:1], v[4:5], v[114:115]
	v_div_fixup_f64 v[0:1], v[0:1], v[112:113], 1.0
	v_mul_f64 v[2:3], v[2:3], -v[0:1]
.LBB125_367:
	s_or_b64 exec, exec, s[2:3]
	ds_write2_b64 v252, v[0:1], v[2:3] offset1:1
.LBB125_368:
	s_or_b64 exec, exec, s[4:5]
	s_waitcnt lgkmcnt(0)
	s_barrier
	ds_read2_b64 v[112:115], v252 offset1:1
	v_cmp_lt_u32_e32 vcc, 28, v254
	s_and_saveexec_b64 s[2:3], vcc
	s_cbranch_execz .LBB125_371
; %bb.369:
	scratch_load_dwordx4 v[0:3], off, off offset:448
	s_mov_b32 s4, 0
	s_waitcnt vmcnt(0) lgkmcnt(0)
	v_mul_f64 v[4:5], v[114:115], v[2:3]
	v_mul_f64 v[118:119], v[112:113], v[2:3]
	v_fma_f64 v[116:117], v[112:113], v[0:1], -v[4:5]
	v_fmac_f64_e32 v[118:119], v[114:115], v[0:1]
	scratch_store_dwordx4 off, v[116:119], off offset:448
.LBB125_370:                            ; =>This Inner Loop Header: Depth=1
	s_nop 0
	v_add_u32_e32 v0, 0x1d0, v248
	v_add_u32_e32 v120, s4, v0
	ds_read2_b64 v[0:3], v120 offset1:1
	s_add_i32 s46, s4, 0x1d0
	s_add_i32 s5, s4, 0x1e0
	;; [unrolled: 1-line block ×3, first 2 shown]
	s_cmpk_lg_i32 s4, 0x220
	s_waitcnt lgkmcnt(0)
	v_mul_f64 v[4:5], v[2:3], v[118:119]
	v_mul_f64 v[6:7], v[0:1], v[118:119]
	v_fma_f64 v[4:5], v[0:1], v[116:117], -v[4:5]
	v_fmac_f64_e32 v[6:7], v[2:3], v[116:117]
	scratch_load_dwordx4 v[0:3], off, s46
	s_waitcnt vmcnt(0)
	v_add_f64 v[0:1], v[0:1], -v[4:5]
	v_add_f64 v[2:3], v[2:3], -v[6:7]
	scratch_store_dwordx4 off, v[0:3], s46
	ds_read2_b64 v[0:3], v120 offset0:2 offset1:3
	s_waitcnt lgkmcnt(0)
	v_mul_f64 v[4:5], v[2:3], v[118:119]
	v_mul_f64 v[6:7], v[0:1], v[118:119]
	v_fma_f64 v[4:5], v[0:1], v[116:117], -v[4:5]
	v_fmac_f64_e32 v[6:7], v[2:3], v[116:117]
	scratch_load_dwordx4 v[0:3], off, s5
	s_waitcnt vmcnt(0)
	v_add_f64 v[0:1], v[0:1], -v[4:5]
	v_add_f64 v[2:3], v[2:3], -v[6:7]
	scratch_store_dwordx4 off, v[0:3], s5
	s_cbranch_scc1 .LBB125_370
.LBB125_371:
	s_or_b64 exec, exec, s[2:3]
	v_cmp_eq_u32_e32 vcc, 29, v254
	s_waitcnt lgkmcnt(0)
	s_barrier
	s_and_saveexec_b64 s[4:5], vcc
	s_cbranch_execz .LBB125_378
; %bb.372:
	scratch_load_dwordx4 v[0:3], off, s43
	s_waitcnt vmcnt(0)
	ds_write2_b64 v252, v[0:1], v[2:3] offset1:1
	scratch_load_dwordx4 v[0:3], off, s42
	s_waitcnt vmcnt(0)
	ds_write2_b64 v248, v[0:1], v[2:3] offset0:60 offset1:61
	scratch_load_dwordx4 v[0:3], off, s41
	s_waitcnt vmcnt(0)
	ds_write2_b64 v248, v[0:1], v[2:3] offset0:62 offset1:63
	;; [unrolled: 3-line block ×33, first 2 shown]
	ds_read2_b64 v[116:119], v252 offset1:1
	s_waitcnt lgkmcnt(0)
	v_cmp_neq_f64_e32 vcc, 0, v[116:117]
	v_cmp_neq_f64_e64 s[2:3], 0, v[118:119]
	s_or_b64 s[2:3], vcc, s[2:3]
	s_and_b64 exec, exec, s[2:3]
	s_cbranch_execz .LBB125_378
; %bb.373:
	v_cmp_ngt_f64_e64 s[2:3], |v[116:117]|, |v[118:119]|
                                        ; implicit-def: $vgpr0_vgpr1
	s_and_saveexec_b64 s[46:47], s[2:3]
	s_xor_b64 s[2:3], exec, s[46:47]
                                        ; implicit-def: $vgpr2_vgpr3
	s_cbranch_execz .LBB125_375
; %bb.374:
	v_div_scale_f64 v[0:1], s[46:47], v[118:119], v[118:119], v[116:117]
	v_rcp_f64_e32 v[2:3], v[0:1]
	v_div_scale_f64 v[4:5], vcc, v[116:117], v[118:119], v[116:117]
	v_fma_f64 v[6:7], -v[0:1], v[2:3], 1.0
	v_fmac_f64_e32 v[2:3], v[2:3], v[6:7]
	v_fma_f64 v[6:7], -v[0:1], v[2:3], 1.0
	v_fmac_f64_e32 v[2:3], v[2:3], v[6:7]
	v_mul_f64 v[6:7], v[4:5], v[2:3]
	v_fma_f64 v[0:1], -v[0:1], v[6:7], v[4:5]
	v_div_fmas_f64 v[0:1], v[0:1], v[2:3], v[6:7]
	v_div_fixup_f64 v[0:1], v[0:1], v[118:119], v[116:117]
	v_fmac_f64_e32 v[118:119], v[116:117], v[0:1]
	v_div_scale_f64 v[2:3], s[46:47], v[118:119], v[118:119], 1.0
	v_rcp_f64_e32 v[4:5], v[2:3]
	s_nop 0
	v_fma_f64 v[6:7], -v[2:3], v[4:5], 1.0
	v_fmac_f64_e32 v[4:5], v[4:5], v[6:7]
	v_fma_f64 v[6:7], -v[2:3], v[4:5], 1.0
	v_fmac_f64_e32 v[4:5], v[4:5], v[6:7]
	v_div_scale_f64 v[6:7], vcc, 1.0, v[118:119], 1.0
	v_mul_f64 v[116:117], v[6:7], v[4:5]
	v_fma_f64 v[2:3], -v[2:3], v[116:117], v[6:7]
	s_nop 1
	v_div_fmas_f64 v[2:3], v[2:3], v[4:5], v[116:117]
	v_div_fixup_f64 v[2:3], v[2:3], v[118:119], 1.0
	v_mul_f64 v[0:1], v[0:1], v[2:3]
	v_xor_b32_e32 v3, 0x80000000, v3
                                        ; implicit-def: $vgpr116_vgpr117
.LBB125_375:
	s_andn2_saveexec_b64 s[2:3], s[2:3]
	s_cbranch_execz .LBB125_377
; %bb.376:
	v_div_scale_f64 v[0:1], s[46:47], v[116:117], v[116:117], v[118:119]
	v_rcp_f64_e32 v[2:3], v[0:1]
	v_div_scale_f64 v[4:5], vcc, v[118:119], v[116:117], v[118:119]
	v_fma_f64 v[6:7], -v[0:1], v[2:3], 1.0
	v_fmac_f64_e32 v[2:3], v[2:3], v[6:7]
	v_fma_f64 v[6:7], -v[0:1], v[2:3], 1.0
	v_fmac_f64_e32 v[2:3], v[2:3], v[6:7]
	v_mul_f64 v[6:7], v[4:5], v[2:3]
	v_fma_f64 v[0:1], -v[0:1], v[6:7], v[4:5]
	v_div_fmas_f64 v[0:1], v[0:1], v[2:3], v[6:7]
	v_div_fixup_f64 v[2:3], v[0:1], v[116:117], v[118:119]
	v_fmac_f64_e32 v[116:117], v[118:119], v[2:3]
	v_div_scale_f64 v[0:1], s[46:47], v[116:117], v[116:117], 1.0
	v_rcp_f64_e32 v[4:5], v[0:1]
	s_nop 0
	v_fma_f64 v[6:7], -v[0:1], v[4:5], 1.0
	v_fmac_f64_e32 v[4:5], v[4:5], v[6:7]
	v_fma_f64 v[6:7], -v[0:1], v[4:5], 1.0
	v_fmac_f64_e32 v[4:5], v[4:5], v[6:7]
	v_div_scale_f64 v[6:7], vcc, 1.0, v[116:117], 1.0
	v_mul_f64 v[118:119], v[6:7], v[4:5]
	v_fma_f64 v[0:1], -v[0:1], v[118:119], v[6:7]
	s_nop 1
	v_div_fmas_f64 v[0:1], v[0:1], v[4:5], v[118:119]
	v_div_fixup_f64 v[0:1], v[0:1], v[116:117], 1.0
	v_mul_f64 v[2:3], v[2:3], -v[0:1]
.LBB125_377:
	s_or_b64 exec, exec, s[2:3]
	ds_write2_b64 v252, v[0:1], v[2:3] offset1:1
.LBB125_378:
	s_or_b64 exec, exec, s[4:5]
	s_waitcnt lgkmcnt(0)
	s_barrier
	ds_read2_b64 v[116:119], v252 offset1:1
	v_cmp_lt_u32_e32 vcc, 29, v254
	s_and_saveexec_b64 s[2:3], vcc
	s_cbranch_execz .LBB125_381
; %bb.379:
	scratch_load_dwordx4 v[0:3], off, off offset:464
	s_movk_i32 s4, 0xfdf0
	s_waitcnt vmcnt(0) lgkmcnt(0)
	v_mul_f64 v[4:5], v[118:119], v[2:3]
	v_mul_f64 v[122:123], v[116:117], v[2:3]
	v_fma_f64 v[120:121], v[116:117], v[0:1], -v[4:5]
	v_fmac_f64_e32 v[122:123], v[118:119], v[0:1]
	scratch_store_dwordx4 off, v[120:123], off offset:464
.LBB125_380:                            ; =>This Inner Loop Header: Depth=1
	scratch_load_dwordx4 v[120:123], off, off offset:464
	v_add_u32_e32 v0, 0x1e0, v248
	v_add_u32_e32 v124, s4, v0
	ds_read2_b64 v[0:3], v124 offset0:66 offset1:67
	s_add_i32 s46, s4, 0x3f0
	s_add_i32 s5, s4, 0x410
	s_waitcnt vmcnt(0) lgkmcnt(0)
	v_mul_f64 v[4:5], v[2:3], v[122:123]
	v_mul_f64 v[6:7], v[0:1], v[122:123]
	v_fma_f64 v[4:5], v[0:1], v[120:121], -v[4:5]
	v_fmac_f64_e32 v[6:7], v[2:3], v[120:121]
	scratch_load_dwordx4 v[0:3], off, s46
	s_waitcnt vmcnt(0)
	v_add_f64 v[0:1], v[0:1], -v[4:5]
	v_add_f64 v[2:3], v[2:3], -v[6:7]
	scratch_store_dwordx4 off, v[0:3], s46
	scratch_load_dwordx4 v[120:123], off, off offset:464
	ds_read2_b64 v[0:3], v124 offset0:68 offset1:69
	s_add_i32 s46, s4, 0x400
	s_add_i32 s4, s4, 48
	s_cmp_lg_u32 s4, 0
	s_waitcnt vmcnt(0) lgkmcnt(0)
	v_mul_f64 v[4:5], v[2:3], v[122:123]
	v_mul_f64 v[6:7], v[0:1], v[122:123]
	v_fma_f64 v[4:5], v[0:1], v[120:121], -v[4:5]
	v_fmac_f64_e32 v[6:7], v[2:3], v[120:121]
	scratch_load_dwordx4 v[0:3], off, s46
	s_waitcnt vmcnt(0)
	v_add_f64 v[0:1], v[0:1], -v[4:5]
	v_add_f64 v[2:3], v[2:3], -v[6:7]
	scratch_store_dwordx4 off, v[0:3], s46
	scratch_load_dwordx4 v[120:123], off, off offset:464
	ds_read2_b64 v[0:3], v124 offset0:70 offset1:71
	s_waitcnt vmcnt(0) lgkmcnt(0)
	v_mul_f64 v[4:5], v[2:3], v[122:123]
	v_mul_f64 v[6:7], v[0:1], v[122:123]
	v_fma_f64 v[4:5], v[0:1], v[120:121], -v[4:5]
	v_fmac_f64_e32 v[6:7], v[2:3], v[120:121]
	scratch_load_dwordx4 v[0:3], off, s5
	s_waitcnt vmcnt(0)
	v_add_f64 v[0:1], v[0:1], -v[4:5]
	v_add_f64 v[2:3], v[2:3], -v[6:7]
	scratch_store_dwordx4 off, v[0:3], s5
	s_cbranch_scc1 .LBB125_380
.LBB125_381:
	s_or_b64 exec, exec, s[2:3]
	v_cmp_eq_u32_e32 vcc, 30, v254
	s_waitcnt lgkmcnt(0)
	s_barrier
	s_and_saveexec_b64 s[4:5], vcc
	s_cbranch_execz .LBB125_388
; %bb.382:
	scratch_load_dwordx4 v[0:3], off, s42
	s_waitcnt vmcnt(0)
	ds_write2_b64 v252, v[0:1], v[2:3] offset1:1
	scratch_load_dwordx4 v[0:3], off, s41
	s_waitcnt vmcnt(0)
	ds_write2_b64 v248, v[0:1], v[2:3] offset0:62 offset1:63
	scratch_load_dwordx4 v[0:3], off, s40
	s_waitcnt vmcnt(0)
	ds_write2_b64 v248, v[0:1], v[2:3] offset0:64 offset1:65
	;; [unrolled: 3-line block ×32, first 2 shown]
	ds_read2_b64 v[120:123], v252 offset1:1
	s_waitcnt lgkmcnt(0)
	v_cmp_neq_f64_e32 vcc, 0, v[120:121]
	v_cmp_neq_f64_e64 s[2:3], 0, v[122:123]
	s_or_b64 s[2:3], vcc, s[2:3]
	s_and_b64 exec, exec, s[2:3]
	s_cbranch_execz .LBB125_388
; %bb.383:
	v_cmp_ngt_f64_e64 s[2:3], |v[120:121]|, |v[122:123]|
                                        ; implicit-def: $vgpr0_vgpr1
	s_and_saveexec_b64 s[46:47], s[2:3]
	s_xor_b64 s[2:3], exec, s[46:47]
                                        ; implicit-def: $vgpr2_vgpr3
	s_cbranch_execz .LBB125_385
; %bb.384:
	v_div_scale_f64 v[0:1], s[46:47], v[122:123], v[122:123], v[120:121]
	v_rcp_f64_e32 v[2:3], v[0:1]
	v_div_scale_f64 v[4:5], vcc, v[120:121], v[122:123], v[120:121]
	v_fma_f64 v[6:7], -v[0:1], v[2:3], 1.0
	v_fmac_f64_e32 v[2:3], v[2:3], v[6:7]
	v_fma_f64 v[6:7], -v[0:1], v[2:3], 1.0
	v_fmac_f64_e32 v[2:3], v[2:3], v[6:7]
	v_mul_f64 v[6:7], v[4:5], v[2:3]
	v_fma_f64 v[0:1], -v[0:1], v[6:7], v[4:5]
	v_div_fmas_f64 v[0:1], v[0:1], v[2:3], v[6:7]
	v_div_fixup_f64 v[0:1], v[0:1], v[122:123], v[120:121]
	v_fmac_f64_e32 v[122:123], v[120:121], v[0:1]
	v_div_scale_f64 v[2:3], s[46:47], v[122:123], v[122:123], 1.0
	v_rcp_f64_e32 v[4:5], v[2:3]
	s_nop 0
	v_fma_f64 v[6:7], -v[2:3], v[4:5], 1.0
	v_fmac_f64_e32 v[4:5], v[4:5], v[6:7]
	v_fma_f64 v[6:7], -v[2:3], v[4:5], 1.0
	v_fmac_f64_e32 v[4:5], v[4:5], v[6:7]
	v_div_scale_f64 v[6:7], vcc, 1.0, v[122:123], 1.0
	v_mul_f64 v[120:121], v[6:7], v[4:5]
	v_fma_f64 v[2:3], -v[2:3], v[120:121], v[6:7]
	s_nop 1
	v_div_fmas_f64 v[2:3], v[2:3], v[4:5], v[120:121]
	v_div_fixup_f64 v[2:3], v[2:3], v[122:123], 1.0
	v_mul_f64 v[0:1], v[0:1], v[2:3]
	v_xor_b32_e32 v3, 0x80000000, v3
                                        ; implicit-def: $vgpr120_vgpr121
.LBB125_385:
	s_andn2_saveexec_b64 s[2:3], s[2:3]
	s_cbranch_execz .LBB125_387
; %bb.386:
	v_div_scale_f64 v[0:1], s[46:47], v[120:121], v[120:121], v[122:123]
	v_rcp_f64_e32 v[2:3], v[0:1]
	v_div_scale_f64 v[4:5], vcc, v[122:123], v[120:121], v[122:123]
	v_fma_f64 v[6:7], -v[0:1], v[2:3], 1.0
	v_fmac_f64_e32 v[2:3], v[2:3], v[6:7]
	v_fma_f64 v[6:7], -v[0:1], v[2:3], 1.0
	v_fmac_f64_e32 v[2:3], v[2:3], v[6:7]
	v_mul_f64 v[6:7], v[4:5], v[2:3]
	v_fma_f64 v[0:1], -v[0:1], v[6:7], v[4:5]
	v_div_fmas_f64 v[0:1], v[0:1], v[2:3], v[6:7]
	v_div_fixup_f64 v[2:3], v[0:1], v[120:121], v[122:123]
	v_fmac_f64_e32 v[120:121], v[122:123], v[2:3]
	v_div_scale_f64 v[0:1], s[46:47], v[120:121], v[120:121], 1.0
	v_rcp_f64_e32 v[4:5], v[0:1]
	s_nop 0
	v_fma_f64 v[6:7], -v[0:1], v[4:5], 1.0
	v_fmac_f64_e32 v[4:5], v[4:5], v[6:7]
	v_fma_f64 v[6:7], -v[0:1], v[4:5], 1.0
	v_fmac_f64_e32 v[4:5], v[4:5], v[6:7]
	v_div_scale_f64 v[6:7], vcc, 1.0, v[120:121], 1.0
	v_mul_f64 v[122:123], v[6:7], v[4:5]
	v_fma_f64 v[0:1], -v[0:1], v[122:123], v[6:7]
	s_nop 1
	v_div_fmas_f64 v[0:1], v[0:1], v[4:5], v[122:123]
	v_div_fixup_f64 v[0:1], v[0:1], v[120:121], 1.0
	v_mul_f64 v[2:3], v[2:3], -v[0:1]
.LBB125_387:
	s_or_b64 exec, exec, s[2:3]
	ds_write2_b64 v252, v[0:1], v[2:3] offset1:1
.LBB125_388:
	s_or_b64 exec, exec, s[4:5]
	s_waitcnt lgkmcnt(0)
	s_barrier
	ds_read2_b64 v[120:123], v252 offset1:1
	v_cmp_lt_u32_e32 vcc, 30, v254
	s_and_saveexec_b64 s[2:3], vcc
	s_cbranch_execz .LBB125_390
; %bb.389:
	scratch_load_dwordx4 v[0:3], off, off offset:480
	s_waitcnt vmcnt(0) lgkmcnt(0)
	v_mul_f64 v[4:5], v[122:123], v[2:3]
	v_mul_f64 v[126:127], v[120:121], v[2:3]
	v_fma_f64 v[124:125], v[120:121], v[0:1], -v[4:5]
	v_fmac_f64_e32 v[126:127], v[122:123], v[0:1]
	ds_read2_b64 v[0:3], v248 offset0:62 offset1:63
	scratch_store_dwordx4 off, v[124:127], off offset:480
	s_waitcnt lgkmcnt(0)
	v_mul_f64 v[4:5], v[2:3], v[126:127]
	v_mul_f64 v[6:7], v[0:1], v[126:127]
	v_fma_f64 v[4:5], v[0:1], v[124:125], -v[4:5]
	v_fmac_f64_e32 v[6:7], v[2:3], v[124:125]
	scratch_load_dwordx4 v[0:3], off, off offset:496
	s_waitcnt vmcnt(0)
	v_add_f64 v[0:1], v[0:1], -v[4:5]
	v_add_f64 v[2:3], v[2:3], -v[6:7]
	scratch_store_dwordx4 off, v[0:3], off offset:496
	ds_read2_b64 v[0:3], v248 offset0:64 offset1:65
	s_waitcnt lgkmcnt(0)
	v_mul_f64 v[4:5], v[2:3], v[126:127]
	v_mul_f64 v[6:7], v[0:1], v[126:127]
	v_fma_f64 v[4:5], v[0:1], v[124:125], -v[4:5]
	v_fmac_f64_e32 v[6:7], v[2:3], v[124:125]
	scratch_load_dwordx4 v[0:3], off, off offset:512
	s_waitcnt vmcnt(0)
	v_add_f64 v[0:1], v[0:1], -v[4:5]
	v_add_f64 v[2:3], v[2:3], -v[6:7]
	scratch_store_dwordx4 off, v[0:3], off offset:512
	ds_read2_b64 v[0:3], v248 offset0:66 offset1:67
	;; [unrolled: 11-line block ×6, first 2 shown]
	scratch_load_dwordx2 v[4:5], off, off offset:480
	scratch_load_dwordx4 v[124:127], off, off offset:480
	s_waitcnt vmcnt(0) lgkmcnt(0)
	v_mul_f64 v[6:7], v[2:3], v[126:127]
	v_mul_f64 v[128:129], v[0:1], v[126:127]
	v_fma_f64 v[6:7], v[0:1], v[4:5], -v[6:7]
	v_fmac_f64_e32 v[128:129], v[2:3], v[4:5]
	scratch_load_dwordx4 v[0:3], off, off offset:592
	s_waitcnt vmcnt(0)
	v_add_f64 v[0:1], v[0:1], -v[6:7]
	v_add_f64 v[2:3], v[2:3], -v[128:129]
	scratch_store_dwordx4 off, v[0:3], off offset:592
	ds_read2_b64 v[0:3], v248 offset0:76 offset1:77
	s_waitcnt lgkmcnt(0)
	v_mul_f64 v[6:7], v[2:3], v[126:127]
	v_mul_f64 v[128:129], v[0:1], v[126:127]
	v_fma_f64 v[6:7], v[0:1], v[4:5], -v[6:7]
	v_fmac_f64_e32 v[128:129], v[2:3], v[4:5]
	scratch_load_dwordx4 v[0:3], off, off offset:608
	s_waitcnt vmcnt(0)
	v_add_f64 v[0:1], v[0:1], -v[6:7]
	v_add_f64 v[2:3], v[2:3], -v[128:129]
	scratch_store_dwordx4 off, v[0:3], off offset:608
	ds_read2_b64 v[0:3], v248 offset0:78 offset1:79
	s_waitcnt lgkmcnt(0)
	v_mul_f64 v[6:7], v[2:3], v[126:127]
	v_mul_f64 v[128:129], v[0:1], v[126:127]
	v_fma_f64 v[6:7], v[0:1], v[4:5], -v[6:7]
	v_fmac_f64_e32 v[128:129], v[2:3], v[4:5]
	scratch_load_dwordx4 v[0:3], off, off offset:624
	s_waitcnt vmcnt(0)
	v_add_f64 v[0:1], v[0:1], -v[6:7]
	v_add_f64 v[2:3], v[2:3], -v[128:129]
	scratch_store_dwordx4 off, v[0:3], off offset:624
	ds_read2_b64 v[0:3], v248 offset0:80 offset1:81
	s_waitcnt lgkmcnt(0)
	v_mul_f64 v[6:7], v[2:3], v[126:127]
	v_mul_f64 v[128:129], v[0:1], v[126:127]
	v_fma_f64 v[6:7], v[0:1], v[4:5], -v[6:7]
	v_fmac_f64_e32 v[128:129], v[2:3], v[4:5]
	scratch_load_dwordx4 v[0:3], off, off offset:640
	s_waitcnt vmcnt(0)
	v_add_f64 v[0:1], v[0:1], -v[6:7]
	v_add_f64 v[2:3], v[2:3], -v[128:129]
	scratch_store_dwordx4 off, v[0:3], off offset:640
	ds_read2_b64 v[0:3], v248 offset0:82 offset1:83
	s_waitcnt lgkmcnt(0)
	v_mul_f64 v[6:7], v[2:3], v[126:127]
	v_mul_f64 v[128:129], v[0:1], v[126:127]
	v_fma_f64 v[6:7], v[0:1], v[4:5], -v[6:7]
	v_fmac_f64_e32 v[128:129], v[2:3], v[4:5]
	scratch_load_dwordx4 v[0:3], off, off offset:656
	s_waitcnt vmcnt(0)
	v_add_f64 v[0:1], v[0:1], -v[6:7]
	v_add_f64 v[2:3], v[2:3], -v[128:129]
	scratch_store_dwordx4 off, v[0:3], off offset:656
	ds_read2_b64 v[0:3], v248 offset0:84 offset1:85
	s_waitcnt lgkmcnt(0)
	v_mul_f64 v[6:7], v[2:3], v[126:127]
	v_mul_f64 v[126:127], v[0:1], v[126:127]
	v_fma_f64 v[6:7], v[0:1], v[4:5], -v[6:7]
	v_fmac_f64_e32 v[126:127], v[2:3], v[4:5]
	scratch_load_dwordx4 v[0:3], off, off offset:672
	s_waitcnt vmcnt(0)
	v_add_f64 v[0:1], v[0:1], -v[6:7]
	v_add_f64 v[2:3], v[2:3], -v[126:127]
	scratch_store_dwordx4 off, v[0:3], off offset:672
	ds_read2_b64 v[0:3], v248 offset0:86 offset1:87
	scratch_load_dwordx2 v[126:127], off, off offset:480
	scratch_load_dwordx2 v[4:5], off, off offset:488
	s_waitcnt vmcnt(0) lgkmcnt(0)
	v_mul_f64 v[6:7], v[2:3], v[4:5]
	v_mul_f64 v[128:129], v[0:1], v[4:5]
	v_fma_f64 v[6:7], v[0:1], v[126:127], -v[6:7]
	v_fmac_f64_e32 v[128:129], v[2:3], v[126:127]
	scratch_load_dwordx4 v[0:3], off, off offset:688
	s_waitcnt vmcnt(0)
	v_add_f64 v[0:1], v[0:1], -v[6:7]
	v_add_f64 v[2:3], v[2:3], -v[128:129]
	scratch_store_dwordx4 off, v[0:3], off offset:688
	ds_read2_b64 v[0:3], v248 offset0:88 offset1:89
	s_waitcnt lgkmcnt(0)
	v_mul_f64 v[6:7], v[2:3], v[4:5]
	v_mul_f64 v[128:129], v[0:1], v[4:5]
	v_fma_f64 v[6:7], v[0:1], v[126:127], -v[6:7]
	v_fmac_f64_e32 v[128:129], v[2:3], v[126:127]
	scratch_load_dwordx4 v[0:3], off, off offset:704
	s_waitcnt vmcnt(0)
	v_add_f64 v[0:1], v[0:1], -v[6:7]
	v_add_f64 v[2:3], v[2:3], -v[128:129]
	scratch_store_dwordx4 off, v[0:3], off offset:704
	ds_read2_b64 v[0:3], v248 offset0:90 offset1:91
	s_waitcnt lgkmcnt(0)
	;; [unrolled: 11-line block ×5, first 2 shown]
	v_mul_f64 v[6:7], v[2:3], v[4:5]
	v_mul_f64 v[4:5], v[0:1], v[4:5]
	v_fma_f64 v[6:7], v[0:1], v[126:127], -v[6:7]
	v_fmac_f64_e32 v[4:5], v[2:3], v[126:127]
	scratch_load_dwordx4 v[0:3], off, off offset:768
	s_waitcnt vmcnt(0)
	v_add_f64 v[0:1], v[0:1], -v[6:7]
	v_add_f64 v[2:3], v[2:3], -v[4:5]
	scratch_store_dwordx4 off, v[0:3], off offset:768
	ds_read2_b64 v[0:3], v248 offset0:98 offset1:99
	scratch_load_dwordx2 v[4:5], off, off offset:480
	scratch_load_dwordx2 v[6:7], off, off offset:488
	s_waitcnt vmcnt(0) lgkmcnt(0)
	v_mul_f64 v[126:127], v[2:3], v[6:7]
	v_mul_f64 v[128:129], v[0:1], v[6:7]
	v_fma_f64 v[126:127], v[0:1], v[4:5], -v[126:127]
	v_fmac_f64_e32 v[128:129], v[2:3], v[4:5]
	scratch_load_dwordx4 v[0:3], off, off offset:784
	s_waitcnt vmcnt(0)
	v_add_f64 v[0:1], v[0:1], -v[126:127]
	v_add_f64 v[2:3], v[2:3], -v[128:129]
	scratch_store_dwordx4 off, v[0:3], off offset:784
	ds_read2_b64 v[0:3], v248 offset0:100 offset1:101
	s_waitcnt lgkmcnt(0)
	v_mul_f64 v[126:127], v[2:3], v[6:7]
	v_mul_f64 v[128:129], v[0:1], v[6:7]
	v_fma_f64 v[126:127], v[0:1], v[4:5], -v[126:127]
	v_fmac_f64_e32 v[128:129], v[2:3], v[4:5]
	scratch_load_dwordx4 v[0:3], off, off offset:800
	s_waitcnt vmcnt(0)
	v_add_f64 v[0:1], v[0:1], -v[126:127]
	v_add_f64 v[2:3], v[2:3], -v[128:129]
	scratch_store_dwordx4 off, v[0:3], off offset:800
	ds_read2_b64 v[0:3], v248 offset0:102 offset1:103
	s_waitcnt lgkmcnt(0)
	;; [unrolled: 11-line block ×5, first 2 shown]
	v_mul_f64 v[126:127], v[2:3], v[6:7]
	v_mul_f64 v[6:7], v[0:1], v[6:7]
	v_fma_f64 v[126:127], v[0:1], v[4:5], -v[126:127]
	v_fmac_f64_e32 v[6:7], v[2:3], v[4:5]
	scratch_load_dwordx4 v[0:3], off, off offset:864
	s_waitcnt vmcnt(0)
	v_add_f64 v[0:1], v[0:1], -v[126:127]
	v_add_f64 v[2:3], v[2:3], -v[6:7]
	scratch_store_dwordx4 off, v[0:3], off offset:864
	ds_read2_b64 v[0:3], v248 offset0:110 offset1:111
	scratch_load_dwordx2 v[126:127], off, off offset:480
	scratch_load_dwordx2 v[128:129], off, off offset:488
	s_waitcnt vmcnt(0) lgkmcnt(0)
	v_mul_f64 v[4:5], v[2:3], v[128:129]
	v_mul_f64 v[6:7], v[0:1], v[128:129]
	v_fma_f64 v[4:5], v[0:1], v[126:127], -v[4:5]
	v_fmac_f64_e32 v[6:7], v[2:3], v[126:127]
	scratch_load_dwordx4 v[0:3], off, off offset:880
	s_waitcnt vmcnt(0)
	v_add_f64 v[0:1], v[0:1], -v[4:5]
	v_add_f64 v[2:3], v[2:3], -v[6:7]
	scratch_store_dwordx4 off, v[0:3], off offset:880
	ds_read2_b64 v[0:3], v248 offset0:112 offset1:113
	s_waitcnt lgkmcnt(0)
	v_mul_f64 v[4:5], v[2:3], v[128:129]
	v_mul_f64 v[132:133], v[0:1], v[128:129]
	v_fma_f64 v[130:131], v[0:1], v[126:127], -v[4:5]
	v_fmac_f64_e32 v[132:133], v[2:3], v[126:127]
	scratch_load_dwordx4 v[0:3], off, off offset:896
	s_waitcnt vmcnt(0)
	v_add_f64 v[0:1], v[0:1], -v[130:131]
	v_add_f64 v[2:3], v[2:3], -v[132:133]
	scratch_store_dwordx4 off, v[0:3], off offset:896
	ds_read2_b64 v[0:3], v248 offset0:114 offset1:115
	s_waitcnt lgkmcnt(0)
	;; [unrolled: 11-line block ×5, first 2 shown]
	v_mul_f64 v[4:5], v[2:3], v[128:129]
	v_mul_f64 v[6:7], v[0:1], v[128:129]
	v_fma_f64 v[4:5], v[0:1], v[126:127], -v[4:5]
	v_fmac_f64_e32 v[6:7], v[2:3], v[126:127]
	scratch_load_dwordx4 v[0:3], off, off offset:960
	s_waitcnt vmcnt(0)
	v_add_f64 v[0:1], v[0:1], -v[4:5]
	scratch_load_dwordx2 v[4:5], off, off offset:488
	v_add_f64 v[2:3], v[2:3], -v[6:7]
	scratch_store_dwordx4 off, v[0:3], off offset:960
	ds_read2_b64 v[0:3], v248 offset0:122 offset1:123
	s_waitcnt vmcnt(1) lgkmcnt(0)
	v_mul_f64 v[6:7], v[2:3], v[4:5]
	v_mul_f64 v[126:127], v[0:1], v[4:5]
	v_fma_f64 v[6:7], v[0:1], v[124:125], -v[6:7]
	v_fmac_f64_e32 v[126:127], v[2:3], v[124:125]
	scratch_load_dwordx4 v[0:3], off, off offset:976
	s_waitcnt vmcnt(0)
	v_add_f64 v[0:1], v[0:1], -v[6:7]
	v_add_f64 v[2:3], v[2:3], -v[126:127]
	scratch_store_dwordx4 off, v[0:3], off offset:976
	ds_read2_b64 v[0:3], v248 offset0:124 offset1:125
	s_waitcnt lgkmcnt(0)
	v_mul_f64 v[6:7], v[2:3], v[4:5]
	v_mul_f64 v[128:129], v[0:1], v[4:5]
	v_fma_f64 v[126:127], v[0:1], v[124:125], -v[6:7]
	v_fmac_f64_e32 v[128:129], v[2:3], v[124:125]
	scratch_load_dwordx4 v[0:3], off, off offset:992
	s_waitcnt vmcnt(0)
	v_add_f64 v[0:1], v[0:1], -v[126:127]
	v_add_f64 v[2:3], v[2:3], -v[128:129]
	scratch_store_dwordx4 off, v[0:3], off offset:992
.LBB125_390:
	s_or_b64 exec, exec, s[2:3]
	v_cmp_eq_u32_e32 vcc, 31, v254
	s_waitcnt lgkmcnt(0)
	s_barrier
	s_and_saveexec_b64 s[4:5], vcc
	s_cbranch_execz .LBB125_397
; %bb.391:
	scratch_load_dwordx4 v[0:3], off, s41
	s_waitcnt vmcnt(0)
	ds_write2_b64 v252, v[0:1], v[2:3] offset1:1
	scratch_load_dwordx4 v[0:3], off, s40
	s_waitcnt vmcnt(0)
	ds_write2_b64 v248, v[0:1], v[2:3] offset0:64 offset1:65
	scratch_load_dwordx4 v[0:3], off, s39
	s_waitcnt vmcnt(0)
	ds_write2_b64 v248, v[0:1], v[2:3] offset0:66 offset1:67
	;; [unrolled: 3-line block ×31, first 2 shown]
	ds_read2_b64 v[124:127], v252 offset1:1
	s_waitcnt lgkmcnt(0)
	v_cmp_neq_f64_e32 vcc, 0, v[124:125]
	v_cmp_neq_f64_e64 s[2:3], 0, v[126:127]
	s_or_b64 s[2:3], vcc, s[2:3]
	s_and_b64 exec, exec, s[2:3]
	s_cbranch_execz .LBB125_397
; %bb.392:
	v_cmp_ngt_f64_e64 s[2:3], |v[124:125]|, |v[126:127]|
                                        ; implicit-def: $vgpr0_vgpr1
	s_and_saveexec_b64 s[46:47], s[2:3]
	s_xor_b64 s[2:3], exec, s[46:47]
                                        ; implicit-def: $vgpr2_vgpr3
	s_cbranch_execz .LBB125_394
; %bb.393:
	v_div_scale_f64 v[0:1], s[46:47], v[126:127], v[126:127], v[124:125]
	v_rcp_f64_e32 v[2:3], v[0:1]
	v_div_scale_f64 v[4:5], vcc, v[124:125], v[126:127], v[124:125]
	v_fma_f64 v[6:7], -v[0:1], v[2:3], 1.0
	v_fmac_f64_e32 v[2:3], v[2:3], v[6:7]
	v_fma_f64 v[6:7], -v[0:1], v[2:3], 1.0
	v_fmac_f64_e32 v[2:3], v[2:3], v[6:7]
	v_mul_f64 v[6:7], v[4:5], v[2:3]
	v_fma_f64 v[0:1], -v[0:1], v[6:7], v[4:5]
	v_div_fmas_f64 v[0:1], v[0:1], v[2:3], v[6:7]
	v_div_fixup_f64 v[0:1], v[0:1], v[126:127], v[124:125]
	v_fmac_f64_e32 v[126:127], v[124:125], v[0:1]
	v_div_scale_f64 v[2:3], s[46:47], v[126:127], v[126:127], 1.0
	v_rcp_f64_e32 v[4:5], v[2:3]
	s_nop 0
	v_fma_f64 v[6:7], -v[2:3], v[4:5], 1.0
	v_fmac_f64_e32 v[4:5], v[4:5], v[6:7]
	v_fma_f64 v[6:7], -v[2:3], v[4:5], 1.0
	v_fmac_f64_e32 v[4:5], v[4:5], v[6:7]
	v_div_scale_f64 v[6:7], vcc, 1.0, v[126:127], 1.0
	v_mul_f64 v[124:125], v[6:7], v[4:5]
	v_fma_f64 v[2:3], -v[2:3], v[124:125], v[6:7]
	s_nop 1
	v_div_fmas_f64 v[2:3], v[2:3], v[4:5], v[124:125]
	v_div_fixup_f64 v[2:3], v[2:3], v[126:127], 1.0
	v_mul_f64 v[0:1], v[0:1], v[2:3]
	v_xor_b32_e32 v3, 0x80000000, v3
                                        ; implicit-def: $vgpr124_vgpr125
.LBB125_394:
	s_andn2_saveexec_b64 s[2:3], s[2:3]
	s_cbranch_execz .LBB125_396
; %bb.395:
	v_div_scale_f64 v[0:1], s[46:47], v[124:125], v[124:125], v[126:127]
	v_rcp_f64_e32 v[2:3], v[0:1]
	v_div_scale_f64 v[4:5], vcc, v[126:127], v[124:125], v[126:127]
	v_fma_f64 v[6:7], -v[0:1], v[2:3], 1.0
	v_fmac_f64_e32 v[2:3], v[2:3], v[6:7]
	v_fma_f64 v[6:7], -v[0:1], v[2:3], 1.0
	v_fmac_f64_e32 v[2:3], v[2:3], v[6:7]
	v_mul_f64 v[6:7], v[4:5], v[2:3]
	v_fma_f64 v[0:1], -v[0:1], v[6:7], v[4:5]
	v_div_fmas_f64 v[0:1], v[0:1], v[2:3], v[6:7]
	v_div_fixup_f64 v[2:3], v[0:1], v[124:125], v[126:127]
	v_fmac_f64_e32 v[124:125], v[126:127], v[2:3]
	v_div_scale_f64 v[0:1], s[46:47], v[124:125], v[124:125], 1.0
	v_rcp_f64_e32 v[4:5], v[0:1]
	s_nop 0
	v_fma_f64 v[6:7], -v[0:1], v[4:5], 1.0
	v_fmac_f64_e32 v[4:5], v[4:5], v[6:7]
	v_fma_f64 v[6:7], -v[0:1], v[4:5], 1.0
	v_fmac_f64_e32 v[4:5], v[4:5], v[6:7]
	v_div_scale_f64 v[6:7], vcc, 1.0, v[124:125], 1.0
	v_mul_f64 v[126:127], v[6:7], v[4:5]
	v_fma_f64 v[0:1], -v[0:1], v[126:127], v[6:7]
	s_nop 1
	v_div_fmas_f64 v[0:1], v[0:1], v[4:5], v[126:127]
	v_div_fixup_f64 v[0:1], v[0:1], v[124:125], 1.0
	v_mul_f64 v[2:3], v[2:3], -v[0:1]
.LBB125_396:
	s_or_b64 exec, exec, s[2:3]
	ds_write2_b64 v252, v[0:1], v[2:3] offset1:1
.LBB125_397:
	s_or_b64 exec, exec, s[4:5]
	s_waitcnt lgkmcnt(0)
	s_barrier
	ds_read2_b64 v[124:127], v252 offset1:1
	v_cmp_lt_u32_e32 vcc, 31, v254
	s_and_saveexec_b64 s[2:3], vcc
	s_cbranch_execz .LBB125_399
; %bb.398:
	scratch_load_dwordx4 v[0:3], off, off offset:496
	s_waitcnt vmcnt(0) lgkmcnt(0)
	v_mul_f64 v[4:5], v[126:127], v[2:3]
	v_mul_f64 v[130:131], v[124:125], v[2:3]
	v_fma_f64 v[128:129], v[124:125], v[0:1], -v[4:5]
	v_fmac_f64_e32 v[130:131], v[126:127], v[0:1]
	ds_read2_b64 v[0:3], v248 offset0:64 offset1:65
	scratch_store_dwordx4 off, v[128:131], off offset:496
	s_waitcnt lgkmcnt(0)
	v_mul_f64 v[4:5], v[2:3], v[130:131]
	v_mul_f64 v[6:7], v[0:1], v[130:131]
	v_fma_f64 v[4:5], v[0:1], v[128:129], -v[4:5]
	v_fmac_f64_e32 v[6:7], v[2:3], v[128:129]
	scratch_load_dwordx4 v[0:3], off, off offset:512
	s_waitcnt vmcnt(0)
	v_add_f64 v[0:1], v[0:1], -v[4:5]
	v_add_f64 v[2:3], v[2:3], -v[6:7]
	scratch_store_dwordx4 off, v[0:3], off offset:512
	ds_read2_b64 v[0:3], v248 offset0:66 offset1:67
	s_waitcnt lgkmcnt(0)
	v_mul_f64 v[4:5], v[2:3], v[130:131]
	v_mul_f64 v[6:7], v[0:1], v[130:131]
	v_fma_f64 v[4:5], v[0:1], v[128:129], -v[4:5]
	v_fmac_f64_e32 v[6:7], v[2:3], v[128:129]
	scratch_load_dwordx4 v[0:3], off, off offset:528
	s_waitcnt vmcnt(0)
	v_add_f64 v[0:1], v[0:1], -v[4:5]
	v_add_f64 v[2:3], v[2:3], -v[6:7]
	scratch_store_dwordx4 off, v[0:3], off offset:528
	ds_read2_b64 v[0:3], v248 offset0:68 offset1:69
	;; [unrolled: 11-line block ×6, first 2 shown]
	scratch_load_dwordx2 v[4:5], off, off offset:496
	scratch_load_dwordx4 v[128:131], off, off offset:496
	s_waitcnt vmcnt(0) lgkmcnt(0)
	v_mul_f64 v[6:7], v[2:3], v[130:131]
	v_mul_f64 v[132:133], v[0:1], v[130:131]
	v_fma_f64 v[6:7], v[0:1], v[4:5], -v[6:7]
	v_fmac_f64_e32 v[132:133], v[2:3], v[4:5]
	scratch_load_dwordx4 v[0:3], off, off offset:608
	s_waitcnt vmcnt(0)
	v_add_f64 v[0:1], v[0:1], -v[6:7]
	v_add_f64 v[2:3], v[2:3], -v[132:133]
	scratch_store_dwordx4 off, v[0:3], off offset:608
	ds_read2_b64 v[0:3], v248 offset0:78 offset1:79
	s_waitcnt lgkmcnt(0)
	v_mul_f64 v[6:7], v[2:3], v[130:131]
	v_mul_f64 v[132:133], v[0:1], v[130:131]
	v_fma_f64 v[6:7], v[0:1], v[4:5], -v[6:7]
	v_fmac_f64_e32 v[132:133], v[2:3], v[4:5]
	scratch_load_dwordx4 v[0:3], off, off offset:624
	s_waitcnt vmcnt(0)
	v_add_f64 v[0:1], v[0:1], -v[6:7]
	v_add_f64 v[2:3], v[2:3], -v[132:133]
	scratch_store_dwordx4 off, v[0:3], off offset:624
	ds_read2_b64 v[0:3], v248 offset0:80 offset1:81
	s_waitcnt lgkmcnt(0)
	;; [unrolled: 11-line block ×5, first 2 shown]
	v_mul_f64 v[6:7], v[2:3], v[130:131]
	v_mul_f64 v[130:131], v[0:1], v[130:131]
	v_fma_f64 v[6:7], v[0:1], v[4:5], -v[6:7]
	v_fmac_f64_e32 v[130:131], v[2:3], v[4:5]
	scratch_load_dwordx4 v[0:3], off, off offset:688
	s_waitcnt vmcnt(0)
	v_add_f64 v[0:1], v[0:1], -v[6:7]
	v_add_f64 v[2:3], v[2:3], -v[130:131]
	scratch_store_dwordx4 off, v[0:3], off offset:688
	ds_read2_b64 v[0:3], v248 offset0:88 offset1:89
	scratch_load_dwordx2 v[130:131], off, off offset:496
	scratch_load_dwordx2 v[4:5], off, off offset:504
	s_waitcnt vmcnt(0) lgkmcnt(0)
	v_mul_f64 v[6:7], v[2:3], v[4:5]
	v_mul_f64 v[132:133], v[0:1], v[4:5]
	v_fma_f64 v[6:7], v[0:1], v[130:131], -v[6:7]
	v_fmac_f64_e32 v[132:133], v[2:3], v[130:131]
	scratch_load_dwordx4 v[0:3], off, off offset:704
	s_waitcnt vmcnt(0)
	v_add_f64 v[0:1], v[0:1], -v[6:7]
	v_add_f64 v[2:3], v[2:3], -v[132:133]
	scratch_store_dwordx4 off, v[0:3], off offset:704
	ds_read2_b64 v[0:3], v248 offset0:90 offset1:91
	s_waitcnt lgkmcnt(0)
	v_mul_f64 v[6:7], v[2:3], v[4:5]
	v_mul_f64 v[132:133], v[0:1], v[4:5]
	v_fma_f64 v[6:7], v[0:1], v[130:131], -v[6:7]
	v_fmac_f64_e32 v[132:133], v[2:3], v[130:131]
	scratch_load_dwordx4 v[0:3], off, off offset:720
	s_waitcnt vmcnt(0)
	v_add_f64 v[0:1], v[0:1], -v[6:7]
	v_add_f64 v[2:3], v[2:3], -v[132:133]
	scratch_store_dwordx4 off, v[0:3], off offset:720
	ds_read2_b64 v[0:3], v248 offset0:92 offset1:93
	s_waitcnt lgkmcnt(0)
	;; [unrolled: 11-line block ×5, first 2 shown]
	v_mul_f64 v[6:7], v[2:3], v[4:5]
	v_mul_f64 v[4:5], v[0:1], v[4:5]
	v_fma_f64 v[6:7], v[0:1], v[130:131], -v[6:7]
	v_fmac_f64_e32 v[4:5], v[2:3], v[130:131]
	scratch_load_dwordx4 v[0:3], off, off offset:784
	s_waitcnt vmcnt(0)
	v_add_f64 v[0:1], v[0:1], -v[6:7]
	v_add_f64 v[2:3], v[2:3], -v[4:5]
	scratch_store_dwordx4 off, v[0:3], off offset:784
	ds_read2_b64 v[0:3], v248 offset0:100 offset1:101
	scratch_load_dwordx2 v[4:5], off, off offset:496
	scratch_load_dwordx2 v[6:7], off, off offset:504
	s_waitcnt vmcnt(0) lgkmcnt(0)
	v_mul_f64 v[130:131], v[2:3], v[6:7]
	v_mul_f64 v[132:133], v[0:1], v[6:7]
	v_fma_f64 v[130:131], v[0:1], v[4:5], -v[130:131]
	v_fmac_f64_e32 v[132:133], v[2:3], v[4:5]
	scratch_load_dwordx4 v[0:3], off, off offset:800
	s_waitcnt vmcnt(0)
	v_add_f64 v[0:1], v[0:1], -v[130:131]
	v_add_f64 v[2:3], v[2:3], -v[132:133]
	scratch_store_dwordx4 off, v[0:3], off offset:800
	ds_read2_b64 v[0:3], v248 offset0:102 offset1:103
	s_waitcnt lgkmcnt(0)
	v_mul_f64 v[130:131], v[2:3], v[6:7]
	v_mul_f64 v[132:133], v[0:1], v[6:7]
	v_fma_f64 v[130:131], v[0:1], v[4:5], -v[130:131]
	v_fmac_f64_e32 v[132:133], v[2:3], v[4:5]
	scratch_load_dwordx4 v[0:3], off, off offset:816
	s_waitcnt vmcnt(0)
	v_add_f64 v[0:1], v[0:1], -v[130:131]
	v_add_f64 v[2:3], v[2:3], -v[132:133]
	scratch_store_dwordx4 off, v[0:3], off offset:816
	ds_read2_b64 v[0:3], v248 offset0:104 offset1:105
	s_waitcnt lgkmcnt(0)
	;; [unrolled: 11-line block ×5, first 2 shown]
	v_mul_f64 v[130:131], v[2:3], v[6:7]
	v_mul_f64 v[6:7], v[0:1], v[6:7]
	v_fma_f64 v[130:131], v[0:1], v[4:5], -v[130:131]
	v_fmac_f64_e32 v[6:7], v[2:3], v[4:5]
	scratch_load_dwordx4 v[0:3], off, off offset:880
	s_waitcnt vmcnt(0)
	v_add_f64 v[0:1], v[0:1], -v[130:131]
	v_add_f64 v[2:3], v[2:3], -v[6:7]
	scratch_store_dwordx4 off, v[0:3], off offset:880
	ds_read2_b64 v[0:3], v248 offset0:112 offset1:113
	scratch_load_dwordx2 v[130:131], off, off offset:496
	scratch_load_dwordx2 v[132:133], off, off offset:504
	s_waitcnt vmcnt(0) lgkmcnt(0)
	v_mul_f64 v[4:5], v[2:3], v[132:133]
	v_mul_f64 v[6:7], v[0:1], v[132:133]
	v_fma_f64 v[4:5], v[0:1], v[130:131], -v[4:5]
	v_fmac_f64_e32 v[6:7], v[2:3], v[130:131]
	scratch_load_dwordx4 v[0:3], off, off offset:896
	s_waitcnt vmcnt(0)
	v_add_f64 v[0:1], v[0:1], -v[4:5]
	v_add_f64 v[2:3], v[2:3], -v[6:7]
	scratch_store_dwordx4 off, v[0:3], off offset:896
	ds_read2_b64 v[0:3], v248 offset0:114 offset1:115
	s_waitcnt lgkmcnt(0)
	v_mul_f64 v[4:5], v[2:3], v[132:133]
	v_mul_f64 v[136:137], v[0:1], v[132:133]
	v_fma_f64 v[134:135], v[0:1], v[130:131], -v[4:5]
	v_fmac_f64_e32 v[136:137], v[2:3], v[130:131]
	scratch_load_dwordx4 v[0:3], off, off offset:912
	s_waitcnt vmcnt(0)
	v_add_f64 v[0:1], v[0:1], -v[134:135]
	v_add_f64 v[2:3], v[2:3], -v[136:137]
	scratch_store_dwordx4 off, v[0:3], off offset:912
	ds_read2_b64 v[0:3], v248 offset0:116 offset1:117
	s_waitcnt lgkmcnt(0)
	;; [unrolled: 11-line block ×5, first 2 shown]
	v_mul_f64 v[4:5], v[2:3], v[132:133]
	v_mul_f64 v[6:7], v[0:1], v[132:133]
	v_fma_f64 v[4:5], v[0:1], v[130:131], -v[4:5]
	v_fmac_f64_e32 v[6:7], v[2:3], v[130:131]
	scratch_load_dwordx4 v[0:3], off, off offset:976
	s_waitcnt vmcnt(0)
	v_add_f64 v[0:1], v[0:1], -v[4:5]
	scratch_load_dwordx2 v[4:5], off, off offset:504
	v_add_f64 v[2:3], v[2:3], -v[6:7]
	scratch_store_dwordx4 off, v[0:3], off offset:976
	ds_read2_b64 v[0:3], v248 offset0:124 offset1:125
	s_waitcnt vmcnt(1) lgkmcnt(0)
	v_mul_f64 v[6:7], v[2:3], v[4:5]
	v_mul_f64 v[132:133], v[0:1], v[4:5]
	v_fma_f64 v[130:131], v[0:1], v[128:129], -v[6:7]
	v_fmac_f64_e32 v[132:133], v[2:3], v[128:129]
	scratch_load_dwordx4 v[0:3], off, off offset:992
	s_waitcnt vmcnt(0)
	v_add_f64 v[0:1], v[0:1], -v[130:131]
	v_add_f64 v[2:3], v[2:3], -v[132:133]
	scratch_store_dwordx4 off, v[0:3], off offset:992
.LBB125_399:
	s_or_b64 exec, exec, s[2:3]
	v_cmp_eq_u32_e32 vcc, 32, v254
	s_waitcnt lgkmcnt(0)
	s_barrier
	s_and_saveexec_b64 s[4:5], vcc
	s_cbranch_execz .LBB125_406
; %bb.400:
	scratch_load_dwordx4 v[0:3], off, s40
	s_waitcnt vmcnt(0)
	ds_write2_b64 v252, v[0:1], v[2:3] offset1:1
	scratch_load_dwordx4 v[0:3], off, s39
	s_waitcnt vmcnt(0)
	ds_write2_b64 v248, v[0:1], v[2:3] offset0:66 offset1:67
	scratch_load_dwordx4 v[0:3], off, s38
	s_waitcnt vmcnt(0)
	ds_write2_b64 v248, v[0:1], v[2:3] offset0:68 offset1:69
	;; [unrolled: 3-line block ×30, first 2 shown]
	ds_read2_b64 v[128:131], v252 offset1:1
	s_waitcnt lgkmcnt(0)
	v_cmp_neq_f64_e32 vcc, 0, v[128:129]
	v_cmp_neq_f64_e64 s[2:3], 0, v[130:131]
	s_or_b64 s[2:3], vcc, s[2:3]
	s_and_b64 exec, exec, s[2:3]
	s_cbranch_execz .LBB125_406
; %bb.401:
	v_cmp_ngt_f64_e64 s[2:3], |v[128:129]|, |v[130:131]|
                                        ; implicit-def: $vgpr0_vgpr1
	s_and_saveexec_b64 s[46:47], s[2:3]
	s_xor_b64 s[2:3], exec, s[46:47]
                                        ; implicit-def: $vgpr2_vgpr3
	s_cbranch_execz .LBB125_403
; %bb.402:
	v_div_scale_f64 v[0:1], s[46:47], v[130:131], v[130:131], v[128:129]
	v_rcp_f64_e32 v[2:3], v[0:1]
	v_div_scale_f64 v[4:5], vcc, v[128:129], v[130:131], v[128:129]
	v_fma_f64 v[6:7], -v[0:1], v[2:3], 1.0
	v_fmac_f64_e32 v[2:3], v[2:3], v[6:7]
	v_fma_f64 v[6:7], -v[0:1], v[2:3], 1.0
	v_fmac_f64_e32 v[2:3], v[2:3], v[6:7]
	v_mul_f64 v[6:7], v[4:5], v[2:3]
	v_fma_f64 v[0:1], -v[0:1], v[6:7], v[4:5]
	v_div_fmas_f64 v[0:1], v[0:1], v[2:3], v[6:7]
	v_div_fixup_f64 v[0:1], v[0:1], v[130:131], v[128:129]
	v_fmac_f64_e32 v[130:131], v[128:129], v[0:1]
	v_div_scale_f64 v[2:3], s[46:47], v[130:131], v[130:131], 1.0
	v_rcp_f64_e32 v[4:5], v[2:3]
	s_nop 0
	v_fma_f64 v[6:7], -v[2:3], v[4:5], 1.0
	v_fmac_f64_e32 v[4:5], v[4:5], v[6:7]
	v_fma_f64 v[6:7], -v[2:3], v[4:5], 1.0
	v_fmac_f64_e32 v[4:5], v[4:5], v[6:7]
	v_div_scale_f64 v[6:7], vcc, 1.0, v[130:131], 1.0
	v_mul_f64 v[128:129], v[6:7], v[4:5]
	v_fma_f64 v[2:3], -v[2:3], v[128:129], v[6:7]
	s_nop 1
	v_div_fmas_f64 v[2:3], v[2:3], v[4:5], v[128:129]
	v_div_fixup_f64 v[2:3], v[2:3], v[130:131], 1.0
	v_mul_f64 v[0:1], v[0:1], v[2:3]
	v_xor_b32_e32 v3, 0x80000000, v3
                                        ; implicit-def: $vgpr128_vgpr129
.LBB125_403:
	s_andn2_saveexec_b64 s[2:3], s[2:3]
	s_cbranch_execz .LBB125_405
; %bb.404:
	v_div_scale_f64 v[0:1], s[46:47], v[128:129], v[128:129], v[130:131]
	v_rcp_f64_e32 v[2:3], v[0:1]
	v_div_scale_f64 v[4:5], vcc, v[130:131], v[128:129], v[130:131]
	v_fma_f64 v[6:7], -v[0:1], v[2:3], 1.0
	v_fmac_f64_e32 v[2:3], v[2:3], v[6:7]
	v_fma_f64 v[6:7], -v[0:1], v[2:3], 1.0
	v_fmac_f64_e32 v[2:3], v[2:3], v[6:7]
	v_mul_f64 v[6:7], v[4:5], v[2:3]
	v_fma_f64 v[0:1], -v[0:1], v[6:7], v[4:5]
	v_div_fmas_f64 v[0:1], v[0:1], v[2:3], v[6:7]
	v_div_fixup_f64 v[2:3], v[0:1], v[128:129], v[130:131]
	v_fmac_f64_e32 v[128:129], v[130:131], v[2:3]
	v_div_scale_f64 v[0:1], s[46:47], v[128:129], v[128:129], 1.0
	v_rcp_f64_e32 v[4:5], v[0:1]
	s_nop 0
	v_fma_f64 v[6:7], -v[0:1], v[4:5], 1.0
	v_fmac_f64_e32 v[4:5], v[4:5], v[6:7]
	v_fma_f64 v[6:7], -v[0:1], v[4:5], 1.0
	v_fmac_f64_e32 v[4:5], v[4:5], v[6:7]
	v_div_scale_f64 v[6:7], vcc, 1.0, v[128:129], 1.0
	v_mul_f64 v[130:131], v[6:7], v[4:5]
	v_fma_f64 v[0:1], -v[0:1], v[130:131], v[6:7]
	s_nop 1
	v_div_fmas_f64 v[0:1], v[0:1], v[4:5], v[130:131]
	v_div_fixup_f64 v[0:1], v[0:1], v[128:129], 1.0
	v_mul_f64 v[2:3], v[2:3], -v[0:1]
.LBB125_405:
	s_or_b64 exec, exec, s[2:3]
	ds_write2_b64 v252, v[0:1], v[2:3] offset1:1
.LBB125_406:
	s_or_b64 exec, exec, s[4:5]
	s_waitcnt lgkmcnt(0)
	s_barrier
	ds_read2_b64 v[128:131], v252 offset1:1
	v_cmp_lt_u32_e32 vcc, 32, v254
	s_and_saveexec_b64 s[2:3], vcc
	s_cbranch_execz .LBB125_408
; %bb.407:
	scratch_load_dwordx4 v[0:3], off, off offset:512
	s_waitcnt vmcnt(0) lgkmcnt(0)
	v_mul_f64 v[4:5], v[130:131], v[2:3]
	v_mul_f64 v[134:135], v[128:129], v[2:3]
	v_fma_f64 v[132:133], v[128:129], v[0:1], -v[4:5]
	v_fmac_f64_e32 v[134:135], v[130:131], v[0:1]
	ds_read2_b64 v[0:3], v248 offset0:66 offset1:67
	scratch_store_dwordx4 off, v[132:135], off offset:512
	s_waitcnt lgkmcnt(0)
	v_mul_f64 v[4:5], v[2:3], v[134:135]
	v_mul_f64 v[6:7], v[0:1], v[134:135]
	v_fma_f64 v[4:5], v[0:1], v[132:133], -v[4:5]
	v_fmac_f64_e32 v[6:7], v[2:3], v[132:133]
	scratch_load_dwordx4 v[0:3], off, off offset:528
	s_waitcnt vmcnt(0)
	v_add_f64 v[0:1], v[0:1], -v[4:5]
	v_add_f64 v[2:3], v[2:3], -v[6:7]
	scratch_store_dwordx4 off, v[0:3], off offset:528
	ds_read2_b64 v[0:3], v248 offset0:68 offset1:69
	s_waitcnt lgkmcnt(0)
	v_mul_f64 v[4:5], v[2:3], v[134:135]
	v_mul_f64 v[6:7], v[0:1], v[134:135]
	v_fma_f64 v[4:5], v[0:1], v[132:133], -v[4:5]
	v_fmac_f64_e32 v[6:7], v[2:3], v[132:133]
	scratch_load_dwordx4 v[0:3], off, off offset:544
	s_waitcnt vmcnt(0)
	v_add_f64 v[0:1], v[0:1], -v[4:5]
	v_add_f64 v[2:3], v[2:3], -v[6:7]
	scratch_store_dwordx4 off, v[0:3], off offset:544
	ds_read2_b64 v[0:3], v248 offset0:70 offset1:71
	;; [unrolled: 11-line block ×6, first 2 shown]
	scratch_load_dwordx2 v[4:5], off, off offset:512
	scratch_load_dwordx4 v[132:135], off, off offset:512
	s_waitcnt vmcnt(0) lgkmcnt(0)
	v_mul_f64 v[6:7], v[2:3], v[134:135]
	v_mul_f64 v[136:137], v[0:1], v[134:135]
	v_fma_f64 v[6:7], v[0:1], v[4:5], -v[6:7]
	v_fmac_f64_e32 v[136:137], v[2:3], v[4:5]
	scratch_load_dwordx4 v[0:3], off, off offset:624
	s_waitcnt vmcnt(0)
	v_add_f64 v[0:1], v[0:1], -v[6:7]
	v_add_f64 v[2:3], v[2:3], -v[136:137]
	scratch_store_dwordx4 off, v[0:3], off offset:624
	ds_read2_b64 v[0:3], v248 offset0:80 offset1:81
	s_waitcnt lgkmcnt(0)
	v_mul_f64 v[6:7], v[2:3], v[134:135]
	v_mul_f64 v[136:137], v[0:1], v[134:135]
	v_fma_f64 v[6:7], v[0:1], v[4:5], -v[6:7]
	v_fmac_f64_e32 v[136:137], v[2:3], v[4:5]
	scratch_load_dwordx4 v[0:3], off, off offset:640
	s_waitcnt vmcnt(0)
	v_add_f64 v[0:1], v[0:1], -v[6:7]
	v_add_f64 v[2:3], v[2:3], -v[136:137]
	scratch_store_dwordx4 off, v[0:3], off offset:640
	ds_read2_b64 v[0:3], v248 offset0:82 offset1:83
	s_waitcnt lgkmcnt(0)
	;; [unrolled: 11-line block ×5, first 2 shown]
	v_mul_f64 v[6:7], v[2:3], v[134:135]
	v_mul_f64 v[134:135], v[0:1], v[134:135]
	v_fma_f64 v[6:7], v[0:1], v[4:5], -v[6:7]
	v_fmac_f64_e32 v[134:135], v[2:3], v[4:5]
	scratch_load_dwordx4 v[0:3], off, off offset:704
	s_waitcnt vmcnt(0)
	v_add_f64 v[0:1], v[0:1], -v[6:7]
	v_add_f64 v[2:3], v[2:3], -v[134:135]
	scratch_store_dwordx4 off, v[0:3], off offset:704
	ds_read2_b64 v[0:3], v248 offset0:90 offset1:91
	scratch_load_dwordx2 v[134:135], off, off offset:512
	scratch_load_dwordx2 v[4:5], off, off offset:520
	s_waitcnt vmcnt(0) lgkmcnt(0)
	v_mul_f64 v[6:7], v[2:3], v[4:5]
	v_mul_f64 v[136:137], v[0:1], v[4:5]
	v_fma_f64 v[6:7], v[0:1], v[134:135], -v[6:7]
	v_fmac_f64_e32 v[136:137], v[2:3], v[134:135]
	scratch_load_dwordx4 v[0:3], off, off offset:720
	s_waitcnt vmcnt(0)
	v_add_f64 v[0:1], v[0:1], -v[6:7]
	v_add_f64 v[2:3], v[2:3], -v[136:137]
	scratch_store_dwordx4 off, v[0:3], off offset:720
	ds_read2_b64 v[0:3], v248 offset0:92 offset1:93
	s_waitcnt lgkmcnt(0)
	v_mul_f64 v[6:7], v[2:3], v[4:5]
	v_mul_f64 v[136:137], v[0:1], v[4:5]
	v_fma_f64 v[6:7], v[0:1], v[134:135], -v[6:7]
	v_fmac_f64_e32 v[136:137], v[2:3], v[134:135]
	scratch_load_dwordx4 v[0:3], off, off offset:736
	s_waitcnt vmcnt(0)
	v_add_f64 v[0:1], v[0:1], -v[6:7]
	v_add_f64 v[2:3], v[2:3], -v[136:137]
	scratch_store_dwordx4 off, v[0:3], off offset:736
	ds_read2_b64 v[0:3], v248 offset0:94 offset1:95
	s_waitcnt lgkmcnt(0)
	;; [unrolled: 11-line block ×5, first 2 shown]
	v_mul_f64 v[6:7], v[2:3], v[4:5]
	v_mul_f64 v[4:5], v[0:1], v[4:5]
	v_fma_f64 v[6:7], v[0:1], v[134:135], -v[6:7]
	v_fmac_f64_e32 v[4:5], v[2:3], v[134:135]
	scratch_load_dwordx4 v[0:3], off, off offset:800
	s_waitcnt vmcnt(0)
	v_add_f64 v[0:1], v[0:1], -v[6:7]
	v_add_f64 v[2:3], v[2:3], -v[4:5]
	scratch_store_dwordx4 off, v[0:3], off offset:800
	ds_read2_b64 v[0:3], v248 offset0:102 offset1:103
	scratch_load_dwordx2 v[4:5], off, off offset:512
	scratch_load_dwordx2 v[6:7], off, off offset:520
	s_waitcnt vmcnt(0) lgkmcnt(0)
	v_mul_f64 v[134:135], v[2:3], v[6:7]
	v_mul_f64 v[136:137], v[0:1], v[6:7]
	v_fma_f64 v[134:135], v[0:1], v[4:5], -v[134:135]
	v_fmac_f64_e32 v[136:137], v[2:3], v[4:5]
	scratch_load_dwordx4 v[0:3], off, off offset:816
	s_waitcnt vmcnt(0)
	v_add_f64 v[0:1], v[0:1], -v[134:135]
	v_add_f64 v[2:3], v[2:3], -v[136:137]
	scratch_store_dwordx4 off, v[0:3], off offset:816
	ds_read2_b64 v[0:3], v248 offset0:104 offset1:105
	s_waitcnt lgkmcnt(0)
	v_mul_f64 v[134:135], v[2:3], v[6:7]
	v_mul_f64 v[136:137], v[0:1], v[6:7]
	v_fma_f64 v[134:135], v[0:1], v[4:5], -v[134:135]
	v_fmac_f64_e32 v[136:137], v[2:3], v[4:5]
	scratch_load_dwordx4 v[0:3], off, off offset:832
	s_waitcnt vmcnt(0)
	v_add_f64 v[0:1], v[0:1], -v[134:135]
	v_add_f64 v[2:3], v[2:3], -v[136:137]
	scratch_store_dwordx4 off, v[0:3], off offset:832
	ds_read2_b64 v[0:3], v248 offset0:106 offset1:107
	s_waitcnt lgkmcnt(0)
	;; [unrolled: 11-line block ×5, first 2 shown]
	v_mul_f64 v[134:135], v[2:3], v[6:7]
	v_mul_f64 v[6:7], v[0:1], v[6:7]
	v_fma_f64 v[134:135], v[0:1], v[4:5], -v[134:135]
	v_fmac_f64_e32 v[6:7], v[2:3], v[4:5]
	scratch_load_dwordx4 v[0:3], off, off offset:896
	s_waitcnt vmcnt(0)
	v_add_f64 v[0:1], v[0:1], -v[134:135]
	scratch_load_dwordx2 v[134:135], off, off offset:520
	v_add_f64 v[2:3], v[2:3], -v[6:7]
	scratch_store_dwordx4 off, v[0:3], off offset:896
	ds_read2_b64 v[0:3], v248 offset0:114 offset1:115
	s_waitcnt vmcnt(1) lgkmcnt(0)
	v_mul_f64 v[4:5], v[2:3], v[134:135]
	v_mul_f64 v[6:7], v[0:1], v[134:135]
	v_fma_f64 v[4:5], v[0:1], v[132:133], -v[4:5]
	v_fmac_f64_e32 v[6:7], v[2:3], v[132:133]
	scratch_load_dwordx4 v[0:3], off, off offset:912
	s_waitcnt vmcnt(0)
	v_add_f64 v[0:1], v[0:1], -v[4:5]
	v_add_f64 v[2:3], v[2:3], -v[6:7]
	scratch_store_dwordx4 off, v[0:3], off offset:912
	ds_read2_b64 v[0:3], v248 offset0:116 offset1:117
	s_waitcnt lgkmcnt(0)
	v_mul_f64 v[4:5], v[2:3], v[134:135]
	v_mul_f64 v[138:139], v[0:1], v[134:135]
	v_fma_f64 v[136:137], v[0:1], v[132:133], -v[4:5]
	v_fmac_f64_e32 v[138:139], v[2:3], v[132:133]
	scratch_load_dwordx4 v[0:3], off, off offset:928
	s_waitcnt vmcnt(0)
	v_add_f64 v[0:1], v[0:1], -v[136:137]
	v_add_f64 v[2:3], v[2:3], -v[138:139]
	scratch_store_dwordx4 off, v[0:3], off offset:928
	ds_read2_b64 v[0:3], v248 offset0:118 offset1:119
	s_waitcnt lgkmcnt(0)
	;; [unrolled: 11-line block ×5, first 2 shown]
	v_mul_f64 v[4:5], v[2:3], v[134:135]
	v_mul_f64 v[134:135], v[0:1], v[134:135]
	v_fma_f64 v[136:137], v[0:1], v[132:133], -v[4:5]
	v_fmac_f64_e32 v[134:135], v[2:3], v[132:133]
	scratch_load_dwordx4 v[0:3], off, off offset:992
	s_waitcnt vmcnt(0)
	v_add_f64 v[0:1], v[0:1], -v[136:137]
	v_add_f64 v[2:3], v[2:3], -v[134:135]
	scratch_store_dwordx4 off, v[0:3], off offset:992
.LBB125_408:
	s_or_b64 exec, exec, s[2:3]
	v_cmp_eq_u32_e32 vcc, 33, v254
	s_waitcnt lgkmcnt(0)
	s_barrier
	s_and_saveexec_b64 s[4:5], vcc
	s_cbranch_execz .LBB125_415
; %bb.409:
	scratch_load_dwordx4 v[0:3], off, s39
	s_waitcnt vmcnt(0)
	ds_write2_b64 v252, v[0:1], v[2:3] offset1:1
	scratch_load_dwordx4 v[0:3], off, s38
	s_waitcnt vmcnt(0)
	ds_write2_b64 v248, v[0:1], v[2:3] offset0:68 offset1:69
	scratch_load_dwordx4 v[0:3], off, s37
	s_waitcnt vmcnt(0)
	ds_write2_b64 v248, v[0:1], v[2:3] offset0:70 offset1:71
	;; [unrolled: 3-line block ×29, first 2 shown]
	ds_read2_b64 v[132:135], v252 offset1:1
	s_waitcnt lgkmcnt(0)
	v_cmp_neq_f64_e32 vcc, 0, v[132:133]
	v_cmp_neq_f64_e64 s[2:3], 0, v[134:135]
	s_or_b64 s[2:3], vcc, s[2:3]
	s_and_b64 exec, exec, s[2:3]
	s_cbranch_execz .LBB125_415
; %bb.410:
	v_cmp_ngt_f64_e64 s[2:3], |v[132:133]|, |v[134:135]|
                                        ; implicit-def: $vgpr0_vgpr1
	s_and_saveexec_b64 s[46:47], s[2:3]
	s_xor_b64 s[2:3], exec, s[46:47]
                                        ; implicit-def: $vgpr2_vgpr3
	s_cbranch_execz .LBB125_412
; %bb.411:
	v_div_scale_f64 v[0:1], s[46:47], v[134:135], v[134:135], v[132:133]
	v_rcp_f64_e32 v[2:3], v[0:1]
	v_div_scale_f64 v[4:5], vcc, v[132:133], v[134:135], v[132:133]
	v_fma_f64 v[6:7], -v[0:1], v[2:3], 1.0
	v_fmac_f64_e32 v[2:3], v[2:3], v[6:7]
	v_fma_f64 v[6:7], -v[0:1], v[2:3], 1.0
	v_fmac_f64_e32 v[2:3], v[2:3], v[6:7]
	v_mul_f64 v[6:7], v[4:5], v[2:3]
	v_fma_f64 v[0:1], -v[0:1], v[6:7], v[4:5]
	v_div_fmas_f64 v[0:1], v[0:1], v[2:3], v[6:7]
	v_div_fixup_f64 v[0:1], v[0:1], v[134:135], v[132:133]
	v_fmac_f64_e32 v[134:135], v[132:133], v[0:1]
	v_div_scale_f64 v[2:3], s[46:47], v[134:135], v[134:135], 1.0
	v_rcp_f64_e32 v[4:5], v[2:3]
	s_nop 0
	v_fma_f64 v[6:7], -v[2:3], v[4:5], 1.0
	v_fmac_f64_e32 v[4:5], v[4:5], v[6:7]
	v_fma_f64 v[6:7], -v[2:3], v[4:5], 1.0
	v_fmac_f64_e32 v[4:5], v[4:5], v[6:7]
	v_div_scale_f64 v[6:7], vcc, 1.0, v[134:135], 1.0
	v_mul_f64 v[132:133], v[6:7], v[4:5]
	v_fma_f64 v[2:3], -v[2:3], v[132:133], v[6:7]
	s_nop 1
	v_div_fmas_f64 v[2:3], v[2:3], v[4:5], v[132:133]
	v_div_fixup_f64 v[2:3], v[2:3], v[134:135], 1.0
	v_mul_f64 v[0:1], v[0:1], v[2:3]
	v_xor_b32_e32 v3, 0x80000000, v3
                                        ; implicit-def: $vgpr132_vgpr133
.LBB125_412:
	s_andn2_saveexec_b64 s[2:3], s[2:3]
	s_cbranch_execz .LBB125_414
; %bb.413:
	v_div_scale_f64 v[0:1], s[46:47], v[132:133], v[132:133], v[134:135]
	v_rcp_f64_e32 v[2:3], v[0:1]
	v_div_scale_f64 v[4:5], vcc, v[134:135], v[132:133], v[134:135]
	v_fma_f64 v[6:7], -v[0:1], v[2:3], 1.0
	v_fmac_f64_e32 v[2:3], v[2:3], v[6:7]
	v_fma_f64 v[6:7], -v[0:1], v[2:3], 1.0
	v_fmac_f64_e32 v[2:3], v[2:3], v[6:7]
	v_mul_f64 v[6:7], v[4:5], v[2:3]
	v_fma_f64 v[0:1], -v[0:1], v[6:7], v[4:5]
	v_div_fmas_f64 v[0:1], v[0:1], v[2:3], v[6:7]
	v_div_fixup_f64 v[2:3], v[0:1], v[132:133], v[134:135]
	v_fmac_f64_e32 v[132:133], v[134:135], v[2:3]
	v_div_scale_f64 v[0:1], s[46:47], v[132:133], v[132:133], 1.0
	v_rcp_f64_e32 v[4:5], v[0:1]
	s_nop 0
	v_fma_f64 v[6:7], -v[0:1], v[4:5], 1.0
	v_fmac_f64_e32 v[4:5], v[4:5], v[6:7]
	v_fma_f64 v[6:7], -v[0:1], v[4:5], 1.0
	v_fmac_f64_e32 v[4:5], v[4:5], v[6:7]
	v_div_scale_f64 v[6:7], vcc, 1.0, v[132:133], 1.0
	v_mul_f64 v[134:135], v[6:7], v[4:5]
	v_fma_f64 v[0:1], -v[0:1], v[134:135], v[6:7]
	s_nop 1
	v_div_fmas_f64 v[0:1], v[0:1], v[4:5], v[134:135]
	v_div_fixup_f64 v[0:1], v[0:1], v[132:133], 1.0
	v_mul_f64 v[2:3], v[2:3], -v[0:1]
.LBB125_414:
	s_or_b64 exec, exec, s[2:3]
	ds_write2_b64 v252, v[0:1], v[2:3] offset1:1
.LBB125_415:
	s_or_b64 exec, exec, s[4:5]
	s_waitcnt lgkmcnt(0)
	s_barrier
	ds_read2_b64 v[132:135], v252 offset1:1
	v_cmp_lt_u32_e32 vcc, 33, v254
	s_and_saveexec_b64 s[2:3], vcc
	s_cbranch_execz .LBB125_417
; %bb.416:
	scratch_load_dwordx4 v[0:3], off, off offset:528
	s_waitcnt vmcnt(0) lgkmcnt(0)
	v_mul_f64 v[4:5], v[134:135], v[2:3]
	v_mul_f64 v[138:139], v[132:133], v[2:3]
	v_fma_f64 v[136:137], v[132:133], v[0:1], -v[4:5]
	v_fmac_f64_e32 v[138:139], v[134:135], v[0:1]
	ds_read2_b64 v[0:3], v248 offset0:68 offset1:69
	scratch_store_dwordx4 off, v[136:139], off offset:528
	s_waitcnt lgkmcnt(0)
	v_mul_f64 v[4:5], v[2:3], v[138:139]
	v_mul_f64 v[6:7], v[0:1], v[138:139]
	v_fma_f64 v[4:5], v[0:1], v[136:137], -v[4:5]
	v_fmac_f64_e32 v[6:7], v[2:3], v[136:137]
	scratch_load_dwordx4 v[0:3], off, off offset:544
	s_waitcnt vmcnt(0)
	v_add_f64 v[0:1], v[0:1], -v[4:5]
	v_add_f64 v[2:3], v[2:3], -v[6:7]
	scratch_store_dwordx4 off, v[0:3], off offset:544
	ds_read2_b64 v[0:3], v248 offset0:70 offset1:71
	s_waitcnt lgkmcnt(0)
	v_mul_f64 v[4:5], v[2:3], v[138:139]
	v_mul_f64 v[6:7], v[0:1], v[138:139]
	v_fma_f64 v[4:5], v[0:1], v[136:137], -v[4:5]
	v_fmac_f64_e32 v[6:7], v[2:3], v[136:137]
	scratch_load_dwordx4 v[0:3], off, off offset:560
	s_waitcnt vmcnt(0)
	v_add_f64 v[0:1], v[0:1], -v[4:5]
	v_add_f64 v[2:3], v[2:3], -v[6:7]
	scratch_store_dwordx4 off, v[0:3], off offset:560
	ds_read2_b64 v[0:3], v248 offset0:72 offset1:73
	;; [unrolled: 11-line block ×6, first 2 shown]
	scratch_load_dwordx2 v[4:5], off, off offset:528
	scratch_load_dwordx4 v[136:139], off, off offset:528
	s_waitcnt vmcnt(0) lgkmcnt(0)
	v_mul_f64 v[6:7], v[2:3], v[138:139]
	v_mul_f64 v[140:141], v[0:1], v[138:139]
	v_fma_f64 v[6:7], v[0:1], v[4:5], -v[6:7]
	v_fmac_f64_e32 v[140:141], v[2:3], v[4:5]
	scratch_load_dwordx4 v[0:3], off, off offset:640
	s_waitcnt vmcnt(0)
	v_add_f64 v[0:1], v[0:1], -v[6:7]
	v_add_f64 v[2:3], v[2:3], -v[140:141]
	scratch_store_dwordx4 off, v[0:3], off offset:640
	ds_read2_b64 v[0:3], v248 offset0:82 offset1:83
	s_waitcnt lgkmcnt(0)
	v_mul_f64 v[6:7], v[2:3], v[138:139]
	v_mul_f64 v[140:141], v[0:1], v[138:139]
	v_fma_f64 v[6:7], v[0:1], v[4:5], -v[6:7]
	v_fmac_f64_e32 v[140:141], v[2:3], v[4:5]
	scratch_load_dwordx4 v[0:3], off, off offset:656
	s_waitcnt vmcnt(0)
	v_add_f64 v[0:1], v[0:1], -v[6:7]
	v_add_f64 v[2:3], v[2:3], -v[140:141]
	scratch_store_dwordx4 off, v[0:3], off offset:656
	ds_read2_b64 v[0:3], v248 offset0:84 offset1:85
	s_waitcnt lgkmcnt(0)
	;; [unrolled: 11-line block ×5, first 2 shown]
	v_mul_f64 v[6:7], v[2:3], v[138:139]
	v_mul_f64 v[138:139], v[0:1], v[138:139]
	v_fma_f64 v[6:7], v[0:1], v[4:5], -v[6:7]
	v_fmac_f64_e32 v[138:139], v[2:3], v[4:5]
	scratch_load_dwordx4 v[0:3], off, off offset:720
	s_waitcnt vmcnt(0)
	v_add_f64 v[0:1], v[0:1], -v[6:7]
	v_add_f64 v[2:3], v[2:3], -v[138:139]
	scratch_store_dwordx4 off, v[0:3], off offset:720
	ds_read2_b64 v[0:3], v248 offset0:92 offset1:93
	scratch_load_dwordx2 v[138:139], off, off offset:528
	scratch_load_dwordx2 v[4:5], off, off offset:536
	s_waitcnt vmcnt(0) lgkmcnt(0)
	v_mul_f64 v[6:7], v[2:3], v[4:5]
	v_mul_f64 v[140:141], v[0:1], v[4:5]
	v_fma_f64 v[6:7], v[0:1], v[138:139], -v[6:7]
	v_fmac_f64_e32 v[140:141], v[2:3], v[138:139]
	scratch_load_dwordx4 v[0:3], off, off offset:736
	s_waitcnt vmcnt(0)
	v_add_f64 v[0:1], v[0:1], -v[6:7]
	v_add_f64 v[2:3], v[2:3], -v[140:141]
	scratch_store_dwordx4 off, v[0:3], off offset:736
	ds_read2_b64 v[0:3], v248 offset0:94 offset1:95
	s_waitcnt lgkmcnt(0)
	v_mul_f64 v[6:7], v[2:3], v[4:5]
	v_mul_f64 v[140:141], v[0:1], v[4:5]
	v_fma_f64 v[6:7], v[0:1], v[138:139], -v[6:7]
	v_fmac_f64_e32 v[140:141], v[2:3], v[138:139]
	scratch_load_dwordx4 v[0:3], off, off offset:752
	s_waitcnt vmcnt(0)
	v_add_f64 v[0:1], v[0:1], -v[6:7]
	v_add_f64 v[2:3], v[2:3], -v[140:141]
	scratch_store_dwordx4 off, v[0:3], off offset:752
	ds_read2_b64 v[0:3], v248 offset0:96 offset1:97
	s_waitcnt lgkmcnt(0)
	;; [unrolled: 11-line block ×5, first 2 shown]
	v_mul_f64 v[6:7], v[2:3], v[4:5]
	v_mul_f64 v[4:5], v[0:1], v[4:5]
	v_fma_f64 v[6:7], v[0:1], v[138:139], -v[6:7]
	v_fmac_f64_e32 v[4:5], v[2:3], v[138:139]
	scratch_load_dwordx4 v[0:3], off, off offset:816
	s_waitcnt vmcnt(0)
	v_add_f64 v[0:1], v[0:1], -v[6:7]
	v_add_f64 v[2:3], v[2:3], -v[4:5]
	scratch_store_dwordx4 off, v[0:3], off offset:816
	ds_read2_b64 v[0:3], v248 offset0:104 offset1:105
	scratch_load_dwordx2 v[4:5], off, off offset:528
	scratch_load_dwordx2 v[6:7], off, off offset:536
	s_waitcnt vmcnt(0) lgkmcnt(0)
	v_mul_f64 v[138:139], v[2:3], v[6:7]
	v_mul_f64 v[140:141], v[0:1], v[6:7]
	v_fma_f64 v[138:139], v[0:1], v[4:5], -v[138:139]
	v_fmac_f64_e32 v[140:141], v[2:3], v[4:5]
	scratch_load_dwordx4 v[0:3], off, off offset:832
	s_waitcnt vmcnt(0)
	v_add_f64 v[0:1], v[0:1], -v[138:139]
	v_add_f64 v[2:3], v[2:3], -v[140:141]
	scratch_store_dwordx4 off, v[0:3], off offset:832
	ds_read2_b64 v[0:3], v248 offset0:106 offset1:107
	s_waitcnt lgkmcnt(0)
	v_mul_f64 v[138:139], v[2:3], v[6:7]
	v_mul_f64 v[140:141], v[0:1], v[6:7]
	v_fma_f64 v[138:139], v[0:1], v[4:5], -v[138:139]
	v_fmac_f64_e32 v[140:141], v[2:3], v[4:5]
	scratch_load_dwordx4 v[0:3], off, off offset:848
	s_waitcnt vmcnt(0)
	v_add_f64 v[0:1], v[0:1], -v[138:139]
	v_add_f64 v[2:3], v[2:3], -v[140:141]
	scratch_store_dwordx4 off, v[0:3], off offset:848
	ds_read2_b64 v[0:3], v248 offset0:108 offset1:109
	s_waitcnt lgkmcnt(0)
	;; [unrolled: 11-line block ×5, first 2 shown]
	v_mul_f64 v[138:139], v[2:3], v[6:7]
	v_mul_f64 v[6:7], v[0:1], v[6:7]
	v_fma_f64 v[138:139], v[0:1], v[4:5], -v[138:139]
	v_fmac_f64_e32 v[6:7], v[2:3], v[4:5]
	scratch_load_dwordx4 v[0:3], off, off offset:912
	s_waitcnt vmcnt(0)
	v_add_f64 v[0:1], v[0:1], -v[138:139]
	scratch_load_dwordx2 v[138:139], off, off offset:536
	v_add_f64 v[2:3], v[2:3], -v[6:7]
	scratch_store_dwordx4 off, v[0:3], off offset:912
	ds_read2_b64 v[0:3], v248 offset0:116 offset1:117
	s_waitcnt vmcnt(1) lgkmcnt(0)
	v_mul_f64 v[4:5], v[2:3], v[138:139]
	v_mul_f64 v[6:7], v[0:1], v[138:139]
	v_fma_f64 v[4:5], v[0:1], v[136:137], -v[4:5]
	v_fmac_f64_e32 v[6:7], v[2:3], v[136:137]
	scratch_load_dwordx4 v[0:3], off, off offset:928
	s_waitcnt vmcnt(0)
	v_add_f64 v[0:1], v[0:1], -v[4:5]
	v_add_f64 v[2:3], v[2:3], -v[6:7]
	scratch_store_dwordx4 off, v[0:3], off offset:928
	ds_read2_b64 v[0:3], v248 offset0:118 offset1:119
	s_waitcnt lgkmcnt(0)
	v_mul_f64 v[4:5], v[2:3], v[138:139]
	v_mul_f64 v[142:143], v[0:1], v[138:139]
	v_fma_f64 v[140:141], v[0:1], v[136:137], -v[4:5]
	v_fmac_f64_e32 v[142:143], v[2:3], v[136:137]
	scratch_load_dwordx4 v[0:3], off, off offset:944
	s_waitcnt vmcnt(0)
	v_add_f64 v[0:1], v[0:1], -v[140:141]
	v_add_f64 v[2:3], v[2:3], -v[142:143]
	scratch_store_dwordx4 off, v[0:3], off offset:944
	ds_read2_b64 v[0:3], v248 offset0:120 offset1:121
	s_waitcnt lgkmcnt(0)
	;; [unrolled: 11-line block ×4, first 2 shown]
	v_mul_f64 v[4:5], v[2:3], v[138:139]
	v_mul_f64 v[138:139], v[0:1], v[138:139]
	v_fma_f64 v[140:141], v[0:1], v[136:137], -v[4:5]
	v_fmac_f64_e32 v[138:139], v[2:3], v[136:137]
	scratch_load_dwordx4 v[0:3], off, off offset:992
	s_waitcnt vmcnt(0)
	v_add_f64 v[0:1], v[0:1], -v[140:141]
	v_add_f64 v[2:3], v[2:3], -v[138:139]
	scratch_store_dwordx4 off, v[0:3], off offset:992
.LBB125_417:
	s_or_b64 exec, exec, s[2:3]
	v_cmp_eq_u32_e32 vcc, 34, v254
	s_waitcnt lgkmcnt(0)
	s_barrier
	s_and_saveexec_b64 s[4:5], vcc
	s_cbranch_execz .LBB125_424
; %bb.418:
	scratch_load_dwordx4 v[0:3], off, s38
	s_waitcnt vmcnt(0)
	ds_write2_b64 v252, v[0:1], v[2:3] offset1:1
	scratch_load_dwordx4 v[0:3], off, s37
	s_waitcnt vmcnt(0)
	ds_write2_b64 v248, v[0:1], v[2:3] offset0:70 offset1:71
	scratch_load_dwordx4 v[0:3], off, s36
	s_waitcnt vmcnt(0)
	ds_write2_b64 v248, v[0:1], v[2:3] offset0:72 offset1:73
	;; [unrolled: 3-line block ×28, first 2 shown]
	ds_read2_b64 v[136:139], v252 offset1:1
	s_waitcnt lgkmcnt(0)
	v_cmp_neq_f64_e32 vcc, 0, v[136:137]
	v_cmp_neq_f64_e64 s[2:3], 0, v[138:139]
	s_or_b64 s[2:3], vcc, s[2:3]
	s_and_b64 exec, exec, s[2:3]
	s_cbranch_execz .LBB125_424
; %bb.419:
	v_cmp_ngt_f64_e64 s[2:3], |v[136:137]|, |v[138:139]|
                                        ; implicit-def: $vgpr0_vgpr1
	s_and_saveexec_b64 s[46:47], s[2:3]
	s_xor_b64 s[2:3], exec, s[46:47]
                                        ; implicit-def: $vgpr2_vgpr3
	s_cbranch_execz .LBB125_421
; %bb.420:
	v_div_scale_f64 v[0:1], s[46:47], v[138:139], v[138:139], v[136:137]
	v_rcp_f64_e32 v[2:3], v[0:1]
	v_div_scale_f64 v[4:5], vcc, v[136:137], v[138:139], v[136:137]
	v_fma_f64 v[6:7], -v[0:1], v[2:3], 1.0
	v_fmac_f64_e32 v[2:3], v[2:3], v[6:7]
	v_fma_f64 v[6:7], -v[0:1], v[2:3], 1.0
	v_fmac_f64_e32 v[2:3], v[2:3], v[6:7]
	v_mul_f64 v[6:7], v[4:5], v[2:3]
	v_fma_f64 v[0:1], -v[0:1], v[6:7], v[4:5]
	v_div_fmas_f64 v[0:1], v[0:1], v[2:3], v[6:7]
	v_div_fixup_f64 v[0:1], v[0:1], v[138:139], v[136:137]
	v_fmac_f64_e32 v[138:139], v[136:137], v[0:1]
	v_div_scale_f64 v[2:3], s[46:47], v[138:139], v[138:139], 1.0
	v_rcp_f64_e32 v[4:5], v[2:3]
	s_nop 0
	v_fma_f64 v[6:7], -v[2:3], v[4:5], 1.0
	v_fmac_f64_e32 v[4:5], v[4:5], v[6:7]
	v_fma_f64 v[6:7], -v[2:3], v[4:5], 1.0
	v_fmac_f64_e32 v[4:5], v[4:5], v[6:7]
	v_div_scale_f64 v[6:7], vcc, 1.0, v[138:139], 1.0
	v_mul_f64 v[136:137], v[6:7], v[4:5]
	v_fma_f64 v[2:3], -v[2:3], v[136:137], v[6:7]
	s_nop 1
	v_div_fmas_f64 v[2:3], v[2:3], v[4:5], v[136:137]
	v_div_fixup_f64 v[2:3], v[2:3], v[138:139], 1.0
	v_mul_f64 v[0:1], v[0:1], v[2:3]
	v_xor_b32_e32 v3, 0x80000000, v3
                                        ; implicit-def: $vgpr136_vgpr137
.LBB125_421:
	s_andn2_saveexec_b64 s[2:3], s[2:3]
	s_cbranch_execz .LBB125_423
; %bb.422:
	v_div_scale_f64 v[0:1], s[46:47], v[136:137], v[136:137], v[138:139]
	v_rcp_f64_e32 v[2:3], v[0:1]
	v_div_scale_f64 v[4:5], vcc, v[138:139], v[136:137], v[138:139]
	v_fma_f64 v[6:7], -v[0:1], v[2:3], 1.0
	v_fmac_f64_e32 v[2:3], v[2:3], v[6:7]
	v_fma_f64 v[6:7], -v[0:1], v[2:3], 1.0
	v_fmac_f64_e32 v[2:3], v[2:3], v[6:7]
	v_mul_f64 v[6:7], v[4:5], v[2:3]
	v_fma_f64 v[0:1], -v[0:1], v[6:7], v[4:5]
	v_div_fmas_f64 v[0:1], v[0:1], v[2:3], v[6:7]
	v_div_fixup_f64 v[2:3], v[0:1], v[136:137], v[138:139]
	v_fmac_f64_e32 v[136:137], v[138:139], v[2:3]
	v_div_scale_f64 v[0:1], s[46:47], v[136:137], v[136:137], 1.0
	v_rcp_f64_e32 v[4:5], v[0:1]
	s_nop 0
	v_fma_f64 v[6:7], -v[0:1], v[4:5], 1.0
	v_fmac_f64_e32 v[4:5], v[4:5], v[6:7]
	v_fma_f64 v[6:7], -v[0:1], v[4:5], 1.0
	v_fmac_f64_e32 v[4:5], v[4:5], v[6:7]
	v_div_scale_f64 v[6:7], vcc, 1.0, v[136:137], 1.0
	v_mul_f64 v[138:139], v[6:7], v[4:5]
	v_fma_f64 v[0:1], -v[0:1], v[138:139], v[6:7]
	s_nop 1
	v_div_fmas_f64 v[0:1], v[0:1], v[4:5], v[138:139]
	v_div_fixup_f64 v[0:1], v[0:1], v[136:137], 1.0
	v_mul_f64 v[2:3], v[2:3], -v[0:1]
.LBB125_423:
	s_or_b64 exec, exec, s[2:3]
	ds_write2_b64 v252, v[0:1], v[2:3] offset1:1
.LBB125_424:
	s_or_b64 exec, exec, s[4:5]
	s_waitcnt lgkmcnt(0)
	s_barrier
	ds_read2_b64 v[136:139], v252 offset1:1
	v_cmp_lt_u32_e32 vcc, 34, v254
	s_and_saveexec_b64 s[2:3], vcc
	s_cbranch_execz .LBB125_426
; %bb.425:
	scratch_load_dwordx4 v[0:3], off, off offset:544
	s_waitcnt vmcnt(0) lgkmcnt(0)
	v_mul_f64 v[4:5], v[138:139], v[2:3]
	v_mul_f64 v[142:143], v[136:137], v[2:3]
	v_fma_f64 v[140:141], v[136:137], v[0:1], -v[4:5]
	v_fmac_f64_e32 v[142:143], v[138:139], v[0:1]
	ds_read2_b64 v[0:3], v248 offset0:70 offset1:71
	scratch_store_dwordx4 off, v[140:143], off offset:544
	s_waitcnt lgkmcnt(0)
	v_mul_f64 v[4:5], v[2:3], v[142:143]
	v_mul_f64 v[6:7], v[0:1], v[142:143]
	v_fma_f64 v[4:5], v[0:1], v[140:141], -v[4:5]
	v_fmac_f64_e32 v[6:7], v[2:3], v[140:141]
	scratch_load_dwordx4 v[0:3], off, off offset:560
	s_waitcnt vmcnt(0)
	v_add_f64 v[0:1], v[0:1], -v[4:5]
	v_add_f64 v[2:3], v[2:3], -v[6:7]
	scratch_store_dwordx4 off, v[0:3], off offset:560
	ds_read2_b64 v[0:3], v248 offset0:72 offset1:73
	s_waitcnt lgkmcnt(0)
	v_mul_f64 v[4:5], v[2:3], v[142:143]
	v_mul_f64 v[6:7], v[0:1], v[142:143]
	v_fma_f64 v[4:5], v[0:1], v[140:141], -v[4:5]
	v_fmac_f64_e32 v[6:7], v[2:3], v[140:141]
	scratch_load_dwordx4 v[0:3], off, off offset:576
	s_waitcnt vmcnt(0)
	v_add_f64 v[0:1], v[0:1], -v[4:5]
	v_add_f64 v[2:3], v[2:3], -v[6:7]
	scratch_store_dwordx4 off, v[0:3], off offset:576
	ds_read2_b64 v[0:3], v248 offset0:74 offset1:75
	s_waitcnt lgkmcnt(0)
	v_mul_f64 v[4:5], v[2:3], v[142:143]
	v_mul_f64 v[6:7], v[0:1], v[142:143]
	v_fma_f64 v[4:5], v[0:1], v[140:141], -v[4:5]
	v_fmac_f64_e32 v[6:7], v[2:3], v[140:141]
	scratch_load_dwordx4 v[0:3], off, off offset:592
	s_waitcnt vmcnt(0)
	v_add_f64 v[0:1], v[0:1], -v[4:5]
	v_add_f64 v[2:3], v[2:3], -v[6:7]
	scratch_store_dwordx4 off, v[0:3], off offset:592
	ds_read2_b64 v[0:3], v248 offset0:76 offset1:77
	s_waitcnt lgkmcnt(0)
	v_mul_f64 v[4:5], v[2:3], v[142:143]
	v_mul_f64 v[6:7], v[0:1], v[142:143]
	v_fma_f64 v[4:5], v[0:1], v[140:141], -v[4:5]
	v_fmac_f64_e32 v[6:7], v[2:3], v[140:141]
	scratch_load_dwordx4 v[0:3], off, off offset:608
	s_waitcnt vmcnt(0)
	v_add_f64 v[0:1], v[0:1], -v[4:5]
	v_add_f64 v[2:3], v[2:3], -v[6:7]
	scratch_store_dwordx4 off, v[0:3], off offset:608
	ds_read2_b64 v[0:3], v248 offset0:78 offset1:79
	s_waitcnt lgkmcnt(0)
	v_mul_f64 v[4:5], v[2:3], v[142:143]
	v_mul_f64 v[6:7], v[0:1], v[142:143]
	v_fma_f64 v[4:5], v[0:1], v[140:141], -v[4:5]
	v_fmac_f64_e32 v[6:7], v[2:3], v[140:141]
	scratch_load_dwordx4 v[0:3], off, off offset:624
	s_waitcnt vmcnt(0)
	v_add_f64 v[0:1], v[0:1], -v[4:5]
	v_add_f64 v[2:3], v[2:3], -v[6:7]
	scratch_store_dwordx4 off, v[0:3], off offset:624
	ds_read2_b64 v[0:3], v248 offset0:80 offset1:81
	s_waitcnt lgkmcnt(0)
	v_mul_f64 v[4:5], v[2:3], v[142:143]
	v_mul_f64 v[6:7], v[0:1], v[142:143]
	v_fma_f64 v[4:5], v[0:1], v[140:141], -v[4:5]
	v_fmac_f64_e32 v[6:7], v[2:3], v[140:141]
	scratch_load_dwordx4 v[0:3], off, off offset:640
	s_waitcnt vmcnt(0)
	v_add_f64 v[0:1], v[0:1], -v[4:5]
	v_add_f64 v[2:3], v[2:3], -v[6:7]
	scratch_store_dwordx4 off, v[0:3], off offset:640
	ds_read2_b64 v[0:3], v248 offset0:82 offset1:83
	scratch_load_dwordx2 v[4:5], off, off offset:544
	scratch_load_dwordx4 v[140:143], off, off offset:544
	s_waitcnt vmcnt(0) lgkmcnt(0)
	v_mul_f64 v[6:7], v[2:3], v[142:143]
	v_mul_f64 v[144:145], v[0:1], v[142:143]
	v_fma_f64 v[6:7], v[0:1], v[4:5], -v[6:7]
	v_fmac_f64_e32 v[144:145], v[2:3], v[4:5]
	scratch_load_dwordx4 v[0:3], off, off offset:656
	s_waitcnt vmcnt(0)
	v_add_f64 v[0:1], v[0:1], -v[6:7]
	v_add_f64 v[2:3], v[2:3], -v[144:145]
	scratch_store_dwordx4 off, v[0:3], off offset:656
	ds_read2_b64 v[0:3], v248 offset0:84 offset1:85
	s_waitcnt lgkmcnt(0)
	v_mul_f64 v[6:7], v[2:3], v[142:143]
	v_mul_f64 v[144:145], v[0:1], v[142:143]
	v_fma_f64 v[6:7], v[0:1], v[4:5], -v[6:7]
	v_fmac_f64_e32 v[144:145], v[2:3], v[4:5]
	scratch_load_dwordx4 v[0:3], off, off offset:672
	s_waitcnt vmcnt(0)
	v_add_f64 v[0:1], v[0:1], -v[6:7]
	v_add_f64 v[2:3], v[2:3], -v[144:145]
	scratch_store_dwordx4 off, v[0:3], off offset:672
	ds_read2_b64 v[0:3], v248 offset0:86 offset1:87
	s_waitcnt lgkmcnt(0)
	;; [unrolled: 11-line block ×5, first 2 shown]
	v_mul_f64 v[6:7], v[2:3], v[142:143]
	v_mul_f64 v[142:143], v[0:1], v[142:143]
	v_fma_f64 v[6:7], v[0:1], v[4:5], -v[6:7]
	v_fmac_f64_e32 v[142:143], v[2:3], v[4:5]
	scratch_load_dwordx4 v[0:3], off, off offset:736
	s_waitcnt vmcnt(0)
	v_add_f64 v[0:1], v[0:1], -v[6:7]
	v_add_f64 v[2:3], v[2:3], -v[142:143]
	scratch_store_dwordx4 off, v[0:3], off offset:736
	ds_read2_b64 v[0:3], v248 offset0:94 offset1:95
	scratch_load_dwordx2 v[142:143], off, off offset:544
	scratch_load_dwordx2 v[4:5], off, off offset:552
	s_waitcnt vmcnt(0) lgkmcnt(0)
	v_mul_f64 v[6:7], v[2:3], v[4:5]
	v_mul_f64 v[144:145], v[0:1], v[4:5]
	v_fma_f64 v[6:7], v[0:1], v[142:143], -v[6:7]
	v_fmac_f64_e32 v[144:145], v[2:3], v[142:143]
	scratch_load_dwordx4 v[0:3], off, off offset:752
	s_waitcnt vmcnt(0)
	v_add_f64 v[0:1], v[0:1], -v[6:7]
	v_add_f64 v[2:3], v[2:3], -v[144:145]
	scratch_store_dwordx4 off, v[0:3], off offset:752
	ds_read2_b64 v[0:3], v248 offset0:96 offset1:97
	s_waitcnt lgkmcnt(0)
	v_mul_f64 v[6:7], v[2:3], v[4:5]
	v_mul_f64 v[144:145], v[0:1], v[4:5]
	v_fma_f64 v[6:7], v[0:1], v[142:143], -v[6:7]
	v_fmac_f64_e32 v[144:145], v[2:3], v[142:143]
	scratch_load_dwordx4 v[0:3], off, off offset:768
	s_waitcnt vmcnt(0)
	v_add_f64 v[0:1], v[0:1], -v[6:7]
	v_add_f64 v[2:3], v[2:3], -v[144:145]
	scratch_store_dwordx4 off, v[0:3], off offset:768
	ds_read2_b64 v[0:3], v248 offset0:98 offset1:99
	s_waitcnt lgkmcnt(0)
	;; [unrolled: 11-line block ×5, first 2 shown]
	v_mul_f64 v[6:7], v[2:3], v[4:5]
	v_mul_f64 v[4:5], v[0:1], v[4:5]
	v_fma_f64 v[6:7], v[0:1], v[142:143], -v[6:7]
	v_fmac_f64_e32 v[4:5], v[2:3], v[142:143]
	scratch_load_dwordx4 v[0:3], off, off offset:832
	s_waitcnt vmcnt(0)
	v_add_f64 v[0:1], v[0:1], -v[6:7]
	v_add_f64 v[2:3], v[2:3], -v[4:5]
	scratch_store_dwordx4 off, v[0:3], off offset:832
	ds_read2_b64 v[0:3], v248 offset0:106 offset1:107
	scratch_load_dwordx2 v[4:5], off, off offset:544
	scratch_load_dwordx2 v[6:7], off, off offset:552
	s_waitcnt vmcnt(0) lgkmcnt(0)
	v_mul_f64 v[142:143], v[2:3], v[6:7]
	v_mul_f64 v[144:145], v[0:1], v[6:7]
	v_fma_f64 v[142:143], v[0:1], v[4:5], -v[142:143]
	v_fmac_f64_e32 v[144:145], v[2:3], v[4:5]
	scratch_load_dwordx4 v[0:3], off, off offset:848
	s_waitcnt vmcnt(0)
	v_add_f64 v[0:1], v[0:1], -v[142:143]
	v_add_f64 v[2:3], v[2:3], -v[144:145]
	scratch_store_dwordx4 off, v[0:3], off offset:848
	ds_read2_b64 v[0:3], v248 offset0:108 offset1:109
	s_waitcnt lgkmcnt(0)
	v_mul_f64 v[142:143], v[2:3], v[6:7]
	v_mul_f64 v[144:145], v[0:1], v[6:7]
	v_fma_f64 v[142:143], v[0:1], v[4:5], -v[142:143]
	v_fmac_f64_e32 v[144:145], v[2:3], v[4:5]
	scratch_load_dwordx4 v[0:3], off, off offset:864
	s_waitcnt vmcnt(0)
	v_add_f64 v[0:1], v[0:1], -v[142:143]
	v_add_f64 v[2:3], v[2:3], -v[144:145]
	scratch_store_dwordx4 off, v[0:3], off offset:864
	ds_read2_b64 v[0:3], v248 offset0:110 offset1:111
	s_waitcnt lgkmcnt(0)
	;; [unrolled: 11-line block ×5, first 2 shown]
	v_mul_f64 v[142:143], v[2:3], v[6:7]
	v_mul_f64 v[6:7], v[0:1], v[6:7]
	v_fma_f64 v[142:143], v[0:1], v[4:5], -v[142:143]
	v_fmac_f64_e32 v[6:7], v[2:3], v[4:5]
	scratch_load_dwordx4 v[0:3], off, off offset:928
	s_waitcnt vmcnt(0)
	v_add_f64 v[0:1], v[0:1], -v[142:143]
	scratch_load_dwordx2 v[142:143], off, off offset:552
	v_add_f64 v[2:3], v[2:3], -v[6:7]
	scratch_store_dwordx4 off, v[0:3], off offset:928
	ds_read2_b64 v[0:3], v248 offset0:118 offset1:119
	s_waitcnt vmcnt(1) lgkmcnt(0)
	v_mul_f64 v[4:5], v[2:3], v[142:143]
	v_mul_f64 v[6:7], v[0:1], v[142:143]
	v_fma_f64 v[4:5], v[0:1], v[140:141], -v[4:5]
	v_fmac_f64_e32 v[6:7], v[2:3], v[140:141]
	scratch_load_dwordx4 v[0:3], off, off offset:944
	s_waitcnt vmcnt(0)
	v_add_f64 v[0:1], v[0:1], -v[4:5]
	v_add_f64 v[2:3], v[2:3], -v[6:7]
	scratch_store_dwordx4 off, v[0:3], off offset:944
	ds_read2_b64 v[0:3], v248 offset0:120 offset1:121
	s_waitcnt lgkmcnt(0)
	v_mul_f64 v[4:5], v[2:3], v[142:143]
	v_mul_f64 v[146:147], v[0:1], v[142:143]
	v_fma_f64 v[144:145], v[0:1], v[140:141], -v[4:5]
	v_fmac_f64_e32 v[146:147], v[2:3], v[140:141]
	scratch_load_dwordx4 v[0:3], off, off offset:960
	s_waitcnt vmcnt(0)
	v_add_f64 v[0:1], v[0:1], -v[144:145]
	v_add_f64 v[2:3], v[2:3], -v[146:147]
	scratch_store_dwordx4 off, v[0:3], off offset:960
	ds_read2_b64 v[0:3], v248 offset0:122 offset1:123
	s_waitcnt lgkmcnt(0)
	;; [unrolled: 11-line block ×3, first 2 shown]
	v_mul_f64 v[4:5], v[2:3], v[142:143]
	v_mul_f64 v[142:143], v[0:1], v[142:143]
	v_fma_f64 v[144:145], v[0:1], v[140:141], -v[4:5]
	v_fmac_f64_e32 v[142:143], v[2:3], v[140:141]
	scratch_load_dwordx4 v[0:3], off, off offset:992
	s_waitcnt vmcnt(0)
	v_add_f64 v[0:1], v[0:1], -v[144:145]
	v_add_f64 v[2:3], v[2:3], -v[142:143]
	scratch_store_dwordx4 off, v[0:3], off offset:992
.LBB125_426:
	s_or_b64 exec, exec, s[2:3]
	v_cmp_eq_u32_e32 vcc, 35, v254
	s_waitcnt lgkmcnt(0)
	s_barrier
	s_and_saveexec_b64 s[4:5], vcc
	s_cbranch_execz .LBB125_433
; %bb.427:
	scratch_load_dwordx4 v[0:3], off, s37
	s_waitcnt vmcnt(0)
	ds_write2_b64 v252, v[0:1], v[2:3] offset1:1
	scratch_load_dwordx4 v[0:3], off, s36
	s_waitcnt vmcnt(0)
	ds_write2_b64 v248, v[0:1], v[2:3] offset0:72 offset1:73
	scratch_load_dwordx4 v[0:3], off, s35
	s_waitcnt vmcnt(0)
	ds_write2_b64 v248, v[0:1], v[2:3] offset0:74 offset1:75
	;; [unrolled: 3-line block ×27, first 2 shown]
	ds_read2_b64 v[140:143], v252 offset1:1
	s_waitcnt lgkmcnt(0)
	v_cmp_neq_f64_e32 vcc, 0, v[140:141]
	v_cmp_neq_f64_e64 s[2:3], 0, v[142:143]
	s_or_b64 s[2:3], vcc, s[2:3]
	s_and_b64 exec, exec, s[2:3]
	s_cbranch_execz .LBB125_433
; %bb.428:
	v_cmp_ngt_f64_e64 s[2:3], |v[140:141]|, |v[142:143]|
                                        ; implicit-def: $vgpr0_vgpr1
	s_and_saveexec_b64 s[46:47], s[2:3]
	s_xor_b64 s[2:3], exec, s[46:47]
                                        ; implicit-def: $vgpr2_vgpr3
	s_cbranch_execz .LBB125_430
; %bb.429:
	v_div_scale_f64 v[0:1], s[46:47], v[142:143], v[142:143], v[140:141]
	v_rcp_f64_e32 v[2:3], v[0:1]
	v_div_scale_f64 v[4:5], vcc, v[140:141], v[142:143], v[140:141]
	v_fma_f64 v[6:7], -v[0:1], v[2:3], 1.0
	v_fmac_f64_e32 v[2:3], v[2:3], v[6:7]
	v_fma_f64 v[6:7], -v[0:1], v[2:3], 1.0
	v_fmac_f64_e32 v[2:3], v[2:3], v[6:7]
	v_mul_f64 v[6:7], v[4:5], v[2:3]
	v_fma_f64 v[0:1], -v[0:1], v[6:7], v[4:5]
	v_div_fmas_f64 v[0:1], v[0:1], v[2:3], v[6:7]
	v_div_fixup_f64 v[0:1], v[0:1], v[142:143], v[140:141]
	v_fmac_f64_e32 v[142:143], v[140:141], v[0:1]
	v_div_scale_f64 v[2:3], s[46:47], v[142:143], v[142:143], 1.0
	v_rcp_f64_e32 v[4:5], v[2:3]
	s_nop 0
	v_fma_f64 v[6:7], -v[2:3], v[4:5], 1.0
	v_fmac_f64_e32 v[4:5], v[4:5], v[6:7]
	v_fma_f64 v[6:7], -v[2:3], v[4:5], 1.0
	v_fmac_f64_e32 v[4:5], v[4:5], v[6:7]
	v_div_scale_f64 v[6:7], vcc, 1.0, v[142:143], 1.0
	v_mul_f64 v[140:141], v[6:7], v[4:5]
	v_fma_f64 v[2:3], -v[2:3], v[140:141], v[6:7]
	s_nop 1
	v_div_fmas_f64 v[2:3], v[2:3], v[4:5], v[140:141]
	v_div_fixup_f64 v[2:3], v[2:3], v[142:143], 1.0
	v_mul_f64 v[0:1], v[0:1], v[2:3]
	v_xor_b32_e32 v3, 0x80000000, v3
                                        ; implicit-def: $vgpr140_vgpr141
.LBB125_430:
	s_andn2_saveexec_b64 s[2:3], s[2:3]
	s_cbranch_execz .LBB125_432
; %bb.431:
	v_div_scale_f64 v[0:1], s[46:47], v[140:141], v[140:141], v[142:143]
	v_rcp_f64_e32 v[2:3], v[0:1]
	v_div_scale_f64 v[4:5], vcc, v[142:143], v[140:141], v[142:143]
	v_fma_f64 v[6:7], -v[0:1], v[2:3], 1.0
	v_fmac_f64_e32 v[2:3], v[2:3], v[6:7]
	v_fma_f64 v[6:7], -v[0:1], v[2:3], 1.0
	v_fmac_f64_e32 v[2:3], v[2:3], v[6:7]
	v_mul_f64 v[6:7], v[4:5], v[2:3]
	v_fma_f64 v[0:1], -v[0:1], v[6:7], v[4:5]
	v_div_fmas_f64 v[0:1], v[0:1], v[2:3], v[6:7]
	v_div_fixup_f64 v[2:3], v[0:1], v[140:141], v[142:143]
	v_fmac_f64_e32 v[140:141], v[142:143], v[2:3]
	v_div_scale_f64 v[0:1], s[46:47], v[140:141], v[140:141], 1.0
	v_rcp_f64_e32 v[4:5], v[0:1]
	s_nop 0
	v_fma_f64 v[6:7], -v[0:1], v[4:5], 1.0
	v_fmac_f64_e32 v[4:5], v[4:5], v[6:7]
	v_fma_f64 v[6:7], -v[0:1], v[4:5], 1.0
	v_fmac_f64_e32 v[4:5], v[4:5], v[6:7]
	v_div_scale_f64 v[6:7], vcc, 1.0, v[140:141], 1.0
	v_mul_f64 v[142:143], v[6:7], v[4:5]
	v_fma_f64 v[0:1], -v[0:1], v[142:143], v[6:7]
	s_nop 1
	v_div_fmas_f64 v[0:1], v[0:1], v[4:5], v[142:143]
	v_div_fixup_f64 v[0:1], v[0:1], v[140:141], 1.0
	v_mul_f64 v[2:3], v[2:3], -v[0:1]
.LBB125_432:
	s_or_b64 exec, exec, s[2:3]
	ds_write2_b64 v252, v[0:1], v[2:3] offset1:1
.LBB125_433:
	s_or_b64 exec, exec, s[4:5]
	s_waitcnt lgkmcnt(0)
	s_barrier
	ds_read2_b64 v[140:143], v252 offset1:1
	v_cmp_lt_u32_e32 vcc, 35, v254
	s_and_saveexec_b64 s[2:3], vcc
	s_cbranch_execz .LBB125_435
; %bb.434:
	scratch_load_dwordx4 v[0:3], off, off offset:560
	s_waitcnt vmcnt(0) lgkmcnt(0)
	v_mul_f64 v[4:5], v[142:143], v[2:3]
	v_mul_f64 v[146:147], v[140:141], v[2:3]
	v_fma_f64 v[144:145], v[140:141], v[0:1], -v[4:5]
	v_fmac_f64_e32 v[146:147], v[142:143], v[0:1]
	ds_read2_b64 v[0:3], v248 offset0:72 offset1:73
	scratch_store_dwordx4 off, v[144:147], off offset:560
	s_waitcnt lgkmcnt(0)
	v_mul_f64 v[4:5], v[2:3], v[146:147]
	v_mul_f64 v[6:7], v[0:1], v[146:147]
	v_fma_f64 v[4:5], v[0:1], v[144:145], -v[4:5]
	v_fmac_f64_e32 v[6:7], v[2:3], v[144:145]
	scratch_load_dwordx4 v[0:3], off, off offset:576
	s_waitcnt vmcnt(0)
	v_add_f64 v[0:1], v[0:1], -v[4:5]
	v_add_f64 v[2:3], v[2:3], -v[6:7]
	scratch_store_dwordx4 off, v[0:3], off offset:576
	ds_read2_b64 v[0:3], v248 offset0:74 offset1:75
	s_waitcnt lgkmcnt(0)
	v_mul_f64 v[4:5], v[2:3], v[146:147]
	v_mul_f64 v[6:7], v[0:1], v[146:147]
	v_fma_f64 v[4:5], v[0:1], v[144:145], -v[4:5]
	v_fmac_f64_e32 v[6:7], v[2:3], v[144:145]
	scratch_load_dwordx4 v[0:3], off, off offset:592
	s_waitcnt vmcnt(0)
	v_add_f64 v[0:1], v[0:1], -v[4:5]
	v_add_f64 v[2:3], v[2:3], -v[6:7]
	scratch_store_dwordx4 off, v[0:3], off offset:592
	ds_read2_b64 v[0:3], v248 offset0:76 offset1:77
	;; [unrolled: 11-line block ×6, first 2 shown]
	scratch_load_dwordx2 v[148:149], off, off offset:560
	scratch_load_dwordx4 v[144:147], off, off offset:560
	s_waitcnt vmcnt(0) lgkmcnt(0)
	v_mul_f64 v[4:5], v[2:3], v[146:147]
	v_mul_f64 v[6:7], v[0:1], v[146:147]
	v_fma_f64 v[4:5], v[0:1], v[148:149], -v[4:5]
	v_fmac_f64_e32 v[6:7], v[2:3], v[148:149]
	scratch_load_dwordx4 v[0:3], off, off offset:672
	s_waitcnt vmcnt(0)
	v_add_f64 v[0:1], v[0:1], -v[4:5]
	v_add_f64 v[2:3], v[2:3], -v[6:7]
	scratch_store_dwordx4 off, v[0:3], off offset:672
	ds_read2_b64 v[0:3], v248 offset0:86 offset1:87
	s_waitcnt lgkmcnt(0)
	v_mul_f64 v[4:5], v[2:3], v[146:147]
	v_mul_f64 v[6:7], v[0:1], v[146:147]
	v_fma_f64 v[4:5], v[0:1], v[148:149], -v[4:5]
	v_fmac_f64_e32 v[6:7], v[2:3], v[148:149]
	scratch_load_dwordx4 v[0:3], off, off offset:688
	s_waitcnt vmcnt(0)
	v_add_f64 v[0:1], v[0:1], -v[4:5]
	v_add_f64 v[2:3], v[2:3], -v[6:7]
	scratch_store_dwordx4 off, v[0:3], off offset:688
	ds_read2_b64 v[0:3], v248 offset0:88 offset1:89
	s_waitcnt lgkmcnt(0)
	;; [unrolled: 11-line block ×5, first 2 shown]
	v_mul_f64 v[4:5], v[2:3], v[146:147]
	v_mul_f64 v[6:7], v[0:1], v[146:147]
	v_fma_f64 v[4:5], v[0:1], v[148:149], -v[4:5]
	v_fmac_f64_e32 v[6:7], v[2:3], v[148:149]
	scratch_load_dwordx4 v[0:3], off, off offset:752
	s_waitcnt vmcnt(0)
	v_add_f64 v[0:1], v[0:1], -v[4:5]
	v_add_f64 v[2:3], v[2:3], -v[6:7]
	scratch_store_dwordx4 off, v[0:3], off offset:752
	ds_read2_b64 v[0:3], v248 offset0:96 offset1:97
	scratch_load_dwordx2 v[146:147], off, off offset:560
	scratch_load_dwordx2 v[4:5], off, off offset:568
	s_waitcnt vmcnt(0) lgkmcnt(0)
	v_mul_f64 v[6:7], v[2:3], v[4:5]
	v_mul_f64 v[148:149], v[0:1], v[4:5]
	v_fma_f64 v[6:7], v[0:1], v[146:147], -v[6:7]
	v_fmac_f64_e32 v[148:149], v[2:3], v[146:147]
	scratch_load_dwordx4 v[0:3], off, off offset:768
	s_waitcnt vmcnt(0)
	v_add_f64 v[0:1], v[0:1], -v[6:7]
	v_add_f64 v[2:3], v[2:3], -v[148:149]
	scratch_store_dwordx4 off, v[0:3], off offset:768
	ds_read2_b64 v[0:3], v248 offset0:98 offset1:99
	s_waitcnt lgkmcnt(0)
	v_mul_f64 v[6:7], v[2:3], v[4:5]
	v_mul_f64 v[148:149], v[0:1], v[4:5]
	v_fma_f64 v[6:7], v[0:1], v[146:147], -v[6:7]
	v_fmac_f64_e32 v[148:149], v[2:3], v[146:147]
	scratch_load_dwordx4 v[0:3], off, off offset:784
	s_waitcnt vmcnt(0)
	v_add_f64 v[0:1], v[0:1], -v[6:7]
	v_add_f64 v[2:3], v[2:3], -v[148:149]
	scratch_store_dwordx4 off, v[0:3], off offset:784
	ds_read2_b64 v[0:3], v248 offset0:100 offset1:101
	s_waitcnt lgkmcnt(0)
	;; [unrolled: 11-line block ×5, first 2 shown]
	v_mul_f64 v[6:7], v[2:3], v[4:5]
	v_mul_f64 v[4:5], v[0:1], v[4:5]
	v_fma_f64 v[6:7], v[0:1], v[146:147], -v[6:7]
	v_fmac_f64_e32 v[4:5], v[2:3], v[146:147]
	scratch_load_dwordx4 v[0:3], off, off offset:848
	s_waitcnt vmcnt(0)
	v_add_f64 v[0:1], v[0:1], -v[6:7]
	v_add_f64 v[2:3], v[2:3], -v[4:5]
	scratch_store_dwordx4 off, v[0:3], off offset:848
	ds_read2_b64 v[0:3], v248 offset0:108 offset1:109
	scratch_load_dwordx2 v[4:5], off, off offset:560
	scratch_load_dwordx2 v[6:7], off, off offset:568
	s_waitcnt vmcnt(0) lgkmcnt(0)
	v_mul_f64 v[146:147], v[2:3], v[6:7]
	v_mul_f64 v[148:149], v[0:1], v[6:7]
	v_fma_f64 v[146:147], v[0:1], v[4:5], -v[146:147]
	v_fmac_f64_e32 v[148:149], v[2:3], v[4:5]
	scratch_load_dwordx4 v[0:3], off, off offset:864
	s_waitcnt vmcnt(0)
	v_add_f64 v[0:1], v[0:1], -v[146:147]
	v_add_f64 v[2:3], v[2:3], -v[148:149]
	scratch_store_dwordx4 off, v[0:3], off offset:864
	ds_read2_b64 v[0:3], v248 offset0:110 offset1:111
	s_waitcnt lgkmcnt(0)
	v_mul_f64 v[146:147], v[2:3], v[6:7]
	v_mul_f64 v[148:149], v[0:1], v[6:7]
	v_fma_f64 v[146:147], v[0:1], v[4:5], -v[146:147]
	v_fmac_f64_e32 v[148:149], v[2:3], v[4:5]
	scratch_load_dwordx4 v[0:3], off, off offset:880
	s_waitcnt vmcnt(0)
	v_add_f64 v[0:1], v[0:1], -v[146:147]
	v_add_f64 v[2:3], v[2:3], -v[148:149]
	scratch_store_dwordx4 off, v[0:3], off offset:880
	ds_read2_b64 v[0:3], v248 offset0:112 offset1:113
	s_waitcnt lgkmcnt(0)
	;; [unrolled: 11-line block ×5, first 2 shown]
	v_mul_f64 v[146:147], v[2:3], v[6:7]
	v_mul_f64 v[6:7], v[0:1], v[6:7]
	v_fma_f64 v[146:147], v[0:1], v[4:5], -v[146:147]
	v_fmac_f64_e32 v[6:7], v[2:3], v[4:5]
	scratch_load_dwordx4 v[0:3], off, off offset:944
	scratch_load_dwordx2 v[4:5], off, off offset:568
	s_waitcnt vmcnt(1)
	v_add_f64 v[0:1], v[0:1], -v[146:147]
	v_add_f64 v[2:3], v[2:3], -v[6:7]
	scratch_store_dwordx4 off, v[0:3], off offset:944
	ds_read2_b64 v[0:3], v248 offset0:120 offset1:121
	s_waitcnt vmcnt(1) lgkmcnt(0)
	v_mul_f64 v[6:7], v[2:3], v[4:5]
	v_mul_f64 v[146:147], v[0:1], v[4:5]
	v_fma_f64 v[6:7], v[0:1], v[144:145], -v[6:7]
	v_fmac_f64_e32 v[146:147], v[2:3], v[144:145]
	scratch_load_dwordx4 v[0:3], off, off offset:960
	s_waitcnt vmcnt(0)
	v_add_f64 v[0:1], v[0:1], -v[6:7]
	v_add_f64 v[2:3], v[2:3], -v[146:147]
	scratch_store_dwordx4 off, v[0:3], off offset:960
	ds_read2_b64 v[0:3], v248 offset0:122 offset1:123
	s_waitcnt lgkmcnt(0)
	v_mul_f64 v[6:7], v[2:3], v[4:5]
	v_mul_f64 v[146:147], v[0:1], v[4:5]
	v_fma_f64 v[6:7], v[0:1], v[144:145], -v[6:7]
	v_fmac_f64_e32 v[146:147], v[2:3], v[144:145]
	scratch_load_dwordx4 v[0:3], off, off offset:976
	s_waitcnt vmcnt(0)
	v_add_f64 v[0:1], v[0:1], -v[6:7]
	v_add_f64 v[2:3], v[2:3], -v[146:147]
	scratch_store_dwordx4 off, v[0:3], off offset:976
	ds_read2_b64 v[0:3], v248 offset0:124 offset1:125
	s_waitcnt lgkmcnt(0)
	v_mul_f64 v[6:7], v[2:3], v[4:5]
	v_mul_f64 v[148:149], v[0:1], v[4:5]
	v_fma_f64 v[146:147], v[0:1], v[144:145], -v[6:7]
	v_fmac_f64_e32 v[148:149], v[2:3], v[144:145]
	scratch_load_dwordx4 v[0:3], off, off offset:992
	s_waitcnt vmcnt(0)
	v_add_f64 v[0:1], v[0:1], -v[146:147]
	v_add_f64 v[2:3], v[2:3], -v[148:149]
	scratch_store_dwordx4 off, v[0:3], off offset:992
.LBB125_435:
	s_or_b64 exec, exec, s[2:3]
	v_cmp_eq_u32_e32 vcc, 36, v254
	s_waitcnt lgkmcnt(0)
	s_barrier
	s_and_saveexec_b64 s[4:5], vcc
	s_cbranch_execz .LBB125_442
; %bb.436:
	scratch_load_dwordx4 v[0:3], off, s36
	s_waitcnt vmcnt(0)
	ds_write2_b64 v252, v[0:1], v[2:3] offset1:1
	scratch_load_dwordx4 v[0:3], off, s35
	s_waitcnt vmcnt(0)
	ds_write2_b64 v248, v[0:1], v[2:3] offset0:74 offset1:75
	scratch_load_dwordx4 v[0:3], off, s34
	s_waitcnt vmcnt(0)
	ds_write2_b64 v248, v[0:1], v[2:3] offset0:76 offset1:77
	;; [unrolled: 3-line block ×26, first 2 shown]
	ds_read2_b64 v[144:147], v252 offset1:1
	s_waitcnt lgkmcnt(0)
	v_cmp_neq_f64_e32 vcc, 0, v[144:145]
	v_cmp_neq_f64_e64 s[2:3], 0, v[146:147]
	s_or_b64 s[2:3], vcc, s[2:3]
	s_and_b64 exec, exec, s[2:3]
	s_cbranch_execz .LBB125_442
; %bb.437:
	v_cmp_ngt_f64_e64 s[2:3], |v[144:145]|, |v[146:147]|
                                        ; implicit-def: $vgpr0_vgpr1
	s_and_saveexec_b64 s[46:47], s[2:3]
	s_xor_b64 s[2:3], exec, s[46:47]
                                        ; implicit-def: $vgpr2_vgpr3
	s_cbranch_execz .LBB125_439
; %bb.438:
	v_div_scale_f64 v[0:1], s[46:47], v[146:147], v[146:147], v[144:145]
	v_rcp_f64_e32 v[2:3], v[0:1]
	v_div_scale_f64 v[4:5], vcc, v[144:145], v[146:147], v[144:145]
	v_fma_f64 v[6:7], -v[0:1], v[2:3], 1.0
	v_fmac_f64_e32 v[2:3], v[2:3], v[6:7]
	v_fma_f64 v[6:7], -v[0:1], v[2:3], 1.0
	v_fmac_f64_e32 v[2:3], v[2:3], v[6:7]
	v_mul_f64 v[6:7], v[4:5], v[2:3]
	v_fma_f64 v[0:1], -v[0:1], v[6:7], v[4:5]
	v_div_fmas_f64 v[0:1], v[0:1], v[2:3], v[6:7]
	v_div_fixup_f64 v[0:1], v[0:1], v[146:147], v[144:145]
	v_fmac_f64_e32 v[146:147], v[144:145], v[0:1]
	v_div_scale_f64 v[2:3], s[46:47], v[146:147], v[146:147], 1.0
	v_rcp_f64_e32 v[4:5], v[2:3]
	s_nop 0
	v_fma_f64 v[6:7], -v[2:3], v[4:5], 1.0
	v_fmac_f64_e32 v[4:5], v[4:5], v[6:7]
	v_fma_f64 v[6:7], -v[2:3], v[4:5], 1.0
	v_fmac_f64_e32 v[4:5], v[4:5], v[6:7]
	v_div_scale_f64 v[6:7], vcc, 1.0, v[146:147], 1.0
	v_mul_f64 v[144:145], v[6:7], v[4:5]
	v_fma_f64 v[2:3], -v[2:3], v[144:145], v[6:7]
	s_nop 1
	v_div_fmas_f64 v[2:3], v[2:3], v[4:5], v[144:145]
	v_div_fixup_f64 v[2:3], v[2:3], v[146:147], 1.0
	v_mul_f64 v[0:1], v[0:1], v[2:3]
	v_xor_b32_e32 v3, 0x80000000, v3
                                        ; implicit-def: $vgpr144_vgpr145
.LBB125_439:
	s_andn2_saveexec_b64 s[2:3], s[2:3]
	s_cbranch_execz .LBB125_441
; %bb.440:
	v_div_scale_f64 v[0:1], s[46:47], v[144:145], v[144:145], v[146:147]
	v_rcp_f64_e32 v[2:3], v[0:1]
	v_div_scale_f64 v[4:5], vcc, v[146:147], v[144:145], v[146:147]
	v_fma_f64 v[6:7], -v[0:1], v[2:3], 1.0
	v_fmac_f64_e32 v[2:3], v[2:3], v[6:7]
	v_fma_f64 v[6:7], -v[0:1], v[2:3], 1.0
	v_fmac_f64_e32 v[2:3], v[2:3], v[6:7]
	v_mul_f64 v[6:7], v[4:5], v[2:3]
	v_fma_f64 v[0:1], -v[0:1], v[6:7], v[4:5]
	v_div_fmas_f64 v[0:1], v[0:1], v[2:3], v[6:7]
	v_div_fixup_f64 v[2:3], v[0:1], v[144:145], v[146:147]
	v_fmac_f64_e32 v[144:145], v[146:147], v[2:3]
	v_div_scale_f64 v[0:1], s[46:47], v[144:145], v[144:145], 1.0
	v_rcp_f64_e32 v[4:5], v[0:1]
	s_nop 0
	v_fma_f64 v[6:7], -v[0:1], v[4:5], 1.0
	v_fmac_f64_e32 v[4:5], v[4:5], v[6:7]
	v_fma_f64 v[6:7], -v[0:1], v[4:5], 1.0
	v_fmac_f64_e32 v[4:5], v[4:5], v[6:7]
	v_div_scale_f64 v[6:7], vcc, 1.0, v[144:145], 1.0
	v_mul_f64 v[146:147], v[6:7], v[4:5]
	v_fma_f64 v[0:1], -v[0:1], v[146:147], v[6:7]
	s_nop 1
	v_div_fmas_f64 v[0:1], v[0:1], v[4:5], v[146:147]
	v_div_fixup_f64 v[0:1], v[0:1], v[144:145], 1.0
	v_mul_f64 v[2:3], v[2:3], -v[0:1]
.LBB125_441:
	s_or_b64 exec, exec, s[2:3]
	ds_write2_b64 v252, v[0:1], v[2:3] offset1:1
.LBB125_442:
	s_or_b64 exec, exec, s[4:5]
	s_waitcnt lgkmcnt(0)
	s_barrier
	ds_read2_b64 v[144:147], v252 offset1:1
	v_cmp_lt_u32_e32 vcc, 36, v254
	s_and_saveexec_b64 s[2:3], vcc
	s_cbranch_execz .LBB125_444
; %bb.443:
	scratch_load_dwordx4 v[0:3], off, off offset:576
	s_waitcnt vmcnt(0) lgkmcnt(0)
	v_mul_f64 v[4:5], v[146:147], v[2:3]
	v_mul_f64 v[150:151], v[144:145], v[2:3]
	v_fma_f64 v[148:149], v[144:145], v[0:1], -v[4:5]
	v_fmac_f64_e32 v[150:151], v[146:147], v[0:1]
	ds_read2_b64 v[0:3], v248 offset0:74 offset1:75
	scratch_store_dwordx4 off, v[148:151], off offset:576
	s_waitcnt lgkmcnt(0)
	v_mul_f64 v[4:5], v[2:3], v[150:151]
	v_mul_f64 v[6:7], v[0:1], v[150:151]
	v_fma_f64 v[4:5], v[0:1], v[148:149], -v[4:5]
	v_fmac_f64_e32 v[6:7], v[2:3], v[148:149]
	scratch_load_dwordx4 v[0:3], off, off offset:592
	s_waitcnt vmcnt(0)
	v_add_f64 v[0:1], v[0:1], -v[4:5]
	v_add_f64 v[2:3], v[2:3], -v[6:7]
	scratch_store_dwordx4 off, v[0:3], off offset:592
	ds_read2_b64 v[0:3], v248 offset0:76 offset1:77
	s_waitcnt lgkmcnt(0)
	v_mul_f64 v[4:5], v[2:3], v[150:151]
	v_mul_f64 v[6:7], v[0:1], v[150:151]
	v_fma_f64 v[4:5], v[0:1], v[148:149], -v[4:5]
	v_fmac_f64_e32 v[6:7], v[2:3], v[148:149]
	scratch_load_dwordx4 v[0:3], off, off offset:608
	s_waitcnt vmcnt(0)
	v_add_f64 v[0:1], v[0:1], -v[4:5]
	v_add_f64 v[2:3], v[2:3], -v[6:7]
	scratch_store_dwordx4 off, v[0:3], off offset:608
	ds_read2_b64 v[0:3], v248 offset0:78 offset1:79
	;; [unrolled: 11-line block ×6, first 2 shown]
	scratch_load_dwordx2 v[152:153], off, off offset:576
	scratch_load_dwordx4 v[148:151], off, off offset:576
	s_waitcnt vmcnt(0) lgkmcnt(0)
	v_mul_f64 v[4:5], v[2:3], v[150:151]
	v_mul_f64 v[6:7], v[0:1], v[150:151]
	v_fma_f64 v[4:5], v[0:1], v[152:153], -v[4:5]
	v_fmac_f64_e32 v[6:7], v[2:3], v[152:153]
	scratch_load_dwordx4 v[0:3], off, off offset:688
	s_waitcnt vmcnt(0)
	v_add_f64 v[0:1], v[0:1], -v[4:5]
	v_add_f64 v[2:3], v[2:3], -v[6:7]
	scratch_store_dwordx4 off, v[0:3], off offset:688
	ds_read2_b64 v[0:3], v248 offset0:88 offset1:89
	s_waitcnt lgkmcnt(0)
	v_mul_f64 v[4:5], v[2:3], v[150:151]
	v_mul_f64 v[6:7], v[0:1], v[150:151]
	v_fma_f64 v[4:5], v[0:1], v[152:153], -v[4:5]
	v_fmac_f64_e32 v[6:7], v[2:3], v[152:153]
	scratch_load_dwordx4 v[0:3], off, off offset:704
	s_waitcnt vmcnt(0)
	v_add_f64 v[0:1], v[0:1], -v[4:5]
	v_add_f64 v[2:3], v[2:3], -v[6:7]
	scratch_store_dwordx4 off, v[0:3], off offset:704
	ds_read2_b64 v[0:3], v248 offset0:90 offset1:91
	s_waitcnt lgkmcnt(0)
	;; [unrolled: 11-line block ×5, first 2 shown]
	v_mul_f64 v[4:5], v[2:3], v[150:151]
	v_mul_f64 v[6:7], v[0:1], v[150:151]
	v_fma_f64 v[4:5], v[0:1], v[152:153], -v[4:5]
	v_fmac_f64_e32 v[6:7], v[2:3], v[152:153]
	scratch_load_dwordx4 v[0:3], off, off offset:768
	s_waitcnt vmcnt(0)
	v_add_f64 v[0:1], v[0:1], -v[4:5]
	v_add_f64 v[2:3], v[2:3], -v[6:7]
	scratch_store_dwordx4 off, v[0:3], off offset:768
	ds_read2_b64 v[0:3], v248 offset0:98 offset1:99
	scratch_load_dwordx2 v[150:151], off, off offset:576
	scratch_load_dwordx2 v[4:5], off, off offset:584
	s_waitcnt vmcnt(0) lgkmcnt(0)
	v_mul_f64 v[6:7], v[2:3], v[4:5]
	v_mul_f64 v[152:153], v[0:1], v[4:5]
	v_fma_f64 v[6:7], v[0:1], v[150:151], -v[6:7]
	v_fmac_f64_e32 v[152:153], v[2:3], v[150:151]
	scratch_load_dwordx4 v[0:3], off, off offset:784
	s_waitcnt vmcnt(0)
	v_add_f64 v[0:1], v[0:1], -v[6:7]
	v_add_f64 v[2:3], v[2:3], -v[152:153]
	scratch_store_dwordx4 off, v[0:3], off offset:784
	ds_read2_b64 v[0:3], v248 offset0:100 offset1:101
	s_waitcnt lgkmcnt(0)
	v_mul_f64 v[6:7], v[2:3], v[4:5]
	v_mul_f64 v[152:153], v[0:1], v[4:5]
	v_fma_f64 v[6:7], v[0:1], v[150:151], -v[6:7]
	v_fmac_f64_e32 v[152:153], v[2:3], v[150:151]
	scratch_load_dwordx4 v[0:3], off, off offset:800
	s_waitcnt vmcnt(0)
	v_add_f64 v[0:1], v[0:1], -v[6:7]
	v_add_f64 v[2:3], v[2:3], -v[152:153]
	scratch_store_dwordx4 off, v[0:3], off offset:800
	ds_read2_b64 v[0:3], v248 offset0:102 offset1:103
	s_waitcnt lgkmcnt(0)
	;; [unrolled: 11-line block ×5, first 2 shown]
	v_mul_f64 v[6:7], v[2:3], v[4:5]
	v_mul_f64 v[4:5], v[0:1], v[4:5]
	v_fma_f64 v[6:7], v[0:1], v[150:151], -v[6:7]
	v_fmac_f64_e32 v[4:5], v[2:3], v[150:151]
	scratch_load_dwordx4 v[0:3], off, off offset:864
	s_waitcnt vmcnt(0)
	v_add_f64 v[0:1], v[0:1], -v[6:7]
	v_add_f64 v[2:3], v[2:3], -v[4:5]
	scratch_store_dwordx4 off, v[0:3], off offset:864
	ds_read2_b64 v[0:3], v248 offset0:110 offset1:111
	scratch_load_dwordx2 v[4:5], off, off offset:576
	scratch_load_dwordx2 v[6:7], off, off offset:584
	s_waitcnt vmcnt(0) lgkmcnt(0)
	v_mul_f64 v[150:151], v[2:3], v[6:7]
	v_mul_f64 v[152:153], v[0:1], v[6:7]
	v_fma_f64 v[150:151], v[0:1], v[4:5], -v[150:151]
	v_fmac_f64_e32 v[152:153], v[2:3], v[4:5]
	scratch_load_dwordx4 v[0:3], off, off offset:880
	s_waitcnt vmcnt(0)
	v_add_f64 v[0:1], v[0:1], -v[150:151]
	v_add_f64 v[2:3], v[2:3], -v[152:153]
	scratch_store_dwordx4 off, v[0:3], off offset:880
	ds_read2_b64 v[0:3], v248 offset0:112 offset1:113
	s_waitcnt lgkmcnt(0)
	v_mul_f64 v[150:151], v[2:3], v[6:7]
	v_mul_f64 v[152:153], v[0:1], v[6:7]
	v_fma_f64 v[150:151], v[0:1], v[4:5], -v[150:151]
	v_fmac_f64_e32 v[152:153], v[2:3], v[4:5]
	scratch_load_dwordx4 v[0:3], off, off offset:896
	s_waitcnt vmcnt(0)
	v_add_f64 v[0:1], v[0:1], -v[150:151]
	v_add_f64 v[2:3], v[2:3], -v[152:153]
	scratch_store_dwordx4 off, v[0:3], off offset:896
	ds_read2_b64 v[0:3], v248 offset0:114 offset1:115
	s_waitcnt lgkmcnt(0)
	;; [unrolled: 11-line block ×5, first 2 shown]
	v_mul_f64 v[150:151], v[2:3], v[6:7]
	v_mul_f64 v[6:7], v[0:1], v[6:7]
	v_fma_f64 v[150:151], v[0:1], v[4:5], -v[150:151]
	v_fmac_f64_e32 v[6:7], v[2:3], v[4:5]
	scratch_load_dwordx4 v[0:3], off, off offset:960
	scratch_load_dwordx2 v[4:5], off, off offset:584
	s_waitcnt vmcnt(1)
	v_add_f64 v[0:1], v[0:1], -v[150:151]
	v_add_f64 v[2:3], v[2:3], -v[6:7]
	scratch_store_dwordx4 off, v[0:3], off offset:960
	ds_read2_b64 v[0:3], v248 offset0:122 offset1:123
	s_waitcnt vmcnt(1) lgkmcnt(0)
	v_mul_f64 v[6:7], v[2:3], v[4:5]
	v_mul_f64 v[150:151], v[0:1], v[4:5]
	v_fma_f64 v[6:7], v[0:1], v[148:149], -v[6:7]
	v_fmac_f64_e32 v[150:151], v[2:3], v[148:149]
	scratch_load_dwordx4 v[0:3], off, off offset:976
	s_waitcnt vmcnt(0)
	v_add_f64 v[0:1], v[0:1], -v[6:7]
	v_add_f64 v[2:3], v[2:3], -v[150:151]
	scratch_store_dwordx4 off, v[0:3], off offset:976
	ds_read2_b64 v[0:3], v248 offset0:124 offset1:125
	s_waitcnt lgkmcnt(0)
	v_mul_f64 v[6:7], v[2:3], v[4:5]
	v_mul_f64 v[154:155], v[0:1], v[4:5]
	v_fma_f64 v[152:153], v[0:1], v[148:149], -v[6:7]
	v_fmac_f64_e32 v[154:155], v[2:3], v[148:149]
	scratch_load_dwordx4 v[148:151], off, off offset:992
	s_waitcnt vmcnt(0)
	v_add_f64 v[0:1], v[148:149], -v[152:153]
	v_add_f64 v[2:3], v[150:151], -v[154:155]
	scratch_store_dwordx4 off, v[0:3], off offset:992
.LBB125_444:
	s_or_b64 exec, exec, s[2:3]
	v_cmp_eq_u32_e32 vcc, 37, v254
	s_waitcnt lgkmcnt(0)
	s_barrier
	s_and_saveexec_b64 s[4:5], vcc
	s_cbranch_execz .LBB125_451
; %bb.445:
	scratch_load_dwordx4 v[0:3], off, s35
	s_waitcnt vmcnt(0)
	ds_write2_b64 v252, v[0:1], v[2:3] offset1:1
	scratch_load_dwordx4 v[0:3], off, s34
	s_waitcnt vmcnt(0)
	ds_write2_b64 v248, v[0:1], v[2:3] offset0:76 offset1:77
	scratch_load_dwordx4 v[0:3], off, s33
	s_waitcnt vmcnt(0)
	ds_write2_b64 v248, v[0:1], v[2:3] offset0:78 offset1:79
	;; [unrolled: 3-line block ×25, first 2 shown]
	ds_read2_b64 v[148:151], v252 offset1:1
	s_waitcnt lgkmcnt(0)
	v_cmp_neq_f64_e32 vcc, 0, v[148:149]
	v_cmp_neq_f64_e64 s[2:3], 0, v[150:151]
	s_or_b64 s[2:3], vcc, s[2:3]
	s_and_b64 exec, exec, s[2:3]
	s_cbranch_execz .LBB125_451
; %bb.446:
	v_cmp_ngt_f64_e64 s[2:3], |v[148:149]|, |v[150:151]|
                                        ; implicit-def: $vgpr0_vgpr1
	s_and_saveexec_b64 s[46:47], s[2:3]
	s_xor_b64 s[2:3], exec, s[46:47]
                                        ; implicit-def: $vgpr2_vgpr3
	s_cbranch_execz .LBB125_448
; %bb.447:
	v_div_scale_f64 v[0:1], s[46:47], v[150:151], v[150:151], v[148:149]
	v_rcp_f64_e32 v[2:3], v[0:1]
	v_div_scale_f64 v[4:5], vcc, v[148:149], v[150:151], v[148:149]
	v_fma_f64 v[6:7], -v[0:1], v[2:3], 1.0
	v_fmac_f64_e32 v[2:3], v[2:3], v[6:7]
	v_fma_f64 v[6:7], -v[0:1], v[2:3], 1.0
	v_fmac_f64_e32 v[2:3], v[2:3], v[6:7]
	v_mul_f64 v[6:7], v[4:5], v[2:3]
	v_fma_f64 v[0:1], -v[0:1], v[6:7], v[4:5]
	v_div_fmas_f64 v[0:1], v[0:1], v[2:3], v[6:7]
	v_div_fixup_f64 v[0:1], v[0:1], v[150:151], v[148:149]
	v_fmac_f64_e32 v[150:151], v[148:149], v[0:1]
	v_div_scale_f64 v[2:3], s[46:47], v[150:151], v[150:151], 1.0
	v_rcp_f64_e32 v[4:5], v[2:3]
	s_nop 0
	v_fma_f64 v[6:7], -v[2:3], v[4:5], 1.0
	v_fmac_f64_e32 v[4:5], v[4:5], v[6:7]
	v_fma_f64 v[6:7], -v[2:3], v[4:5], 1.0
	v_fmac_f64_e32 v[4:5], v[4:5], v[6:7]
	v_div_scale_f64 v[6:7], vcc, 1.0, v[150:151], 1.0
	v_mul_f64 v[148:149], v[6:7], v[4:5]
	v_fma_f64 v[2:3], -v[2:3], v[148:149], v[6:7]
	s_nop 1
	v_div_fmas_f64 v[2:3], v[2:3], v[4:5], v[148:149]
	v_div_fixup_f64 v[2:3], v[2:3], v[150:151], 1.0
	v_mul_f64 v[0:1], v[0:1], v[2:3]
	v_xor_b32_e32 v3, 0x80000000, v3
                                        ; implicit-def: $vgpr148_vgpr149
.LBB125_448:
	s_andn2_saveexec_b64 s[2:3], s[2:3]
	s_cbranch_execz .LBB125_450
; %bb.449:
	v_div_scale_f64 v[0:1], s[46:47], v[148:149], v[148:149], v[150:151]
	v_rcp_f64_e32 v[2:3], v[0:1]
	v_div_scale_f64 v[4:5], vcc, v[150:151], v[148:149], v[150:151]
	v_fma_f64 v[6:7], -v[0:1], v[2:3], 1.0
	v_fmac_f64_e32 v[2:3], v[2:3], v[6:7]
	v_fma_f64 v[6:7], -v[0:1], v[2:3], 1.0
	v_fmac_f64_e32 v[2:3], v[2:3], v[6:7]
	v_mul_f64 v[6:7], v[4:5], v[2:3]
	v_fma_f64 v[0:1], -v[0:1], v[6:7], v[4:5]
	v_div_fmas_f64 v[0:1], v[0:1], v[2:3], v[6:7]
	v_div_fixup_f64 v[2:3], v[0:1], v[148:149], v[150:151]
	v_fmac_f64_e32 v[148:149], v[150:151], v[2:3]
	v_div_scale_f64 v[0:1], s[46:47], v[148:149], v[148:149], 1.0
	v_rcp_f64_e32 v[4:5], v[0:1]
	s_nop 0
	v_fma_f64 v[6:7], -v[0:1], v[4:5], 1.0
	v_fmac_f64_e32 v[4:5], v[4:5], v[6:7]
	v_fma_f64 v[6:7], -v[0:1], v[4:5], 1.0
	v_fmac_f64_e32 v[4:5], v[4:5], v[6:7]
	v_div_scale_f64 v[6:7], vcc, 1.0, v[148:149], 1.0
	v_mul_f64 v[150:151], v[6:7], v[4:5]
	v_fma_f64 v[0:1], -v[0:1], v[150:151], v[6:7]
	s_nop 1
	v_div_fmas_f64 v[0:1], v[0:1], v[4:5], v[150:151]
	v_div_fixup_f64 v[0:1], v[0:1], v[148:149], 1.0
	v_mul_f64 v[2:3], v[2:3], -v[0:1]
.LBB125_450:
	s_or_b64 exec, exec, s[2:3]
	ds_write2_b64 v252, v[0:1], v[2:3] offset1:1
.LBB125_451:
	s_or_b64 exec, exec, s[4:5]
	s_waitcnt lgkmcnt(0)
	s_barrier
	ds_read2_b64 v[148:151], v252 offset1:1
	v_cmp_lt_u32_e32 vcc, 37, v254
	s_and_saveexec_b64 s[2:3], vcc
	s_cbranch_execz .LBB125_453
; %bb.452:
	scratch_load_dwordx4 v[0:3], off, off offset:592
	s_waitcnt vmcnt(0) lgkmcnt(0)
	v_mul_f64 v[4:5], v[150:151], v[2:3]
	v_mul_f64 v[154:155], v[148:149], v[2:3]
	v_fma_f64 v[152:153], v[148:149], v[0:1], -v[4:5]
	v_fmac_f64_e32 v[154:155], v[150:151], v[0:1]
	ds_read2_b64 v[0:3], v248 offset0:76 offset1:77
	scratch_store_dwordx4 off, v[152:155], off offset:592
	s_waitcnt lgkmcnt(0)
	v_mul_f64 v[4:5], v[2:3], v[154:155]
	v_mul_f64 v[6:7], v[0:1], v[154:155]
	v_fma_f64 v[4:5], v[0:1], v[152:153], -v[4:5]
	v_fmac_f64_e32 v[6:7], v[2:3], v[152:153]
	scratch_load_dwordx4 v[0:3], off, off offset:608
	s_waitcnt vmcnt(0)
	v_add_f64 v[0:1], v[0:1], -v[4:5]
	v_add_f64 v[2:3], v[2:3], -v[6:7]
	scratch_store_dwordx4 off, v[0:3], off offset:608
	ds_read2_b64 v[0:3], v248 offset0:78 offset1:79
	s_waitcnt lgkmcnt(0)
	v_mul_f64 v[4:5], v[2:3], v[154:155]
	v_mul_f64 v[6:7], v[0:1], v[154:155]
	v_fma_f64 v[4:5], v[0:1], v[152:153], -v[4:5]
	v_fmac_f64_e32 v[6:7], v[2:3], v[152:153]
	scratch_load_dwordx4 v[0:3], off, off offset:624
	s_waitcnt vmcnt(0)
	v_add_f64 v[0:1], v[0:1], -v[4:5]
	v_add_f64 v[2:3], v[2:3], -v[6:7]
	scratch_store_dwordx4 off, v[0:3], off offset:624
	ds_read2_b64 v[0:3], v248 offset0:80 offset1:81
	;; [unrolled: 11-line block ×6, first 2 shown]
	scratch_load_dwordx2 v[4:5], off, off offset:592
	scratch_load_dwordx4 v[152:155], off, off offset:592
	s_waitcnt vmcnt(0) lgkmcnt(0)
	v_mul_f64 v[6:7], v[2:3], v[154:155]
	v_mul_f64 v[156:157], v[0:1], v[154:155]
	v_fma_f64 v[6:7], v[0:1], v[4:5], -v[6:7]
	v_fmac_f64_e32 v[156:157], v[2:3], v[4:5]
	scratch_load_dwordx4 v[0:3], off, off offset:704
	s_waitcnt vmcnt(0)
	v_add_f64 v[0:1], v[0:1], -v[6:7]
	v_add_f64 v[2:3], v[2:3], -v[156:157]
	scratch_store_dwordx4 off, v[0:3], off offset:704
	ds_read2_b64 v[0:3], v248 offset0:90 offset1:91
	s_waitcnt lgkmcnt(0)
	v_mul_f64 v[6:7], v[2:3], v[154:155]
	v_mul_f64 v[156:157], v[0:1], v[154:155]
	v_fma_f64 v[6:7], v[0:1], v[4:5], -v[6:7]
	v_fmac_f64_e32 v[156:157], v[2:3], v[4:5]
	scratch_load_dwordx4 v[0:3], off, off offset:720
	s_waitcnt vmcnt(0)
	v_add_f64 v[0:1], v[0:1], -v[6:7]
	v_add_f64 v[2:3], v[2:3], -v[156:157]
	scratch_store_dwordx4 off, v[0:3], off offset:720
	ds_read2_b64 v[0:3], v248 offset0:92 offset1:93
	s_waitcnt lgkmcnt(0)
	;; [unrolled: 11-line block ×5, first 2 shown]
	v_mul_f64 v[6:7], v[2:3], v[154:155]
	v_mul_f64 v[154:155], v[0:1], v[154:155]
	v_fma_f64 v[6:7], v[0:1], v[4:5], -v[6:7]
	v_fmac_f64_e32 v[154:155], v[2:3], v[4:5]
	scratch_load_dwordx4 v[0:3], off, off offset:784
	s_waitcnt vmcnt(0)
	v_add_f64 v[0:1], v[0:1], -v[6:7]
	v_add_f64 v[2:3], v[2:3], -v[154:155]
	scratch_store_dwordx4 off, v[0:3], off offset:784
	ds_read2_b64 v[0:3], v248 offset0:100 offset1:101
	scratch_load_dwordx2 v[154:155], off, off offset:592
	scratch_load_dwordx2 v[4:5], off, off offset:600
	s_waitcnt vmcnt(0) lgkmcnt(0)
	v_mul_f64 v[6:7], v[2:3], v[4:5]
	v_mul_f64 v[156:157], v[0:1], v[4:5]
	v_fma_f64 v[6:7], v[0:1], v[154:155], -v[6:7]
	v_fmac_f64_e32 v[156:157], v[2:3], v[154:155]
	scratch_load_dwordx4 v[0:3], off, off offset:800
	s_waitcnt vmcnt(0)
	v_add_f64 v[0:1], v[0:1], -v[6:7]
	v_add_f64 v[2:3], v[2:3], -v[156:157]
	scratch_store_dwordx4 off, v[0:3], off offset:800
	ds_read2_b64 v[0:3], v248 offset0:102 offset1:103
	s_waitcnt lgkmcnt(0)
	v_mul_f64 v[6:7], v[2:3], v[4:5]
	v_mul_f64 v[156:157], v[0:1], v[4:5]
	v_fma_f64 v[6:7], v[0:1], v[154:155], -v[6:7]
	v_fmac_f64_e32 v[156:157], v[2:3], v[154:155]
	scratch_load_dwordx4 v[0:3], off, off offset:816
	s_waitcnt vmcnt(0)
	v_add_f64 v[0:1], v[0:1], -v[6:7]
	v_add_f64 v[2:3], v[2:3], -v[156:157]
	scratch_store_dwordx4 off, v[0:3], off offset:816
	ds_read2_b64 v[0:3], v248 offset0:104 offset1:105
	s_waitcnt lgkmcnt(0)
	;; [unrolled: 11-line block ×5, first 2 shown]
	v_mul_f64 v[6:7], v[2:3], v[4:5]
	v_mul_f64 v[4:5], v[0:1], v[4:5]
	v_fma_f64 v[6:7], v[0:1], v[154:155], -v[6:7]
	v_fmac_f64_e32 v[4:5], v[2:3], v[154:155]
	scratch_load_dwordx4 v[0:3], off, off offset:880
	s_waitcnt vmcnt(0)
	v_add_f64 v[0:1], v[0:1], -v[6:7]
	v_add_f64 v[2:3], v[2:3], -v[4:5]
	scratch_store_dwordx4 off, v[0:3], off offset:880
	ds_read2_b64 v[0:3], v248 offset0:112 offset1:113
	scratch_load_dwordx2 v[4:5], off, off offset:592
	scratch_load_dwordx2 v[6:7], off, off offset:600
	s_waitcnt vmcnt(0) lgkmcnt(0)
	v_mul_f64 v[154:155], v[2:3], v[6:7]
	v_mul_f64 v[156:157], v[0:1], v[6:7]
	v_fma_f64 v[154:155], v[0:1], v[4:5], -v[154:155]
	v_fmac_f64_e32 v[156:157], v[2:3], v[4:5]
	scratch_load_dwordx4 v[0:3], off, off offset:896
	s_waitcnt vmcnt(0)
	v_add_f64 v[0:1], v[0:1], -v[154:155]
	v_add_f64 v[2:3], v[2:3], -v[156:157]
	scratch_store_dwordx4 off, v[0:3], off offset:896
	ds_read2_b64 v[0:3], v248 offset0:114 offset1:115
	s_waitcnt lgkmcnt(0)
	v_mul_f64 v[154:155], v[2:3], v[6:7]
	v_mul_f64 v[156:157], v[0:1], v[6:7]
	v_fma_f64 v[154:155], v[0:1], v[4:5], -v[154:155]
	v_fmac_f64_e32 v[156:157], v[2:3], v[4:5]
	scratch_load_dwordx4 v[0:3], off, off offset:912
	s_waitcnt vmcnt(0)
	v_add_f64 v[0:1], v[0:1], -v[154:155]
	v_add_f64 v[2:3], v[2:3], -v[156:157]
	scratch_store_dwordx4 off, v[0:3], off offset:912
	ds_read2_b64 v[0:3], v248 offset0:116 offset1:117
	s_waitcnt lgkmcnt(0)
	;; [unrolled: 11-line block ×5, first 2 shown]
	v_mul_f64 v[154:155], v[2:3], v[6:7]
	v_mul_f64 v[6:7], v[0:1], v[6:7]
	v_fma_f64 v[154:155], v[0:1], v[4:5], -v[154:155]
	v_fmac_f64_e32 v[6:7], v[2:3], v[4:5]
	scratch_load_dwordx4 v[0:3], off, off offset:976
	scratch_load_dwordx2 v[4:5], off, off offset:600
	s_waitcnt vmcnt(1)
	v_add_f64 v[0:1], v[0:1], -v[154:155]
	v_add_f64 v[2:3], v[2:3], -v[6:7]
	scratch_store_dwordx4 off, v[0:3], off offset:976
	ds_read2_b64 v[0:3], v248 offset0:124 offset1:125
	s_waitcnt vmcnt(1) lgkmcnt(0)
	v_mul_f64 v[6:7], v[2:3], v[4:5]
	v_mul_f64 v[158:159], v[0:1], v[4:5]
	v_fma_f64 v[156:157], v[0:1], v[152:153], -v[6:7]
	v_fmac_f64_e32 v[158:159], v[2:3], v[152:153]
	scratch_load_dwordx4 v[152:155], off, off offset:992
	s_waitcnt vmcnt(0)
	v_add_f64 v[0:1], v[152:153], -v[156:157]
	v_add_f64 v[2:3], v[154:155], -v[158:159]
	scratch_store_dwordx4 off, v[0:3], off offset:992
.LBB125_453:
	s_or_b64 exec, exec, s[2:3]
	v_cmp_eq_u32_e32 vcc, 38, v254
	s_waitcnt lgkmcnt(0)
	s_barrier
	s_and_saveexec_b64 s[4:5], vcc
	s_cbranch_execz .LBB125_460
; %bb.454:
	scratch_load_dwordx4 v[0:3], off, s34
	s_waitcnt vmcnt(0)
	ds_write2_b64 v252, v[0:1], v[2:3] offset1:1
	scratch_load_dwordx4 v[0:3], off, s33
	s_waitcnt vmcnt(0)
	ds_write2_b64 v248, v[0:1], v[2:3] offset0:78 offset1:79
	scratch_load_dwordx4 v[0:3], off, s31
	s_waitcnt vmcnt(0)
	ds_write2_b64 v248, v[0:1], v[2:3] offset0:80 offset1:81
	;; [unrolled: 3-line block ×24, first 2 shown]
	ds_read2_b64 v[152:155], v252 offset1:1
	s_waitcnt lgkmcnt(0)
	v_cmp_neq_f64_e32 vcc, 0, v[152:153]
	v_cmp_neq_f64_e64 s[2:3], 0, v[154:155]
	s_or_b64 s[2:3], vcc, s[2:3]
	s_and_b64 exec, exec, s[2:3]
	s_cbranch_execz .LBB125_460
; %bb.455:
	v_cmp_ngt_f64_e64 s[2:3], |v[152:153]|, |v[154:155]|
                                        ; implicit-def: $vgpr0_vgpr1
	s_and_saveexec_b64 s[46:47], s[2:3]
	s_xor_b64 s[2:3], exec, s[46:47]
                                        ; implicit-def: $vgpr2_vgpr3
	s_cbranch_execz .LBB125_457
; %bb.456:
	v_div_scale_f64 v[0:1], s[46:47], v[154:155], v[154:155], v[152:153]
	v_rcp_f64_e32 v[2:3], v[0:1]
	v_div_scale_f64 v[4:5], vcc, v[152:153], v[154:155], v[152:153]
	v_fma_f64 v[6:7], -v[0:1], v[2:3], 1.0
	v_fmac_f64_e32 v[2:3], v[2:3], v[6:7]
	v_fma_f64 v[6:7], -v[0:1], v[2:3], 1.0
	v_fmac_f64_e32 v[2:3], v[2:3], v[6:7]
	v_mul_f64 v[6:7], v[4:5], v[2:3]
	v_fma_f64 v[0:1], -v[0:1], v[6:7], v[4:5]
	v_div_fmas_f64 v[0:1], v[0:1], v[2:3], v[6:7]
	v_div_fixup_f64 v[0:1], v[0:1], v[154:155], v[152:153]
	v_fmac_f64_e32 v[154:155], v[152:153], v[0:1]
	v_div_scale_f64 v[2:3], s[46:47], v[154:155], v[154:155], 1.0
	v_rcp_f64_e32 v[4:5], v[2:3]
	s_nop 0
	v_fma_f64 v[6:7], -v[2:3], v[4:5], 1.0
	v_fmac_f64_e32 v[4:5], v[4:5], v[6:7]
	v_fma_f64 v[6:7], -v[2:3], v[4:5], 1.0
	v_fmac_f64_e32 v[4:5], v[4:5], v[6:7]
	v_div_scale_f64 v[6:7], vcc, 1.0, v[154:155], 1.0
	v_mul_f64 v[152:153], v[6:7], v[4:5]
	v_fma_f64 v[2:3], -v[2:3], v[152:153], v[6:7]
	s_nop 1
	v_div_fmas_f64 v[2:3], v[2:3], v[4:5], v[152:153]
	v_div_fixup_f64 v[2:3], v[2:3], v[154:155], 1.0
	v_mul_f64 v[0:1], v[0:1], v[2:3]
	v_xor_b32_e32 v3, 0x80000000, v3
                                        ; implicit-def: $vgpr152_vgpr153
.LBB125_457:
	s_andn2_saveexec_b64 s[2:3], s[2:3]
	s_cbranch_execz .LBB125_459
; %bb.458:
	v_div_scale_f64 v[0:1], s[46:47], v[152:153], v[152:153], v[154:155]
	v_rcp_f64_e32 v[2:3], v[0:1]
	v_div_scale_f64 v[4:5], vcc, v[154:155], v[152:153], v[154:155]
	v_fma_f64 v[6:7], -v[0:1], v[2:3], 1.0
	v_fmac_f64_e32 v[2:3], v[2:3], v[6:7]
	v_fma_f64 v[6:7], -v[0:1], v[2:3], 1.0
	v_fmac_f64_e32 v[2:3], v[2:3], v[6:7]
	v_mul_f64 v[6:7], v[4:5], v[2:3]
	v_fma_f64 v[0:1], -v[0:1], v[6:7], v[4:5]
	v_div_fmas_f64 v[0:1], v[0:1], v[2:3], v[6:7]
	v_div_fixup_f64 v[2:3], v[0:1], v[152:153], v[154:155]
	v_fmac_f64_e32 v[152:153], v[154:155], v[2:3]
	v_div_scale_f64 v[0:1], s[46:47], v[152:153], v[152:153], 1.0
	v_rcp_f64_e32 v[4:5], v[0:1]
	s_nop 0
	v_fma_f64 v[6:7], -v[0:1], v[4:5], 1.0
	v_fmac_f64_e32 v[4:5], v[4:5], v[6:7]
	v_fma_f64 v[6:7], -v[0:1], v[4:5], 1.0
	v_fmac_f64_e32 v[4:5], v[4:5], v[6:7]
	v_div_scale_f64 v[6:7], vcc, 1.0, v[152:153], 1.0
	v_mul_f64 v[154:155], v[6:7], v[4:5]
	v_fma_f64 v[0:1], -v[0:1], v[154:155], v[6:7]
	s_nop 1
	v_div_fmas_f64 v[0:1], v[0:1], v[4:5], v[154:155]
	v_div_fixup_f64 v[0:1], v[0:1], v[152:153], 1.0
	v_mul_f64 v[2:3], v[2:3], -v[0:1]
.LBB125_459:
	s_or_b64 exec, exec, s[2:3]
	ds_write2_b64 v252, v[0:1], v[2:3] offset1:1
.LBB125_460:
	s_or_b64 exec, exec, s[4:5]
	s_waitcnt lgkmcnt(0)
	s_barrier
	ds_read2_b64 v[152:155], v252 offset1:1
	v_cmp_lt_u32_e32 vcc, 38, v254
	s_and_saveexec_b64 s[2:3], vcc
	s_cbranch_execz .LBB125_462
; %bb.461:
	scratch_load_dwordx4 v[0:3], off, off offset:608
	s_waitcnt vmcnt(0) lgkmcnt(0)
	v_mul_f64 v[4:5], v[154:155], v[2:3]
	v_mul_f64 v[158:159], v[152:153], v[2:3]
	v_fma_f64 v[156:157], v[152:153], v[0:1], -v[4:5]
	v_fmac_f64_e32 v[158:159], v[154:155], v[0:1]
	ds_read2_b64 v[0:3], v248 offset0:78 offset1:79
	scratch_store_dwordx4 off, v[156:159], off offset:608
	s_waitcnt lgkmcnt(0)
	v_mul_f64 v[4:5], v[2:3], v[158:159]
	v_mul_f64 v[6:7], v[0:1], v[158:159]
	v_fma_f64 v[4:5], v[0:1], v[156:157], -v[4:5]
	v_fmac_f64_e32 v[6:7], v[2:3], v[156:157]
	scratch_load_dwordx4 v[0:3], off, off offset:624
	s_waitcnt vmcnt(0)
	v_add_f64 v[0:1], v[0:1], -v[4:5]
	v_add_f64 v[2:3], v[2:3], -v[6:7]
	scratch_store_dwordx4 off, v[0:3], off offset:624
	ds_read2_b64 v[0:3], v248 offset0:80 offset1:81
	s_waitcnt lgkmcnt(0)
	v_mul_f64 v[4:5], v[2:3], v[158:159]
	v_mul_f64 v[6:7], v[0:1], v[158:159]
	v_fma_f64 v[4:5], v[0:1], v[156:157], -v[4:5]
	v_fmac_f64_e32 v[6:7], v[2:3], v[156:157]
	scratch_load_dwordx4 v[0:3], off, off offset:640
	s_waitcnt vmcnt(0)
	v_add_f64 v[0:1], v[0:1], -v[4:5]
	v_add_f64 v[2:3], v[2:3], -v[6:7]
	scratch_store_dwordx4 off, v[0:3], off offset:640
	ds_read2_b64 v[0:3], v248 offset0:82 offset1:83
	;; [unrolled: 11-line block ×6, first 2 shown]
	scratch_load_dwordx2 v[4:5], off, off offset:608
	scratch_load_dwordx4 v[156:159], off, off offset:608
	s_waitcnt vmcnt(0) lgkmcnt(0)
	v_mul_f64 v[6:7], v[2:3], v[158:159]
	v_mul_f64 v[160:161], v[0:1], v[158:159]
	v_fma_f64 v[6:7], v[0:1], v[4:5], -v[6:7]
	v_fmac_f64_e32 v[160:161], v[2:3], v[4:5]
	scratch_load_dwordx4 v[0:3], off, off offset:720
	s_waitcnt vmcnt(0)
	v_add_f64 v[0:1], v[0:1], -v[6:7]
	v_add_f64 v[2:3], v[2:3], -v[160:161]
	scratch_store_dwordx4 off, v[0:3], off offset:720
	ds_read2_b64 v[0:3], v248 offset0:92 offset1:93
	s_waitcnt lgkmcnt(0)
	v_mul_f64 v[6:7], v[2:3], v[158:159]
	v_mul_f64 v[160:161], v[0:1], v[158:159]
	v_fma_f64 v[6:7], v[0:1], v[4:5], -v[6:7]
	v_fmac_f64_e32 v[160:161], v[2:3], v[4:5]
	scratch_load_dwordx4 v[0:3], off, off offset:736
	s_waitcnt vmcnt(0)
	v_add_f64 v[0:1], v[0:1], -v[6:7]
	v_add_f64 v[2:3], v[2:3], -v[160:161]
	scratch_store_dwordx4 off, v[0:3], off offset:736
	ds_read2_b64 v[0:3], v248 offset0:94 offset1:95
	s_waitcnt lgkmcnt(0)
	;; [unrolled: 11-line block ×5, first 2 shown]
	v_mul_f64 v[6:7], v[2:3], v[158:159]
	v_mul_f64 v[158:159], v[0:1], v[158:159]
	v_fma_f64 v[6:7], v[0:1], v[4:5], -v[6:7]
	v_fmac_f64_e32 v[158:159], v[2:3], v[4:5]
	scratch_load_dwordx4 v[0:3], off, off offset:800
	s_waitcnt vmcnt(0)
	v_add_f64 v[0:1], v[0:1], -v[6:7]
	v_add_f64 v[2:3], v[2:3], -v[158:159]
	scratch_store_dwordx4 off, v[0:3], off offset:800
	ds_read2_b64 v[0:3], v248 offset0:102 offset1:103
	scratch_load_dwordx2 v[158:159], off, off offset:608
	scratch_load_dwordx2 v[4:5], off, off offset:616
	s_waitcnt vmcnt(0) lgkmcnt(0)
	v_mul_f64 v[6:7], v[2:3], v[4:5]
	v_mul_f64 v[160:161], v[0:1], v[4:5]
	v_fma_f64 v[6:7], v[0:1], v[158:159], -v[6:7]
	v_fmac_f64_e32 v[160:161], v[2:3], v[158:159]
	scratch_load_dwordx4 v[0:3], off, off offset:816
	s_waitcnt vmcnt(0)
	v_add_f64 v[0:1], v[0:1], -v[6:7]
	v_add_f64 v[2:3], v[2:3], -v[160:161]
	scratch_store_dwordx4 off, v[0:3], off offset:816
	ds_read2_b64 v[0:3], v248 offset0:104 offset1:105
	s_waitcnt lgkmcnt(0)
	v_mul_f64 v[6:7], v[2:3], v[4:5]
	v_mul_f64 v[160:161], v[0:1], v[4:5]
	v_fma_f64 v[6:7], v[0:1], v[158:159], -v[6:7]
	v_fmac_f64_e32 v[160:161], v[2:3], v[158:159]
	scratch_load_dwordx4 v[0:3], off, off offset:832
	s_waitcnt vmcnt(0)
	v_add_f64 v[0:1], v[0:1], -v[6:7]
	v_add_f64 v[2:3], v[2:3], -v[160:161]
	scratch_store_dwordx4 off, v[0:3], off offset:832
	ds_read2_b64 v[0:3], v248 offset0:106 offset1:107
	s_waitcnt lgkmcnt(0)
	;; [unrolled: 11-line block ×5, first 2 shown]
	v_mul_f64 v[6:7], v[2:3], v[4:5]
	v_mul_f64 v[4:5], v[0:1], v[4:5]
	v_fma_f64 v[6:7], v[0:1], v[158:159], -v[6:7]
	v_fmac_f64_e32 v[4:5], v[2:3], v[158:159]
	scratch_load_dwordx4 v[0:3], off, off offset:896
	s_waitcnt vmcnt(0)
	v_add_f64 v[2:3], v[2:3], -v[4:5]
	scratch_load_dwordx2 v[4:5], off, off offset:616
	v_add_f64 v[0:1], v[0:1], -v[6:7]
	scratch_store_dwordx4 off, v[0:3], off offset:896
	ds_read2_b64 v[0:3], v248 offset0:114 offset1:115
	s_waitcnt vmcnt(1) lgkmcnt(0)
	v_mul_f64 v[6:7], v[2:3], v[4:5]
	v_mul_f64 v[158:159], v[0:1], v[4:5]
	v_fma_f64 v[6:7], v[0:1], v[156:157], -v[6:7]
	v_fmac_f64_e32 v[158:159], v[2:3], v[156:157]
	scratch_load_dwordx4 v[0:3], off, off offset:912
	s_waitcnt vmcnt(0)
	v_add_f64 v[0:1], v[0:1], -v[6:7]
	v_add_f64 v[2:3], v[2:3], -v[158:159]
	scratch_store_dwordx4 off, v[0:3], off offset:912
	ds_read2_b64 v[0:3], v248 offset0:116 offset1:117
	s_waitcnt lgkmcnt(0)
	v_mul_f64 v[6:7], v[2:3], v[4:5]
	v_mul_f64 v[158:159], v[0:1], v[4:5]
	v_fma_f64 v[6:7], v[0:1], v[156:157], -v[6:7]
	v_fmac_f64_e32 v[158:159], v[2:3], v[156:157]
	scratch_load_dwordx4 v[0:3], off, off offset:928
	s_waitcnt vmcnt(0)
	v_add_f64 v[0:1], v[0:1], -v[6:7]
	v_add_f64 v[2:3], v[2:3], -v[158:159]
	scratch_store_dwordx4 off, v[0:3], off offset:928
	ds_read2_b64 v[0:3], v248 offset0:118 offset1:119
	s_waitcnt lgkmcnt(0)
	;; [unrolled: 11-line block ×5, first 2 shown]
	v_mul_f64 v[6:7], v[2:3], v[4:5]
	v_mul_f64 v[162:163], v[0:1], v[4:5]
	v_fma_f64 v[160:161], v[0:1], v[156:157], -v[6:7]
	v_fmac_f64_e32 v[162:163], v[2:3], v[156:157]
	scratch_load_dwordx4 v[156:159], off, off offset:992
	s_waitcnt vmcnt(0)
	v_add_f64 v[0:1], v[156:157], -v[160:161]
	v_add_f64 v[2:3], v[158:159], -v[162:163]
	scratch_store_dwordx4 off, v[0:3], off offset:992
.LBB125_462:
	s_or_b64 exec, exec, s[2:3]
	v_cmp_eq_u32_e32 vcc, 39, v254
	s_waitcnt lgkmcnt(0)
	s_barrier
	s_and_saveexec_b64 s[4:5], vcc
	s_cbranch_execz .LBB125_469
; %bb.463:
	scratch_load_dwordx4 v[0:3], off, s33
	s_waitcnt vmcnt(0)
	ds_write2_b64 v252, v[0:1], v[2:3] offset1:1
	scratch_load_dwordx4 v[0:3], off, s31
	s_waitcnt vmcnt(0)
	ds_write2_b64 v248, v[0:1], v[2:3] offset0:80 offset1:81
	scratch_load_dwordx4 v[0:3], off, s30
	s_waitcnt vmcnt(0)
	ds_write2_b64 v248, v[0:1], v[2:3] offset0:82 offset1:83
	;; [unrolled: 3-line block ×23, first 2 shown]
	ds_read2_b64 v[156:159], v252 offset1:1
	s_waitcnt lgkmcnt(0)
	v_cmp_neq_f64_e32 vcc, 0, v[156:157]
	v_cmp_neq_f64_e64 s[2:3], 0, v[158:159]
	s_or_b64 s[2:3], vcc, s[2:3]
	s_and_b64 exec, exec, s[2:3]
	s_cbranch_execz .LBB125_469
; %bb.464:
	v_cmp_ngt_f64_e64 s[2:3], |v[156:157]|, |v[158:159]|
                                        ; implicit-def: $vgpr0_vgpr1
	s_and_saveexec_b64 s[46:47], s[2:3]
	s_xor_b64 s[2:3], exec, s[46:47]
                                        ; implicit-def: $vgpr2_vgpr3
	s_cbranch_execz .LBB125_466
; %bb.465:
	v_div_scale_f64 v[0:1], s[46:47], v[158:159], v[158:159], v[156:157]
	v_rcp_f64_e32 v[2:3], v[0:1]
	v_div_scale_f64 v[4:5], vcc, v[156:157], v[158:159], v[156:157]
	v_fma_f64 v[6:7], -v[0:1], v[2:3], 1.0
	v_fmac_f64_e32 v[2:3], v[2:3], v[6:7]
	v_fma_f64 v[6:7], -v[0:1], v[2:3], 1.0
	v_fmac_f64_e32 v[2:3], v[2:3], v[6:7]
	v_mul_f64 v[6:7], v[4:5], v[2:3]
	v_fma_f64 v[0:1], -v[0:1], v[6:7], v[4:5]
	v_div_fmas_f64 v[0:1], v[0:1], v[2:3], v[6:7]
	v_div_fixup_f64 v[0:1], v[0:1], v[158:159], v[156:157]
	v_fmac_f64_e32 v[158:159], v[156:157], v[0:1]
	v_div_scale_f64 v[2:3], s[46:47], v[158:159], v[158:159], 1.0
	v_rcp_f64_e32 v[4:5], v[2:3]
	s_nop 0
	v_fma_f64 v[6:7], -v[2:3], v[4:5], 1.0
	v_fmac_f64_e32 v[4:5], v[4:5], v[6:7]
	v_fma_f64 v[6:7], -v[2:3], v[4:5], 1.0
	v_fmac_f64_e32 v[4:5], v[4:5], v[6:7]
	v_div_scale_f64 v[6:7], vcc, 1.0, v[158:159], 1.0
	v_mul_f64 v[156:157], v[6:7], v[4:5]
	v_fma_f64 v[2:3], -v[2:3], v[156:157], v[6:7]
	s_nop 1
	v_div_fmas_f64 v[2:3], v[2:3], v[4:5], v[156:157]
	v_div_fixup_f64 v[2:3], v[2:3], v[158:159], 1.0
	v_mul_f64 v[0:1], v[0:1], v[2:3]
	v_xor_b32_e32 v3, 0x80000000, v3
                                        ; implicit-def: $vgpr156_vgpr157
.LBB125_466:
	s_andn2_saveexec_b64 s[2:3], s[2:3]
	s_cbranch_execz .LBB125_468
; %bb.467:
	v_div_scale_f64 v[0:1], s[46:47], v[156:157], v[156:157], v[158:159]
	v_rcp_f64_e32 v[2:3], v[0:1]
	v_div_scale_f64 v[4:5], vcc, v[158:159], v[156:157], v[158:159]
	v_fma_f64 v[6:7], -v[0:1], v[2:3], 1.0
	v_fmac_f64_e32 v[2:3], v[2:3], v[6:7]
	v_fma_f64 v[6:7], -v[0:1], v[2:3], 1.0
	v_fmac_f64_e32 v[2:3], v[2:3], v[6:7]
	v_mul_f64 v[6:7], v[4:5], v[2:3]
	v_fma_f64 v[0:1], -v[0:1], v[6:7], v[4:5]
	v_div_fmas_f64 v[0:1], v[0:1], v[2:3], v[6:7]
	v_div_fixup_f64 v[2:3], v[0:1], v[156:157], v[158:159]
	v_fmac_f64_e32 v[156:157], v[158:159], v[2:3]
	v_div_scale_f64 v[0:1], s[46:47], v[156:157], v[156:157], 1.0
	v_rcp_f64_e32 v[4:5], v[0:1]
	s_nop 0
	v_fma_f64 v[6:7], -v[0:1], v[4:5], 1.0
	v_fmac_f64_e32 v[4:5], v[4:5], v[6:7]
	v_fma_f64 v[6:7], -v[0:1], v[4:5], 1.0
	v_fmac_f64_e32 v[4:5], v[4:5], v[6:7]
	v_div_scale_f64 v[6:7], vcc, 1.0, v[156:157], 1.0
	v_mul_f64 v[158:159], v[6:7], v[4:5]
	v_fma_f64 v[0:1], -v[0:1], v[158:159], v[6:7]
	s_nop 1
	v_div_fmas_f64 v[0:1], v[0:1], v[4:5], v[158:159]
	v_div_fixup_f64 v[0:1], v[0:1], v[156:157], 1.0
	v_mul_f64 v[2:3], v[2:3], -v[0:1]
.LBB125_468:
	s_or_b64 exec, exec, s[2:3]
	ds_write2_b64 v252, v[0:1], v[2:3] offset1:1
.LBB125_469:
	s_or_b64 exec, exec, s[4:5]
	s_waitcnt lgkmcnt(0)
	s_barrier
	ds_read2_b64 v[156:159], v252 offset1:1
	v_cmp_lt_u32_e32 vcc, 39, v254
	s_and_saveexec_b64 s[2:3], vcc
	s_cbranch_execz .LBB125_471
; %bb.470:
	scratch_load_dwordx4 v[0:3], off, off offset:624
	s_waitcnt vmcnt(0) lgkmcnt(0)
	v_mul_f64 v[4:5], v[158:159], v[2:3]
	v_mul_f64 v[162:163], v[156:157], v[2:3]
	v_fma_f64 v[160:161], v[156:157], v[0:1], -v[4:5]
	v_fmac_f64_e32 v[162:163], v[158:159], v[0:1]
	ds_read2_b64 v[0:3], v248 offset0:80 offset1:81
	scratch_store_dwordx4 off, v[160:163], off offset:624
	s_waitcnt lgkmcnt(0)
	v_mul_f64 v[4:5], v[2:3], v[162:163]
	v_mul_f64 v[6:7], v[0:1], v[162:163]
	v_fma_f64 v[4:5], v[0:1], v[160:161], -v[4:5]
	v_fmac_f64_e32 v[6:7], v[2:3], v[160:161]
	scratch_load_dwordx4 v[0:3], off, off offset:640
	s_waitcnt vmcnt(0)
	v_add_f64 v[0:1], v[0:1], -v[4:5]
	v_add_f64 v[2:3], v[2:3], -v[6:7]
	scratch_store_dwordx4 off, v[0:3], off offset:640
	ds_read2_b64 v[0:3], v248 offset0:82 offset1:83
	s_waitcnt lgkmcnt(0)
	v_mul_f64 v[4:5], v[2:3], v[162:163]
	v_mul_f64 v[6:7], v[0:1], v[162:163]
	v_fma_f64 v[4:5], v[0:1], v[160:161], -v[4:5]
	v_fmac_f64_e32 v[6:7], v[2:3], v[160:161]
	scratch_load_dwordx4 v[0:3], off, off offset:656
	s_waitcnt vmcnt(0)
	v_add_f64 v[0:1], v[0:1], -v[4:5]
	v_add_f64 v[2:3], v[2:3], -v[6:7]
	scratch_store_dwordx4 off, v[0:3], off offset:656
	ds_read2_b64 v[0:3], v248 offset0:84 offset1:85
	;; [unrolled: 11-line block ×6, first 2 shown]
	scratch_load_dwordx2 v[4:5], off, off offset:624
	scratch_load_dwordx4 v[160:163], off, off offset:624
	s_waitcnt vmcnt(0) lgkmcnt(0)
	v_mul_f64 v[6:7], v[2:3], v[162:163]
	v_mul_f64 v[164:165], v[0:1], v[162:163]
	v_fma_f64 v[6:7], v[0:1], v[4:5], -v[6:7]
	v_fmac_f64_e32 v[164:165], v[2:3], v[4:5]
	scratch_load_dwordx4 v[0:3], off, off offset:736
	s_waitcnt vmcnt(0)
	v_add_f64 v[0:1], v[0:1], -v[6:7]
	v_add_f64 v[2:3], v[2:3], -v[164:165]
	scratch_store_dwordx4 off, v[0:3], off offset:736
	ds_read2_b64 v[0:3], v248 offset0:94 offset1:95
	s_waitcnt lgkmcnt(0)
	v_mul_f64 v[6:7], v[2:3], v[162:163]
	v_mul_f64 v[164:165], v[0:1], v[162:163]
	v_fma_f64 v[6:7], v[0:1], v[4:5], -v[6:7]
	v_fmac_f64_e32 v[164:165], v[2:3], v[4:5]
	scratch_load_dwordx4 v[0:3], off, off offset:752
	s_waitcnt vmcnt(0)
	v_add_f64 v[0:1], v[0:1], -v[6:7]
	v_add_f64 v[2:3], v[2:3], -v[164:165]
	scratch_store_dwordx4 off, v[0:3], off offset:752
	ds_read2_b64 v[0:3], v248 offset0:96 offset1:97
	s_waitcnt lgkmcnt(0)
	;; [unrolled: 11-line block ×5, first 2 shown]
	v_mul_f64 v[6:7], v[2:3], v[162:163]
	v_mul_f64 v[162:163], v[0:1], v[162:163]
	v_fma_f64 v[6:7], v[0:1], v[4:5], -v[6:7]
	v_fmac_f64_e32 v[162:163], v[2:3], v[4:5]
	scratch_load_dwordx4 v[0:3], off, off offset:816
	s_waitcnt vmcnt(0)
	v_add_f64 v[0:1], v[0:1], -v[6:7]
	v_add_f64 v[2:3], v[2:3], -v[162:163]
	scratch_store_dwordx4 off, v[0:3], off offset:816
	ds_read2_b64 v[0:3], v248 offset0:104 offset1:105
	scratch_load_dwordx2 v[162:163], off, off offset:624
	scratch_load_dwordx2 v[4:5], off, off offset:632
	s_waitcnt vmcnt(0) lgkmcnt(0)
	v_mul_f64 v[6:7], v[2:3], v[4:5]
	v_mul_f64 v[164:165], v[0:1], v[4:5]
	v_fma_f64 v[6:7], v[0:1], v[162:163], -v[6:7]
	v_fmac_f64_e32 v[164:165], v[2:3], v[162:163]
	scratch_load_dwordx4 v[0:3], off, off offset:832
	s_waitcnt vmcnt(0)
	v_add_f64 v[0:1], v[0:1], -v[6:7]
	v_add_f64 v[2:3], v[2:3], -v[164:165]
	scratch_store_dwordx4 off, v[0:3], off offset:832
	ds_read2_b64 v[0:3], v248 offset0:106 offset1:107
	s_waitcnt lgkmcnt(0)
	v_mul_f64 v[6:7], v[2:3], v[4:5]
	v_mul_f64 v[164:165], v[0:1], v[4:5]
	v_fma_f64 v[6:7], v[0:1], v[162:163], -v[6:7]
	v_fmac_f64_e32 v[164:165], v[2:3], v[162:163]
	scratch_load_dwordx4 v[0:3], off, off offset:848
	s_waitcnt vmcnt(0)
	v_add_f64 v[0:1], v[0:1], -v[6:7]
	v_add_f64 v[2:3], v[2:3], -v[164:165]
	scratch_store_dwordx4 off, v[0:3], off offset:848
	ds_read2_b64 v[0:3], v248 offset0:108 offset1:109
	s_waitcnt lgkmcnt(0)
	;; [unrolled: 11-line block ×5, first 2 shown]
	v_mul_f64 v[6:7], v[2:3], v[4:5]
	v_mul_f64 v[4:5], v[0:1], v[4:5]
	v_fma_f64 v[6:7], v[0:1], v[162:163], -v[6:7]
	v_fmac_f64_e32 v[4:5], v[2:3], v[162:163]
	scratch_load_dwordx4 v[0:3], off, off offset:912
	s_waitcnt vmcnt(0)
	v_add_f64 v[2:3], v[2:3], -v[4:5]
	scratch_load_dwordx2 v[4:5], off, off offset:632
	v_add_f64 v[0:1], v[0:1], -v[6:7]
	scratch_store_dwordx4 off, v[0:3], off offset:912
	ds_read2_b64 v[0:3], v248 offset0:116 offset1:117
	s_waitcnt vmcnt(1) lgkmcnt(0)
	v_mul_f64 v[6:7], v[2:3], v[4:5]
	v_mul_f64 v[162:163], v[0:1], v[4:5]
	v_fma_f64 v[6:7], v[0:1], v[160:161], -v[6:7]
	v_fmac_f64_e32 v[162:163], v[2:3], v[160:161]
	scratch_load_dwordx4 v[0:3], off, off offset:928
	s_waitcnt vmcnt(0)
	v_add_f64 v[0:1], v[0:1], -v[6:7]
	v_add_f64 v[2:3], v[2:3], -v[162:163]
	scratch_store_dwordx4 off, v[0:3], off offset:928
	ds_read2_b64 v[0:3], v248 offset0:118 offset1:119
	s_waitcnt lgkmcnt(0)
	v_mul_f64 v[6:7], v[2:3], v[4:5]
	v_mul_f64 v[162:163], v[0:1], v[4:5]
	v_fma_f64 v[6:7], v[0:1], v[160:161], -v[6:7]
	v_fmac_f64_e32 v[162:163], v[2:3], v[160:161]
	scratch_load_dwordx4 v[0:3], off, off offset:944
	s_waitcnt vmcnt(0)
	v_add_f64 v[0:1], v[0:1], -v[6:7]
	v_add_f64 v[2:3], v[2:3], -v[162:163]
	scratch_store_dwordx4 off, v[0:3], off offset:944
	ds_read2_b64 v[0:3], v248 offset0:120 offset1:121
	s_waitcnt lgkmcnt(0)
	;; [unrolled: 11-line block ×4, first 2 shown]
	v_mul_f64 v[6:7], v[2:3], v[4:5]
	v_mul_f64 v[166:167], v[0:1], v[4:5]
	v_fma_f64 v[164:165], v[0:1], v[160:161], -v[6:7]
	v_fmac_f64_e32 v[166:167], v[2:3], v[160:161]
	scratch_load_dwordx4 v[160:163], off, off offset:992
	s_waitcnt vmcnt(0)
	v_add_f64 v[0:1], v[160:161], -v[164:165]
	v_add_f64 v[2:3], v[162:163], -v[166:167]
	scratch_store_dwordx4 off, v[0:3], off offset:992
.LBB125_471:
	s_or_b64 exec, exec, s[2:3]
	v_cmp_eq_u32_e32 vcc, 40, v254
	s_waitcnt lgkmcnt(0)
	s_barrier
	s_and_saveexec_b64 s[4:5], vcc
	s_cbranch_execz .LBB125_478
; %bb.472:
	scratch_load_dwordx4 v[0:3], off, s31
	s_waitcnt vmcnt(0)
	ds_write2_b64 v252, v[0:1], v[2:3] offset1:1
	scratch_load_dwordx4 v[0:3], off, s30
	s_waitcnt vmcnt(0)
	ds_write2_b64 v248, v[0:1], v[2:3] offset0:82 offset1:83
	scratch_load_dwordx4 v[0:3], off, s29
	s_waitcnt vmcnt(0)
	ds_write2_b64 v248, v[0:1], v[2:3] offset0:84 offset1:85
	;; [unrolled: 3-line block ×22, first 2 shown]
	ds_read2_b64 v[160:163], v252 offset1:1
	s_waitcnt lgkmcnt(0)
	v_cmp_neq_f64_e32 vcc, 0, v[160:161]
	v_cmp_neq_f64_e64 s[2:3], 0, v[162:163]
	s_or_b64 s[2:3], vcc, s[2:3]
	s_and_b64 exec, exec, s[2:3]
	s_cbranch_execz .LBB125_478
; %bb.473:
	v_cmp_ngt_f64_e64 s[2:3], |v[160:161]|, |v[162:163]|
                                        ; implicit-def: $vgpr0_vgpr1
	s_and_saveexec_b64 s[46:47], s[2:3]
	s_xor_b64 s[2:3], exec, s[46:47]
                                        ; implicit-def: $vgpr2_vgpr3
	s_cbranch_execz .LBB125_475
; %bb.474:
	v_div_scale_f64 v[0:1], s[46:47], v[162:163], v[162:163], v[160:161]
	v_rcp_f64_e32 v[2:3], v[0:1]
	v_div_scale_f64 v[4:5], vcc, v[160:161], v[162:163], v[160:161]
	v_fma_f64 v[6:7], -v[0:1], v[2:3], 1.0
	v_fmac_f64_e32 v[2:3], v[2:3], v[6:7]
	v_fma_f64 v[6:7], -v[0:1], v[2:3], 1.0
	v_fmac_f64_e32 v[2:3], v[2:3], v[6:7]
	v_mul_f64 v[6:7], v[4:5], v[2:3]
	v_fma_f64 v[0:1], -v[0:1], v[6:7], v[4:5]
	v_div_fmas_f64 v[0:1], v[0:1], v[2:3], v[6:7]
	v_div_fixup_f64 v[0:1], v[0:1], v[162:163], v[160:161]
	v_fmac_f64_e32 v[162:163], v[160:161], v[0:1]
	v_div_scale_f64 v[2:3], s[46:47], v[162:163], v[162:163], 1.0
	v_rcp_f64_e32 v[4:5], v[2:3]
	s_nop 0
	v_fma_f64 v[6:7], -v[2:3], v[4:5], 1.0
	v_fmac_f64_e32 v[4:5], v[4:5], v[6:7]
	v_fma_f64 v[6:7], -v[2:3], v[4:5], 1.0
	v_fmac_f64_e32 v[4:5], v[4:5], v[6:7]
	v_div_scale_f64 v[6:7], vcc, 1.0, v[162:163], 1.0
	v_mul_f64 v[160:161], v[6:7], v[4:5]
	v_fma_f64 v[2:3], -v[2:3], v[160:161], v[6:7]
	s_nop 1
	v_div_fmas_f64 v[2:3], v[2:3], v[4:5], v[160:161]
	v_div_fixup_f64 v[2:3], v[2:3], v[162:163], 1.0
	v_mul_f64 v[0:1], v[0:1], v[2:3]
	v_xor_b32_e32 v3, 0x80000000, v3
                                        ; implicit-def: $vgpr160_vgpr161
.LBB125_475:
	s_andn2_saveexec_b64 s[2:3], s[2:3]
	s_cbranch_execz .LBB125_477
; %bb.476:
	v_div_scale_f64 v[0:1], s[46:47], v[160:161], v[160:161], v[162:163]
	v_rcp_f64_e32 v[2:3], v[0:1]
	v_div_scale_f64 v[4:5], vcc, v[162:163], v[160:161], v[162:163]
	v_fma_f64 v[6:7], -v[0:1], v[2:3], 1.0
	v_fmac_f64_e32 v[2:3], v[2:3], v[6:7]
	v_fma_f64 v[6:7], -v[0:1], v[2:3], 1.0
	v_fmac_f64_e32 v[2:3], v[2:3], v[6:7]
	v_mul_f64 v[6:7], v[4:5], v[2:3]
	v_fma_f64 v[0:1], -v[0:1], v[6:7], v[4:5]
	v_div_fmas_f64 v[0:1], v[0:1], v[2:3], v[6:7]
	v_div_fixup_f64 v[2:3], v[0:1], v[160:161], v[162:163]
	v_fmac_f64_e32 v[160:161], v[162:163], v[2:3]
	v_div_scale_f64 v[0:1], s[46:47], v[160:161], v[160:161], 1.0
	v_rcp_f64_e32 v[4:5], v[0:1]
	s_nop 0
	v_fma_f64 v[6:7], -v[0:1], v[4:5], 1.0
	v_fmac_f64_e32 v[4:5], v[4:5], v[6:7]
	v_fma_f64 v[6:7], -v[0:1], v[4:5], 1.0
	v_fmac_f64_e32 v[4:5], v[4:5], v[6:7]
	v_div_scale_f64 v[6:7], vcc, 1.0, v[160:161], 1.0
	v_mul_f64 v[162:163], v[6:7], v[4:5]
	v_fma_f64 v[0:1], -v[0:1], v[162:163], v[6:7]
	s_nop 1
	v_div_fmas_f64 v[0:1], v[0:1], v[4:5], v[162:163]
	v_div_fixup_f64 v[0:1], v[0:1], v[160:161], 1.0
	v_mul_f64 v[2:3], v[2:3], -v[0:1]
.LBB125_477:
	s_or_b64 exec, exec, s[2:3]
	ds_write2_b64 v252, v[0:1], v[2:3] offset1:1
.LBB125_478:
	s_or_b64 exec, exec, s[4:5]
	s_waitcnt lgkmcnt(0)
	s_barrier
	ds_read2_b64 v[160:163], v252 offset1:1
	v_cmp_lt_u32_e32 vcc, 40, v254
	s_and_saveexec_b64 s[2:3], vcc
	s_cbranch_execz .LBB125_480
; %bb.479:
	scratch_load_dwordx4 v[0:3], off, off offset:640
	s_waitcnt vmcnt(0) lgkmcnt(0)
	v_mul_f64 v[4:5], v[162:163], v[2:3]
	v_mul_f64 v[166:167], v[160:161], v[2:3]
	v_fma_f64 v[164:165], v[160:161], v[0:1], -v[4:5]
	v_fmac_f64_e32 v[166:167], v[162:163], v[0:1]
	ds_read2_b64 v[0:3], v248 offset0:82 offset1:83
	scratch_store_dwordx4 off, v[164:167], off offset:640
	s_waitcnt lgkmcnt(0)
	v_mul_f64 v[4:5], v[2:3], v[166:167]
	v_mul_f64 v[6:7], v[0:1], v[166:167]
	v_fma_f64 v[4:5], v[0:1], v[164:165], -v[4:5]
	v_fmac_f64_e32 v[6:7], v[2:3], v[164:165]
	scratch_load_dwordx4 v[0:3], off, off offset:656
	s_waitcnt vmcnt(0)
	v_add_f64 v[0:1], v[0:1], -v[4:5]
	v_add_f64 v[2:3], v[2:3], -v[6:7]
	scratch_store_dwordx4 off, v[0:3], off offset:656
	ds_read2_b64 v[0:3], v248 offset0:84 offset1:85
	s_waitcnt lgkmcnt(0)
	v_mul_f64 v[4:5], v[2:3], v[166:167]
	v_mul_f64 v[6:7], v[0:1], v[166:167]
	v_fma_f64 v[4:5], v[0:1], v[164:165], -v[4:5]
	v_fmac_f64_e32 v[6:7], v[2:3], v[164:165]
	scratch_load_dwordx4 v[0:3], off, off offset:672
	s_waitcnt vmcnt(0)
	v_add_f64 v[0:1], v[0:1], -v[4:5]
	v_add_f64 v[2:3], v[2:3], -v[6:7]
	scratch_store_dwordx4 off, v[0:3], off offset:672
	ds_read2_b64 v[0:3], v248 offset0:86 offset1:87
	;; [unrolled: 11-line block ×6, first 2 shown]
	scratch_load_dwordx2 v[4:5], off, off offset:640
	scratch_load_dwordx4 v[164:167], off, off offset:640
	s_waitcnt vmcnt(0) lgkmcnt(0)
	v_mul_f64 v[6:7], v[2:3], v[166:167]
	v_mul_f64 v[168:169], v[0:1], v[166:167]
	v_fma_f64 v[6:7], v[0:1], v[4:5], -v[6:7]
	v_fmac_f64_e32 v[168:169], v[2:3], v[4:5]
	scratch_load_dwordx4 v[0:3], off, off offset:752
	s_waitcnt vmcnt(0)
	v_add_f64 v[0:1], v[0:1], -v[6:7]
	v_add_f64 v[2:3], v[2:3], -v[168:169]
	scratch_store_dwordx4 off, v[0:3], off offset:752
	ds_read2_b64 v[0:3], v248 offset0:96 offset1:97
	s_waitcnt lgkmcnt(0)
	v_mul_f64 v[6:7], v[2:3], v[166:167]
	v_mul_f64 v[168:169], v[0:1], v[166:167]
	v_fma_f64 v[6:7], v[0:1], v[4:5], -v[6:7]
	v_fmac_f64_e32 v[168:169], v[2:3], v[4:5]
	scratch_load_dwordx4 v[0:3], off, off offset:768
	s_waitcnt vmcnt(0)
	v_add_f64 v[0:1], v[0:1], -v[6:7]
	v_add_f64 v[2:3], v[2:3], -v[168:169]
	scratch_store_dwordx4 off, v[0:3], off offset:768
	ds_read2_b64 v[0:3], v248 offset0:98 offset1:99
	s_waitcnt lgkmcnt(0)
	;; [unrolled: 11-line block ×5, first 2 shown]
	v_mul_f64 v[6:7], v[2:3], v[166:167]
	v_mul_f64 v[166:167], v[0:1], v[166:167]
	v_fma_f64 v[6:7], v[0:1], v[4:5], -v[6:7]
	v_fmac_f64_e32 v[166:167], v[2:3], v[4:5]
	scratch_load_dwordx4 v[0:3], off, off offset:832
	s_waitcnt vmcnt(0)
	v_add_f64 v[0:1], v[0:1], -v[6:7]
	v_add_f64 v[2:3], v[2:3], -v[166:167]
	scratch_store_dwordx4 off, v[0:3], off offset:832
	ds_read2_b64 v[0:3], v248 offset0:106 offset1:107
	scratch_load_dwordx2 v[166:167], off, off offset:640
	scratch_load_dwordx2 v[4:5], off, off offset:648
	s_waitcnt vmcnt(0) lgkmcnt(0)
	v_mul_f64 v[6:7], v[2:3], v[4:5]
	v_mul_f64 v[168:169], v[0:1], v[4:5]
	v_fma_f64 v[6:7], v[0:1], v[166:167], -v[6:7]
	v_fmac_f64_e32 v[168:169], v[2:3], v[166:167]
	scratch_load_dwordx4 v[0:3], off, off offset:848
	s_waitcnt vmcnt(0)
	v_add_f64 v[0:1], v[0:1], -v[6:7]
	v_add_f64 v[2:3], v[2:3], -v[168:169]
	scratch_store_dwordx4 off, v[0:3], off offset:848
	ds_read2_b64 v[0:3], v248 offset0:108 offset1:109
	s_waitcnt lgkmcnt(0)
	v_mul_f64 v[6:7], v[2:3], v[4:5]
	v_mul_f64 v[168:169], v[0:1], v[4:5]
	v_fma_f64 v[6:7], v[0:1], v[166:167], -v[6:7]
	v_fmac_f64_e32 v[168:169], v[2:3], v[166:167]
	scratch_load_dwordx4 v[0:3], off, off offset:864
	s_waitcnt vmcnt(0)
	v_add_f64 v[0:1], v[0:1], -v[6:7]
	v_add_f64 v[2:3], v[2:3], -v[168:169]
	scratch_store_dwordx4 off, v[0:3], off offset:864
	ds_read2_b64 v[0:3], v248 offset0:110 offset1:111
	s_waitcnt lgkmcnt(0)
	;; [unrolled: 11-line block ×5, first 2 shown]
	v_mul_f64 v[6:7], v[2:3], v[4:5]
	v_mul_f64 v[4:5], v[0:1], v[4:5]
	v_fma_f64 v[6:7], v[0:1], v[166:167], -v[6:7]
	v_fmac_f64_e32 v[4:5], v[2:3], v[166:167]
	scratch_load_dwordx4 v[0:3], off, off offset:928
	s_waitcnt vmcnt(0)
	v_add_f64 v[2:3], v[2:3], -v[4:5]
	scratch_load_dwordx2 v[4:5], off, off offset:648
	v_add_f64 v[0:1], v[0:1], -v[6:7]
	scratch_store_dwordx4 off, v[0:3], off offset:928
	ds_read2_b64 v[0:3], v248 offset0:118 offset1:119
	s_waitcnt vmcnt(1) lgkmcnt(0)
	v_mul_f64 v[6:7], v[2:3], v[4:5]
	v_mul_f64 v[166:167], v[0:1], v[4:5]
	v_fma_f64 v[6:7], v[0:1], v[164:165], -v[6:7]
	v_fmac_f64_e32 v[166:167], v[2:3], v[164:165]
	scratch_load_dwordx4 v[0:3], off, off offset:944
	s_waitcnt vmcnt(0)
	v_add_f64 v[0:1], v[0:1], -v[6:7]
	v_add_f64 v[2:3], v[2:3], -v[166:167]
	scratch_store_dwordx4 off, v[0:3], off offset:944
	ds_read2_b64 v[0:3], v248 offset0:120 offset1:121
	s_waitcnt lgkmcnt(0)
	v_mul_f64 v[6:7], v[2:3], v[4:5]
	v_mul_f64 v[166:167], v[0:1], v[4:5]
	v_fma_f64 v[6:7], v[0:1], v[164:165], -v[6:7]
	v_fmac_f64_e32 v[166:167], v[2:3], v[164:165]
	scratch_load_dwordx4 v[0:3], off, off offset:960
	s_waitcnt vmcnt(0)
	v_add_f64 v[0:1], v[0:1], -v[6:7]
	v_add_f64 v[2:3], v[2:3], -v[166:167]
	scratch_store_dwordx4 off, v[0:3], off offset:960
	ds_read2_b64 v[0:3], v248 offset0:122 offset1:123
	s_waitcnt lgkmcnt(0)
	;; [unrolled: 11-line block ×3, first 2 shown]
	v_mul_f64 v[6:7], v[2:3], v[4:5]
	v_mul_f64 v[170:171], v[0:1], v[4:5]
	v_fma_f64 v[168:169], v[0:1], v[164:165], -v[6:7]
	v_fmac_f64_e32 v[170:171], v[2:3], v[164:165]
	scratch_load_dwordx4 v[164:167], off, off offset:992
	s_waitcnt vmcnt(0)
	v_add_f64 v[0:1], v[164:165], -v[168:169]
	v_add_f64 v[2:3], v[166:167], -v[170:171]
	scratch_store_dwordx4 off, v[0:3], off offset:992
.LBB125_480:
	s_or_b64 exec, exec, s[2:3]
	v_cmp_eq_u32_e32 vcc, 41, v254
	s_waitcnt lgkmcnt(0)
	s_barrier
	s_and_saveexec_b64 s[4:5], vcc
	s_cbranch_execz .LBB125_487
; %bb.481:
	scratch_load_dwordx4 v[0:3], off, s30
	s_waitcnt vmcnt(0)
	ds_write2_b64 v252, v[0:1], v[2:3] offset1:1
	scratch_load_dwordx4 v[0:3], off, s29
	s_waitcnt vmcnt(0)
	ds_write2_b64 v248, v[0:1], v[2:3] offset0:84 offset1:85
	scratch_load_dwordx4 v[0:3], off, s28
	s_waitcnt vmcnt(0)
	ds_write2_b64 v248, v[0:1], v[2:3] offset0:86 offset1:87
	;; [unrolled: 3-line block ×21, first 2 shown]
	ds_read2_b64 v[164:167], v252 offset1:1
	s_waitcnt lgkmcnt(0)
	v_cmp_neq_f64_e32 vcc, 0, v[164:165]
	v_cmp_neq_f64_e64 s[2:3], 0, v[166:167]
	s_or_b64 s[2:3], vcc, s[2:3]
	s_and_b64 exec, exec, s[2:3]
	s_cbranch_execz .LBB125_487
; %bb.482:
	v_cmp_ngt_f64_e64 s[2:3], |v[164:165]|, |v[166:167]|
                                        ; implicit-def: $vgpr0_vgpr1
	s_and_saveexec_b64 s[46:47], s[2:3]
	s_xor_b64 s[2:3], exec, s[46:47]
                                        ; implicit-def: $vgpr2_vgpr3
	s_cbranch_execz .LBB125_484
; %bb.483:
	v_div_scale_f64 v[0:1], s[46:47], v[166:167], v[166:167], v[164:165]
	v_rcp_f64_e32 v[2:3], v[0:1]
	v_div_scale_f64 v[4:5], vcc, v[164:165], v[166:167], v[164:165]
	v_fma_f64 v[6:7], -v[0:1], v[2:3], 1.0
	v_fmac_f64_e32 v[2:3], v[2:3], v[6:7]
	v_fma_f64 v[6:7], -v[0:1], v[2:3], 1.0
	v_fmac_f64_e32 v[2:3], v[2:3], v[6:7]
	v_mul_f64 v[6:7], v[4:5], v[2:3]
	v_fma_f64 v[0:1], -v[0:1], v[6:7], v[4:5]
	v_div_fmas_f64 v[0:1], v[0:1], v[2:3], v[6:7]
	v_div_fixup_f64 v[0:1], v[0:1], v[166:167], v[164:165]
	v_fmac_f64_e32 v[166:167], v[164:165], v[0:1]
	v_div_scale_f64 v[2:3], s[46:47], v[166:167], v[166:167], 1.0
	v_rcp_f64_e32 v[4:5], v[2:3]
	s_nop 0
	v_fma_f64 v[6:7], -v[2:3], v[4:5], 1.0
	v_fmac_f64_e32 v[4:5], v[4:5], v[6:7]
	v_fma_f64 v[6:7], -v[2:3], v[4:5], 1.0
	v_fmac_f64_e32 v[4:5], v[4:5], v[6:7]
	v_div_scale_f64 v[6:7], vcc, 1.0, v[166:167], 1.0
	v_mul_f64 v[164:165], v[6:7], v[4:5]
	v_fma_f64 v[2:3], -v[2:3], v[164:165], v[6:7]
	s_nop 1
	v_div_fmas_f64 v[2:3], v[2:3], v[4:5], v[164:165]
	v_div_fixup_f64 v[2:3], v[2:3], v[166:167], 1.0
	v_mul_f64 v[0:1], v[0:1], v[2:3]
	v_xor_b32_e32 v3, 0x80000000, v3
                                        ; implicit-def: $vgpr164_vgpr165
.LBB125_484:
	s_andn2_saveexec_b64 s[2:3], s[2:3]
	s_cbranch_execz .LBB125_486
; %bb.485:
	v_div_scale_f64 v[0:1], s[46:47], v[164:165], v[164:165], v[166:167]
	v_rcp_f64_e32 v[2:3], v[0:1]
	v_div_scale_f64 v[4:5], vcc, v[166:167], v[164:165], v[166:167]
	v_fma_f64 v[6:7], -v[0:1], v[2:3], 1.0
	v_fmac_f64_e32 v[2:3], v[2:3], v[6:7]
	v_fma_f64 v[6:7], -v[0:1], v[2:3], 1.0
	v_fmac_f64_e32 v[2:3], v[2:3], v[6:7]
	v_mul_f64 v[6:7], v[4:5], v[2:3]
	v_fma_f64 v[0:1], -v[0:1], v[6:7], v[4:5]
	v_div_fmas_f64 v[0:1], v[0:1], v[2:3], v[6:7]
	v_div_fixup_f64 v[2:3], v[0:1], v[164:165], v[166:167]
	v_fmac_f64_e32 v[164:165], v[166:167], v[2:3]
	v_div_scale_f64 v[0:1], s[46:47], v[164:165], v[164:165], 1.0
	v_rcp_f64_e32 v[4:5], v[0:1]
	s_nop 0
	v_fma_f64 v[6:7], -v[0:1], v[4:5], 1.0
	v_fmac_f64_e32 v[4:5], v[4:5], v[6:7]
	v_fma_f64 v[6:7], -v[0:1], v[4:5], 1.0
	v_fmac_f64_e32 v[4:5], v[4:5], v[6:7]
	v_div_scale_f64 v[6:7], vcc, 1.0, v[164:165], 1.0
	v_mul_f64 v[166:167], v[6:7], v[4:5]
	v_fma_f64 v[0:1], -v[0:1], v[166:167], v[6:7]
	s_nop 1
	v_div_fmas_f64 v[0:1], v[0:1], v[4:5], v[166:167]
	v_div_fixup_f64 v[0:1], v[0:1], v[164:165], 1.0
	v_mul_f64 v[2:3], v[2:3], -v[0:1]
.LBB125_486:
	s_or_b64 exec, exec, s[2:3]
	ds_write2_b64 v252, v[0:1], v[2:3] offset1:1
.LBB125_487:
	s_or_b64 exec, exec, s[4:5]
	s_waitcnt lgkmcnt(0)
	s_barrier
	ds_read2_b64 v[164:167], v252 offset1:1
	v_cmp_lt_u32_e32 vcc, 41, v254
	s_and_saveexec_b64 s[2:3], vcc
	s_cbranch_execz .LBB125_489
; %bb.488:
	scratch_load_dwordx4 v[0:3], off, off offset:656
	s_waitcnt vmcnt(0) lgkmcnt(0)
	v_mul_f64 v[4:5], v[166:167], v[2:3]
	v_mul_f64 v[170:171], v[164:165], v[2:3]
	v_fma_f64 v[168:169], v[164:165], v[0:1], -v[4:5]
	v_fmac_f64_e32 v[170:171], v[166:167], v[0:1]
	ds_read2_b64 v[0:3], v248 offset0:84 offset1:85
	scratch_store_dwordx4 off, v[168:171], off offset:656
	s_waitcnt lgkmcnt(0)
	v_mul_f64 v[4:5], v[2:3], v[170:171]
	v_mul_f64 v[6:7], v[0:1], v[170:171]
	v_fma_f64 v[4:5], v[0:1], v[168:169], -v[4:5]
	v_fmac_f64_e32 v[6:7], v[2:3], v[168:169]
	scratch_load_dwordx4 v[0:3], off, off offset:672
	s_waitcnt vmcnt(0)
	v_add_f64 v[0:1], v[0:1], -v[4:5]
	v_add_f64 v[2:3], v[2:3], -v[6:7]
	scratch_store_dwordx4 off, v[0:3], off offset:672
	ds_read2_b64 v[0:3], v248 offset0:86 offset1:87
	s_waitcnt lgkmcnt(0)
	v_mul_f64 v[4:5], v[2:3], v[170:171]
	v_mul_f64 v[6:7], v[0:1], v[170:171]
	v_fma_f64 v[4:5], v[0:1], v[168:169], -v[4:5]
	v_fmac_f64_e32 v[6:7], v[2:3], v[168:169]
	scratch_load_dwordx4 v[0:3], off, off offset:688
	s_waitcnt vmcnt(0)
	v_add_f64 v[0:1], v[0:1], -v[4:5]
	v_add_f64 v[2:3], v[2:3], -v[6:7]
	scratch_store_dwordx4 off, v[0:3], off offset:688
	ds_read2_b64 v[0:3], v248 offset0:88 offset1:89
	;; [unrolled: 11-line block ×6, first 2 shown]
	scratch_load_dwordx2 v[4:5], off, off offset:656
	scratch_load_dwordx4 v[168:171], off, off offset:656
	s_waitcnt vmcnt(0) lgkmcnt(0)
	v_mul_f64 v[6:7], v[2:3], v[170:171]
	v_mul_f64 v[172:173], v[0:1], v[170:171]
	v_fma_f64 v[6:7], v[0:1], v[4:5], -v[6:7]
	v_fmac_f64_e32 v[172:173], v[2:3], v[4:5]
	scratch_load_dwordx4 v[0:3], off, off offset:768
	s_waitcnt vmcnt(0)
	v_add_f64 v[0:1], v[0:1], -v[6:7]
	v_add_f64 v[2:3], v[2:3], -v[172:173]
	scratch_store_dwordx4 off, v[0:3], off offset:768
	ds_read2_b64 v[0:3], v248 offset0:98 offset1:99
	s_waitcnt lgkmcnt(0)
	v_mul_f64 v[6:7], v[2:3], v[170:171]
	v_mul_f64 v[172:173], v[0:1], v[170:171]
	v_fma_f64 v[6:7], v[0:1], v[4:5], -v[6:7]
	v_fmac_f64_e32 v[172:173], v[2:3], v[4:5]
	scratch_load_dwordx4 v[0:3], off, off offset:784
	s_waitcnt vmcnt(0)
	v_add_f64 v[0:1], v[0:1], -v[6:7]
	v_add_f64 v[2:3], v[2:3], -v[172:173]
	scratch_store_dwordx4 off, v[0:3], off offset:784
	ds_read2_b64 v[0:3], v248 offset0:100 offset1:101
	s_waitcnt lgkmcnt(0)
	;; [unrolled: 11-line block ×5, first 2 shown]
	v_mul_f64 v[6:7], v[2:3], v[170:171]
	v_mul_f64 v[170:171], v[0:1], v[170:171]
	v_fma_f64 v[6:7], v[0:1], v[4:5], -v[6:7]
	v_fmac_f64_e32 v[170:171], v[2:3], v[4:5]
	scratch_load_dwordx4 v[0:3], off, off offset:848
	s_waitcnt vmcnt(0)
	v_add_f64 v[0:1], v[0:1], -v[6:7]
	v_add_f64 v[2:3], v[2:3], -v[170:171]
	scratch_store_dwordx4 off, v[0:3], off offset:848
	ds_read2_b64 v[0:3], v248 offset0:108 offset1:109
	scratch_load_dwordx2 v[170:171], off, off offset:656
	scratch_load_dwordx2 v[4:5], off, off offset:664
	s_waitcnt vmcnt(0) lgkmcnt(0)
	v_mul_f64 v[6:7], v[2:3], v[4:5]
	v_mul_f64 v[172:173], v[0:1], v[4:5]
	v_fma_f64 v[6:7], v[0:1], v[170:171], -v[6:7]
	v_fmac_f64_e32 v[172:173], v[2:3], v[170:171]
	scratch_load_dwordx4 v[0:3], off, off offset:864
	s_waitcnt vmcnt(0)
	v_add_f64 v[0:1], v[0:1], -v[6:7]
	v_add_f64 v[2:3], v[2:3], -v[172:173]
	scratch_store_dwordx4 off, v[0:3], off offset:864
	ds_read2_b64 v[0:3], v248 offset0:110 offset1:111
	s_waitcnt lgkmcnt(0)
	v_mul_f64 v[6:7], v[2:3], v[4:5]
	v_mul_f64 v[172:173], v[0:1], v[4:5]
	v_fma_f64 v[6:7], v[0:1], v[170:171], -v[6:7]
	v_fmac_f64_e32 v[172:173], v[2:3], v[170:171]
	scratch_load_dwordx4 v[0:3], off, off offset:880
	s_waitcnt vmcnt(0)
	v_add_f64 v[0:1], v[0:1], -v[6:7]
	v_add_f64 v[2:3], v[2:3], -v[172:173]
	scratch_store_dwordx4 off, v[0:3], off offset:880
	ds_read2_b64 v[0:3], v248 offset0:112 offset1:113
	s_waitcnt lgkmcnt(0)
	;; [unrolled: 11-line block ×5, first 2 shown]
	v_mul_f64 v[6:7], v[2:3], v[4:5]
	v_mul_f64 v[4:5], v[0:1], v[4:5]
	v_fma_f64 v[6:7], v[0:1], v[170:171], -v[6:7]
	v_fmac_f64_e32 v[4:5], v[2:3], v[170:171]
	scratch_load_dwordx4 v[0:3], off, off offset:944
	s_waitcnt vmcnt(0)
	v_add_f64 v[2:3], v[2:3], -v[4:5]
	scratch_load_dwordx2 v[4:5], off, off offset:664
	v_add_f64 v[0:1], v[0:1], -v[6:7]
	scratch_store_dwordx4 off, v[0:3], off offset:944
	ds_read2_b64 v[0:3], v248 offset0:120 offset1:121
	s_waitcnt vmcnt(1) lgkmcnt(0)
	v_mul_f64 v[6:7], v[2:3], v[4:5]
	v_mul_f64 v[170:171], v[0:1], v[4:5]
	v_fma_f64 v[6:7], v[0:1], v[168:169], -v[6:7]
	v_fmac_f64_e32 v[170:171], v[2:3], v[168:169]
	scratch_load_dwordx4 v[0:3], off, off offset:960
	s_waitcnt vmcnt(0)
	v_add_f64 v[0:1], v[0:1], -v[6:7]
	v_add_f64 v[2:3], v[2:3], -v[170:171]
	scratch_store_dwordx4 off, v[0:3], off offset:960
	ds_read2_b64 v[0:3], v248 offset0:122 offset1:123
	s_waitcnt lgkmcnt(0)
	v_mul_f64 v[6:7], v[2:3], v[4:5]
	v_mul_f64 v[170:171], v[0:1], v[4:5]
	v_fma_f64 v[6:7], v[0:1], v[168:169], -v[6:7]
	v_fmac_f64_e32 v[170:171], v[2:3], v[168:169]
	scratch_load_dwordx4 v[0:3], off, off offset:976
	s_waitcnt vmcnt(0)
	v_add_f64 v[0:1], v[0:1], -v[6:7]
	v_add_f64 v[2:3], v[2:3], -v[170:171]
	scratch_store_dwordx4 off, v[0:3], off offset:976
	ds_read2_b64 v[0:3], v248 offset0:124 offset1:125
	s_waitcnt lgkmcnt(0)
	v_mul_f64 v[6:7], v[2:3], v[4:5]
	v_mul_f64 v[174:175], v[0:1], v[4:5]
	v_fma_f64 v[172:173], v[0:1], v[168:169], -v[6:7]
	v_fmac_f64_e32 v[174:175], v[2:3], v[168:169]
	scratch_load_dwordx4 v[168:171], off, off offset:992
	s_waitcnt vmcnt(0)
	v_add_f64 v[0:1], v[168:169], -v[172:173]
	v_add_f64 v[2:3], v[170:171], -v[174:175]
	scratch_store_dwordx4 off, v[0:3], off offset:992
.LBB125_489:
	s_or_b64 exec, exec, s[2:3]
	v_cmp_eq_u32_e32 vcc, 42, v254
	s_waitcnt lgkmcnt(0)
	s_barrier
	s_and_saveexec_b64 s[4:5], vcc
	s_cbranch_execz .LBB125_496
; %bb.490:
	scratch_load_dwordx4 v[0:3], off, s29
	s_waitcnt vmcnt(0)
	ds_write2_b64 v252, v[0:1], v[2:3] offset1:1
	scratch_load_dwordx4 v[0:3], off, s28
	s_waitcnt vmcnt(0)
	ds_write2_b64 v248, v[0:1], v[2:3] offset0:86 offset1:87
	scratch_load_dwordx4 v[0:3], off, s27
	s_waitcnt vmcnt(0)
	ds_write2_b64 v248, v[0:1], v[2:3] offset0:88 offset1:89
	;; [unrolled: 3-line block ×20, first 2 shown]
	ds_read2_b64 v[168:171], v252 offset1:1
	s_waitcnt lgkmcnt(0)
	v_cmp_neq_f64_e32 vcc, 0, v[168:169]
	v_cmp_neq_f64_e64 s[2:3], 0, v[170:171]
	s_or_b64 s[2:3], vcc, s[2:3]
	s_and_b64 exec, exec, s[2:3]
	s_cbranch_execz .LBB125_496
; %bb.491:
	v_cmp_ngt_f64_e64 s[2:3], |v[168:169]|, |v[170:171]|
                                        ; implicit-def: $vgpr0_vgpr1
	s_and_saveexec_b64 s[46:47], s[2:3]
	s_xor_b64 s[2:3], exec, s[46:47]
                                        ; implicit-def: $vgpr2_vgpr3
	s_cbranch_execz .LBB125_493
; %bb.492:
	v_div_scale_f64 v[0:1], s[46:47], v[170:171], v[170:171], v[168:169]
	v_rcp_f64_e32 v[2:3], v[0:1]
	v_div_scale_f64 v[4:5], vcc, v[168:169], v[170:171], v[168:169]
	v_fma_f64 v[6:7], -v[0:1], v[2:3], 1.0
	v_fmac_f64_e32 v[2:3], v[2:3], v[6:7]
	v_fma_f64 v[6:7], -v[0:1], v[2:3], 1.0
	v_fmac_f64_e32 v[2:3], v[2:3], v[6:7]
	v_mul_f64 v[6:7], v[4:5], v[2:3]
	v_fma_f64 v[0:1], -v[0:1], v[6:7], v[4:5]
	v_div_fmas_f64 v[0:1], v[0:1], v[2:3], v[6:7]
	v_div_fixup_f64 v[0:1], v[0:1], v[170:171], v[168:169]
	v_fmac_f64_e32 v[170:171], v[168:169], v[0:1]
	v_div_scale_f64 v[2:3], s[46:47], v[170:171], v[170:171], 1.0
	v_rcp_f64_e32 v[4:5], v[2:3]
	s_nop 0
	v_fma_f64 v[6:7], -v[2:3], v[4:5], 1.0
	v_fmac_f64_e32 v[4:5], v[4:5], v[6:7]
	v_fma_f64 v[6:7], -v[2:3], v[4:5], 1.0
	v_fmac_f64_e32 v[4:5], v[4:5], v[6:7]
	v_div_scale_f64 v[6:7], vcc, 1.0, v[170:171], 1.0
	v_mul_f64 v[168:169], v[6:7], v[4:5]
	v_fma_f64 v[2:3], -v[2:3], v[168:169], v[6:7]
	s_nop 1
	v_div_fmas_f64 v[2:3], v[2:3], v[4:5], v[168:169]
	v_div_fixup_f64 v[2:3], v[2:3], v[170:171], 1.0
	v_mul_f64 v[0:1], v[0:1], v[2:3]
	v_xor_b32_e32 v3, 0x80000000, v3
                                        ; implicit-def: $vgpr168_vgpr169
.LBB125_493:
	s_andn2_saveexec_b64 s[2:3], s[2:3]
	s_cbranch_execz .LBB125_495
; %bb.494:
	v_div_scale_f64 v[0:1], s[46:47], v[168:169], v[168:169], v[170:171]
	v_rcp_f64_e32 v[2:3], v[0:1]
	v_div_scale_f64 v[4:5], vcc, v[170:171], v[168:169], v[170:171]
	v_fma_f64 v[6:7], -v[0:1], v[2:3], 1.0
	v_fmac_f64_e32 v[2:3], v[2:3], v[6:7]
	v_fma_f64 v[6:7], -v[0:1], v[2:3], 1.0
	v_fmac_f64_e32 v[2:3], v[2:3], v[6:7]
	v_mul_f64 v[6:7], v[4:5], v[2:3]
	v_fma_f64 v[0:1], -v[0:1], v[6:7], v[4:5]
	v_div_fmas_f64 v[0:1], v[0:1], v[2:3], v[6:7]
	v_div_fixup_f64 v[2:3], v[0:1], v[168:169], v[170:171]
	v_fmac_f64_e32 v[168:169], v[170:171], v[2:3]
	v_div_scale_f64 v[0:1], s[46:47], v[168:169], v[168:169], 1.0
	v_rcp_f64_e32 v[4:5], v[0:1]
	s_nop 0
	v_fma_f64 v[6:7], -v[0:1], v[4:5], 1.0
	v_fmac_f64_e32 v[4:5], v[4:5], v[6:7]
	v_fma_f64 v[6:7], -v[0:1], v[4:5], 1.0
	v_fmac_f64_e32 v[4:5], v[4:5], v[6:7]
	v_div_scale_f64 v[6:7], vcc, 1.0, v[168:169], 1.0
	v_mul_f64 v[170:171], v[6:7], v[4:5]
	v_fma_f64 v[0:1], -v[0:1], v[170:171], v[6:7]
	s_nop 1
	v_div_fmas_f64 v[0:1], v[0:1], v[4:5], v[170:171]
	v_div_fixup_f64 v[0:1], v[0:1], v[168:169], 1.0
	v_mul_f64 v[2:3], v[2:3], -v[0:1]
.LBB125_495:
	s_or_b64 exec, exec, s[2:3]
	ds_write2_b64 v252, v[0:1], v[2:3] offset1:1
.LBB125_496:
	s_or_b64 exec, exec, s[4:5]
	s_waitcnt lgkmcnt(0)
	s_barrier
	ds_read2_b64 v[168:171], v252 offset1:1
	v_cmp_lt_u32_e32 vcc, 42, v254
	s_and_saveexec_b64 s[2:3], vcc
	s_cbranch_execz .LBB125_498
; %bb.497:
	scratch_load_dwordx4 v[0:3], off, off offset:672
	s_waitcnt vmcnt(0) lgkmcnt(0)
	v_mul_f64 v[4:5], v[170:171], v[2:3]
	v_mul_f64 v[174:175], v[168:169], v[2:3]
	v_fma_f64 v[172:173], v[168:169], v[0:1], -v[4:5]
	v_fmac_f64_e32 v[174:175], v[170:171], v[0:1]
	ds_read2_b64 v[0:3], v248 offset0:86 offset1:87
	scratch_store_dwordx4 off, v[172:175], off offset:672
	s_waitcnt lgkmcnt(0)
	v_mul_f64 v[4:5], v[2:3], v[174:175]
	v_mul_f64 v[6:7], v[0:1], v[174:175]
	v_fma_f64 v[4:5], v[0:1], v[172:173], -v[4:5]
	v_fmac_f64_e32 v[6:7], v[2:3], v[172:173]
	scratch_load_dwordx4 v[0:3], off, off offset:688
	s_waitcnt vmcnt(0)
	v_add_f64 v[0:1], v[0:1], -v[4:5]
	v_add_f64 v[2:3], v[2:3], -v[6:7]
	scratch_store_dwordx4 off, v[0:3], off offset:688
	ds_read2_b64 v[0:3], v248 offset0:88 offset1:89
	s_waitcnt lgkmcnt(0)
	v_mul_f64 v[4:5], v[2:3], v[174:175]
	v_mul_f64 v[6:7], v[0:1], v[174:175]
	v_fma_f64 v[4:5], v[0:1], v[172:173], -v[4:5]
	v_fmac_f64_e32 v[6:7], v[2:3], v[172:173]
	scratch_load_dwordx4 v[0:3], off, off offset:704
	s_waitcnt vmcnt(0)
	v_add_f64 v[0:1], v[0:1], -v[4:5]
	v_add_f64 v[2:3], v[2:3], -v[6:7]
	scratch_store_dwordx4 off, v[0:3], off offset:704
	ds_read2_b64 v[0:3], v248 offset0:90 offset1:91
	;; [unrolled: 11-line block ×6, first 2 shown]
	scratch_load_dwordx2 v[4:5], off, off offset:672
	scratch_load_dwordx4 v[172:175], off, off offset:672
	s_waitcnt vmcnt(0) lgkmcnt(0)
	v_mul_f64 v[6:7], v[2:3], v[174:175]
	v_mul_f64 v[176:177], v[0:1], v[174:175]
	v_fma_f64 v[6:7], v[0:1], v[4:5], -v[6:7]
	v_fmac_f64_e32 v[176:177], v[2:3], v[4:5]
	scratch_load_dwordx4 v[0:3], off, off offset:784
	s_waitcnt vmcnt(0)
	v_add_f64 v[0:1], v[0:1], -v[6:7]
	v_add_f64 v[2:3], v[2:3], -v[176:177]
	scratch_store_dwordx4 off, v[0:3], off offset:784
	ds_read2_b64 v[0:3], v248 offset0:100 offset1:101
	s_waitcnt lgkmcnt(0)
	v_mul_f64 v[6:7], v[2:3], v[174:175]
	v_mul_f64 v[176:177], v[0:1], v[174:175]
	v_fma_f64 v[6:7], v[0:1], v[4:5], -v[6:7]
	v_fmac_f64_e32 v[176:177], v[2:3], v[4:5]
	scratch_load_dwordx4 v[0:3], off, off offset:800
	s_waitcnt vmcnt(0)
	v_add_f64 v[0:1], v[0:1], -v[6:7]
	v_add_f64 v[2:3], v[2:3], -v[176:177]
	scratch_store_dwordx4 off, v[0:3], off offset:800
	ds_read2_b64 v[0:3], v248 offset0:102 offset1:103
	s_waitcnt lgkmcnt(0)
	;; [unrolled: 11-line block ×5, first 2 shown]
	v_mul_f64 v[6:7], v[2:3], v[174:175]
	v_mul_f64 v[174:175], v[0:1], v[174:175]
	v_fma_f64 v[6:7], v[0:1], v[4:5], -v[6:7]
	v_fmac_f64_e32 v[174:175], v[2:3], v[4:5]
	scratch_load_dwordx4 v[0:3], off, off offset:864
	s_waitcnt vmcnt(0)
	v_add_f64 v[0:1], v[0:1], -v[6:7]
	v_add_f64 v[2:3], v[2:3], -v[174:175]
	scratch_store_dwordx4 off, v[0:3], off offset:864
	ds_read2_b64 v[0:3], v248 offset0:110 offset1:111
	scratch_load_dwordx2 v[174:175], off, off offset:672
	scratch_load_dwordx2 v[176:177], off, off offset:680
	s_waitcnt vmcnt(0) lgkmcnt(0)
	v_mul_f64 v[4:5], v[2:3], v[176:177]
	v_mul_f64 v[6:7], v[0:1], v[176:177]
	v_fma_f64 v[4:5], v[0:1], v[174:175], -v[4:5]
	v_fmac_f64_e32 v[6:7], v[2:3], v[174:175]
	scratch_load_dwordx4 v[0:3], off, off offset:880
	s_waitcnt vmcnt(0)
	v_add_f64 v[0:1], v[0:1], -v[4:5]
	v_add_f64 v[2:3], v[2:3], -v[6:7]
	scratch_store_dwordx4 off, v[0:3], off offset:880
	ds_read2_b64 v[0:3], v248 offset0:112 offset1:113
	s_waitcnt lgkmcnt(0)
	v_mul_f64 v[4:5], v[2:3], v[176:177]
	v_mul_f64 v[6:7], v[0:1], v[176:177]
	v_fma_f64 v[4:5], v[0:1], v[174:175], -v[4:5]
	v_fmac_f64_e32 v[6:7], v[2:3], v[174:175]
	scratch_load_dwordx4 v[0:3], off, off offset:896
	s_waitcnt vmcnt(0)
	v_add_f64 v[0:1], v[0:1], -v[4:5]
	v_add_f64 v[2:3], v[2:3], -v[6:7]
	scratch_store_dwordx4 off, v[0:3], off offset:896
	ds_read2_b64 v[0:3], v248 offset0:114 offset1:115
	s_waitcnt lgkmcnt(0)
	v_mul_f64 v[4:5], v[2:3], v[176:177]
	v_mul_f64 v[6:7], v[0:1], v[176:177]
	v_fma_f64 v[4:5], v[0:1], v[174:175], -v[4:5]
	v_fmac_f64_e32 v[6:7], v[2:3], v[174:175]
	scratch_load_dwordx4 v[0:3], off, off offset:912
	s_waitcnt vmcnt(0)
	v_add_f64 v[0:1], v[0:1], -v[4:5]
	v_add_f64 v[2:3], v[2:3], -v[6:7]
	scratch_store_dwordx4 off, v[0:3], off offset:912
	ds_read2_b64 v[0:3], v248 offset0:116 offset1:117
	s_waitcnt lgkmcnt(0)
	v_mul_f64 v[4:5], v[2:3], v[176:177]
	v_mul_f64 v[6:7], v[0:1], v[176:177]
	v_fma_f64 v[4:5], v[0:1], v[174:175], -v[4:5]
	v_fmac_f64_e32 v[6:7], v[2:3], v[174:175]
	scratch_load_dwordx4 v[0:3], off, off offset:928
	s_waitcnt vmcnt(0)
	v_add_f64 v[0:1], v[0:1], -v[4:5]
	v_add_f64 v[2:3], v[2:3], -v[6:7]
	scratch_store_dwordx4 off, v[0:3], off offset:928
	ds_read2_b64 v[0:3], v248 offset0:118 offset1:119
	s_waitcnt lgkmcnt(0)
	v_mul_f64 v[4:5], v[2:3], v[176:177]
	v_mul_f64 v[6:7], v[0:1], v[176:177]
	v_fma_f64 v[4:5], v[0:1], v[174:175], -v[4:5]
	v_fmac_f64_e32 v[6:7], v[2:3], v[174:175]
	scratch_load_dwordx4 v[0:3], off, off offset:944
	s_waitcnt vmcnt(0)
	v_add_f64 v[0:1], v[0:1], -v[4:5]
	v_add_f64 v[2:3], v[2:3], -v[6:7]
	scratch_store_dwordx4 off, v[0:3], off offset:944
	ds_read2_b64 v[0:3], v248 offset0:120 offset1:121
	s_waitcnt lgkmcnt(0)
	v_mul_f64 v[4:5], v[2:3], v[176:177]
	v_mul_f64 v[6:7], v[0:1], v[176:177]
	v_fma_f64 v[4:5], v[0:1], v[174:175], -v[4:5]
	v_fmac_f64_e32 v[6:7], v[2:3], v[174:175]
	scratch_load_dwordx4 v[0:3], off, off offset:960
	s_waitcnt vmcnt(0)
	v_add_f64 v[0:1], v[0:1], -v[4:5]
	scratch_load_dwordx2 v[4:5], off, off offset:680
	v_add_f64 v[2:3], v[2:3], -v[6:7]
	scratch_store_dwordx4 off, v[0:3], off offset:960
	ds_read2_b64 v[0:3], v248 offset0:122 offset1:123
	s_waitcnt vmcnt(1) lgkmcnt(0)
	v_mul_f64 v[6:7], v[2:3], v[4:5]
	v_mul_f64 v[174:175], v[0:1], v[4:5]
	v_fma_f64 v[6:7], v[0:1], v[172:173], -v[6:7]
	v_fmac_f64_e32 v[174:175], v[2:3], v[172:173]
	scratch_load_dwordx4 v[0:3], off, off offset:976
	s_waitcnt vmcnt(0)
	v_add_f64 v[0:1], v[0:1], -v[6:7]
	v_add_f64 v[2:3], v[2:3], -v[174:175]
	scratch_store_dwordx4 off, v[0:3], off offset:976
	ds_read2_b64 v[0:3], v248 offset0:124 offset1:125
	s_waitcnt lgkmcnt(0)
	v_mul_f64 v[6:7], v[2:3], v[4:5]
	v_mul_f64 v[178:179], v[0:1], v[4:5]
	v_fma_f64 v[176:177], v[0:1], v[172:173], -v[6:7]
	v_fmac_f64_e32 v[178:179], v[2:3], v[172:173]
	scratch_load_dwordx4 v[172:175], off, off offset:992
	s_waitcnt vmcnt(0)
	v_add_f64 v[0:1], v[172:173], -v[176:177]
	v_add_f64 v[2:3], v[174:175], -v[178:179]
	scratch_store_dwordx4 off, v[0:3], off offset:992
.LBB125_498:
	s_or_b64 exec, exec, s[2:3]
	v_cmp_eq_u32_e32 vcc, 43, v254
	s_waitcnt lgkmcnt(0)
	s_barrier
	s_and_saveexec_b64 s[4:5], vcc
	s_cbranch_execz .LBB125_505
; %bb.499:
	scratch_load_dwordx4 v[0:3], off, s28
	s_waitcnt vmcnt(0)
	ds_write2_b64 v252, v[0:1], v[2:3] offset1:1
	scratch_load_dwordx4 v[0:3], off, s27
	s_waitcnt vmcnt(0)
	ds_write2_b64 v248, v[0:1], v[2:3] offset0:88 offset1:89
	scratch_load_dwordx4 v[0:3], off, s26
	s_waitcnt vmcnt(0)
	ds_write2_b64 v248, v[0:1], v[2:3] offset0:90 offset1:91
	;; [unrolled: 3-line block ×19, first 2 shown]
	ds_read2_b64 v[172:175], v252 offset1:1
	s_waitcnt lgkmcnt(0)
	v_cmp_neq_f64_e32 vcc, 0, v[172:173]
	v_cmp_neq_f64_e64 s[2:3], 0, v[174:175]
	s_or_b64 s[2:3], vcc, s[2:3]
	s_and_b64 exec, exec, s[2:3]
	s_cbranch_execz .LBB125_505
; %bb.500:
	v_cmp_ngt_f64_e64 s[2:3], |v[172:173]|, |v[174:175]|
                                        ; implicit-def: $vgpr0_vgpr1
	s_and_saveexec_b64 s[46:47], s[2:3]
	s_xor_b64 s[2:3], exec, s[46:47]
                                        ; implicit-def: $vgpr2_vgpr3
	s_cbranch_execz .LBB125_502
; %bb.501:
	v_div_scale_f64 v[0:1], s[46:47], v[174:175], v[174:175], v[172:173]
	v_rcp_f64_e32 v[2:3], v[0:1]
	v_div_scale_f64 v[4:5], vcc, v[172:173], v[174:175], v[172:173]
	v_fma_f64 v[6:7], -v[0:1], v[2:3], 1.0
	v_fmac_f64_e32 v[2:3], v[2:3], v[6:7]
	v_fma_f64 v[6:7], -v[0:1], v[2:3], 1.0
	v_fmac_f64_e32 v[2:3], v[2:3], v[6:7]
	v_mul_f64 v[6:7], v[4:5], v[2:3]
	v_fma_f64 v[0:1], -v[0:1], v[6:7], v[4:5]
	v_div_fmas_f64 v[0:1], v[0:1], v[2:3], v[6:7]
	v_div_fixup_f64 v[0:1], v[0:1], v[174:175], v[172:173]
	v_fmac_f64_e32 v[174:175], v[172:173], v[0:1]
	v_div_scale_f64 v[2:3], s[46:47], v[174:175], v[174:175], 1.0
	v_rcp_f64_e32 v[4:5], v[2:3]
	s_nop 0
	v_fma_f64 v[6:7], -v[2:3], v[4:5], 1.0
	v_fmac_f64_e32 v[4:5], v[4:5], v[6:7]
	v_fma_f64 v[6:7], -v[2:3], v[4:5], 1.0
	v_fmac_f64_e32 v[4:5], v[4:5], v[6:7]
	v_div_scale_f64 v[6:7], vcc, 1.0, v[174:175], 1.0
	v_mul_f64 v[172:173], v[6:7], v[4:5]
	v_fma_f64 v[2:3], -v[2:3], v[172:173], v[6:7]
	s_nop 1
	v_div_fmas_f64 v[2:3], v[2:3], v[4:5], v[172:173]
	v_div_fixup_f64 v[2:3], v[2:3], v[174:175], 1.0
	v_mul_f64 v[0:1], v[0:1], v[2:3]
	v_xor_b32_e32 v3, 0x80000000, v3
                                        ; implicit-def: $vgpr172_vgpr173
.LBB125_502:
	s_andn2_saveexec_b64 s[2:3], s[2:3]
	s_cbranch_execz .LBB125_504
; %bb.503:
	v_div_scale_f64 v[0:1], s[46:47], v[172:173], v[172:173], v[174:175]
	v_rcp_f64_e32 v[2:3], v[0:1]
	v_div_scale_f64 v[4:5], vcc, v[174:175], v[172:173], v[174:175]
	v_fma_f64 v[6:7], -v[0:1], v[2:3], 1.0
	v_fmac_f64_e32 v[2:3], v[2:3], v[6:7]
	v_fma_f64 v[6:7], -v[0:1], v[2:3], 1.0
	v_fmac_f64_e32 v[2:3], v[2:3], v[6:7]
	v_mul_f64 v[6:7], v[4:5], v[2:3]
	v_fma_f64 v[0:1], -v[0:1], v[6:7], v[4:5]
	v_div_fmas_f64 v[0:1], v[0:1], v[2:3], v[6:7]
	v_div_fixup_f64 v[2:3], v[0:1], v[172:173], v[174:175]
	v_fmac_f64_e32 v[172:173], v[174:175], v[2:3]
	v_div_scale_f64 v[0:1], s[46:47], v[172:173], v[172:173], 1.0
	v_rcp_f64_e32 v[4:5], v[0:1]
	s_nop 0
	v_fma_f64 v[6:7], -v[0:1], v[4:5], 1.0
	v_fmac_f64_e32 v[4:5], v[4:5], v[6:7]
	v_fma_f64 v[6:7], -v[0:1], v[4:5], 1.0
	v_fmac_f64_e32 v[4:5], v[4:5], v[6:7]
	v_div_scale_f64 v[6:7], vcc, 1.0, v[172:173], 1.0
	v_mul_f64 v[174:175], v[6:7], v[4:5]
	v_fma_f64 v[0:1], -v[0:1], v[174:175], v[6:7]
	s_nop 1
	v_div_fmas_f64 v[0:1], v[0:1], v[4:5], v[174:175]
	v_div_fixup_f64 v[0:1], v[0:1], v[172:173], 1.0
	v_mul_f64 v[2:3], v[2:3], -v[0:1]
.LBB125_504:
	s_or_b64 exec, exec, s[2:3]
	ds_write2_b64 v252, v[0:1], v[2:3] offset1:1
.LBB125_505:
	s_or_b64 exec, exec, s[4:5]
	s_waitcnt lgkmcnt(0)
	s_barrier
	ds_read2_b64 v[172:175], v252 offset1:1
	v_cmp_lt_u32_e32 vcc, 43, v254
	s_and_saveexec_b64 s[2:3], vcc
	s_cbranch_execz .LBB125_507
; %bb.506:
	scratch_load_dwordx4 v[0:3], off, off offset:688
	s_waitcnt vmcnt(0) lgkmcnt(0)
	v_mul_f64 v[4:5], v[174:175], v[2:3]
	v_mul_f64 v[178:179], v[172:173], v[2:3]
	v_fma_f64 v[176:177], v[172:173], v[0:1], -v[4:5]
	v_fmac_f64_e32 v[178:179], v[174:175], v[0:1]
	ds_read2_b64 v[0:3], v248 offset0:88 offset1:89
	scratch_store_dwordx4 off, v[176:179], off offset:688
	s_waitcnt lgkmcnt(0)
	v_mul_f64 v[4:5], v[2:3], v[178:179]
	v_mul_f64 v[6:7], v[0:1], v[178:179]
	v_fma_f64 v[4:5], v[0:1], v[176:177], -v[4:5]
	v_fmac_f64_e32 v[6:7], v[2:3], v[176:177]
	scratch_load_dwordx4 v[0:3], off, off offset:704
	s_waitcnt vmcnt(0)
	v_add_f64 v[0:1], v[0:1], -v[4:5]
	v_add_f64 v[2:3], v[2:3], -v[6:7]
	scratch_store_dwordx4 off, v[0:3], off offset:704
	ds_read2_b64 v[0:3], v248 offset0:90 offset1:91
	s_waitcnt lgkmcnt(0)
	v_mul_f64 v[4:5], v[2:3], v[178:179]
	v_mul_f64 v[6:7], v[0:1], v[178:179]
	v_fma_f64 v[4:5], v[0:1], v[176:177], -v[4:5]
	v_fmac_f64_e32 v[6:7], v[2:3], v[176:177]
	scratch_load_dwordx4 v[0:3], off, off offset:720
	s_waitcnt vmcnt(0)
	v_add_f64 v[0:1], v[0:1], -v[4:5]
	v_add_f64 v[2:3], v[2:3], -v[6:7]
	scratch_store_dwordx4 off, v[0:3], off offset:720
	ds_read2_b64 v[0:3], v248 offset0:92 offset1:93
	;; [unrolled: 11-line block ×6, first 2 shown]
	scratch_load_dwordx2 v[4:5], off, off offset:688
	scratch_load_dwordx4 v[176:179], off, off offset:688
	s_waitcnt vmcnt(0) lgkmcnt(0)
	v_mul_f64 v[6:7], v[2:3], v[178:179]
	v_mul_f64 v[180:181], v[0:1], v[178:179]
	v_fma_f64 v[6:7], v[0:1], v[4:5], -v[6:7]
	v_fmac_f64_e32 v[180:181], v[2:3], v[4:5]
	scratch_load_dwordx4 v[0:3], off, off offset:800
	s_waitcnt vmcnt(0)
	v_add_f64 v[0:1], v[0:1], -v[6:7]
	v_add_f64 v[2:3], v[2:3], -v[180:181]
	scratch_store_dwordx4 off, v[0:3], off offset:800
	ds_read2_b64 v[0:3], v248 offset0:102 offset1:103
	s_waitcnt lgkmcnt(0)
	v_mul_f64 v[6:7], v[2:3], v[178:179]
	v_mul_f64 v[180:181], v[0:1], v[178:179]
	v_fma_f64 v[6:7], v[0:1], v[4:5], -v[6:7]
	v_fmac_f64_e32 v[180:181], v[2:3], v[4:5]
	scratch_load_dwordx4 v[0:3], off, off offset:816
	s_waitcnt vmcnt(0)
	v_add_f64 v[0:1], v[0:1], -v[6:7]
	v_add_f64 v[2:3], v[2:3], -v[180:181]
	scratch_store_dwordx4 off, v[0:3], off offset:816
	ds_read2_b64 v[0:3], v248 offset0:104 offset1:105
	s_waitcnt lgkmcnt(0)
	v_mul_f64 v[6:7], v[2:3], v[178:179]
	v_mul_f64 v[180:181], v[0:1], v[178:179]
	v_fma_f64 v[6:7], v[0:1], v[4:5], -v[6:7]
	v_fmac_f64_e32 v[180:181], v[2:3], v[4:5]
	scratch_load_dwordx4 v[0:3], off, off offset:832
	s_waitcnt vmcnt(0)
	v_add_f64 v[0:1], v[0:1], -v[6:7]
	v_add_f64 v[2:3], v[2:3], -v[180:181]
	scratch_store_dwordx4 off, v[0:3], off offset:832
	ds_read2_b64 v[0:3], v248 offset0:106 offset1:107
	s_waitcnt lgkmcnt(0)
	v_mul_f64 v[6:7], v[2:3], v[178:179]
	v_mul_f64 v[180:181], v[0:1], v[178:179]
	v_fma_f64 v[6:7], v[0:1], v[4:5], -v[6:7]
	v_fmac_f64_e32 v[180:181], v[2:3], v[4:5]
	scratch_load_dwordx4 v[0:3], off, off offset:848
	s_waitcnt vmcnt(0)
	v_add_f64 v[0:1], v[0:1], -v[6:7]
	v_add_f64 v[2:3], v[2:3], -v[180:181]
	scratch_store_dwordx4 off, v[0:3], off offset:848
	ds_read2_b64 v[0:3], v248 offset0:108 offset1:109
	s_waitcnt lgkmcnt(0)
	v_mul_f64 v[6:7], v[2:3], v[178:179]
	v_mul_f64 v[180:181], v[0:1], v[178:179]
	v_fma_f64 v[6:7], v[0:1], v[4:5], -v[6:7]
	v_fmac_f64_e32 v[180:181], v[2:3], v[4:5]
	scratch_load_dwordx4 v[0:3], off, off offset:864
	s_waitcnt vmcnt(0)
	v_add_f64 v[0:1], v[0:1], -v[6:7]
	v_add_f64 v[2:3], v[2:3], -v[180:181]
	scratch_store_dwordx4 off, v[0:3], off offset:864
	ds_read2_b64 v[0:3], v248 offset0:110 offset1:111
	s_waitcnt lgkmcnt(0)
	v_mul_f64 v[6:7], v[2:3], v[178:179]
	v_mul_f64 v[178:179], v[0:1], v[178:179]
	v_fma_f64 v[6:7], v[0:1], v[4:5], -v[6:7]
	v_fmac_f64_e32 v[178:179], v[2:3], v[4:5]
	scratch_load_dwordx4 v[0:3], off, off offset:880
	s_waitcnt vmcnt(0)
	v_add_f64 v[0:1], v[0:1], -v[6:7]
	v_add_f64 v[2:3], v[2:3], -v[178:179]
	scratch_store_dwordx4 off, v[0:3], off offset:880
	ds_read2_b64 v[0:3], v248 offset0:112 offset1:113
	scratch_load_dwordx2 v[178:179], off, off offset:688
	scratch_load_dwordx2 v[180:181], off, off offset:696
	s_waitcnt vmcnt(0) lgkmcnt(0)
	v_mul_f64 v[4:5], v[2:3], v[180:181]
	v_mul_f64 v[6:7], v[0:1], v[180:181]
	v_fma_f64 v[4:5], v[0:1], v[178:179], -v[4:5]
	v_fmac_f64_e32 v[6:7], v[2:3], v[178:179]
	scratch_load_dwordx4 v[0:3], off, off offset:896
	s_waitcnt vmcnt(0)
	v_add_f64 v[0:1], v[0:1], -v[4:5]
	v_add_f64 v[2:3], v[2:3], -v[6:7]
	scratch_store_dwordx4 off, v[0:3], off offset:896
	ds_read2_b64 v[0:3], v248 offset0:114 offset1:115
	s_waitcnt lgkmcnt(0)
	v_mul_f64 v[4:5], v[2:3], v[180:181]
	v_mul_f64 v[6:7], v[0:1], v[180:181]
	v_fma_f64 v[4:5], v[0:1], v[178:179], -v[4:5]
	v_fmac_f64_e32 v[6:7], v[2:3], v[178:179]
	scratch_load_dwordx4 v[0:3], off, off offset:912
	s_waitcnt vmcnt(0)
	v_add_f64 v[0:1], v[0:1], -v[4:5]
	v_add_f64 v[2:3], v[2:3], -v[6:7]
	scratch_store_dwordx4 off, v[0:3], off offset:912
	ds_read2_b64 v[0:3], v248 offset0:116 offset1:117
	s_waitcnt lgkmcnt(0)
	;; [unrolled: 11-line block ×5, first 2 shown]
	v_mul_f64 v[4:5], v[2:3], v[180:181]
	v_mul_f64 v[6:7], v[0:1], v[180:181]
	v_fma_f64 v[4:5], v[0:1], v[178:179], -v[4:5]
	v_fmac_f64_e32 v[6:7], v[2:3], v[178:179]
	scratch_load_dwordx4 v[0:3], off, off offset:976
	s_waitcnt vmcnt(0)
	v_add_f64 v[0:1], v[0:1], -v[4:5]
	scratch_load_dwordx2 v[4:5], off, off offset:696
	v_add_f64 v[2:3], v[2:3], -v[6:7]
	scratch_store_dwordx4 off, v[0:3], off offset:976
	ds_read2_b64 v[0:3], v248 offset0:124 offset1:125
	s_waitcnt vmcnt(1) lgkmcnt(0)
	v_mul_f64 v[6:7], v[2:3], v[4:5]
	v_mul_f64 v[182:183], v[0:1], v[4:5]
	v_fma_f64 v[180:181], v[0:1], v[176:177], -v[6:7]
	v_fmac_f64_e32 v[182:183], v[2:3], v[176:177]
	scratch_load_dwordx4 v[176:179], off, off offset:992
	s_waitcnt vmcnt(0)
	v_add_f64 v[0:1], v[176:177], -v[180:181]
	v_add_f64 v[2:3], v[178:179], -v[182:183]
	scratch_store_dwordx4 off, v[0:3], off offset:992
.LBB125_507:
	s_or_b64 exec, exec, s[2:3]
	v_cmp_eq_u32_e32 vcc, 44, v254
	s_waitcnt lgkmcnt(0)
	s_barrier
	s_and_saveexec_b64 s[4:5], vcc
	s_cbranch_execz .LBB125_514
; %bb.508:
	scratch_load_dwordx4 v[0:3], off, s27
	s_waitcnt vmcnt(0)
	ds_write2_b64 v252, v[0:1], v[2:3] offset1:1
	scratch_load_dwordx4 v[0:3], off, s26
	s_waitcnt vmcnt(0)
	ds_write2_b64 v248, v[0:1], v[2:3] offset0:90 offset1:91
	scratch_load_dwordx4 v[0:3], off, s25
	s_waitcnt vmcnt(0)
	ds_write2_b64 v248, v[0:1], v[2:3] offset0:92 offset1:93
	;; [unrolled: 3-line block ×18, first 2 shown]
	ds_read2_b64 v[176:179], v252 offset1:1
	s_waitcnt lgkmcnt(0)
	v_cmp_neq_f64_e32 vcc, 0, v[176:177]
	v_cmp_neq_f64_e64 s[2:3], 0, v[178:179]
	s_or_b64 s[2:3], vcc, s[2:3]
	s_and_b64 exec, exec, s[2:3]
	s_cbranch_execz .LBB125_514
; %bb.509:
	v_cmp_ngt_f64_e64 s[2:3], |v[176:177]|, |v[178:179]|
                                        ; implicit-def: $vgpr0_vgpr1
	s_and_saveexec_b64 s[46:47], s[2:3]
	s_xor_b64 s[2:3], exec, s[46:47]
                                        ; implicit-def: $vgpr2_vgpr3
	s_cbranch_execz .LBB125_511
; %bb.510:
	v_div_scale_f64 v[0:1], s[46:47], v[178:179], v[178:179], v[176:177]
	v_rcp_f64_e32 v[2:3], v[0:1]
	v_div_scale_f64 v[4:5], vcc, v[176:177], v[178:179], v[176:177]
	v_fma_f64 v[6:7], -v[0:1], v[2:3], 1.0
	v_fmac_f64_e32 v[2:3], v[2:3], v[6:7]
	v_fma_f64 v[6:7], -v[0:1], v[2:3], 1.0
	v_fmac_f64_e32 v[2:3], v[2:3], v[6:7]
	v_mul_f64 v[6:7], v[4:5], v[2:3]
	v_fma_f64 v[0:1], -v[0:1], v[6:7], v[4:5]
	v_div_fmas_f64 v[0:1], v[0:1], v[2:3], v[6:7]
	v_div_fixup_f64 v[0:1], v[0:1], v[178:179], v[176:177]
	v_fmac_f64_e32 v[178:179], v[176:177], v[0:1]
	v_div_scale_f64 v[2:3], s[46:47], v[178:179], v[178:179], 1.0
	v_rcp_f64_e32 v[4:5], v[2:3]
	s_nop 0
	v_fma_f64 v[6:7], -v[2:3], v[4:5], 1.0
	v_fmac_f64_e32 v[4:5], v[4:5], v[6:7]
	v_fma_f64 v[6:7], -v[2:3], v[4:5], 1.0
	v_fmac_f64_e32 v[4:5], v[4:5], v[6:7]
	v_div_scale_f64 v[6:7], vcc, 1.0, v[178:179], 1.0
	v_mul_f64 v[176:177], v[6:7], v[4:5]
	v_fma_f64 v[2:3], -v[2:3], v[176:177], v[6:7]
	s_nop 1
	v_div_fmas_f64 v[2:3], v[2:3], v[4:5], v[176:177]
	v_div_fixup_f64 v[2:3], v[2:3], v[178:179], 1.0
	v_mul_f64 v[0:1], v[0:1], v[2:3]
	v_xor_b32_e32 v3, 0x80000000, v3
                                        ; implicit-def: $vgpr176_vgpr177
.LBB125_511:
	s_andn2_saveexec_b64 s[2:3], s[2:3]
	s_cbranch_execz .LBB125_513
; %bb.512:
	v_div_scale_f64 v[0:1], s[46:47], v[176:177], v[176:177], v[178:179]
	v_rcp_f64_e32 v[2:3], v[0:1]
	v_div_scale_f64 v[4:5], vcc, v[178:179], v[176:177], v[178:179]
	v_fma_f64 v[6:7], -v[0:1], v[2:3], 1.0
	v_fmac_f64_e32 v[2:3], v[2:3], v[6:7]
	v_fma_f64 v[6:7], -v[0:1], v[2:3], 1.0
	v_fmac_f64_e32 v[2:3], v[2:3], v[6:7]
	v_mul_f64 v[6:7], v[4:5], v[2:3]
	v_fma_f64 v[0:1], -v[0:1], v[6:7], v[4:5]
	v_div_fmas_f64 v[0:1], v[0:1], v[2:3], v[6:7]
	v_div_fixup_f64 v[2:3], v[0:1], v[176:177], v[178:179]
	v_fmac_f64_e32 v[176:177], v[178:179], v[2:3]
	v_div_scale_f64 v[0:1], s[46:47], v[176:177], v[176:177], 1.0
	v_rcp_f64_e32 v[4:5], v[0:1]
	s_nop 0
	v_fma_f64 v[6:7], -v[0:1], v[4:5], 1.0
	v_fmac_f64_e32 v[4:5], v[4:5], v[6:7]
	v_fma_f64 v[6:7], -v[0:1], v[4:5], 1.0
	v_fmac_f64_e32 v[4:5], v[4:5], v[6:7]
	v_div_scale_f64 v[6:7], vcc, 1.0, v[176:177], 1.0
	v_mul_f64 v[178:179], v[6:7], v[4:5]
	v_fma_f64 v[0:1], -v[0:1], v[178:179], v[6:7]
	s_nop 1
	v_div_fmas_f64 v[0:1], v[0:1], v[4:5], v[178:179]
	v_div_fixup_f64 v[0:1], v[0:1], v[176:177], 1.0
	v_mul_f64 v[2:3], v[2:3], -v[0:1]
.LBB125_513:
	s_or_b64 exec, exec, s[2:3]
	ds_write2_b64 v252, v[0:1], v[2:3] offset1:1
.LBB125_514:
	s_or_b64 exec, exec, s[4:5]
	s_waitcnt lgkmcnt(0)
	s_barrier
	ds_read2_b64 v[176:179], v252 offset1:1
	v_cmp_lt_u32_e32 vcc, 44, v254
	s_and_saveexec_b64 s[2:3], vcc
	s_cbranch_execz .LBB125_516
; %bb.515:
	scratch_load_dwordx4 v[0:3], off, off offset:704
	s_waitcnt vmcnt(0) lgkmcnt(0)
	v_mul_f64 v[4:5], v[178:179], v[2:3]
	v_mul_f64 v[182:183], v[176:177], v[2:3]
	v_fma_f64 v[180:181], v[176:177], v[0:1], -v[4:5]
	v_fmac_f64_e32 v[182:183], v[178:179], v[0:1]
	ds_read2_b64 v[0:3], v248 offset0:90 offset1:91
	scratch_store_dwordx4 off, v[180:183], off offset:704
	s_waitcnt lgkmcnt(0)
	v_mul_f64 v[4:5], v[2:3], v[182:183]
	v_mul_f64 v[6:7], v[0:1], v[182:183]
	v_fma_f64 v[4:5], v[0:1], v[180:181], -v[4:5]
	v_fmac_f64_e32 v[6:7], v[2:3], v[180:181]
	scratch_load_dwordx4 v[0:3], off, off offset:720
	s_waitcnt vmcnt(0)
	v_add_f64 v[0:1], v[0:1], -v[4:5]
	v_add_f64 v[2:3], v[2:3], -v[6:7]
	scratch_store_dwordx4 off, v[0:3], off offset:720
	ds_read2_b64 v[0:3], v248 offset0:92 offset1:93
	s_waitcnt lgkmcnt(0)
	v_mul_f64 v[4:5], v[2:3], v[182:183]
	v_mul_f64 v[6:7], v[0:1], v[182:183]
	v_fma_f64 v[4:5], v[0:1], v[180:181], -v[4:5]
	v_fmac_f64_e32 v[6:7], v[2:3], v[180:181]
	scratch_load_dwordx4 v[0:3], off, off offset:736
	s_waitcnt vmcnt(0)
	v_add_f64 v[0:1], v[0:1], -v[4:5]
	v_add_f64 v[2:3], v[2:3], -v[6:7]
	scratch_store_dwordx4 off, v[0:3], off offset:736
	ds_read2_b64 v[0:3], v248 offset0:94 offset1:95
	;; [unrolled: 11-line block ×6, first 2 shown]
	scratch_load_dwordx2 v[4:5], off, off offset:704
	scratch_load_dwordx4 v[180:183], off, off offset:704
	scratch_load_dwordx2 v[186:187], off, off offset:712
	s_waitcnt vmcnt(1) lgkmcnt(0)
	v_mul_f64 v[6:7], v[2:3], v[182:183]
	v_mul_f64 v[184:185], v[0:1], v[182:183]
	v_fma_f64 v[6:7], v[0:1], v[4:5], -v[6:7]
	v_fmac_f64_e32 v[184:185], v[2:3], v[4:5]
	scratch_load_dwordx4 v[0:3], off, off offset:816
	s_waitcnt vmcnt(0)
	v_add_f64 v[0:1], v[0:1], -v[6:7]
	v_add_f64 v[2:3], v[2:3], -v[184:185]
	scratch_store_dwordx4 off, v[0:3], off offset:816
	ds_read2_b64 v[0:3], v248 offset0:104 offset1:105
	s_waitcnt lgkmcnt(0)
	v_mul_f64 v[6:7], v[2:3], v[182:183]
	v_mul_f64 v[184:185], v[0:1], v[182:183]
	v_fma_f64 v[6:7], v[0:1], v[4:5], -v[6:7]
	v_fmac_f64_e32 v[184:185], v[2:3], v[4:5]
	scratch_load_dwordx4 v[0:3], off, off offset:832
	s_waitcnt vmcnt(0)
	v_add_f64 v[0:1], v[0:1], -v[6:7]
	v_add_f64 v[2:3], v[2:3], -v[184:185]
	scratch_store_dwordx4 off, v[0:3], off offset:832
	ds_read2_b64 v[0:3], v248 offset0:106 offset1:107
	s_waitcnt lgkmcnt(0)
	v_mul_f64 v[6:7], v[2:3], v[182:183]
	v_mul_f64 v[184:185], v[0:1], v[182:183]
	v_fma_f64 v[6:7], v[0:1], v[4:5], -v[6:7]
	v_fmac_f64_e32 v[184:185], v[2:3], v[4:5]
	scratch_load_dwordx4 v[0:3], off, off offset:848
	s_waitcnt vmcnt(0)
	v_add_f64 v[0:1], v[0:1], -v[6:7]
	v_add_f64 v[2:3], v[2:3], -v[184:185]
	scratch_store_dwordx4 off, v[0:3], off offset:848
	ds_read2_b64 v[0:3], v248 offset0:108 offset1:109
	s_waitcnt lgkmcnt(0)
	v_mul_f64 v[6:7], v[2:3], v[182:183]
	v_mul_f64 v[184:185], v[0:1], v[182:183]
	v_fma_f64 v[6:7], v[0:1], v[4:5], -v[6:7]
	v_fmac_f64_e32 v[184:185], v[2:3], v[4:5]
	scratch_load_dwordx4 v[0:3], off, off offset:864
	s_waitcnt vmcnt(0)
	v_add_f64 v[0:1], v[0:1], -v[6:7]
	v_add_f64 v[2:3], v[2:3], -v[184:185]
	scratch_store_dwordx4 off, v[0:3], off offset:864
	ds_read2_b64 v[0:3], v248 offset0:110 offset1:111
	s_waitcnt lgkmcnt(0)
	v_mul_f64 v[6:7], v[2:3], v[182:183]
	v_mul_f64 v[184:185], v[0:1], v[182:183]
	v_fma_f64 v[6:7], v[0:1], v[4:5], -v[6:7]
	v_fmac_f64_e32 v[184:185], v[2:3], v[4:5]
	scratch_load_dwordx4 v[0:3], off, off offset:880
	s_waitcnt vmcnt(0)
	v_add_f64 v[0:1], v[0:1], -v[6:7]
	v_add_f64 v[2:3], v[2:3], -v[184:185]
	scratch_store_dwordx4 off, v[0:3], off offset:880
	ds_read2_b64 v[0:3], v248 offset0:112 offset1:113
	s_waitcnt lgkmcnt(0)
	v_mul_f64 v[6:7], v[2:3], v[182:183]
	v_mul_f64 v[182:183], v[0:1], v[182:183]
	v_fma_f64 v[6:7], v[0:1], v[4:5], -v[6:7]
	v_fmac_f64_e32 v[182:183], v[2:3], v[4:5]
	scratch_load_dwordx4 v[0:3], off, off offset:896
	s_waitcnt vmcnt(0)
	v_add_f64 v[2:3], v[2:3], -v[182:183]
	ds_read2_b64 v[182:185], v248 offset0:114 offset1:115
	v_add_f64 v[0:1], v[0:1], -v[6:7]
	scratch_store_dwordx4 off, v[0:3], off offset:896
	s_waitcnt lgkmcnt(0)
	v_mul_f64 v[6:7], v[182:183], v[186:187]
	v_mul_f64 v[0:1], v[184:185], v[186:187]
	v_fma_f64 v[4:5], v[182:183], v[180:181], -v[0:1]
	scratch_load_dwordx4 v[0:3], off, off offset:912
	v_fmac_f64_e32 v[6:7], v[184:185], v[180:181]
	s_waitcnt vmcnt(0)
	v_add_f64 v[0:1], v[0:1], -v[4:5]
	v_add_f64 v[2:3], v[2:3], -v[6:7]
	scratch_store_dwordx4 off, v[0:3], off offset:912
	ds_read2_b64 v[0:3], v248 offset0:116 offset1:117
	s_waitcnt lgkmcnt(0)
	v_mul_f64 v[4:5], v[2:3], v[186:187]
	v_mul_f64 v[6:7], v[0:1], v[186:187]
	v_fma_f64 v[4:5], v[0:1], v[180:181], -v[4:5]
	v_fmac_f64_e32 v[6:7], v[2:3], v[180:181]
	scratch_load_dwordx4 v[0:3], off, off offset:928
	s_waitcnt vmcnt(0)
	v_add_f64 v[0:1], v[0:1], -v[4:5]
	v_add_f64 v[2:3], v[2:3], -v[6:7]
	scratch_store_dwordx4 off, v[0:3], off offset:928
	ds_read2_b64 v[0:3], v248 offset0:118 offset1:119
	s_waitcnt lgkmcnt(0)
	v_mul_f64 v[4:5], v[2:3], v[186:187]
	v_mul_f64 v[6:7], v[0:1], v[186:187]
	v_fma_f64 v[4:5], v[0:1], v[180:181], -v[4:5]
	v_fmac_f64_e32 v[6:7], v[2:3], v[180:181]
	scratch_load_dwordx4 v[0:3], off, off offset:944
	;; [unrolled: 11-line block ×5, first 2 shown]
	s_waitcnt vmcnt(0)
	v_add_f64 v[0:1], v[180:181], -v[184:185]
	v_add_f64 v[2:3], v[182:183], -v[186:187]
	scratch_store_dwordx4 off, v[0:3], off offset:992
.LBB125_516:
	s_or_b64 exec, exec, s[2:3]
	v_cmp_eq_u32_e32 vcc, 45, v254
	s_waitcnt lgkmcnt(0)
	s_barrier
	s_and_saveexec_b64 s[4:5], vcc
	s_cbranch_execz .LBB125_523
; %bb.517:
	scratch_load_dwordx4 v[0:3], off, s26
	s_waitcnt vmcnt(0)
	ds_write2_b64 v252, v[0:1], v[2:3] offset1:1
	scratch_load_dwordx4 v[0:3], off, s25
	s_waitcnt vmcnt(0)
	ds_write2_b64 v248, v[0:1], v[2:3] offset0:92 offset1:93
	scratch_load_dwordx4 v[0:3], off, s24
	s_waitcnt vmcnt(0)
	ds_write2_b64 v248, v[0:1], v[2:3] offset0:94 offset1:95
	;; [unrolled: 3-line block ×17, first 2 shown]
	ds_read2_b64 v[180:183], v252 offset1:1
	s_waitcnt lgkmcnt(0)
	v_cmp_neq_f64_e32 vcc, 0, v[180:181]
	v_cmp_neq_f64_e64 s[2:3], 0, v[182:183]
	s_or_b64 s[2:3], vcc, s[2:3]
	s_and_b64 exec, exec, s[2:3]
	s_cbranch_execz .LBB125_523
; %bb.518:
	v_cmp_ngt_f64_e64 s[2:3], |v[180:181]|, |v[182:183]|
                                        ; implicit-def: $vgpr0_vgpr1
	s_and_saveexec_b64 s[46:47], s[2:3]
	s_xor_b64 s[2:3], exec, s[46:47]
                                        ; implicit-def: $vgpr2_vgpr3
	s_cbranch_execz .LBB125_520
; %bb.519:
	v_div_scale_f64 v[0:1], s[46:47], v[182:183], v[182:183], v[180:181]
	v_rcp_f64_e32 v[2:3], v[0:1]
	v_div_scale_f64 v[4:5], vcc, v[180:181], v[182:183], v[180:181]
	v_fma_f64 v[6:7], -v[0:1], v[2:3], 1.0
	v_fmac_f64_e32 v[2:3], v[2:3], v[6:7]
	v_fma_f64 v[6:7], -v[0:1], v[2:3], 1.0
	v_fmac_f64_e32 v[2:3], v[2:3], v[6:7]
	v_mul_f64 v[6:7], v[4:5], v[2:3]
	v_fma_f64 v[0:1], -v[0:1], v[6:7], v[4:5]
	v_div_fmas_f64 v[0:1], v[0:1], v[2:3], v[6:7]
	v_div_fixup_f64 v[0:1], v[0:1], v[182:183], v[180:181]
	v_fmac_f64_e32 v[182:183], v[180:181], v[0:1]
	v_div_scale_f64 v[2:3], s[46:47], v[182:183], v[182:183], 1.0
	v_rcp_f64_e32 v[4:5], v[2:3]
	s_nop 0
	v_fma_f64 v[6:7], -v[2:3], v[4:5], 1.0
	v_fmac_f64_e32 v[4:5], v[4:5], v[6:7]
	v_fma_f64 v[6:7], -v[2:3], v[4:5], 1.0
	v_fmac_f64_e32 v[4:5], v[4:5], v[6:7]
	v_div_scale_f64 v[6:7], vcc, 1.0, v[182:183], 1.0
	v_mul_f64 v[180:181], v[6:7], v[4:5]
	v_fma_f64 v[2:3], -v[2:3], v[180:181], v[6:7]
	s_nop 1
	v_div_fmas_f64 v[2:3], v[2:3], v[4:5], v[180:181]
	v_div_fixup_f64 v[2:3], v[2:3], v[182:183], 1.0
	v_mul_f64 v[0:1], v[0:1], v[2:3]
	v_xor_b32_e32 v3, 0x80000000, v3
                                        ; implicit-def: $vgpr180_vgpr181
.LBB125_520:
	s_andn2_saveexec_b64 s[2:3], s[2:3]
	s_cbranch_execz .LBB125_522
; %bb.521:
	v_div_scale_f64 v[0:1], s[46:47], v[180:181], v[180:181], v[182:183]
	v_rcp_f64_e32 v[2:3], v[0:1]
	v_div_scale_f64 v[4:5], vcc, v[182:183], v[180:181], v[182:183]
	v_fma_f64 v[6:7], -v[0:1], v[2:3], 1.0
	v_fmac_f64_e32 v[2:3], v[2:3], v[6:7]
	v_fma_f64 v[6:7], -v[0:1], v[2:3], 1.0
	v_fmac_f64_e32 v[2:3], v[2:3], v[6:7]
	v_mul_f64 v[6:7], v[4:5], v[2:3]
	v_fma_f64 v[0:1], -v[0:1], v[6:7], v[4:5]
	v_div_fmas_f64 v[0:1], v[0:1], v[2:3], v[6:7]
	v_div_fixup_f64 v[2:3], v[0:1], v[180:181], v[182:183]
	v_fmac_f64_e32 v[180:181], v[182:183], v[2:3]
	v_div_scale_f64 v[0:1], s[46:47], v[180:181], v[180:181], 1.0
	v_rcp_f64_e32 v[4:5], v[0:1]
	s_nop 0
	v_fma_f64 v[6:7], -v[0:1], v[4:5], 1.0
	v_fmac_f64_e32 v[4:5], v[4:5], v[6:7]
	v_fma_f64 v[6:7], -v[0:1], v[4:5], 1.0
	v_fmac_f64_e32 v[4:5], v[4:5], v[6:7]
	v_div_scale_f64 v[6:7], vcc, 1.0, v[180:181], 1.0
	v_mul_f64 v[182:183], v[6:7], v[4:5]
	v_fma_f64 v[0:1], -v[0:1], v[182:183], v[6:7]
	s_nop 1
	v_div_fmas_f64 v[0:1], v[0:1], v[4:5], v[182:183]
	v_div_fixup_f64 v[0:1], v[0:1], v[180:181], 1.0
	v_mul_f64 v[2:3], v[2:3], -v[0:1]
.LBB125_522:
	s_or_b64 exec, exec, s[2:3]
	ds_write2_b64 v252, v[0:1], v[2:3] offset1:1
.LBB125_523:
	s_or_b64 exec, exec, s[4:5]
	s_waitcnt lgkmcnt(0)
	s_barrier
	ds_read2_b64 v[180:183], v252 offset1:1
	v_cmp_lt_u32_e32 vcc, 45, v254
	s_and_saveexec_b64 s[2:3], vcc
	s_cbranch_execz .LBB125_525
; %bb.524:
	scratch_load_dwordx4 v[0:3], off, off offset:720
	s_waitcnt vmcnt(0) lgkmcnt(0)
	v_mul_f64 v[4:5], v[182:183], v[2:3]
	v_mul_f64 v[186:187], v[180:181], v[2:3]
	v_fma_f64 v[184:185], v[180:181], v[0:1], -v[4:5]
	v_fmac_f64_e32 v[186:187], v[182:183], v[0:1]
	ds_read2_b64 v[0:3], v248 offset0:92 offset1:93
	scratch_store_dwordx4 off, v[184:187], off offset:720
	s_waitcnt lgkmcnt(0)
	v_mul_f64 v[4:5], v[2:3], v[186:187]
	v_mul_f64 v[6:7], v[0:1], v[186:187]
	v_fma_f64 v[4:5], v[0:1], v[184:185], -v[4:5]
	v_fmac_f64_e32 v[6:7], v[2:3], v[184:185]
	scratch_load_dwordx4 v[0:3], off, off offset:736
	s_waitcnt vmcnt(0)
	v_add_f64 v[0:1], v[0:1], -v[4:5]
	v_add_f64 v[2:3], v[2:3], -v[6:7]
	scratch_store_dwordx4 off, v[0:3], off offset:736
	ds_read2_b64 v[0:3], v248 offset0:94 offset1:95
	s_waitcnt lgkmcnt(0)
	v_mul_f64 v[4:5], v[2:3], v[186:187]
	v_mul_f64 v[6:7], v[0:1], v[186:187]
	v_fma_f64 v[4:5], v[0:1], v[184:185], -v[4:5]
	v_fmac_f64_e32 v[6:7], v[2:3], v[184:185]
	scratch_load_dwordx4 v[0:3], off, off offset:752
	s_waitcnt vmcnt(0)
	v_add_f64 v[0:1], v[0:1], -v[4:5]
	v_add_f64 v[2:3], v[2:3], -v[6:7]
	scratch_store_dwordx4 off, v[0:3], off offset:752
	ds_read2_b64 v[0:3], v248 offset0:96 offset1:97
	s_waitcnt lgkmcnt(0)
	v_mul_f64 v[4:5], v[2:3], v[186:187]
	v_mul_f64 v[6:7], v[0:1], v[186:187]
	v_fma_f64 v[4:5], v[0:1], v[184:185], -v[4:5]
	v_fmac_f64_e32 v[6:7], v[2:3], v[184:185]
	scratch_load_dwordx4 v[0:3], off, off offset:768
	s_waitcnt vmcnt(0)
	v_add_f64 v[0:1], v[0:1], -v[4:5]
	v_add_f64 v[2:3], v[2:3], -v[6:7]
	scratch_store_dwordx4 off, v[0:3], off offset:768
	ds_read2_b64 v[0:3], v248 offset0:98 offset1:99
	s_waitcnt lgkmcnt(0)
	v_mul_f64 v[4:5], v[2:3], v[186:187]
	v_mul_f64 v[6:7], v[0:1], v[186:187]
	v_fma_f64 v[4:5], v[0:1], v[184:185], -v[4:5]
	v_fmac_f64_e32 v[6:7], v[2:3], v[184:185]
	scratch_load_dwordx4 v[0:3], off, off offset:784
	s_waitcnt vmcnt(0)
	v_add_f64 v[0:1], v[0:1], -v[4:5]
	v_add_f64 v[2:3], v[2:3], -v[6:7]
	scratch_store_dwordx4 off, v[0:3], off offset:784
	ds_read2_b64 v[0:3], v248 offset0:100 offset1:101
	s_waitcnt lgkmcnt(0)
	v_mul_f64 v[4:5], v[2:3], v[186:187]
	v_mul_f64 v[6:7], v[0:1], v[186:187]
	v_fma_f64 v[4:5], v[0:1], v[184:185], -v[4:5]
	v_fmac_f64_e32 v[6:7], v[2:3], v[184:185]
	scratch_load_dwordx4 v[0:3], off, off offset:800
	s_waitcnt vmcnt(0)
	v_add_f64 v[0:1], v[0:1], -v[4:5]
	v_add_f64 v[2:3], v[2:3], -v[6:7]
	scratch_store_dwordx4 off, v[0:3], off offset:800
	ds_read2_b64 v[0:3], v248 offset0:102 offset1:103
	s_waitcnt lgkmcnt(0)
	v_mul_f64 v[4:5], v[2:3], v[186:187]
	v_mul_f64 v[6:7], v[0:1], v[186:187]
	v_fma_f64 v[4:5], v[0:1], v[184:185], -v[4:5]
	v_fmac_f64_e32 v[6:7], v[2:3], v[184:185]
	scratch_load_dwordx4 v[0:3], off, off offset:816
	s_waitcnt vmcnt(0)
	v_add_f64 v[0:1], v[0:1], -v[4:5]
	v_add_f64 v[2:3], v[2:3], -v[6:7]
	scratch_store_dwordx4 off, v[0:3], off offset:816
	ds_read2_b64 v[0:3], v248 offset0:104 offset1:105
	scratch_load_dwordx2 v[4:5], off, off offset:720
	scratch_load_dwordx4 v[184:187], off, off offset:720
	s_waitcnt vmcnt(0) lgkmcnt(0)
	v_mul_f64 v[6:7], v[2:3], v[186:187]
	v_mul_f64 v[188:189], v[0:1], v[186:187]
	v_fma_f64 v[6:7], v[0:1], v[4:5], -v[6:7]
	v_fmac_f64_e32 v[188:189], v[2:3], v[4:5]
	scratch_load_dwordx4 v[0:3], off, off offset:832
	s_waitcnt vmcnt(0)
	v_add_f64 v[0:1], v[0:1], -v[6:7]
	v_add_f64 v[2:3], v[2:3], -v[188:189]
	scratch_store_dwordx4 off, v[0:3], off offset:832
	ds_read2_b64 v[0:3], v248 offset0:106 offset1:107
	s_waitcnt lgkmcnt(0)
	v_mul_f64 v[6:7], v[2:3], v[186:187]
	v_mul_f64 v[188:189], v[0:1], v[186:187]
	v_fma_f64 v[6:7], v[0:1], v[4:5], -v[6:7]
	v_fmac_f64_e32 v[188:189], v[2:3], v[4:5]
	scratch_load_dwordx4 v[0:3], off, off offset:848
	s_waitcnt vmcnt(0)
	v_add_f64 v[0:1], v[0:1], -v[6:7]
	v_add_f64 v[2:3], v[2:3], -v[188:189]
	scratch_store_dwordx4 off, v[0:3], off offset:848
	ds_read2_b64 v[0:3], v248 offset0:108 offset1:109
	s_waitcnt lgkmcnt(0)
	;; [unrolled: 11-line block ×5, first 2 shown]
	v_mul_f64 v[6:7], v[2:3], v[186:187]
	v_mul_f64 v[186:187], v[0:1], v[186:187]
	v_fma_f64 v[6:7], v[0:1], v[4:5], -v[6:7]
	v_fmac_f64_e32 v[186:187], v[2:3], v[4:5]
	scratch_load_dwordx4 v[0:3], off, off offset:912
	scratch_load_dwordx2 v[4:5], off, off offset:728
	s_waitcnt vmcnt(1)
	v_add_f64 v[2:3], v[2:3], -v[186:187]
	ds_read2_b64 v[186:189], v248 offset0:116 offset1:117
	v_add_f64 v[0:1], v[0:1], -v[6:7]
	scratch_store_dwordx4 off, v[0:3], off offset:912
	s_waitcnt vmcnt(1) lgkmcnt(0)
	s_nop 0
	v_mul_f64 v[0:1], v[188:189], v[4:5]
	v_fma_f64 v[6:7], v[186:187], v[184:185], -v[0:1]
	scratch_load_dwordx4 v[0:3], off, off offset:928
	v_mul_f64 v[186:187], v[186:187], v[4:5]
	v_fmac_f64_e32 v[186:187], v[188:189], v[184:185]
	s_waitcnt vmcnt(0)
	v_add_f64 v[0:1], v[0:1], -v[6:7]
	v_add_f64 v[2:3], v[2:3], -v[186:187]
	scratch_store_dwordx4 off, v[0:3], off offset:928
	ds_read2_b64 v[0:3], v248 offset0:118 offset1:119
	s_waitcnt lgkmcnt(0)
	v_mul_f64 v[6:7], v[2:3], v[4:5]
	v_mul_f64 v[186:187], v[0:1], v[4:5]
	v_fma_f64 v[6:7], v[0:1], v[184:185], -v[6:7]
	v_fmac_f64_e32 v[186:187], v[2:3], v[184:185]
	scratch_load_dwordx4 v[0:3], off, off offset:944
	s_waitcnt vmcnt(0)
	v_add_f64 v[0:1], v[0:1], -v[6:7]
	v_add_f64 v[2:3], v[2:3], -v[186:187]
	scratch_store_dwordx4 off, v[0:3], off offset:944
	ds_read2_b64 v[0:3], v248 offset0:120 offset1:121
	s_waitcnt lgkmcnt(0)
	v_mul_f64 v[6:7], v[2:3], v[4:5]
	v_mul_f64 v[186:187], v[0:1], v[4:5]
	v_fma_f64 v[6:7], v[0:1], v[184:185], -v[6:7]
	v_fmac_f64_e32 v[186:187], v[2:3], v[184:185]
	scratch_load_dwordx4 v[0:3], off, off offset:960
	;; [unrolled: 11-line block ×4, first 2 shown]
	s_waitcnt vmcnt(0)
	v_add_f64 v[0:1], v[184:185], -v[188:189]
	v_add_f64 v[2:3], v[186:187], -v[190:191]
	scratch_store_dwordx4 off, v[0:3], off offset:992
.LBB125_525:
	s_or_b64 exec, exec, s[2:3]
	v_cmp_eq_u32_e32 vcc, 46, v254
	s_waitcnt lgkmcnt(0)
	s_barrier
	s_and_saveexec_b64 s[4:5], vcc
	s_cbranch_execz .LBB125_532
; %bb.526:
	scratch_load_dwordx4 v[0:3], off, s25
	s_waitcnt vmcnt(0)
	ds_write2_b64 v252, v[0:1], v[2:3] offset1:1
	scratch_load_dwordx4 v[0:3], off, s24
	s_waitcnt vmcnt(0)
	ds_write2_b64 v248, v[0:1], v[2:3] offset0:94 offset1:95
	scratch_load_dwordx4 v[0:3], off, s23
	s_waitcnt vmcnt(0)
	ds_write2_b64 v248, v[0:1], v[2:3] offset0:96 offset1:97
	;; [unrolled: 3-line block ×16, first 2 shown]
	ds_read2_b64 v[184:187], v252 offset1:1
	s_waitcnt lgkmcnt(0)
	v_cmp_neq_f64_e32 vcc, 0, v[184:185]
	v_cmp_neq_f64_e64 s[2:3], 0, v[186:187]
	s_or_b64 s[2:3], vcc, s[2:3]
	s_and_b64 exec, exec, s[2:3]
	s_cbranch_execz .LBB125_532
; %bb.527:
	v_cmp_ngt_f64_e64 s[2:3], |v[184:185]|, |v[186:187]|
                                        ; implicit-def: $vgpr0_vgpr1
	s_and_saveexec_b64 s[46:47], s[2:3]
	s_xor_b64 s[2:3], exec, s[46:47]
                                        ; implicit-def: $vgpr2_vgpr3
	s_cbranch_execz .LBB125_529
; %bb.528:
	v_div_scale_f64 v[0:1], s[46:47], v[186:187], v[186:187], v[184:185]
	v_rcp_f64_e32 v[2:3], v[0:1]
	v_div_scale_f64 v[4:5], vcc, v[184:185], v[186:187], v[184:185]
	v_fma_f64 v[6:7], -v[0:1], v[2:3], 1.0
	v_fmac_f64_e32 v[2:3], v[2:3], v[6:7]
	v_fma_f64 v[6:7], -v[0:1], v[2:3], 1.0
	v_fmac_f64_e32 v[2:3], v[2:3], v[6:7]
	v_mul_f64 v[6:7], v[4:5], v[2:3]
	v_fma_f64 v[0:1], -v[0:1], v[6:7], v[4:5]
	v_div_fmas_f64 v[0:1], v[0:1], v[2:3], v[6:7]
	v_div_fixup_f64 v[0:1], v[0:1], v[186:187], v[184:185]
	v_fmac_f64_e32 v[186:187], v[184:185], v[0:1]
	v_div_scale_f64 v[2:3], s[46:47], v[186:187], v[186:187], 1.0
	v_rcp_f64_e32 v[4:5], v[2:3]
	s_nop 0
	v_fma_f64 v[6:7], -v[2:3], v[4:5], 1.0
	v_fmac_f64_e32 v[4:5], v[4:5], v[6:7]
	v_fma_f64 v[6:7], -v[2:3], v[4:5], 1.0
	v_fmac_f64_e32 v[4:5], v[4:5], v[6:7]
	v_div_scale_f64 v[6:7], vcc, 1.0, v[186:187], 1.0
	v_mul_f64 v[184:185], v[6:7], v[4:5]
	v_fma_f64 v[2:3], -v[2:3], v[184:185], v[6:7]
	s_nop 1
	v_div_fmas_f64 v[2:3], v[2:3], v[4:5], v[184:185]
	v_div_fixup_f64 v[2:3], v[2:3], v[186:187], 1.0
	v_mul_f64 v[0:1], v[0:1], v[2:3]
	v_xor_b32_e32 v3, 0x80000000, v3
                                        ; implicit-def: $vgpr184_vgpr185
.LBB125_529:
	s_andn2_saveexec_b64 s[2:3], s[2:3]
	s_cbranch_execz .LBB125_531
; %bb.530:
	v_div_scale_f64 v[0:1], s[46:47], v[184:185], v[184:185], v[186:187]
	v_rcp_f64_e32 v[2:3], v[0:1]
	v_div_scale_f64 v[4:5], vcc, v[186:187], v[184:185], v[186:187]
	v_fma_f64 v[6:7], -v[0:1], v[2:3], 1.0
	v_fmac_f64_e32 v[2:3], v[2:3], v[6:7]
	v_fma_f64 v[6:7], -v[0:1], v[2:3], 1.0
	v_fmac_f64_e32 v[2:3], v[2:3], v[6:7]
	v_mul_f64 v[6:7], v[4:5], v[2:3]
	v_fma_f64 v[0:1], -v[0:1], v[6:7], v[4:5]
	v_div_fmas_f64 v[0:1], v[0:1], v[2:3], v[6:7]
	v_div_fixup_f64 v[2:3], v[0:1], v[184:185], v[186:187]
	v_fmac_f64_e32 v[184:185], v[186:187], v[2:3]
	v_div_scale_f64 v[0:1], s[46:47], v[184:185], v[184:185], 1.0
	v_rcp_f64_e32 v[4:5], v[0:1]
	s_nop 0
	v_fma_f64 v[6:7], -v[0:1], v[4:5], 1.0
	v_fmac_f64_e32 v[4:5], v[4:5], v[6:7]
	v_fma_f64 v[6:7], -v[0:1], v[4:5], 1.0
	v_fmac_f64_e32 v[4:5], v[4:5], v[6:7]
	v_div_scale_f64 v[6:7], vcc, 1.0, v[184:185], 1.0
	v_mul_f64 v[186:187], v[6:7], v[4:5]
	v_fma_f64 v[0:1], -v[0:1], v[186:187], v[6:7]
	s_nop 1
	v_div_fmas_f64 v[0:1], v[0:1], v[4:5], v[186:187]
	v_div_fixup_f64 v[0:1], v[0:1], v[184:185], 1.0
	v_mul_f64 v[2:3], v[2:3], -v[0:1]
.LBB125_531:
	s_or_b64 exec, exec, s[2:3]
	ds_write2_b64 v252, v[0:1], v[2:3] offset1:1
.LBB125_532:
	s_or_b64 exec, exec, s[4:5]
	s_waitcnt lgkmcnt(0)
	s_barrier
	ds_read2_b64 v[184:187], v252 offset1:1
	v_cmp_lt_u32_e32 vcc, 46, v254
	s_and_saveexec_b64 s[2:3], vcc
	s_cbranch_execz .LBB125_534
; %bb.533:
	scratch_load_dwordx4 v[0:3], off, off offset:736
	s_waitcnt vmcnt(0) lgkmcnt(0)
	v_mul_f64 v[4:5], v[186:187], v[2:3]
	v_mul_f64 v[190:191], v[184:185], v[2:3]
	v_fma_f64 v[188:189], v[184:185], v[0:1], -v[4:5]
	v_fmac_f64_e32 v[190:191], v[186:187], v[0:1]
	ds_read2_b64 v[0:3], v248 offset0:94 offset1:95
	scratch_store_dwordx4 off, v[188:191], off offset:736
	s_waitcnt lgkmcnt(0)
	v_mul_f64 v[4:5], v[2:3], v[190:191]
	v_mul_f64 v[6:7], v[0:1], v[190:191]
	v_fma_f64 v[4:5], v[0:1], v[188:189], -v[4:5]
	v_fmac_f64_e32 v[6:7], v[2:3], v[188:189]
	scratch_load_dwordx4 v[0:3], off, off offset:752
	s_waitcnt vmcnt(0)
	v_add_f64 v[0:1], v[0:1], -v[4:5]
	v_add_f64 v[2:3], v[2:3], -v[6:7]
	scratch_store_dwordx4 off, v[0:3], off offset:752
	ds_read2_b64 v[0:3], v248 offset0:96 offset1:97
	s_waitcnt lgkmcnt(0)
	v_mul_f64 v[4:5], v[2:3], v[190:191]
	v_mul_f64 v[6:7], v[0:1], v[190:191]
	v_fma_f64 v[4:5], v[0:1], v[188:189], -v[4:5]
	v_fmac_f64_e32 v[6:7], v[2:3], v[188:189]
	scratch_load_dwordx4 v[0:3], off, off offset:768
	s_waitcnt vmcnt(0)
	v_add_f64 v[0:1], v[0:1], -v[4:5]
	v_add_f64 v[2:3], v[2:3], -v[6:7]
	scratch_store_dwordx4 off, v[0:3], off offset:768
	ds_read2_b64 v[0:3], v248 offset0:98 offset1:99
	;; [unrolled: 11-line block ×6, first 2 shown]
	scratch_load_dwordx2 v[4:5], off, off offset:736
	scratch_load_dwordx4 v[188:191], off, off offset:736
	s_waitcnt vmcnt(0) lgkmcnt(0)
	v_mul_f64 v[6:7], v[2:3], v[190:191]
	v_mul_f64 v[192:193], v[0:1], v[190:191]
	v_fma_f64 v[6:7], v[0:1], v[4:5], -v[6:7]
	v_fmac_f64_e32 v[192:193], v[2:3], v[4:5]
	scratch_load_dwordx4 v[0:3], off, off offset:848
	s_waitcnt vmcnt(0)
	v_add_f64 v[0:1], v[0:1], -v[6:7]
	v_add_f64 v[2:3], v[2:3], -v[192:193]
	scratch_store_dwordx4 off, v[0:3], off offset:848
	ds_read2_b64 v[0:3], v248 offset0:108 offset1:109
	s_waitcnt lgkmcnt(0)
	v_mul_f64 v[6:7], v[2:3], v[190:191]
	v_mul_f64 v[192:193], v[0:1], v[190:191]
	v_fma_f64 v[6:7], v[0:1], v[4:5], -v[6:7]
	v_fmac_f64_e32 v[192:193], v[2:3], v[4:5]
	scratch_load_dwordx4 v[0:3], off, off offset:864
	s_waitcnt vmcnt(0)
	v_add_f64 v[0:1], v[0:1], -v[6:7]
	v_add_f64 v[2:3], v[2:3], -v[192:193]
	scratch_store_dwordx4 off, v[0:3], off offset:864
	ds_read2_b64 v[0:3], v248 offset0:110 offset1:111
	s_waitcnt lgkmcnt(0)
	;; [unrolled: 11-line block ×5, first 2 shown]
	v_mul_f64 v[6:7], v[2:3], v[190:191]
	v_mul_f64 v[190:191], v[0:1], v[190:191]
	v_fma_f64 v[6:7], v[0:1], v[4:5], -v[6:7]
	v_fmac_f64_e32 v[190:191], v[2:3], v[4:5]
	scratch_load_dwordx4 v[0:3], off, off offset:928
	scratch_load_dwordx2 v[4:5], off, off offset:744
	s_waitcnt vmcnt(1)
	v_add_f64 v[2:3], v[2:3], -v[190:191]
	ds_read2_b64 v[190:193], v248 offset0:118 offset1:119
	v_add_f64 v[0:1], v[0:1], -v[6:7]
	scratch_store_dwordx4 off, v[0:3], off offset:928
	s_waitcnt vmcnt(1) lgkmcnt(0)
	s_nop 0
	v_mul_f64 v[0:1], v[192:193], v[4:5]
	v_fma_f64 v[6:7], v[190:191], v[188:189], -v[0:1]
	scratch_load_dwordx4 v[0:3], off, off offset:944
	v_mul_f64 v[190:191], v[190:191], v[4:5]
	v_fmac_f64_e32 v[190:191], v[192:193], v[188:189]
	s_waitcnt vmcnt(0)
	v_add_f64 v[0:1], v[0:1], -v[6:7]
	v_add_f64 v[2:3], v[2:3], -v[190:191]
	scratch_store_dwordx4 off, v[0:3], off offset:944
	ds_read2_b64 v[0:3], v248 offset0:120 offset1:121
	s_waitcnt lgkmcnt(0)
	v_mul_f64 v[6:7], v[2:3], v[4:5]
	v_mul_f64 v[190:191], v[0:1], v[4:5]
	v_fma_f64 v[6:7], v[0:1], v[188:189], -v[6:7]
	v_fmac_f64_e32 v[190:191], v[2:3], v[188:189]
	scratch_load_dwordx4 v[0:3], off, off offset:960
	s_waitcnt vmcnt(0)
	v_add_f64 v[0:1], v[0:1], -v[6:7]
	v_add_f64 v[2:3], v[2:3], -v[190:191]
	scratch_store_dwordx4 off, v[0:3], off offset:960
	ds_read2_b64 v[0:3], v248 offset0:122 offset1:123
	s_waitcnt lgkmcnt(0)
	v_mul_f64 v[6:7], v[2:3], v[4:5]
	v_mul_f64 v[190:191], v[0:1], v[4:5]
	v_fma_f64 v[6:7], v[0:1], v[188:189], -v[6:7]
	v_fmac_f64_e32 v[190:191], v[2:3], v[188:189]
	scratch_load_dwordx4 v[0:3], off, off offset:976
	;; [unrolled: 11-line block ×3, first 2 shown]
	s_waitcnt vmcnt(0)
	v_add_f64 v[0:1], v[188:189], -v[192:193]
	v_add_f64 v[2:3], v[190:191], -v[194:195]
	scratch_store_dwordx4 off, v[0:3], off offset:992
.LBB125_534:
	s_or_b64 exec, exec, s[2:3]
	v_cmp_eq_u32_e32 vcc, 47, v254
	s_waitcnt lgkmcnt(0)
	s_barrier
	s_and_saveexec_b64 s[4:5], vcc
	s_cbranch_execz .LBB125_541
; %bb.535:
	scratch_load_dwordx4 v[0:3], off, s24
	s_waitcnt vmcnt(0)
	ds_write2_b64 v252, v[0:1], v[2:3] offset1:1
	scratch_load_dwordx4 v[0:3], off, s23
	s_waitcnt vmcnt(0)
	ds_write2_b64 v248, v[0:1], v[2:3] offset0:96 offset1:97
	scratch_load_dwordx4 v[0:3], off, s22
	s_waitcnt vmcnt(0)
	ds_write2_b64 v248, v[0:1], v[2:3] offset0:98 offset1:99
	;; [unrolled: 3-line block ×15, first 2 shown]
	ds_read2_b64 v[188:191], v252 offset1:1
	s_waitcnt lgkmcnt(0)
	v_cmp_neq_f64_e32 vcc, 0, v[188:189]
	v_cmp_neq_f64_e64 s[2:3], 0, v[190:191]
	s_or_b64 s[2:3], vcc, s[2:3]
	s_and_b64 exec, exec, s[2:3]
	s_cbranch_execz .LBB125_541
; %bb.536:
	v_cmp_ngt_f64_e64 s[2:3], |v[188:189]|, |v[190:191]|
                                        ; implicit-def: $vgpr0_vgpr1
	s_and_saveexec_b64 s[46:47], s[2:3]
	s_xor_b64 s[2:3], exec, s[46:47]
                                        ; implicit-def: $vgpr2_vgpr3
	s_cbranch_execz .LBB125_538
; %bb.537:
	v_div_scale_f64 v[0:1], s[46:47], v[190:191], v[190:191], v[188:189]
	v_rcp_f64_e32 v[2:3], v[0:1]
	v_div_scale_f64 v[4:5], vcc, v[188:189], v[190:191], v[188:189]
	v_fma_f64 v[6:7], -v[0:1], v[2:3], 1.0
	v_fmac_f64_e32 v[2:3], v[2:3], v[6:7]
	v_fma_f64 v[6:7], -v[0:1], v[2:3], 1.0
	v_fmac_f64_e32 v[2:3], v[2:3], v[6:7]
	v_mul_f64 v[6:7], v[4:5], v[2:3]
	v_fma_f64 v[0:1], -v[0:1], v[6:7], v[4:5]
	v_div_fmas_f64 v[0:1], v[0:1], v[2:3], v[6:7]
	v_div_fixup_f64 v[0:1], v[0:1], v[190:191], v[188:189]
	v_fmac_f64_e32 v[190:191], v[188:189], v[0:1]
	v_div_scale_f64 v[2:3], s[46:47], v[190:191], v[190:191], 1.0
	v_rcp_f64_e32 v[4:5], v[2:3]
	s_nop 0
	v_fma_f64 v[6:7], -v[2:3], v[4:5], 1.0
	v_fmac_f64_e32 v[4:5], v[4:5], v[6:7]
	v_fma_f64 v[6:7], -v[2:3], v[4:5], 1.0
	v_fmac_f64_e32 v[4:5], v[4:5], v[6:7]
	v_div_scale_f64 v[6:7], vcc, 1.0, v[190:191], 1.0
	v_mul_f64 v[188:189], v[6:7], v[4:5]
	v_fma_f64 v[2:3], -v[2:3], v[188:189], v[6:7]
	s_nop 1
	v_div_fmas_f64 v[2:3], v[2:3], v[4:5], v[188:189]
	v_div_fixup_f64 v[2:3], v[2:3], v[190:191], 1.0
	v_mul_f64 v[0:1], v[0:1], v[2:3]
	v_xor_b32_e32 v3, 0x80000000, v3
                                        ; implicit-def: $vgpr188_vgpr189
.LBB125_538:
	s_andn2_saveexec_b64 s[2:3], s[2:3]
	s_cbranch_execz .LBB125_540
; %bb.539:
	v_div_scale_f64 v[0:1], s[46:47], v[188:189], v[188:189], v[190:191]
	v_rcp_f64_e32 v[2:3], v[0:1]
	v_div_scale_f64 v[4:5], vcc, v[190:191], v[188:189], v[190:191]
	v_fma_f64 v[6:7], -v[0:1], v[2:3], 1.0
	v_fmac_f64_e32 v[2:3], v[2:3], v[6:7]
	v_fma_f64 v[6:7], -v[0:1], v[2:3], 1.0
	v_fmac_f64_e32 v[2:3], v[2:3], v[6:7]
	v_mul_f64 v[6:7], v[4:5], v[2:3]
	v_fma_f64 v[0:1], -v[0:1], v[6:7], v[4:5]
	v_div_fmas_f64 v[0:1], v[0:1], v[2:3], v[6:7]
	v_div_fixup_f64 v[2:3], v[0:1], v[188:189], v[190:191]
	v_fmac_f64_e32 v[188:189], v[190:191], v[2:3]
	v_div_scale_f64 v[0:1], s[46:47], v[188:189], v[188:189], 1.0
	v_rcp_f64_e32 v[4:5], v[0:1]
	s_nop 0
	v_fma_f64 v[6:7], -v[0:1], v[4:5], 1.0
	v_fmac_f64_e32 v[4:5], v[4:5], v[6:7]
	v_fma_f64 v[6:7], -v[0:1], v[4:5], 1.0
	v_fmac_f64_e32 v[4:5], v[4:5], v[6:7]
	v_div_scale_f64 v[6:7], vcc, 1.0, v[188:189], 1.0
	v_mul_f64 v[190:191], v[6:7], v[4:5]
	v_fma_f64 v[0:1], -v[0:1], v[190:191], v[6:7]
	s_nop 1
	v_div_fmas_f64 v[0:1], v[0:1], v[4:5], v[190:191]
	v_div_fixup_f64 v[0:1], v[0:1], v[188:189], 1.0
	v_mul_f64 v[2:3], v[2:3], -v[0:1]
.LBB125_540:
	s_or_b64 exec, exec, s[2:3]
	ds_write2_b64 v252, v[0:1], v[2:3] offset1:1
.LBB125_541:
	s_or_b64 exec, exec, s[4:5]
	s_waitcnt lgkmcnt(0)
	s_barrier
	ds_read2_b64 v[188:191], v252 offset1:1
	v_cmp_lt_u32_e32 vcc, 47, v254
	s_and_saveexec_b64 s[2:3], vcc
	s_cbranch_execz .LBB125_543
; %bb.542:
	scratch_load_dwordx4 v[0:3], off, off offset:752
	s_waitcnt vmcnt(0) lgkmcnt(0)
	v_mul_f64 v[4:5], v[190:191], v[2:3]
	v_mul_f64 v[194:195], v[188:189], v[2:3]
	v_fma_f64 v[192:193], v[188:189], v[0:1], -v[4:5]
	v_fmac_f64_e32 v[194:195], v[190:191], v[0:1]
	ds_read2_b64 v[0:3], v248 offset0:96 offset1:97
	scratch_store_dwordx4 off, v[192:195], off offset:752
	s_waitcnt lgkmcnt(0)
	v_mul_f64 v[4:5], v[2:3], v[194:195]
	v_mul_f64 v[6:7], v[0:1], v[194:195]
	v_fma_f64 v[4:5], v[0:1], v[192:193], -v[4:5]
	v_fmac_f64_e32 v[6:7], v[2:3], v[192:193]
	scratch_load_dwordx4 v[0:3], off, off offset:768
	s_waitcnt vmcnt(0)
	v_add_f64 v[0:1], v[0:1], -v[4:5]
	v_add_f64 v[2:3], v[2:3], -v[6:7]
	scratch_store_dwordx4 off, v[0:3], off offset:768
	ds_read2_b64 v[0:3], v248 offset0:98 offset1:99
	s_waitcnt lgkmcnt(0)
	v_mul_f64 v[4:5], v[2:3], v[194:195]
	v_mul_f64 v[6:7], v[0:1], v[194:195]
	v_fma_f64 v[4:5], v[0:1], v[192:193], -v[4:5]
	v_fmac_f64_e32 v[6:7], v[2:3], v[192:193]
	scratch_load_dwordx4 v[0:3], off, off offset:784
	s_waitcnt vmcnt(0)
	v_add_f64 v[0:1], v[0:1], -v[4:5]
	v_add_f64 v[2:3], v[2:3], -v[6:7]
	scratch_store_dwordx4 off, v[0:3], off offset:784
	ds_read2_b64 v[0:3], v248 offset0:100 offset1:101
	;; [unrolled: 11-line block ×6, first 2 shown]
	scratch_load_dwordx2 v[4:5], off, off offset:752
	scratch_load_dwordx4 v[192:195], off, off offset:752
	s_waitcnt vmcnt(0) lgkmcnt(0)
	v_mul_f64 v[6:7], v[2:3], v[194:195]
	v_mul_f64 v[196:197], v[0:1], v[194:195]
	v_fma_f64 v[6:7], v[0:1], v[4:5], -v[6:7]
	v_fmac_f64_e32 v[196:197], v[2:3], v[4:5]
	scratch_load_dwordx4 v[0:3], off, off offset:864
	s_waitcnt vmcnt(0)
	v_add_f64 v[0:1], v[0:1], -v[6:7]
	v_add_f64 v[2:3], v[2:3], -v[196:197]
	scratch_store_dwordx4 off, v[0:3], off offset:864
	ds_read2_b64 v[0:3], v248 offset0:110 offset1:111
	s_waitcnt lgkmcnt(0)
	v_mul_f64 v[6:7], v[2:3], v[194:195]
	v_mul_f64 v[196:197], v[0:1], v[194:195]
	v_fma_f64 v[6:7], v[0:1], v[4:5], -v[6:7]
	v_fmac_f64_e32 v[196:197], v[2:3], v[4:5]
	scratch_load_dwordx4 v[0:3], off, off offset:880
	s_waitcnt vmcnt(0)
	v_add_f64 v[0:1], v[0:1], -v[6:7]
	v_add_f64 v[2:3], v[2:3], -v[196:197]
	scratch_store_dwordx4 off, v[0:3], off offset:880
	ds_read2_b64 v[0:3], v248 offset0:112 offset1:113
	s_waitcnt lgkmcnt(0)
	;; [unrolled: 11-line block ×5, first 2 shown]
	v_mul_f64 v[6:7], v[2:3], v[194:195]
	v_mul_f64 v[194:195], v[0:1], v[194:195]
	v_fma_f64 v[6:7], v[0:1], v[4:5], -v[6:7]
	v_fmac_f64_e32 v[194:195], v[2:3], v[4:5]
	scratch_load_dwordx4 v[0:3], off, off offset:944
	scratch_load_dwordx2 v[4:5], off, off offset:760
	s_waitcnt vmcnt(1)
	v_add_f64 v[0:1], v[0:1], -v[6:7]
	v_add_f64 v[2:3], v[2:3], -v[194:195]
	scratch_store_dwordx4 off, v[0:3], off offset:944
	ds_read2_b64 v[0:3], v248 offset0:120 offset1:121
	s_waitcnt vmcnt(1) lgkmcnt(0)
	v_mul_f64 v[6:7], v[2:3], v[4:5]
	v_mul_f64 v[194:195], v[0:1], v[4:5]
	v_fma_f64 v[6:7], v[0:1], v[192:193], -v[6:7]
	v_fmac_f64_e32 v[194:195], v[2:3], v[192:193]
	scratch_load_dwordx4 v[0:3], off, off offset:960
	s_waitcnt vmcnt(0)
	v_add_f64 v[0:1], v[0:1], -v[6:7]
	v_add_f64 v[2:3], v[2:3], -v[194:195]
	scratch_store_dwordx4 off, v[0:3], off offset:960
	ds_read2_b64 v[0:3], v248 offset0:122 offset1:123
	s_waitcnt lgkmcnt(0)
	v_mul_f64 v[6:7], v[2:3], v[4:5]
	v_mul_f64 v[194:195], v[0:1], v[4:5]
	v_fma_f64 v[6:7], v[0:1], v[192:193], -v[6:7]
	v_fmac_f64_e32 v[194:195], v[2:3], v[192:193]
	scratch_load_dwordx4 v[0:3], off, off offset:976
	s_waitcnt vmcnt(0)
	v_add_f64 v[0:1], v[0:1], -v[6:7]
	v_add_f64 v[2:3], v[2:3], -v[194:195]
	scratch_store_dwordx4 off, v[0:3], off offset:976
	ds_read2_b64 v[0:3], v248 offset0:124 offset1:125
	s_waitcnt lgkmcnt(0)
	v_mul_f64 v[6:7], v[2:3], v[4:5]
	v_mul_f64 v[198:199], v[0:1], v[4:5]
	v_fma_f64 v[196:197], v[0:1], v[192:193], -v[6:7]
	v_fmac_f64_e32 v[198:199], v[2:3], v[192:193]
	scratch_load_dwordx4 v[192:195], off, off offset:992
	s_waitcnt vmcnt(0)
	v_add_f64 v[0:1], v[192:193], -v[196:197]
	v_add_f64 v[2:3], v[194:195], -v[198:199]
	scratch_store_dwordx4 off, v[0:3], off offset:992
.LBB125_543:
	s_or_b64 exec, exec, s[2:3]
	v_cmp_eq_u32_e32 vcc, 48, v254
	s_waitcnt lgkmcnt(0)
	s_barrier
	s_and_saveexec_b64 s[4:5], vcc
	s_cbranch_execz .LBB125_550
; %bb.544:
	scratch_load_dwordx4 v[0:3], off, s23
	s_waitcnt vmcnt(0)
	ds_write2_b64 v252, v[0:1], v[2:3] offset1:1
	scratch_load_dwordx4 v[0:3], off, s22
	s_waitcnt vmcnt(0)
	ds_write2_b64 v248, v[0:1], v[2:3] offset0:98 offset1:99
	scratch_load_dwordx4 v[0:3], off, s21
	s_waitcnt vmcnt(0)
	ds_write2_b64 v248, v[0:1], v[2:3] offset0:100 offset1:101
	;; [unrolled: 3-line block ×14, first 2 shown]
	ds_read2_b64 v[192:195], v252 offset1:1
	s_waitcnt lgkmcnt(0)
	v_cmp_neq_f64_e32 vcc, 0, v[192:193]
	v_cmp_neq_f64_e64 s[2:3], 0, v[194:195]
	s_or_b64 s[2:3], vcc, s[2:3]
	s_and_b64 exec, exec, s[2:3]
	s_cbranch_execz .LBB125_550
; %bb.545:
	v_cmp_ngt_f64_e64 s[2:3], |v[192:193]|, |v[194:195]|
                                        ; implicit-def: $vgpr0_vgpr1
	s_and_saveexec_b64 s[46:47], s[2:3]
	s_xor_b64 s[2:3], exec, s[46:47]
                                        ; implicit-def: $vgpr2_vgpr3
	s_cbranch_execz .LBB125_547
; %bb.546:
	v_div_scale_f64 v[0:1], s[46:47], v[194:195], v[194:195], v[192:193]
	v_rcp_f64_e32 v[2:3], v[0:1]
	v_div_scale_f64 v[4:5], vcc, v[192:193], v[194:195], v[192:193]
	v_fma_f64 v[6:7], -v[0:1], v[2:3], 1.0
	v_fmac_f64_e32 v[2:3], v[2:3], v[6:7]
	v_fma_f64 v[6:7], -v[0:1], v[2:3], 1.0
	v_fmac_f64_e32 v[2:3], v[2:3], v[6:7]
	v_mul_f64 v[6:7], v[4:5], v[2:3]
	v_fma_f64 v[0:1], -v[0:1], v[6:7], v[4:5]
	v_div_fmas_f64 v[0:1], v[0:1], v[2:3], v[6:7]
	v_div_fixup_f64 v[0:1], v[0:1], v[194:195], v[192:193]
	v_fmac_f64_e32 v[194:195], v[192:193], v[0:1]
	v_div_scale_f64 v[2:3], s[46:47], v[194:195], v[194:195], 1.0
	v_rcp_f64_e32 v[4:5], v[2:3]
	s_nop 0
	v_fma_f64 v[6:7], -v[2:3], v[4:5], 1.0
	v_fmac_f64_e32 v[4:5], v[4:5], v[6:7]
	v_fma_f64 v[6:7], -v[2:3], v[4:5], 1.0
	v_fmac_f64_e32 v[4:5], v[4:5], v[6:7]
	v_div_scale_f64 v[6:7], vcc, 1.0, v[194:195], 1.0
	v_mul_f64 v[192:193], v[6:7], v[4:5]
	v_fma_f64 v[2:3], -v[2:3], v[192:193], v[6:7]
	s_nop 1
	v_div_fmas_f64 v[2:3], v[2:3], v[4:5], v[192:193]
	v_div_fixup_f64 v[2:3], v[2:3], v[194:195], 1.0
	v_mul_f64 v[0:1], v[0:1], v[2:3]
	v_xor_b32_e32 v3, 0x80000000, v3
                                        ; implicit-def: $vgpr192_vgpr193
.LBB125_547:
	s_andn2_saveexec_b64 s[2:3], s[2:3]
	s_cbranch_execz .LBB125_549
; %bb.548:
	v_div_scale_f64 v[0:1], s[46:47], v[192:193], v[192:193], v[194:195]
	v_rcp_f64_e32 v[2:3], v[0:1]
	v_div_scale_f64 v[4:5], vcc, v[194:195], v[192:193], v[194:195]
	v_fma_f64 v[6:7], -v[0:1], v[2:3], 1.0
	v_fmac_f64_e32 v[2:3], v[2:3], v[6:7]
	v_fma_f64 v[6:7], -v[0:1], v[2:3], 1.0
	v_fmac_f64_e32 v[2:3], v[2:3], v[6:7]
	v_mul_f64 v[6:7], v[4:5], v[2:3]
	v_fma_f64 v[0:1], -v[0:1], v[6:7], v[4:5]
	v_div_fmas_f64 v[0:1], v[0:1], v[2:3], v[6:7]
	v_div_fixup_f64 v[2:3], v[0:1], v[192:193], v[194:195]
	v_fmac_f64_e32 v[192:193], v[194:195], v[2:3]
	v_div_scale_f64 v[0:1], s[46:47], v[192:193], v[192:193], 1.0
	v_rcp_f64_e32 v[4:5], v[0:1]
	s_nop 0
	v_fma_f64 v[6:7], -v[0:1], v[4:5], 1.0
	v_fmac_f64_e32 v[4:5], v[4:5], v[6:7]
	v_fma_f64 v[6:7], -v[0:1], v[4:5], 1.0
	v_fmac_f64_e32 v[4:5], v[4:5], v[6:7]
	v_div_scale_f64 v[6:7], vcc, 1.0, v[192:193], 1.0
	v_mul_f64 v[194:195], v[6:7], v[4:5]
	v_fma_f64 v[0:1], -v[0:1], v[194:195], v[6:7]
	s_nop 1
	v_div_fmas_f64 v[0:1], v[0:1], v[4:5], v[194:195]
	v_div_fixup_f64 v[0:1], v[0:1], v[192:193], 1.0
	v_mul_f64 v[2:3], v[2:3], -v[0:1]
.LBB125_549:
	s_or_b64 exec, exec, s[2:3]
	ds_write2_b64 v252, v[0:1], v[2:3] offset1:1
.LBB125_550:
	s_or_b64 exec, exec, s[4:5]
	s_waitcnt lgkmcnt(0)
	s_barrier
	ds_read2_b64 v[192:195], v252 offset1:1
	v_cmp_lt_u32_e32 vcc, 48, v254
	s_and_saveexec_b64 s[2:3], vcc
	s_cbranch_execz .LBB125_552
; %bb.551:
	scratch_load_dwordx4 v[0:3], off, off offset:768
	s_waitcnt vmcnt(0) lgkmcnt(0)
	v_mul_f64 v[4:5], v[194:195], v[2:3]
	v_mul_f64 v[198:199], v[192:193], v[2:3]
	v_fma_f64 v[196:197], v[192:193], v[0:1], -v[4:5]
	v_fmac_f64_e32 v[198:199], v[194:195], v[0:1]
	ds_read2_b64 v[0:3], v248 offset0:98 offset1:99
	scratch_store_dwordx4 off, v[196:199], off offset:768
	s_waitcnt lgkmcnt(0)
	v_mul_f64 v[4:5], v[2:3], v[198:199]
	v_mul_f64 v[6:7], v[0:1], v[198:199]
	v_fma_f64 v[4:5], v[0:1], v[196:197], -v[4:5]
	v_fmac_f64_e32 v[6:7], v[2:3], v[196:197]
	scratch_load_dwordx4 v[0:3], off, off offset:784
	s_waitcnt vmcnt(0)
	v_add_f64 v[0:1], v[0:1], -v[4:5]
	v_add_f64 v[2:3], v[2:3], -v[6:7]
	scratch_store_dwordx4 off, v[0:3], off offset:784
	ds_read2_b64 v[0:3], v248 offset0:100 offset1:101
	s_waitcnt lgkmcnt(0)
	v_mul_f64 v[4:5], v[2:3], v[198:199]
	v_mul_f64 v[6:7], v[0:1], v[198:199]
	v_fma_f64 v[4:5], v[0:1], v[196:197], -v[4:5]
	v_fmac_f64_e32 v[6:7], v[2:3], v[196:197]
	scratch_load_dwordx4 v[0:3], off, off offset:800
	s_waitcnt vmcnt(0)
	v_add_f64 v[0:1], v[0:1], -v[4:5]
	v_add_f64 v[2:3], v[2:3], -v[6:7]
	scratch_store_dwordx4 off, v[0:3], off offset:800
	ds_read2_b64 v[0:3], v248 offset0:102 offset1:103
	;; [unrolled: 11-line block ×6, first 2 shown]
	scratch_load_dwordx2 v[4:5], off, off offset:768
	scratch_load_dwordx4 v[196:199], off, off offset:768
	s_waitcnt vmcnt(0) lgkmcnt(0)
	v_mul_f64 v[6:7], v[2:3], v[198:199]
	v_mul_f64 v[200:201], v[0:1], v[198:199]
	v_fma_f64 v[6:7], v[0:1], v[4:5], -v[6:7]
	v_fmac_f64_e32 v[200:201], v[2:3], v[4:5]
	scratch_load_dwordx4 v[0:3], off, off offset:880
	s_waitcnt vmcnt(0)
	v_add_f64 v[0:1], v[0:1], -v[6:7]
	v_add_f64 v[2:3], v[2:3], -v[200:201]
	scratch_store_dwordx4 off, v[0:3], off offset:880
	ds_read2_b64 v[0:3], v248 offset0:112 offset1:113
	s_waitcnt lgkmcnt(0)
	v_mul_f64 v[6:7], v[2:3], v[198:199]
	v_mul_f64 v[200:201], v[0:1], v[198:199]
	v_fma_f64 v[6:7], v[0:1], v[4:5], -v[6:7]
	v_fmac_f64_e32 v[200:201], v[2:3], v[4:5]
	scratch_load_dwordx4 v[0:3], off, off offset:896
	s_waitcnt vmcnt(0)
	v_add_f64 v[0:1], v[0:1], -v[6:7]
	v_add_f64 v[2:3], v[2:3], -v[200:201]
	scratch_store_dwordx4 off, v[0:3], off offset:896
	ds_read2_b64 v[0:3], v248 offset0:114 offset1:115
	s_waitcnt lgkmcnt(0)
	;; [unrolled: 11-line block ×5, first 2 shown]
	v_mul_f64 v[6:7], v[2:3], v[198:199]
	v_mul_f64 v[198:199], v[0:1], v[198:199]
	v_fma_f64 v[6:7], v[0:1], v[4:5], -v[6:7]
	v_fmac_f64_e32 v[198:199], v[2:3], v[4:5]
	scratch_load_dwordx4 v[0:3], off, off offset:960
	scratch_load_dwordx2 v[4:5], off, off offset:776
	s_waitcnt vmcnt(1)
	v_add_f64 v[0:1], v[0:1], -v[6:7]
	v_add_f64 v[2:3], v[2:3], -v[198:199]
	scratch_store_dwordx4 off, v[0:3], off offset:960
	ds_read2_b64 v[0:3], v248 offset0:122 offset1:123
	s_waitcnt vmcnt(1) lgkmcnt(0)
	v_mul_f64 v[6:7], v[2:3], v[4:5]
	v_mul_f64 v[198:199], v[0:1], v[4:5]
	v_fma_f64 v[6:7], v[0:1], v[196:197], -v[6:7]
	v_fmac_f64_e32 v[198:199], v[2:3], v[196:197]
	scratch_load_dwordx4 v[0:3], off, off offset:976
	s_waitcnt vmcnt(0)
	v_add_f64 v[0:1], v[0:1], -v[6:7]
	v_add_f64 v[2:3], v[2:3], -v[198:199]
	scratch_store_dwordx4 off, v[0:3], off offset:976
	ds_read2_b64 v[0:3], v248 offset0:124 offset1:125
	s_waitcnt lgkmcnt(0)
	v_mul_f64 v[6:7], v[2:3], v[4:5]
	v_mul_f64 v[202:203], v[0:1], v[4:5]
	v_fma_f64 v[200:201], v[0:1], v[196:197], -v[6:7]
	v_fmac_f64_e32 v[202:203], v[2:3], v[196:197]
	scratch_load_dwordx4 v[196:199], off, off offset:992
	s_waitcnt vmcnt(0)
	v_add_f64 v[0:1], v[196:197], -v[200:201]
	v_add_f64 v[2:3], v[198:199], -v[202:203]
	scratch_store_dwordx4 off, v[0:3], off offset:992
.LBB125_552:
	s_or_b64 exec, exec, s[2:3]
	v_cmp_eq_u32_e32 vcc, 49, v254
	s_waitcnt lgkmcnt(0)
	s_barrier
	s_and_saveexec_b64 s[4:5], vcc
	s_cbranch_execz .LBB125_559
; %bb.553:
	scratch_load_dwordx4 v[0:3], off, s22
	s_waitcnt vmcnt(0)
	ds_write2_b64 v252, v[0:1], v[2:3] offset1:1
	scratch_load_dwordx4 v[0:3], off, s21
	s_waitcnt vmcnt(0)
	ds_write2_b64 v248, v[0:1], v[2:3] offset0:100 offset1:101
	scratch_load_dwordx4 v[0:3], off, s20
	s_waitcnt vmcnt(0)
	ds_write2_b64 v248, v[0:1], v[2:3] offset0:102 offset1:103
	;; [unrolled: 3-line block ×13, first 2 shown]
	ds_read2_b64 v[196:199], v252 offset1:1
	s_waitcnt lgkmcnt(0)
	v_cmp_neq_f64_e32 vcc, 0, v[196:197]
	v_cmp_neq_f64_e64 s[2:3], 0, v[198:199]
	s_or_b64 s[2:3], vcc, s[2:3]
	s_and_b64 exec, exec, s[2:3]
	s_cbranch_execz .LBB125_559
; %bb.554:
	v_cmp_ngt_f64_e64 s[2:3], |v[196:197]|, |v[198:199]|
                                        ; implicit-def: $vgpr0_vgpr1
	s_and_saveexec_b64 s[46:47], s[2:3]
	s_xor_b64 s[2:3], exec, s[46:47]
                                        ; implicit-def: $vgpr2_vgpr3
	s_cbranch_execz .LBB125_556
; %bb.555:
	v_div_scale_f64 v[0:1], s[46:47], v[198:199], v[198:199], v[196:197]
	v_rcp_f64_e32 v[2:3], v[0:1]
	v_div_scale_f64 v[4:5], vcc, v[196:197], v[198:199], v[196:197]
	v_fma_f64 v[6:7], -v[0:1], v[2:3], 1.0
	v_fmac_f64_e32 v[2:3], v[2:3], v[6:7]
	v_fma_f64 v[6:7], -v[0:1], v[2:3], 1.0
	v_fmac_f64_e32 v[2:3], v[2:3], v[6:7]
	v_mul_f64 v[6:7], v[4:5], v[2:3]
	v_fma_f64 v[0:1], -v[0:1], v[6:7], v[4:5]
	v_div_fmas_f64 v[0:1], v[0:1], v[2:3], v[6:7]
	v_div_fixup_f64 v[0:1], v[0:1], v[198:199], v[196:197]
	v_fmac_f64_e32 v[198:199], v[196:197], v[0:1]
	v_div_scale_f64 v[2:3], s[46:47], v[198:199], v[198:199], 1.0
	v_rcp_f64_e32 v[4:5], v[2:3]
	s_nop 0
	v_fma_f64 v[6:7], -v[2:3], v[4:5], 1.0
	v_fmac_f64_e32 v[4:5], v[4:5], v[6:7]
	v_fma_f64 v[6:7], -v[2:3], v[4:5], 1.0
	v_fmac_f64_e32 v[4:5], v[4:5], v[6:7]
	v_div_scale_f64 v[6:7], vcc, 1.0, v[198:199], 1.0
	v_mul_f64 v[196:197], v[6:7], v[4:5]
	v_fma_f64 v[2:3], -v[2:3], v[196:197], v[6:7]
	s_nop 1
	v_div_fmas_f64 v[2:3], v[2:3], v[4:5], v[196:197]
	v_div_fixup_f64 v[2:3], v[2:3], v[198:199], 1.0
	v_mul_f64 v[0:1], v[0:1], v[2:3]
	v_xor_b32_e32 v3, 0x80000000, v3
                                        ; implicit-def: $vgpr196_vgpr197
.LBB125_556:
	s_andn2_saveexec_b64 s[2:3], s[2:3]
	s_cbranch_execz .LBB125_558
; %bb.557:
	v_div_scale_f64 v[0:1], s[46:47], v[196:197], v[196:197], v[198:199]
	v_rcp_f64_e32 v[2:3], v[0:1]
	v_div_scale_f64 v[4:5], vcc, v[198:199], v[196:197], v[198:199]
	v_fma_f64 v[6:7], -v[0:1], v[2:3], 1.0
	v_fmac_f64_e32 v[2:3], v[2:3], v[6:7]
	v_fma_f64 v[6:7], -v[0:1], v[2:3], 1.0
	v_fmac_f64_e32 v[2:3], v[2:3], v[6:7]
	v_mul_f64 v[6:7], v[4:5], v[2:3]
	v_fma_f64 v[0:1], -v[0:1], v[6:7], v[4:5]
	v_div_fmas_f64 v[0:1], v[0:1], v[2:3], v[6:7]
	v_div_fixup_f64 v[2:3], v[0:1], v[196:197], v[198:199]
	v_fmac_f64_e32 v[196:197], v[198:199], v[2:3]
	v_div_scale_f64 v[0:1], s[46:47], v[196:197], v[196:197], 1.0
	v_rcp_f64_e32 v[4:5], v[0:1]
	s_nop 0
	v_fma_f64 v[6:7], -v[0:1], v[4:5], 1.0
	v_fmac_f64_e32 v[4:5], v[4:5], v[6:7]
	v_fma_f64 v[6:7], -v[0:1], v[4:5], 1.0
	v_fmac_f64_e32 v[4:5], v[4:5], v[6:7]
	v_div_scale_f64 v[6:7], vcc, 1.0, v[196:197], 1.0
	v_mul_f64 v[198:199], v[6:7], v[4:5]
	v_fma_f64 v[0:1], -v[0:1], v[198:199], v[6:7]
	s_nop 1
	v_div_fmas_f64 v[0:1], v[0:1], v[4:5], v[198:199]
	v_div_fixup_f64 v[0:1], v[0:1], v[196:197], 1.0
	v_mul_f64 v[2:3], v[2:3], -v[0:1]
.LBB125_558:
	s_or_b64 exec, exec, s[2:3]
	ds_write2_b64 v252, v[0:1], v[2:3] offset1:1
.LBB125_559:
	s_or_b64 exec, exec, s[4:5]
	s_waitcnt lgkmcnt(0)
	s_barrier
	ds_read2_b64 v[196:199], v252 offset1:1
	v_cmp_lt_u32_e32 vcc, 49, v254
	s_and_saveexec_b64 s[2:3], vcc
	s_cbranch_execz .LBB125_561
; %bb.560:
	scratch_load_dwordx4 v[0:3], off, off offset:784
	s_waitcnt vmcnt(0) lgkmcnt(0)
	v_mul_f64 v[4:5], v[198:199], v[2:3]
	v_mul_f64 v[202:203], v[196:197], v[2:3]
	v_fma_f64 v[200:201], v[196:197], v[0:1], -v[4:5]
	v_fmac_f64_e32 v[202:203], v[198:199], v[0:1]
	ds_read2_b64 v[0:3], v248 offset0:100 offset1:101
	scratch_store_dwordx4 off, v[200:203], off offset:784
	s_waitcnt lgkmcnt(0)
	v_mul_f64 v[4:5], v[2:3], v[202:203]
	v_mul_f64 v[6:7], v[0:1], v[202:203]
	v_fma_f64 v[4:5], v[0:1], v[200:201], -v[4:5]
	v_fmac_f64_e32 v[6:7], v[2:3], v[200:201]
	scratch_load_dwordx4 v[0:3], off, off offset:800
	s_waitcnt vmcnt(0)
	v_add_f64 v[0:1], v[0:1], -v[4:5]
	v_add_f64 v[2:3], v[2:3], -v[6:7]
	scratch_store_dwordx4 off, v[0:3], off offset:800
	ds_read2_b64 v[0:3], v248 offset0:102 offset1:103
	s_waitcnt lgkmcnt(0)
	v_mul_f64 v[4:5], v[2:3], v[202:203]
	v_mul_f64 v[6:7], v[0:1], v[202:203]
	v_fma_f64 v[4:5], v[0:1], v[200:201], -v[4:5]
	v_fmac_f64_e32 v[6:7], v[2:3], v[200:201]
	scratch_load_dwordx4 v[0:3], off, off offset:816
	s_waitcnt vmcnt(0)
	v_add_f64 v[0:1], v[0:1], -v[4:5]
	v_add_f64 v[2:3], v[2:3], -v[6:7]
	scratch_store_dwordx4 off, v[0:3], off offset:816
	ds_read2_b64 v[0:3], v248 offset0:104 offset1:105
	;; [unrolled: 11-line block ×6, first 2 shown]
	scratch_load_dwordx2 v[4:5], off, off offset:784
	scratch_load_dwordx4 v[200:203], off, off offset:784
	s_waitcnt vmcnt(0) lgkmcnt(0)
	v_mul_f64 v[6:7], v[2:3], v[202:203]
	v_mul_f64 v[204:205], v[0:1], v[202:203]
	v_fma_f64 v[6:7], v[0:1], v[4:5], -v[6:7]
	v_fmac_f64_e32 v[204:205], v[2:3], v[4:5]
	scratch_load_dwordx4 v[0:3], off, off offset:896
	s_waitcnt vmcnt(0)
	v_add_f64 v[0:1], v[0:1], -v[6:7]
	v_add_f64 v[2:3], v[2:3], -v[204:205]
	scratch_store_dwordx4 off, v[0:3], off offset:896
	ds_read2_b64 v[0:3], v248 offset0:114 offset1:115
	s_waitcnt lgkmcnt(0)
	v_mul_f64 v[6:7], v[2:3], v[202:203]
	v_mul_f64 v[204:205], v[0:1], v[202:203]
	v_fma_f64 v[6:7], v[0:1], v[4:5], -v[6:7]
	v_fmac_f64_e32 v[204:205], v[2:3], v[4:5]
	scratch_load_dwordx4 v[0:3], off, off offset:912
	s_waitcnt vmcnt(0)
	v_add_f64 v[0:1], v[0:1], -v[6:7]
	v_add_f64 v[2:3], v[2:3], -v[204:205]
	scratch_store_dwordx4 off, v[0:3], off offset:912
	ds_read2_b64 v[0:3], v248 offset0:116 offset1:117
	s_waitcnt lgkmcnt(0)
	;; [unrolled: 11-line block ×5, first 2 shown]
	v_mul_f64 v[6:7], v[2:3], v[202:203]
	v_mul_f64 v[202:203], v[0:1], v[202:203]
	v_fma_f64 v[6:7], v[0:1], v[4:5], -v[6:7]
	v_fmac_f64_e32 v[202:203], v[2:3], v[4:5]
	scratch_load_dwordx4 v[0:3], off, off offset:976
	scratch_load_dwordx2 v[4:5], off, off offset:792
	s_waitcnt vmcnt(1)
	v_add_f64 v[0:1], v[0:1], -v[6:7]
	v_add_f64 v[2:3], v[2:3], -v[202:203]
	scratch_store_dwordx4 off, v[0:3], off offset:976
	ds_read2_b64 v[0:3], v248 offset0:124 offset1:125
	s_waitcnt vmcnt(1) lgkmcnt(0)
	v_mul_f64 v[6:7], v[2:3], v[4:5]
	v_mul_f64 v[204:205], v[0:1], v[4:5]
	v_fma_f64 v[202:203], v[0:1], v[200:201], -v[6:7]
	v_fmac_f64_e32 v[204:205], v[2:3], v[200:201]
	scratch_load_dwordx4 v[0:3], off, off offset:992
	s_waitcnt vmcnt(0)
	v_add_f64 v[0:1], v[0:1], -v[202:203]
	v_add_f64 v[2:3], v[2:3], -v[204:205]
	scratch_store_dwordx4 off, v[0:3], off offset:992
.LBB125_561:
	s_or_b64 exec, exec, s[2:3]
	v_cmp_eq_u32_e32 vcc, 50, v254
	s_waitcnt lgkmcnt(0)
	s_barrier
	s_and_saveexec_b64 s[4:5], vcc
	s_cbranch_execz .LBB125_568
; %bb.562:
	scratch_load_dwordx4 v[0:3], off, s21
	s_waitcnt vmcnt(0)
	ds_write2_b64 v252, v[0:1], v[2:3] offset1:1
	scratch_load_dwordx4 v[0:3], off, s20
	s_waitcnt vmcnt(0)
	ds_write2_b64 v248, v[0:1], v[2:3] offset0:102 offset1:103
	scratch_load_dwordx4 v[0:3], off, s19
	s_waitcnt vmcnt(0)
	ds_write2_b64 v248, v[0:1], v[2:3] offset0:104 offset1:105
	;; [unrolled: 3-line block ×12, first 2 shown]
	ds_read2_b64 v[200:203], v252 offset1:1
	s_waitcnt lgkmcnt(0)
	v_cmp_neq_f64_e32 vcc, 0, v[200:201]
	v_cmp_neq_f64_e64 s[2:3], 0, v[202:203]
	s_or_b64 s[2:3], vcc, s[2:3]
	s_and_b64 exec, exec, s[2:3]
	s_cbranch_execz .LBB125_568
; %bb.563:
	v_cmp_ngt_f64_e64 s[2:3], |v[200:201]|, |v[202:203]|
                                        ; implicit-def: $vgpr0_vgpr1
	s_and_saveexec_b64 s[46:47], s[2:3]
	s_xor_b64 s[2:3], exec, s[46:47]
                                        ; implicit-def: $vgpr2_vgpr3
	s_cbranch_execz .LBB125_565
; %bb.564:
	v_div_scale_f64 v[0:1], s[46:47], v[202:203], v[202:203], v[200:201]
	v_rcp_f64_e32 v[2:3], v[0:1]
	v_div_scale_f64 v[4:5], vcc, v[200:201], v[202:203], v[200:201]
	v_fma_f64 v[6:7], -v[0:1], v[2:3], 1.0
	v_fmac_f64_e32 v[2:3], v[2:3], v[6:7]
	v_fma_f64 v[6:7], -v[0:1], v[2:3], 1.0
	v_fmac_f64_e32 v[2:3], v[2:3], v[6:7]
	v_mul_f64 v[6:7], v[4:5], v[2:3]
	v_fma_f64 v[0:1], -v[0:1], v[6:7], v[4:5]
	v_div_fmas_f64 v[0:1], v[0:1], v[2:3], v[6:7]
	v_div_fixup_f64 v[0:1], v[0:1], v[202:203], v[200:201]
	v_fmac_f64_e32 v[202:203], v[200:201], v[0:1]
	v_div_scale_f64 v[2:3], s[46:47], v[202:203], v[202:203], 1.0
	v_rcp_f64_e32 v[4:5], v[2:3]
	s_nop 0
	v_fma_f64 v[6:7], -v[2:3], v[4:5], 1.0
	v_fmac_f64_e32 v[4:5], v[4:5], v[6:7]
	v_fma_f64 v[6:7], -v[2:3], v[4:5], 1.0
	v_fmac_f64_e32 v[4:5], v[4:5], v[6:7]
	v_div_scale_f64 v[6:7], vcc, 1.0, v[202:203], 1.0
	v_mul_f64 v[200:201], v[6:7], v[4:5]
	v_fma_f64 v[2:3], -v[2:3], v[200:201], v[6:7]
	s_nop 1
	v_div_fmas_f64 v[2:3], v[2:3], v[4:5], v[200:201]
	v_div_fixup_f64 v[2:3], v[2:3], v[202:203], 1.0
	v_mul_f64 v[0:1], v[0:1], v[2:3]
	v_xor_b32_e32 v3, 0x80000000, v3
                                        ; implicit-def: $vgpr200_vgpr201
.LBB125_565:
	s_andn2_saveexec_b64 s[2:3], s[2:3]
	s_cbranch_execz .LBB125_567
; %bb.566:
	v_div_scale_f64 v[0:1], s[46:47], v[200:201], v[200:201], v[202:203]
	v_rcp_f64_e32 v[2:3], v[0:1]
	v_div_scale_f64 v[4:5], vcc, v[202:203], v[200:201], v[202:203]
	v_fma_f64 v[6:7], -v[0:1], v[2:3], 1.0
	v_fmac_f64_e32 v[2:3], v[2:3], v[6:7]
	v_fma_f64 v[6:7], -v[0:1], v[2:3], 1.0
	v_fmac_f64_e32 v[2:3], v[2:3], v[6:7]
	v_mul_f64 v[6:7], v[4:5], v[2:3]
	v_fma_f64 v[0:1], -v[0:1], v[6:7], v[4:5]
	v_div_fmas_f64 v[0:1], v[0:1], v[2:3], v[6:7]
	v_div_fixup_f64 v[2:3], v[0:1], v[200:201], v[202:203]
	v_fmac_f64_e32 v[200:201], v[202:203], v[2:3]
	v_div_scale_f64 v[0:1], s[46:47], v[200:201], v[200:201], 1.0
	v_rcp_f64_e32 v[4:5], v[0:1]
	s_nop 0
	v_fma_f64 v[6:7], -v[0:1], v[4:5], 1.0
	v_fmac_f64_e32 v[4:5], v[4:5], v[6:7]
	v_fma_f64 v[6:7], -v[0:1], v[4:5], 1.0
	v_fmac_f64_e32 v[4:5], v[4:5], v[6:7]
	v_div_scale_f64 v[6:7], vcc, 1.0, v[200:201], 1.0
	v_mul_f64 v[202:203], v[6:7], v[4:5]
	v_fma_f64 v[0:1], -v[0:1], v[202:203], v[6:7]
	s_nop 1
	v_div_fmas_f64 v[0:1], v[0:1], v[4:5], v[202:203]
	v_div_fixup_f64 v[0:1], v[0:1], v[200:201], 1.0
	v_mul_f64 v[2:3], v[2:3], -v[0:1]
.LBB125_567:
	s_or_b64 exec, exec, s[2:3]
	ds_write2_b64 v252, v[0:1], v[2:3] offset1:1
.LBB125_568:
	s_or_b64 exec, exec, s[4:5]
	s_waitcnt lgkmcnt(0)
	s_barrier
	ds_read2_b64 v[200:203], v252 offset1:1
	v_cmp_lt_u32_e32 vcc, 50, v254
	s_and_saveexec_b64 s[2:3], vcc
	s_cbranch_execz .LBB125_570
; %bb.569:
	scratch_load_dwordx4 v[0:3], off, off offset:800
	s_waitcnt vmcnt(0) lgkmcnt(0)
	v_mul_f64 v[4:5], v[202:203], v[2:3]
	v_mul_f64 v[206:207], v[200:201], v[2:3]
	v_fma_f64 v[204:205], v[200:201], v[0:1], -v[4:5]
	v_fmac_f64_e32 v[206:207], v[202:203], v[0:1]
	ds_read2_b64 v[0:3], v248 offset0:102 offset1:103
	scratch_store_dwordx4 off, v[204:207], off offset:800
	scratch_load_dwordx4 v[208:211], off, off offset:800
	s_waitcnt lgkmcnt(0)
	v_mul_f64 v[4:5], v[2:3], v[206:207]
	v_mul_f64 v[6:7], v[0:1], v[206:207]
	v_fma_f64 v[4:5], v[0:1], v[204:205], -v[4:5]
	v_fmac_f64_e32 v[6:7], v[2:3], v[204:205]
	scratch_load_dwordx4 v[0:3], off, off offset:816
	s_waitcnt vmcnt(0)
	v_add_f64 v[0:1], v[0:1], -v[4:5]
	v_add_f64 v[2:3], v[2:3], -v[6:7]
	scratch_store_dwordx4 off, v[0:3], off offset:816
	ds_read2_b64 v[0:3], v248 offset0:104 offset1:105
	s_waitcnt lgkmcnt(0)
	v_mul_f64 v[4:5], v[2:3], v[206:207]
	v_mul_f64 v[6:7], v[0:1], v[206:207]
	v_fma_f64 v[4:5], v[0:1], v[204:205], -v[4:5]
	v_fmac_f64_e32 v[6:7], v[2:3], v[204:205]
	scratch_load_dwordx4 v[0:3], off, off offset:832
	s_waitcnt vmcnt(0)
	v_add_f64 v[0:1], v[0:1], -v[4:5]
	v_add_f64 v[2:3], v[2:3], -v[6:7]
	scratch_store_dwordx4 off, v[0:3], off offset:832
	ds_read2_b64 v[0:3], v248 offset0:106 offset1:107
	;; [unrolled: 11-line block ×11, first 2 shown]
	s_waitcnt lgkmcnt(0)
	v_mul_f64 v[4:5], v[2:3], v[210:211]
	v_mul_f64 v[206:207], v[0:1], v[210:211]
	v_fma_f64 v[204:205], v[0:1], v[208:209], -v[4:5]
	v_fmac_f64_e32 v[206:207], v[2:3], v[208:209]
	scratch_load_dwordx4 v[0:3], off, off offset:992
	s_waitcnt vmcnt(0)
	v_add_f64 v[0:1], v[0:1], -v[204:205]
	v_add_f64 v[2:3], v[2:3], -v[206:207]
	scratch_store_dwordx4 off, v[0:3], off offset:992
.LBB125_570:
	s_or_b64 exec, exec, s[2:3]
	v_cmp_eq_u32_e32 vcc, 51, v254
	s_waitcnt lgkmcnt(0)
	s_barrier
	s_and_saveexec_b64 s[4:5], vcc
	s_cbranch_execz .LBB125_577
; %bb.571:
	scratch_load_dwordx4 v[0:3], off, s20
	s_waitcnt vmcnt(0)
	ds_write2_b64 v252, v[0:1], v[2:3] offset1:1
	scratch_load_dwordx4 v[0:3], off, s19
	s_waitcnt vmcnt(0)
	ds_write2_b64 v248, v[0:1], v[2:3] offset0:104 offset1:105
	scratch_load_dwordx4 v[0:3], off, s18
	s_waitcnt vmcnt(0)
	ds_write2_b64 v248, v[0:1], v[2:3] offset0:106 offset1:107
	scratch_load_dwordx4 v[0:3], off, s17
	s_waitcnt vmcnt(0)
	ds_write2_b64 v248, v[0:1], v[2:3] offset0:108 offset1:109
	scratch_load_dwordx4 v[0:3], off, s16
	s_waitcnt vmcnt(0)
	ds_write2_b64 v248, v[0:1], v[2:3] offset0:110 offset1:111
	scratch_load_dwordx4 v[0:3], off, s15
	s_waitcnt vmcnt(0)
	ds_write2_b64 v248, v[0:1], v[2:3] offset0:112 offset1:113
	scratch_load_dwordx4 v[0:3], off, s14
	s_waitcnt vmcnt(0)
	ds_write2_b64 v248, v[0:1], v[2:3] offset0:114 offset1:115
	scratch_load_dwordx4 v[0:3], off, s13
	s_waitcnt vmcnt(0)
	ds_write2_b64 v248, v[0:1], v[2:3] offset0:116 offset1:117
	scratch_load_dwordx4 v[0:3], off, s12
	s_waitcnt vmcnt(0)
	ds_write2_b64 v248, v[0:1], v[2:3] offset0:118 offset1:119
	scratch_load_dwordx4 v[0:3], off, s11
	s_waitcnt vmcnt(0)
	ds_write2_b64 v248, v[0:1], v[2:3] offset0:120 offset1:121
	scratch_load_dwordx4 v[0:3], off, s10
	s_waitcnt vmcnt(0)
	ds_write2_b64 v248, v[0:1], v[2:3] offset0:122 offset1:123
	scratch_load_dwordx4 v[0:3], off, s8
	s_waitcnt vmcnt(0)
	ds_write2_b64 v248, v[0:1], v[2:3] offset0:124 offset1:125
	ds_read2_b64 v[204:207], v252 offset1:1
	s_waitcnt lgkmcnt(0)
	v_cmp_neq_f64_e32 vcc, 0, v[204:205]
	v_cmp_neq_f64_e64 s[2:3], 0, v[206:207]
	s_or_b64 s[2:3], vcc, s[2:3]
	s_and_b64 exec, exec, s[2:3]
	s_cbranch_execz .LBB125_577
; %bb.572:
	v_cmp_ngt_f64_e64 s[2:3], |v[204:205]|, |v[206:207]|
                                        ; implicit-def: $vgpr0_vgpr1
	s_and_saveexec_b64 s[46:47], s[2:3]
	s_xor_b64 s[2:3], exec, s[46:47]
                                        ; implicit-def: $vgpr2_vgpr3
	s_cbranch_execz .LBB125_574
; %bb.573:
	v_div_scale_f64 v[0:1], s[46:47], v[206:207], v[206:207], v[204:205]
	v_rcp_f64_e32 v[2:3], v[0:1]
	v_div_scale_f64 v[4:5], vcc, v[204:205], v[206:207], v[204:205]
	v_fma_f64 v[6:7], -v[0:1], v[2:3], 1.0
	v_fmac_f64_e32 v[2:3], v[2:3], v[6:7]
	v_fma_f64 v[6:7], -v[0:1], v[2:3], 1.0
	v_fmac_f64_e32 v[2:3], v[2:3], v[6:7]
	v_mul_f64 v[6:7], v[4:5], v[2:3]
	v_fma_f64 v[0:1], -v[0:1], v[6:7], v[4:5]
	v_div_fmas_f64 v[0:1], v[0:1], v[2:3], v[6:7]
	v_div_fixup_f64 v[0:1], v[0:1], v[206:207], v[204:205]
	v_fmac_f64_e32 v[206:207], v[204:205], v[0:1]
	v_div_scale_f64 v[2:3], s[46:47], v[206:207], v[206:207], 1.0
	v_rcp_f64_e32 v[4:5], v[2:3]
	s_nop 0
	v_fma_f64 v[6:7], -v[2:3], v[4:5], 1.0
	v_fmac_f64_e32 v[4:5], v[4:5], v[6:7]
	v_fma_f64 v[6:7], -v[2:3], v[4:5], 1.0
	v_fmac_f64_e32 v[4:5], v[4:5], v[6:7]
	v_div_scale_f64 v[6:7], vcc, 1.0, v[206:207], 1.0
	v_mul_f64 v[204:205], v[6:7], v[4:5]
	v_fma_f64 v[2:3], -v[2:3], v[204:205], v[6:7]
	s_nop 1
	v_div_fmas_f64 v[2:3], v[2:3], v[4:5], v[204:205]
	v_div_fixup_f64 v[2:3], v[2:3], v[206:207], 1.0
	v_mul_f64 v[0:1], v[0:1], v[2:3]
	v_xor_b32_e32 v3, 0x80000000, v3
                                        ; implicit-def: $vgpr204_vgpr205
.LBB125_574:
	s_andn2_saveexec_b64 s[2:3], s[2:3]
	s_cbranch_execz .LBB125_576
; %bb.575:
	v_div_scale_f64 v[0:1], s[46:47], v[204:205], v[204:205], v[206:207]
	v_rcp_f64_e32 v[2:3], v[0:1]
	v_div_scale_f64 v[4:5], vcc, v[206:207], v[204:205], v[206:207]
	v_fma_f64 v[6:7], -v[0:1], v[2:3], 1.0
	v_fmac_f64_e32 v[2:3], v[2:3], v[6:7]
	v_fma_f64 v[6:7], -v[0:1], v[2:3], 1.0
	v_fmac_f64_e32 v[2:3], v[2:3], v[6:7]
	v_mul_f64 v[6:7], v[4:5], v[2:3]
	v_fma_f64 v[0:1], -v[0:1], v[6:7], v[4:5]
	v_div_fmas_f64 v[0:1], v[0:1], v[2:3], v[6:7]
	v_div_fixup_f64 v[2:3], v[0:1], v[204:205], v[206:207]
	v_fmac_f64_e32 v[204:205], v[206:207], v[2:3]
	v_div_scale_f64 v[0:1], s[46:47], v[204:205], v[204:205], 1.0
	v_rcp_f64_e32 v[4:5], v[0:1]
	s_nop 0
	v_fma_f64 v[6:7], -v[0:1], v[4:5], 1.0
	v_fmac_f64_e32 v[4:5], v[4:5], v[6:7]
	v_fma_f64 v[6:7], -v[0:1], v[4:5], 1.0
	v_fmac_f64_e32 v[4:5], v[4:5], v[6:7]
	v_div_scale_f64 v[6:7], vcc, 1.0, v[204:205], 1.0
	v_mul_f64 v[206:207], v[6:7], v[4:5]
	v_fma_f64 v[0:1], -v[0:1], v[206:207], v[6:7]
	s_nop 1
	v_div_fmas_f64 v[0:1], v[0:1], v[4:5], v[206:207]
	v_div_fixup_f64 v[0:1], v[0:1], v[204:205], 1.0
	v_mul_f64 v[2:3], v[2:3], -v[0:1]
.LBB125_576:
	s_or_b64 exec, exec, s[2:3]
	ds_write2_b64 v252, v[0:1], v[2:3] offset1:1
.LBB125_577:
	s_or_b64 exec, exec, s[4:5]
	s_waitcnt lgkmcnt(0)
	s_barrier
	ds_read2_b64 v[204:207], v252 offset1:1
	v_cmp_lt_u32_e32 vcc, 51, v254
	s_and_saveexec_b64 s[2:3], vcc
	s_cbranch_execz .LBB125_579
; %bb.578:
	scratch_load_dwordx4 v[0:3], off, off offset:816
	s_waitcnt vmcnt(0) lgkmcnt(0)
	v_mul_f64 v[4:5], v[206:207], v[2:3]
	v_mul_f64 v[210:211], v[204:205], v[2:3]
	v_fma_f64 v[208:209], v[204:205], v[0:1], -v[4:5]
	v_fmac_f64_e32 v[210:211], v[206:207], v[0:1]
	ds_read2_b64 v[0:3], v248 offset0:104 offset1:105
	scratch_store_dwordx4 off, v[208:211], off offset:816
	scratch_load_dwordx4 v[212:215], off, off offset:816
	s_waitcnt lgkmcnt(0)
	v_mul_f64 v[4:5], v[2:3], v[210:211]
	v_mul_f64 v[6:7], v[0:1], v[210:211]
	v_fma_f64 v[4:5], v[0:1], v[208:209], -v[4:5]
	v_fmac_f64_e32 v[6:7], v[2:3], v[208:209]
	scratch_load_dwordx4 v[0:3], off, off offset:832
	s_waitcnt vmcnt(0)
	v_add_f64 v[0:1], v[0:1], -v[4:5]
	v_add_f64 v[2:3], v[2:3], -v[6:7]
	scratch_store_dwordx4 off, v[0:3], off offset:832
	ds_read2_b64 v[0:3], v248 offset0:106 offset1:107
	s_waitcnt lgkmcnt(0)
	v_mul_f64 v[4:5], v[2:3], v[210:211]
	v_mul_f64 v[6:7], v[0:1], v[210:211]
	v_fma_f64 v[4:5], v[0:1], v[208:209], -v[4:5]
	v_fmac_f64_e32 v[6:7], v[2:3], v[208:209]
	scratch_load_dwordx4 v[0:3], off, off offset:848
	s_waitcnt vmcnt(0)
	v_add_f64 v[0:1], v[0:1], -v[4:5]
	v_add_f64 v[2:3], v[2:3], -v[6:7]
	scratch_store_dwordx4 off, v[0:3], off offset:848
	ds_read2_b64 v[0:3], v248 offset0:108 offset1:109
	;; [unrolled: 11-line block ×10, first 2 shown]
	s_waitcnt lgkmcnt(0)
	v_mul_f64 v[4:5], v[2:3], v[214:215]
	v_mul_f64 v[210:211], v[0:1], v[214:215]
	v_fma_f64 v[208:209], v[0:1], v[212:213], -v[4:5]
	v_fmac_f64_e32 v[210:211], v[2:3], v[212:213]
	scratch_load_dwordx4 v[0:3], off, off offset:992
	s_waitcnt vmcnt(0)
	v_add_f64 v[0:1], v[0:1], -v[208:209]
	v_add_f64 v[2:3], v[2:3], -v[210:211]
	scratch_store_dwordx4 off, v[0:3], off offset:992
.LBB125_579:
	s_or_b64 exec, exec, s[2:3]
	v_cmp_eq_u32_e32 vcc, 52, v254
	s_waitcnt lgkmcnt(0)
	s_barrier
	s_and_saveexec_b64 s[4:5], vcc
	s_cbranch_execz .LBB125_586
; %bb.580:
	scratch_load_dwordx4 v[0:3], off, s19
	s_waitcnt vmcnt(0)
	ds_write2_b64 v252, v[0:1], v[2:3] offset1:1
	scratch_load_dwordx4 v[0:3], off, s18
	s_waitcnt vmcnt(0)
	ds_write2_b64 v248, v[0:1], v[2:3] offset0:106 offset1:107
	scratch_load_dwordx4 v[0:3], off, s17
	s_waitcnt vmcnt(0)
	ds_write2_b64 v248, v[0:1], v[2:3] offset0:108 offset1:109
	scratch_load_dwordx4 v[0:3], off, s16
	s_waitcnt vmcnt(0)
	ds_write2_b64 v248, v[0:1], v[2:3] offset0:110 offset1:111
	scratch_load_dwordx4 v[0:3], off, s15
	s_waitcnt vmcnt(0)
	ds_write2_b64 v248, v[0:1], v[2:3] offset0:112 offset1:113
	scratch_load_dwordx4 v[0:3], off, s14
	s_waitcnt vmcnt(0)
	ds_write2_b64 v248, v[0:1], v[2:3] offset0:114 offset1:115
	scratch_load_dwordx4 v[0:3], off, s13
	s_waitcnt vmcnt(0)
	ds_write2_b64 v248, v[0:1], v[2:3] offset0:116 offset1:117
	scratch_load_dwordx4 v[0:3], off, s12
	s_waitcnt vmcnt(0)
	ds_write2_b64 v248, v[0:1], v[2:3] offset0:118 offset1:119
	scratch_load_dwordx4 v[0:3], off, s11
	s_waitcnt vmcnt(0)
	ds_write2_b64 v248, v[0:1], v[2:3] offset0:120 offset1:121
	scratch_load_dwordx4 v[0:3], off, s10
	s_waitcnt vmcnt(0)
	ds_write2_b64 v248, v[0:1], v[2:3] offset0:122 offset1:123
	scratch_load_dwordx4 v[0:3], off, s8
	s_waitcnt vmcnt(0)
	ds_write2_b64 v248, v[0:1], v[2:3] offset0:124 offset1:125
	ds_read2_b64 v[208:211], v252 offset1:1
	s_waitcnt lgkmcnt(0)
	v_cmp_neq_f64_e32 vcc, 0, v[208:209]
	v_cmp_neq_f64_e64 s[2:3], 0, v[210:211]
	s_or_b64 s[2:3], vcc, s[2:3]
	s_and_b64 exec, exec, s[2:3]
	s_cbranch_execz .LBB125_586
; %bb.581:
	v_cmp_ngt_f64_e64 s[2:3], |v[208:209]|, |v[210:211]|
                                        ; implicit-def: $vgpr0_vgpr1
	s_and_saveexec_b64 s[46:47], s[2:3]
	s_xor_b64 s[2:3], exec, s[46:47]
                                        ; implicit-def: $vgpr2_vgpr3
	s_cbranch_execz .LBB125_583
; %bb.582:
	v_div_scale_f64 v[0:1], s[46:47], v[210:211], v[210:211], v[208:209]
	v_rcp_f64_e32 v[2:3], v[0:1]
	v_div_scale_f64 v[4:5], vcc, v[208:209], v[210:211], v[208:209]
	v_fma_f64 v[6:7], -v[0:1], v[2:3], 1.0
	v_fmac_f64_e32 v[2:3], v[2:3], v[6:7]
	v_fma_f64 v[6:7], -v[0:1], v[2:3], 1.0
	v_fmac_f64_e32 v[2:3], v[2:3], v[6:7]
	v_mul_f64 v[6:7], v[4:5], v[2:3]
	v_fma_f64 v[0:1], -v[0:1], v[6:7], v[4:5]
	v_div_fmas_f64 v[0:1], v[0:1], v[2:3], v[6:7]
	v_div_fixup_f64 v[0:1], v[0:1], v[210:211], v[208:209]
	v_fmac_f64_e32 v[210:211], v[208:209], v[0:1]
	v_div_scale_f64 v[2:3], s[46:47], v[210:211], v[210:211], 1.0
	v_rcp_f64_e32 v[4:5], v[2:3]
	s_nop 0
	v_fma_f64 v[6:7], -v[2:3], v[4:5], 1.0
	v_fmac_f64_e32 v[4:5], v[4:5], v[6:7]
	v_fma_f64 v[6:7], -v[2:3], v[4:5], 1.0
	v_fmac_f64_e32 v[4:5], v[4:5], v[6:7]
	v_div_scale_f64 v[6:7], vcc, 1.0, v[210:211], 1.0
	v_mul_f64 v[208:209], v[6:7], v[4:5]
	v_fma_f64 v[2:3], -v[2:3], v[208:209], v[6:7]
	s_nop 1
	v_div_fmas_f64 v[2:3], v[2:3], v[4:5], v[208:209]
	v_div_fixup_f64 v[2:3], v[2:3], v[210:211], 1.0
	v_mul_f64 v[0:1], v[0:1], v[2:3]
	v_xor_b32_e32 v3, 0x80000000, v3
                                        ; implicit-def: $vgpr208_vgpr209
.LBB125_583:
	s_andn2_saveexec_b64 s[2:3], s[2:3]
	s_cbranch_execz .LBB125_585
; %bb.584:
	v_div_scale_f64 v[0:1], s[46:47], v[208:209], v[208:209], v[210:211]
	v_rcp_f64_e32 v[2:3], v[0:1]
	v_div_scale_f64 v[4:5], vcc, v[210:211], v[208:209], v[210:211]
	v_fma_f64 v[6:7], -v[0:1], v[2:3], 1.0
	v_fmac_f64_e32 v[2:3], v[2:3], v[6:7]
	v_fma_f64 v[6:7], -v[0:1], v[2:3], 1.0
	v_fmac_f64_e32 v[2:3], v[2:3], v[6:7]
	v_mul_f64 v[6:7], v[4:5], v[2:3]
	v_fma_f64 v[0:1], -v[0:1], v[6:7], v[4:5]
	v_div_fmas_f64 v[0:1], v[0:1], v[2:3], v[6:7]
	v_div_fixup_f64 v[2:3], v[0:1], v[208:209], v[210:211]
	v_fmac_f64_e32 v[208:209], v[210:211], v[2:3]
	v_div_scale_f64 v[0:1], s[46:47], v[208:209], v[208:209], 1.0
	v_rcp_f64_e32 v[4:5], v[0:1]
	s_nop 0
	v_fma_f64 v[6:7], -v[0:1], v[4:5], 1.0
	v_fmac_f64_e32 v[4:5], v[4:5], v[6:7]
	v_fma_f64 v[6:7], -v[0:1], v[4:5], 1.0
	v_fmac_f64_e32 v[4:5], v[4:5], v[6:7]
	v_div_scale_f64 v[6:7], vcc, 1.0, v[208:209], 1.0
	v_mul_f64 v[210:211], v[6:7], v[4:5]
	v_fma_f64 v[0:1], -v[0:1], v[210:211], v[6:7]
	s_nop 1
	v_div_fmas_f64 v[0:1], v[0:1], v[4:5], v[210:211]
	v_div_fixup_f64 v[0:1], v[0:1], v[208:209], 1.0
	v_mul_f64 v[2:3], v[2:3], -v[0:1]
.LBB125_585:
	s_or_b64 exec, exec, s[2:3]
	ds_write2_b64 v252, v[0:1], v[2:3] offset1:1
.LBB125_586:
	s_or_b64 exec, exec, s[4:5]
	s_waitcnt lgkmcnt(0)
	s_barrier
	ds_read2_b64 v[208:211], v252 offset1:1
	v_cmp_lt_u32_e32 vcc, 52, v254
	s_and_saveexec_b64 s[2:3], vcc
	s_cbranch_execz .LBB125_588
; %bb.587:
	scratch_load_dwordx4 v[0:3], off, off offset:832
	s_waitcnt vmcnt(0) lgkmcnt(0)
	v_mul_f64 v[4:5], v[210:211], v[2:3]
	v_mul_f64 v[214:215], v[208:209], v[2:3]
	v_fma_f64 v[212:213], v[208:209], v[0:1], -v[4:5]
	v_fmac_f64_e32 v[214:215], v[210:211], v[0:1]
	ds_read2_b64 v[0:3], v248 offset0:106 offset1:107
	scratch_store_dwordx4 off, v[212:215], off offset:832
	scratch_load_dwordx4 v[216:219], off, off offset:832
	s_waitcnt lgkmcnt(0)
	v_mul_f64 v[4:5], v[2:3], v[214:215]
	v_mul_f64 v[6:7], v[0:1], v[214:215]
	v_fma_f64 v[4:5], v[0:1], v[212:213], -v[4:5]
	v_fmac_f64_e32 v[6:7], v[2:3], v[212:213]
	scratch_load_dwordx4 v[0:3], off, off offset:848
	s_waitcnt vmcnt(0)
	v_add_f64 v[0:1], v[0:1], -v[4:5]
	v_add_f64 v[2:3], v[2:3], -v[6:7]
	scratch_store_dwordx4 off, v[0:3], off offset:848
	ds_read2_b64 v[0:3], v248 offset0:108 offset1:109
	s_waitcnt lgkmcnt(0)
	v_mul_f64 v[4:5], v[2:3], v[214:215]
	v_mul_f64 v[6:7], v[0:1], v[214:215]
	v_fma_f64 v[4:5], v[0:1], v[212:213], -v[4:5]
	v_fmac_f64_e32 v[6:7], v[2:3], v[212:213]
	scratch_load_dwordx4 v[0:3], off, off offset:864
	s_waitcnt vmcnt(0)
	v_add_f64 v[0:1], v[0:1], -v[4:5]
	v_add_f64 v[2:3], v[2:3], -v[6:7]
	scratch_store_dwordx4 off, v[0:3], off offset:864
	ds_read2_b64 v[0:3], v248 offset0:110 offset1:111
	;; [unrolled: 11-line block ×9, first 2 shown]
	s_waitcnt lgkmcnt(0)
	v_mul_f64 v[4:5], v[2:3], v[218:219]
	v_mul_f64 v[214:215], v[0:1], v[218:219]
	v_fma_f64 v[212:213], v[0:1], v[216:217], -v[4:5]
	v_fmac_f64_e32 v[214:215], v[2:3], v[216:217]
	scratch_load_dwordx4 v[0:3], off, off offset:992
	s_waitcnt vmcnt(0)
	v_add_f64 v[0:1], v[0:1], -v[212:213]
	v_add_f64 v[2:3], v[2:3], -v[214:215]
	scratch_store_dwordx4 off, v[0:3], off offset:992
.LBB125_588:
	s_or_b64 exec, exec, s[2:3]
	v_cmp_eq_u32_e32 vcc, 53, v254
	s_waitcnt lgkmcnt(0)
	s_barrier
	s_and_saveexec_b64 s[4:5], vcc
	s_cbranch_execz .LBB125_595
; %bb.589:
	scratch_load_dwordx4 v[0:3], off, s18
	s_waitcnt vmcnt(0)
	ds_write2_b64 v252, v[0:1], v[2:3] offset1:1
	scratch_load_dwordx4 v[0:3], off, s17
	s_waitcnt vmcnt(0)
	ds_write2_b64 v248, v[0:1], v[2:3] offset0:108 offset1:109
	scratch_load_dwordx4 v[0:3], off, s16
	s_waitcnt vmcnt(0)
	ds_write2_b64 v248, v[0:1], v[2:3] offset0:110 offset1:111
	;; [unrolled: 3-line block ×9, first 2 shown]
	ds_read2_b64 v[212:215], v252 offset1:1
	s_waitcnt lgkmcnt(0)
	v_cmp_neq_f64_e32 vcc, 0, v[212:213]
	v_cmp_neq_f64_e64 s[2:3], 0, v[214:215]
	s_or_b64 s[2:3], vcc, s[2:3]
	s_and_b64 exec, exec, s[2:3]
	s_cbranch_execz .LBB125_595
; %bb.590:
	v_cmp_ngt_f64_e64 s[2:3], |v[212:213]|, |v[214:215]|
                                        ; implicit-def: $vgpr0_vgpr1
	s_and_saveexec_b64 s[46:47], s[2:3]
	s_xor_b64 s[2:3], exec, s[46:47]
                                        ; implicit-def: $vgpr2_vgpr3
	s_cbranch_execz .LBB125_592
; %bb.591:
	v_div_scale_f64 v[0:1], s[46:47], v[214:215], v[214:215], v[212:213]
	v_rcp_f64_e32 v[2:3], v[0:1]
	v_div_scale_f64 v[4:5], vcc, v[212:213], v[214:215], v[212:213]
	v_fma_f64 v[6:7], -v[0:1], v[2:3], 1.0
	v_fmac_f64_e32 v[2:3], v[2:3], v[6:7]
	v_fma_f64 v[6:7], -v[0:1], v[2:3], 1.0
	v_fmac_f64_e32 v[2:3], v[2:3], v[6:7]
	v_mul_f64 v[6:7], v[4:5], v[2:3]
	v_fma_f64 v[0:1], -v[0:1], v[6:7], v[4:5]
	v_div_fmas_f64 v[0:1], v[0:1], v[2:3], v[6:7]
	v_div_fixup_f64 v[0:1], v[0:1], v[214:215], v[212:213]
	v_fmac_f64_e32 v[214:215], v[212:213], v[0:1]
	v_div_scale_f64 v[2:3], s[46:47], v[214:215], v[214:215], 1.0
	v_rcp_f64_e32 v[4:5], v[2:3]
	s_nop 0
	v_fma_f64 v[6:7], -v[2:3], v[4:5], 1.0
	v_fmac_f64_e32 v[4:5], v[4:5], v[6:7]
	v_fma_f64 v[6:7], -v[2:3], v[4:5], 1.0
	v_fmac_f64_e32 v[4:5], v[4:5], v[6:7]
	v_div_scale_f64 v[6:7], vcc, 1.0, v[214:215], 1.0
	v_mul_f64 v[212:213], v[6:7], v[4:5]
	v_fma_f64 v[2:3], -v[2:3], v[212:213], v[6:7]
	s_nop 1
	v_div_fmas_f64 v[2:3], v[2:3], v[4:5], v[212:213]
	v_div_fixup_f64 v[2:3], v[2:3], v[214:215], 1.0
	v_mul_f64 v[0:1], v[0:1], v[2:3]
	v_xor_b32_e32 v3, 0x80000000, v3
                                        ; implicit-def: $vgpr212_vgpr213
.LBB125_592:
	s_andn2_saveexec_b64 s[2:3], s[2:3]
	s_cbranch_execz .LBB125_594
; %bb.593:
	v_div_scale_f64 v[0:1], s[46:47], v[212:213], v[212:213], v[214:215]
	v_rcp_f64_e32 v[2:3], v[0:1]
	v_div_scale_f64 v[4:5], vcc, v[214:215], v[212:213], v[214:215]
	v_fma_f64 v[6:7], -v[0:1], v[2:3], 1.0
	v_fmac_f64_e32 v[2:3], v[2:3], v[6:7]
	v_fma_f64 v[6:7], -v[0:1], v[2:3], 1.0
	v_fmac_f64_e32 v[2:3], v[2:3], v[6:7]
	v_mul_f64 v[6:7], v[4:5], v[2:3]
	v_fma_f64 v[0:1], -v[0:1], v[6:7], v[4:5]
	v_div_fmas_f64 v[0:1], v[0:1], v[2:3], v[6:7]
	v_div_fixup_f64 v[2:3], v[0:1], v[212:213], v[214:215]
	v_fmac_f64_e32 v[212:213], v[214:215], v[2:3]
	v_div_scale_f64 v[0:1], s[46:47], v[212:213], v[212:213], 1.0
	v_rcp_f64_e32 v[4:5], v[0:1]
	s_nop 0
	v_fma_f64 v[6:7], -v[0:1], v[4:5], 1.0
	v_fmac_f64_e32 v[4:5], v[4:5], v[6:7]
	v_fma_f64 v[6:7], -v[0:1], v[4:5], 1.0
	v_fmac_f64_e32 v[4:5], v[4:5], v[6:7]
	v_div_scale_f64 v[6:7], vcc, 1.0, v[212:213], 1.0
	v_mul_f64 v[214:215], v[6:7], v[4:5]
	v_fma_f64 v[0:1], -v[0:1], v[214:215], v[6:7]
	s_nop 1
	v_div_fmas_f64 v[0:1], v[0:1], v[4:5], v[214:215]
	v_div_fixup_f64 v[0:1], v[0:1], v[212:213], 1.0
	v_mul_f64 v[2:3], v[2:3], -v[0:1]
.LBB125_594:
	s_or_b64 exec, exec, s[2:3]
	ds_write2_b64 v252, v[0:1], v[2:3] offset1:1
.LBB125_595:
	s_or_b64 exec, exec, s[4:5]
	s_waitcnt lgkmcnt(0)
	s_barrier
	ds_read2_b64 v[212:215], v252 offset1:1
	v_cmp_lt_u32_e32 vcc, 53, v254
	s_and_saveexec_b64 s[2:3], vcc
	s_cbranch_execz .LBB125_597
; %bb.596:
	scratch_load_dwordx4 v[0:3], off, off offset:848
	s_waitcnt vmcnt(0) lgkmcnt(0)
	v_mul_f64 v[4:5], v[214:215], v[2:3]
	v_mul_f64 v[218:219], v[212:213], v[2:3]
	v_fma_f64 v[216:217], v[212:213], v[0:1], -v[4:5]
	v_fmac_f64_e32 v[218:219], v[214:215], v[0:1]
	ds_read2_b64 v[0:3], v248 offset0:108 offset1:109
	scratch_store_dwordx4 off, v[216:219], off offset:848
	s_waitcnt lgkmcnt(0)
	v_mul_f64 v[4:5], v[2:3], v[218:219]
	v_mul_f64 v[6:7], v[0:1], v[218:219]
	v_fma_f64 v[4:5], v[0:1], v[216:217], -v[4:5]
	v_fmac_f64_e32 v[6:7], v[2:3], v[216:217]
	scratch_load_dwordx4 v[0:3], off, off offset:864
	s_waitcnt vmcnt(0)
	v_add_f64 v[0:1], v[0:1], -v[4:5]
	v_add_f64 v[2:3], v[2:3], -v[6:7]
	scratch_store_dwordx4 off, v[0:3], off offset:864
	ds_read2_b64 v[0:3], v248 offset0:110 offset1:111
	s_waitcnt lgkmcnt(0)
	v_mul_f64 v[4:5], v[2:3], v[218:219]
	v_mul_f64 v[6:7], v[0:1], v[218:219]
	v_fma_f64 v[4:5], v[0:1], v[216:217], -v[4:5]
	v_fmac_f64_e32 v[6:7], v[2:3], v[216:217]
	scratch_load_dwordx4 v[0:3], off, off offset:880
	s_waitcnt vmcnt(0)
	v_add_f64 v[0:1], v[0:1], -v[4:5]
	v_add_f64 v[2:3], v[2:3], -v[6:7]
	scratch_store_dwordx4 off, v[0:3], off offset:880
	ds_read2_b64 v[0:3], v248 offset0:112 offset1:113
	;; [unrolled: 11-line block ×5, first 2 shown]
	s_waitcnt lgkmcnt(0)
	v_mul_f64 v[4:5], v[2:3], v[218:219]
	v_mul_f64 v[6:7], v[0:1], v[218:219]
	v_fma_f64 v[4:5], v[0:1], v[216:217], -v[4:5]
	v_fmac_f64_e32 v[6:7], v[2:3], v[216:217]
	scratch_load_dwordx4 v[0:3], off, off offset:944
	scratch_load_dwordx4 v[216:219], off, off offset:848
	s_waitcnt vmcnt(1)
	v_add_f64 v[0:1], v[0:1], -v[4:5]
	v_add_f64 v[2:3], v[2:3], -v[6:7]
	scratch_store_dwordx4 off, v[0:3], off offset:944
	ds_read2_b64 v[0:3], v248 offset0:120 offset1:121
	s_waitcnt vmcnt(1) lgkmcnt(0)
	v_mul_f64 v[4:5], v[2:3], v[218:219]
	v_mul_f64 v[6:7], v[0:1], v[218:219]
	v_fma_f64 v[4:5], v[0:1], v[216:217], -v[4:5]
	v_fmac_f64_e32 v[6:7], v[2:3], v[216:217]
	scratch_load_dwordx4 v[0:3], off, off offset:960
	s_waitcnt vmcnt(0)
	v_add_f64 v[0:1], v[0:1], -v[4:5]
	v_add_f64 v[2:3], v[2:3], -v[6:7]
	scratch_store_dwordx4 off, v[0:3], off offset:960
	ds_read2_b64 v[0:3], v248 offset0:122 offset1:123
	s_waitcnt lgkmcnt(0)
	v_mul_f64 v[4:5], v[2:3], v[218:219]
	v_mul_f64 v[6:7], v[0:1], v[218:219]
	v_fma_f64 v[4:5], v[0:1], v[216:217], -v[4:5]
	v_fmac_f64_e32 v[6:7], v[2:3], v[216:217]
	scratch_load_dwordx4 v[0:3], off, off offset:976
	s_waitcnt vmcnt(0)
	v_add_f64 v[0:1], v[0:1], -v[4:5]
	v_add_f64 v[2:3], v[2:3], -v[6:7]
	scratch_store_dwordx4 off, v[0:3], off offset:976
	ds_read2_b64 v[0:3], v248 offset0:124 offset1:125
	s_waitcnt lgkmcnt(0)
	v_mul_f64 v[4:5], v[2:3], v[218:219]
	v_mul_f64 v[6:7], v[0:1], v[218:219]
	v_fma_f64 v[4:5], v[0:1], v[216:217], -v[4:5]
	v_fmac_f64_e32 v[6:7], v[2:3], v[216:217]
	scratch_load_dwordx4 v[0:3], off, off offset:992
	s_waitcnt vmcnt(0)
	v_add_f64 v[0:1], v[0:1], -v[4:5]
	v_add_f64 v[2:3], v[2:3], -v[6:7]
	scratch_store_dwordx4 off, v[0:3], off offset:992
.LBB125_597:
	s_or_b64 exec, exec, s[2:3]
	v_cmp_eq_u32_e32 vcc, 54, v254
	s_waitcnt lgkmcnt(0)
	s_barrier
	s_and_saveexec_b64 s[4:5], vcc
	s_cbranch_execz .LBB125_604
; %bb.598:
	scratch_load_dwordx4 v[0:3], off, s17
	s_waitcnt vmcnt(0)
	ds_write2_b64 v252, v[0:1], v[2:3] offset1:1
	scratch_load_dwordx4 v[0:3], off, s16
	s_waitcnt vmcnt(0)
	ds_write2_b64 v248, v[0:1], v[2:3] offset0:110 offset1:111
	scratch_load_dwordx4 v[0:3], off, s15
	s_waitcnt vmcnt(0)
	ds_write2_b64 v248, v[0:1], v[2:3] offset0:112 offset1:113
	scratch_load_dwordx4 v[0:3], off, s14
	s_waitcnt vmcnt(0)
	ds_write2_b64 v248, v[0:1], v[2:3] offset0:114 offset1:115
	scratch_load_dwordx4 v[0:3], off, s13
	s_waitcnt vmcnt(0)
	ds_write2_b64 v248, v[0:1], v[2:3] offset0:116 offset1:117
	scratch_load_dwordx4 v[0:3], off, s12
	s_waitcnt vmcnt(0)
	ds_write2_b64 v248, v[0:1], v[2:3] offset0:118 offset1:119
	scratch_load_dwordx4 v[0:3], off, s11
	s_waitcnt vmcnt(0)
	ds_write2_b64 v248, v[0:1], v[2:3] offset0:120 offset1:121
	scratch_load_dwordx4 v[0:3], off, s10
	s_waitcnt vmcnt(0)
	ds_write2_b64 v248, v[0:1], v[2:3] offset0:122 offset1:123
	scratch_load_dwordx4 v[0:3], off, s8
	s_waitcnt vmcnt(0)
	ds_write2_b64 v248, v[0:1], v[2:3] offset0:124 offset1:125
	ds_read2_b64 v[216:219], v252 offset1:1
	s_waitcnt lgkmcnt(0)
	v_cmp_neq_f64_e32 vcc, 0, v[216:217]
	v_cmp_neq_f64_e64 s[2:3], 0, v[218:219]
	s_or_b64 s[2:3], vcc, s[2:3]
	s_and_b64 exec, exec, s[2:3]
	s_cbranch_execz .LBB125_604
; %bb.599:
	v_cmp_ngt_f64_e64 s[2:3], |v[216:217]|, |v[218:219]|
                                        ; implicit-def: $vgpr0_vgpr1
	s_and_saveexec_b64 s[46:47], s[2:3]
	s_xor_b64 s[2:3], exec, s[46:47]
                                        ; implicit-def: $vgpr2_vgpr3
	s_cbranch_execz .LBB125_601
; %bb.600:
	v_div_scale_f64 v[0:1], s[46:47], v[218:219], v[218:219], v[216:217]
	v_rcp_f64_e32 v[2:3], v[0:1]
	v_div_scale_f64 v[4:5], vcc, v[216:217], v[218:219], v[216:217]
	v_fma_f64 v[6:7], -v[0:1], v[2:3], 1.0
	v_fmac_f64_e32 v[2:3], v[2:3], v[6:7]
	v_fma_f64 v[6:7], -v[0:1], v[2:3], 1.0
	v_fmac_f64_e32 v[2:3], v[2:3], v[6:7]
	v_mul_f64 v[6:7], v[4:5], v[2:3]
	v_fma_f64 v[0:1], -v[0:1], v[6:7], v[4:5]
	v_div_fmas_f64 v[0:1], v[0:1], v[2:3], v[6:7]
	v_div_fixup_f64 v[0:1], v[0:1], v[218:219], v[216:217]
	v_fmac_f64_e32 v[218:219], v[216:217], v[0:1]
	v_div_scale_f64 v[2:3], s[46:47], v[218:219], v[218:219], 1.0
	v_rcp_f64_e32 v[4:5], v[2:3]
	s_nop 0
	v_fma_f64 v[6:7], -v[2:3], v[4:5], 1.0
	v_fmac_f64_e32 v[4:5], v[4:5], v[6:7]
	v_fma_f64 v[6:7], -v[2:3], v[4:5], 1.0
	v_fmac_f64_e32 v[4:5], v[4:5], v[6:7]
	v_div_scale_f64 v[6:7], vcc, 1.0, v[218:219], 1.0
	v_mul_f64 v[216:217], v[6:7], v[4:5]
	v_fma_f64 v[2:3], -v[2:3], v[216:217], v[6:7]
	s_nop 1
	v_div_fmas_f64 v[2:3], v[2:3], v[4:5], v[216:217]
	v_div_fixup_f64 v[2:3], v[2:3], v[218:219], 1.0
	v_mul_f64 v[0:1], v[0:1], v[2:3]
	v_xor_b32_e32 v3, 0x80000000, v3
                                        ; implicit-def: $vgpr216_vgpr217
.LBB125_601:
	s_andn2_saveexec_b64 s[2:3], s[2:3]
	s_cbranch_execz .LBB125_603
; %bb.602:
	v_div_scale_f64 v[0:1], s[46:47], v[216:217], v[216:217], v[218:219]
	v_rcp_f64_e32 v[2:3], v[0:1]
	v_div_scale_f64 v[4:5], vcc, v[218:219], v[216:217], v[218:219]
	v_fma_f64 v[6:7], -v[0:1], v[2:3], 1.0
	v_fmac_f64_e32 v[2:3], v[2:3], v[6:7]
	v_fma_f64 v[6:7], -v[0:1], v[2:3], 1.0
	v_fmac_f64_e32 v[2:3], v[2:3], v[6:7]
	v_mul_f64 v[6:7], v[4:5], v[2:3]
	v_fma_f64 v[0:1], -v[0:1], v[6:7], v[4:5]
	v_div_fmas_f64 v[0:1], v[0:1], v[2:3], v[6:7]
	v_div_fixup_f64 v[2:3], v[0:1], v[216:217], v[218:219]
	v_fmac_f64_e32 v[216:217], v[218:219], v[2:3]
	v_div_scale_f64 v[0:1], s[46:47], v[216:217], v[216:217], 1.0
	v_rcp_f64_e32 v[4:5], v[0:1]
	s_nop 0
	v_fma_f64 v[6:7], -v[0:1], v[4:5], 1.0
	v_fmac_f64_e32 v[4:5], v[4:5], v[6:7]
	v_fma_f64 v[6:7], -v[0:1], v[4:5], 1.0
	v_fmac_f64_e32 v[4:5], v[4:5], v[6:7]
	v_div_scale_f64 v[6:7], vcc, 1.0, v[216:217], 1.0
	v_mul_f64 v[218:219], v[6:7], v[4:5]
	v_fma_f64 v[0:1], -v[0:1], v[218:219], v[6:7]
	s_nop 1
	v_div_fmas_f64 v[0:1], v[0:1], v[4:5], v[218:219]
	v_div_fixup_f64 v[0:1], v[0:1], v[216:217], 1.0
	v_mul_f64 v[2:3], v[2:3], -v[0:1]
.LBB125_603:
	s_or_b64 exec, exec, s[2:3]
	ds_write2_b64 v252, v[0:1], v[2:3] offset1:1
.LBB125_604:
	s_or_b64 exec, exec, s[4:5]
	s_waitcnt lgkmcnt(0)
	s_barrier
	ds_read2_b64 v[216:219], v252 offset1:1
	v_cmp_lt_u32_e32 vcc, 54, v254
	s_and_saveexec_b64 s[2:3], vcc
	s_cbranch_execz .LBB125_606
; %bb.605:
	scratch_load_dwordx4 v[0:3], off, off offset:864
	s_waitcnt vmcnt(0) lgkmcnt(0)
	v_mul_f64 v[4:5], v[218:219], v[2:3]
	v_mul_f64 v[222:223], v[216:217], v[2:3]
	v_fma_f64 v[220:221], v[216:217], v[0:1], -v[4:5]
	v_fmac_f64_e32 v[222:223], v[218:219], v[0:1]
	ds_read2_b64 v[0:3], v248 offset0:110 offset1:111
	scratch_store_dwordx4 off, v[220:223], off offset:864
	s_waitcnt lgkmcnt(0)
	v_mul_f64 v[4:5], v[2:3], v[222:223]
	v_mul_f64 v[6:7], v[0:1], v[222:223]
	v_fma_f64 v[4:5], v[0:1], v[220:221], -v[4:5]
	v_fmac_f64_e32 v[6:7], v[2:3], v[220:221]
	scratch_load_dwordx4 v[0:3], off, off offset:880
	s_waitcnt vmcnt(0)
	v_add_f64 v[0:1], v[0:1], -v[4:5]
	v_add_f64 v[2:3], v[2:3], -v[6:7]
	scratch_store_dwordx4 off, v[0:3], off offset:880
	ds_read2_b64 v[0:3], v248 offset0:112 offset1:113
	s_waitcnt lgkmcnt(0)
	v_mul_f64 v[4:5], v[2:3], v[222:223]
	v_mul_f64 v[6:7], v[0:1], v[222:223]
	v_fma_f64 v[4:5], v[0:1], v[220:221], -v[4:5]
	v_fmac_f64_e32 v[6:7], v[2:3], v[220:221]
	scratch_load_dwordx4 v[0:3], off, off offset:896
	s_waitcnt vmcnt(0)
	v_add_f64 v[0:1], v[0:1], -v[4:5]
	v_add_f64 v[2:3], v[2:3], -v[6:7]
	scratch_store_dwordx4 off, v[0:3], off offset:896
	ds_read2_b64 v[0:3], v248 offset0:114 offset1:115
	;; [unrolled: 11-line block ×5, first 2 shown]
	s_waitcnt lgkmcnt(0)
	v_mul_f64 v[4:5], v[2:3], v[222:223]
	v_mul_f64 v[6:7], v[0:1], v[222:223]
	v_fma_f64 v[4:5], v[0:1], v[220:221], -v[4:5]
	v_fmac_f64_e32 v[6:7], v[2:3], v[220:221]
	scratch_load_dwordx4 v[0:3], off, off offset:960
	scratch_load_dwordx4 v[220:223], off, off offset:864
	s_waitcnt vmcnt(1)
	v_add_f64 v[0:1], v[0:1], -v[4:5]
	v_add_f64 v[2:3], v[2:3], -v[6:7]
	scratch_store_dwordx4 off, v[0:3], off offset:960
	ds_read2_b64 v[0:3], v248 offset0:122 offset1:123
	s_waitcnt vmcnt(1) lgkmcnt(0)
	v_mul_f64 v[4:5], v[2:3], v[222:223]
	v_mul_f64 v[6:7], v[0:1], v[222:223]
	v_fma_f64 v[4:5], v[0:1], v[220:221], -v[4:5]
	v_fmac_f64_e32 v[6:7], v[2:3], v[220:221]
	scratch_load_dwordx4 v[0:3], off, off offset:976
	s_waitcnt vmcnt(0)
	v_add_f64 v[0:1], v[0:1], -v[4:5]
	v_add_f64 v[2:3], v[2:3], -v[6:7]
	scratch_store_dwordx4 off, v[0:3], off offset:976
	ds_read2_b64 v[0:3], v248 offset0:124 offset1:125
	s_waitcnt lgkmcnt(0)
	v_mul_f64 v[4:5], v[2:3], v[222:223]
	v_mul_f64 v[6:7], v[0:1], v[222:223]
	v_fma_f64 v[4:5], v[0:1], v[220:221], -v[4:5]
	v_fmac_f64_e32 v[6:7], v[2:3], v[220:221]
	scratch_load_dwordx4 v[0:3], off, off offset:992
	s_waitcnt vmcnt(0)
	v_add_f64 v[0:1], v[0:1], -v[4:5]
	v_add_f64 v[2:3], v[2:3], -v[6:7]
	scratch_store_dwordx4 off, v[0:3], off offset:992
.LBB125_606:
	s_or_b64 exec, exec, s[2:3]
	v_cmp_eq_u32_e32 vcc, 55, v254
	s_waitcnt lgkmcnt(0)
	s_barrier
	s_and_saveexec_b64 s[4:5], vcc
	s_cbranch_execz .LBB125_613
; %bb.607:
	scratch_load_dwordx4 v[0:3], off, s16
	s_waitcnt vmcnt(0)
	ds_write2_b64 v252, v[0:1], v[2:3] offset1:1
	scratch_load_dwordx4 v[0:3], off, s15
	s_waitcnt vmcnt(0)
	ds_write2_b64 v248, v[0:1], v[2:3] offset0:112 offset1:113
	scratch_load_dwordx4 v[0:3], off, s14
	s_waitcnt vmcnt(0)
	ds_write2_b64 v248, v[0:1], v[2:3] offset0:114 offset1:115
	;; [unrolled: 3-line block ×7, first 2 shown]
	ds_read2_b64 v[220:223], v252 offset1:1
	s_waitcnt lgkmcnt(0)
	v_cmp_neq_f64_e32 vcc, 0, v[220:221]
	v_cmp_neq_f64_e64 s[2:3], 0, v[222:223]
	s_or_b64 s[2:3], vcc, s[2:3]
	s_and_b64 exec, exec, s[2:3]
	s_cbranch_execz .LBB125_613
; %bb.608:
	v_cmp_ngt_f64_e64 s[2:3], |v[220:221]|, |v[222:223]|
                                        ; implicit-def: $vgpr0_vgpr1
	s_and_saveexec_b64 s[46:47], s[2:3]
	s_xor_b64 s[2:3], exec, s[46:47]
                                        ; implicit-def: $vgpr2_vgpr3
	s_cbranch_execz .LBB125_610
; %bb.609:
	v_div_scale_f64 v[0:1], s[46:47], v[222:223], v[222:223], v[220:221]
	v_rcp_f64_e32 v[2:3], v[0:1]
	v_div_scale_f64 v[4:5], vcc, v[220:221], v[222:223], v[220:221]
	v_fma_f64 v[6:7], -v[0:1], v[2:3], 1.0
	v_fmac_f64_e32 v[2:3], v[2:3], v[6:7]
	v_fma_f64 v[6:7], -v[0:1], v[2:3], 1.0
	v_fmac_f64_e32 v[2:3], v[2:3], v[6:7]
	v_mul_f64 v[6:7], v[4:5], v[2:3]
	v_fma_f64 v[0:1], -v[0:1], v[6:7], v[4:5]
	v_div_fmas_f64 v[0:1], v[0:1], v[2:3], v[6:7]
	v_div_fixup_f64 v[0:1], v[0:1], v[222:223], v[220:221]
	v_fmac_f64_e32 v[222:223], v[220:221], v[0:1]
	v_div_scale_f64 v[2:3], s[46:47], v[222:223], v[222:223], 1.0
	v_rcp_f64_e32 v[4:5], v[2:3]
	s_nop 0
	v_fma_f64 v[6:7], -v[2:3], v[4:5], 1.0
	v_fmac_f64_e32 v[4:5], v[4:5], v[6:7]
	v_fma_f64 v[6:7], -v[2:3], v[4:5], 1.0
	v_fmac_f64_e32 v[4:5], v[4:5], v[6:7]
	v_div_scale_f64 v[6:7], vcc, 1.0, v[222:223], 1.0
	v_mul_f64 v[220:221], v[6:7], v[4:5]
	v_fma_f64 v[2:3], -v[2:3], v[220:221], v[6:7]
	s_nop 1
	v_div_fmas_f64 v[2:3], v[2:3], v[4:5], v[220:221]
	v_div_fixup_f64 v[2:3], v[2:3], v[222:223], 1.0
	v_mul_f64 v[0:1], v[0:1], v[2:3]
	v_xor_b32_e32 v3, 0x80000000, v3
                                        ; implicit-def: $vgpr220_vgpr221
.LBB125_610:
	s_andn2_saveexec_b64 s[2:3], s[2:3]
	s_cbranch_execz .LBB125_612
; %bb.611:
	v_div_scale_f64 v[0:1], s[46:47], v[220:221], v[220:221], v[222:223]
	v_rcp_f64_e32 v[2:3], v[0:1]
	v_div_scale_f64 v[4:5], vcc, v[222:223], v[220:221], v[222:223]
	v_fma_f64 v[6:7], -v[0:1], v[2:3], 1.0
	v_fmac_f64_e32 v[2:3], v[2:3], v[6:7]
	v_fma_f64 v[6:7], -v[0:1], v[2:3], 1.0
	v_fmac_f64_e32 v[2:3], v[2:3], v[6:7]
	v_mul_f64 v[6:7], v[4:5], v[2:3]
	v_fma_f64 v[0:1], -v[0:1], v[6:7], v[4:5]
	v_div_fmas_f64 v[0:1], v[0:1], v[2:3], v[6:7]
	v_div_fixup_f64 v[2:3], v[0:1], v[220:221], v[222:223]
	v_fmac_f64_e32 v[220:221], v[222:223], v[2:3]
	v_div_scale_f64 v[0:1], s[46:47], v[220:221], v[220:221], 1.0
	v_rcp_f64_e32 v[4:5], v[0:1]
	s_nop 0
	v_fma_f64 v[6:7], -v[0:1], v[4:5], 1.0
	v_fmac_f64_e32 v[4:5], v[4:5], v[6:7]
	v_fma_f64 v[6:7], -v[0:1], v[4:5], 1.0
	v_fmac_f64_e32 v[4:5], v[4:5], v[6:7]
	v_div_scale_f64 v[6:7], vcc, 1.0, v[220:221], 1.0
	v_mul_f64 v[222:223], v[6:7], v[4:5]
	v_fma_f64 v[0:1], -v[0:1], v[222:223], v[6:7]
	s_nop 1
	v_div_fmas_f64 v[0:1], v[0:1], v[4:5], v[222:223]
	v_div_fixup_f64 v[0:1], v[0:1], v[220:221], 1.0
	v_mul_f64 v[2:3], v[2:3], -v[0:1]
.LBB125_612:
	s_or_b64 exec, exec, s[2:3]
	ds_write2_b64 v252, v[0:1], v[2:3] offset1:1
.LBB125_613:
	s_or_b64 exec, exec, s[4:5]
	s_waitcnt lgkmcnt(0)
	s_barrier
	ds_read2_b64 v[220:223], v252 offset1:1
	v_cmp_lt_u32_e32 vcc, 55, v254
	s_and_saveexec_b64 s[2:3], vcc
	s_cbranch_execz .LBB125_615
; %bb.614:
	scratch_load_dwordx4 v[0:3], off, off offset:880
	s_waitcnt vmcnt(0) lgkmcnt(0)
	v_mul_f64 v[4:5], v[222:223], v[2:3]
	v_mul_f64 v[226:227], v[220:221], v[2:3]
	v_fma_f64 v[224:225], v[220:221], v[0:1], -v[4:5]
	v_fmac_f64_e32 v[226:227], v[222:223], v[0:1]
	ds_read2_b64 v[0:3], v248 offset0:112 offset1:113
	scratch_store_dwordx4 off, v[224:227], off offset:880
	s_waitcnt lgkmcnt(0)
	v_mul_f64 v[4:5], v[2:3], v[226:227]
	v_mul_f64 v[6:7], v[0:1], v[226:227]
	v_fma_f64 v[4:5], v[0:1], v[224:225], -v[4:5]
	v_fmac_f64_e32 v[6:7], v[2:3], v[224:225]
	scratch_load_dwordx4 v[0:3], off, off offset:896
	s_waitcnt vmcnt(0)
	v_add_f64 v[0:1], v[0:1], -v[4:5]
	v_add_f64 v[2:3], v[2:3], -v[6:7]
	scratch_store_dwordx4 off, v[0:3], off offset:896
	ds_read2_b64 v[0:3], v248 offset0:114 offset1:115
	s_waitcnt lgkmcnt(0)
	v_mul_f64 v[4:5], v[2:3], v[226:227]
	v_mul_f64 v[6:7], v[0:1], v[226:227]
	v_fma_f64 v[4:5], v[0:1], v[224:225], -v[4:5]
	v_fmac_f64_e32 v[6:7], v[2:3], v[224:225]
	scratch_load_dwordx4 v[0:3], off, off offset:912
	s_waitcnt vmcnt(0)
	v_add_f64 v[0:1], v[0:1], -v[4:5]
	v_add_f64 v[2:3], v[2:3], -v[6:7]
	scratch_store_dwordx4 off, v[0:3], off offset:912
	ds_read2_b64 v[0:3], v248 offset0:116 offset1:117
	;; [unrolled: 11-line block ×5, first 2 shown]
	s_waitcnt lgkmcnt(0)
	v_mul_f64 v[4:5], v[2:3], v[226:227]
	v_mul_f64 v[6:7], v[0:1], v[226:227]
	v_fma_f64 v[4:5], v[0:1], v[224:225], -v[4:5]
	v_fmac_f64_e32 v[6:7], v[2:3], v[224:225]
	scratch_load_dwordx4 v[0:3], off, off offset:976
	scratch_load_dwordx4 v[224:227], off, off offset:880
	s_waitcnt vmcnt(1)
	v_add_f64 v[0:1], v[0:1], -v[4:5]
	v_add_f64 v[2:3], v[2:3], -v[6:7]
	scratch_store_dwordx4 off, v[0:3], off offset:976
	ds_read2_b64 v[0:3], v248 offset0:124 offset1:125
	s_waitcnt vmcnt(1) lgkmcnt(0)
	v_mul_f64 v[4:5], v[2:3], v[226:227]
	v_mul_f64 v[6:7], v[0:1], v[226:227]
	v_fma_f64 v[4:5], v[0:1], v[224:225], -v[4:5]
	v_fmac_f64_e32 v[6:7], v[2:3], v[224:225]
	scratch_load_dwordx4 v[0:3], off, off offset:992
	s_waitcnt vmcnt(0)
	v_add_f64 v[0:1], v[0:1], -v[4:5]
	v_add_f64 v[2:3], v[2:3], -v[6:7]
	scratch_store_dwordx4 off, v[0:3], off offset:992
.LBB125_615:
	s_or_b64 exec, exec, s[2:3]
	v_cmp_eq_u32_e32 vcc, 56, v254
	s_waitcnt lgkmcnt(0)
	s_barrier
	s_and_saveexec_b64 s[4:5], vcc
	s_cbranch_execz .LBB125_622
; %bb.616:
	scratch_load_dwordx4 v[0:3], off, s15
	s_waitcnt vmcnt(0)
	ds_write2_b64 v252, v[0:1], v[2:3] offset1:1
	scratch_load_dwordx4 v[0:3], off, s14
	s_waitcnt vmcnt(0)
	ds_write2_b64 v248, v[0:1], v[2:3] offset0:114 offset1:115
	scratch_load_dwordx4 v[0:3], off, s13
	s_waitcnt vmcnt(0)
	ds_write2_b64 v248, v[0:1], v[2:3] offset0:116 offset1:117
	;; [unrolled: 3-line block ×6, first 2 shown]
	ds_read2_b64 v[224:227], v252 offset1:1
	s_waitcnt lgkmcnt(0)
	v_cmp_neq_f64_e32 vcc, 0, v[224:225]
	v_cmp_neq_f64_e64 s[2:3], 0, v[226:227]
	s_or_b64 s[2:3], vcc, s[2:3]
	s_and_b64 exec, exec, s[2:3]
	s_cbranch_execz .LBB125_622
; %bb.617:
	v_cmp_ngt_f64_e64 s[2:3], |v[224:225]|, |v[226:227]|
                                        ; implicit-def: $vgpr0_vgpr1
	s_and_saveexec_b64 s[46:47], s[2:3]
	s_xor_b64 s[2:3], exec, s[46:47]
                                        ; implicit-def: $vgpr2_vgpr3
	s_cbranch_execz .LBB125_619
; %bb.618:
	v_div_scale_f64 v[0:1], s[46:47], v[226:227], v[226:227], v[224:225]
	v_rcp_f64_e32 v[2:3], v[0:1]
	v_div_scale_f64 v[4:5], vcc, v[224:225], v[226:227], v[224:225]
	v_fma_f64 v[6:7], -v[0:1], v[2:3], 1.0
	v_fmac_f64_e32 v[2:3], v[2:3], v[6:7]
	v_fma_f64 v[6:7], -v[0:1], v[2:3], 1.0
	v_fmac_f64_e32 v[2:3], v[2:3], v[6:7]
	v_mul_f64 v[6:7], v[4:5], v[2:3]
	v_fma_f64 v[0:1], -v[0:1], v[6:7], v[4:5]
	v_div_fmas_f64 v[0:1], v[0:1], v[2:3], v[6:7]
	v_div_fixup_f64 v[0:1], v[0:1], v[226:227], v[224:225]
	v_fmac_f64_e32 v[226:227], v[224:225], v[0:1]
	v_div_scale_f64 v[2:3], s[46:47], v[226:227], v[226:227], 1.0
	v_rcp_f64_e32 v[4:5], v[2:3]
	s_nop 0
	v_fma_f64 v[6:7], -v[2:3], v[4:5], 1.0
	v_fmac_f64_e32 v[4:5], v[4:5], v[6:7]
	v_fma_f64 v[6:7], -v[2:3], v[4:5], 1.0
	v_fmac_f64_e32 v[4:5], v[4:5], v[6:7]
	v_div_scale_f64 v[6:7], vcc, 1.0, v[226:227], 1.0
	v_mul_f64 v[224:225], v[6:7], v[4:5]
	v_fma_f64 v[2:3], -v[2:3], v[224:225], v[6:7]
	s_nop 1
	v_div_fmas_f64 v[2:3], v[2:3], v[4:5], v[224:225]
	v_div_fixup_f64 v[2:3], v[2:3], v[226:227], 1.0
	v_mul_f64 v[0:1], v[0:1], v[2:3]
	v_xor_b32_e32 v3, 0x80000000, v3
                                        ; implicit-def: $vgpr224_vgpr225
.LBB125_619:
	s_andn2_saveexec_b64 s[2:3], s[2:3]
	s_cbranch_execz .LBB125_621
; %bb.620:
	v_div_scale_f64 v[0:1], s[46:47], v[224:225], v[224:225], v[226:227]
	v_rcp_f64_e32 v[2:3], v[0:1]
	v_div_scale_f64 v[4:5], vcc, v[226:227], v[224:225], v[226:227]
	v_fma_f64 v[6:7], -v[0:1], v[2:3], 1.0
	v_fmac_f64_e32 v[2:3], v[2:3], v[6:7]
	v_fma_f64 v[6:7], -v[0:1], v[2:3], 1.0
	v_fmac_f64_e32 v[2:3], v[2:3], v[6:7]
	v_mul_f64 v[6:7], v[4:5], v[2:3]
	v_fma_f64 v[0:1], -v[0:1], v[6:7], v[4:5]
	v_div_fmas_f64 v[0:1], v[0:1], v[2:3], v[6:7]
	v_div_fixup_f64 v[2:3], v[0:1], v[224:225], v[226:227]
	v_fmac_f64_e32 v[224:225], v[226:227], v[2:3]
	v_div_scale_f64 v[0:1], s[46:47], v[224:225], v[224:225], 1.0
	v_rcp_f64_e32 v[4:5], v[0:1]
	s_nop 0
	v_fma_f64 v[6:7], -v[0:1], v[4:5], 1.0
	v_fmac_f64_e32 v[4:5], v[4:5], v[6:7]
	v_fma_f64 v[6:7], -v[0:1], v[4:5], 1.0
	v_fmac_f64_e32 v[4:5], v[4:5], v[6:7]
	v_div_scale_f64 v[6:7], vcc, 1.0, v[224:225], 1.0
	v_mul_f64 v[226:227], v[6:7], v[4:5]
	v_fma_f64 v[0:1], -v[0:1], v[226:227], v[6:7]
	s_nop 1
	v_div_fmas_f64 v[0:1], v[0:1], v[4:5], v[226:227]
	v_div_fixup_f64 v[0:1], v[0:1], v[224:225], 1.0
	v_mul_f64 v[2:3], v[2:3], -v[0:1]
.LBB125_621:
	s_or_b64 exec, exec, s[2:3]
	ds_write2_b64 v252, v[0:1], v[2:3] offset1:1
.LBB125_622:
	s_or_b64 exec, exec, s[4:5]
	s_waitcnt lgkmcnt(0)
	s_barrier
	ds_read2_b64 v[224:227], v252 offset1:1
	v_cmp_lt_u32_e32 vcc, 56, v254
	s_and_saveexec_b64 s[2:3], vcc
	s_cbranch_execz .LBB125_624
; %bb.623:
	scratch_load_dwordx4 v[0:3], off, off offset:896
	s_waitcnt vmcnt(0) lgkmcnt(0)
	v_mul_f64 v[4:5], v[226:227], v[2:3]
	v_mul_f64 v[230:231], v[224:225], v[2:3]
	v_fma_f64 v[228:229], v[224:225], v[0:1], -v[4:5]
	v_fmac_f64_e32 v[230:231], v[226:227], v[0:1]
	ds_read2_b64 v[0:3], v248 offset0:114 offset1:115
	scratch_store_dwordx4 off, v[228:231], off offset:896
	s_waitcnt lgkmcnt(0)
	v_mul_f64 v[4:5], v[2:3], v[230:231]
	v_mul_f64 v[6:7], v[0:1], v[230:231]
	v_fma_f64 v[4:5], v[0:1], v[228:229], -v[4:5]
	v_fmac_f64_e32 v[6:7], v[2:3], v[228:229]
	scratch_load_dwordx4 v[0:3], off, off offset:912
	s_waitcnt vmcnt(0)
	v_add_f64 v[0:1], v[0:1], -v[4:5]
	v_add_f64 v[2:3], v[2:3], -v[6:7]
	scratch_store_dwordx4 off, v[0:3], off offset:912
	ds_read2_b64 v[0:3], v248 offset0:116 offset1:117
	s_waitcnt lgkmcnt(0)
	v_mul_f64 v[4:5], v[2:3], v[230:231]
	v_mul_f64 v[6:7], v[0:1], v[230:231]
	v_fma_f64 v[4:5], v[0:1], v[228:229], -v[4:5]
	v_fmac_f64_e32 v[6:7], v[2:3], v[228:229]
	scratch_load_dwordx4 v[0:3], off, off offset:928
	s_waitcnt vmcnt(0)
	v_add_f64 v[0:1], v[0:1], -v[4:5]
	v_add_f64 v[2:3], v[2:3], -v[6:7]
	scratch_store_dwordx4 off, v[0:3], off offset:928
	ds_read2_b64 v[0:3], v248 offset0:118 offset1:119
	;; [unrolled: 11-line block ×5, first 2 shown]
	s_waitcnt lgkmcnt(0)
	v_mul_f64 v[4:5], v[2:3], v[230:231]
	v_mul_f64 v[6:7], v[0:1], v[230:231]
	v_fma_f64 v[4:5], v[0:1], v[228:229], -v[4:5]
	v_fmac_f64_e32 v[6:7], v[2:3], v[228:229]
	scratch_load_dwordx4 v[0:3], off, off offset:992
	s_waitcnt vmcnt(0)
	v_add_f64 v[0:1], v[0:1], -v[4:5]
	v_add_f64 v[2:3], v[2:3], -v[6:7]
	scratch_store_dwordx4 off, v[0:3], off offset:992
.LBB125_624:
	s_or_b64 exec, exec, s[2:3]
	v_cmp_eq_u32_e32 vcc, 57, v254
	s_waitcnt lgkmcnt(0)
	s_barrier
	s_and_saveexec_b64 s[4:5], vcc
	s_cbranch_execz .LBB125_631
; %bb.625:
	scratch_load_dwordx4 v[0:3], off, s14
	s_waitcnt vmcnt(0)
	ds_write2_b64 v252, v[0:1], v[2:3] offset1:1
	scratch_load_dwordx4 v[0:3], off, s13
	s_waitcnt vmcnt(0)
	ds_write2_b64 v248, v[0:1], v[2:3] offset0:116 offset1:117
	scratch_load_dwordx4 v[0:3], off, s12
	s_waitcnt vmcnt(0)
	ds_write2_b64 v248, v[0:1], v[2:3] offset0:118 offset1:119
	;; [unrolled: 3-line block ×5, first 2 shown]
	ds_read2_b64 v[228:231], v252 offset1:1
	s_waitcnt lgkmcnt(0)
	v_cmp_neq_f64_e32 vcc, 0, v[228:229]
	v_cmp_neq_f64_e64 s[2:3], 0, v[230:231]
	s_or_b64 s[2:3], vcc, s[2:3]
	s_and_b64 exec, exec, s[2:3]
	s_cbranch_execz .LBB125_631
; %bb.626:
	v_cmp_ngt_f64_e64 s[2:3], |v[228:229]|, |v[230:231]|
                                        ; implicit-def: $vgpr0_vgpr1
	s_and_saveexec_b64 s[46:47], s[2:3]
	s_xor_b64 s[2:3], exec, s[46:47]
                                        ; implicit-def: $vgpr2_vgpr3
	s_cbranch_execz .LBB125_628
; %bb.627:
	v_div_scale_f64 v[0:1], s[46:47], v[230:231], v[230:231], v[228:229]
	v_rcp_f64_e32 v[2:3], v[0:1]
	v_div_scale_f64 v[4:5], vcc, v[228:229], v[230:231], v[228:229]
	v_fma_f64 v[6:7], -v[0:1], v[2:3], 1.0
	v_fmac_f64_e32 v[2:3], v[2:3], v[6:7]
	v_fma_f64 v[6:7], -v[0:1], v[2:3], 1.0
	v_fmac_f64_e32 v[2:3], v[2:3], v[6:7]
	v_mul_f64 v[6:7], v[4:5], v[2:3]
	v_fma_f64 v[0:1], -v[0:1], v[6:7], v[4:5]
	v_div_fmas_f64 v[0:1], v[0:1], v[2:3], v[6:7]
	v_div_fixup_f64 v[0:1], v[0:1], v[230:231], v[228:229]
	v_fmac_f64_e32 v[230:231], v[228:229], v[0:1]
	v_div_scale_f64 v[2:3], s[46:47], v[230:231], v[230:231], 1.0
	v_rcp_f64_e32 v[4:5], v[2:3]
	s_nop 0
	v_fma_f64 v[6:7], -v[2:3], v[4:5], 1.0
	v_fmac_f64_e32 v[4:5], v[4:5], v[6:7]
	v_fma_f64 v[6:7], -v[2:3], v[4:5], 1.0
	v_fmac_f64_e32 v[4:5], v[4:5], v[6:7]
	v_div_scale_f64 v[6:7], vcc, 1.0, v[230:231], 1.0
	v_mul_f64 v[228:229], v[6:7], v[4:5]
	v_fma_f64 v[2:3], -v[2:3], v[228:229], v[6:7]
	s_nop 1
	v_div_fmas_f64 v[2:3], v[2:3], v[4:5], v[228:229]
	v_div_fixup_f64 v[2:3], v[2:3], v[230:231], 1.0
	v_mul_f64 v[0:1], v[0:1], v[2:3]
	v_xor_b32_e32 v3, 0x80000000, v3
                                        ; implicit-def: $vgpr228_vgpr229
.LBB125_628:
	s_andn2_saveexec_b64 s[2:3], s[2:3]
	s_cbranch_execz .LBB125_630
; %bb.629:
	v_div_scale_f64 v[0:1], s[46:47], v[228:229], v[228:229], v[230:231]
	v_rcp_f64_e32 v[2:3], v[0:1]
	v_div_scale_f64 v[4:5], vcc, v[230:231], v[228:229], v[230:231]
	v_fma_f64 v[6:7], -v[0:1], v[2:3], 1.0
	v_fmac_f64_e32 v[2:3], v[2:3], v[6:7]
	v_fma_f64 v[6:7], -v[0:1], v[2:3], 1.0
	v_fmac_f64_e32 v[2:3], v[2:3], v[6:7]
	v_mul_f64 v[6:7], v[4:5], v[2:3]
	v_fma_f64 v[0:1], -v[0:1], v[6:7], v[4:5]
	v_div_fmas_f64 v[0:1], v[0:1], v[2:3], v[6:7]
	v_div_fixup_f64 v[2:3], v[0:1], v[228:229], v[230:231]
	v_fmac_f64_e32 v[228:229], v[230:231], v[2:3]
	v_div_scale_f64 v[0:1], s[46:47], v[228:229], v[228:229], 1.0
	v_rcp_f64_e32 v[4:5], v[0:1]
	s_nop 0
	v_fma_f64 v[6:7], -v[0:1], v[4:5], 1.0
	v_fmac_f64_e32 v[4:5], v[4:5], v[6:7]
	v_fma_f64 v[6:7], -v[0:1], v[4:5], 1.0
	v_fmac_f64_e32 v[4:5], v[4:5], v[6:7]
	v_div_scale_f64 v[6:7], vcc, 1.0, v[228:229], 1.0
	v_mul_f64 v[230:231], v[6:7], v[4:5]
	v_fma_f64 v[0:1], -v[0:1], v[230:231], v[6:7]
	s_nop 1
	v_div_fmas_f64 v[0:1], v[0:1], v[4:5], v[230:231]
	v_div_fixup_f64 v[0:1], v[0:1], v[228:229], 1.0
	v_mul_f64 v[2:3], v[2:3], -v[0:1]
.LBB125_630:
	s_or_b64 exec, exec, s[2:3]
	ds_write2_b64 v252, v[0:1], v[2:3] offset1:1
.LBB125_631:
	s_or_b64 exec, exec, s[4:5]
	s_waitcnt lgkmcnt(0)
	s_barrier
	ds_read2_b64 v[228:231], v252 offset1:1
	v_cmp_lt_u32_e32 vcc, 57, v254
	s_and_saveexec_b64 s[2:3], vcc
	s_cbranch_execz .LBB125_633
; %bb.632:
	scratch_load_dwordx4 v[0:3], off, off offset:912
	s_waitcnt vmcnt(0) lgkmcnt(0)
	v_mul_f64 v[4:5], v[230:231], v[2:3]
	v_mul_f64 v[234:235], v[228:229], v[2:3]
	v_fma_f64 v[232:233], v[228:229], v[0:1], -v[4:5]
	v_fmac_f64_e32 v[234:235], v[230:231], v[0:1]
	ds_read2_b64 v[0:3], v248 offset0:116 offset1:117
	scratch_store_dwordx4 off, v[232:235], off offset:912
	s_waitcnt lgkmcnt(0)
	v_mul_f64 v[4:5], v[2:3], v[234:235]
	v_mul_f64 v[6:7], v[0:1], v[234:235]
	v_fma_f64 v[4:5], v[0:1], v[232:233], -v[4:5]
	v_fmac_f64_e32 v[6:7], v[2:3], v[232:233]
	scratch_load_dwordx4 v[0:3], off, off offset:928
	s_waitcnt vmcnt(0)
	v_add_f64 v[0:1], v[0:1], -v[4:5]
	v_add_f64 v[2:3], v[2:3], -v[6:7]
	scratch_store_dwordx4 off, v[0:3], off offset:928
	ds_read2_b64 v[0:3], v248 offset0:118 offset1:119
	s_waitcnt lgkmcnt(0)
	v_mul_f64 v[4:5], v[2:3], v[234:235]
	v_mul_f64 v[6:7], v[0:1], v[234:235]
	v_fma_f64 v[4:5], v[0:1], v[232:233], -v[4:5]
	v_fmac_f64_e32 v[6:7], v[2:3], v[232:233]
	scratch_load_dwordx4 v[0:3], off, off offset:944
	s_waitcnt vmcnt(0)
	v_add_f64 v[0:1], v[0:1], -v[4:5]
	v_add_f64 v[2:3], v[2:3], -v[6:7]
	scratch_store_dwordx4 off, v[0:3], off offset:944
	ds_read2_b64 v[0:3], v248 offset0:120 offset1:121
	s_waitcnt lgkmcnt(0)
	v_mul_f64 v[4:5], v[2:3], v[234:235]
	v_mul_f64 v[6:7], v[0:1], v[234:235]
	v_fma_f64 v[4:5], v[0:1], v[232:233], -v[4:5]
	v_fmac_f64_e32 v[6:7], v[2:3], v[232:233]
	scratch_load_dwordx4 v[0:3], off, off offset:960
	s_waitcnt vmcnt(0)
	v_add_f64 v[0:1], v[0:1], -v[4:5]
	v_add_f64 v[2:3], v[2:3], -v[6:7]
	scratch_store_dwordx4 off, v[0:3], off offset:960
	ds_read2_b64 v[0:3], v248 offset0:122 offset1:123
	s_waitcnt lgkmcnt(0)
	v_mul_f64 v[4:5], v[2:3], v[234:235]
	v_mul_f64 v[6:7], v[0:1], v[234:235]
	v_fma_f64 v[4:5], v[0:1], v[232:233], -v[4:5]
	v_fmac_f64_e32 v[6:7], v[2:3], v[232:233]
	scratch_load_dwordx4 v[0:3], off, off offset:976
	s_waitcnt vmcnt(0)
	v_add_f64 v[0:1], v[0:1], -v[4:5]
	v_add_f64 v[2:3], v[2:3], -v[6:7]
	scratch_store_dwordx4 off, v[0:3], off offset:976
	ds_read2_b64 v[0:3], v248 offset0:124 offset1:125
	s_waitcnt lgkmcnt(0)
	v_mul_f64 v[4:5], v[2:3], v[234:235]
	v_mul_f64 v[6:7], v[0:1], v[234:235]
	v_fma_f64 v[4:5], v[0:1], v[232:233], -v[4:5]
	v_fmac_f64_e32 v[6:7], v[2:3], v[232:233]
	scratch_load_dwordx4 v[0:3], off, off offset:992
	s_waitcnt vmcnt(0)
	v_add_f64 v[0:1], v[0:1], -v[4:5]
	v_add_f64 v[2:3], v[2:3], -v[6:7]
	scratch_store_dwordx4 off, v[0:3], off offset:992
.LBB125_633:
	s_or_b64 exec, exec, s[2:3]
	v_cmp_eq_u32_e32 vcc, 58, v254
	s_waitcnt lgkmcnt(0)
	s_barrier
	s_and_saveexec_b64 s[4:5], vcc
	s_cbranch_execz .LBB125_640
; %bb.634:
	scratch_load_dwordx4 v[0:3], off, s13
	s_waitcnt vmcnt(0)
	ds_write2_b64 v252, v[0:1], v[2:3] offset1:1
	scratch_load_dwordx4 v[0:3], off, s12
	s_waitcnt vmcnt(0)
	ds_write2_b64 v248, v[0:1], v[2:3] offset0:118 offset1:119
	scratch_load_dwordx4 v[0:3], off, s11
	s_waitcnt vmcnt(0)
	ds_write2_b64 v248, v[0:1], v[2:3] offset0:120 offset1:121
	;; [unrolled: 3-line block ×4, first 2 shown]
	ds_read2_b64 v[232:235], v252 offset1:1
	s_waitcnt lgkmcnt(0)
	v_cmp_neq_f64_e32 vcc, 0, v[232:233]
	v_cmp_neq_f64_e64 s[2:3], 0, v[234:235]
	s_or_b64 s[2:3], vcc, s[2:3]
	s_and_b64 exec, exec, s[2:3]
	s_cbranch_execz .LBB125_640
; %bb.635:
	v_cmp_ngt_f64_e64 s[2:3], |v[232:233]|, |v[234:235]|
                                        ; implicit-def: $vgpr0_vgpr1
	s_and_saveexec_b64 s[46:47], s[2:3]
	s_xor_b64 s[2:3], exec, s[46:47]
                                        ; implicit-def: $vgpr2_vgpr3
	s_cbranch_execz .LBB125_637
; %bb.636:
	v_div_scale_f64 v[0:1], s[46:47], v[234:235], v[234:235], v[232:233]
	v_rcp_f64_e32 v[2:3], v[0:1]
	v_div_scale_f64 v[4:5], vcc, v[232:233], v[234:235], v[232:233]
	v_fma_f64 v[6:7], -v[0:1], v[2:3], 1.0
	v_fmac_f64_e32 v[2:3], v[2:3], v[6:7]
	v_fma_f64 v[6:7], -v[0:1], v[2:3], 1.0
	v_fmac_f64_e32 v[2:3], v[2:3], v[6:7]
	v_mul_f64 v[6:7], v[4:5], v[2:3]
	v_fma_f64 v[0:1], -v[0:1], v[6:7], v[4:5]
	v_div_fmas_f64 v[0:1], v[0:1], v[2:3], v[6:7]
	v_div_fixup_f64 v[0:1], v[0:1], v[234:235], v[232:233]
	v_fmac_f64_e32 v[234:235], v[232:233], v[0:1]
	v_div_scale_f64 v[2:3], s[46:47], v[234:235], v[234:235], 1.0
	v_rcp_f64_e32 v[4:5], v[2:3]
	s_nop 0
	v_fma_f64 v[6:7], -v[2:3], v[4:5], 1.0
	v_fmac_f64_e32 v[4:5], v[4:5], v[6:7]
	v_fma_f64 v[6:7], -v[2:3], v[4:5], 1.0
	v_fmac_f64_e32 v[4:5], v[4:5], v[6:7]
	v_div_scale_f64 v[6:7], vcc, 1.0, v[234:235], 1.0
	v_mul_f64 v[232:233], v[6:7], v[4:5]
	v_fma_f64 v[2:3], -v[2:3], v[232:233], v[6:7]
	s_nop 1
	v_div_fmas_f64 v[2:3], v[2:3], v[4:5], v[232:233]
	v_div_fixup_f64 v[2:3], v[2:3], v[234:235], 1.0
	v_mul_f64 v[0:1], v[0:1], v[2:3]
	v_xor_b32_e32 v3, 0x80000000, v3
                                        ; implicit-def: $vgpr232_vgpr233
.LBB125_637:
	s_andn2_saveexec_b64 s[2:3], s[2:3]
	s_cbranch_execz .LBB125_639
; %bb.638:
	v_div_scale_f64 v[0:1], s[46:47], v[232:233], v[232:233], v[234:235]
	v_rcp_f64_e32 v[2:3], v[0:1]
	v_div_scale_f64 v[4:5], vcc, v[234:235], v[232:233], v[234:235]
	v_fma_f64 v[6:7], -v[0:1], v[2:3], 1.0
	v_fmac_f64_e32 v[2:3], v[2:3], v[6:7]
	v_fma_f64 v[6:7], -v[0:1], v[2:3], 1.0
	v_fmac_f64_e32 v[2:3], v[2:3], v[6:7]
	v_mul_f64 v[6:7], v[4:5], v[2:3]
	v_fma_f64 v[0:1], -v[0:1], v[6:7], v[4:5]
	v_div_fmas_f64 v[0:1], v[0:1], v[2:3], v[6:7]
	v_div_fixup_f64 v[2:3], v[0:1], v[232:233], v[234:235]
	v_fmac_f64_e32 v[232:233], v[234:235], v[2:3]
	v_div_scale_f64 v[0:1], s[46:47], v[232:233], v[232:233], 1.0
	v_rcp_f64_e32 v[4:5], v[0:1]
	s_nop 0
	v_fma_f64 v[6:7], -v[0:1], v[4:5], 1.0
	v_fmac_f64_e32 v[4:5], v[4:5], v[6:7]
	v_fma_f64 v[6:7], -v[0:1], v[4:5], 1.0
	v_fmac_f64_e32 v[4:5], v[4:5], v[6:7]
	v_div_scale_f64 v[6:7], vcc, 1.0, v[232:233], 1.0
	v_mul_f64 v[234:235], v[6:7], v[4:5]
	v_fma_f64 v[0:1], -v[0:1], v[234:235], v[6:7]
	s_nop 1
	v_div_fmas_f64 v[0:1], v[0:1], v[4:5], v[234:235]
	v_div_fixup_f64 v[0:1], v[0:1], v[232:233], 1.0
	v_mul_f64 v[2:3], v[2:3], -v[0:1]
.LBB125_639:
	s_or_b64 exec, exec, s[2:3]
	ds_write2_b64 v252, v[0:1], v[2:3] offset1:1
.LBB125_640:
	s_or_b64 exec, exec, s[4:5]
	s_waitcnt lgkmcnt(0)
	s_barrier
	ds_read2_b64 v[232:235], v252 offset1:1
	v_cmp_lt_u32_e32 vcc, 58, v254
	s_and_saveexec_b64 s[2:3], vcc
	s_cbranch_execz .LBB125_642
; %bb.641:
	scratch_load_dwordx4 v[0:3], off, off offset:928
	s_waitcnt vmcnt(0) lgkmcnt(0)
	v_mul_f64 v[4:5], v[234:235], v[2:3]
	v_mul_f64 v[238:239], v[232:233], v[2:3]
	v_fma_f64 v[236:237], v[232:233], v[0:1], -v[4:5]
	v_fmac_f64_e32 v[238:239], v[234:235], v[0:1]
	ds_read2_b64 v[0:3], v248 offset0:118 offset1:119
	scratch_store_dwordx4 off, v[236:239], off offset:928
	s_waitcnt lgkmcnt(0)
	v_mul_f64 v[4:5], v[2:3], v[238:239]
	v_mul_f64 v[6:7], v[0:1], v[238:239]
	v_fma_f64 v[4:5], v[0:1], v[236:237], -v[4:5]
	v_fmac_f64_e32 v[6:7], v[2:3], v[236:237]
	scratch_load_dwordx4 v[0:3], off, off offset:944
	s_waitcnt vmcnt(0)
	v_add_f64 v[0:1], v[0:1], -v[4:5]
	v_add_f64 v[2:3], v[2:3], -v[6:7]
	scratch_store_dwordx4 off, v[0:3], off offset:944
	ds_read2_b64 v[0:3], v248 offset0:120 offset1:121
	s_waitcnt lgkmcnt(0)
	v_mul_f64 v[4:5], v[2:3], v[238:239]
	v_mul_f64 v[6:7], v[0:1], v[238:239]
	v_fma_f64 v[4:5], v[0:1], v[236:237], -v[4:5]
	v_fmac_f64_e32 v[6:7], v[2:3], v[236:237]
	scratch_load_dwordx4 v[0:3], off, off offset:960
	s_waitcnt vmcnt(0)
	v_add_f64 v[0:1], v[0:1], -v[4:5]
	v_add_f64 v[2:3], v[2:3], -v[6:7]
	scratch_store_dwordx4 off, v[0:3], off offset:960
	ds_read2_b64 v[0:3], v248 offset0:122 offset1:123
	;; [unrolled: 11-line block ×3, first 2 shown]
	s_waitcnt lgkmcnt(0)
	v_mul_f64 v[4:5], v[2:3], v[238:239]
	v_mul_f64 v[6:7], v[0:1], v[238:239]
	v_fma_f64 v[4:5], v[0:1], v[236:237], -v[4:5]
	v_fmac_f64_e32 v[6:7], v[2:3], v[236:237]
	scratch_load_dwordx4 v[0:3], off, off offset:992
	s_waitcnt vmcnt(0)
	v_add_f64 v[0:1], v[0:1], -v[4:5]
	v_add_f64 v[2:3], v[2:3], -v[6:7]
	scratch_store_dwordx4 off, v[0:3], off offset:992
.LBB125_642:
	s_or_b64 exec, exec, s[2:3]
	v_cmp_eq_u32_e32 vcc, 59, v254
	s_waitcnt lgkmcnt(0)
	s_barrier
	s_and_saveexec_b64 s[4:5], vcc
	s_cbranch_execz .LBB125_649
; %bb.643:
	scratch_load_dwordx4 v[0:3], off, s12
	s_waitcnt vmcnt(0)
	ds_write2_b64 v252, v[0:1], v[2:3] offset1:1
	scratch_load_dwordx4 v[0:3], off, s11
	s_waitcnt vmcnt(0)
	ds_write2_b64 v248, v[0:1], v[2:3] offset0:120 offset1:121
	scratch_load_dwordx4 v[0:3], off, s10
	s_waitcnt vmcnt(0)
	ds_write2_b64 v248, v[0:1], v[2:3] offset0:122 offset1:123
	;; [unrolled: 3-line block ×3, first 2 shown]
	ds_read2_b64 v[236:239], v252 offset1:1
	s_waitcnt lgkmcnt(0)
	v_cmp_neq_f64_e32 vcc, 0, v[236:237]
	v_cmp_neq_f64_e64 s[2:3], 0, v[238:239]
	s_or_b64 s[2:3], vcc, s[2:3]
	s_and_b64 exec, exec, s[2:3]
	s_cbranch_execz .LBB125_649
; %bb.644:
	v_cmp_ngt_f64_e64 s[2:3], |v[236:237]|, |v[238:239]|
                                        ; implicit-def: $vgpr0_vgpr1
	s_and_saveexec_b64 s[46:47], s[2:3]
	s_xor_b64 s[2:3], exec, s[46:47]
                                        ; implicit-def: $vgpr2_vgpr3
	s_cbranch_execz .LBB125_646
; %bb.645:
	v_div_scale_f64 v[0:1], s[46:47], v[238:239], v[238:239], v[236:237]
	v_rcp_f64_e32 v[2:3], v[0:1]
	v_div_scale_f64 v[4:5], vcc, v[236:237], v[238:239], v[236:237]
	v_fma_f64 v[6:7], -v[0:1], v[2:3], 1.0
	v_fmac_f64_e32 v[2:3], v[2:3], v[6:7]
	v_fma_f64 v[6:7], -v[0:1], v[2:3], 1.0
	v_fmac_f64_e32 v[2:3], v[2:3], v[6:7]
	v_mul_f64 v[6:7], v[4:5], v[2:3]
	v_fma_f64 v[0:1], -v[0:1], v[6:7], v[4:5]
	v_div_fmas_f64 v[0:1], v[0:1], v[2:3], v[6:7]
	v_div_fixup_f64 v[0:1], v[0:1], v[238:239], v[236:237]
	v_fmac_f64_e32 v[238:239], v[236:237], v[0:1]
	v_div_scale_f64 v[2:3], s[46:47], v[238:239], v[238:239], 1.0
	v_rcp_f64_e32 v[4:5], v[2:3]
	s_nop 0
	v_fma_f64 v[6:7], -v[2:3], v[4:5], 1.0
	v_fmac_f64_e32 v[4:5], v[4:5], v[6:7]
	v_fma_f64 v[6:7], -v[2:3], v[4:5], 1.0
	v_fmac_f64_e32 v[4:5], v[4:5], v[6:7]
	v_div_scale_f64 v[6:7], vcc, 1.0, v[238:239], 1.0
	v_mul_f64 v[236:237], v[6:7], v[4:5]
	v_fma_f64 v[2:3], -v[2:3], v[236:237], v[6:7]
	s_nop 1
	v_div_fmas_f64 v[2:3], v[2:3], v[4:5], v[236:237]
	v_div_fixup_f64 v[2:3], v[2:3], v[238:239], 1.0
	v_mul_f64 v[0:1], v[0:1], v[2:3]
	v_xor_b32_e32 v3, 0x80000000, v3
                                        ; implicit-def: $vgpr236_vgpr237
.LBB125_646:
	s_andn2_saveexec_b64 s[2:3], s[2:3]
	s_cbranch_execz .LBB125_648
; %bb.647:
	v_div_scale_f64 v[0:1], s[46:47], v[236:237], v[236:237], v[238:239]
	v_rcp_f64_e32 v[2:3], v[0:1]
	v_div_scale_f64 v[4:5], vcc, v[238:239], v[236:237], v[238:239]
	v_fma_f64 v[6:7], -v[0:1], v[2:3], 1.0
	v_fmac_f64_e32 v[2:3], v[2:3], v[6:7]
	v_fma_f64 v[6:7], -v[0:1], v[2:3], 1.0
	v_fmac_f64_e32 v[2:3], v[2:3], v[6:7]
	v_mul_f64 v[6:7], v[4:5], v[2:3]
	v_fma_f64 v[0:1], -v[0:1], v[6:7], v[4:5]
	v_div_fmas_f64 v[0:1], v[0:1], v[2:3], v[6:7]
	v_div_fixup_f64 v[2:3], v[0:1], v[236:237], v[238:239]
	v_fmac_f64_e32 v[236:237], v[238:239], v[2:3]
	v_div_scale_f64 v[0:1], s[46:47], v[236:237], v[236:237], 1.0
	v_rcp_f64_e32 v[4:5], v[0:1]
	s_nop 0
	v_fma_f64 v[6:7], -v[0:1], v[4:5], 1.0
	v_fmac_f64_e32 v[4:5], v[4:5], v[6:7]
	v_fma_f64 v[6:7], -v[0:1], v[4:5], 1.0
	v_fmac_f64_e32 v[4:5], v[4:5], v[6:7]
	v_div_scale_f64 v[6:7], vcc, 1.0, v[236:237], 1.0
	v_mul_f64 v[238:239], v[6:7], v[4:5]
	v_fma_f64 v[0:1], -v[0:1], v[238:239], v[6:7]
	s_nop 1
	v_div_fmas_f64 v[0:1], v[0:1], v[4:5], v[238:239]
	v_div_fixup_f64 v[0:1], v[0:1], v[236:237], 1.0
	v_mul_f64 v[2:3], v[2:3], -v[0:1]
.LBB125_648:
	s_or_b64 exec, exec, s[2:3]
	ds_write2_b64 v252, v[0:1], v[2:3] offset1:1
.LBB125_649:
	s_or_b64 exec, exec, s[4:5]
	s_waitcnt lgkmcnt(0)
	s_barrier
	ds_read2_b64 v[236:239], v252 offset1:1
	v_cmp_lt_u32_e32 vcc, 59, v254
	s_and_saveexec_b64 s[2:3], vcc
	s_cbranch_execz .LBB125_651
; %bb.650:
	scratch_load_dwordx4 v[0:3], off, off offset:944
	s_waitcnt vmcnt(0) lgkmcnt(0)
	v_mul_f64 v[4:5], v[238:239], v[2:3]
	v_mul_f64 v[242:243], v[236:237], v[2:3]
	v_fma_f64 v[240:241], v[236:237], v[0:1], -v[4:5]
	v_fmac_f64_e32 v[242:243], v[238:239], v[0:1]
	ds_read2_b64 v[0:3], v248 offset0:120 offset1:121
	scratch_store_dwordx4 off, v[240:243], off offset:944
	s_waitcnt lgkmcnt(0)
	v_mul_f64 v[4:5], v[2:3], v[242:243]
	v_mul_f64 v[6:7], v[0:1], v[242:243]
	v_fma_f64 v[4:5], v[0:1], v[240:241], -v[4:5]
	v_fmac_f64_e32 v[6:7], v[2:3], v[240:241]
	scratch_load_dwordx4 v[0:3], off, off offset:960
	s_waitcnt vmcnt(0)
	v_add_f64 v[0:1], v[0:1], -v[4:5]
	v_add_f64 v[2:3], v[2:3], -v[6:7]
	scratch_store_dwordx4 off, v[0:3], off offset:960
	ds_read2_b64 v[0:3], v248 offset0:122 offset1:123
	s_waitcnt lgkmcnt(0)
	v_mul_f64 v[4:5], v[2:3], v[242:243]
	v_mul_f64 v[6:7], v[0:1], v[242:243]
	v_fma_f64 v[4:5], v[0:1], v[240:241], -v[4:5]
	v_fmac_f64_e32 v[6:7], v[2:3], v[240:241]
	scratch_load_dwordx4 v[0:3], off, off offset:976
	s_waitcnt vmcnt(0)
	v_add_f64 v[0:1], v[0:1], -v[4:5]
	v_add_f64 v[2:3], v[2:3], -v[6:7]
	scratch_store_dwordx4 off, v[0:3], off offset:976
	ds_read2_b64 v[0:3], v248 offset0:124 offset1:125
	s_waitcnt lgkmcnt(0)
	v_mul_f64 v[4:5], v[2:3], v[242:243]
	v_mul_f64 v[6:7], v[0:1], v[242:243]
	v_fma_f64 v[4:5], v[0:1], v[240:241], -v[4:5]
	v_fmac_f64_e32 v[6:7], v[2:3], v[240:241]
	scratch_load_dwordx4 v[0:3], off, off offset:992
	s_waitcnt vmcnt(0)
	v_add_f64 v[0:1], v[0:1], -v[4:5]
	v_add_f64 v[2:3], v[2:3], -v[6:7]
	scratch_store_dwordx4 off, v[0:3], off offset:992
.LBB125_651:
	s_or_b64 exec, exec, s[2:3]
	v_cmp_eq_u32_e32 vcc, 60, v254
	s_waitcnt lgkmcnt(0)
	s_barrier
	s_and_saveexec_b64 s[4:5], vcc
	s_cbranch_execz .LBB125_658
; %bb.652:
	scratch_load_dwordx4 v[0:3], off, s11
	s_waitcnt vmcnt(0)
	ds_write2_b64 v252, v[0:1], v[2:3] offset1:1
	scratch_load_dwordx4 v[0:3], off, s10
	s_waitcnt vmcnt(0)
	ds_write2_b64 v248, v[0:1], v[2:3] offset0:122 offset1:123
	scratch_load_dwordx4 v[0:3], off, s8
	s_waitcnt vmcnt(0)
	ds_write2_b64 v248, v[0:1], v[2:3] offset0:124 offset1:125
	ds_read2_b64 v[240:243], v252 offset1:1
	s_waitcnt lgkmcnt(0)
	v_cmp_neq_f64_e32 vcc, 0, v[240:241]
	v_cmp_neq_f64_e64 s[2:3], 0, v[242:243]
	s_or_b64 s[2:3], vcc, s[2:3]
	s_and_b64 exec, exec, s[2:3]
	s_cbranch_execz .LBB125_658
; %bb.653:
	v_cmp_ngt_f64_e64 s[2:3], |v[240:241]|, |v[242:243]|
                                        ; implicit-def: $vgpr0_vgpr1
	s_and_saveexec_b64 s[46:47], s[2:3]
	s_xor_b64 s[2:3], exec, s[46:47]
                                        ; implicit-def: $vgpr2_vgpr3
	s_cbranch_execz .LBB125_655
; %bb.654:
	v_div_scale_f64 v[0:1], s[46:47], v[242:243], v[242:243], v[240:241]
	v_rcp_f64_e32 v[2:3], v[0:1]
	v_div_scale_f64 v[4:5], vcc, v[240:241], v[242:243], v[240:241]
	v_fma_f64 v[6:7], -v[0:1], v[2:3], 1.0
	v_fmac_f64_e32 v[2:3], v[2:3], v[6:7]
	v_fma_f64 v[6:7], -v[0:1], v[2:3], 1.0
	v_fmac_f64_e32 v[2:3], v[2:3], v[6:7]
	v_mul_f64 v[6:7], v[4:5], v[2:3]
	v_fma_f64 v[0:1], -v[0:1], v[6:7], v[4:5]
	v_div_fmas_f64 v[0:1], v[0:1], v[2:3], v[6:7]
	v_div_fixup_f64 v[0:1], v[0:1], v[242:243], v[240:241]
	v_fmac_f64_e32 v[242:243], v[240:241], v[0:1]
	v_div_scale_f64 v[2:3], s[46:47], v[242:243], v[242:243], 1.0
	v_rcp_f64_e32 v[4:5], v[2:3]
	s_nop 0
	v_fma_f64 v[6:7], -v[2:3], v[4:5], 1.0
	v_fmac_f64_e32 v[4:5], v[4:5], v[6:7]
	v_fma_f64 v[6:7], -v[2:3], v[4:5], 1.0
	v_fmac_f64_e32 v[4:5], v[4:5], v[6:7]
	v_div_scale_f64 v[6:7], vcc, 1.0, v[242:243], 1.0
	v_mul_f64 v[240:241], v[6:7], v[4:5]
	v_fma_f64 v[2:3], -v[2:3], v[240:241], v[6:7]
	s_nop 1
	v_div_fmas_f64 v[2:3], v[2:3], v[4:5], v[240:241]
	v_div_fixup_f64 v[2:3], v[2:3], v[242:243], 1.0
	v_mul_f64 v[0:1], v[0:1], v[2:3]
	v_xor_b32_e32 v3, 0x80000000, v3
                                        ; implicit-def: $vgpr240_vgpr241
.LBB125_655:
	s_andn2_saveexec_b64 s[2:3], s[2:3]
	s_cbranch_execz .LBB125_657
; %bb.656:
	v_div_scale_f64 v[0:1], s[46:47], v[240:241], v[240:241], v[242:243]
	v_rcp_f64_e32 v[2:3], v[0:1]
	v_div_scale_f64 v[4:5], vcc, v[242:243], v[240:241], v[242:243]
	v_fma_f64 v[6:7], -v[0:1], v[2:3], 1.0
	v_fmac_f64_e32 v[2:3], v[2:3], v[6:7]
	v_fma_f64 v[6:7], -v[0:1], v[2:3], 1.0
	v_fmac_f64_e32 v[2:3], v[2:3], v[6:7]
	v_mul_f64 v[6:7], v[4:5], v[2:3]
	v_fma_f64 v[0:1], -v[0:1], v[6:7], v[4:5]
	v_div_fmas_f64 v[0:1], v[0:1], v[2:3], v[6:7]
	v_div_fixup_f64 v[2:3], v[0:1], v[240:241], v[242:243]
	v_fmac_f64_e32 v[240:241], v[242:243], v[2:3]
	v_div_scale_f64 v[0:1], s[46:47], v[240:241], v[240:241], 1.0
	v_rcp_f64_e32 v[4:5], v[0:1]
	s_nop 0
	v_fma_f64 v[6:7], -v[0:1], v[4:5], 1.0
	v_fmac_f64_e32 v[4:5], v[4:5], v[6:7]
	v_fma_f64 v[6:7], -v[0:1], v[4:5], 1.0
	v_fmac_f64_e32 v[4:5], v[4:5], v[6:7]
	v_div_scale_f64 v[6:7], vcc, 1.0, v[240:241], 1.0
	v_mul_f64 v[242:243], v[6:7], v[4:5]
	v_fma_f64 v[0:1], -v[0:1], v[242:243], v[6:7]
	s_nop 1
	v_div_fmas_f64 v[0:1], v[0:1], v[4:5], v[242:243]
	v_div_fixup_f64 v[0:1], v[0:1], v[240:241], 1.0
	v_mul_f64 v[2:3], v[2:3], -v[0:1]
.LBB125_657:
	s_or_b64 exec, exec, s[2:3]
	ds_write2_b64 v252, v[0:1], v[2:3] offset1:1
.LBB125_658:
	s_or_b64 exec, exec, s[4:5]
	s_waitcnt lgkmcnt(0)
	s_barrier
	ds_read2_b64 v[240:243], v252 offset1:1
	v_cmp_lt_u32_e32 vcc, 60, v254
	s_and_saveexec_b64 s[2:3], vcc
	s_cbranch_execz .LBB125_660
; %bb.659:
	scratch_load_dwordx4 v[0:3], off, off offset:960
	s_waitcnt vmcnt(0) lgkmcnt(0)
	v_mul_f64 v[4:5], v[242:243], v[2:3]
	v_mul_f64 v[246:247], v[240:241], v[2:3]
	v_fma_f64 v[244:245], v[240:241], v[0:1], -v[4:5]
	v_fmac_f64_e32 v[246:247], v[242:243], v[0:1]
	ds_read2_b64 v[0:3], v248 offset0:122 offset1:123
	scratch_store_dwordx4 off, v[244:247], off offset:960
	s_waitcnt lgkmcnt(0)
	v_mul_f64 v[4:5], v[2:3], v[246:247]
	v_mul_f64 v[6:7], v[0:1], v[246:247]
	v_fma_f64 v[4:5], v[0:1], v[244:245], -v[4:5]
	v_fmac_f64_e32 v[6:7], v[2:3], v[244:245]
	scratch_load_dwordx4 v[0:3], off, off offset:976
	s_waitcnt vmcnt(0)
	v_add_f64 v[0:1], v[0:1], -v[4:5]
	v_add_f64 v[2:3], v[2:3], -v[6:7]
	scratch_store_dwordx4 off, v[0:3], off offset:976
	ds_read2_b64 v[0:3], v248 offset0:124 offset1:125
	s_waitcnt lgkmcnt(0)
	v_mul_f64 v[4:5], v[2:3], v[246:247]
	v_mul_f64 v[6:7], v[0:1], v[246:247]
	v_fma_f64 v[4:5], v[0:1], v[244:245], -v[4:5]
	v_fmac_f64_e32 v[6:7], v[2:3], v[244:245]
	scratch_load_dwordx4 v[0:3], off, off offset:992
	s_waitcnt vmcnt(0)
	v_add_f64 v[0:1], v[0:1], -v[4:5]
	v_add_f64 v[2:3], v[2:3], -v[6:7]
	scratch_store_dwordx4 off, v[0:3], off offset:992
.LBB125_660:
	s_or_b64 exec, exec, s[2:3]
	v_cmp_eq_u32_e32 vcc, 61, v254
	s_waitcnt lgkmcnt(0)
	s_barrier
	s_and_saveexec_b64 s[4:5], vcc
	s_cbranch_execz .LBB125_667
; %bb.661:
	scratch_load_dwordx4 v[0:3], off, s10
	s_waitcnt vmcnt(0)
	ds_write2_b64 v252, v[0:1], v[2:3] offset1:1
	scratch_load_dwordx4 v[0:3], off, s8
	s_waitcnt vmcnt(0)
	ds_write2_b64 v248, v[0:1], v[2:3] offset0:124 offset1:125
	ds_read2_b64 v[244:247], v252 offset1:1
	s_waitcnt lgkmcnt(0)
	v_cmp_neq_f64_e32 vcc, 0, v[244:245]
	v_cmp_neq_f64_e64 s[2:3], 0, v[246:247]
	s_or_b64 s[2:3], vcc, s[2:3]
	s_and_b64 exec, exec, s[2:3]
	s_cbranch_execz .LBB125_667
; %bb.662:
	v_cmp_ngt_f64_e64 s[2:3], |v[244:245]|, |v[246:247]|
                                        ; implicit-def: $vgpr0_vgpr1
	s_and_saveexec_b64 s[46:47], s[2:3]
	s_xor_b64 s[2:3], exec, s[46:47]
                                        ; implicit-def: $vgpr2_vgpr3
	s_cbranch_execz .LBB125_664
; %bb.663:
	v_div_scale_f64 v[0:1], s[46:47], v[246:247], v[246:247], v[244:245]
	v_rcp_f64_e32 v[2:3], v[0:1]
	v_div_scale_f64 v[4:5], vcc, v[244:245], v[246:247], v[244:245]
	v_fma_f64 v[6:7], -v[0:1], v[2:3], 1.0
	v_fmac_f64_e32 v[2:3], v[2:3], v[6:7]
	v_fma_f64 v[6:7], -v[0:1], v[2:3], 1.0
	v_fmac_f64_e32 v[2:3], v[2:3], v[6:7]
	v_mul_f64 v[6:7], v[4:5], v[2:3]
	v_fma_f64 v[0:1], -v[0:1], v[6:7], v[4:5]
	v_div_fmas_f64 v[0:1], v[0:1], v[2:3], v[6:7]
	v_div_fixup_f64 v[0:1], v[0:1], v[246:247], v[244:245]
	v_fmac_f64_e32 v[246:247], v[244:245], v[0:1]
	v_div_scale_f64 v[2:3], s[46:47], v[246:247], v[246:247], 1.0
	v_rcp_f64_e32 v[4:5], v[2:3]
	s_nop 0
	v_fma_f64 v[6:7], -v[2:3], v[4:5], 1.0
	v_fmac_f64_e32 v[4:5], v[4:5], v[6:7]
	v_fma_f64 v[6:7], -v[2:3], v[4:5], 1.0
	v_fmac_f64_e32 v[4:5], v[4:5], v[6:7]
	v_div_scale_f64 v[6:7], vcc, 1.0, v[246:247], 1.0
	v_mul_f64 v[244:245], v[6:7], v[4:5]
	v_fma_f64 v[2:3], -v[2:3], v[244:245], v[6:7]
	s_nop 1
	v_div_fmas_f64 v[2:3], v[2:3], v[4:5], v[244:245]
	v_div_fixup_f64 v[2:3], v[2:3], v[246:247], 1.0
	v_mul_f64 v[0:1], v[0:1], v[2:3]
	v_xor_b32_e32 v3, 0x80000000, v3
                                        ; implicit-def: $vgpr244_vgpr245
.LBB125_664:
	s_andn2_saveexec_b64 s[2:3], s[2:3]
	s_cbranch_execz .LBB125_666
; %bb.665:
	v_div_scale_f64 v[0:1], s[46:47], v[244:245], v[244:245], v[246:247]
	v_rcp_f64_e32 v[2:3], v[0:1]
	v_div_scale_f64 v[4:5], vcc, v[246:247], v[244:245], v[246:247]
	v_fma_f64 v[6:7], -v[0:1], v[2:3], 1.0
	v_fmac_f64_e32 v[2:3], v[2:3], v[6:7]
	v_fma_f64 v[6:7], -v[0:1], v[2:3], 1.0
	v_fmac_f64_e32 v[2:3], v[2:3], v[6:7]
	v_mul_f64 v[6:7], v[4:5], v[2:3]
	v_fma_f64 v[0:1], -v[0:1], v[6:7], v[4:5]
	v_div_fmas_f64 v[0:1], v[0:1], v[2:3], v[6:7]
	v_div_fixup_f64 v[2:3], v[0:1], v[244:245], v[246:247]
	v_fmac_f64_e32 v[244:245], v[246:247], v[2:3]
	v_div_scale_f64 v[0:1], s[46:47], v[244:245], v[244:245], 1.0
	v_rcp_f64_e32 v[4:5], v[0:1]
	s_nop 0
	v_fma_f64 v[6:7], -v[0:1], v[4:5], 1.0
	v_fmac_f64_e32 v[4:5], v[4:5], v[6:7]
	v_fma_f64 v[6:7], -v[0:1], v[4:5], 1.0
	v_fmac_f64_e32 v[4:5], v[4:5], v[6:7]
	v_div_scale_f64 v[6:7], vcc, 1.0, v[244:245], 1.0
	v_mul_f64 v[246:247], v[6:7], v[4:5]
	v_fma_f64 v[0:1], -v[0:1], v[246:247], v[6:7]
	s_nop 1
	v_div_fmas_f64 v[0:1], v[0:1], v[4:5], v[246:247]
	v_div_fixup_f64 v[0:1], v[0:1], v[244:245], 1.0
	v_mul_f64 v[2:3], v[2:3], -v[0:1]
.LBB125_666:
	s_or_b64 exec, exec, s[2:3]
	ds_write2_b64 v252, v[0:1], v[2:3] offset1:1
.LBB125_667:
	s_or_b64 exec, exec, s[4:5]
	s_waitcnt lgkmcnt(0)
	s_barrier
	ds_read2_b64 v[244:247], v252 offset1:1
	v_cmp_lt_u32_e32 vcc, 61, v254
	s_and_saveexec_b64 s[2:3], vcc
	s_cbranch_execz .LBB125_669
; %bb.668:
	scratch_load_dwordx4 v[0:3], off, off offset:976
	s_waitcnt vmcnt(0) lgkmcnt(0)
	v_mul_f64 v[4:5], v[246:247], v[2:3]
	v_mul_f64 v[6:7], v[244:245], v[2:3]
	v_fma_f64 v[4:5], v[244:245], v[0:1], -v[4:5]
	v_fmac_f64_e32 v[6:7], v[246:247], v[0:1]
	ds_read2_b64 v[0:3], v248 offset0:124 offset1:125
	scratch_store_dwordx4 off, v[4:7], off offset:976
	s_waitcnt lgkmcnt(0)
	v_mul_f64 v[248:249], v[2:3], v[6:7]
	v_mul_f64 v[6:7], v[0:1], v[6:7]
	v_fma_f64 v[248:249], v[0:1], v[4:5], -v[248:249]
	v_fmac_f64_e32 v[6:7], v[2:3], v[4:5]
	scratch_load_dwordx4 v[0:3], off, off offset:992
	s_waitcnt vmcnt(0)
	v_add_f64 v[0:1], v[0:1], -v[248:249]
	v_add_f64 v[2:3], v[2:3], -v[6:7]
	scratch_store_dwordx4 off, v[0:3], off offset:992
.LBB125_669:
	s_or_b64 exec, exec, s[2:3]
	v_cmp_eq_u32_e32 vcc, 62, v254
	s_waitcnt lgkmcnt(0)
	s_barrier
	s_and_saveexec_b64 s[4:5], vcc
	s_cbranch_execz .LBB125_676
; %bb.670:
	scratch_load_dwordx4 v[248:251], off, s8
	s_waitcnt vmcnt(0)
	v_cmp_neq_f64_e32 vcc, 0, v[248:249]
	v_cmp_neq_f64_e64 s[2:3], 0, v[250:251]
	s_or_b64 s[2:3], vcc, s[2:3]
	ds_write2_b64 v252, v[248:249], v[250:251] offset1:1
	s_and_b64 exec, exec, s[2:3]
	s_cbranch_execz .LBB125_676
; %bb.671:
	v_cmp_ngt_f64_e64 s[2:3], |v[248:249]|, |v[250:251]|
                                        ; implicit-def: $vgpr0_vgpr1
	s_and_saveexec_b64 s[46:47], s[2:3]
	s_xor_b64 s[2:3], exec, s[46:47]
                                        ; implicit-def: $vgpr2_vgpr3
	s_cbranch_execz .LBB125_673
; %bb.672:
	v_div_scale_f64 v[0:1], s[46:47], v[250:251], v[250:251], v[248:249]
	v_rcp_f64_e32 v[2:3], v[0:1]
	v_div_scale_f64 v[4:5], vcc, v[248:249], v[250:251], v[248:249]
	v_fma_f64 v[6:7], -v[0:1], v[2:3], 1.0
	v_fmac_f64_e32 v[2:3], v[2:3], v[6:7]
	v_fma_f64 v[6:7], -v[0:1], v[2:3], 1.0
	v_fmac_f64_e32 v[2:3], v[2:3], v[6:7]
	v_mul_f64 v[6:7], v[4:5], v[2:3]
	v_fma_f64 v[0:1], -v[0:1], v[6:7], v[4:5]
	v_div_fmas_f64 v[0:1], v[0:1], v[2:3], v[6:7]
	v_div_fixup_f64 v[0:1], v[0:1], v[250:251], v[248:249]
	v_fmac_f64_e32 v[250:251], v[248:249], v[0:1]
	v_div_scale_f64 v[2:3], s[46:47], v[250:251], v[250:251], 1.0
	v_rcp_f64_e32 v[4:5], v[2:3]
	s_nop 0
	v_fma_f64 v[6:7], -v[2:3], v[4:5], 1.0
	v_fmac_f64_e32 v[4:5], v[4:5], v[6:7]
	v_fma_f64 v[6:7], -v[2:3], v[4:5], 1.0
	v_fmac_f64_e32 v[4:5], v[4:5], v[6:7]
	v_div_scale_f64 v[6:7], vcc, 1.0, v[250:251], 1.0
	v_mul_f64 v[248:249], v[6:7], v[4:5]
	v_fma_f64 v[2:3], -v[2:3], v[248:249], v[6:7]
	s_nop 1
	v_div_fmas_f64 v[2:3], v[2:3], v[4:5], v[248:249]
	v_div_fixup_f64 v[2:3], v[2:3], v[250:251], 1.0
	v_mul_f64 v[0:1], v[0:1], v[2:3]
	v_xor_b32_e32 v3, 0x80000000, v3
                                        ; implicit-def: $vgpr248_vgpr249
.LBB125_673:
	s_andn2_saveexec_b64 s[2:3], s[2:3]
	s_cbranch_execz .LBB125_675
; %bb.674:
	v_div_scale_f64 v[0:1], s[46:47], v[248:249], v[248:249], v[250:251]
	v_rcp_f64_e32 v[2:3], v[0:1]
	v_div_scale_f64 v[4:5], vcc, v[250:251], v[248:249], v[250:251]
	v_fma_f64 v[6:7], -v[0:1], v[2:3], 1.0
	v_fmac_f64_e32 v[2:3], v[2:3], v[6:7]
	v_fma_f64 v[6:7], -v[0:1], v[2:3], 1.0
	v_fmac_f64_e32 v[2:3], v[2:3], v[6:7]
	v_mul_f64 v[6:7], v[4:5], v[2:3]
	v_fma_f64 v[0:1], -v[0:1], v[6:7], v[4:5]
	v_div_fmas_f64 v[0:1], v[0:1], v[2:3], v[6:7]
	v_div_fixup_f64 v[2:3], v[0:1], v[248:249], v[250:251]
	v_fmac_f64_e32 v[248:249], v[250:251], v[2:3]
	v_div_scale_f64 v[0:1], s[46:47], v[248:249], v[248:249], 1.0
	v_rcp_f64_e32 v[4:5], v[0:1]
	s_nop 0
	v_fma_f64 v[6:7], -v[0:1], v[4:5], 1.0
	v_fmac_f64_e32 v[4:5], v[4:5], v[6:7]
	v_fma_f64 v[6:7], -v[0:1], v[4:5], 1.0
	v_fmac_f64_e32 v[4:5], v[4:5], v[6:7]
	v_div_scale_f64 v[6:7], vcc, 1.0, v[248:249], 1.0
	v_mul_f64 v[250:251], v[6:7], v[4:5]
	v_fma_f64 v[0:1], -v[0:1], v[250:251], v[6:7]
	s_nop 1
	v_div_fmas_f64 v[0:1], v[0:1], v[4:5], v[250:251]
	v_div_fixup_f64 v[0:1], v[0:1], v[248:249], 1.0
	v_mul_f64 v[2:3], v[2:3], -v[0:1]
.LBB125_675:
	s_or_b64 exec, exec, s[2:3]
	ds_write2_b64 v252, v[0:1], v[2:3] offset1:1
.LBB125_676:
	s_or_b64 exec, exec, s[4:5]
	s_waitcnt lgkmcnt(0)
	s_barrier
	ds_read2_b64 v[248:251], v252 offset1:1
	v_cmp_lt_u32_e32 vcc, 62, v254
	s_and_saveexec_b64 s[2:3], vcc
	s_cbranch_execz .LBB125_678
; %bb.677:
	scratch_load_dwordx4 v[0:3], off, off offset:992
	s_waitcnt vmcnt(0) lgkmcnt(0)
	v_mul_f64 v[6:7], v[250:251], v[2:3]
	v_mul_f64 v[4:5], v[248:249], v[2:3]
	v_fma_f64 v[2:3], v[248:249], v[0:1], -v[6:7]
	v_fmac_f64_e32 v[4:5], v[250:251], v[0:1]
	scratch_store_dwordx4 off, v[2:5], off offset:992
.LBB125_678:
	s_or_b64 exec, exec, s[2:3]
	s_waitcnt lgkmcnt(0)
	s_barrier
	s_mov_b64 s[2:3], exec
	v_readlane_b32 s0, v253, 0
	v_readlane_b32 s1, v253, 1
	s_and_b64 s[0:1], s[2:3], s[0:1]
	s_mov_b64 exec, s[0:1]
	s_cbranch_execz .LBB125_681
; %bb.679:
	scratch_load_dwordx4 v[0:3], off, off offset:1520 ; 16-byte Folded Reload
	scratch_load_dwordx4 v[4:7], off, off offset:1536 ; 16-byte Folded Reload
	s_waitcnt vmcnt(1)
	v_cmp_eq_f64_e64 s[0:1], 0, v[2:3]
	scratch_load_dwordx2 v[2:3], off, off offset:1512 ; 8-byte Folded Reload
	v_cmp_eq_f64_e32 vcc, 0, v[0:1]
	s_and_b64 s[4:5], vcc, s[0:1]
	v_mov_b32_e32 v0, s6
	v_mov_b32_e32 v1, s7
	s_waitcnt vmcnt(1)
	v_cmp_neq_f64_e32 vcc, 0, v[4:5]
	v_cmp_neq_f64_e64 s[0:1], 0, v[6:7]
	s_or_b64 s[0:1], vcc, s[0:1]
	s_or_b64 vcc, s[0:1], s[4:5]
	v_cmp_eq_f64_e64 s[0:1], 0, v[10:11]
	s_waitcnt vmcnt(0)
	v_lshl_add_u64 v[0:1], v[2:3], 2, v[0:1]
	v_cndmask_b32_e64 v2, 0, 1, s[4:5]
	v_cndmask_b32_e32 v2, 2, v2, vcc
	v_cmp_eq_f64_e32 vcc, 0, v[8:9]
	s_and_b64 s[0:1], vcc, s[0:1]
	v_cmp_eq_u32_e32 vcc, 0, v2
	s_and_b64 s[0:1], s[0:1], vcc
	v_cndmask_b32_e64 v2, v2, 3, s[0:1]
	v_cmp_eq_f64_e32 vcc, 0, v[12:13]
	v_cmp_eq_f64_e64 s[0:1], 0, v[14:15]
	s_and_b64 s[0:1], vcc, s[0:1]
	v_cmp_eq_u32_e32 vcc, 0, v2
	s_and_b64 s[0:1], s[0:1], vcc
	v_cndmask_b32_e64 v2, v2, 4, s[0:1]
	v_cmp_eq_f64_e32 vcc, 0, v[16:17]
	v_cmp_eq_f64_e64 s[0:1], 0, v[18:19]
	s_and_b64 s[0:1], vcc, s[0:1]
	v_cmp_eq_u32_e32 vcc, 0, v2
	s_and_b64 s[0:1], s[0:1], vcc
	v_cndmask_b32_e64 v2, v2, 5, s[0:1]
	v_cmp_eq_f64_e32 vcc, 0, v[20:21]
	v_cmp_eq_f64_e64 s[0:1], 0, v[22:23]
	s_and_b64 s[0:1], vcc, s[0:1]
	v_cmp_eq_u32_e32 vcc, 0, v2
	s_and_b64 s[0:1], s[0:1], vcc
	v_cndmask_b32_e64 v2, v2, 6, s[0:1]
	v_cmp_eq_f64_e32 vcc, 0, v[24:25]
	v_cmp_eq_f64_e64 s[0:1], 0, v[26:27]
	s_and_b64 s[0:1], vcc, s[0:1]
	v_cmp_eq_u32_e32 vcc, 0, v2
	s_and_b64 s[0:1], s[0:1], vcc
	v_cndmask_b32_e64 v2, v2, 7, s[0:1]
	v_cmp_eq_f64_e32 vcc, 0, v[28:29]
	v_cmp_eq_f64_e64 s[0:1], 0, v[30:31]
	s_and_b64 s[0:1], vcc, s[0:1]
	v_cmp_eq_u32_e32 vcc, 0, v2
	s_and_b64 s[0:1], s[0:1], vcc
	v_cndmask_b32_e64 v2, v2, 8, s[0:1]
	v_cmp_eq_f64_e32 vcc, 0, v[32:33]
	v_cmp_eq_f64_e64 s[0:1], 0, v[34:35]
	s_and_b64 s[0:1], vcc, s[0:1]
	v_cmp_eq_u32_e32 vcc, 0, v2
	s_and_b64 s[0:1], s[0:1], vcc
	v_cndmask_b32_e64 v2, v2, 9, s[0:1]
	v_cmp_eq_f64_e32 vcc, 0, v[36:37]
	v_cmp_eq_f64_e64 s[0:1], 0, v[38:39]
	s_and_b64 s[0:1], vcc, s[0:1]
	v_cmp_eq_u32_e32 vcc, 0, v2
	s_and_b64 s[0:1], s[0:1], vcc
	v_cndmask_b32_e64 v2, v2, 10, s[0:1]
	v_cmp_eq_f64_e32 vcc, 0, v[40:41]
	v_cmp_eq_f64_e64 s[0:1], 0, v[42:43]
	s_and_b64 s[0:1], vcc, s[0:1]
	v_cmp_eq_u32_e32 vcc, 0, v2
	s_and_b64 s[0:1], s[0:1], vcc
	v_cndmask_b32_e64 v2, v2, 11, s[0:1]
	v_cmp_eq_f64_e32 vcc, 0, v[44:45]
	v_cmp_eq_f64_e64 s[0:1], 0, v[46:47]
	s_and_b64 s[0:1], vcc, s[0:1]
	v_cmp_eq_u32_e32 vcc, 0, v2
	s_and_b64 s[0:1], s[0:1], vcc
	v_cndmask_b32_e64 v2, v2, 12, s[0:1]
	v_cmp_eq_f64_e32 vcc, 0, v[48:49]
	v_cmp_eq_f64_e64 s[0:1], 0, v[50:51]
	s_and_b64 s[0:1], vcc, s[0:1]
	v_cmp_eq_u32_e32 vcc, 0, v2
	s_and_b64 s[0:1], s[0:1], vcc
	v_cndmask_b32_e64 v2, v2, 13, s[0:1]
	v_cmp_eq_f64_e32 vcc, 0, v[52:53]
	v_cmp_eq_f64_e64 s[0:1], 0, v[54:55]
	s_and_b64 s[0:1], vcc, s[0:1]
	v_cmp_eq_u32_e32 vcc, 0, v2
	s_and_b64 s[0:1], s[0:1], vcc
	v_cndmask_b32_e64 v2, v2, 14, s[0:1]
	v_cmp_eq_f64_e32 vcc, 0, v[56:57]
	v_cmp_eq_f64_e64 s[0:1], 0, v[58:59]
	s_and_b64 s[0:1], vcc, s[0:1]
	v_cmp_eq_u32_e32 vcc, 0, v2
	s_and_b64 s[0:1], s[0:1], vcc
	v_cndmask_b32_e64 v2, v2, 15, s[0:1]
	v_cmp_eq_f64_e32 vcc, 0, v[60:61]
	v_cmp_eq_f64_e64 s[0:1], 0, v[62:63]
	s_and_b64 s[0:1], vcc, s[0:1]
	v_cmp_eq_u32_e32 vcc, 0, v2
	s_and_b64 s[0:1], s[0:1], vcc
	v_cndmask_b32_e64 v2, v2, 16, s[0:1]
	v_cmp_eq_f64_e32 vcc, 0, v[64:65]
	v_cmp_eq_f64_e64 s[0:1], 0, v[66:67]
	s_and_b64 s[0:1], vcc, s[0:1]
	v_cmp_eq_u32_e32 vcc, 0, v2
	s_and_b64 s[0:1], s[0:1], vcc
	v_cndmask_b32_e64 v2, v2, 17, s[0:1]
	v_cmp_eq_f64_e32 vcc, 0, v[68:69]
	v_cmp_eq_f64_e64 s[0:1], 0, v[70:71]
	s_and_b64 s[0:1], vcc, s[0:1]
	v_cmp_eq_u32_e32 vcc, 0, v2
	s_and_b64 s[0:1], s[0:1], vcc
	v_cndmask_b32_e64 v2, v2, 18, s[0:1]
	v_cmp_eq_f64_e32 vcc, 0, v[72:73]
	v_cmp_eq_f64_e64 s[0:1], 0, v[74:75]
	s_and_b64 s[0:1], vcc, s[0:1]
	v_cmp_eq_u32_e32 vcc, 0, v2
	s_and_b64 s[0:1], s[0:1], vcc
	v_cndmask_b32_e64 v2, v2, 19, s[0:1]
	v_cmp_eq_f64_e32 vcc, 0, v[76:77]
	v_cmp_eq_f64_e64 s[0:1], 0, v[78:79]
	s_and_b64 s[0:1], vcc, s[0:1]
	v_cmp_eq_u32_e32 vcc, 0, v2
	s_and_b64 s[0:1], s[0:1], vcc
	v_cndmask_b32_e64 v2, v2, 20, s[0:1]
	v_cmp_eq_f64_e32 vcc, 0, v[80:81]
	v_cmp_eq_f64_e64 s[0:1], 0, v[82:83]
	s_and_b64 s[0:1], vcc, s[0:1]
	v_cmp_eq_u32_e32 vcc, 0, v2
	s_and_b64 s[0:1], s[0:1], vcc
	v_cndmask_b32_e64 v2, v2, 21, s[0:1]
	v_cmp_eq_f64_e32 vcc, 0, v[84:85]
	v_cmp_eq_f64_e64 s[0:1], 0, v[86:87]
	s_and_b64 s[0:1], vcc, s[0:1]
	v_cmp_eq_u32_e32 vcc, 0, v2
	s_and_b64 s[0:1], s[0:1], vcc
	v_cndmask_b32_e64 v2, v2, 22, s[0:1]
	v_cmp_eq_f64_e32 vcc, 0, v[88:89]
	v_cmp_eq_f64_e64 s[0:1], 0, v[90:91]
	s_and_b64 s[0:1], vcc, s[0:1]
	v_cmp_eq_u32_e32 vcc, 0, v2
	s_and_b64 s[0:1], s[0:1], vcc
	v_cndmask_b32_e64 v2, v2, 23, s[0:1]
	v_cmp_eq_f64_e32 vcc, 0, v[92:93]
	v_cmp_eq_f64_e64 s[0:1], 0, v[94:95]
	s_and_b64 s[0:1], vcc, s[0:1]
	v_cmp_eq_u32_e32 vcc, 0, v2
	s_and_b64 s[0:1], s[0:1], vcc
	v_cndmask_b32_e64 v2, v2, 24, s[0:1]
	v_cmp_eq_f64_e32 vcc, 0, v[96:97]
	v_cmp_eq_f64_e64 s[0:1], 0, v[98:99]
	s_and_b64 s[0:1], vcc, s[0:1]
	v_cmp_eq_u32_e32 vcc, 0, v2
	s_and_b64 s[0:1], s[0:1], vcc
	v_cndmask_b32_e64 v2, v2, 25, s[0:1]
	v_cmp_eq_f64_e32 vcc, 0, v[100:101]
	v_cmp_eq_f64_e64 s[0:1], 0, v[102:103]
	s_and_b64 s[0:1], vcc, s[0:1]
	v_cmp_eq_u32_e32 vcc, 0, v2
	s_and_b64 s[0:1], s[0:1], vcc
	v_cndmask_b32_e64 v2, v2, 26, s[0:1]
	v_cmp_eq_f64_e32 vcc, 0, v[104:105]
	v_cmp_eq_f64_e64 s[0:1], 0, v[106:107]
	s_and_b64 s[0:1], vcc, s[0:1]
	v_cmp_eq_u32_e32 vcc, 0, v2
	s_and_b64 s[0:1], s[0:1], vcc
	v_cndmask_b32_e64 v2, v2, 27, s[0:1]
	v_cmp_eq_f64_e32 vcc, 0, v[108:109]
	v_cmp_eq_f64_e64 s[0:1], 0, v[110:111]
	s_and_b64 s[0:1], vcc, s[0:1]
	v_cmp_eq_u32_e32 vcc, 0, v2
	s_and_b64 s[0:1], s[0:1], vcc
	v_cndmask_b32_e64 v2, v2, 28, s[0:1]
	v_cmp_eq_f64_e32 vcc, 0, v[112:113]
	v_cmp_eq_f64_e64 s[0:1], 0, v[114:115]
	s_and_b64 s[0:1], vcc, s[0:1]
	v_cmp_eq_u32_e32 vcc, 0, v2
	s_and_b64 s[0:1], s[0:1], vcc
	v_cndmask_b32_e64 v2, v2, 29, s[0:1]
	v_cmp_eq_f64_e32 vcc, 0, v[116:117]
	v_cmp_eq_f64_e64 s[0:1], 0, v[118:119]
	s_and_b64 s[0:1], vcc, s[0:1]
	v_cmp_eq_u32_e32 vcc, 0, v2
	s_and_b64 s[0:1], s[0:1], vcc
	v_cndmask_b32_e64 v2, v2, 30, s[0:1]
	v_cmp_eq_f64_e32 vcc, 0, v[120:121]
	v_cmp_eq_f64_e64 s[0:1], 0, v[122:123]
	s_and_b64 s[0:1], vcc, s[0:1]
	v_cmp_eq_u32_e32 vcc, 0, v2
	s_and_b64 s[0:1], s[0:1], vcc
	v_cndmask_b32_e64 v2, v2, 31, s[0:1]
	v_cmp_eq_f64_e32 vcc, 0, v[124:125]
	v_cmp_eq_f64_e64 s[0:1], 0, v[126:127]
	s_and_b64 s[0:1], vcc, s[0:1]
	v_cmp_eq_u32_e32 vcc, 0, v2
	s_and_b64 s[0:1], s[0:1], vcc
	v_cndmask_b32_e64 v2, v2, 32, s[0:1]
	v_cmp_eq_f64_e32 vcc, 0, v[128:129]
	v_cmp_eq_f64_e64 s[0:1], 0, v[130:131]
	s_and_b64 s[0:1], vcc, s[0:1]
	v_cmp_eq_u32_e32 vcc, 0, v2
	s_and_b64 s[0:1], s[0:1], vcc
	v_cndmask_b32_e64 v2, v2, 33, s[0:1]
	v_cmp_eq_f64_e32 vcc, 0, v[132:133]
	v_cmp_eq_f64_e64 s[0:1], 0, v[134:135]
	s_and_b64 s[0:1], vcc, s[0:1]
	v_cmp_eq_u32_e32 vcc, 0, v2
	s_and_b64 s[0:1], s[0:1], vcc
	v_cndmask_b32_e64 v2, v2, 34, s[0:1]
	v_cmp_eq_f64_e32 vcc, 0, v[136:137]
	v_cmp_eq_f64_e64 s[0:1], 0, v[138:139]
	s_and_b64 s[0:1], vcc, s[0:1]
	v_cmp_eq_u32_e32 vcc, 0, v2
	s_and_b64 s[0:1], s[0:1], vcc
	v_cndmask_b32_e64 v2, v2, 35, s[0:1]
	v_cmp_eq_f64_e32 vcc, 0, v[140:141]
	v_cmp_eq_f64_e64 s[0:1], 0, v[142:143]
	s_and_b64 s[0:1], vcc, s[0:1]
	v_cmp_eq_u32_e32 vcc, 0, v2
	s_and_b64 s[0:1], s[0:1], vcc
	v_cndmask_b32_e64 v2, v2, 36, s[0:1]
	v_cmp_eq_f64_e32 vcc, 0, v[144:145]
	v_cmp_eq_f64_e64 s[0:1], 0, v[146:147]
	s_and_b64 s[0:1], vcc, s[0:1]
	v_cmp_eq_u32_e32 vcc, 0, v2
	s_and_b64 s[0:1], s[0:1], vcc
	global_load_dword v3, v[0:1], off
	v_cndmask_b32_e64 v2, v2, 37, s[0:1]
	v_cmp_eq_f64_e32 vcc, 0, v[148:149]
	v_cmp_eq_f64_e64 s[0:1], 0, v[150:151]
	s_and_b64 s[0:1], vcc, s[0:1]
	v_cmp_eq_u32_e32 vcc, 0, v2
	s_and_b64 s[0:1], s[0:1], vcc
	v_cndmask_b32_e64 v2, v2, 38, s[0:1]
	v_cmp_eq_f64_e32 vcc, 0, v[152:153]
	v_cmp_eq_f64_e64 s[0:1], 0, v[154:155]
	s_and_b64 s[0:1], vcc, s[0:1]
	v_cmp_eq_u32_e32 vcc, 0, v2
	s_and_b64 s[0:1], s[0:1], vcc
	;; [unrolled: 6-line block ×26, first 2 shown]
	v_cndmask_b32_e64 v2, v2, 63, s[0:1]
	s_waitcnt vmcnt(0)
	v_cmp_eq_u32_e32 vcc, 0, v3
	v_cmp_ne_u32_e64 s[0:1], 0, v2
	s_and_b64 s[0:1], vcc, s[0:1]
	s_and_b64 exec, exec, s[0:1]
	s_cbranch_execz .LBB125_681
; %bb.680:
	v_add_u32_e32 v2, s9, v2
	global_store_dword v[0:1], v2, off
.LBB125_681:
	s_or_b64 exec, exec, s[2:3]
	scratch_load_dwordx4 v[0:3], off, off
	scratch_load_dwordx4 v[4:7], off, s88
	scratch_load_dwordx4 v[8:11], off, s71
	;; [unrolled: 1-line block ×30, first 2 shown]
	scratch_load_dwordx2 v[124:125], off, off offset:1008 ; 8-byte Folded Reload
	s_waitcnt vmcnt(0)
	global_store_dwordx4 v[124:125], v[0:3], off
	scratch_load_dwordx4 v[0:3], off, s41
	s_nop 0
	scratch_load_dwordx4 v[124:127], off, s40
	scratch_load_dwordx2 v[128:129], off, off offset:1048 ; 8-byte Folded Reload
	s_waitcnt vmcnt(0)
	global_store_dwordx4 v[128:129], v[4:7], off
	scratch_load_dwordx2 v[4:5], off, off offset:1016 ; 8-byte Folded Reload
	s_waitcnt vmcnt(0)
	global_store_dwordx4 v[4:5], v[8:11], off
	scratch_load_dwordx4 v[4:7], off, s39
	s_nop 0
	scratch_load_dwordx4 v[8:11], off, s38
	scratch_load_dwordx2 v[128:129], off, off offset:1024 ; 8-byte Folded Reload
	s_waitcnt vmcnt(0)
	global_store_dwordx4 v[128:129], v[12:15], off
	scratch_load_dwordx4 v[12:15], off, s37
	s_nop 0
	scratch_load_dwordx4 v[128:131], off, s36
	scratch_load_dwordx2 v[132:133], off, off offset:1032 ; 8-byte Folded Reload
	s_waitcnt vmcnt(0)
	global_store_dwordx4 v[132:133], v[16:19], off
	scratch_load_dwordx4 v[16:19], off, s35
	s_nop 0
	scratch_load_dwordx4 v[132:135], off, s34
	scratch_load_dwordx2 v[136:137], off, off offset:1040 ; 8-byte Folded Reload
	s_waitcnt vmcnt(0)
	global_store_dwordx4 v[136:137], v[20:23], off
	scratch_load_dwordx2 v[20:21], off, off offset:1056 ; 8-byte Folded Reload
	s_waitcnt vmcnt(0)
	global_store_dwordx4 v[20:21], v[24:27], off
	scratch_load_dwordx4 v[20:23], off, s33
	s_nop 0
	scratch_load_dwordx4 v[24:27], off, s31
	scratch_load_dwordx2 v[136:137], off, off offset:1064 ; 8-byte Folded Reload
	s_waitcnt vmcnt(0)
	global_store_dwordx4 v[136:137], v[28:31], off
	scratch_load_dwordx4 v[28:31], off, s30
	s_nop 0
	scratch_load_dwordx4 v[136:139], off, s29
	;; [unrolled: 21-line block ×4, first 2 shown]
	scratch_load_dwordx2 v[156:157], off, off offset:1136 ; 8-byte Folded Reload
	s_waitcnt vmcnt(0)
	global_store_dwordx4 v[156:157], v[64:67], off
	scratch_load_dwordx4 v[64:67], off, s16
	s_nop 0
	scratch_load_dwordx4 v[156:159], off, s15
	scratch_load_dwordx2 v[160:161], off, off offset:1144 ; 8-byte Folded Reload
	s_waitcnt vmcnt(0)
	global_store_dwordx4 v[160:161], v[68:71], off
	scratch_load_dwordx2 v[68:69], off, off offset:1152 ; 8-byte Folded Reload
	s_waitcnt vmcnt(0)
	global_store_dwordx4 v[68:69], v[72:75], off
	scratch_load_dwordx4 v[68:71], off, s14
	s_nop 0
	scratch_load_dwordx4 v[72:75], off, s13
	scratch_load_dwordx2 v[160:161], off, off offset:1160 ; 8-byte Folded Reload
	s_waitcnt vmcnt(0)
	global_store_dwordx4 v[160:161], v[76:79], off
	scratch_load_dwordx2 v[76:77], off, off offset:1176 ; 8-byte Folded Reload
	s_waitcnt vmcnt(0)
	global_store_dwordx4 v[76:77], v[80:83], off
	scratch_load_dwordx4 v[76:79], off, s12
	s_nop 0
	scratch_load_dwordx4 v[80:83], off, s11
	scratch_load_dwordx4 v[160:163], off, s10
	;; [unrolled: 1-line block ×3, first 2 shown]
	scratch_load_dwordx2 v[168:169], off, off offset:1168 ; 8-byte Folded Reload
	s_waitcnt vmcnt(0)
	global_store_dwordx4 v[168:169], v[84:87], off
	scratch_load_dwordx2 v[84:85], off, off offset:1184 ; 8-byte Folded Reload
	s_waitcnt vmcnt(0)
	global_store_dwordx4 v[84:85], v[88:91], off
	;; [unrolled: 3-line block ×42, first 2 shown]
.LBB125_682:
	s_endpgm
	.section	.rodata,"a",@progbits
	.p2align	6, 0x0
	.amdhsa_kernel _ZN9rocsolver6v33100L23getf2_npvt_small_kernelILi63E19rocblas_complex_numIdEiiPS3_EEvT1_T3_lS5_lPT2_S5_S5_
		.amdhsa_group_segment_fixed_size 0
		.amdhsa_private_segment_fixed_size 1568
		.amdhsa_kernarg_size 312
		.amdhsa_user_sgpr_count 2
		.amdhsa_user_sgpr_dispatch_ptr 0
		.amdhsa_user_sgpr_queue_ptr 0
		.amdhsa_user_sgpr_kernarg_segment_ptr 1
		.amdhsa_user_sgpr_dispatch_id 0
		.amdhsa_user_sgpr_kernarg_preload_length 0
		.amdhsa_user_sgpr_kernarg_preload_offset 0
		.amdhsa_user_sgpr_private_segment_size 0
		.amdhsa_uses_dynamic_stack 0
		.amdhsa_enable_private_segment 1
		.amdhsa_system_sgpr_workgroup_id_x 1
		.amdhsa_system_sgpr_workgroup_id_y 1
		.amdhsa_system_sgpr_workgroup_id_z 0
		.amdhsa_system_sgpr_workgroup_info 0
		.amdhsa_system_vgpr_workitem_id 1
		.amdhsa_next_free_vgpr 255
		.amdhsa_next_free_sgpr 98
		.amdhsa_accum_offset 256
		.amdhsa_reserve_vcc 1
		.amdhsa_float_round_mode_32 0
		.amdhsa_float_round_mode_16_64 0
		.amdhsa_float_denorm_mode_32 3
		.amdhsa_float_denorm_mode_16_64 3
		.amdhsa_dx10_clamp 1
		.amdhsa_ieee_mode 1
		.amdhsa_fp16_overflow 0
		.amdhsa_tg_split 0
		.amdhsa_exception_fp_ieee_invalid_op 0
		.amdhsa_exception_fp_denorm_src 0
		.amdhsa_exception_fp_ieee_div_zero 0
		.amdhsa_exception_fp_ieee_overflow 0
		.amdhsa_exception_fp_ieee_underflow 0
		.amdhsa_exception_fp_ieee_inexact 0
		.amdhsa_exception_int_div_zero 0
	.end_amdhsa_kernel
	.section	.text._ZN9rocsolver6v33100L23getf2_npvt_small_kernelILi63E19rocblas_complex_numIdEiiPS3_EEvT1_T3_lS5_lPT2_S5_S5_,"axG",@progbits,_ZN9rocsolver6v33100L23getf2_npvt_small_kernelILi63E19rocblas_complex_numIdEiiPS3_EEvT1_T3_lS5_lPT2_S5_S5_,comdat
.Lfunc_end125:
	.size	_ZN9rocsolver6v33100L23getf2_npvt_small_kernelILi63E19rocblas_complex_numIdEiiPS3_EEvT1_T3_lS5_lPT2_S5_S5_, .Lfunc_end125-_ZN9rocsolver6v33100L23getf2_npvt_small_kernelILi63E19rocblas_complex_numIdEiiPS3_EEvT1_T3_lS5_lPT2_S5_S5_
                                        ; -- End function
	.set _ZN9rocsolver6v33100L23getf2_npvt_small_kernelILi63E19rocblas_complex_numIdEiiPS3_EEvT1_T3_lS5_lPT2_S5_S5_.num_vgpr, 255
	.set _ZN9rocsolver6v33100L23getf2_npvt_small_kernelILi63E19rocblas_complex_numIdEiiPS3_EEvT1_T3_lS5_lPT2_S5_S5_.num_agpr, 0
	.set _ZN9rocsolver6v33100L23getf2_npvt_small_kernelILi63E19rocblas_complex_numIdEiiPS3_EEvT1_T3_lS5_lPT2_S5_S5_.numbered_sgpr, 98
	.set _ZN9rocsolver6v33100L23getf2_npvt_small_kernelILi63E19rocblas_complex_numIdEiiPS3_EEvT1_T3_lS5_lPT2_S5_S5_.num_named_barrier, 0
	.set _ZN9rocsolver6v33100L23getf2_npvt_small_kernelILi63E19rocblas_complex_numIdEiiPS3_EEvT1_T3_lS5_lPT2_S5_S5_.private_seg_size, 1568
	.set _ZN9rocsolver6v33100L23getf2_npvt_small_kernelILi63E19rocblas_complex_numIdEiiPS3_EEvT1_T3_lS5_lPT2_S5_S5_.uses_vcc, 1
	.set _ZN9rocsolver6v33100L23getf2_npvt_small_kernelILi63E19rocblas_complex_numIdEiiPS3_EEvT1_T3_lS5_lPT2_S5_S5_.uses_flat_scratch, 0
	.set _ZN9rocsolver6v33100L23getf2_npvt_small_kernelILi63E19rocblas_complex_numIdEiiPS3_EEvT1_T3_lS5_lPT2_S5_S5_.has_dyn_sized_stack, 0
	.set _ZN9rocsolver6v33100L23getf2_npvt_small_kernelILi63E19rocblas_complex_numIdEiiPS3_EEvT1_T3_lS5_lPT2_S5_S5_.has_recursion, 0
	.set _ZN9rocsolver6v33100L23getf2_npvt_small_kernelILi63E19rocblas_complex_numIdEiiPS3_EEvT1_T3_lS5_lPT2_S5_S5_.has_indirect_call, 0
	.section	.AMDGPU.csdata,"",@progbits
; Kernel info:
; codeLenInByte = 120800
; TotalNumSgprs: 104
; NumVgprs: 255
; NumAgprs: 0
; TotalNumVgprs: 255
; ScratchSize: 1568
; MemoryBound: 0
; FloatMode: 240
; IeeeMode: 1
; LDSByteSize: 0 bytes/workgroup (compile time only)
; SGPRBlocks: 12
; VGPRBlocks: 31
; NumSGPRsForWavesPerEU: 104
; NumVGPRsForWavesPerEU: 255
; AccumOffset: 256
; Occupancy: 2
; WaveLimiterHint : 1
; COMPUTE_PGM_RSRC2:SCRATCH_EN: 1
; COMPUTE_PGM_RSRC2:USER_SGPR: 2
; COMPUTE_PGM_RSRC2:TRAP_HANDLER: 0
; COMPUTE_PGM_RSRC2:TGID_X_EN: 1
; COMPUTE_PGM_RSRC2:TGID_Y_EN: 1
; COMPUTE_PGM_RSRC2:TGID_Z_EN: 0
; COMPUTE_PGM_RSRC2:TIDIG_COMP_CNT: 1
; COMPUTE_PGM_RSRC3_GFX90A:ACCUM_OFFSET: 63
; COMPUTE_PGM_RSRC3_GFX90A:TG_SPLIT: 0
	.section	.text._ZN9rocsolver6v33100L18getf2_small_kernelILi64E19rocblas_complex_numIdEiiPS3_EEvT1_T3_lS5_lPS5_llPT2_S5_S5_S7_l,"axG",@progbits,_ZN9rocsolver6v33100L18getf2_small_kernelILi64E19rocblas_complex_numIdEiiPS3_EEvT1_T3_lS5_lPS5_llPT2_S5_S5_S7_l,comdat
	.globl	_ZN9rocsolver6v33100L18getf2_small_kernelILi64E19rocblas_complex_numIdEiiPS3_EEvT1_T3_lS5_lPS5_llPT2_S5_S5_S7_l ; -- Begin function _ZN9rocsolver6v33100L18getf2_small_kernelILi64E19rocblas_complex_numIdEiiPS3_EEvT1_T3_lS5_lPS5_llPT2_S5_S5_S7_l
	.p2align	8
	.type	_ZN9rocsolver6v33100L18getf2_small_kernelILi64E19rocblas_complex_numIdEiiPS3_EEvT1_T3_lS5_lPS5_llPT2_S5_S5_S7_l,@function
_ZN9rocsolver6v33100L18getf2_small_kernelILi64E19rocblas_complex_numIdEiiPS3_EEvT1_T3_lS5_lPS5_llPT2_S5_S5_S7_l: ; @_ZN9rocsolver6v33100L18getf2_small_kernelILi64E19rocblas_complex_numIdEiiPS3_EEvT1_T3_lS5_lPS5_llPT2_S5_S5_S7_l
; %bb.0:
	s_load_dword s2, s[0:1], 0x6c
	s_load_dwordx2 s[50:51], s[0:1], 0x48
	v_bfe_u32 v6, v0, 10, 10
	s_waitcnt lgkmcnt(0)
	s_lshr_b32 s2, s2, 16
	s_mul_i32 s3, s3, s2
	v_add_u32_e32 v8, s3, v6
	v_cmp_gt_i32_e32 vcc, s50, v8
	s_and_saveexec_b64 s[2:3], vcc
	s_cbranch_execnz .LBB126_1
; %bb.1463:
	s_getpc_b64 s[98:99]
.Lpost_getpc20:
	s_add_u32 s98, s98, (.LBB126_1462-.Lpost_getpc20)&4294967295
	s_addc_u32 s99, s99, (.LBB126_1462-.Lpost_getpc20)>>32
	s_setpc_b64 s[98:99]
.LBB126_1:
	s_load_dwordx4 s[4:7], s[0:1], 0x50
                                        ; implicit-def: $vgpr128 : SGPR spill to VGPR lane
	v_ashrrev_i32_e32 v9, 31, v8
	v_writelane_b32 v128, s50, 0
	v_mov_b64_e32 v[10:11], 0
	s_waitcnt lgkmcnt(0)
	s_cmp_eq_u64 s[4:5], 0
	v_writelane_b32 v128, s51, 1
	s_cselect_b64 s[2:3], -1, 0
	v_writelane_b32 v128, s2, 2
	s_and_b64 vcc, exec, s[2:3]
	s_nop 0
	v_writelane_b32 v128, s3, 3
	s_cbranch_vccnz .LBB126_3
; %bb.2:
	v_mul_lo_u32 v1, s7, v8
	v_mul_lo_u32 v4, s6, v9
	v_mad_u64_u32 v[2:3], s[2:3], s6, v8, 0
	v_add3_u32 v3, v3, v4, v1
	v_lshl_add_u64 v[10:11], v[2:3], 2, s[4:5]
.LBB126_3:
	s_load_dwordx4 s[12:15], s[0:1], 0x8
	s_load_dwordx8 s[4:11], s[0:1], 0x20
	s_load_dword s2, s[0:1], 0x18
	s_load_dword s67, s[0:1], 0x0
	s_movk_i32 s20, 0x90
	s_waitcnt lgkmcnt(0)
	v_mov_b32_e32 v2, s12
	v_mul_lo_u32 v1, s5, v8
	v_mul_lo_u32 v7, s4, v9
	v_writelane_b32 v128, s4, 4
	v_mov_b32_e32 v3, s13
	s_add_i32 s3, s2, s2
	v_writelane_b32 v128, s5, 5
	v_writelane_b32 v128, s6, 6
	;; [unrolled: 1-line block ×7, first 2 shown]
	v_mad_u64_u32 v[4:5], s[4:5], s4, v8, 0
	v_add3_u32 v5, v5, v7, v1
	v_lshl_add_u64 v[2:3], v[4:5], 4, v[2:3]
	v_and_b32_e32 v7, 0x3ff, v0
	v_lshl_add_u64 v[112:113], s[14:15], 4, v[2:3]
	v_lshlrev_b32_e32 v4, 4, v7
	v_mov_b32_e32 v5, 0
	v_add_u32_e32 v0, s3, v7
	v_lshl_add_u64 v[84:85], v[112:113], 0, v[4:5]
	v_writelane_b32 v128, s3, 12
	s_ashr_i32 s3, s2, 31
	v_ashrrev_i32_e32 v1, 31, v0
	v_add_u32_e32 v2, s2, v0
	v_lshl_add_u64 v[24:25], s[2:3], 4, v[84:85]
	v_lshl_add_u64 v[0:1], v[0:1], 4, v[112:113]
	global_load_dwordx4 v[12:15], v[84:85], off
	global_load_dwordx4 v[16:19], v[24:25], off
	;; [unrolled: 1-line block ×3, first 2 shown]
	v_add_u32_e32 v0, s2, v2
	v_ashrrev_i32_e32 v3, 31, v2
	v_ashrrev_i32_e32 v1, 31, v0
	v_lshl_add_u64 v[32:33], v[2:3], 4, v[112:113]
	v_lshl_add_u64 v[2:3], v[0:1], 4, v[112:113]
	v_add_u32_e32 v0, s2, v0
	v_ashrrev_i32_e32 v1, 31, v0
	global_load_dwordx4 v[24:27], v[32:33], off
	global_load_dwordx4 v[28:31], v[2:3], off
	v_lshl_add_u64 v[2:3], v[0:1], 4, v[112:113]
	v_add_u32_e32 v0, s2, v0
	v_ashrrev_i32_e32 v1, 31, v0
	v_lshl_add_u64 v[40:41], v[0:1], 4, v[112:113]
	v_add_u32_e32 v0, s2, v0
	global_load_dwordx4 v[32:35], v[2:3], off
	global_load_dwordx4 v[36:39], v[40:41], off
	v_add_u32_e32 v2, s2, v0
	v_ashrrev_i32_e32 v1, 31, v0
	v_ashrrev_i32_e32 v3, 31, v2
	v_add_u32_e32 v48, s2, v2
	v_lshl_add_u64 v[0:1], v[0:1], 4, v[112:113]
	v_lshl_add_u64 v[2:3], v[2:3], 4, v[112:113]
	v_add_u32_e32 v50, s2, v48
	v_ashrrev_i32_e32 v49, 31, v48
	global_load_dwordx4 v[40:43], v[0:1], off
	global_load_dwordx4 v[44:47], v[2:3], off
	v_add_u32_e32 v2, s2, v50
	v_lshl_add_u64 v[0:1], v[48:49], 4, v[112:113]
	v_ashrrev_i32_e32 v51, 31, v50
	v_ashrrev_i32_e32 v3, 31, v2
	v_add_u32_e32 v58, s2, v2
	v_lshl_add_u64 v[56:57], v[50:51], 4, v[112:113]
	global_load_dwordx4 v[48:51], v[0:1], off
	global_load_dwordx4 v[52:55], v[56:57], off
	v_lshl_add_u64 v[0:1], v[2:3], 4, v[112:113]
	v_add_u32_e32 v2, s2, v58
	v_ashrrev_i32_e32 v59, 31, v58
	v_ashrrev_i32_e32 v3, 31, v2
	v_add_u32_e32 v66, s2, v2
	v_lshl_add_u64 v[64:65], v[58:59], 4, v[112:113]
	global_load_dwordx4 v[56:59], v[0:1], off
	global_load_dwordx4 v[60:63], v[64:65], off
	v_lshl_add_u64 v[0:1], v[2:3], 4, v[112:113]
	v_add_u32_e32 v2, s2, v66
	v_add_u32_e32 v74, s2, v2
	v_ashrrev_i32_e32 v67, 31, v66
	v_ashrrev_i32_e32 v3, 31, v2
	v_add_u32_e32 v86, s2, v74
	v_lshl_add_u64 v[72:73], v[66:67], 4, v[112:113]
	global_load_dwordx4 v[64:67], v[0:1], off
	global_load_dwordx4 v[68:71], v[72:73], off
	v_lshl_add_u64 v[0:1], v[2:3], 4, v[112:113]
	v_ashrrev_i32_e32 v75, 31, v74
	v_ashrrev_i32_e32 v87, 31, v86
	v_lshl_add_u64 v[2:3], v[74:75], 4, v[112:113]
	global_load_dwordx4 v[72:75], v[0:1], off
	global_load_dwordx4 v[76:79], v[2:3], off
	v_lshl_add_u64 v[88:89], v[86:87], 4, v[112:113]
	global_load_dwordx4 v[80:83], v[88:89], off
	global_load_dwordx4 v[0:3], v[84:85], off
	s_load_dwordx2 s[0:1], s[0:1], 0x40
	s_movk_i32 s12, 0x50
	s_movk_i32 s13, 0x60
	;; [unrolled: 1-line block ×16, first 2 shown]
	s_waitcnt vmcnt(18)
	scratch_store_dwordx4 off, v[12:15], off
	s_waitcnt vmcnt(16)
	scratch_store_dwordx4 off, v[24:27], off offset:48
	scratch_store_dwordx4 off, v[16:19], off offset:16
	;; [unrolled: 1-line block ×3, first 2 shown]
	s_waitcnt vmcnt(18)
	scratch_store_dwordx4 off, v[28:31], off offset:64
	s_waitcnt vmcnt(18)
	scratch_store_dwordx4 off, v[32:35], off offset:80
	;; [unrolled: 2-line block ×3, first 2 shown]
	v_add_u32_e32 v16, s2, v86
	v_ashrrev_i32_e32 v17, 31, v16
	v_lshl_add_u64 v[12:13], v[16:17], 4, v[112:113]
	v_add_u32_e32 v16, s2, v16
	v_ashrrev_i32_e32 v17, 31, v16
	v_add_u32_e32 v26, s2, v16
	global_load_dwordx4 v[12:15], v[12:13], off
	v_lshl_add_u64 v[24:25], v[16:17], 4, v[112:113]
	s_waitcnt vmcnt(19)
	scratch_store_dwordx4 off, v[40:43], off offset:112
	s_waitcnt vmcnt(19)
	scratch_store_dwordx4 off, v[44:47], off offset:128
	;; [unrolled: 2-line block ×11, first 2 shown]
	v_ashrrev_i32_e32 v27, 31, v26
	v_lshl_add_u64 v[28:29], v[26:27], 4, v[112:113]
	global_load_dwordx4 v[16:19], v[24:25], off
	global_load_dwordx4 v[20:23], v[28:29], off
	v_add_u32_e32 v24, s2, v26
	v_ashrrev_i32_e32 v25, 31, v24
	v_add_u32_e32 v34, s2, v24
	v_lshl_add_u64 v[32:33], v[24:25], 4, v[112:113]
	v_ashrrev_i32_e32 v35, 31, v34
	v_lshl_add_u64 v[36:37], v[34:35], 4, v[112:113]
	global_load_dwordx4 v[24:27], v[32:33], off
	global_load_dwordx4 v[28:31], v[36:37], off
	v_add_u32_e32 v32, s2, v34
	v_ashrrev_i32_e32 v33, 31, v32
	v_add_u32_e32 v42, s2, v32
	v_lshl_add_u64 v[40:41], v[32:33], 4, v[112:113]
	;; [unrolled: 8-line block ×12, first 2 shown]
	v_ashrrev_i32_e32 v125, 31, v124
	v_lshl_add_u64 v[126:127], v[124:125], 4, v[112:113]
	global_load_dwordx4 v[114:117], v[122:123], off
	global_load_dwordx4 v[118:121], v[126:127], off
	s_waitcnt vmcnt(37)
	scratch_store_dwordx4 off, v[12:15], off offset:288
	s_waitcnt vmcnt(26)
	scratch_store_dwordx4 off, v[16:19], off offset:304
	;; [unrolled: 2-line block ×8, first 2 shown]
	v_add_u32_e32 v12, s2, v124
	v_ashrrev_i32_e32 v13, 31, v12
	v_add_u32_e32 v22, s2, v12
	v_lshl_add_u64 v[20:21], v[12:13], 4, v[112:113]
	v_ashrrev_i32_e32 v23, 31, v22
	v_lshl_add_u64 v[24:25], v[22:23], 4, v[112:113]
	global_load_dwordx4 v[12:15], v[20:21], off
	global_load_dwordx4 v[16:19], v[24:25], off
	v_add_u32_e32 v20, s2, v22
	v_ashrrev_i32_e32 v21, 31, v20
	v_add_u32_e32 v30, s2, v20
	v_lshl_add_u64 v[28:29], v[20:21], 4, v[112:113]
	v_ashrrev_i32_e32 v31, 31, v30
	v_lshl_add_u64 v[32:33], v[30:31], 4, v[112:113]
	global_load_dwordx4 v[20:23], v[28:29], off
	global_load_dwordx4 v[24:27], v[32:33], off
	v_add_u32_e32 v28, s2, v30
	v_add_u32_e32 v38, s2, v28
	v_ashrrev_i32_e32 v29, 31, v28
	v_ashrrev_i32_e32 v39, 31, v38
	v_lshl_add_u64 v[36:37], v[28:29], 4, v[112:113]
	v_lshl_add_u64 v[40:41], v[38:39], 4, v[112:113]
	global_load_dwordx4 v[28:31], v[36:37], off
	global_load_dwordx4 v[32:35], v[40:41], off
	v_add_u32_e32 v40, s2, v38
	v_add_u32_e32 v122, s2, v40
	v_ashrrev_i32_e32 v41, 31, v40
	v_ashrrev_i32_e32 v123, 31, v122
	v_lshl_add_u64 v[36:37], v[40:41], 4, v[112:113]
	v_lshl_add_u64 v[40:41], v[122:123], 4, v[112:113]
	global_load_dwordx4 v[36:39], v[36:37], off
	s_movk_i32 s34, 0x160
	global_load_dwordx4 v[40:43], v[40:41], off
	s_waitcnt vmcnt(34)
	scratch_store_dwordx4 off, v[44:47], off offset:416
	s_waitcnt vmcnt(34)
	scratch_store_dwordx4 off, v[48:51], off offset:432
	;; [unrolled: 2-line block ×19, first 2 shown]
	v_add_u32_e32 v44, s2, v122
	v_ashrrev_i32_e32 v45, 31, v44
	v_add_u32_e32 v54, s2, v44
	v_lshl_add_u64 v[52:53], v[44:45], 4, v[112:113]
	v_ashrrev_i32_e32 v55, 31, v54
	v_lshl_add_u64 v[56:57], v[54:55], 4, v[112:113]
	global_load_dwordx4 v[44:47], v[52:53], off
	global_load_dwordx4 v[48:51], v[56:57], off
	v_add_u32_e32 v52, s2, v54
	v_ashrrev_i32_e32 v53, 31, v52
	v_add_u32_e32 v62, s2, v52
	v_lshl_add_u64 v[60:61], v[52:53], 4, v[112:113]
	v_ashrrev_i32_e32 v63, 31, v62
	v_lshl_add_u64 v[64:65], v[62:63], 4, v[112:113]
	global_load_dwordx4 v[52:55], v[60:61], off
	global_load_dwordx4 v[56:59], v[64:65], off
	;; [unrolled: 8-line block ×5, first 2 shown]
	v_writelane_b32 v128, s2, 13
	s_movk_i32 s35, 0x170
	s_movk_i32 s36, 0x180
	v_add_u32_e32 v84, s2, v86
	v_ashrrev_i32_e32 v85, 31, v84
	v_lshl_add_u64 v[84:85], v[84:85], 4, v[112:113]
	global_load_dwordx4 v[84:87], v[84:85], off
	v_writelane_b32 v128, s3, 14
	s_waitcnt lgkmcnt(0)
	v_writelane_b32 v128, s0, 15
	s_waitcnt vmcnt(37)
	scratch_store_dwordx4 off, v[12:15], off offset:720
	s_waitcnt vmcnt(37)
	scratch_store_dwordx4 off, v[16:19], off offset:736
	;; [unrolled: 2-line block ×7, first 2 shown]
	v_writelane_b32 v128, s1, 16
	s_max_i32 s0, s67, 64
	v_mul_lo_u32 v6, s0, v6
	v_lshl_add_u32 v12, v6, 4, 0
	v_add_u32_e32 v4, v12, v4
	s_waitcnt vmcnt(37)
	scratch_store_dwordx4 off, v[40:43], off offset:832
	s_movk_i32 s37, 0x190
	s_movk_i32 s38, 0x1a0
	;; [unrolled: 1-line block ×34, first 2 shown]
	s_waitcnt vmcnt(18)
	scratch_store_dwordx4 off, v[44:47], off offset:848
	s_waitcnt vmcnt(18)
	scratch_store_dwordx4 off, v[48:51], off offset:864
	s_movk_i32 s74, 0x3b0
	s_movk_i32 s75, 0x3c0
	s_movk_i32 s76, 0x3d0
	s_movk_i32 s77, 0x3e0
	s_movk_i32 s78, 0x3f0
	s_waitcnt vmcnt(18)
	scratch_store_dwordx4 off, v[52:55], off offset:880
	s_waitcnt vmcnt(18)
	scratch_store_dwordx4 off, v[56:59], off offset:896
	s_cmp_lt_i32 s67, 2
	v_lshlrev_b32_e32 v16, 4, v6
	s_waitcnt vmcnt(18)
	scratch_store_dwordx4 off, v[60:63], off offset:912
	s_waitcnt vmcnt(18)
	scratch_store_dwordx4 off, v[64:67], off offset:928
	;; [unrolled: 2-line block ×7, first 2 shown]
	ds_write2_b64 v4, v[0:1], v[2:3] offset1:1
	s_waitcnt lgkmcnt(0)
	s_barrier
	ds_read2_b64 v[0:3], v12 offset1:1
	s_cbranch_scc1 .LBB126_6
; %bb.4:
	v_add3_u32 v4, v16, 0, 16
	s_mov_b32 s48, 1
	v_mov_b32_e32 v5, 0
.LBB126_5:                              ; =>This Inner Loop Header: Depth=1
	ds_read2_b64 v[18:21], v4 offset1:1
	s_waitcnt lgkmcnt(1)
	v_xor_b32_e32 v6, 0x80000000, v1
	v_xor_b32_e32 v13, 0x80000000, v3
	v_cmp_gt_f64_e32 vcc, 0, v[2:3]
	v_cmp_gt_f64_e64 s[0:1], 0, v[0:1]
	v_mov_b32_e32 v14, v0
	v_mov_b32_e32 v22, v2
	v_cndmask_b32_e64 v15, v1, v6, s[0:1]
	v_cndmask_b32_e32 v23, v3, v13, vcc
	s_waitcnt lgkmcnt(0)
	v_xor_b32_e32 v6, 0x80000000, v19
	v_xor_b32_e32 v13, 0x80000000, v21
	v_cmp_gt_f64_e32 vcc, 0, v[20:21]
	v_cmp_gt_f64_e64 s[0:1], 0, v[18:19]
	v_add_f64 v[14:15], v[14:15], v[22:23]
	v_mov_b32_e32 v22, v18
	v_mov_b32_e32 v24, v20
	v_cndmask_b32_e64 v23, v19, v6, s[0:1]
	v_cndmask_b32_e32 v25, v21, v13, vcc
	v_add_f64 v[22:23], v[22:23], v[24:25]
	v_mov_b32_e32 v17, s48
	s_add_i32 s48, s48, 1
	v_cmp_lt_f64_e32 vcc, v[14:15], v[22:23]
	v_add_u32_e32 v4, 16, v4
	s_cmp_eq_u32 s67, s48
	v_cndmask_b32_e32 v1, v1, v19, vcc
	v_cndmask_b32_e32 v0, v0, v18, vcc
	;; [unrolled: 1-line block ×5, first 2 shown]
	s_cbranch_scc0 .LBB126_5
.LBB126_6:
	s_waitcnt lgkmcnt(0)
	v_cmp_neq_f64_e32 vcc, 0, v[0:1]
	v_cmp_neq_f64_e64 s[0:1], 0, v[2:3]
	s_mov_b32 s3, 16
	s_mov_b32 s18, 32
	;; [unrolled: 1-line block ×59, first 2 shown]
	s_or_b64 s[4:5], vcc, s[0:1]
	v_mov_b32_e32 v13, 1
	v_mov_b32_e32 v17, 1
	s_and_saveexec_b64 s[0:1], s[4:5]
	v_readlane_b32 s8, v128, 2
	s_mov_b32 s88, s7
	s_mov_b32 s89, s15
	;; [unrolled: 1-line block ×5, first 2 shown]
	v_readlane_b32 s9, v128, 3
	s_cbranch_execz .LBB126_12
; %bb.7:
	v_cmp_ngt_f64_e64 s[4:5], |v[0:1]|, |v[2:3]|
	s_and_saveexec_b64 s[12:13], s[4:5]
	s_xor_b64 s[12:13], exec, s[12:13]
	s_cbranch_execz .LBB126_9
; %bb.8:
	v_div_scale_f64 v[14:15], s[4:5], v[2:3], v[2:3], v[0:1]
	v_rcp_f64_e32 v[18:19], v[14:15]
	v_div_scale_f64 v[20:21], vcc, v[0:1], v[2:3], v[0:1]
	v_fma_f64 v[22:23], -v[14:15], v[18:19], 1.0
	v_fmac_f64_e32 v[18:19], v[18:19], v[22:23]
	v_fma_f64 v[22:23], -v[14:15], v[18:19], 1.0
	v_fmac_f64_e32 v[18:19], v[18:19], v[22:23]
	v_mul_f64 v[22:23], v[20:21], v[18:19]
	v_fma_f64 v[14:15], -v[14:15], v[22:23], v[20:21]
	v_div_fmas_f64 v[14:15], v[14:15], v[18:19], v[22:23]
	v_div_fixup_f64 v[14:15], v[14:15], v[2:3], v[0:1]
	v_fmac_f64_e32 v[2:3], v[0:1], v[14:15]
	v_div_scale_f64 v[0:1], s[4:5], v[2:3], v[2:3], 1.0
	v_rcp_f64_e32 v[18:19], v[0:1]
	s_nop 0
	v_fma_f64 v[20:21], -v[0:1], v[18:19], 1.0
	v_fmac_f64_e32 v[18:19], v[18:19], v[20:21]
	v_fma_f64 v[20:21], -v[0:1], v[18:19], 1.0
	v_fmac_f64_e32 v[18:19], v[18:19], v[20:21]
	v_div_scale_f64 v[20:21], vcc, 1.0, v[2:3], 1.0
	v_mul_f64 v[22:23], v[20:21], v[18:19]
	v_fma_f64 v[0:1], -v[0:1], v[22:23], v[20:21]
	s_nop 1
	v_div_fmas_f64 v[0:1], v[0:1], v[18:19], v[22:23]
	v_div_fixup_f64 v[2:3], v[0:1], v[2:3], 1.0
	v_mul_f64 v[0:1], v[14:15], v[2:3]
	v_xor_b32_e32 v3, 0x80000000, v3
.LBB126_9:
	s_andn2_saveexec_b64 s[12:13], s[12:13]
	s_cbranch_execz .LBB126_11
; %bb.10:
	v_div_scale_f64 v[14:15], s[4:5], v[0:1], v[0:1], v[2:3]
	v_rcp_f64_e32 v[18:19], v[14:15]
	v_div_scale_f64 v[20:21], vcc, v[2:3], v[0:1], v[2:3]
	v_fma_f64 v[22:23], -v[14:15], v[18:19], 1.0
	v_fmac_f64_e32 v[18:19], v[18:19], v[22:23]
	v_fma_f64 v[22:23], -v[14:15], v[18:19], 1.0
	v_fmac_f64_e32 v[18:19], v[18:19], v[22:23]
	v_mul_f64 v[22:23], v[20:21], v[18:19]
	v_fma_f64 v[14:15], -v[14:15], v[22:23], v[20:21]
	v_div_fmas_f64 v[14:15], v[14:15], v[18:19], v[22:23]
	v_div_fixup_f64 v[14:15], v[14:15], v[0:1], v[2:3]
	v_fmac_f64_e32 v[0:1], v[2:3], v[14:15]
	v_div_scale_f64 v[2:3], s[4:5], v[0:1], v[0:1], 1.0
	v_rcp_f64_e32 v[18:19], v[2:3]
	s_nop 0
	v_fma_f64 v[20:21], -v[2:3], v[18:19], 1.0
	v_fmac_f64_e32 v[18:19], v[18:19], v[20:21]
	v_fma_f64 v[20:21], -v[2:3], v[18:19], 1.0
	v_fmac_f64_e32 v[18:19], v[18:19], v[20:21]
	v_div_scale_f64 v[20:21], vcc, 1.0, v[0:1], 1.0
	v_mul_f64 v[22:23], v[20:21], v[18:19]
	v_fma_f64 v[2:3], -v[2:3], v[22:23], v[20:21]
	s_nop 1
	v_div_fmas_f64 v[2:3], v[2:3], v[18:19], v[22:23]
	v_div_fixup_f64 v[0:1], v[2:3], v[0:1], 1.0
	v_mul_f64 v[2:3], v[14:15], -v[0:1]
.LBB126_11:
	s_or_b64 exec, exec, s[12:13]
	v_mov_b32_e32 v17, 0
	v_mov_b32_e32 v13, 2
.LBB126_12:
	s_or_b64 exec, exec, s[0:1]
	v_cmp_ne_u32_e32 vcc, v7, v5
                                        ; implicit-def: $vgpr15
	s_and_saveexec_b64 s[0:1], vcc
	s_xor_b64 s[0:1], exec, s[0:1]
	s_cbranch_execz .LBB126_18
; %bb.13:
	v_cmp_eq_u32_e32 vcc, 0, v7
	s_and_saveexec_b64 s[12:13], vcc
	s_cbranch_execz .LBB126_17
; %bb.14:
	v_cmp_ne_u32_e32 vcc, 0, v5
	s_xor_b64 s[4:5], s[8:9], -1
	s_and_b64 s[4:5], s[4:5], vcc
	s_and_saveexec_b64 s[14:15], s[4:5]
	s_cbranch_execz .LBB126_16
; %bb.15:
	v_ashrrev_i32_e32 v7, 31, v5
	v_mov_b32_e32 v6, v5
	v_lshl_add_u64 v[6:7], v[6:7], 2, v[10:11]
	global_load_dword v4, v[6:7], off
	global_load_dword v14, v[10:11], off
	s_waitcnt vmcnt(1)
	global_store_dword v[10:11], v4, off
	s_waitcnt vmcnt(1)
	global_store_dword v[6:7], v14, off
.LBB126_16:
	s_or_b64 exec, exec, s[14:15]
	v_mov_b32_e32 v7, v5
.LBB126_17:
	s_or_b64 exec, exec, s[12:13]
	v_mov_b32_e32 v15, v7
                                        ; implicit-def: $vgpr7
.LBB126_18:
	s_or_saveexec_b64 s[0:1], s[0:1]
	v_mov_b32_e32 v14, v15
	s_xor_b64 exec, exec, s[0:1]
	s_cbranch_execz .LBB126_22
; %bb.19:
	s_mov_b32 s4, 0
	v_add3_u32 v4, v16, 0, 16
.LBB126_20:                             ; =>This Inner Loop Header: Depth=1
	s_add_i32 s12, s4, 16
	s_add_i32 s13, s4, 32
	;; [unrolled: 1-line block ×9, first 2 shown]
	scratch_load_dwordx4 v[18:21], off, s12
	scratch_load_dwordx4 v[22:25], off, s13
	;; [unrolled: 1-line block ×9, first 2 shown]
	v_add_u32_e32 v5, s4, v4
	s_addk_i32 s4, 0x90
	s_cmpk_eq_i32 s4, 0x3f0
	s_waitcnt vmcnt(8)
	ds_write2_b64 v5, v[18:19], v[20:21] offset1:1
	s_waitcnt vmcnt(7)
	ds_write2_b64 v5, v[22:23], v[24:25] offset0:2 offset1:3
	s_waitcnt vmcnt(6)
	ds_write2_b64 v5, v[26:27], v[28:29] offset0:4 offset1:5
	;; [unrolled: 2-line block ×8, first 2 shown]
	s_cbranch_scc0 .LBB126_20
; %bb.21:
	v_mov_b32_e32 v15, 0
	v_mov_b32_e32 v14, v7
.LBB126_22:
	s_or_b64 exec, exec, s[0:1]
	s_mov_b32 s12, 0
	v_cmp_lt_i32_e32 vcc, 0, v15
	s_waitcnt lgkmcnt(0)
	s_barrier
	s_and_saveexec_b64 s[0:1], vcc
	s_cbranch_execz .LBB126_25
; %bb.23:
	scratch_load_dwordx4 v[18:21], off, off
	s_waitcnt vmcnt(0)
	v_mul_f64 v[4:5], v[2:3], v[20:21]
	v_mul_f64 v[6:7], v[0:1], v[20:21]
	v_fma_f64 v[4:5], v[0:1], v[18:19], -v[4:5]
	v_fmac_f64_e32 v[6:7], v[2:3], v[18:19]
	v_add3_u32 v0, v16, 0, 16
	scratch_store_dwordx4 off, v[4:7], off
.LBB126_24:                             ; =>This Inner Loop Header: Depth=1
	s_add_i32 s13, s12, 16
	s_add_i32 s14, s12, 32
	;; [unrolled: 1-line block ×9, first 2 shown]
	scratch_load_dwordx4 v[18:21], off, s13
	scratch_load_dwordx4 v[22:25], off, s14
	;; [unrolled: 1-line block ×9, first 2 shown]
	v_add_u32_e32 v1, s12, v0
	ds_read2_b64 v[54:57], v1 offset1:1
	ds_read2_b64 v[58:61], v1 offset0:2 offset1:3
	ds_read2_b64 v[62:65], v1 offset0:4 offset1:5
	;; [unrolled: 1-line block ×8, first 2 shown]
	s_waitcnt lgkmcnt(8)
	v_mul_f64 v[2:3], v[56:57], v[6:7]
	v_mul_f64 v[90:91], v[54:55], v[6:7]
	s_addk_i32 s12, 0x90
	s_waitcnt lgkmcnt(7)
	v_mul_f64 v[92:93], v[60:61], v[6:7]
	v_mul_f64 v[94:95], v[58:59], v[6:7]
	s_waitcnt lgkmcnt(6)
	v_mul_f64 v[96:97], v[64:65], v[6:7]
	v_mul_f64 v[98:99], v[62:63], v[6:7]
	;; [unrolled: 3-line block ×8, first 2 shown]
	v_fma_f64 v[2:3], v[54:55], v[4:5], -v[2:3]
	v_fmac_f64_e32 v[90:91], v[56:57], v[4:5]
	s_cmpk_lg_i32 s12, 0x3f0
	v_fma_f64 v[54:55], v[58:59], v[4:5], -v[92:93]
	v_fmac_f64_e32 v[94:95], v[60:61], v[4:5]
	v_fma_f64 v[56:57], v[62:63], v[4:5], -v[96:97]
	v_fmac_f64_e32 v[98:99], v[64:65], v[4:5]
	;; [unrolled: 2-line block ×8, first 2 shown]
	s_waitcnt vmcnt(8)
	v_add_f64 v[18:19], v[18:19], -v[2:3]
	v_add_f64 v[20:21], v[20:21], -v[90:91]
	s_waitcnt vmcnt(7)
	v_add_f64 v[22:23], v[22:23], -v[54:55]
	v_add_f64 v[24:25], v[24:25], -v[94:95]
	;; [unrolled: 3-line block ×9, first 2 shown]
	scratch_store_dwordx4 off, v[18:21], s13
	scratch_store_dwordx4 off, v[22:25], s14
	;; [unrolled: 1-line block ×9, first 2 shown]
	s_cbranch_scc1 .LBB126_24
.LBB126_25:
	s_or_b64 exec, exec, s[0:1]
	s_barrier
	scratch_load_dwordx4 v[0:3], off, s3
	v_lshl_add_u32 v4, v15, 4, v12
	s_cmp_lt_i32 s67, 3
	s_mov_b32 s86, s79
	s_mov_b32 s87, s52
	s_waitcnt vmcnt(0)
	ds_write2_b64 v4, v[0:1], v[2:3] offset1:1
	s_waitcnt lgkmcnt(0)
	s_barrier
	ds_read2_b64 v[0:3], v12 offset0:2 offset1:3
	v_mov_b32_e32 v4, 1
	s_cbranch_scc1 .LBB126_29
; %bb.26:
	v_add3_u32 v5, v16, 0, 32
	s_mov_b32 s4, 2
	v_mov_b32_e32 v4, 1
	s_mov_b32 s79, s80
	s_mov_b32 s52, s50
.LBB126_27:                             ; =>This Inner Loop Header: Depth=1
	ds_read2_b64 v[18:21], v5 offset1:1
	s_waitcnt lgkmcnt(1)
	v_xor_b32_e32 v7, 0x80000000, v1
	v_xor_b32_e32 v23, 0x80000000, v3
	v_cmp_gt_f64_e32 vcc, 0, v[2:3]
	v_cmp_gt_f64_e64 s[0:1], 0, v[0:1]
	v_mov_b32_e32 v6, v0
	v_mov_b32_e32 v22, v2
	v_cndmask_b32_e64 v7, v1, v7, s[0:1]
	v_cndmask_b32_e32 v23, v3, v23, vcc
	v_add_f64 v[6:7], v[6:7], v[22:23]
	s_waitcnt lgkmcnt(0)
	v_xor_b32_e32 v23, 0x80000000, v19
	v_xor_b32_e32 v25, 0x80000000, v21
	v_cmp_gt_f64_e32 vcc, 0, v[20:21]
	v_cmp_gt_f64_e64 s[0:1], 0, v[18:19]
	v_mov_b32_e32 v22, v18
	v_mov_b32_e32 v24, v20
	v_cndmask_b32_e64 v23, v19, v23, s[0:1]
	v_cndmask_b32_e32 v25, v21, v25, vcc
	v_add_f64 v[22:23], v[22:23], v[24:25]
	v_mov_b32_e32 v26, s4
	s_add_i32 s4, s4, 1
	v_cmp_lt_f64_e32 vcc, v[6:7], v[22:23]
	v_add_u32_e32 v5, 16, v5
	s_cmp_lg_u32 s67, s4
	v_cndmask_b32_e32 v1, v1, v19, vcc
	v_cndmask_b32_e32 v0, v0, v18, vcc
	;; [unrolled: 1-line block ×5, first 2 shown]
	s_cbranch_scc1 .LBB126_27
; %bb.28:
	s_mov_b32 s80, s81
	s_branch .LBB126_30
.LBB126_29:
	s_mov_b32 s79, s80
	s_mov_b32 s80, s81
	;; [unrolled: 1-line block ×3, first 2 shown]
.LBB126_30:
	s_waitcnt lgkmcnt(0)
	v_cmp_neq_f64_e32 vcc, 0, v[0:1]
	v_cmp_neq_f64_e64 s[0:1], 0, v[2:3]
	s_mov_b32 s50, s49
	s_mov_b32 s81, s82
	;; [unrolled: 1-line block ×3, first 2 shown]
	s_or_b64 s[4:5], vcc, s[0:1]
	s_and_saveexec_b64 s[0:1], s[4:5]
	s_mov_b32 s82, s83
	s_mov_b32 s83, s84
	;; [unrolled: 1-line block ×3, first 2 shown]
	s_cbranch_execz .LBB126_36
; %bb.31:
	v_cmp_ngt_f64_e64 s[4:5], |v[0:1]|, |v[2:3]|
	s_and_saveexec_b64 s[12:13], s[4:5]
	s_xor_b64 s[12:13], exec, s[12:13]
	s_cbranch_execz .LBB126_33
; %bb.32:
	v_div_scale_f64 v[6:7], s[4:5], v[2:3], v[2:3], v[0:1]
	v_rcp_f64_e32 v[18:19], v[6:7]
	v_div_scale_f64 v[20:21], vcc, v[0:1], v[2:3], v[0:1]
	v_fma_f64 v[22:23], -v[6:7], v[18:19], 1.0
	v_fmac_f64_e32 v[18:19], v[18:19], v[22:23]
	v_fma_f64 v[22:23], -v[6:7], v[18:19], 1.0
	v_fmac_f64_e32 v[18:19], v[18:19], v[22:23]
	v_mul_f64 v[22:23], v[20:21], v[18:19]
	v_fma_f64 v[6:7], -v[6:7], v[22:23], v[20:21]
	v_div_fmas_f64 v[6:7], v[6:7], v[18:19], v[22:23]
	v_div_fixup_f64 v[6:7], v[6:7], v[2:3], v[0:1]
	v_fmac_f64_e32 v[2:3], v[0:1], v[6:7]
	v_div_scale_f64 v[0:1], s[4:5], v[2:3], v[2:3], 1.0
	v_rcp_f64_e32 v[18:19], v[0:1]
	s_nop 0
	v_fma_f64 v[20:21], -v[0:1], v[18:19], 1.0
	v_fmac_f64_e32 v[18:19], v[18:19], v[20:21]
	v_fma_f64 v[20:21], -v[0:1], v[18:19], 1.0
	v_fmac_f64_e32 v[18:19], v[18:19], v[20:21]
	v_div_scale_f64 v[20:21], vcc, 1.0, v[2:3], 1.0
	v_mul_f64 v[22:23], v[20:21], v[18:19]
	v_fma_f64 v[0:1], -v[0:1], v[22:23], v[20:21]
	s_nop 1
	v_div_fmas_f64 v[0:1], v[0:1], v[18:19], v[22:23]
	v_div_fixup_f64 v[2:3], v[0:1], v[2:3], 1.0
	v_mul_f64 v[0:1], v[6:7], v[2:3]
	v_xor_b32_e32 v3, 0x80000000, v3
.LBB126_33:
	s_andn2_saveexec_b64 s[12:13], s[12:13]
	s_cbranch_execz .LBB126_35
; %bb.34:
	v_div_scale_f64 v[6:7], s[4:5], v[0:1], v[0:1], v[2:3]
	v_rcp_f64_e32 v[18:19], v[6:7]
	v_div_scale_f64 v[20:21], vcc, v[2:3], v[0:1], v[2:3]
	v_fma_f64 v[22:23], -v[6:7], v[18:19], 1.0
	v_fmac_f64_e32 v[18:19], v[18:19], v[22:23]
	v_fma_f64 v[22:23], -v[6:7], v[18:19], 1.0
	v_fmac_f64_e32 v[18:19], v[18:19], v[22:23]
	v_mul_f64 v[22:23], v[20:21], v[18:19]
	v_fma_f64 v[6:7], -v[6:7], v[22:23], v[20:21]
	v_div_fmas_f64 v[6:7], v[6:7], v[18:19], v[22:23]
	v_div_fixup_f64 v[6:7], v[6:7], v[0:1], v[2:3]
	v_fmac_f64_e32 v[0:1], v[2:3], v[6:7]
	v_div_scale_f64 v[2:3], s[4:5], v[0:1], v[0:1], 1.0
	v_rcp_f64_e32 v[18:19], v[2:3]
	s_nop 0
	v_fma_f64 v[20:21], -v[2:3], v[18:19], 1.0
	v_fmac_f64_e32 v[18:19], v[18:19], v[20:21]
	v_fma_f64 v[20:21], -v[2:3], v[18:19], 1.0
	v_fmac_f64_e32 v[18:19], v[18:19], v[20:21]
	v_div_scale_f64 v[20:21], vcc, 1.0, v[0:1], 1.0
	v_mul_f64 v[22:23], v[20:21], v[18:19]
	v_fma_f64 v[2:3], -v[2:3], v[22:23], v[20:21]
	s_nop 1
	v_div_fmas_f64 v[2:3], v[2:3], v[18:19], v[22:23]
	v_div_fixup_f64 v[0:1], v[2:3], v[0:1], 1.0
	v_mul_f64 v[2:3], v[6:7], -v[0:1]
.LBB126_35:
	s_or_b64 exec, exec, s[12:13]
	v_mov_b32_e32 v13, v17
.LBB126_36:
	s_or_b64 exec, exec, s[0:1]
	v_cmp_ne_u32_e32 vcc, v15, v4
	s_and_saveexec_b64 s[0:1], vcc
	s_xor_b64 s[0:1], exec, s[0:1]
	s_cbranch_execz .LBB126_42
; %bb.37:
	v_cmp_eq_u32_e32 vcc, 1, v15
	s_and_saveexec_b64 s[12:13], vcc
	s_cbranch_execz .LBB126_41
; %bb.38:
	v_cmp_ne_u32_e32 vcc, 1, v4
	s_xor_b64 s[4:5], s[8:9], -1
	s_and_b64 s[4:5], s[4:5], vcc
	s_and_saveexec_b64 s[14:15], s[4:5]
	s_cbranch_execz .LBB126_40
; %bb.39:
	v_ashrrev_i32_e32 v5, 31, v4
	v_lshl_add_u64 v[6:7], v[4:5], 2, v[10:11]
	global_load_dword v5, v[6:7], off
	global_load_dword v14, v[10:11], off offset:4
	s_waitcnt vmcnt(1)
	global_store_dword v[10:11], v5, off offset:4
	s_waitcnt vmcnt(1)
	global_store_dword v[6:7], v14, off
.LBB126_40:
	s_or_b64 exec, exec, s[14:15]
	v_mov_b32_e32 v15, v4
	v_mov_b32_e32 v14, v4
.LBB126_41:
	s_or_b64 exec, exec, s[12:13]
.LBB126_42:
	s_andn2_saveexec_b64 s[0:1], s[0:1]
	s_cbranch_execz .LBB126_46
; %bb.43:
	s_mov_b32 s4, 0
	v_add3_u32 v4, v16, 0, 32
.LBB126_44:                             ; =>This Inner Loop Header: Depth=1
	s_add_i32 s12, s4, 32
	s_add_i32 s5, s4, 48
	scratch_load_dwordx4 v[18:21], off, s12
	scratch_load_dwordx4 v[22:25], off, s5
	v_add_u32_e32 v5, s4, v4
	s_add_i32 s4, s4, 32
	s_cmpk_eq_i32 s4, 0x3e0
	s_waitcnt vmcnt(1)
	ds_write2_b64 v5, v[18:19], v[20:21] offset1:1
	s_waitcnt vmcnt(0)
	ds_write2_b64 v5, v[22:23], v[24:25] offset0:2 offset1:3
	s_cbranch_scc0 .LBB126_44
; %bb.45:
	v_mov_b32_e32 v15, 1
.LBB126_46:
	s_or_b64 exec, exec, s[0:1]
	v_cmp_lt_i32_e32 vcc, 1, v15
	s_waitcnt lgkmcnt(0)
	s_barrier
	s_and_saveexec_b64 s[0:1], vcc
	s_cbranch_execz .LBB126_49
; %bb.47:
	scratch_load_dwordx4 v[18:21], off, off offset:16
	s_mov_b32 s4, 0
	s_waitcnt vmcnt(0)
	v_mul_f64 v[4:5], v[2:3], v[20:21]
	v_mul_f64 v[6:7], v[0:1], v[20:21]
	v_fma_f64 v[4:5], v[0:1], v[18:19], -v[4:5]
	v_fmac_f64_e32 v[6:7], v[2:3], v[18:19]
	v_add3_u32 v0, v16, 0, 32
	scratch_store_dwordx4 off, v[4:7], off offset:16
.LBB126_48:                             ; =>This Inner Loop Header: Depth=1
	s_add_i32 s12, s4, 32
	s_add_i32 s5, s4, 48
	scratch_load_dwordx4 v[18:21], off, s12
	scratch_load_dwordx4 v[22:25], off, s5
	v_add_u32_e32 v1, s4, v0
	ds_read2_b64 v[26:29], v1 offset1:1
	ds_read2_b64 v[30:33], v1 offset0:2 offset1:3
	s_add_i32 s4, s4, 32
	s_cmpk_lg_i32 s4, 0x3e0
	s_waitcnt lgkmcnt(1)
	v_mul_f64 v[2:3], v[28:29], v[6:7]
	v_mul_f64 v[34:35], v[26:27], v[6:7]
	s_waitcnt lgkmcnt(0)
	v_mul_f64 v[36:37], v[32:33], v[6:7]
	v_mul_f64 v[38:39], v[30:31], v[6:7]
	v_fma_f64 v[2:3], v[26:27], v[4:5], -v[2:3]
	v_fmac_f64_e32 v[34:35], v[28:29], v[4:5]
	v_fma_f64 v[26:27], v[30:31], v[4:5], -v[36:37]
	v_fmac_f64_e32 v[38:39], v[32:33], v[4:5]
	s_waitcnt vmcnt(1)
	v_add_f64 v[18:19], v[18:19], -v[2:3]
	v_add_f64 v[20:21], v[20:21], -v[34:35]
	s_waitcnt vmcnt(0)
	v_add_f64 v[22:23], v[22:23], -v[26:27]
	v_add_f64 v[24:25], v[24:25], -v[38:39]
	scratch_store_dwordx4 off, v[18:21], s12
	scratch_store_dwordx4 off, v[22:25], s5
	s_cbranch_scc1 .LBB126_48
.LBB126_49:
	s_or_b64 exec, exec, s[0:1]
	s_barrier
	scratch_load_dwordx4 v[0:3], off, s18
	v_lshl_add_u32 v4, v15, 4, v12
	s_cmp_lt_i32 s67, 4
	s_waitcnt vmcnt(0)
	ds_write2_b64 v4, v[0:1], v[2:3] offset1:1
	s_waitcnt lgkmcnt(0)
	s_barrier
	ds_read2_b64 v[0:3], v12 offset0:4 offset1:5
	v_mov_b32_e32 v4, 2
	s_cbranch_scc1 .LBB126_52
; %bb.50:
	v_add3_u32 v5, v16, 0, 48
	s_mov_b32 s4, 3
	v_mov_b32_e32 v4, 2
.LBB126_51:                             ; =>This Inner Loop Header: Depth=1
	ds_read2_b64 v[18:21], v5 offset1:1
	s_waitcnt lgkmcnt(1)
	v_xor_b32_e32 v7, 0x80000000, v1
	v_xor_b32_e32 v17, 0x80000000, v3
	v_cmp_gt_f64_e32 vcc, 0, v[2:3]
	v_cmp_gt_f64_e64 s[0:1], 0, v[0:1]
	v_mov_b32_e32 v6, v0
	v_mov_b32_e32 v22, v2
	v_cndmask_b32_e64 v7, v1, v7, s[0:1]
	v_cndmask_b32_e32 v23, v3, v17, vcc
	s_waitcnt lgkmcnt(0)
	v_xor_b32_e32 v17, 0x80000000, v19
	v_xor_b32_e32 v25, 0x80000000, v21
	v_cmp_gt_f64_e32 vcc, 0, v[20:21]
	v_cmp_gt_f64_e64 s[0:1], 0, v[18:19]
	v_add_f64 v[6:7], v[6:7], v[22:23]
	v_mov_b32_e32 v22, v18
	v_mov_b32_e32 v24, v20
	v_cndmask_b32_e64 v23, v19, v17, s[0:1]
	v_cndmask_b32_e32 v25, v21, v25, vcc
	v_add_f64 v[22:23], v[22:23], v[24:25]
	v_mov_b32_e32 v26, s4
	s_add_i32 s4, s4, 1
	v_cmp_lt_f64_e32 vcc, v[6:7], v[22:23]
	v_add_u32_e32 v5, 16, v5
	s_cmp_lg_u32 s67, s4
	v_cndmask_b32_e32 v1, v1, v19, vcc
	v_cndmask_b32_e32 v0, v0, v18, vcc
	;; [unrolled: 1-line block ×5, first 2 shown]
	s_cbranch_scc1 .LBB126_51
.LBB126_52:
	s_waitcnt lgkmcnt(0)
	v_cmp_eq_f64_e32 vcc, 0, v[0:1]
	v_cmp_eq_f64_e64 s[0:1], 0, v[2:3]
	s_and_b64 s[0:1], vcc, s[0:1]
	s_and_saveexec_b64 s[4:5], s[0:1]
	s_xor_b64 s[0:1], exec, s[4:5]
; %bb.53:
	v_cmp_ne_u32_e32 vcc, 0, v13
	s_nop 1
	v_cndmask_b32_e32 v13, 3, v13, vcc
; %bb.54:
	s_andn2_saveexec_b64 s[0:1], s[0:1]
	s_cbranch_execz .LBB126_60
; %bb.55:
	v_cmp_ngt_f64_e64 s[4:5], |v[0:1]|, |v[2:3]|
	s_and_saveexec_b64 s[12:13], s[4:5]
	s_xor_b64 s[12:13], exec, s[12:13]
	s_cbranch_execz .LBB126_57
; %bb.56:
	v_div_scale_f64 v[6:7], s[4:5], v[2:3], v[2:3], v[0:1]
	v_rcp_f64_e32 v[18:19], v[6:7]
	v_div_scale_f64 v[20:21], vcc, v[0:1], v[2:3], v[0:1]
	v_fma_f64 v[22:23], -v[6:7], v[18:19], 1.0
	v_fmac_f64_e32 v[18:19], v[18:19], v[22:23]
	v_fma_f64 v[22:23], -v[6:7], v[18:19], 1.0
	v_fmac_f64_e32 v[18:19], v[18:19], v[22:23]
	v_mul_f64 v[22:23], v[20:21], v[18:19]
	v_fma_f64 v[6:7], -v[6:7], v[22:23], v[20:21]
	v_div_fmas_f64 v[6:7], v[6:7], v[18:19], v[22:23]
	v_div_fixup_f64 v[6:7], v[6:7], v[2:3], v[0:1]
	v_fmac_f64_e32 v[2:3], v[0:1], v[6:7]
	v_div_scale_f64 v[0:1], s[4:5], v[2:3], v[2:3], 1.0
	v_rcp_f64_e32 v[18:19], v[0:1]
	s_nop 0
	v_fma_f64 v[20:21], -v[0:1], v[18:19], 1.0
	v_fmac_f64_e32 v[18:19], v[18:19], v[20:21]
	v_fma_f64 v[20:21], -v[0:1], v[18:19], 1.0
	v_fmac_f64_e32 v[18:19], v[18:19], v[20:21]
	v_div_scale_f64 v[20:21], vcc, 1.0, v[2:3], 1.0
	v_mul_f64 v[22:23], v[20:21], v[18:19]
	v_fma_f64 v[0:1], -v[0:1], v[22:23], v[20:21]
	s_nop 1
	v_div_fmas_f64 v[0:1], v[0:1], v[18:19], v[22:23]
	v_div_fixup_f64 v[2:3], v[0:1], v[2:3], 1.0
	v_mul_f64 v[0:1], v[6:7], v[2:3]
	v_xor_b32_e32 v3, 0x80000000, v3
.LBB126_57:
	s_andn2_saveexec_b64 s[12:13], s[12:13]
	s_cbranch_execz .LBB126_59
; %bb.58:
	v_div_scale_f64 v[6:7], s[4:5], v[0:1], v[0:1], v[2:3]
	v_rcp_f64_e32 v[18:19], v[6:7]
	v_div_scale_f64 v[20:21], vcc, v[2:3], v[0:1], v[2:3]
	v_fma_f64 v[22:23], -v[6:7], v[18:19], 1.0
	v_fmac_f64_e32 v[18:19], v[18:19], v[22:23]
	v_fma_f64 v[22:23], -v[6:7], v[18:19], 1.0
	v_fmac_f64_e32 v[18:19], v[18:19], v[22:23]
	v_mul_f64 v[22:23], v[20:21], v[18:19]
	v_fma_f64 v[6:7], -v[6:7], v[22:23], v[20:21]
	v_div_fmas_f64 v[6:7], v[6:7], v[18:19], v[22:23]
	v_div_fixup_f64 v[6:7], v[6:7], v[0:1], v[2:3]
	v_fmac_f64_e32 v[0:1], v[2:3], v[6:7]
	v_div_scale_f64 v[2:3], s[4:5], v[0:1], v[0:1], 1.0
	v_rcp_f64_e32 v[18:19], v[2:3]
	s_nop 0
	v_fma_f64 v[20:21], -v[2:3], v[18:19], 1.0
	v_fmac_f64_e32 v[18:19], v[18:19], v[20:21]
	v_fma_f64 v[20:21], -v[2:3], v[18:19], 1.0
	v_fmac_f64_e32 v[18:19], v[18:19], v[20:21]
	v_div_scale_f64 v[20:21], vcc, 1.0, v[0:1], 1.0
	v_mul_f64 v[22:23], v[20:21], v[18:19]
	v_fma_f64 v[2:3], -v[2:3], v[22:23], v[20:21]
	s_nop 1
	v_div_fmas_f64 v[2:3], v[2:3], v[18:19], v[22:23]
	v_div_fixup_f64 v[0:1], v[2:3], v[0:1], 1.0
	v_mul_f64 v[2:3], v[6:7], -v[0:1]
.LBB126_59:
	s_or_b64 exec, exec, s[12:13]
.LBB126_60:
	s_or_b64 exec, exec, s[0:1]
	v_cmp_ne_u32_e32 vcc, v15, v4
	s_and_saveexec_b64 s[0:1], vcc
	s_xor_b64 s[0:1], exec, s[0:1]
	s_cbranch_execz .LBB126_66
; %bb.61:
	v_cmp_eq_u32_e32 vcc, 2, v15
	s_and_saveexec_b64 s[12:13], vcc
	s_cbranch_execz .LBB126_65
; %bb.62:
	v_cmp_ne_u32_e32 vcc, 2, v4
	s_xor_b64 s[4:5], s[8:9], -1
	s_and_b64 s[4:5], s[4:5], vcc
	s_and_saveexec_b64 s[14:15], s[4:5]
	s_cbranch_execz .LBB126_64
; %bb.63:
	v_ashrrev_i32_e32 v5, 31, v4
	v_lshl_add_u64 v[6:7], v[4:5], 2, v[10:11]
	global_load_dword v5, v[6:7], off
	global_load_dword v14, v[10:11], off offset:8
	s_waitcnt vmcnt(1)
	global_store_dword v[10:11], v5, off offset:8
	s_waitcnt vmcnt(1)
	global_store_dword v[6:7], v14, off
.LBB126_64:
	s_or_b64 exec, exec, s[14:15]
	v_mov_b32_e32 v15, v4
	v_mov_b32_e32 v14, v4
.LBB126_65:
	s_or_b64 exec, exec, s[12:13]
.LBB126_66:
	s_andn2_saveexec_b64 s[0:1], s[0:1]
	s_cbranch_execz .LBB126_72
; %bb.67:
	s_mov_b32 s4, 0
	v_add3_u32 v4, v16, 0, 48
	s_branch .LBB126_69
.LBB126_68:                             ;   in Loop: Header=BB126_69 Depth=1
	s_andn2_b64 vcc, exec, s[12:13]
	s_cbranch_vccz .LBB126_71
.LBB126_69:                             ; =>This Inner Loop Header: Depth=1
	s_add_i32 s12, s4, 48
	s_add_i32 s13, s4, 64
	scratch_load_dwordx4 v[18:21], off, s12
	scratch_load_dwordx4 v[22:25], off, s13
	s_add_i32 s12, s4, 0x50
	s_add_i32 s13, s4, 0x60
	scratch_load_dwordx4 v[26:29], off, s12
	scratch_load_dwordx4 v[30:33], off, s13
	s_add_i32 s12, s4, 0x70
	scratch_load_dwordx4 v[34:37], off, s12
	s_mov_b32 s5, s4
	v_add_u32_e32 v5, s4, v4
	s_cmpk_eq_i32 s4, 0x380
	s_mov_b64 s[12:13], -1
	s_waitcnt vmcnt(4)
	ds_write2_b64 v5, v[18:19], v[20:21] offset1:1
	s_waitcnt vmcnt(3)
	ds_write2_b64 v5, v[22:23], v[24:25] offset0:2 offset1:3
	s_waitcnt vmcnt(2)
	ds_write2_b64 v5, v[26:27], v[28:29] offset0:4 offset1:5
	;; [unrolled: 2-line block ×4, first 2 shown]
	s_cbranch_scc1 .LBB126_68
; %bb.70:                               ;   in Loop: Header=BB126_69 Depth=1
	s_add_i32 s12, s5, 0x80
	s_add_i32 s13, s5, 0x90
	scratch_load_dwordx4 v[18:21], off, s12
	scratch_load_dwordx4 v[22:25], off, s13
	s_addk_i32 s5, 0xa0
	scratch_load_dwordx4 v[26:29], off, s5
	s_addk_i32 s4, 0x80
	s_mov_b64 s[12:13], 0
	s_waitcnt vmcnt(2)
	ds_write2_b64 v5, v[18:19], v[20:21] offset0:10 offset1:11
	s_waitcnt vmcnt(1)
	ds_write2_b64 v5, v[22:23], v[24:25] offset0:12 offset1:13
	;; [unrolled: 2-line block ×3, first 2 shown]
	s_branch .LBB126_68
.LBB126_71:
	v_mov_b32_e32 v15, 2
.LBB126_72:
	s_or_b64 exec, exec, s[0:1]
	v_cmp_lt_i32_e32 vcc, 2, v15
	s_waitcnt lgkmcnt(0)
	s_barrier
	s_and_saveexec_b64 s[0:1], vcc
	s_cbranch_execz .LBB126_77
; %bb.73:
	scratch_load_dwordx4 v[18:21], off, off offset:32
	s_mov_b32 s14, 0
	s_waitcnt vmcnt(0)
	v_mul_f64 v[4:5], v[2:3], v[20:21]
	v_mul_f64 v[6:7], v[0:1], v[20:21]
	v_fma_f64 v[4:5], v[0:1], v[18:19], -v[4:5]
	v_fmac_f64_e32 v[6:7], v[2:3], v[18:19]
	v_add3_u32 v0, v16, 0, 48
	scratch_store_dwordx4 off, v[4:7], off offset:32
	s_branch .LBB126_75
.LBB126_74:                             ;   in Loop: Header=BB126_75 Depth=1
	s_andn2_b64 vcc, exec, s[12:13]
	s_cbranch_vccz .LBB126_77
.LBB126_75:                             ; =>This Inner Loop Header: Depth=1
	s_add_i32 s4, s14, 48
	scratch_load_dwordx4 v[18:21], off, s4
	s_add_i32 s5, s14, 64
	s_add_i32 s12, s14, 0x50
	;; [unrolled: 1-line block ×4, first 2 shown]
	scratch_load_dwordx4 v[22:25], off, s5
	scratch_load_dwordx4 v[26:29], off, s12
	;; [unrolled: 1-line block ×4, first 2 shown]
	v_add_u32_e32 v1, s14, v0
	ds_read2_b64 v[38:41], v1 offset1:1
	ds_read2_b64 v[42:45], v1 offset0:2 offset1:3
	ds_read2_b64 v[46:49], v1 offset0:4 offset1:5
	;; [unrolled: 1-line block ×4, first 2 shown]
	s_waitcnt lgkmcnt(4)
	v_mul_f64 v[2:3], v[40:41], v[6:7]
	v_mul_f64 v[58:59], v[38:39], v[6:7]
	s_waitcnt lgkmcnt(3)
	v_mul_f64 v[60:61], v[44:45], v[6:7]
	v_mul_f64 v[62:63], v[42:43], v[6:7]
	;; [unrolled: 3-line block ×5, first 2 shown]
	v_fma_f64 v[2:3], v[38:39], v[4:5], -v[2:3]
	v_fmac_f64_e32 v[58:59], v[40:41], v[4:5]
	v_fma_f64 v[38:39], v[42:43], v[4:5], -v[60:61]
	v_fmac_f64_e32 v[62:63], v[44:45], v[4:5]
	;; [unrolled: 2-line block ×5, first 2 shown]
	s_mov_b32 s15, s14
	s_cmpk_eq_i32 s14, 0x380
	s_waitcnt vmcnt(4)
	v_add_f64 v[18:19], v[18:19], -v[2:3]
	v_add_f64 v[20:21], v[20:21], -v[58:59]
	s_waitcnt vmcnt(3)
	v_add_f64 v[22:23], v[22:23], -v[38:39]
	v_add_f64 v[24:25], v[24:25], -v[62:63]
	;; [unrolled: 3-line block ×5, first 2 shown]
	scratch_store_dwordx4 off, v[18:21], s4
	scratch_store_dwordx4 off, v[22:25], s5
	scratch_store_dwordx4 off, v[26:29], s12
	scratch_store_dwordx4 off, v[30:33], s13
	scratch_store_dwordx4 off, v[34:37], s16
	s_mov_b64 s[12:13], -1
	s_cbranch_scc1 .LBB126_74
; %bb.76:                               ;   in Loop: Header=BB126_75 Depth=1
	s_add_i32 s4, s15, 0x80
	scratch_load_dwordx4 v[18:21], off, s4
	s_add_i32 s5, s15, 0x90
	s_addk_i32 s15, 0xa0
	scratch_load_dwordx4 v[22:25], off, s5
	scratch_load_dwordx4 v[26:29], off, s15
	ds_read2_b64 v[30:33], v1 offset0:10 offset1:11
	ds_read2_b64 v[34:37], v1 offset0:12 offset1:13
	ds_read2_b64 v[38:41], v1 offset0:14 offset1:15
	s_addk_i32 s14, 0x80
	s_mov_b64 s[12:13], 0
	s_waitcnt lgkmcnt(2)
	v_mul_f64 v[2:3], v[32:33], v[6:7]
	v_mul_f64 v[42:43], v[30:31], v[6:7]
	s_waitcnt lgkmcnt(1)
	v_mul_f64 v[44:45], v[36:37], v[6:7]
	v_mul_f64 v[46:47], v[34:35], v[6:7]
	;; [unrolled: 3-line block ×3, first 2 shown]
	v_fma_f64 v[2:3], v[30:31], v[4:5], -v[2:3]
	v_fmac_f64_e32 v[42:43], v[32:33], v[4:5]
	v_fma_f64 v[30:31], v[34:35], v[4:5], -v[44:45]
	v_fmac_f64_e32 v[46:47], v[36:37], v[4:5]
	;; [unrolled: 2-line block ×3, first 2 shown]
	s_waitcnt vmcnt(2)
	v_add_f64 v[18:19], v[18:19], -v[2:3]
	v_add_f64 v[20:21], v[20:21], -v[42:43]
	s_waitcnt vmcnt(1)
	v_add_f64 v[22:23], v[22:23], -v[30:31]
	v_add_f64 v[24:25], v[24:25], -v[46:47]
	s_waitcnt vmcnt(0)
	v_add_f64 v[26:27], v[26:27], -v[32:33]
	v_add_f64 v[28:29], v[28:29], -v[50:51]
	scratch_store_dwordx4 off, v[18:21], s4
	scratch_store_dwordx4 off, v[22:25], s5
	;; [unrolled: 1-line block ×3, first 2 shown]
	s_branch .LBB126_74
.LBB126_77:
	s_or_b64 exec, exec, s[0:1]
	s_barrier
	scratch_load_dwordx4 v[0:3], off, s19
	v_lshl_add_u32 v4, v15, 4, v12
	s_mov_b32 s4, 4
	s_cmp_lt_i32 s67, 5
	s_waitcnt vmcnt(0)
	ds_write2_b64 v4, v[0:1], v[2:3] offset1:1
	s_waitcnt lgkmcnt(0)
	s_barrier
	ds_read2_b64 v[0:3], v12 offset0:6 offset1:7
	v_mov_b32_e32 v4, 3
	s_cbranch_scc1 .LBB126_80
; %bb.78:
	v_add3_u32 v5, v16, 0, 64
	v_mov_b32_e32 v4, 3
.LBB126_79:                             ; =>This Inner Loop Header: Depth=1
	ds_read2_b64 v[18:21], v5 offset1:1
	s_waitcnt lgkmcnt(1)
	v_xor_b32_e32 v7, 0x80000000, v1
	v_xor_b32_e32 v17, 0x80000000, v3
	v_cmp_gt_f64_e32 vcc, 0, v[2:3]
	v_cmp_gt_f64_e64 s[0:1], 0, v[0:1]
	v_mov_b32_e32 v6, v0
	v_mov_b32_e32 v22, v2
	v_cndmask_b32_e64 v7, v1, v7, s[0:1]
	v_cndmask_b32_e32 v23, v3, v17, vcc
	s_waitcnt lgkmcnt(0)
	v_xor_b32_e32 v17, 0x80000000, v19
	v_xor_b32_e32 v25, 0x80000000, v21
	v_cmp_gt_f64_e32 vcc, 0, v[20:21]
	v_cmp_gt_f64_e64 s[0:1], 0, v[18:19]
	v_add_f64 v[6:7], v[6:7], v[22:23]
	v_mov_b32_e32 v22, v18
	v_mov_b32_e32 v24, v20
	v_cndmask_b32_e64 v23, v19, v17, s[0:1]
	v_cndmask_b32_e32 v25, v21, v25, vcc
	v_add_f64 v[22:23], v[22:23], v[24:25]
	v_mov_b32_e32 v26, s4
	s_add_i32 s4, s4, 1
	v_cmp_lt_f64_e32 vcc, v[6:7], v[22:23]
	v_add_u32_e32 v5, 16, v5
	s_cmp_lg_u32 s67, s4
	v_cndmask_b32_e32 v1, v1, v19, vcc
	v_cndmask_b32_e32 v0, v0, v18, vcc
	;; [unrolled: 1-line block ×5, first 2 shown]
	s_cbranch_scc1 .LBB126_79
.LBB126_80:
	s_waitcnt lgkmcnt(0)
	v_cmp_eq_f64_e32 vcc, 0, v[0:1]
	v_cmp_eq_f64_e64 s[0:1], 0, v[2:3]
	s_and_b64 s[0:1], vcc, s[0:1]
	s_and_saveexec_b64 s[4:5], s[0:1]
	s_xor_b64 s[0:1], exec, s[4:5]
; %bb.81:
	v_cmp_ne_u32_e32 vcc, 0, v13
	s_nop 1
	v_cndmask_b32_e32 v13, 4, v13, vcc
; %bb.82:
	s_andn2_saveexec_b64 s[0:1], s[0:1]
	s_cbranch_execz .LBB126_88
; %bb.83:
	v_cmp_ngt_f64_e64 s[4:5], |v[0:1]|, |v[2:3]|
	s_and_saveexec_b64 s[12:13], s[4:5]
	s_xor_b64 s[12:13], exec, s[12:13]
	s_cbranch_execz .LBB126_85
; %bb.84:
	v_div_scale_f64 v[6:7], s[4:5], v[2:3], v[2:3], v[0:1]
	v_rcp_f64_e32 v[18:19], v[6:7]
	v_div_scale_f64 v[20:21], vcc, v[0:1], v[2:3], v[0:1]
	v_fma_f64 v[22:23], -v[6:7], v[18:19], 1.0
	v_fmac_f64_e32 v[18:19], v[18:19], v[22:23]
	v_fma_f64 v[22:23], -v[6:7], v[18:19], 1.0
	v_fmac_f64_e32 v[18:19], v[18:19], v[22:23]
	v_mul_f64 v[22:23], v[20:21], v[18:19]
	v_fma_f64 v[6:7], -v[6:7], v[22:23], v[20:21]
	v_div_fmas_f64 v[6:7], v[6:7], v[18:19], v[22:23]
	v_div_fixup_f64 v[6:7], v[6:7], v[2:3], v[0:1]
	v_fmac_f64_e32 v[2:3], v[0:1], v[6:7]
	v_div_scale_f64 v[0:1], s[4:5], v[2:3], v[2:3], 1.0
	v_rcp_f64_e32 v[18:19], v[0:1]
	s_nop 0
	v_fma_f64 v[20:21], -v[0:1], v[18:19], 1.0
	v_fmac_f64_e32 v[18:19], v[18:19], v[20:21]
	v_fma_f64 v[20:21], -v[0:1], v[18:19], 1.0
	v_fmac_f64_e32 v[18:19], v[18:19], v[20:21]
	v_div_scale_f64 v[20:21], vcc, 1.0, v[2:3], 1.0
	v_mul_f64 v[22:23], v[20:21], v[18:19]
	v_fma_f64 v[0:1], -v[0:1], v[22:23], v[20:21]
	s_nop 1
	v_div_fmas_f64 v[0:1], v[0:1], v[18:19], v[22:23]
	v_div_fixup_f64 v[2:3], v[0:1], v[2:3], 1.0
	v_mul_f64 v[0:1], v[6:7], v[2:3]
	v_xor_b32_e32 v3, 0x80000000, v3
.LBB126_85:
	s_andn2_saveexec_b64 s[12:13], s[12:13]
	s_cbranch_execz .LBB126_87
; %bb.86:
	v_div_scale_f64 v[6:7], s[4:5], v[0:1], v[0:1], v[2:3]
	v_rcp_f64_e32 v[18:19], v[6:7]
	v_div_scale_f64 v[20:21], vcc, v[2:3], v[0:1], v[2:3]
	v_fma_f64 v[22:23], -v[6:7], v[18:19], 1.0
	v_fmac_f64_e32 v[18:19], v[18:19], v[22:23]
	v_fma_f64 v[22:23], -v[6:7], v[18:19], 1.0
	v_fmac_f64_e32 v[18:19], v[18:19], v[22:23]
	v_mul_f64 v[22:23], v[20:21], v[18:19]
	v_fma_f64 v[6:7], -v[6:7], v[22:23], v[20:21]
	v_div_fmas_f64 v[6:7], v[6:7], v[18:19], v[22:23]
	v_div_fixup_f64 v[6:7], v[6:7], v[0:1], v[2:3]
	v_fmac_f64_e32 v[0:1], v[2:3], v[6:7]
	v_div_scale_f64 v[2:3], s[4:5], v[0:1], v[0:1], 1.0
	v_rcp_f64_e32 v[18:19], v[2:3]
	s_nop 0
	v_fma_f64 v[20:21], -v[2:3], v[18:19], 1.0
	v_fmac_f64_e32 v[18:19], v[18:19], v[20:21]
	v_fma_f64 v[20:21], -v[2:3], v[18:19], 1.0
	v_fmac_f64_e32 v[18:19], v[18:19], v[20:21]
	v_div_scale_f64 v[20:21], vcc, 1.0, v[0:1], 1.0
	v_mul_f64 v[22:23], v[20:21], v[18:19]
	v_fma_f64 v[2:3], -v[2:3], v[22:23], v[20:21]
	s_nop 1
	v_div_fmas_f64 v[2:3], v[2:3], v[18:19], v[22:23]
	v_div_fixup_f64 v[0:1], v[2:3], v[0:1], 1.0
	v_mul_f64 v[2:3], v[6:7], -v[0:1]
.LBB126_87:
	s_or_b64 exec, exec, s[12:13]
.LBB126_88:
	s_or_b64 exec, exec, s[0:1]
	v_cmp_ne_u32_e32 vcc, v15, v4
	s_and_saveexec_b64 s[0:1], vcc
	s_xor_b64 s[0:1], exec, s[0:1]
	s_cbranch_execz .LBB126_94
; %bb.89:
	v_cmp_eq_u32_e32 vcc, 3, v15
	s_and_saveexec_b64 s[12:13], vcc
	s_cbranch_execz .LBB126_93
; %bb.90:
	v_cmp_ne_u32_e32 vcc, 3, v4
	s_xor_b64 s[4:5], s[8:9], -1
	s_and_b64 s[4:5], s[4:5], vcc
	s_and_saveexec_b64 s[14:15], s[4:5]
	s_cbranch_execz .LBB126_92
; %bb.91:
	v_ashrrev_i32_e32 v5, 31, v4
	v_lshl_add_u64 v[6:7], v[4:5], 2, v[10:11]
	global_load_dword v5, v[6:7], off
	global_load_dword v14, v[10:11], off offset:12
	s_waitcnt vmcnt(1)
	global_store_dword v[10:11], v5, off offset:12
	s_waitcnt vmcnt(1)
	global_store_dword v[6:7], v14, off
.LBB126_92:
	s_or_b64 exec, exec, s[14:15]
	v_mov_b32_e32 v15, v4
	v_mov_b32_e32 v14, v4
.LBB126_93:
	s_or_b64 exec, exec, s[12:13]
.LBB126_94:
	s_andn2_saveexec_b64 s[0:1], s[0:1]
	s_cbranch_execz .LBB126_98
; %bb.95:
	s_mov_b32 s4, 0
	v_add3_u32 v4, v16, 0, 64
.LBB126_96:                             ; =>This Inner Loop Header: Depth=1
	s_add_i32 s12, s4, 64
	s_add_i32 s13, s4, 0x50
	;; [unrolled: 1-line block ×15, first 2 shown]
	scratch_load_dwordx4 v[18:21], off, s12
	scratch_load_dwordx4 v[22:25], off, s13
	;; [unrolled: 1-line block ×15, first 2 shown]
	v_add_u32_e32 v5, s4, v4
	s_addk_i32 s4, 0xf0
	s_cmpk_eq_i32 s4, 0x3c0
	s_waitcnt vmcnt(14)
	ds_write2_b64 v5, v[18:19], v[20:21] offset1:1
	s_waitcnt vmcnt(13)
	ds_write2_b64 v5, v[22:23], v[24:25] offset0:2 offset1:3
	s_waitcnt vmcnt(12)
	ds_write2_b64 v5, v[26:27], v[28:29] offset0:4 offset1:5
	s_waitcnt vmcnt(11)
	ds_write2_b64 v5, v[30:31], v[32:33] offset0:6 offset1:7
	s_waitcnt vmcnt(10)
	ds_write2_b64 v5, v[34:35], v[36:37] offset0:8 offset1:9
	s_waitcnt vmcnt(9)
	ds_write2_b64 v5, v[38:39], v[40:41] offset0:10 offset1:11
	s_waitcnt vmcnt(8)
	ds_write2_b64 v5, v[42:43], v[44:45] offset0:12 offset1:13
	s_waitcnt vmcnt(7)
	ds_write2_b64 v5, v[46:47], v[48:49] offset0:14 offset1:15
	s_waitcnt vmcnt(6)
	ds_write2_b64 v5, v[50:51], v[52:53] offset0:16 offset1:17
	s_waitcnt vmcnt(5)
	ds_write2_b64 v5, v[54:55], v[56:57] offset0:18 offset1:19
	s_waitcnt vmcnt(4)
	ds_write2_b64 v5, v[58:59], v[60:61] offset0:20 offset1:21
	s_waitcnt vmcnt(3)
	ds_write2_b64 v5, v[62:63], v[64:65] offset0:22 offset1:23
	s_waitcnt vmcnt(2)
	ds_write2_b64 v5, v[66:67], v[68:69] offset0:24 offset1:25
	s_waitcnt vmcnt(1)
	ds_write2_b64 v5, v[70:71], v[72:73] offset0:26 offset1:27
	s_waitcnt vmcnt(0)
	ds_write2_b64 v5, v[74:75], v[76:77] offset0:28 offset1:29
	s_cbranch_scc0 .LBB126_96
; %bb.97:
	v_mov_b32_e32 v15, 3
.LBB126_98:
	s_or_b64 exec, exec, s[0:1]
	v_cmp_lt_i32_e32 vcc, 3, v15
	s_waitcnt lgkmcnt(0)
	s_barrier
	s_and_saveexec_b64 s[0:1], vcc
	s_cbranch_execz .LBB126_101
; %bb.99:
	scratch_load_dwordx4 v[18:21], off, off offset:48
	s_mov_b32 s12, 0
	s_waitcnt vmcnt(0)
	v_mul_f64 v[4:5], v[2:3], v[20:21]
	v_mul_f64 v[6:7], v[0:1], v[20:21]
	v_fma_f64 v[4:5], v[0:1], v[18:19], -v[4:5]
	v_fmac_f64_e32 v[6:7], v[2:3], v[18:19]
	v_add3_u32 v0, v16, 0, 64
	scratch_store_dwordx4 off, v[4:7], off offset:48
.LBB126_100:                            ; =>This Inner Loop Header: Depth=1
	s_add_i32 s5, s12, 64
	s_add_i32 s13, s12, 0x50
	;; [unrolled: 1-line block ×6, first 2 shown]
	scratch_load_dwordx4 v[16:19], off, s5
	scratch_load_dwordx4 v[20:23], off, s13
	scratch_load_dwordx4 v[24:27], off, s14
	scratch_load_dwordx4 v[28:31], off, s15
	scratch_load_dwordx4 v[32:35], off, s16
	scratch_load_dwordx4 v[36:39], off, s4
	v_add_u32_e32 v1, s12, v0
	ds_read2_b64 v[40:43], v1 offset1:1
	ds_read2_b64 v[44:47], v1 offset0:2 offset1:3
	ds_read2_b64 v[48:51], v1 offset0:4 offset1:5
	;; [unrolled: 1-line block ×5, first 2 shown]
	s_waitcnt lgkmcnt(5)
	v_mul_f64 v[2:3], v[42:43], v[6:7]
	v_mul_f64 v[64:65], v[40:41], v[6:7]
	s_addk_i32 s12, 0x60
	s_waitcnt lgkmcnt(4)
	v_mul_f64 v[66:67], v[46:47], v[6:7]
	v_mul_f64 v[68:69], v[44:45], v[6:7]
	s_waitcnt lgkmcnt(3)
	v_mul_f64 v[70:71], v[50:51], v[6:7]
	v_mul_f64 v[72:73], v[48:49], v[6:7]
	;; [unrolled: 3-line block ×5, first 2 shown]
	v_fma_f64 v[2:3], v[40:41], v[4:5], -v[2:3]
	v_fmac_f64_e32 v[64:65], v[42:43], v[4:5]
	s_cmpk_lg_i32 s12, 0x3c0
	v_fma_f64 v[40:41], v[44:45], v[4:5], -v[66:67]
	v_fmac_f64_e32 v[68:69], v[46:47], v[4:5]
	v_fma_f64 v[42:43], v[48:49], v[4:5], -v[70:71]
	v_fmac_f64_e32 v[72:73], v[50:51], v[4:5]
	;; [unrolled: 2-line block ×5, first 2 shown]
	s_waitcnt vmcnt(5)
	v_add_f64 v[16:17], v[16:17], -v[2:3]
	v_add_f64 v[18:19], v[18:19], -v[64:65]
	s_waitcnt vmcnt(4)
	v_add_f64 v[20:21], v[20:21], -v[40:41]
	v_add_f64 v[22:23], v[22:23], -v[68:69]
	;; [unrolled: 3-line block ×6, first 2 shown]
	scratch_store_dwordx4 off, v[16:19], s5
	scratch_store_dwordx4 off, v[20:23], s13
	;; [unrolled: 1-line block ×6, first 2 shown]
	s_cbranch_scc1 .LBB126_100
.LBB126_101:
	s_or_b64 exec, exec, s[0:1]
	s_barrier
	scratch_load_dwordx4 v[0:3], off, s93
	v_lshl_add_u32 v4, v15, 4, v12
	s_cmp_lt_i32 s67, 6
	s_waitcnt vmcnt(0)
	ds_write2_b64 v4, v[0:1], v[2:3] offset1:1
	s_waitcnt lgkmcnt(0)
	s_barrier
	ds_read2_b64 v[0:3], v12 offset0:8 offset1:9
	v_mov_b32_e32 v4, 4
	s_cbranch_scc1 .LBB126_104
; %bb.102:
	v_mov_b32_e32 v4, 4
	v_add_u32_e32 v5, 0x50, v12
	s_mov_b32 s4, 5
.LBB126_103:                            ; =>This Inner Loop Header: Depth=1
	ds_read2_b64 v[16:19], v5 offset1:1
	s_waitcnt lgkmcnt(1)
	v_xor_b32_e32 v7, 0x80000000, v1
	v_xor_b32_e32 v21, 0x80000000, v3
	v_cmp_gt_f64_e32 vcc, 0, v[2:3]
	v_cmp_gt_f64_e64 s[0:1], 0, v[0:1]
	v_mov_b32_e32 v6, v0
	v_mov_b32_e32 v20, v2
	v_cndmask_b32_e64 v7, v1, v7, s[0:1]
	v_cndmask_b32_e32 v21, v3, v21, vcc
	v_add_f64 v[6:7], v[6:7], v[20:21]
	s_waitcnt lgkmcnt(0)
	v_xor_b32_e32 v21, 0x80000000, v17
	v_xor_b32_e32 v23, 0x80000000, v19
	v_cmp_gt_f64_e32 vcc, 0, v[18:19]
	v_cmp_gt_f64_e64 s[0:1], 0, v[16:17]
	v_mov_b32_e32 v20, v16
	v_mov_b32_e32 v22, v18
	v_cndmask_b32_e64 v21, v17, v21, s[0:1]
	v_cndmask_b32_e32 v23, v19, v23, vcc
	v_add_f64 v[20:21], v[20:21], v[22:23]
	v_mov_b32_e32 v24, s4
	s_add_i32 s4, s4, 1
	v_cmp_lt_f64_e32 vcc, v[6:7], v[20:21]
	v_add_u32_e32 v5, 16, v5
	s_cmp_lg_u32 s67, s4
	v_cndmask_b32_e32 v1, v1, v17, vcc
	v_cndmask_b32_e32 v0, v0, v16, vcc
	;; [unrolled: 1-line block ×5, first 2 shown]
	s_cbranch_scc1 .LBB126_103
.LBB126_104:
	s_waitcnt lgkmcnt(0)
	v_cmp_eq_f64_e32 vcc, 0, v[0:1]
	v_cmp_eq_f64_e64 s[0:1], 0, v[2:3]
	s_and_b64 s[0:1], vcc, s[0:1]
	s_and_saveexec_b64 s[4:5], s[0:1]
	s_xor_b64 s[0:1], exec, s[4:5]
; %bb.105:
	v_cmp_ne_u32_e32 vcc, 0, v13
	s_nop 1
	v_cndmask_b32_e32 v13, 5, v13, vcc
; %bb.106:
	s_andn2_saveexec_b64 s[0:1], s[0:1]
	s_cbranch_execz .LBB126_112
; %bb.107:
	v_cmp_ngt_f64_e64 s[4:5], |v[0:1]|, |v[2:3]|
	s_and_saveexec_b64 s[12:13], s[4:5]
	s_xor_b64 s[12:13], exec, s[12:13]
	s_cbranch_execz .LBB126_109
; %bb.108:
	v_div_scale_f64 v[6:7], s[4:5], v[2:3], v[2:3], v[0:1]
	v_rcp_f64_e32 v[16:17], v[6:7]
	v_div_scale_f64 v[18:19], vcc, v[0:1], v[2:3], v[0:1]
	v_fma_f64 v[20:21], -v[6:7], v[16:17], 1.0
	v_fmac_f64_e32 v[16:17], v[16:17], v[20:21]
	v_fma_f64 v[20:21], -v[6:7], v[16:17], 1.0
	v_fmac_f64_e32 v[16:17], v[16:17], v[20:21]
	v_mul_f64 v[20:21], v[18:19], v[16:17]
	v_fma_f64 v[6:7], -v[6:7], v[20:21], v[18:19]
	v_div_fmas_f64 v[6:7], v[6:7], v[16:17], v[20:21]
	v_div_fixup_f64 v[6:7], v[6:7], v[2:3], v[0:1]
	v_fmac_f64_e32 v[2:3], v[0:1], v[6:7]
	v_div_scale_f64 v[0:1], s[4:5], v[2:3], v[2:3], 1.0
	v_rcp_f64_e32 v[16:17], v[0:1]
	s_nop 0
	v_fma_f64 v[18:19], -v[0:1], v[16:17], 1.0
	v_fmac_f64_e32 v[16:17], v[16:17], v[18:19]
	v_fma_f64 v[18:19], -v[0:1], v[16:17], 1.0
	v_fmac_f64_e32 v[16:17], v[16:17], v[18:19]
	v_div_scale_f64 v[18:19], vcc, 1.0, v[2:3], 1.0
	v_mul_f64 v[20:21], v[18:19], v[16:17]
	v_fma_f64 v[0:1], -v[0:1], v[20:21], v[18:19]
	s_nop 1
	v_div_fmas_f64 v[0:1], v[0:1], v[16:17], v[20:21]
	v_div_fixup_f64 v[2:3], v[0:1], v[2:3], 1.0
	v_mul_f64 v[0:1], v[6:7], v[2:3]
	v_xor_b32_e32 v3, 0x80000000, v3
.LBB126_109:
	s_andn2_saveexec_b64 s[12:13], s[12:13]
	s_cbranch_execz .LBB126_111
; %bb.110:
	v_div_scale_f64 v[6:7], s[4:5], v[0:1], v[0:1], v[2:3]
	v_rcp_f64_e32 v[16:17], v[6:7]
	v_div_scale_f64 v[18:19], vcc, v[2:3], v[0:1], v[2:3]
	v_fma_f64 v[20:21], -v[6:7], v[16:17], 1.0
	v_fmac_f64_e32 v[16:17], v[16:17], v[20:21]
	v_fma_f64 v[20:21], -v[6:7], v[16:17], 1.0
	v_fmac_f64_e32 v[16:17], v[16:17], v[20:21]
	v_mul_f64 v[20:21], v[18:19], v[16:17]
	v_fma_f64 v[6:7], -v[6:7], v[20:21], v[18:19]
	v_div_fmas_f64 v[6:7], v[6:7], v[16:17], v[20:21]
	v_div_fixup_f64 v[6:7], v[6:7], v[0:1], v[2:3]
	v_fmac_f64_e32 v[0:1], v[2:3], v[6:7]
	v_div_scale_f64 v[2:3], s[4:5], v[0:1], v[0:1], 1.0
	v_rcp_f64_e32 v[16:17], v[2:3]
	s_nop 0
	v_fma_f64 v[18:19], -v[2:3], v[16:17], 1.0
	v_fmac_f64_e32 v[16:17], v[16:17], v[18:19]
	v_fma_f64 v[18:19], -v[2:3], v[16:17], 1.0
	v_fmac_f64_e32 v[16:17], v[16:17], v[18:19]
	v_div_scale_f64 v[18:19], vcc, 1.0, v[0:1], 1.0
	v_mul_f64 v[20:21], v[18:19], v[16:17]
	v_fma_f64 v[2:3], -v[2:3], v[20:21], v[18:19]
	s_nop 1
	v_div_fmas_f64 v[2:3], v[2:3], v[16:17], v[20:21]
	v_div_fixup_f64 v[0:1], v[2:3], v[0:1], 1.0
	v_mul_f64 v[2:3], v[6:7], -v[0:1]
.LBB126_111:
	s_or_b64 exec, exec, s[12:13]
.LBB126_112:
	s_or_b64 exec, exec, s[0:1]
	v_cmp_ne_u32_e32 vcc, v15, v4
	s_and_saveexec_b64 s[0:1], vcc
	s_xor_b64 s[0:1], exec, s[0:1]
	s_cbranch_execz .LBB126_118
; %bb.113:
	v_cmp_eq_u32_e32 vcc, 4, v15
	s_and_saveexec_b64 s[12:13], vcc
	s_cbranch_execz .LBB126_117
; %bb.114:
	v_cmp_ne_u32_e32 vcc, 4, v4
	s_xor_b64 s[4:5], s[8:9], -1
	s_and_b64 s[4:5], s[4:5], vcc
	s_and_saveexec_b64 s[14:15], s[4:5]
	s_cbranch_execz .LBB126_116
; %bb.115:
	v_ashrrev_i32_e32 v5, 31, v4
	v_lshl_add_u64 v[6:7], v[4:5], 2, v[10:11]
	global_load_dword v5, v[6:7], off
	global_load_dword v14, v[10:11], off offset:16
	s_waitcnt vmcnt(1)
	global_store_dword v[10:11], v5, off offset:16
	s_waitcnt vmcnt(1)
	global_store_dword v[6:7], v14, off
.LBB126_116:
	s_or_b64 exec, exec, s[14:15]
	v_mov_b32_e32 v15, v4
	v_mov_b32_e32 v14, v4
.LBB126_117:
	s_or_b64 exec, exec, s[12:13]
.LBB126_118:
	s_andn2_saveexec_b64 s[0:1], s[0:1]
	s_cbranch_execz .LBB126_124
; %bb.119:
	s_mov_b32 s4, 0
	v_add_u32_e32 v4, 0x50, v12
	s_branch .LBB126_121
.LBB126_120:                            ;   in Loop: Header=BB126_121 Depth=1
	s_andn2_b64 vcc, exec, s[12:13]
	s_cbranch_vccz .LBB126_123
.LBB126_121:                            ; =>This Inner Loop Header: Depth=1
	s_add_i32 s12, s4, 0x50
	s_add_i32 s13, s4, 0x60
	scratch_load_dwordx4 v[16:19], off, s12
	scratch_load_dwordx4 v[20:23], off, s13
	s_add_i32 s12, s4, 0x70
	scratch_load_dwordx4 v[24:27], off, s12
	s_mov_b32 s5, s4
	v_add_u32_e32 v5, s4, v4
	s_cmpk_eq_i32 s4, 0x380
	s_mov_b64 s[12:13], -1
	s_waitcnt vmcnt(2)
	ds_write2_b64 v5, v[16:17], v[18:19] offset1:1
	s_waitcnt vmcnt(1)
	ds_write2_b64 v5, v[20:21], v[22:23] offset0:2 offset1:3
	s_waitcnt vmcnt(0)
	ds_write2_b64 v5, v[24:25], v[26:27] offset0:4 offset1:5
	s_cbranch_scc1 .LBB126_120
; %bb.122:                              ;   in Loop: Header=BB126_121 Depth=1
	s_add_i32 s12, s5, 0x80
	s_add_i32 s13, s5, 0x90
	scratch_load_dwordx4 v[16:19], off, s12
	scratch_load_dwordx4 v[20:23], off, s13
	s_add_i32 s12, s5, 0xa0
	s_add_i32 s13, s5, 0xb0
	scratch_load_dwordx4 v[24:27], off, s12
	scratch_load_dwordx4 v[28:31], off, s13
	s_addk_i32 s5, 0xc0
	scratch_load_dwordx4 v[32:35], off, s5
	s_addk_i32 s4, 0x80
	s_mov_b64 s[12:13], 0
	s_waitcnt vmcnt(4)
	ds_write2_b64 v5, v[16:17], v[18:19] offset0:6 offset1:7
	s_waitcnt vmcnt(3)
	ds_write2_b64 v5, v[20:21], v[22:23] offset0:8 offset1:9
	s_waitcnt vmcnt(2)
	ds_write2_b64 v5, v[24:25], v[26:27] offset0:10 offset1:11
	s_waitcnt vmcnt(1)
	ds_write2_b64 v5, v[28:29], v[30:31] offset0:12 offset1:13
	s_waitcnt vmcnt(0)
	ds_write2_b64 v5, v[32:33], v[34:35] offset0:14 offset1:15
	s_branch .LBB126_120
.LBB126_123:
	v_mov_b32_e32 v15, 4
.LBB126_124:
	s_or_b64 exec, exec, s[0:1]
	v_cmp_lt_i32_e32 vcc, 4, v15
	s_waitcnt lgkmcnt(0)
	s_barrier
	s_and_saveexec_b64 s[0:1], vcc
	s_cbranch_execz .LBB126_129
; %bb.125:
	scratch_load_dwordx4 v[16:19], off, off offset:64
	s_mov_b32 s14, 0
	s_waitcnt vmcnt(0)
	v_mul_f64 v[4:5], v[2:3], v[18:19]
	v_mul_f64 v[6:7], v[0:1], v[18:19]
	v_fma_f64 v[4:5], v[0:1], v[16:17], -v[4:5]
	v_fmac_f64_e32 v[6:7], v[2:3], v[16:17]
	v_add_u32_e32 v0, 0x50, v12
	scratch_store_dwordx4 off, v[4:7], off offset:64
	s_branch .LBB126_127
.LBB126_126:                            ;   in Loop: Header=BB126_127 Depth=1
	s_andn2_b64 vcc, exec, s[12:13]
	s_cbranch_vccz .LBB126_129
.LBB126_127:                            ; =>This Inner Loop Header: Depth=1
	s_add_i32 s4, s14, 0x50
	scratch_load_dwordx4 v[16:19], off, s4
	s_add_i32 s5, s14, 0x60
	s_add_i32 s12, s14, 0x70
	scratch_load_dwordx4 v[20:23], off, s5
	scratch_load_dwordx4 v[24:27], off, s12
	v_add_u32_e32 v1, s14, v0
	ds_read2_b64 v[28:31], v1 offset1:1
	ds_read2_b64 v[32:35], v1 offset0:2 offset1:3
	ds_read2_b64 v[36:39], v1 offset0:4 offset1:5
	s_mov_b32 s15, s14
	s_cmpk_eq_i32 s14, 0x380
	s_waitcnt lgkmcnt(2)
	v_mul_f64 v[2:3], v[30:31], v[6:7]
	v_mul_f64 v[40:41], v[28:29], v[6:7]
	s_waitcnt lgkmcnt(1)
	v_mul_f64 v[42:43], v[34:35], v[6:7]
	v_mul_f64 v[44:45], v[32:33], v[6:7]
	;; [unrolled: 3-line block ×3, first 2 shown]
	v_fma_f64 v[2:3], v[28:29], v[4:5], -v[2:3]
	v_fmac_f64_e32 v[40:41], v[30:31], v[4:5]
	v_fma_f64 v[28:29], v[32:33], v[4:5], -v[42:43]
	v_fmac_f64_e32 v[44:45], v[34:35], v[4:5]
	;; [unrolled: 2-line block ×3, first 2 shown]
	s_waitcnt vmcnt(2)
	v_add_f64 v[16:17], v[16:17], -v[2:3]
	v_add_f64 v[18:19], v[18:19], -v[40:41]
	s_waitcnt vmcnt(1)
	v_add_f64 v[20:21], v[20:21], -v[28:29]
	v_add_f64 v[22:23], v[22:23], -v[44:45]
	;; [unrolled: 3-line block ×3, first 2 shown]
	scratch_store_dwordx4 off, v[16:19], s4
	scratch_store_dwordx4 off, v[20:23], s5
	;; [unrolled: 1-line block ×3, first 2 shown]
	s_mov_b64 s[12:13], -1
	s_cbranch_scc1 .LBB126_126
; %bb.128:                              ;   in Loop: Header=BB126_127 Depth=1
	s_add_i32 s4, s15, 0x80
	scratch_load_dwordx4 v[16:19], off, s4
	s_add_i32 s5, s15, 0x90
	s_add_i32 s12, s15, 0xa0
	;; [unrolled: 1-line block ×3, first 2 shown]
	s_addk_i32 s15, 0xc0
	scratch_load_dwordx4 v[20:23], off, s5
	scratch_load_dwordx4 v[24:27], off, s12
	;; [unrolled: 1-line block ×4, first 2 shown]
	ds_read2_b64 v[36:39], v1 offset0:6 offset1:7
	ds_read2_b64 v[40:43], v1 offset0:8 offset1:9
	;; [unrolled: 1-line block ×5, first 2 shown]
	s_waitcnt lgkmcnt(4)
	v_mul_f64 v[2:3], v[38:39], v[6:7]
	v_mul_f64 v[56:57], v[36:37], v[6:7]
	s_waitcnt lgkmcnt(3)
	v_mul_f64 v[58:59], v[42:43], v[6:7]
	v_mul_f64 v[60:61], v[40:41], v[6:7]
	;; [unrolled: 3-line block ×5, first 2 shown]
	v_fma_f64 v[2:3], v[36:37], v[4:5], -v[2:3]
	v_fmac_f64_e32 v[56:57], v[38:39], v[4:5]
	v_fma_f64 v[36:37], v[40:41], v[4:5], -v[58:59]
	v_fmac_f64_e32 v[60:61], v[42:43], v[4:5]
	;; [unrolled: 2-line block ×5, first 2 shown]
	s_addk_i32 s14, 0x80
	s_waitcnt vmcnt(4)
	v_add_f64 v[16:17], v[16:17], -v[2:3]
	v_add_f64 v[18:19], v[18:19], -v[56:57]
	s_waitcnt vmcnt(3)
	v_add_f64 v[20:21], v[20:21], -v[36:37]
	v_add_f64 v[22:23], v[22:23], -v[60:61]
	;; [unrolled: 3-line block ×5, first 2 shown]
	scratch_store_dwordx4 off, v[16:19], s4
	scratch_store_dwordx4 off, v[20:23], s5
	;; [unrolled: 1-line block ×5, first 2 shown]
	s_mov_b64 s[12:13], 0
	s_branch .LBB126_126
.LBB126_129:
	s_or_b64 exec, exec, s[0:1]
	s_barrier
	scratch_load_dwordx4 v[0:3], off, s92
	v_lshl_add_u32 v4, v15, 4, v12
	s_cmp_lt_i32 s67, 7
	s_waitcnt vmcnt(0)
	ds_write2_b64 v4, v[0:1], v[2:3] offset1:1
	s_waitcnt lgkmcnt(0)
	s_barrier
	ds_read2_b64 v[0:3], v12 offset0:10 offset1:11
	v_mov_b32_e32 v4, 5
	s_cbranch_scc1 .LBB126_132
; %bb.130:
	v_add_u32_e32 v5, 0x60, v12
	s_mov_b32 s4, 6
	v_mov_b32_e32 v4, 5
.LBB126_131:                            ; =>This Inner Loop Header: Depth=1
	ds_read2_b64 v[16:19], v5 offset1:1
	s_waitcnt lgkmcnt(1)
	v_xor_b32_e32 v7, 0x80000000, v1
	v_xor_b32_e32 v21, 0x80000000, v3
	v_cmp_gt_f64_e32 vcc, 0, v[2:3]
	v_cmp_gt_f64_e64 s[0:1], 0, v[0:1]
	v_mov_b32_e32 v6, v0
	v_mov_b32_e32 v20, v2
	v_cndmask_b32_e64 v7, v1, v7, s[0:1]
	v_cndmask_b32_e32 v21, v3, v21, vcc
	v_add_f64 v[6:7], v[6:7], v[20:21]
	s_waitcnt lgkmcnt(0)
	v_xor_b32_e32 v21, 0x80000000, v17
	v_xor_b32_e32 v23, 0x80000000, v19
	v_cmp_gt_f64_e32 vcc, 0, v[18:19]
	v_cmp_gt_f64_e64 s[0:1], 0, v[16:17]
	v_mov_b32_e32 v20, v16
	v_mov_b32_e32 v22, v18
	v_cndmask_b32_e64 v21, v17, v21, s[0:1]
	v_cndmask_b32_e32 v23, v19, v23, vcc
	v_add_f64 v[20:21], v[20:21], v[22:23]
	v_mov_b32_e32 v24, s4
	s_add_i32 s4, s4, 1
	v_cmp_lt_f64_e32 vcc, v[6:7], v[20:21]
	v_add_u32_e32 v5, 16, v5
	s_cmp_lg_u32 s67, s4
	v_cndmask_b32_e32 v1, v1, v17, vcc
	v_cndmask_b32_e32 v0, v0, v16, vcc
	;; [unrolled: 1-line block ×5, first 2 shown]
	s_cbranch_scc1 .LBB126_131
.LBB126_132:
	s_waitcnt lgkmcnt(0)
	v_cmp_eq_f64_e32 vcc, 0, v[0:1]
	v_cmp_eq_f64_e64 s[0:1], 0, v[2:3]
	s_and_b64 s[0:1], vcc, s[0:1]
	s_and_saveexec_b64 s[4:5], s[0:1]
	s_xor_b64 s[0:1], exec, s[4:5]
; %bb.133:
	v_cmp_ne_u32_e32 vcc, 0, v13
	s_nop 1
	v_cndmask_b32_e32 v13, 6, v13, vcc
; %bb.134:
	s_andn2_saveexec_b64 s[0:1], s[0:1]
	s_cbranch_execz .LBB126_140
; %bb.135:
	v_cmp_ngt_f64_e64 s[4:5], |v[0:1]|, |v[2:3]|
	s_and_saveexec_b64 s[12:13], s[4:5]
	s_xor_b64 s[12:13], exec, s[12:13]
	s_cbranch_execz .LBB126_137
; %bb.136:
	v_div_scale_f64 v[6:7], s[4:5], v[2:3], v[2:3], v[0:1]
	v_rcp_f64_e32 v[16:17], v[6:7]
	v_div_scale_f64 v[18:19], vcc, v[0:1], v[2:3], v[0:1]
	v_fma_f64 v[20:21], -v[6:7], v[16:17], 1.0
	v_fmac_f64_e32 v[16:17], v[16:17], v[20:21]
	v_fma_f64 v[20:21], -v[6:7], v[16:17], 1.0
	v_fmac_f64_e32 v[16:17], v[16:17], v[20:21]
	v_mul_f64 v[20:21], v[18:19], v[16:17]
	v_fma_f64 v[6:7], -v[6:7], v[20:21], v[18:19]
	v_div_fmas_f64 v[6:7], v[6:7], v[16:17], v[20:21]
	v_div_fixup_f64 v[6:7], v[6:7], v[2:3], v[0:1]
	v_fmac_f64_e32 v[2:3], v[0:1], v[6:7]
	v_div_scale_f64 v[0:1], s[4:5], v[2:3], v[2:3], 1.0
	v_rcp_f64_e32 v[16:17], v[0:1]
	s_nop 0
	v_fma_f64 v[18:19], -v[0:1], v[16:17], 1.0
	v_fmac_f64_e32 v[16:17], v[16:17], v[18:19]
	v_fma_f64 v[18:19], -v[0:1], v[16:17], 1.0
	v_fmac_f64_e32 v[16:17], v[16:17], v[18:19]
	v_div_scale_f64 v[18:19], vcc, 1.0, v[2:3], 1.0
	v_mul_f64 v[20:21], v[18:19], v[16:17]
	v_fma_f64 v[0:1], -v[0:1], v[20:21], v[18:19]
	s_nop 1
	v_div_fmas_f64 v[0:1], v[0:1], v[16:17], v[20:21]
	v_div_fixup_f64 v[2:3], v[0:1], v[2:3], 1.0
	v_mul_f64 v[0:1], v[6:7], v[2:3]
	v_xor_b32_e32 v3, 0x80000000, v3
.LBB126_137:
	s_andn2_saveexec_b64 s[12:13], s[12:13]
	s_cbranch_execz .LBB126_139
; %bb.138:
	v_div_scale_f64 v[6:7], s[4:5], v[0:1], v[0:1], v[2:3]
	v_rcp_f64_e32 v[16:17], v[6:7]
	v_div_scale_f64 v[18:19], vcc, v[2:3], v[0:1], v[2:3]
	v_fma_f64 v[20:21], -v[6:7], v[16:17], 1.0
	v_fmac_f64_e32 v[16:17], v[16:17], v[20:21]
	v_fma_f64 v[20:21], -v[6:7], v[16:17], 1.0
	v_fmac_f64_e32 v[16:17], v[16:17], v[20:21]
	v_mul_f64 v[20:21], v[18:19], v[16:17]
	v_fma_f64 v[6:7], -v[6:7], v[20:21], v[18:19]
	v_div_fmas_f64 v[6:7], v[6:7], v[16:17], v[20:21]
	v_div_fixup_f64 v[6:7], v[6:7], v[0:1], v[2:3]
	v_fmac_f64_e32 v[0:1], v[2:3], v[6:7]
	v_div_scale_f64 v[2:3], s[4:5], v[0:1], v[0:1], 1.0
	v_rcp_f64_e32 v[16:17], v[2:3]
	s_nop 0
	v_fma_f64 v[18:19], -v[2:3], v[16:17], 1.0
	v_fmac_f64_e32 v[16:17], v[16:17], v[18:19]
	v_fma_f64 v[18:19], -v[2:3], v[16:17], 1.0
	v_fmac_f64_e32 v[16:17], v[16:17], v[18:19]
	v_div_scale_f64 v[18:19], vcc, 1.0, v[0:1], 1.0
	v_mul_f64 v[20:21], v[18:19], v[16:17]
	v_fma_f64 v[2:3], -v[2:3], v[20:21], v[18:19]
	s_nop 1
	v_div_fmas_f64 v[2:3], v[2:3], v[16:17], v[20:21]
	v_div_fixup_f64 v[0:1], v[2:3], v[0:1], 1.0
	v_mul_f64 v[2:3], v[6:7], -v[0:1]
.LBB126_139:
	s_or_b64 exec, exec, s[12:13]
.LBB126_140:
	s_or_b64 exec, exec, s[0:1]
	v_cmp_ne_u32_e32 vcc, v15, v4
	s_and_saveexec_b64 s[0:1], vcc
	s_xor_b64 s[0:1], exec, s[0:1]
	s_cbranch_execz .LBB126_146
; %bb.141:
	v_cmp_eq_u32_e32 vcc, 5, v15
	s_and_saveexec_b64 s[12:13], vcc
	s_cbranch_execz .LBB126_145
; %bb.142:
	v_cmp_ne_u32_e32 vcc, 5, v4
	s_xor_b64 s[4:5], s[8:9], -1
	s_and_b64 s[4:5], s[4:5], vcc
	s_and_saveexec_b64 s[14:15], s[4:5]
	s_cbranch_execz .LBB126_144
; %bb.143:
	v_ashrrev_i32_e32 v5, 31, v4
	v_lshl_add_u64 v[6:7], v[4:5], 2, v[10:11]
	global_load_dword v5, v[6:7], off
	global_load_dword v14, v[10:11], off offset:20
	s_waitcnt vmcnt(1)
	global_store_dword v[10:11], v5, off offset:20
	s_waitcnt vmcnt(1)
	global_store_dword v[6:7], v14, off
.LBB126_144:
	s_or_b64 exec, exec, s[14:15]
	v_mov_b32_e32 v15, v4
	v_mov_b32_e32 v14, v4
.LBB126_145:
	s_or_b64 exec, exec, s[12:13]
.LBB126_146:
	s_andn2_saveexec_b64 s[0:1], s[0:1]
	s_cbranch_execz .LBB126_150
; %bb.147:
	s_mov_b32 s4, 0
	v_add_u32_e32 v4, 0x60, v12
.LBB126_148:                            ; =>This Inner Loop Header: Depth=1
	s_add_i32 s12, s4, 0x60
	s_add_i32 s5, s4, 0x70
	scratch_load_dwordx4 v[16:19], off, s12
	scratch_load_dwordx4 v[20:23], off, s5
	v_add_u32_e32 v5, s4, v4
	s_add_i32 s4, s4, 32
	s_cmpk_eq_i32 s4, 0x3a0
	s_waitcnt vmcnt(1)
	ds_write2_b64 v5, v[16:17], v[18:19] offset1:1
	s_waitcnt vmcnt(0)
	ds_write2_b64 v5, v[20:21], v[22:23] offset0:2 offset1:3
	s_cbranch_scc0 .LBB126_148
; %bb.149:
	v_mov_b32_e32 v15, 5
.LBB126_150:
	s_or_b64 exec, exec, s[0:1]
	v_cmp_lt_i32_e32 vcc, 5, v15
	s_waitcnt lgkmcnt(0)
	s_barrier
	s_and_saveexec_b64 s[0:1], vcc
	s_cbranch_execz .LBB126_153
; %bb.151:
	scratch_load_dwordx4 v[16:19], off, off offset:80
	s_mov_b32 s4, 0
	s_waitcnt vmcnt(0)
	v_mul_f64 v[4:5], v[2:3], v[18:19]
	v_mul_f64 v[6:7], v[0:1], v[18:19]
	v_fma_f64 v[4:5], v[0:1], v[16:17], -v[4:5]
	v_fmac_f64_e32 v[6:7], v[2:3], v[16:17]
	v_add_u32_e32 v0, 0x60, v12
	scratch_store_dwordx4 off, v[4:7], off offset:80
.LBB126_152:                            ; =>This Inner Loop Header: Depth=1
	s_add_i32 s12, s4, 0x60
	s_add_i32 s5, s4, 0x70
	scratch_load_dwordx4 v[16:19], off, s12
	scratch_load_dwordx4 v[20:23], off, s5
	v_add_u32_e32 v1, s4, v0
	ds_read2_b64 v[24:27], v1 offset1:1
	ds_read2_b64 v[28:31], v1 offset0:2 offset1:3
	s_add_i32 s4, s4, 32
	s_cmpk_lg_i32 s4, 0x3a0
	s_waitcnt lgkmcnt(1)
	v_mul_f64 v[2:3], v[26:27], v[6:7]
	v_mul_f64 v[32:33], v[24:25], v[6:7]
	s_waitcnt lgkmcnt(0)
	v_mul_f64 v[34:35], v[30:31], v[6:7]
	v_mul_f64 v[36:37], v[28:29], v[6:7]
	v_fma_f64 v[2:3], v[24:25], v[4:5], -v[2:3]
	v_fmac_f64_e32 v[32:33], v[26:27], v[4:5]
	v_fma_f64 v[24:25], v[28:29], v[4:5], -v[34:35]
	v_fmac_f64_e32 v[36:37], v[30:31], v[4:5]
	s_waitcnt vmcnt(1)
	v_add_f64 v[16:17], v[16:17], -v[2:3]
	v_add_f64 v[18:19], v[18:19], -v[32:33]
	s_waitcnt vmcnt(0)
	v_add_f64 v[20:21], v[20:21], -v[24:25]
	v_add_f64 v[22:23], v[22:23], -v[36:37]
	scratch_store_dwordx4 off, v[16:19], s12
	scratch_store_dwordx4 off, v[20:23], s5
	s_cbranch_scc1 .LBB126_152
.LBB126_153:
	s_or_b64 exec, exec, s[0:1]
	s_barrier
	scratch_load_dwordx4 v[0:3], off, s91
	v_lshl_add_u32 v4, v15, 4, v12
	s_cmp_lt_i32 s67, 8
	s_waitcnt vmcnt(0)
	ds_write2_b64 v4, v[0:1], v[2:3] offset1:1
	s_waitcnt lgkmcnt(0)
	s_barrier
	ds_read2_b64 v[0:3], v12 offset0:12 offset1:13
	v_mov_b32_e32 v4, 6
	s_cbranch_scc1 .LBB126_156
; %bb.154:
	v_add_u32_e32 v5, 0x70, v12
	s_mov_b32 s4, 7
	v_mov_b32_e32 v4, 6
.LBB126_155:                            ; =>This Inner Loop Header: Depth=1
	ds_read2_b64 v[16:19], v5 offset1:1
	s_waitcnt lgkmcnt(1)
	v_xor_b32_e32 v7, 0x80000000, v1
	v_xor_b32_e32 v21, 0x80000000, v3
	v_cmp_gt_f64_e32 vcc, 0, v[2:3]
	v_cmp_gt_f64_e64 s[0:1], 0, v[0:1]
	v_mov_b32_e32 v6, v0
	v_mov_b32_e32 v20, v2
	v_cndmask_b32_e64 v7, v1, v7, s[0:1]
	v_cndmask_b32_e32 v21, v3, v21, vcc
	v_add_f64 v[6:7], v[6:7], v[20:21]
	s_waitcnt lgkmcnt(0)
	v_xor_b32_e32 v21, 0x80000000, v17
	v_xor_b32_e32 v23, 0x80000000, v19
	v_cmp_gt_f64_e32 vcc, 0, v[18:19]
	v_cmp_gt_f64_e64 s[0:1], 0, v[16:17]
	v_mov_b32_e32 v20, v16
	v_mov_b32_e32 v22, v18
	v_cndmask_b32_e64 v21, v17, v21, s[0:1]
	v_cndmask_b32_e32 v23, v19, v23, vcc
	v_add_f64 v[20:21], v[20:21], v[22:23]
	v_mov_b32_e32 v24, s4
	s_add_i32 s4, s4, 1
	v_cmp_lt_f64_e32 vcc, v[6:7], v[20:21]
	v_add_u32_e32 v5, 16, v5
	s_cmp_lg_u32 s67, s4
	v_cndmask_b32_e32 v1, v1, v17, vcc
	v_cndmask_b32_e32 v0, v0, v16, vcc
	;; [unrolled: 1-line block ×5, first 2 shown]
	s_cbranch_scc1 .LBB126_155
.LBB126_156:
	s_waitcnt lgkmcnt(0)
	v_cmp_eq_f64_e32 vcc, 0, v[0:1]
	v_cmp_eq_f64_e64 s[0:1], 0, v[2:3]
	s_and_b64 s[0:1], vcc, s[0:1]
	s_and_saveexec_b64 s[4:5], s[0:1]
	s_xor_b64 s[0:1], exec, s[4:5]
; %bb.157:
	v_cmp_ne_u32_e32 vcc, 0, v13
	s_nop 1
	v_cndmask_b32_e32 v13, 7, v13, vcc
; %bb.158:
	s_andn2_saveexec_b64 s[0:1], s[0:1]
	s_cbranch_execz .LBB126_164
; %bb.159:
	v_cmp_ngt_f64_e64 s[4:5], |v[0:1]|, |v[2:3]|
	s_and_saveexec_b64 s[12:13], s[4:5]
	s_xor_b64 s[12:13], exec, s[12:13]
	s_cbranch_execz .LBB126_161
; %bb.160:
	v_div_scale_f64 v[6:7], s[4:5], v[2:3], v[2:3], v[0:1]
	v_rcp_f64_e32 v[16:17], v[6:7]
	v_div_scale_f64 v[18:19], vcc, v[0:1], v[2:3], v[0:1]
	v_fma_f64 v[20:21], -v[6:7], v[16:17], 1.0
	v_fmac_f64_e32 v[16:17], v[16:17], v[20:21]
	v_fma_f64 v[20:21], -v[6:7], v[16:17], 1.0
	v_fmac_f64_e32 v[16:17], v[16:17], v[20:21]
	v_mul_f64 v[20:21], v[18:19], v[16:17]
	v_fma_f64 v[6:7], -v[6:7], v[20:21], v[18:19]
	v_div_fmas_f64 v[6:7], v[6:7], v[16:17], v[20:21]
	v_div_fixup_f64 v[6:7], v[6:7], v[2:3], v[0:1]
	v_fmac_f64_e32 v[2:3], v[0:1], v[6:7]
	v_div_scale_f64 v[0:1], s[4:5], v[2:3], v[2:3], 1.0
	v_rcp_f64_e32 v[16:17], v[0:1]
	s_nop 0
	v_fma_f64 v[18:19], -v[0:1], v[16:17], 1.0
	v_fmac_f64_e32 v[16:17], v[16:17], v[18:19]
	v_fma_f64 v[18:19], -v[0:1], v[16:17], 1.0
	v_fmac_f64_e32 v[16:17], v[16:17], v[18:19]
	v_div_scale_f64 v[18:19], vcc, 1.0, v[2:3], 1.0
	v_mul_f64 v[20:21], v[18:19], v[16:17]
	v_fma_f64 v[0:1], -v[0:1], v[20:21], v[18:19]
	s_nop 1
	v_div_fmas_f64 v[0:1], v[0:1], v[16:17], v[20:21]
	v_div_fixup_f64 v[2:3], v[0:1], v[2:3], 1.0
	v_mul_f64 v[0:1], v[6:7], v[2:3]
	v_xor_b32_e32 v3, 0x80000000, v3
.LBB126_161:
	s_andn2_saveexec_b64 s[12:13], s[12:13]
	s_cbranch_execz .LBB126_163
; %bb.162:
	v_div_scale_f64 v[6:7], s[4:5], v[0:1], v[0:1], v[2:3]
	v_rcp_f64_e32 v[16:17], v[6:7]
	v_div_scale_f64 v[18:19], vcc, v[2:3], v[0:1], v[2:3]
	v_fma_f64 v[20:21], -v[6:7], v[16:17], 1.0
	v_fmac_f64_e32 v[16:17], v[16:17], v[20:21]
	v_fma_f64 v[20:21], -v[6:7], v[16:17], 1.0
	v_fmac_f64_e32 v[16:17], v[16:17], v[20:21]
	v_mul_f64 v[20:21], v[18:19], v[16:17]
	v_fma_f64 v[6:7], -v[6:7], v[20:21], v[18:19]
	v_div_fmas_f64 v[6:7], v[6:7], v[16:17], v[20:21]
	v_div_fixup_f64 v[6:7], v[6:7], v[0:1], v[2:3]
	v_fmac_f64_e32 v[0:1], v[2:3], v[6:7]
	v_div_scale_f64 v[2:3], s[4:5], v[0:1], v[0:1], 1.0
	v_rcp_f64_e32 v[16:17], v[2:3]
	s_nop 0
	v_fma_f64 v[18:19], -v[2:3], v[16:17], 1.0
	v_fmac_f64_e32 v[16:17], v[16:17], v[18:19]
	v_fma_f64 v[18:19], -v[2:3], v[16:17], 1.0
	v_fmac_f64_e32 v[16:17], v[16:17], v[18:19]
	v_div_scale_f64 v[18:19], vcc, 1.0, v[0:1], 1.0
	v_mul_f64 v[20:21], v[18:19], v[16:17]
	v_fma_f64 v[2:3], -v[2:3], v[20:21], v[18:19]
	s_nop 1
	v_div_fmas_f64 v[2:3], v[2:3], v[16:17], v[20:21]
	v_div_fixup_f64 v[0:1], v[2:3], v[0:1], 1.0
	v_mul_f64 v[2:3], v[6:7], -v[0:1]
.LBB126_163:
	s_or_b64 exec, exec, s[12:13]
.LBB126_164:
	s_or_b64 exec, exec, s[0:1]
	v_cmp_ne_u32_e32 vcc, v15, v4
	s_and_saveexec_b64 s[0:1], vcc
	s_xor_b64 s[0:1], exec, s[0:1]
	s_cbranch_execz .LBB126_170
; %bb.165:
	v_cmp_eq_u32_e32 vcc, 6, v15
	s_and_saveexec_b64 s[12:13], vcc
	s_cbranch_execz .LBB126_169
; %bb.166:
	v_cmp_ne_u32_e32 vcc, 6, v4
	s_xor_b64 s[4:5], s[8:9], -1
	s_and_b64 s[4:5], s[4:5], vcc
	s_and_saveexec_b64 s[14:15], s[4:5]
	s_cbranch_execz .LBB126_168
; %bb.167:
	v_ashrrev_i32_e32 v5, 31, v4
	v_lshl_add_u64 v[6:7], v[4:5], 2, v[10:11]
	global_load_dword v5, v[6:7], off
	global_load_dword v14, v[10:11], off offset:24
	s_waitcnt vmcnt(1)
	global_store_dword v[10:11], v5, off offset:24
	s_waitcnt vmcnt(1)
	global_store_dword v[6:7], v14, off
.LBB126_168:
	s_or_b64 exec, exec, s[14:15]
	v_mov_b32_e32 v15, v4
	v_mov_b32_e32 v14, v4
.LBB126_169:
	s_or_b64 exec, exec, s[12:13]
.LBB126_170:
	s_andn2_saveexec_b64 s[0:1], s[0:1]
	s_cbranch_execz .LBB126_174
; %bb.171:
	s_mov_b32 s4, 0
	v_add_u32_e32 v4, 0x70, v12
.LBB126_172:                            ; =>This Inner Loop Header: Depth=1
	s_add_i32 s12, s4, 0x70
	s_add_i32 s13, s4, 0x80
	;; [unrolled: 1-line block ×3, first 2 shown]
	scratch_load_dwordx4 v[16:19], off, s12
	scratch_load_dwordx4 v[20:23], off, s13
	;; [unrolled: 1-line block ×3, first 2 shown]
	v_add_u32_e32 v5, s4, v4
	s_add_i32 s4, s4, 48
	s_cmpk_eq_i32 s4, 0x390
	s_waitcnt vmcnt(2)
	ds_write2_b64 v5, v[16:17], v[18:19] offset1:1
	s_waitcnt vmcnt(1)
	ds_write2_b64 v5, v[20:21], v[22:23] offset0:2 offset1:3
	s_waitcnt vmcnt(0)
	ds_write2_b64 v5, v[24:25], v[26:27] offset0:4 offset1:5
	s_cbranch_scc0 .LBB126_172
; %bb.173:
	v_mov_b32_e32 v15, 6
.LBB126_174:
	s_or_b64 exec, exec, s[0:1]
	v_cmp_lt_i32_e32 vcc, 6, v15
	s_waitcnt lgkmcnt(0)
	s_barrier
	s_and_saveexec_b64 s[0:1], vcc
	s_cbranch_execz .LBB126_177
; %bb.175:
	scratch_load_dwordx4 v[16:19], off, off offset:96
	s_mov_b32 s4, 0
	s_waitcnt vmcnt(0)
	v_mul_f64 v[4:5], v[2:3], v[18:19]
	v_mul_f64 v[6:7], v[0:1], v[18:19]
	v_fma_f64 v[4:5], v[0:1], v[16:17], -v[4:5]
	v_fmac_f64_e32 v[6:7], v[2:3], v[16:17]
	v_add_u32_e32 v0, 0x70, v12
	scratch_store_dwordx4 off, v[4:7], off offset:96
.LBB126_176:                            ; =>This Inner Loop Header: Depth=1
	s_add_i32 s12, s4, 0x70
	s_add_i32 s13, s4, 0x80
	;; [unrolled: 1-line block ×3, first 2 shown]
	scratch_load_dwordx4 v[16:19], off, s12
	scratch_load_dwordx4 v[20:23], off, s13
	;; [unrolled: 1-line block ×3, first 2 shown]
	v_add_u32_e32 v1, s4, v0
	ds_read2_b64 v[28:31], v1 offset1:1
	ds_read2_b64 v[32:35], v1 offset0:2 offset1:3
	ds_read2_b64 v[36:39], v1 offset0:4 offset1:5
	s_add_i32 s4, s4, 48
	s_cmpk_lg_i32 s4, 0x390
	s_waitcnt lgkmcnt(2)
	v_mul_f64 v[2:3], v[30:31], v[6:7]
	v_mul_f64 v[40:41], v[28:29], v[6:7]
	s_waitcnt lgkmcnt(1)
	v_mul_f64 v[42:43], v[34:35], v[6:7]
	v_mul_f64 v[44:45], v[32:33], v[6:7]
	;; [unrolled: 3-line block ×3, first 2 shown]
	v_fma_f64 v[2:3], v[28:29], v[4:5], -v[2:3]
	v_fmac_f64_e32 v[40:41], v[30:31], v[4:5]
	v_fma_f64 v[28:29], v[32:33], v[4:5], -v[42:43]
	v_fmac_f64_e32 v[44:45], v[34:35], v[4:5]
	;; [unrolled: 2-line block ×3, first 2 shown]
	s_waitcnt vmcnt(2)
	v_add_f64 v[16:17], v[16:17], -v[2:3]
	v_add_f64 v[18:19], v[18:19], -v[40:41]
	s_waitcnt vmcnt(1)
	v_add_f64 v[20:21], v[20:21], -v[28:29]
	v_add_f64 v[22:23], v[22:23], -v[44:45]
	;; [unrolled: 3-line block ×3, first 2 shown]
	scratch_store_dwordx4 off, v[16:19], s12
	scratch_store_dwordx4 off, v[20:23], s13
	;; [unrolled: 1-line block ×3, first 2 shown]
	s_cbranch_scc1 .LBB126_176
.LBB126_177:
	s_or_b64 exec, exec, s[0:1]
	s_barrier
	scratch_load_dwordx4 v[0:3], off, s90
	v_lshl_add_u32 v4, v15, 4, v12
	s_cmp_lt_i32 s67, 9
	s_waitcnt vmcnt(0)
	ds_write2_b64 v4, v[0:1], v[2:3] offset1:1
	s_waitcnt lgkmcnt(0)
	s_barrier
	ds_read2_b64 v[0:3], v12 offset0:14 offset1:15
	v_mov_b32_e32 v4, 7
	s_cbranch_scc1 .LBB126_180
; %bb.178:
	v_add_u32_e32 v5, 0x80, v12
	s_mov_b32 s4, 8
	v_mov_b32_e32 v4, 7
.LBB126_179:                            ; =>This Inner Loop Header: Depth=1
	ds_read2_b64 v[16:19], v5 offset1:1
	s_waitcnt lgkmcnt(1)
	v_xor_b32_e32 v7, 0x80000000, v1
	v_xor_b32_e32 v21, 0x80000000, v3
	v_cmp_gt_f64_e32 vcc, 0, v[2:3]
	v_cmp_gt_f64_e64 s[0:1], 0, v[0:1]
	v_mov_b32_e32 v6, v0
	v_mov_b32_e32 v20, v2
	v_cndmask_b32_e64 v7, v1, v7, s[0:1]
	v_cndmask_b32_e32 v21, v3, v21, vcc
	v_add_f64 v[6:7], v[6:7], v[20:21]
	s_waitcnt lgkmcnt(0)
	v_xor_b32_e32 v21, 0x80000000, v17
	v_xor_b32_e32 v23, 0x80000000, v19
	v_cmp_gt_f64_e32 vcc, 0, v[18:19]
	v_cmp_gt_f64_e64 s[0:1], 0, v[16:17]
	v_mov_b32_e32 v20, v16
	v_mov_b32_e32 v22, v18
	v_cndmask_b32_e64 v21, v17, v21, s[0:1]
	v_cndmask_b32_e32 v23, v19, v23, vcc
	v_add_f64 v[20:21], v[20:21], v[22:23]
	v_mov_b32_e32 v24, s4
	s_add_i32 s4, s4, 1
	v_cmp_lt_f64_e32 vcc, v[6:7], v[20:21]
	v_add_u32_e32 v5, 16, v5
	s_cmp_lg_u32 s67, s4
	v_cndmask_b32_e32 v1, v1, v17, vcc
	v_cndmask_b32_e32 v0, v0, v16, vcc
	;; [unrolled: 1-line block ×5, first 2 shown]
	s_cbranch_scc1 .LBB126_179
.LBB126_180:
	s_waitcnt lgkmcnt(0)
	v_cmp_eq_f64_e32 vcc, 0, v[0:1]
	v_cmp_eq_f64_e64 s[0:1], 0, v[2:3]
	s_and_b64 s[0:1], vcc, s[0:1]
	s_and_saveexec_b64 s[4:5], s[0:1]
	s_xor_b64 s[0:1], exec, s[4:5]
; %bb.181:
	v_cmp_ne_u32_e32 vcc, 0, v13
	s_nop 1
	v_cndmask_b32_e32 v13, 8, v13, vcc
; %bb.182:
	s_andn2_saveexec_b64 s[0:1], s[0:1]
	s_cbranch_execz .LBB126_188
; %bb.183:
	v_cmp_ngt_f64_e64 s[4:5], |v[0:1]|, |v[2:3]|
	s_and_saveexec_b64 s[12:13], s[4:5]
	s_xor_b64 s[12:13], exec, s[12:13]
	s_cbranch_execz .LBB126_185
; %bb.184:
	v_div_scale_f64 v[6:7], s[4:5], v[2:3], v[2:3], v[0:1]
	v_rcp_f64_e32 v[16:17], v[6:7]
	v_div_scale_f64 v[18:19], vcc, v[0:1], v[2:3], v[0:1]
	v_fma_f64 v[20:21], -v[6:7], v[16:17], 1.0
	v_fmac_f64_e32 v[16:17], v[16:17], v[20:21]
	v_fma_f64 v[20:21], -v[6:7], v[16:17], 1.0
	v_fmac_f64_e32 v[16:17], v[16:17], v[20:21]
	v_mul_f64 v[20:21], v[18:19], v[16:17]
	v_fma_f64 v[6:7], -v[6:7], v[20:21], v[18:19]
	v_div_fmas_f64 v[6:7], v[6:7], v[16:17], v[20:21]
	v_div_fixup_f64 v[6:7], v[6:7], v[2:3], v[0:1]
	v_fmac_f64_e32 v[2:3], v[0:1], v[6:7]
	v_div_scale_f64 v[0:1], s[4:5], v[2:3], v[2:3], 1.0
	v_rcp_f64_e32 v[16:17], v[0:1]
	s_nop 0
	v_fma_f64 v[18:19], -v[0:1], v[16:17], 1.0
	v_fmac_f64_e32 v[16:17], v[16:17], v[18:19]
	v_fma_f64 v[18:19], -v[0:1], v[16:17], 1.0
	v_fmac_f64_e32 v[16:17], v[16:17], v[18:19]
	v_div_scale_f64 v[18:19], vcc, 1.0, v[2:3], 1.0
	v_mul_f64 v[20:21], v[18:19], v[16:17]
	v_fma_f64 v[0:1], -v[0:1], v[20:21], v[18:19]
	s_nop 1
	v_div_fmas_f64 v[0:1], v[0:1], v[16:17], v[20:21]
	v_div_fixup_f64 v[2:3], v[0:1], v[2:3], 1.0
	v_mul_f64 v[0:1], v[6:7], v[2:3]
	v_xor_b32_e32 v3, 0x80000000, v3
.LBB126_185:
	s_andn2_saveexec_b64 s[12:13], s[12:13]
	s_cbranch_execz .LBB126_187
; %bb.186:
	v_div_scale_f64 v[6:7], s[4:5], v[0:1], v[0:1], v[2:3]
	v_rcp_f64_e32 v[16:17], v[6:7]
	v_div_scale_f64 v[18:19], vcc, v[2:3], v[0:1], v[2:3]
	v_fma_f64 v[20:21], -v[6:7], v[16:17], 1.0
	v_fmac_f64_e32 v[16:17], v[16:17], v[20:21]
	v_fma_f64 v[20:21], -v[6:7], v[16:17], 1.0
	v_fmac_f64_e32 v[16:17], v[16:17], v[20:21]
	v_mul_f64 v[20:21], v[18:19], v[16:17]
	v_fma_f64 v[6:7], -v[6:7], v[20:21], v[18:19]
	v_div_fmas_f64 v[6:7], v[6:7], v[16:17], v[20:21]
	v_div_fixup_f64 v[6:7], v[6:7], v[0:1], v[2:3]
	v_fmac_f64_e32 v[0:1], v[2:3], v[6:7]
	v_div_scale_f64 v[2:3], s[4:5], v[0:1], v[0:1], 1.0
	v_rcp_f64_e32 v[16:17], v[2:3]
	s_nop 0
	v_fma_f64 v[18:19], -v[2:3], v[16:17], 1.0
	v_fmac_f64_e32 v[16:17], v[16:17], v[18:19]
	v_fma_f64 v[18:19], -v[2:3], v[16:17], 1.0
	v_fmac_f64_e32 v[16:17], v[16:17], v[18:19]
	v_div_scale_f64 v[18:19], vcc, 1.0, v[0:1], 1.0
	v_mul_f64 v[20:21], v[18:19], v[16:17]
	v_fma_f64 v[2:3], -v[2:3], v[20:21], v[18:19]
	s_nop 1
	v_div_fmas_f64 v[2:3], v[2:3], v[16:17], v[20:21]
	v_div_fixup_f64 v[0:1], v[2:3], v[0:1], 1.0
	v_mul_f64 v[2:3], v[6:7], -v[0:1]
.LBB126_187:
	s_or_b64 exec, exec, s[12:13]
.LBB126_188:
	s_or_b64 exec, exec, s[0:1]
	v_cmp_ne_u32_e32 vcc, v15, v4
	s_and_saveexec_b64 s[0:1], vcc
	s_xor_b64 s[0:1], exec, s[0:1]
	s_cbranch_execz .LBB126_194
; %bb.189:
	v_cmp_eq_u32_e32 vcc, 7, v15
	s_and_saveexec_b64 s[12:13], vcc
	s_cbranch_execz .LBB126_193
; %bb.190:
	v_cmp_ne_u32_e32 vcc, 7, v4
	s_xor_b64 s[4:5], s[8:9], -1
	s_and_b64 s[4:5], s[4:5], vcc
	s_and_saveexec_b64 s[14:15], s[4:5]
	s_cbranch_execz .LBB126_192
; %bb.191:
	v_ashrrev_i32_e32 v5, 31, v4
	v_lshl_add_u64 v[6:7], v[4:5], 2, v[10:11]
	global_load_dword v5, v[6:7], off
	global_load_dword v14, v[10:11], off offset:28
	s_waitcnt vmcnt(1)
	global_store_dword v[10:11], v5, off offset:28
	s_waitcnt vmcnt(1)
	global_store_dword v[6:7], v14, off
.LBB126_192:
	s_or_b64 exec, exec, s[14:15]
	v_mov_b32_e32 v15, v4
	v_mov_b32_e32 v14, v4
.LBB126_193:
	s_or_b64 exec, exec, s[12:13]
.LBB126_194:
	s_andn2_saveexec_b64 s[0:1], s[0:1]
	s_cbranch_execz .LBB126_198
; %bb.195:
	s_mov_b32 s4, 0
	v_add_u32_e32 v4, 0x80, v12
.LBB126_196:                            ; =>This Inner Loop Header: Depth=1
	s_add_i32 s12, s4, 0x80
	s_add_i32 s13, s4, 0x90
	;; [unrolled: 1-line block ×14, first 2 shown]
	scratch_load_dwordx4 v[16:19], off, s12
	scratch_load_dwordx4 v[20:23], off, s13
	;; [unrolled: 1-line block ×14, first 2 shown]
	v_add_u32_e32 v5, s4, v4
	s_addk_i32 s4, 0xe0
	s_cmpk_eq_i32 s4, 0x380
	s_waitcnt vmcnt(13)
	ds_write2_b64 v5, v[16:17], v[18:19] offset1:1
	s_waitcnt vmcnt(12)
	ds_write2_b64 v5, v[20:21], v[22:23] offset0:2 offset1:3
	s_waitcnt vmcnt(11)
	ds_write2_b64 v5, v[24:25], v[26:27] offset0:4 offset1:5
	;; [unrolled: 2-line block ×13, first 2 shown]
	s_cbranch_scc0 .LBB126_196
; %bb.197:
	v_mov_b32_e32 v15, 7
.LBB126_198:
	s_or_b64 exec, exec, s[0:1]
	v_cmp_lt_i32_e32 vcc, 7, v15
	s_waitcnt lgkmcnt(0)
	s_barrier
	s_and_saveexec_b64 s[0:1], vcc
	s_cbranch_execz .LBB126_201
; %bb.199:
	scratch_load_dwordx4 v[16:19], off, off offset:112
	s_mov_b32 s12, 0
	s_waitcnt vmcnt(0)
	v_mul_f64 v[4:5], v[2:3], v[18:19]
	v_mul_f64 v[6:7], v[0:1], v[18:19]
	v_fma_f64 v[4:5], v[0:1], v[16:17], -v[4:5]
	v_fmac_f64_e32 v[6:7], v[2:3], v[16:17]
	v_add_u32_e32 v0, 0x80, v12
	scratch_store_dwordx4 off, v[4:7], off offset:112
.LBB126_200:                            ; =>This Inner Loop Header: Depth=1
	v_add_u32_e32 v1, s12, v0
	ds_read2_b64 v[16:19], v1 offset1:1
	ds_read2_b64 v[20:23], v1 offset0:2 offset1:3
	ds_read2_b64 v[24:27], v1 offset0:4 offset1:5
	;; [unrolled: 1-line block ×5, first 2 shown]
	s_add_i32 s13, s12, 0x80
	s_waitcnt lgkmcnt(5)
	v_mul_f64 v[2:3], v[18:19], v[6:7]
	v_mul_f64 v[68:69], v[16:17], v[6:7]
	s_waitcnt lgkmcnt(4)
	v_mul_f64 v[70:71], v[22:23], v[6:7]
	v_mul_f64 v[72:73], v[20:21], v[6:7]
	;; [unrolled: 3-line block ×6, first 2 shown]
	s_add_i32 s14, s12, 0x90
	s_add_i32 s5, s12, 0xa0
	;; [unrolled: 1-line block ×7, first 2 shown]
	scratch_load_dwordx4 v[40:43], off, s13
	scratch_load_dwordx4 v[44:47], off, s14
	;; [unrolled: 1-line block ×7, first 2 shown]
	v_fma_f64 v[2:3], v[16:17], v[4:5], -v[2:3]
	v_fmac_f64_e32 v[68:69], v[18:19], v[4:5]
	v_fma_f64 v[70:71], v[20:21], v[4:5], -v[70:71]
	v_fmac_f64_e32 v[72:73], v[22:23], v[4:5]
	;; [unrolled: 2-line block ×6, first 2 shown]
	scratch_load_dwordx4 v[4:7], off, off offset:112
	scratch_load_dwordx4 v[16:19], off, s4
	ds_read2_b64 v[20:23], v1 offset0:12 offset1:13
	ds_read2_b64 v[24:27], v1 offset0:14 offset1:15
	s_addk_i32 s12, 0x80
	s_cmpk_lg_i32 s12, 0x380
	s_waitcnt vmcnt(8)
	v_add_f64 v[28:29], v[40:41], -v[2:3]
	v_add_f64 v[30:31], v[42:43], -v[68:69]
	s_waitcnt vmcnt(7)
	v_add_f64 v[32:33], v[44:45], -v[70:71]
	v_add_f64 v[34:35], v[46:47], -v[72:73]
	;; [unrolled: 3-line block ×6, first 2 shown]
	scratch_store_dwordx4 off, v[28:31], s13
	scratch_store_dwordx4 off, v[32:35], s14
	;; [unrolled: 1-line block ×6, first 2 shown]
	s_waitcnt vmcnt(7) lgkmcnt(1)
	v_mul_f64 v[2:3], v[22:23], v[6:7]
	v_mul_f64 v[28:29], v[20:21], v[6:7]
	s_waitcnt lgkmcnt(0)
	v_mul_f64 v[30:31], v[26:27], v[6:7]
	v_mul_f64 v[32:33], v[24:25], v[6:7]
	v_fma_f64 v[2:3], v[20:21], v[4:5], -v[2:3]
	v_fmac_f64_e32 v[28:29], v[22:23], v[4:5]
	v_fma_f64 v[24:25], v[24:25], v[4:5], -v[30:31]
	v_fmac_f64_e32 v[32:33], v[26:27], v[4:5]
	v_add_f64 v[20:21], v[64:65], -v[2:3]
	v_add_f64 v[22:23], v[66:67], -v[28:29]
	s_waitcnt vmcnt(6)
	v_add_f64 v[16:17], v[16:17], -v[24:25]
	v_add_f64 v[18:19], v[18:19], -v[32:33]
	scratch_store_dwordx4 off, v[20:23], s69
	scratch_store_dwordx4 off, v[16:19], s4
	s_cbranch_scc1 .LBB126_200
.LBB126_201:
	s_or_b64 exec, exec, s[0:1]
	s_barrier
	scratch_load_dwordx4 v[0:3], off, s89
	v_lshl_add_u32 v4, v15, 4, v12
	s_cmp_lt_i32 s67, 10
	s_waitcnt vmcnt(0)
	ds_write2_b64 v4, v[0:1], v[2:3] offset1:1
	s_waitcnt lgkmcnt(0)
	s_barrier
	ds_read2_b64 v[0:3], v12 offset0:16 offset1:17
	v_mov_b32_e32 v4, 8
	s_cbranch_scc1 .LBB126_204
; %bb.202:
	v_add_u32_e32 v5, 0x90, v12
	s_mov_b32 s4, 9
	v_mov_b32_e32 v4, 8
.LBB126_203:                            ; =>This Inner Loop Header: Depth=1
	ds_read2_b64 v[16:19], v5 offset1:1
	s_waitcnt lgkmcnt(1)
	v_xor_b32_e32 v7, 0x80000000, v1
	v_xor_b32_e32 v21, 0x80000000, v3
	v_cmp_gt_f64_e32 vcc, 0, v[2:3]
	v_cmp_gt_f64_e64 s[0:1], 0, v[0:1]
	v_mov_b32_e32 v6, v0
	v_mov_b32_e32 v20, v2
	v_cndmask_b32_e64 v7, v1, v7, s[0:1]
	v_cndmask_b32_e32 v21, v3, v21, vcc
	v_add_f64 v[6:7], v[6:7], v[20:21]
	s_waitcnt lgkmcnt(0)
	v_xor_b32_e32 v21, 0x80000000, v17
	v_xor_b32_e32 v23, 0x80000000, v19
	v_cmp_gt_f64_e32 vcc, 0, v[18:19]
	v_cmp_gt_f64_e64 s[0:1], 0, v[16:17]
	v_mov_b32_e32 v20, v16
	v_mov_b32_e32 v22, v18
	v_cndmask_b32_e64 v21, v17, v21, s[0:1]
	v_cndmask_b32_e32 v23, v19, v23, vcc
	v_add_f64 v[20:21], v[20:21], v[22:23]
	v_mov_b32_e32 v24, s4
	s_add_i32 s4, s4, 1
	v_cmp_lt_f64_e32 vcc, v[6:7], v[20:21]
	v_add_u32_e32 v5, 16, v5
	s_cmp_lg_u32 s67, s4
	v_cndmask_b32_e32 v1, v1, v17, vcc
	v_cndmask_b32_e32 v0, v0, v16, vcc
	;; [unrolled: 1-line block ×5, first 2 shown]
	s_cbranch_scc1 .LBB126_203
.LBB126_204:
	s_waitcnt lgkmcnt(0)
	v_cmp_eq_f64_e32 vcc, 0, v[0:1]
	v_cmp_eq_f64_e64 s[0:1], 0, v[2:3]
	s_and_b64 s[0:1], vcc, s[0:1]
	s_and_saveexec_b64 s[4:5], s[0:1]
	s_xor_b64 s[0:1], exec, s[4:5]
; %bb.205:
	v_cmp_ne_u32_e32 vcc, 0, v13
	s_nop 1
	v_cndmask_b32_e32 v13, 9, v13, vcc
; %bb.206:
	s_andn2_saveexec_b64 s[0:1], s[0:1]
	s_cbranch_execz .LBB126_212
; %bb.207:
	v_cmp_ngt_f64_e64 s[4:5], |v[0:1]|, |v[2:3]|
	s_and_saveexec_b64 s[12:13], s[4:5]
	s_xor_b64 s[12:13], exec, s[12:13]
	s_cbranch_execz .LBB126_209
; %bb.208:
	v_div_scale_f64 v[6:7], s[4:5], v[2:3], v[2:3], v[0:1]
	v_rcp_f64_e32 v[16:17], v[6:7]
	v_div_scale_f64 v[18:19], vcc, v[0:1], v[2:3], v[0:1]
	v_fma_f64 v[20:21], -v[6:7], v[16:17], 1.0
	v_fmac_f64_e32 v[16:17], v[16:17], v[20:21]
	v_fma_f64 v[20:21], -v[6:7], v[16:17], 1.0
	v_fmac_f64_e32 v[16:17], v[16:17], v[20:21]
	v_mul_f64 v[20:21], v[18:19], v[16:17]
	v_fma_f64 v[6:7], -v[6:7], v[20:21], v[18:19]
	v_div_fmas_f64 v[6:7], v[6:7], v[16:17], v[20:21]
	v_div_fixup_f64 v[6:7], v[6:7], v[2:3], v[0:1]
	v_fmac_f64_e32 v[2:3], v[0:1], v[6:7]
	v_div_scale_f64 v[0:1], s[4:5], v[2:3], v[2:3], 1.0
	v_rcp_f64_e32 v[16:17], v[0:1]
	s_nop 0
	v_fma_f64 v[18:19], -v[0:1], v[16:17], 1.0
	v_fmac_f64_e32 v[16:17], v[16:17], v[18:19]
	v_fma_f64 v[18:19], -v[0:1], v[16:17], 1.0
	v_fmac_f64_e32 v[16:17], v[16:17], v[18:19]
	v_div_scale_f64 v[18:19], vcc, 1.0, v[2:3], 1.0
	v_mul_f64 v[20:21], v[18:19], v[16:17]
	v_fma_f64 v[0:1], -v[0:1], v[20:21], v[18:19]
	s_nop 1
	v_div_fmas_f64 v[0:1], v[0:1], v[16:17], v[20:21]
	v_div_fixup_f64 v[2:3], v[0:1], v[2:3], 1.0
	v_mul_f64 v[0:1], v[6:7], v[2:3]
	v_xor_b32_e32 v3, 0x80000000, v3
.LBB126_209:
	s_andn2_saveexec_b64 s[12:13], s[12:13]
	s_cbranch_execz .LBB126_211
; %bb.210:
	v_div_scale_f64 v[6:7], s[4:5], v[0:1], v[0:1], v[2:3]
	v_rcp_f64_e32 v[16:17], v[6:7]
	v_div_scale_f64 v[18:19], vcc, v[2:3], v[0:1], v[2:3]
	v_fma_f64 v[20:21], -v[6:7], v[16:17], 1.0
	v_fmac_f64_e32 v[16:17], v[16:17], v[20:21]
	v_fma_f64 v[20:21], -v[6:7], v[16:17], 1.0
	v_fmac_f64_e32 v[16:17], v[16:17], v[20:21]
	v_mul_f64 v[20:21], v[18:19], v[16:17]
	v_fma_f64 v[6:7], -v[6:7], v[20:21], v[18:19]
	v_div_fmas_f64 v[6:7], v[6:7], v[16:17], v[20:21]
	v_div_fixup_f64 v[6:7], v[6:7], v[0:1], v[2:3]
	v_fmac_f64_e32 v[0:1], v[2:3], v[6:7]
	v_div_scale_f64 v[2:3], s[4:5], v[0:1], v[0:1], 1.0
	v_rcp_f64_e32 v[16:17], v[2:3]
	s_nop 0
	v_fma_f64 v[18:19], -v[2:3], v[16:17], 1.0
	v_fmac_f64_e32 v[16:17], v[16:17], v[18:19]
	v_fma_f64 v[18:19], -v[2:3], v[16:17], 1.0
	v_fmac_f64_e32 v[16:17], v[16:17], v[18:19]
	v_div_scale_f64 v[18:19], vcc, 1.0, v[0:1], 1.0
	v_mul_f64 v[20:21], v[18:19], v[16:17]
	v_fma_f64 v[2:3], -v[2:3], v[20:21], v[18:19]
	s_nop 1
	v_div_fmas_f64 v[2:3], v[2:3], v[16:17], v[20:21]
	v_div_fixup_f64 v[0:1], v[2:3], v[0:1], 1.0
	v_mul_f64 v[2:3], v[6:7], -v[0:1]
.LBB126_211:
	s_or_b64 exec, exec, s[12:13]
.LBB126_212:
	s_or_b64 exec, exec, s[0:1]
	v_cmp_ne_u32_e32 vcc, v15, v4
	s_and_saveexec_b64 s[0:1], vcc
	s_xor_b64 s[0:1], exec, s[0:1]
	s_cbranch_execz .LBB126_218
; %bb.213:
	v_cmp_eq_u32_e32 vcc, 8, v15
	s_and_saveexec_b64 s[12:13], vcc
	s_cbranch_execz .LBB126_217
; %bb.214:
	v_cmp_ne_u32_e32 vcc, 8, v4
	s_xor_b64 s[4:5], s[8:9], -1
	s_and_b64 s[4:5], s[4:5], vcc
	s_and_saveexec_b64 s[14:15], s[4:5]
	s_cbranch_execz .LBB126_216
; %bb.215:
	v_ashrrev_i32_e32 v5, 31, v4
	v_lshl_add_u64 v[6:7], v[4:5], 2, v[10:11]
	global_load_dword v5, v[6:7], off
	global_load_dword v14, v[10:11], off offset:32
	s_waitcnt vmcnt(1)
	global_store_dword v[10:11], v5, off offset:32
	s_waitcnt vmcnt(1)
	global_store_dword v[6:7], v14, off
.LBB126_216:
	s_or_b64 exec, exec, s[14:15]
	v_mov_b32_e32 v15, v4
	v_mov_b32_e32 v14, v4
.LBB126_217:
	s_or_b64 exec, exec, s[12:13]
.LBB126_218:
	s_andn2_saveexec_b64 s[0:1], s[0:1]
	s_cbranch_execz .LBB126_222
; %bb.219:
	s_mov_b32 s4, 0
	v_add_u32_e32 v4, 0x90, v12
.LBB126_220:                            ; =>This Inner Loop Header: Depth=1
	s_add_i32 s12, s4, 0x90
	s_add_i32 s13, s4, 0xa0
	;; [unrolled: 1-line block ×11, first 2 shown]
	scratch_load_dwordx4 v[16:19], off, s12
	scratch_load_dwordx4 v[20:23], off, s13
	scratch_load_dwordx4 v[24:27], off, s14
	scratch_load_dwordx4 v[28:31], off, s15
	scratch_load_dwordx4 v[32:35], off, s16
	scratch_load_dwordx4 v[36:39], off, s68
	scratch_load_dwordx4 v[40:43], off, s69
	scratch_load_dwordx4 v[44:47], off, s70
	scratch_load_dwordx4 v[48:51], off, s71
	scratch_load_dwordx4 v[52:55], off, s72
	scratch_load_dwordx4 v[56:59], off, s5
	v_add_u32_e32 v5, s4, v4
	s_addk_i32 s4, 0xb0
	s_cmpk_eq_i32 s4, 0x370
	s_waitcnt vmcnt(10)
	ds_write2_b64 v5, v[16:17], v[18:19] offset1:1
	s_waitcnt vmcnt(9)
	ds_write2_b64 v5, v[20:21], v[22:23] offset0:2 offset1:3
	s_waitcnt vmcnt(8)
	ds_write2_b64 v5, v[24:25], v[26:27] offset0:4 offset1:5
	;; [unrolled: 2-line block ×10, first 2 shown]
	s_cbranch_scc0 .LBB126_220
; %bb.221:
	v_mov_b32_e32 v15, 8
.LBB126_222:
	s_or_b64 exec, exec, s[0:1]
	v_cmp_lt_i32_e32 vcc, 8, v15
	s_waitcnt lgkmcnt(0)
	s_barrier
	s_and_saveexec_b64 s[0:1], vcc
	s_cbranch_execz .LBB126_225
; %bb.223:
	scratch_load_dwordx4 v[16:19], off, off offset:128
	s_mov_b32 s4, 0
	s_waitcnt vmcnt(0)
	v_mul_f64 v[4:5], v[2:3], v[18:19]
	v_mul_f64 v[6:7], v[0:1], v[18:19]
	v_fma_f64 v[4:5], v[0:1], v[16:17], -v[4:5]
	v_fmac_f64_e32 v[6:7], v[2:3], v[16:17]
	v_add_u32_e32 v0, 0x90, v12
	scratch_store_dwordx4 off, v[4:7], off offset:128
.LBB126_224:                            ; =>This Inner Loop Header: Depth=1
	s_add_i32 s12, s4, 0x90
	s_add_i32 s13, s4, 0xa0
	;; [unrolled: 1-line block ×5, first 2 shown]
	scratch_load_dwordx4 v[16:19], off, s12
	scratch_load_dwordx4 v[20:23], off, s13
	;; [unrolled: 1-line block ×5, first 2 shown]
	v_add_u32_e32 v1, s4, v0
	ds_read2_b64 v[36:39], v1 offset1:1
	ds_read2_b64 v[40:43], v1 offset0:2 offset1:3
	ds_read2_b64 v[44:47], v1 offset0:4 offset1:5
	;; [unrolled: 1-line block ×4, first 2 shown]
	s_waitcnt lgkmcnt(4)
	v_mul_f64 v[2:3], v[38:39], v[6:7]
	v_mul_f64 v[56:57], v[36:37], v[6:7]
	s_addk_i32 s4, 0x50
	s_waitcnt lgkmcnt(3)
	v_mul_f64 v[58:59], v[42:43], v[6:7]
	v_mul_f64 v[60:61], v[40:41], v[6:7]
	s_waitcnt lgkmcnt(2)
	v_mul_f64 v[62:63], v[46:47], v[6:7]
	v_mul_f64 v[64:65], v[44:45], v[6:7]
	s_waitcnt lgkmcnt(1)
	v_mul_f64 v[66:67], v[50:51], v[6:7]
	v_mul_f64 v[68:69], v[48:49], v[6:7]
	s_waitcnt lgkmcnt(0)
	v_mul_f64 v[70:71], v[54:55], v[6:7]
	v_mul_f64 v[72:73], v[52:53], v[6:7]
	v_fma_f64 v[2:3], v[36:37], v[4:5], -v[2:3]
	v_fmac_f64_e32 v[56:57], v[38:39], v[4:5]
	s_cmpk_lg_i32 s4, 0x370
	v_fma_f64 v[36:37], v[40:41], v[4:5], -v[58:59]
	v_fmac_f64_e32 v[60:61], v[42:43], v[4:5]
	v_fma_f64 v[38:39], v[44:45], v[4:5], -v[62:63]
	v_fmac_f64_e32 v[64:65], v[46:47], v[4:5]
	;; [unrolled: 2-line block ×4, first 2 shown]
	s_waitcnt vmcnt(4)
	v_add_f64 v[16:17], v[16:17], -v[2:3]
	v_add_f64 v[18:19], v[18:19], -v[56:57]
	s_waitcnt vmcnt(3)
	v_add_f64 v[20:21], v[20:21], -v[36:37]
	v_add_f64 v[22:23], v[22:23], -v[60:61]
	;; [unrolled: 3-line block ×5, first 2 shown]
	scratch_store_dwordx4 off, v[16:19], s12
	scratch_store_dwordx4 off, v[20:23], s13
	;; [unrolled: 1-line block ×5, first 2 shown]
	s_cbranch_scc1 .LBB126_224
.LBB126_225:
	s_or_b64 exec, exec, s[0:1]
	s_barrier
	scratch_load_dwordx4 v[0:3], off, s88
	v_lshl_add_u32 v4, v15, 4, v12
	s_cmp_lt_i32 s67, 11
	s_waitcnt vmcnt(0)
	ds_write2_b64 v4, v[0:1], v[2:3] offset1:1
	s_waitcnt lgkmcnt(0)
	s_barrier
	ds_read2_b64 v[0:3], v12 offset0:18 offset1:19
	v_mov_b32_e32 v4, 9
	s_cbranch_scc1 .LBB126_228
; %bb.226:
	v_add_u32_e32 v5, 0xa0, v12
	s_mov_b32 s4, 10
	v_mov_b32_e32 v4, 9
.LBB126_227:                            ; =>This Inner Loop Header: Depth=1
	ds_read2_b64 v[16:19], v5 offset1:1
	s_waitcnt lgkmcnt(1)
	v_xor_b32_e32 v7, 0x80000000, v1
	v_xor_b32_e32 v21, 0x80000000, v3
	v_cmp_gt_f64_e32 vcc, 0, v[2:3]
	v_cmp_gt_f64_e64 s[0:1], 0, v[0:1]
	v_mov_b32_e32 v6, v0
	v_mov_b32_e32 v20, v2
	v_cndmask_b32_e64 v7, v1, v7, s[0:1]
	v_cndmask_b32_e32 v21, v3, v21, vcc
	v_add_f64 v[6:7], v[6:7], v[20:21]
	s_waitcnt lgkmcnt(0)
	v_xor_b32_e32 v21, 0x80000000, v17
	v_xor_b32_e32 v23, 0x80000000, v19
	v_cmp_gt_f64_e32 vcc, 0, v[18:19]
	v_cmp_gt_f64_e64 s[0:1], 0, v[16:17]
	v_mov_b32_e32 v20, v16
	v_mov_b32_e32 v22, v18
	v_cndmask_b32_e64 v21, v17, v21, s[0:1]
	v_cndmask_b32_e32 v23, v19, v23, vcc
	v_add_f64 v[20:21], v[20:21], v[22:23]
	v_mov_b32_e32 v24, s4
	s_add_i32 s4, s4, 1
	v_cmp_lt_f64_e32 vcc, v[6:7], v[20:21]
	v_add_u32_e32 v5, 16, v5
	s_cmp_lg_u32 s67, s4
	v_cndmask_b32_e32 v1, v1, v17, vcc
	v_cndmask_b32_e32 v0, v0, v16, vcc
	;; [unrolled: 1-line block ×5, first 2 shown]
	s_cbranch_scc1 .LBB126_227
.LBB126_228:
	s_waitcnt lgkmcnt(0)
	v_cmp_eq_f64_e32 vcc, 0, v[0:1]
	v_cmp_eq_f64_e64 s[0:1], 0, v[2:3]
	s_and_b64 s[0:1], vcc, s[0:1]
	s_and_saveexec_b64 s[4:5], s[0:1]
	s_xor_b64 s[0:1], exec, s[4:5]
; %bb.229:
	v_cmp_ne_u32_e32 vcc, 0, v13
	s_nop 1
	v_cndmask_b32_e32 v13, 10, v13, vcc
; %bb.230:
	s_andn2_saveexec_b64 s[0:1], s[0:1]
	s_cbranch_execz .LBB126_236
; %bb.231:
	v_cmp_ngt_f64_e64 s[4:5], |v[0:1]|, |v[2:3]|
	s_and_saveexec_b64 s[12:13], s[4:5]
	s_xor_b64 s[12:13], exec, s[12:13]
	s_cbranch_execz .LBB126_233
; %bb.232:
	v_div_scale_f64 v[6:7], s[4:5], v[2:3], v[2:3], v[0:1]
	v_rcp_f64_e32 v[16:17], v[6:7]
	v_div_scale_f64 v[18:19], vcc, v[0:1], v[2:3], v[0:1]
	v_fma_f64 v[20:21], -v[6:7], v[16:17], 1.0
	v_fmac_f64_e32 v[16:17], v[16:17], v[20:21]
	v_fma_f64 v[20:21], -v[6:7], v[16:17], 1.0
	v_fmac_f64_e32 v[16:17], v[16:17], v[20:21]
	v_mul_f64 v[20:21], v[18:19], v[16:17]
	v_fma_f64 v[6:7], -v[6:7], v[20:21], v[18:19]
	v_div_fmas_f64 v[6:7], v[6:7], v[16:17], v[20:21]
	v_div_fixup_f64 v[6:7], v[6:7], v[2:3], v[0:1]
	v_fmac_f64_e32 v[2:3], v[0:1], v[6:7]
	v_div_scale_f64 v[0:1], s[4:5], v[2:3], v[2:3], 1.0
	v_rcp_f64_e32 v[16:17], v[0:1]
	s_nop 0
	v_fma_f64 v[18:19], -v[0:1], v[16:17], 1.0
	v_fmac_f64_e32 v[16:17], v[16:17], v[18:19]
	v_fma_f64 v[18:19], -v[0:1], v[16:17], 1.0
	v_fmac_f64_e32 v[16:17], v[16:17], v[18:19]
	v_div_scale_f64 v[18:19], vcc, 1.0, v[2:3], 1.0
	v_mul_f64 v[20:21], v[18:19], v[16:17]
	v_fma_f64 v[0:1], -v[0:1], v[20:21], v[18:19]
	s_nop 1
	v_div_fmas_f64 v[0:1], v[0:1], v[16:17], v[20:21]
	v_div_fixup_f64 v[2:3], v[0:1], v[2:3], 1.0
	v_mul_f64 v[0:1], v[6:7], v[2:3]
	v_xor_b32_e32 v3, 0x80000000, v3
.LBB126_233:
	s_andn2_saveexec_b64 s[12:13], s[12:13]
	s_cbranch_execz .LBB126_235
; %bb.234:
	v_div_scale_f64 v[6:7], s[4:5], v[0:1], v[0:1], v[2:3]
	v_rcp_f64_e32 v[16:17], v[6:7]
	v_div_scale_f64 v[18:19], vcc, v[2:3], v[0:1], v[2:3]
	v_fma_f64 v[20:21], -v[6:7], v[16:17], 1.0
	v_fmac_f64_e32 v[16:17], v[16:17], v[20:21]
	v_fma_f64 v[20:21], -v[6:7], v[16:17], 1.0
	v_fmac_f64_e32 v[16:17], v[16:17], v[20:21]
	v_mul_f64 v[20:21], v[18:19], v[16:17]
	v_fma_f64 v[6:7], -v[6:7], v[20:21], v[18:19]
	v_div_fmas_f64 v[6:7], v[6:7], v[16:17], v[20:21]
	v_div_fixup_f64 v[6:7], v[6:7], v[0:1], v[2:3]
	v_fmac_f64_e32 v[0:1], v[2:3], v[6:7]
	v_div_scale_f64 v[2:3], s[4:5], v[0:1], v[0:1], 1.0
	v_rcp_f64_e32 v[16:17], v[2:3]
	s_nop 0
	v_fma_f64 v[18:19], -v[2:3], v[16:17], 1.0
	v_fmac_f64_e32 v[16:17], v[16:17], v[18:19]
	v_fma_f64 v[18:19], -v[2:3], v[16:17], 1.0
	v_fmac_f64_e32 v[16:17], v[16:17], v[18:19]
	v_div_scale_f64 v[18:19], vcc, 1.0, v[0:1], 1.0
	v_mul_f64 v[20:21], v[18:19], v[16:17]
	v_fma_f64 v[2:3], -v[2:3], v[20:21], v[18:19]
	s_nop 1
	v_div_fmas_f64 v[2:3], v[2:3], v[16:17], v[20:21]
	v_div_fixup_f64 v[0:1], v[2:3], v[0:1], 1.0
	v_mul_f64 v[2:3], v[6:7], -v[0:1]
.LBB126_235:
	s_or_b64 exec, exec, s[12:13]
.LBB126_236:
	s_or_b64 exec, exec, s[0:1]
	v_cmp_ne_u32_e32 vcc, v15, v4
	s_and_saveexec_b64 s[0:1], vcc
	s_xor_b64 s[0:1], exec, s[0:1]
	s_cbranch_execz .LBB126_242
; %bb.237:
	v_cmp_eq_u32_e32 vcc, 9, v15
	s_and_saveexec_b64 s[12:13], vcc
	s_cbranch_execz .LBB126_241
; %bb.238:
	v_cmp_ne_u32_e32 vcc, 9, v4
	s_xor_b64 s[4:5], s[8:9], -1
	s_and_b64 s[4:5], s[4:5], vcc
	s_and_saveexec_b64 s[14:15], s[4:5]
	s_cbranch_execz .LBB126_240
; %bb.239:
	v_ashrrev_i32_e32 v5, 31, v4
	v_lshl_add_u64 v[6:7], v[4:5], 2, v[10:11]
	global_load_dword v5, v[6:7], off
	global_load_dword v14, v[10:11], off offset:36
	s_waitcnt vmcnt(1)
	global_store_dword v[10:11], v5, off offset:36
	s_waitcnt vmcnt(1)
	global_store_dword v[6:7], v14, off
.LBB126_240:
	s_or_b64 exec, exec, s[14:15]
	v_mov_b32_e32 v15, v4
	v_mov_b32_e32 v14, v4
.LBB126_241:
	s_or_b64 exec, exec, s[12:13]
.LBB126_242:
	s_andn2_saveexec_b64 s[0:1], s[0:1]
	s_cbranch_execz .LBB126_246
; %bb.243:
	s_mov_b32 s4, 0
	v_add_u32_e32 v4, 0xa0, v12
.LBB126_244:                            ; =>This Inner Loop Header: Depth=1
	s_add_i32 s12, s4, 0xa0
	s_add_i32 s13, s4, 0xb0
	;; [unrolled: 1-line block ×18, first 2 shown]
	scratch_load_dwordx4 v[16:19], off, s12
	scratch_load_dwordx4 v[20:23], off, s13
	scratch_load_dwordx4 v[24:27], off, s14
	scratch_load_dwordx4 v[28:31], off, s15
	scratch_load_dwordx4 v[32:35], off, s16
	scratch_load_dwordx4 v[36:39], off, s68
	scratch_load_dwordx4 v[40:43], off, s69
	scratch_load_dwordx4 v[44:47], off, s70
	scratch_load_dwordx4 v[48:51], off, s71
	scratch_load_dwordx4 v[52:55], off, s72
	scratch_load_dwordx4 v[56:59], off, s73
	scratch_load_dwordx4 v[60:63], off, s74
	scratch_load_dwordx4 v[64:67], off, s75
	scratch_load_dwordx4 v[68:71], off, s76
	scratch_load_dwordx4 v[72:75], off, s77
	scratch_load_dwordx4 v[76:79], off, s78
	scratch_load_dwordx4 v[80:83], off, s85
	scratch_load_dwordx4 v[84:87], off, s5
	v_add_u32_e32 v5, s4, v4
	s_addk_i32 s4, 0x120
	s_cmpk_eq_i32 s4, 0x360
	s_waitcnt vmcnt(17)
	ds_write2_b64 v5, v[16:17], v[18:19] offset1:1
	s_waitcnt vmcnt(16)
	ds_write2_b64 v5, v[20:21], v[22:23] offset0:2 offset1:3
	s_waitcnt vmcnt(15)
	ds_write2_b64 v5, v[24:25], v[26:27] offset0:4 offset1:5
	;; [unrolled: 2-line block ×17, first 2 shown]
	s_cbranch_scc0 .LBB126_244
; %bb.245:
	v_mov_b32_e32 v15, 9
.LBB126_246:
	s_or_b64 exec, exec, s[0:1]
	v_cmp_lt_i32_e32 vcc, 9, v15
	s_waitcnt lgkmcnt(0)
	s_barrier
	s_and_saveexec_b64 s[0:1], vcc
	s_cbranch_execz .LBB126_249
; %bb.247:
	scratch_load_dwordx4 v[16:19], off, off offset:144
	s_mov_b32 s12, 0
	s_waitcnt vmcnt(0)
	v_mul_f64 v[4:5], v[2:3], v[18:19]
	v_mul_f64 v[6:7], v[0:1], v[18:19]
	v_fma_f64 v[4:5], v[0:1], v[16:17], -v[4:5]
	v_fmac_f64_e32 v[6:7], v[2:3], v[16:17]
	v_add_u32_e32 v0, 0xa0, v12
	scratch_store_dwordx4 off, v[4:7], off offset:144
.LBB126_248:                            ; =>This Inner Loop Header: Depth=1
	v_add_u32_e32 v1, s12, v0
	ds_read2_b64 v[16:19], v1 offset1:1
	ds_read2_b64 v[20:23], v1 offset0:2 offset1:3
	ds_read2_b64 v[24:27], v1 offset0:4 offset1:5
	ds_read2_b64 v[28:31], v1 offset0:6 offset1:7
	ds_read2_b64 v[32:35], v1 offset0:8 offset1:9
	ds_read2_b64 v[36:39], v1 offset0:10 offset1:11
	s_add_i32 s13, s12, 0xa0
	s_waitcnt lgkmcnt(5)
	v_mul_f64 v[2:3], v[18:19], v[6:7]
	v_mul_f64 v[72:73], v[16:17], v[6:7]
	s_waitcnt lgkmcnt(4)
	v_mul_f64 v[74:75], v[22:23], v[6:7]
	v_mul_f64 v[76:77], v[20:21], v[6:7]
	;; [unrolled: 3-line block ×6, first 2 shown]
	s_add_i32 s14, s12, 0xb0
	s_add_i32 s15, s12, 0xc0
	;; [unrolled: 1-line block ×8, first 2 shown]
	scratch_load_dwordx4 v[40:43], off, s13
	scratch_load_dwordx4 v[44:47], off, s14
	;; [unrolled: 1-line block ×8, first 2 shown]
	v_fma_f64 v[2:3], v[16:17], v[4:5], -v[2:3]
	v_fmac_f64_e32 v[72:73], v[18:19], v[4:5]
	v_fma_f64 v[74:75], v[20:21], v[4:5], -v[74:75]
	v_fmac_f64_e32 v[76:77], v[22:23], v[4:5]
	;; [unrolled: 2-line block ×6, first 2 shown]
	scratch_load_dwordx4 v[4:7], off, off offset:144
	scratch_load_dwordx4 v[16:19], off, s4
	ds_read2_b64 v[20:23], v1 offset0:12 offset1:13
	ds_read2_b64 v[24:27], v1 offset0:14 offset1:15
	;; [unrolled: 1-line block ×3, first 2 shown]
	s_addk_i32 s12, 0x90
	s_cmpk_lg_i32 s12, 0x360
	s_waitcnt vmcnt(9)
	v_add_f64 v[32:33], v[40:41], -v[2:3]
	v_add_f64 v[34:35], v[42:43], -v[72:73]
	s_waitcnt vmcnt(8)
	v_add_f64 v[36:37], v[44:45], -v[74:75]
	v_add_f64 v[38:39], v[46:47], -v[76:77]
	;; [unrolled: 3-line block ×6, first 2 shown]
	scratch_store_dwordx4 off, v[32:35], s13
	scratch_store_dwordx4 off, v[36:39], s14
	;; [unrolled: 1-line block ×6, first 2 shown]
	s_waitcnt vmcnt(7) lgkmcnt(2)
	v_mul_f64 v[2:3], v[22:23], v[6:7]
	v_mul_f64 v[32:33], v[20:21], v[6:7]
	s_waitcnt lgkmcnt(1)
	v_mul_f64 v[34:35], v[26:27], v[6:7]
	v_mul_f64 v[36:37], v[24:25], v[6:7]
	s_waitcnt lgkmcnt(0)
	v_mul_f64 v[38:39], v[30:31], v[6:7]
	v_mul_f64 v[40:41], v[28:29], v[6:7]
	v_fma_f64 v[2:3], v[20:21], v[4:5], -v[2:3]
	v_fmac_f64_e32 v[32:33], v[22:23], v[4:5]
	v_fma_f64 v[24:25], v[24:25], v[4:5], -v[34:35]
	v_fmac_f64_e32 v[36:37], v[26:27], v[4:5]
	;; [unrolled: 2-line block ×3, first 2 shown]
	v_add_f64 v[20:21], v[64:65], -v[2:3]
	v_add_f64 v[22:23], v[66:67], -v[32:33]
	;; [unrolled: 1-line block ×4, first 2 shown]
	s_waitcnt vmcnt(6)
	v_add_f64 v[16:17], v[16:17], -v[28:29]
	v_add_f64 v[18:19], v[18:19], -v[40:41]
	scratch_store_dwordx4 off, v[20:23], s69
	scratch_store_dwordx4 off, v[24:27], s70
	;; [unrolled: 1-line block ×3, first 2 shown]
	s_cbranch_scc1 .LBB126_248
.LBB126_249:
	s_or_b64 exec, exec, s[0:1]
	s_barrier
	scratch_load_dwordx4 v[0:3], off, s49
	v_lshl_add_u32 v4, v15, 4, v12
	s_cmp_lt_i32 s67, 12
	s_waitcnt vmcnt(0)
	ds_write2_b64 v4, v[0:1], v[2:3] offset1:1
	s_waitcnt lgkmcnt(0)
	s_barrier
	ds_read2_b64 v[0:3], v12 offset0:20 offset1:21
	v_mov_b32_e32 v4, 10
	s_cbranch_scc1 .LBB126_252
; %bb.250:
	v_add_u32_e32 v5, 0xb0, v12
	s_mov_b32 s4, 11
	v_mov_b32_e32 v4, 10
.LBB126_251:                            ; =>This Inner Loop Header: Depth=1
	ds_read2_b64 v[16:19], v5 offset1:1
	s_waitcnt lgkmcnt(1)
	v_xor_b32_e32 v7, 0x80000000, v1
	v_xor_b32_e32 v21, 0x80000000, v3
	v_cmp_gt_f64_e32 vcc, 0, v[2:3]
	v_cmp_gt_f64_e64 s[0:1], 0, v[0:1]
	v_mov_b32_e32 v6, v0
	v_mov_b32_e32 v20, v2
	v_cndmask_b32_e64 v7, v1, v7, s[0:1]
	v_cndmask_b32_e32 v21, v3, v21, vcc
	v_add_f64 v[6:7], v[6:7], v[20:21]
	s_waitcnt lgkmcnt(0)
	v_xor_b32_e32 v21, 0x80000000, v17
	v_xor_b32_e32 v23, 0x80000000, v19
	v_cmp_gt_f64_e32 vcc, 0, v[18:19]
	v_cmp_gt_f64_e64 s[0:1], 0, v[16:17]
	v_mov_b32_e32 v20, v16
	v_mov_b32_e32 v22, v18
	v_cndmask_b32_e64 v21, v17, v21, s[0:1]
	v_cndmask_b32_e32 v23, v19, v23, vcc
	v_add_f64 v[20:21], v[20:21], v[22:23]
	v_mov_b32_e32 v24, s4
	s_add_i32 s4, s4, 1
	v_cmp_lt_f64_e32 vcc, v[6:7], v[20:21]
	v_add_u32_e32 v5, 16, v5
	s_cmp_lg_u32 s67, s4
	v_cndmask_b32_e32 v1, v1, v17, vcc
	v_cndmask_b32_e32 v0, v0, v16, vcc
	;; [unrolled: 1-line block ×5, first 2 shown]
	s_cbranch_scc1 .LBB126_251
.LBB126_252:
	s_waitcnt lgkmcnt(0)
	v_cmp_eq_f64_e32 vcc, 0, v[0:1]
	v_cmp_eq_f64_e64 s[0:1], 0, v[2:3]
	s_and_b64 s[0:1], vcc, s[0:1]
	s_and_saveexec_b64 s[4:5], s[0:1]
	s_xor_b64 s[0:1], exec, s[4:5]
; %bb.253:
	v_cmp_ne_u32_e32 vcc, 0, v13
	s_nop 1
	v_cndmask_b32_e32 v13, 11, v13, vcc
; %bb.254:
	s_andn2_saveexec_b64 s[0:1], s[0:1]
	s_cbranch_execz .LBB126_260
; %bb.255:
	v_cmp_ngt_f64_e64 s[4:5], |v[0:1]|, |v[2:3]|
	s_and_saveexec_b64 s[12:13], s[4:5]
	s_xor_b64 s[12:13], exec, s[12:13]
	s_cbranch_execz .LBB126_257
; %bb.256:
	v_div_scale_f64 v[6:7], s[4:5], v[2:3], v[2:3], v[0:1]
	v_rcp_f64_e32 v[16:17], v[6:7]
	v_div_scale_f64 v[18:19], vcc, v[0:1], v[2:3], v[0:1]
	v_fma_f64 v[20:21], -v[6:7], v[16:17], 1.0
	v_fmac_f64_e32 v[16:17], v[16:17], v[20:21]
	v_fma_f64 v[20:21], -v[6:7], v[16:17], 1.0
	v_fmac_f64_e32 v[16:17], v[16:17], v[20:21]
	v_mul_f64 v[20:21], v[18:19], v[16:17]
	v_fma_f64 v[6:7], -v[6:7], v[20:21], v[18:19]
	v_div_fmas_f64 v[6:7], v[6:7], v[16:17], v[20:21]
	v_div_fixup_f64 v[6:7], v[6:7], v[2:3], v[0:1]
	v_fmac_f64_e32 v[2:3], v[0:1], v[6:7]
	v_div_scale_f64 v[0:1], s[4:5], v[2:3], v[2:3], 1.0
	v_rcp_f64_e32 v[16:17], v[0:1]
	s_nop 0
	v_fma_f64 v[18:19], -v[0:1], v[16:17], 1.0
	v_fmac_f64_e32 v[16:17], v[16:17], v[18:19]
	v_fma_f64 v[18:19], -v[0:1], v[16:17], 1.0
	v_fmac_f64_e32 v[16:17], v[16:17], v[18:19]
	v_div_scale_f64 v[18:19], vcc, 1.0, v[2:3], 1.0
	v_mul_f64 v[20:21], v[18:19], v[16:17]
	v_fma_f64 v[0:1], -v[0:1], v[20:21], v[18:19]
	s_nop 1
	v_div_fmas_f64 v[0:1], v[0:1], v[16:17], v[20:21]
	v_div_fixup_f64 v[2:3], v[0:1], v[2:3], 1.0
	v_mul_f64 v[0:1], v[6:7], v[2:3]
	v_xor_b32_e32 v3, 0x80000000, v3
.LBB126_257:
	s_andn2_saveexec_b64 s[12:13], s[12:13]
	s_cbranch_execz .LBB126_259
; %bb.258:
	v_div_scale_f64 v[6:7], s[4:5], v[0:1], v[0:1], v[2:3]
	v_rcp_f64_e32 v[16:17], v[6:7]
	v_div_scale_f64 v[18:19], vcc, v[2:3], v[0:1], v[2:3]
	v_fma_f64 v[20:21], -v[6:7], v[16:17], 1.0
	v_fmac_f64_e32 v[16:17], v[16:17], v[20:21]
	v_fma_f64 v[20:21], -v[6:7], v[16:17], 1.0
	v_fmac_f64_e32 v[16:17], v[16:17], v[20:21]
	v_mul_f64 v[20:21], v[18:19], v[16:17]
	v_fma_f64 v[6:7], -v[6:7], v[20:21], v[18:19]
	v_div_fmas_f64 v[6:7], v[6:7], v[16:17], v[20:21]
	v_div_fixup_f64 v[6:7], v[6:7], v[0:1], v[2:3]
	v_fmac_f64_e32 v[0:1], v[2:3], v[6:7]
	v_div_scale_f64 v[2:3], s[4:5], v[0:1], v[0:1], 1.0
	v_rcp_f64_e32 v[16:17], v[2:3]
	s_nop 0
	v_fma_f64 v[18:19], -v[2:3], v[16:17], 1.0
	v_fmac_f64_e32 v[16:17], v[16:17], v[18:19]
	v_fma_f64 v[18:19], -v[2:3], v[16:17], 1.0
	v_fmac_f64_e32 v[16:17], v[16:17], v[18:19]
	v_div_scale_f64 v[18:19], vcc, 1.0, v[0:1], 1.0
	v_mul_f64 v[20:21], v[18:19], v[16:17]
	v_fma_f64 v[2:3], -v[2:3], v[20:21], v[18:19]
	s_nop 1
	v_div_fmas_f64 v[2:3], v[2:3], v[16:17], v[20:21]
	v_div_fixup_f64 v[0:1], v[2:3], v[0:1], 1.0
	v_mul_f64 v[2:3], v[6:7], -v[0:1]
.LBB126_259:
	s_or_b64 exec, exec, s[12:13]
.LBB126_260:
	s_or_b64 exec, exec, s[0:1]
	v_cmp_ne_u32_e32 vcc, v15, v4
	s_and_saveexec_b64 s[0:1], vcc
	s_xor_b64 s[0:1], exec, s[0:1]
	s_cbranch_execz .LBB126_266
; %bb.261:
	v_cmp_eq_u32_e32 vcc, 10, v15
	s_and_saveexec_b64 s[12:13], vcc
	s_cbranch_execz .LBB126_265
; %bb.262:
	v_cmp_ne_u32_e32 vcc, 10, v4
	s_xor_b64 s[4:5], s[8:9], -1
	s_and_b64 s[4:5], s[4:5], vcc
	s_and_saveexec_b64 s[14:15], s[4:5]
	s_cbranch_execz .LBB126_264
; %bb.263:
	v_ashrrev_i32_e32 v5, 31, v4
	v_lshl_add_u64 v[6:7], v[4:5], 2, v[10:11]
	global_load_dword v5, v[6:7], off
	global_load_dword v14, v[10:11], off offset:40
	s_waitcnt vmcnt(1)
	global_store_dword v[10:11], v5, off offset:40
	s_waitcnt vmcnt(1)
	global_store_dword v[6:7], v14, off
.LBB126_264:
	s_or_b64 exec, exec, s[14:15]
	v_mov_b32_e32 v15, v4
	v_mov_b32_e32 v14, v4
.LBB126_265:
	s_or_b64 exec, exec, s[12:13]
.LBB126_266:
	s_andn2_saveexec_b64 s[0:1], s[0:1]
	s_cbranch_execz .LBB126_272
; %bb.267:
	s_mov_b32 s4, 0
	v_add_u32_e32 v4, 0xb0, v12
	s_branch .LBB126_269
.LBB126_268:                            ;   in Loop: Header=BB126_269 Depth=1
	s_andn2_b64 vcc, exec, s[12:13]
	s_cbranch_vccz .LBB126_271
.LBB126_269:                            ; =>This Inner Loop Header: Depth=1
	s_add_i32 s12, s4, 0xb0
	s_add_i32 s13, s4, 0xc0
	scratch_load_dwordx4 v[16:19], off, s12
	scratch_load_dwordx4 v[20:23], off, s13
	s_add_i32 s12, s4, 0xd0
	s_add_i32 s13, s4, 0xe0
	scratch_load_dwordx4 v[24:27], off, s12
	scratch_load_dwordx4 v[28:31], off, s13
	s_add_i32 s12, s4, 0xf0
	scratch_load_dwordx4 v[32:35], off, s12
	s_mov_b32 s5, s4
	v_add_u32_e32 v5, s4, v4
	s_cmpk_eq_i32 s4, 0x300
	s_mov_b64 s[12:13], -1
	s_waitcnt vmcnt(4)
	ds_write2_b64 v5, v[16:17], v[18:19] offset1:1
	s_waitcnt vmcnt(3)
	ds_write2_b64 v5, v[20:21], v[22:23] offset0:2 offset1:3
	s_waitcnt vmcnt(2)
	ds_write2_b64 v5, v[24:25], v[26:27] offset0:4 offset1:5
	;; [unrolled: 2-line block ×4, first 2 shown]
	s_cbranch_scc1 .LBB126_268
; %bb.270:                              ;   in Loop: Header=BB126_269 Depth=1
	s_add_i32 s12, s5, 0x100
	s_add_i32 s13, s5, 0x110
	scratch_load_dwordx4 v[16:19], off, s12
	scratch_load_dwordx4 v[20:23], off, s13
	s_addk_i32 s5, 0x120
	scratch_load_dwordx4 v[24:27], off, s5
	s_addk_i32 s4, 0x80
	s_mov_b64 s[12:13], 0
	s_waitcnt vmcnt(2)
	ds_write2_b64 v5, v[16:17], v[18:19] offset0:10 offset1:11
	s_waitcnt vmcnt(1)
	ds_write2_b64 v5, v[20:21], v[22:23] offset0:12 offset1:13
	;; [unrolled: 2-line block ×3, first 2 shown]
	s_branch .LBB126_268
.LBB126_271:
	v_mov_b32_e32 v15, 10
.LBB126_272:
	s_or_b64 exec, exec, s[0:1]
	v_cmp_lt_i32_e32 vcc, 10, v15
	s_waitcnt lgkmcnt(0)
	s_barrier
	s_and_saveexec_b64 s[0:1], vcc
	s_cbranch_execz .LBB126_277
; %bb.273:
	scratch_load_dwordx4 v[16:19], off, off offset:160
	s_mov_b32 s14, 0
	s_waitcnt vmcnt(0)
	v_mul_f64 v[4:5], v[2:3], v[18:19]
	v_mul_f64 v[6:7], v[0:1], v[18:19]
	v_fma_f64 v[4:5], v[0:1], v[16:17], -v[4:5]
	v_fmac_f64_e32 v[6:7], v[2:3], v[16:17]
	v_add_u32_e32 v0, 0xb0, v12
	scratch_store_dwordx4 off, v[4:7], off offset:160
	s_branch .LBB126_275
.LBB126_274:                            ;   in Loop: Header=BB126_275 Depth=1
	s_andn2_b64 vcc, exec, s[12:13]
	s_cbranch_vccz .LBB126_277
.LBB126_275:                            ; =>This Inner Loop Header: Depth=1
	s_add_i32 s4, s14, 0xb0
	scratch_load_dwordx4 v[16:19], off, s4
	s_add_i32 s5, s14, 0xc0
	s_add_i32 s12, s14, 0xd0
	;; [unrolled: 1-line block ×4, first 2 shown]
	scratch_load_dwordx4 v[20:23], off, s5
	scratch_load_dwordx4 v[24:27], off, s12
	;; [unrolled: 1-line block ×4, first 2 shown]
	v_add_u32_e32 v1, s14, v0
	ds_read2_b64 v[36:39], v1 offset1:1
	ds_read2_b64 v[40:43], v1 offset0:2 offset1:3
	ds_read2_b64 v[44:47], v1 offset0:4 offset1:5
	ds_read2_b64 v[48:51], v1 offset0:6 offset1:7
	ds_read2_b64 v[52:55], v1 offset0:8 offset1:9
	s_waitcnt lgkmcnt(4)
	v_mul_f64 v[2:3], v[38:39], v[6:7]
	v_mul_f64 v[56:57], v[36:37], v[6:7]
	s_waitcnt lgkmcnt(3)
	v_mul_f64 v[58:59], v[42:43], v[6:7]
	v_mul_f64 v[60:61], v[40:41], v[6:7]
	s_waitcnt lgkmcnt(2)
	v_mul_f64 v[62:63], v[46:47], v[6:7]
	v_mul_f64 v[64:65], v[44:45], v[6:7]
	s_waitcnt lgkmcnt(1)
	v_mul_f64 v[66:67], v[50:51], v[6:7]
	v_mul_f64 v[68:69], v[48:49], v[6:7]
	s_waitcnt lgkmcnt(0)
	v_mul_f64 v[70:71], v[54:55], v[6:7]
	v_mul_f64 v[72:73], v[52:53], v[6:7]
	v_fma_f64 v[2:3], v[36:37], v[4:5], -v[2:3]
	v_fmac_f64_e32 v[56:57], v[38:39], v[4:5]
	v_fma_f64 v[36:37], v[40:41], v[4:5], -v[58:59]
	v_fmac_f64_e32 v[60:61], v[42:43], v[4:5]
	;; [unrolled: 2-line block ×5, first 2 shown]
	s_mov_b32 s15, s14
	s_cmpk_eq_i32 s14, 0x300
	s_waitcnt vmcnt(4)
	v_add_f64 v[16:17], v[16:17], -v[2:3]
	v_add_f64 v[18:19], v[18:19], -v[56:57]
	s_waitcnt vmcnt(3)
	v_add_f64 v[20:21], v[20:21], -v[36:37]
	v_add_f64 v[22:23], v[22:23], -v[60:61]
	;; [unrolled: 3-line block ×5, first 2 shown]
	scratch_store_dwordx4 off, v[16:19], s4
	scratch_store_dwordx4 off, v[20:23], s5
	;; [unrolled: 1-line block ×5, first 2 shown]
	s_mov_b64 s[12:13], -1
	s_cbranch_scc1 .LBB126_274
; %bb.276:                              ;   in Loop: Header=BB126_275 Depth=1
	s_add_i32 s4, s15, 0x100
	scratch_load_dwordx4 v[16:19], off, s4
	s_add_i32 s5, s15, 0x110
	s_addk_i32 s15, 0x120
	scratch_load_dwordx4 v[20:23], off, s5
	scratch_load_dwordx4 v[24:27], off, s15
	ds_read2_b64 v[28:31], v1 offset0:10 offset1:11
	ds_read2_b64 v[32:35], v1 offset0:12 offset1:13
	;; [unrolled: 1-line block ×3, first 2 shown]
	s_addk_i32 s14, 0x80
	s_mov_b64 s[12:13], 0
	s_waitcnt lgkmcnt(2)
	v_mul_f64 v[2:3], v[30:31], v[6:7]
	v_mul_f64 v[40:41], v[28:29], v[6:7]
	s_waitcnt lgkmcnt(1)
	v_mul_f64 v[42:43], v[34:35], v[6:7]
	v_mul_f64 v[44:45], v[32:33], v[6:7]
	;; [unrolled: 3-line block ×3, first 2 shown]
	v_fma_f64 v[2:3], v[28:29], v[4:5], -v[2:3]
	v_fmac_f64_e32 v[40:41], v[30:31], v[4:5]
	v_fma_f64 v[28:29], v[32:33], v[4:5], -v[42:43]
	v_fmac_f64_e32 v[44:45], v[34:35], v[4:5]
	;; [unrolled: 2-line block ×3, first 2 shown]
	s_waitcnt vmcnt(2)
	v_add_f64 v[16:17], v[16:17], -v[2:3]
	v_add_f64 v[18:19], v[18:19], -v[40:41]
	s_waitcnt vmcnt(1)
	v_add_f64 v[20:21], v[20:21], -v[28:29]
	v_add_f64 v[22:23], v[22:23], -v[44:45]
	;; [unrolled: 3-line block ×3, first 2 shown]
	scratch_store_dwordx4 off, v[16:19], s4
	scratch_store_dwordx4 off, v[20:23], s5
	;; [unrolled: 1-line block ×3, first 2 shown]
	s_branch .LBB126_274
.LBB126_277:
	s_or_b64 exec, exec, s[0:1]
	s_barrier
	scratch_load_dwordx4 v[0:3], off, s84
	v_lshl_add_u32 v4, v15, 4, v12
	s_cmp_lt_i32 s67, 13
	s_waitcnt vmcnt(0)
	ds_write2_b64 v4, v[0:1], v[2:3] offset1:1
	s_waitcnt lgkmcnt(0)
	s_barrier
	ds_read2_b64 v[0:3], v12 offset0:22 offset1:23
	v_mov_b32_e32 v4, 11
	s_cbranch_scc1 .LBB126_280
; %bb.278:
	v_add_u32_e32 v5, 0xc0, v12
	s_mov_b32 s4, 12
	v_mov_b32_e32 v4, 11
.LBB126_279:                            ; =>This Inner Loop Header: Depth=1
	ds_read2_b64 v[16:19], v5 offset1:1
	s_waitcnt lgkmcnt(1)
	v_xor_b32_e32 v7, 0x80000000, v1
	v_xor_b32_e32 v21, 0x80000000, v3
	v_cmp_gt_f64_e32 vcc, 0, v[2:3]
	v_cmp_gt_f64_e64 s[0:1], 0, v[0:1]
	v_mov_b32_e32 v6, v0
	v_mov_b32_e32 v20, v2
	v_cndmask_b32_e64 v7, v1, v7, s[0:1]
	v_cndmask_b32_e32 v21, v3, v21, vcc
	v_add_f64 v[6:7], v[6:7], v[20:21]
	s_waitcnt lgkmcnt(0)
	v_xor_b32_e32 v21, 0x80000000, v17
	v_xor_b32_e32 v23, 0x80000000, v19
	v_cmp_gt_f64_e32 vcc, 0, v[18:19]
	v_cmp_gt_f64_e64 s[0:1], 0, v[16:17]
	v_mov_b32_e32 v20, v16
	v_mov_b32_e32 v22, v18
	v_cndmask_b32_e64 v21, v17, v21, s[0:1]
	v_cndmask_b32_e32 v23, v19, v23, vcc
	v_add_f64 v[20:21], v[20:21], v[22:23]
	v_mov_b32_e32 v24, s4
	s_add_i32 s4, s4, 1
	v_cmp_lt_f64_e32 vcc, v[6:7], v[20:21]
	v_add_u32_e32 v5, 16, v5
	s_cmp_lg_u32 s67, s4
	v_cndmask_b32_e32 v1, v1, v17, vcc
	v_cndmask_b32_e32 v0, v0, v16, vcc
	v_cndmask_b32_e32 v3, v3, v19, vcc
	v_cndmask_b32_e32 v2, v2, v18, vcc
	v_cndmask_b32_e32 v4, v4, v24, vcc
	s_cbranch_scc1 .LBB126_279
.LBB126_280:
	s_waitcnt lgkmcnt(0)
	v_cmp_eq_f64_e32 vcc, 0, v[0:1]
	v_cmp_eq_f64_e64 s[0:1], 0, v[2:3]
	s_and_b64 s[0:1], vcc, s[0:1]
	s_and_saveexec_b64 s[4:5], s[0:1]
	s_xor_b64 s[0:1], exec, s[4:5]
; %bb.281:
	v_cmp_ne_u32_e32 vcc, 0, v13
	s_nop 1
	v_cndmask_b32_e32 v13, 12, v13, vcc
; %bb.282:
	s_andn2_saveexec_b64 s[0:1], s[0:1]
	s_cbranch_execz .LBB126_288
; %bb.283:
	v_cmp_ngt_f64_e64 s[4:5], |v[0:1]|, |v[2:3]|
	s_and_saveexec_b64 s[12:13], s[4:5]
	s_xor_b64 s[12:13], exec, s[12:13]
	s_cbranch_execz .LBB126_285
; %bb.284:
	v_div_scale_f64 v[6:7], s[4:5], v[2:3], v[2:3], v[0:1]
	v_rcp_f64_e32 v[16:17], v[6:7]
	v_div_scale_f64 v[18:19], vcc, v[0:1], v[2:3], v[0:1]
	v_fma_f64 v[20:21], -v[6:7], v[16:17], 1.0
	v_fmac_f64_e32 v[16:17], v[16:17], v[20:21]
	v_fma_f64 v[20:21], -v[6:7], v[16:17], 1.0
	v_fmac_f64_e32 v[16:17], v[16:17], v[20:21]
	v_mul_f64 v[20:21], v[18:19], v[16:17]
	v_fma_f64 v[6:7], -v[6:7], v[20:21], v[18:19]
	v_div_fmas_f64 v[6:7], v[6:7], v[16:17], v[20:21]
	v_div_fixup_f64 v[6:7], v[6:7], v[2:3], v[0:1]
	v_fmac_f64_e32 v[2:3], v[0:1], v[6:7]
	v_div_scale_f64 v[0:1], s[4:5], v[2:3], v[2:3], 1.0
	v_rcp_f64_e32 v[16:17], v[0:1]
	s_nop 0
	v_fma_f64 v[18:19], -v[0:1], v[16:17], 1.0
	v_fmac_f64_e32 v[16:17], v[16:17], v[18:19]
	v_fma_f64 v[18:19], -v[0:1], v[16:17], 1.0
	v_fmac_f64_e32 v[16:17], v[16:17], v[18:19]
	v_div_scale_f64 v[18:19], vcc, 1.0, v[2:3], 1.0
	v_mul_f64 v[20:21], v[18:19], v[16:17]
	v_fma_f64 v[0:1], -v[0:1], v[20:21], v[18:19]
	s_nop 1
	v_div_fmas_f64 v[0:1], v[0:1], v[16:17], v[20:21]
	v_div_fixup_f64 v[2:3], v[0:1], v[2:3], 1.0
	v_mul_f64 v[0:1], v[6:7], v[2:3]
	v_xor_b32_e32 v3, 0x80000000, v3
.LBB126_285:
	s_andn2_saveexec_b64 s[12:13], s[12:13]
	s_cbranch_execz .LBB126_287
; %bb.286:
	v_div_scale_f64 v[6:7], s[4:5], v[0:1], v[0:1], v[2:3]
	v_rcp_f64_e32 v[16:17], v[6:7]
	v_div_scale_f64 v[18:19], vcc, v[2:3], v[0:1], v[2:3]
	v_fma_f64 v[20:21], -v[6:7], v[16:17], 1.0
	v_fmac_f64_e32 v[16:17], v[16:17], v[20:21]
	v_fma_f64 v[20:21], -v[6:7], v[16:17], 1.0
	v_fmac_f64_e32 v[16:17], v[16:17], v[20:21]
	v_mul_f64 v[20:21], v[18:19], v[16:17]
	v_fma_f64 v[6:7], -v[6:7], v[20:21], v[18:19]
	v_div_fmas_f64 v[6:7], v[6:7], v[16:17], v[20:21]
	v_div_fixup_f64 v[6:7], v[6:7], v[0:1], v[2:3]
	v_fmac_f64_e32 v[0:1], v[2:3], v[6:7]
	v_div_scale_f64 v[2:3], s[4:5], v[0:1], v[0:1], 1.0
	v_rcp_f64_e32 v[16:17], v[2:3]
	s_nop 0
	v_fma_f64 v[18:19], -v[2:3], v[16:17], 1.0
	v_fmac_f64_e32 v[16:17], v[16:17], v[18:19]
	v_fma_f64 v[18:19], -v[2:3], v[16:17], 1.0
	v_fmac_f64_e32 v[16:17], v[16:17], v[18:19]
	v_div_scale_f64 v[18:19], vcc, 1.0, v[0:1], 1.0
	v_mul_f64 v[20:21], v[18:19], v[16:17]
	v_fma_f64 v[2:3], -v[2:3], v[20:21], v[18:19]
	s_nop 1
	v_div_fmas_f64 v[2:3], v[2:3], v[16:17], v[20:21]
	v_div_fixup_f64 v[0:1], v[2:3], v[0:1], 1.0
	v_mul_f64 v[2:3], v[6:7], -v[0:1]
.LBB126_287:
	s_or_b64 exec, exec, s[12:13]
.LBB126_288:
	s_or_b64 exec, exec, s[0:1]
	v_cmp_ne_u32_e32 vcc, v15, v4
	s_and_saveexec_b64 s[0:1], vcc
	s_xor_b64 s[0:1], exec, s[0:1]
	s_cbranch_execz .LBB126_294
; %bb.289:
	v_cmp_eq_u32_e32 vcc, 11, v15
	s_and_saveexec_b64 s[12:13], vcc
	s_cbranch_execz .LBB126_293
; %bb.290:
	v_cmp_ne_u32_e32 vcc, 11, v4
	s_xor_b64 s[4:5], s[8:9], -1
	s_and_b64 s[4:5], s[4:5], vcc
	s_and_saveexec_b64 s[14:15], s[4:5]
	s_cbranch_execz .LBB126_292
; %bb.291:
	v_ashrrev_i32_e32 v5, 31, v4
	v_lshl_add_u64 v[6:7], v[4:5], 2, v[10:11]
	global_load_dword v5, v[6:7], off
	global_load_dword v14, v[10:11], off offset:44
	s_waitcnt vmcnt(1)
	global_store_dword v[10:11], v5, off offset:44
	s_waitcnt vmcnt(1)
	global_store_dword v[6:7], v14, off
.LBB126_292:
	s_or_b64 exec, exec, s[14:15]
	v_mov_b32_e32 v15, v4
	v_mov_b32_e32 v14, v4
.LBB126_293:
	s_or_b64 exec, exec, s[12:13]
.LBB126_294:
	s_andn2_saveexec_b64 s[0:1], s[0:1]
	s_cbranch_execz .LBB126_298
; %bb.295:
	s_mov_b32 s4, 0
	v_add_u32_e32 v4, 0xc0, v12
.LBB126_296:                            ; =>This Inner Loop Header: Depth=1
	s_add_i32 s12, s4, 0xc0
	s_add_i32 s13, s4, 0xd0
	;; [unrolled: 1-line block ×13, first 2 shown]
	scratch_load_dwordx4 v[16:19], off, s12
	scratch_load_dwordx4 v[20:23], off, s13
	;; [unrolled: 1-line block ×13, first 2 shown]
	v_add_u32_e32 v5, s4, v4
	s_addk_i32 s4, 0xd0
	s_cmpk_eq_i32 s4, 0x340
	s_waitcnt vmcnt(12)
	ds_write2_b64 v5, v[16:17], v[18:19] offset1:1
	s_waitcnt vmcnt(11)
	ds_write2_b64 v5, v[20:21], v[22:23] offset0:2 offset1:3
	s_waitcnt vmcnt(10)
	ds_write2_b64 v5, v[24:25], v[26:27] offset0:4 offset1:5
	;; [unrolled: 2-line block ×12, first 2 shown]
	s_cbranch_scc0 .LBB126_296
; %bb.297:
	v_mov_b32_e32 v15, 11
.LBB126_298:
	s_or_b64 exec, exec, s[0:1]
	v_cmp_lt_i32_e32 vcc, 11, v15
	s_waitcnt lgkmcnt(0)
	s_barrier
	s_and_saveexec_b64 s[0:1], vcc
	s_cbranch_execz .LBB126_301
; %bb.299:
	scratch_load_dwordx4 v[16:19], off, off offset:176
	s_mov_b32 s4, 0
	s_waitcnt vmcnt(0)
	v_mul_f64 v[4:5], v[2:3], v[18:19]
	v_mul_f64 v[6:7], v[0:1], v[18:19]
	v_fma_f64 v[4:5], v[0:1], v[16:17], -v[4:5]
	v_fmac_f64_e32 v[6:7], v[2:3], v[16:17]
	v_add_u32_e32 v0, 0xc0, v12
	scratch_store_dwordx4 off, v[4:7], off offset:176
.LBB126_300:                            ; =>This Inner Loop Header: Depth=1
	s_add_i32 s12, s4, 0xc0
	s_add_i32 s13, s4, 0xd0
	;; [unrolled: 1-line block ×4, first 2 shown]
	scratch_load_dwordx4 v[16:19], off, s12
	scratch_load_dwordx4 v[20:23], off, s13
	;; [unrolled: 1-line block ×4, first 2 shown]
	v_add_u32_e32 v1, s4, v0
	ds_read2_b64 v[32:35], v1 offset1:1
	ds_read2_b64 v[36:39], v1 offset0:2 offset1:3
	ds_read2_b64 v[40:43], v1 offset0:4 offset1:5
	;; [unrolled: 1-line block ×3, first 2 shown]
	s_add_i32 s4, s4, 64
	s_waitcnt lgkmcnt(3)
	v_mul_f64 v[2:3], v[34:35], v[6:7]
	v_mul_f64 v[48:49], v[32:33], v[6:7]
	s_waitcnt lgkmcnt(2)
	v_mul_f64 v[50:51], v[38:39], v[6:7]
	v_mul_f64 v[52:53], v[36:37], v[6:7]
	s_waitcnt lgkmcnt(1)
	v_mul_f64 v[54:55], v[42:43], v[6:7]
	v_mul_f64 v[56:57], v[40:41], v[6:7]
	s_waitcnt lgkmcnt(0)
	v_mul_f64 v[58:59], v[46:47], v[6:7]
	v_mul_f64 v[60:61], v[44:45], v[6:7]
	v_fma_f64 v[2:3], v[32:33], v[4:5], -v[2:3]
	v_fmac_f64_e32 v[48:49], v[34:35], v[4:5]
	s_cmpk_lg_i32 s4, 0x340
	v_fma_f64 v[32:33], v[36:37], v[4:5], -v[50:51]
	v_fmac_f64_e32 v[52:53], v[38:39], v[4:5]
	v_fma_f64 v[34:35], v[40:41], v[4:5], -v[54:55]
	v_fmac_f64_e32 v[56:57], v[42:43], v[4:5]
	;; [unrolled: 2-line block ×3, first 2 shown]
	s_waitcnt vmcnt(3)
	v_add_f64 v[16:17], v[16:17], -v[2:3]
	v_add_f64 v[18:19], v[18:19], -v[48:49]
	s_waitcnt vmcnt(2)
	v_add_f64 v[20:21], v[20:21], -v[32:33]
	v_add_f64 v[22:23], v[22:23], -v[52:53]
	;; [unrolled: 3-line block ×4, first 2 shown]
	scratch_store_dwordx4 off, v[16:19], s12
	scratch_store_dwordx4 off, v[20:23], s13
	scratch_store_dwordx4 off, v[24:27], s14
	scratch_store_dwordx4 off, v[28:31], s5
	s_cbranch_scc1 .LBB126_300
.LBB126_301:
	s_or_b64 exec, exec, s[0:1]
	s_barrier
	scratch_load_dwordx4 v[0:3], off, s83
	v_lshl_add_u32 v4, v15, 4, v12
	s_cmp_lt_i32 s67, 14
	s_waitcnt vmcnt(0)
	ds_write2_b64 v4, v[0:1], v[2:3] offset1:1
	s_waitcnt lgkmcnt(0)
	s_barrier
	ds_read2_b64 v[0:3], v12 offset0:24 offset1:25
	v_mov_b32_e32 v4, 12
	s_cbranch_scc1 .LBB126_304
; %bb.302:
	v_add_u32_e32 v5, 0xd0, v12
	s_mov_b32 s4, 13
	v_mov_b32_e32 v4, 12
.LBB126_303:                            ; =>This Inner Loop Header: Depth=1
	ds_read2_b64 v[16:19], v5 offset1:1
	s_waitcnt lgkmcnt(1)
	v_xor_b32_e32 v7, 0x80000000, v1
	v_xor_b32_e32 v21, 0x80000000, v3
	v_cmp_gt_f64_e32 vcc, 0, v[2:3]
	v_cmp_gt_f64_e64 s[0:1], 0, v[0:1]
	v_mov_b32_e32 v6, v0
	v_mov_b32_e32 v20, v2
	v_cndmask_b32_e64 v7, v1, v7, s[0:1]
	v_cndmask_b32_e32 v21, v3, v21, vcc
	v_add_f64 v[6:7], v[6:7], v[20:21]
	s_waitcnt lgkmcnt(0)
	v_xor_b32_e32 v21, 0x80000000, v17
	v_xor_b32_e32 v23, 0x80000000, v19
	v_cmp_gt_f64_e32 vcc, 0, v[18:19]
	v_cmp_gt_f64_e64 s[0:1], 0, v[16:17]
	v_mov_b32_e32 v20, v16
	v_mov_b32_e32 v22, v18
	v_cndmask_b32_e64 v21, v17, v21, s[0:1]
	v_cndmask_b32_e32 v23, v19, v23, vcc
	v_add_f64 v[20:21], v[20:21], v[22:23]
	v_mov_b32_e32 v24, s4
	s_add_i32 s4, s4, 1
	v_cmp_lt_f64_e32 vcc, v[6:7], v[20:21]
	v_add_u32_e32 v5, 16, v5
	s_cmp_lg_u32 s67, s4
	v_cndmask_b32_e32 v1, v1, v17, vcc
	v_cndmask_b32_e32 v0, v0, v16, vcc
	;; [unrolled: 1-line block ×5, first 2 shown]
	s_cbranch_scc1 .LBB126_303
.LBB126_304:
	s_waitcnt lgkmcnt(0)
	v_cmp_eq_f64_e32 vcc, 0, v[0:1]
	v_cmp_eq_f64_e64 s[0:1], 0, v[2:3]
	s_and_b64 s[0:1], vcc, s[0:1]
	s_and_saveexec_b64 s[4:5], s[0:1]
	s_xor_b64 s[0:1], exec, s[4:5]
; %bb.305:
	v_cmp_ne_u32_e32 vcc, 0, v13
	s_nop 1
	v_cndmask_b32_e32 v13, 13, v13, vcc
; %bb.306:
	s_andn2_saveexec_b64 s[0:1], s[0:1]
	s_cbranch_execz .LBB126_312
; %bb.307:
	v_cmp_ngt_f64_e64 s[4:5], |v[0:1]|, |v[2:3]|
	s_and_saveexec_b64 s[12:13], s[4:5]
	s_xor_b64 s[12:13], exec, s[12:13]
	s_cbranch_execz .LBB126_309
; %bb.308:
	v_div_scale_f64 v[6:7], s[4:5], v[2:3], v[2:3], v[0:1]
	v_rcp_f64_e32 v[16:17], v[6:7]
	v_div_scale_f64 v[18:19], vcc, v[0:1], v[2:3], v[0:1]
	v_fma_f64 v[20:21], -v[6:7], v[16:17], 1.0
	v_fmac_f64_e32 v[16:17], v[16:17], v[20:21]
	v_fma_f64 v[20:21], -v[6:7], v[16:17], 1.0
	v_fmac_f64_e32 v[16:17], v[16:17], v[20:21]
	v_mul_f64 v[20:21], v[18:19], v[16:17]
	v_fma_f64 v[6:7], -v[6:7], v[20:21], v[18:19]
	v_div_fmas_f64 v[6:7], v[6:7], v[16:17], v[20:21]
	v_div_fixup_f64 v[6:7], v[6:7], v[2:3], v[0:1]
	v_fmac_f64_e32 v[2:3], v[0:1], v[6:7]
	v_div_scale_f64 v[0:1], s[4:5], v[2:3], v[2:3], 1.0
	v_rcp_f64_e32 v[16:17], v[0:1]
	s_nop 0
	v_fma_f64 v[18:19], -v[0:1], v[16:17], 1.0
	v_fmac_f64_e32 v[16:17], v[16:17], v[18:19]
	v_fma_f64 v[18:19], -v[0:1], v[16:17], 1.0
	v_fmac_f64_e32 v[16:17], v[16:17], v[18:19]
	v_div_scale_f64 v[18:19], vcc, 1.0, v[2:3], 1.0
	v_mul_f64 v[20:21], v[18:19], v[16:17]
	v_fma_f64 v[0:1], -v[0:1], v[20:21], v[18:19]
	s_nop 1
	v_div_fmas_f64 v[0:1], v[0:1], v[16:17], v[20:21]
	v_div_fixup_f64 v[2:3], v[0:1], v[2:3], 1.0
	v_mul_f64 v[0:1], v[6:7], v[2:3]
	v_xor_b32_e32 v3, 0x80000000, v3
.LBB126_309:
	s_andn2_saveexec_b64 s[12:13], s[12:13]
	s_cbranch_execz .LBB126_311
; %bb.310:
	v_div_scale_f64 v[6:7], s[4:5], v[0:1], v[0:1], v[2:3]
	v_rcp_f64_e32 v[16:17], v[6:7]
	v_div_scale_f64 v[18:19], vcc, v[2:3], v[0:1], v[2:3]
	v_fma_f64 v[20:21], -v[6:7], v[16:17], 1.0
	v_fmac_f64_e32 v[16:17], v[16:17], v[20:21]
	v_fma_f64 v[20:21], -v[6:7], v[16:17], 1.0
	v_fmac_f64_e32 v[16:17], v[16:17], v[20:21]
	v_mul_f64 v[20:21], v[18:19], v[16:17]
	v_fma_f64 v[6:7], -v[6:7], v[20:21], v[18:19]
	v_div_fmas_f64 v[6:7], v[6:7], v[16:17], v[20:21]
	v_div_fixup_f64 v[6:7], v[6:7], v[0:1], v[2:3]
	v_fmac_f64_e32 v[0:1], v[2:3], v[6:7]
	v_div_scale_f64 v[2:3], s[4:5], v[0:1], v[0:1], 1.0
	v_rcp_f64_e32 v[16:17], v[2:3]
	s_nop 0
	v_fma_f64 v[18:19], -v[2:3], v[16:17], 1.0
	v_fmac_f64_e32 v[16:17], v[16:17], v[18:19]
	v_fma_f64 v[18:19], -v[2:3], v[16:17], 1.0
	v_fmac_f64_e32 v[16:17], v[16:17], v[18:19]
	v_div_scale_f64 v[18:19], vcc, 1.0, v[0:1], 1.0
	v_mul_f64 v[20:21], v[18:19], v[16:17]
	v_fma_f64 v[2:3], -v[2:3], v[20:21], v[18:19]
	s_nop 1
	v_div_fmas_f64 v[2:3], v[2:3], v[16:17], v[20:21]
	v_div_fixup_f64 v[0:1], v[2:3], v[0:1], 1.0
	v_mul_f64 v[2:3], v[6:7], -v[0:1]
.LBB126_311:
	s_or_b64 exec, exec, s[12:13]
.LBB126_312:
	s_or_b64 exec, exec, s[0:1]
	v_cmp_ne_u32_e32 vcc, v15, v4
	s_and_saveexec_b64 s[0:1], vcc
	s_xor_b64 s[0:1], exec, s[0:1]
	s_cbranch_execz .LBB126_318
; %bb.313:
	v_cmp_eq_u32_e32 vcc, 12, v15
	s_and_saveexec_b64 s[12:13], vcc
	s_cbranch_execz .LBB126_317
; %bb.314:
	v_cmp_ne_u32_e32 vcc, 12, v4
	s_xor_b64 s[4:5], s[8:9], -1
	s_and_b64 s[4:5], s[4:5], vcc
	s_and_saveexec_b64 s[14:15], s[4:5]
	s_cbranch_execz .LBB126_316
; %bb.315:
	v_ashrrev_i32_e32 v5, 31, v4
	v_lshl_add_u64 v[6:7], v[4:5], 2, v[10:11]
	global_load_dword v5, v[6:7], off
	global_load_dword v14, v[10:11], off offset:48
	s_waitcnt vmcnt(1)
	global_store_dword v[10:11], v5, off offset:48
	s_waitcnt vmcnt(1)
	global_store_dword v[6:7], v14, off
.LBB126_316:
	s_or_b64 exec, exec, s[14:15]
	v_mov_b32_e32 v15, v4
	v_mov_b32_e32 v14, v4
.LBB126_317:
	s_or_b64 exec, exec, s[12:13]
.LBB126_318:
	s_andn2_saveexec_b64 s[0:1], s[0:1]
	s_cbranch_execz .LBB126_322
; %bb.319:
	s_mov_b32 s4, 0
	v_add_u32_e32 v4, 0xd0, v12
.LBB126_320:                            ; =>This Inner Loop Header: Depth=1
	s_add_i32 s12, s4, 0xd0
	s_add_i32 s13, s4, 0xe0
	;; [unrolled: 1-line block ×17, first 2 shown]
	scratch_load_dwordx4 v[16:19], off, s12
	scratch_load_dwordx4 v[20:23], off, s13
	;; [unrolled: 1-line block ×17, first 2 shown]
	v_add_u32_e32 v5, s4, v4
	s_addk_i32 s4, 0x110
	s_cmpk_eq_i32 s4, 0x330
	s_waitcnt vmcnt(16)
	ds_write2_b64 v5, v[16:17], v[18:19] offset1:1
	s_waitcnt vmcnt(15)
	ds_write2_b64 v5, v[20:21], v[22:23] offset0:2 offset1:3
	s_waitcnt vmcnt(14)
	ds_write2_b64 v5, v[24:25], v[26:27] offset0:4 offset1:5
	;; [unrolled: 2-line block ×16, first 2 shown]
	s_cbranch_scc0 .LBB126_320
; %bb.321:
	v_mov_b32_e32 v15, 12
.LBB126_322:
	s_or_b64 exec, exec, s[0:1]
	v_cmp_lt_i32_e32 vcc, 12, v15
	s_waitcnt lgkmcnt(0)
	s_barrier
	s_and_saveexec_b64 s[0:1], vcc
	s_cbranch_execz .LBB126_325
; %bb.323:
	scratch_load_dwordx4 v[16:19], off, off offset:192
	s_mov_b32 s4, 0
	s_waitcnt vmcnt(0)
	v_mul_f64 v[4:5], v[2:3], v[18:19]
	v_mul_f64 v[6:7], v[0:1], v[18:19]
	v_fma_f64 v[4:5], v[0:1], v[16:17], -v[4:5]
	v_fmac_f64_e32 v[6:7], v[2:3], v[16:17]
	v_add_u32_e32 v0, 0xd0, v12
	scratch_store_dwordx4 off, v[4:7], off offset:192
.LBB126_324:                            ; =>This Inner Loop Header: Depth=1
	s_add_i32 s12, s4, 0xd0
	s_add_i32 s13, s4, 0xe0
	;; [unrolled: 1-line block ×3, first 2 shown]
	scratch_load_dwordx4 v[16:19], off, s12
	scratch_load_dwordx4 v[20:23], off, s13
	;; [unrolled: 1-line block ×3, first 2 shown]
	v_add_u32_e32 v1, s4, v0
	ds_read2_b64 v[28:31], v1 offset1:1
	ds_read2_b64 v[32:35], v1 offset0:2 offset1:3
	ds_read2_b64 v[36:39], v1 offset0:4 offset1:5
	s_add_i32 s4, s4, 48
	s_cmpk_lg_i32 s4, 0x330
	s_waitcnt lgkmcnt(2)
	v_mul_f64 v[2:3], v[30:31], v[6:7]
	v_mul_f64 v[40:41], v[28:29], v[6:7]
	s_waitcnt lgkmcnt(1)
	v_mul_f64 v[42:43], v[34:35], v[6:7]
	v_mul_f64 v[44:45], v[32:33], v[6:7]
	s_waitcnt lgkmcnt(0)
	v_mul_f64 v[46:47], v[38:39], v[6:7]
	v_mul_f64 v[48:49], v[36:37], v[6:7]
	v_fma_f64 v[2:3], v[28:29], v[4:5], -v[2:3]
	v_fmac_f64_e32 v[40:41], v[30:31], v[4:5]
	v_fma_f64 v[28:29], v[32:33], v[4:5], -v[42:43]
	v_fmac_f64_e32 v[44:45], v[34:35], v[4:5]
	;; [unrolled: 2-line block ×3, first 2 shown]
	s_waitcnt vmcnt(2)
	v_add_f64 v[16:17], v[16:17], -v[2:3]
	v_add_f64 v[18:19], v[18:19], -v[40:41]
	s_waitcnt vmcnt(1)
	v_add_f64 v[20:21], v[20:21], -v[28:29]
	v_add_f64 v[22:23], v[22:23], -v[44:45]
	;; [unrolled: 3-line block ×3, first 2 shown]
	scratch_store_dwordx4 off, v[16:19], s12
	scratch_store_dwordx4 off, v[20:23], s13
	;; [unrolled: 1-line block ×3, first 2 shown]
	s_cbranch_scc1 .LBB126_324
.LBB126_325:
	s_or_b64 exec, exec, s[0:1]
	s_barrier
	scratch_load_dwordx4 v[0:3], off, s82
	v_lshl_add_u32 v4, v15, 4, v12
	s_cmp_lt_i32 s67, 15
	s_waitcnt vmcnt(0)
	ds_write2_b64 v4, v[0:1], v[2:3] offset1:1
	s_waitcnt lgkmcnt(0)
	s_barrier
	ds_read2_b64 v[0:3], v12 offset0:26 offset1:27
	v_mov_b32_e32 v4, 13
	s_cbranch_scc1 .LBB126_328
; %bb.326:
	v_add_u32_e32 v5, 0xe0, v12
	s_mov_b32 s4, 14
	v_mov_b32_e32 v4, 13
.LBB126_327:                            ; =>This Inner Loop Header: Depth=1
	ds_read2_b64 v[16:19], v5 offset1:1
	s_waitcnt lgkmcnt(1)
	v_xor_b32_e32 v7, 0x80000000, v1
	v_xor_b32_e32 v21, 0x80000000, v3
	v_cmp_gt_f64_e32 vcc, 0, v[2:3]
	v_cmp_gt_f64_e64 s[0:1], 0, v[0:1]
	v_mov_b32_e32 v6, v0
	v_mov_b32_e32 v20, v2
	v_cndmask_b32_e64 v7, v1, v7, s[0:1]
	v_cndmask_b32_e32 v21, v3, v21, vcc
	v_add_f64 v[6:7], v[6:7], v[20:21]
	s_waitcnt lgkmcnt(0)
	v_xor_b32_e32 v21, 0x80000000, v17
	v_xor_b32_e32 v23, 0x80000000, v19
	v_cmp_gt_f64_e32 vcc, 0, v[18:19]
	v_cmp_gt_f64_e64 s[0:1], 0, v[16:17]
	v_mov_b32_e32 v20, v16
	v_mov_b32_e32 v22, v18
	v_cndmask_b32_e64 v21, v17, v21, s[0:1]
	v_cndmask_b32_e32 v23, v19, v23, vcc
	v_add_f64 v[20:21], v[20:21], v[22:23]
	v_mov_b32_e32 v24, s4
	s_add_i32 s4, s4, 1
	v_cmp_lt_f64_e32 vcc, v[6:7], v[20:21]
	v_add_u32_e32 v5, 16, v5
	s_cmp_lg_u32 s67, s4
	v_cndmask_b32_e32 v1, v1, v17, vcc
	v_cndmask_b32_e32 v0, v0, v16, vcc
	;; [unrolled: 1-line block ×5, first 2 shown]
	s_cbranch_scc1 .LBB126_327
.LBB126_328:
	s_waitcnt lgkmcnt(0)
	v_cmp_eq_f64_e32 vcc, 0, v[0:1]
	v_cmp_eq_f64_e64 s[0:1], 0, v[2:3]
	s_and_b64 s[0:1], vcc, s[0:1]
	s_and_saveexec_b64 s[4:5], s[0:1]
	s_xor_b64 s[0:1], exec, s[4:5]
; %bb.329:
	v_cmp_ne_u32_e32 vcc, 0, v13
	s_nop 1
	v_cndmask_b32_e32 v13, 14, v13, vcc
; %bb.330:
	s_andn2_saveexec_b64 s[0:1], s[0:1]
	s_cbranch_execz .LBB126_336
; %bb.331:
	v_cmp_ngt_f64_e64 s[4:5], |v[0:1]|, |v[2:3]|
	s_and_saveexec_b64 s[12:13], s[4:5]
	s_xor_b64 s[12:13], exec, s[12:13]
	s_cbranch_execz .LBB126_333
; %bb.332:
	v_div_scale_f64 v[6:7], s[4:5], v[2:3], v[2:3], v[0:1]
	v_rcp_f64_e32 v[16:17], v[6:7]
	v_div_scale_f64 v[18:19], vcc, v[0:1], v[2:3], v[0:1]
	v_fma_f64 v[20:21], -v[6:7], v[16:17], 1.0
	v_fmac_f64_e32 v[16:17], v[16:17], v[20:21]
	v_fma_f64 v[20:21], -v[6:7], v[16:17], 1.0
	v_fmac_f64_e32 v[16:17], v[16:17], v[20:21]
	v_mul_f64 v[20:21], v[18:19], v[16:17]
	v_fma_f64 v[6:7], -v[6:7], v[20:21], v[18:19]
	v_div_fmas_f64 v[6:7], v[6:7], v[16:17], v[20:21]
	v_div_fixup_f64 v[6:7], v[6:7], v[2:3], v[0:1]
	v_fmac_f64_e32 v[2:3], v[0:1], v[6:7]
	v_div_scale_f64 v[0:1], s[4:5], v[2:3], v[2:3], 1.0
	v_rcp_f64_e32 v[16:17], v[0:1]
	s_nop 0
	v_fma_f64 v[18:19], -v[0:1], v[16:17], 1.0
	v_fmac_f64_e32 v[16:17], v[16:17], v[18:19]
	v_fma_f64 v[18:19], -v[0:1], v[16:17], 1.0
	v_fmac_f64_e32 v[16:17], v[16:17], v[18:19]
	v_div_scale_f64 v[18:19], vcc, 1.0, v[2:3], 1.0
	v_mul_f64 v[20:21], v[18:19], v[16:17]
	v_fma_f64 v[0:1], -v[0:1], v[20:21], v[18:19]
	s_nop 1
	v_div_fmas_f64 v[0:1], v[0:1], v[16:17], v[20:21]
	v_div_fixup_f64 v[2:3], v[0:1], v[2:3], 1.0
	v_mul_f64 v[0:1], v[6:7], v[2:3]
	v_xor_b32_e32 v3, 0x80000000, v3
.LBB126_333:
	s_andn2_saveexec_b64 s[12:13], s[12:13]
	s_cbranch_execz .LBB126_335
; %bb.334:
	v_div_scale_f64 v[6:7], s[4:5], v[0:1], v[0:1], v[2:3]
	v_rcp_f64_e32 v[16:17], v[6:7]
	v_div_scale_f64 v[18:19], vcc, v[2:3], v[0:1], v[2:3]
	v_fma_f64 v[20:21], -v[6:7], v[16:17], 1.0
	v_fmac_f64_e32 v[16:17], v[16:17], v[20:21]
	v_fma_f64 v[20:21], -v[6:7], v[16:17], 1.0
	v_fmac_f64_e32 v[16:17], v[16:17], v[20:21]
	v_mul_f64 v[20:21], v[18:19], v[16:17]
	v_fma_f64 v[6:7], -v[6:7], v[20:21], v[18:19]
	v_div_fmas_f64 v[6:7], v[6:7], v[16:17], v[20:21]
	v_div_fixup_f64 v[6:7], v[6:7], v[0:1], v[2:3]
	v_fmac_f64_e32 v[0:1], v[2:3], v[6:7]
	v_div_scale_f64 v[2:3], s[4:5], v[0:1], v[0:1], 1.0
	v_rcp_f64_e32 v[16:17], v[2:3]
	s_nop 0
	v_fma_f64 v[18:19], -v[2:3], v[16:17], 1.0
	v_fmac_f64_e32 v[16:17], v[16:17], v[18:19]
	v_fma_f64 v[18:19], -v[2:3], v[16:17], 1.0
	v_fmac_f64_e32 v[16:17], v[16:17], v[18:19]
	v_div_scale_f64 v[18:19], vcc, 1.0, v[0:1], 1.0
	v_mul_f64 v[20:21], v[18:19], v[16:17]
	v_fma_f64 v[2:3], -v[2:3], v[20:21], v[18:19]
	s_nop 1
	v_div_fmas_f64 v[2:3], v[2:3], v[16:17], v[20:21]
	v_div_fixup_f64 v[0:1], v[2:3], v[0:1], 1.0
	v_mul_f64 v[2:3], v[6:7], -v[0:1]
.LBB126_335:
	s_or_b64 exec, exec, s[12:13]
.LBB126_336:
	s_or_b64 exec, exec, s[0:1]
	v_cmp_ne_u32_e32 vcc, v15, v4
	s_and_saveexec_b64 s[0:1], vcc
	s_xor_b64 s[0:1], exec, s[0:1]
	s_cbranch_execz .LBB126_342
; %bb.337:
	v_cmp_eq_u32_e32 vcc, 13, v15
	s_and_saveexec_b64 s[12:13], vcc
	s_cbranch_execz .LBB126_341
; %bb.338:
	v_cmp_ne_u32_e32 vcc, 13, v4
	s_xor_b64 s[4:5], s[8:9], -1
	s_and_b64 s[4:5], s[4:5], vcc
	s_and_saveexec_b64 s[14:15], s[4:5]
	s_cbranch_execz .LBB126_340
; %bb.339:
	v_ashrrev_i32_e32 v5, 31, v4
	v_lshl_add_u64 v[6:7], v[4:5], 2, v[10:11]
	global_load_dword v5, v[6:7], off
	global_load_dword v14, v[10:11], off offset:52
	s_waitcnt vmcnt(1)
	global_store_dword v[10:11], v5, off offset:52
	s_waitcnt vmcnt(1)
	global_store_dword v[6:7], v14, off
.LBB126_340:
	s_or_b64 exec, exec, s[14:15]
	v_mov_b32_e32 v15, v4
	v_mov_b32_e32 v14, v4
.LBB126_341:
	s_or_b64 exec, exec, s[12:13]
.LBB126_342:
	s_andn2_saveexec_b64 s[0:1], s[0:1]
	s_cbranch_execz .LBB126_346
; %bb.343:
	s_mov_b32 s4, 0
	v_add_u32_e32 v4, 0xe0, v12
.LBB126_344:                            ; =>This Inner Loop Header: Depth=1
	s_add_i32 s12, s4, 0xe0
	s_add_i32 s13, s4, 0xf0
	;; [unrolled: 1-line block ×10, first 2 shown]
	scratch_load_dwordx4 v[16:19], off, s12
	scratch_load_dwordx4 v[20:23], off, s13
	;; [unrolled: 1-line block ×10, first 2 shown]
	v_add_u32_e32 v5, s4, v4
	s_addk_i32 s4, 0xa0
	s_cmpk_eq_i32 s4, 0x320
	s_waitcnt vmcnt(9)
	ds_write2_b64 v5, v[16:17], v[18:19] offset1:1
	s_waitcnt vmcnt(8)
	ds_write2_b64 v5, v[20:21], v[22:23] offset0:2 offset1:3
	s_waitcnt vmcnt(7)
	ds_write2_b64 v5, v[24:25], v[26:27] offset0:4 offset1:5
	;; [unrolled: 2-line block ×9, first 2 shown]
	s_cbranch_scc0 .LBB126_344
; %bb.345:
	v_mov_b32_e32 v15, 13
.LBB126_346:
	s_or_b64 exec, exec, s[0:1]
	v_cmp_lt_i32_e32 vcc, 13, v15
	s_waitcnt lgkmcnt(0)
	s_barrier
	s_and_saveexec_b64 s[0:1], vcc
	s_cbranch_execz .LBB126_349
; %bb.347:
	scratch_load_dwordx4 v[16:19], off, off offset:208
	s_mov_b32 s4, 0
	s_waitcnt vmcnt(0)
	v_mul_f64 v[4:5], v[2:3], v[18:19]
	v_mul_f64 v[6:7], v[0:1], v[18:19]
	v_fma_f64 v[4:5], v[0:1], v[16:17], -v[4:5]
	v_fmac_f64_e32 v[6:7], v[2:3], v[16:17]
	v_add_u32_e32 v0, 0xe0, v12
	scratch_store_dwordx4 off, v[4:7], off offset:208
.LBB126_348:                            ; =>This Inner Loop Header: Depth=1
	s_add_i32 s12, s4, 0xe0
	s_add_i32 s13, s4, 0xf0
	s_add_i32 s14, s4, 0x100
	s_add_i32 s15, s4, 0x110
	s_add_i32 s5, s4, 0x120
	scratch_load_dwordx4 v[16:19], off, s12
	scratch_load_dwordx4 v[20:23], off, s13
	;; [unrolled: 1-line block ×5, first 2 shown]
	v_add_u32_e32 v1, s4, v0
	ds_read2_b64 v[36:39], v1 offset1:1
	ds_read2_b64 v[40:43], v1 offset0:2 offset1:3
	ds_read2_b64 v[44:47], v1 offset0:4 offset1:5
	ds_read2_b64 v[48:51], v1 offset0:6 offset1:7
	ds_read2_b64 v[52:55], v1 offset0:8 offset1:9
	s_waitcnt lgkmcnt(4)
	v_mul_f64 v[2:3], v[38:39], v[6:7]
	v_mul_f64 v[56:57], v[36:37], v[6:7]
	s_addk_i32 s4, 0x50
	s_waitcnt lgkmcnt(3)
	v_mul_f64 v[58:59], v[42:43], v[6:7]
	v_mul_f64 v[60:61], v[40:41], v[6:7]
	s_waitcnt lgkmcnt(2)
	v_mul_f64 v[62:63], v[46:47], v[6:7]
	v_mul_f64 v[64:65], v[44:45], v[6:7]
	;; [unrolled: 3-line block ×4, first 2 shown]
	v_fma_f64 v[2:3], v[36:37], v[4:5], -v[2:3]
	v_fmac_f64_e32 v[56:57], v[38:39], v[4:5]
	s_cmpk_lg_i32 s4, 0x320
	v_fma_f64 v[36:37], v[40:41], v[4:5], -v[58:59]
	v_fmac_f64_e32 v[60:61], v[42:43], v[4:5]
	v_fma_f64 v[38:39], v[44:45], v[4:5], -v[62:63]
	v_fmac_f64_e32 v[64:65], v[46:47], v[4:5]
	;; [unrolled: 2-line block ×4, first 2 shown]
	s_waitcnt vmcnt(4)
	v_add_f64 v[16:17], v[16:17], -v[2:3]
	v_add_f64 v[18:19], v[18:19], -v[56:57]
	s_waitcnt vmcnt(3)
	v_add_f64 v[20:21], v[20:21], -v[36:37]
	v_add_f64 v[22:23], v[22:23], -v[60:61]
	;; [unrolled: 3-line block ×5, first 2 shown]
	scratch_store_dwordx4 off, v[16:19], s12
	scratch_store_dwordx4 off, v[20:23], s13
	;; [unrolled: 1-line block ×5, first 2 shown]
	s_cbranch_scc1 .LBB126_348
.LBB126_349:
	s_or_b64 exec, exec, s[0:1]
	s_barrier
	scratch_load_dwordx4 v[0:3], off, s81
	v_lshl_add_u32 v4, v15, 4, v12
	s_cmp_lt_i32 s67, 16
	s_waitcnt vmcnt(0)
	ds_write2_b64 v4, v[0:1], v[2:3] offset1:1
	s_waitcnt lgkmcnt(0)
	s_barrier
	ds_read2_b64 v[0:3], v12 offset0:28 offset1:29
	v_mov_b32_e32 v4, 14
	s_cbranch_scc1 .LBB126_352
; %bb.350:
	v_add_u32_e32 v5, 0xf0, v12
	s_mov_b32 s4, 15
	v_mov_b32_e32 v4, 14
.LBB126_351:                            ; =>This Inner Loop Header: Depth=1
	ds_read2_b64 v[16:19], v5 offset1:1
	s_waitcnt lgkmcnt(1)
	v_xor_b32_e32 v7, 0x80000000, v1
	v_xor_b32_e32 v21, 0x80000000, v3
	v_cmp_gt_f64_e32 vcc, 0, v[2:3]
	v_cmp_gt_f64_e64 s[0:1], 0, v[0:1]
	v_mov_b32_e32 v6, v0
	v_mov_b32_e32 v20, v2
	v_cndmask_b32_e64 v7, v1, v7, s[0:1]
	v_cndmask_b32_e32 v21, v3, v21, vcc
	v_add_f64 v[6:7], v[6:7], v[20:21]
	s_waitcnt lgkmcnt(0)
	v_xor_b32_e32 v21, 0x80000000, v17
	v_xor_b32_e32 v23, 0x80000000, v19
	v_cmp_gt_f64_e32 vcc, 0, v[18:19]
	v_cmp_gt_f64_e64 s[0:1], 0, v[16:17]
	v_mov_b32_e32 v20, v16
	v_mov_b32_e32 v22, v18
	v_cndmask_b32_e64 v21, v17, v21, s[0:1]
	v_cndmask_b32_e32 v23, v19, v23, vcc
	v_add_f64 v[20:21], v[20:21], v[22:23]
	v_mov_b32_e32 v24, s4
	s_add_i32 s4, s4, 1
	v_cmp_lt_f64_e32 vcc, v[6:7], v[20:21]
	v_add_u32_e32 v5, 16, v5
	s_cmp_lg_u32 s67, s4
	v_cndmask_b32_e32 v1, v1, v17, vcc
	v_cndmask_b32_e32 v0, v0, v16, vcc
	;; [unrolled: 1-line block ×5, first 2 shown]
	s_cbranch_scc1 .LBB126_351
.LBB126_352:
	s_waitcnt lgkmcnt(0)
	v_cmp_eq_f64_e32 vcc, 0, v[0:1]
	v_cmp_eq_f64_e64 s[0:1], 0, v[2:3]
	s_and_b64 s[0:1], vcc, s[0:1]
	s_and_saveexec_b64 s[4:5], s[0:1]
	s_xor_b64 s[0:1], exec, s[4:5]
; %bb.353:
	v_cmp_ne_u32_e32 vcc, 0, v13
	s_nop 1
	v_cndmask_b32_e32 v13, 15, v13, vcc
; %bb.354:
	s_andn2_saveexec_b64 s[0:1], s[0:1]
	s_cbranch_execz .LBB126_360
; %bb.355:
	v_cmp_ngt_f64_e64 s[4:5], |v[0:1]|, |v[2:3]|
	s_and_saveexec_b64 s[12:13], s[4:5]
	s_xor_b64 s[12:13], exec, s[12:13]
	s_cbranch_execz .LBB126_357
; %bb.356:
	v_div_scale_f64 v[6:7], s[4:5], v[2:3], v[2:3], v[0:1]
	v_rcp_f64_e32 v[16:17], v[6:7]
	v_div_scale_f64 v[18:19], vcc, v[0:1], v[2:3], v[0:1]
	v_fma_f64 v[20:21], -v[6:7], v[16:17], 1.0
	v_fmac_f64_e32 v[16:17], v[16:17], v[20:21]
	v_fma_f64 v[20:21], -v[6:7], v[16:17], 1.0
	v_fmac_f64_e32 v[16:17], v[16:17], v[20:21]
	v_mul_f64 v[20:21], v[18:19], v[16:17]
	v_fma_f64 v[6:7], -v[6:7], v[20:21], v[18:19]
	v_div_fmas_f64 v[6:7], v[6:7], v[16:17], v[20:21]
	v_div_fixup_f64 v[6:7], v[6:7], v[2:3], v[0:1]
	v_fmac_f64_e32 v[2:3], v[0:1], v[6:7]
	v_div_scale_f64 v[0:1], s[4:5], v[2:3], v[2:3], 1.0
	v_rcp_f64_e32 v[16:17], v[0:1]
	s_nop 0
	v_fma_f64 v[18:19], -v[0:1], v[16:17], 1.0
	v_fmac_f64_e32 v[16:17], v[16:17], v[18:19]
	v_fma_f64 v[18:19], -v[0:1], v[16:17], 1.0
	v_fmac_f64_e32 v[16:17], v[16:17], v[18:19]
	v_div_scale_f64 v[18:19], vcc, 1.0, v[2:3], 1.0
	v_mul_f64 v[20:21], v[18:19], v[16:17]
	v_fma_f64 v[0:1], -v[0:1], v[20:21], v[18:19]
	s_nop 1
	v_div_fmas_f64 v[0:1], v[0:1], v[16:17], v[20:21]
	v_div_fixup_f64 v[2:3], v[0:1], v[2:3], 1.0
	v_mul_f64 v[0:1], v[6:7], v[2:3]
	v_xor_b32_e32 v3, 0x80000000, v3
.LBB126_357:
	s_andn2_saveexec_b64 s[12:13], s[12:13]
	s_cbranch_execz .LBB126_359
; %bb.358:
	v_div_scale_f64 v[6:7], s[4:5], v[0:1], v[0:1], v[2:3]
	v_rcp_f64_e32 v[16:17], v[6:7]
	v_div_scale_f64 v[18:19], vcc, v[2:3], v[0:1], v[2:3]
	v_fma_f64 v[20:21], -v[6:7], v[16:17], 1.0
	v_fmac_f64_e32 v[16:17], v[16:17], v[20:21]
	v_fma_f64 v[20:21], -v[6:7], v[16:17], 1.0
	v_fmac_f64_e32 v[16:17], v[16:17], v[20:21]
	v_mul_f64 v[20:21], v[18:19], v[16:17]
	v_fma_f64 v[6:7], -v[6:7], v[20:21], v[18:19]
	v_div_fmas_f64 v[6:7], v[6:7], v[16:17], v[20:21]
	v_div_fixup_f64 v[6:7], v[6:7], v[0:1], v[2:3]
	v_fmac_f64_e32 v[0:1], v[2:3], v[6:7]
	v_div_scale_f64 v[2:3], s[4:5], v[0:1], v[0:1], 1.0
	v_rcp_f64_e32 v[16:17], v[2:3]
	s_nop 0
	v_fma_f64 v[18:19], -v[2:3], v[16:17], 1.0
	v_fmac_f64_e32 v[16:17], v[16:17], v[18:19]
	v_fma_f64 v[18:19], -v[2:3], v[16:17], 1.0
	v_fmac_f64_e32 v[16:17], v[16:17], v[18:19]
	v_div_scale_f64 v[18:19], vcc, 1.0, v[0:1], 1.0
	v_mul_f64 v[20:21], v[18:19], v[16:17]
	v_fma_f64 v[2:3], -v[2:3], v[20:21], v[18:19]
	s_nop 1
	v_div_fmas_f64 v[2:3], v[2:3], v[16:17], v[20:21]
	v_div_fixup_f64 v[0:1], v[2:3], v[0:1], 1.0
	v_mul_f64 v[2:3], v[6:7], -v[0:1]
.LBB126_359:
	s_or_b64 exec, exec, s[12:13]
.LBB126_360:
	s_or_b64 exec, exec, s[0:1]
	v_cmp_ne_u32_e32 vcc, v15, v4
	s_and_saveexec_b64 s[0:1], vcc
	s_xor_b64 s[0:1], exec, s[0:1]
	s_cbranch_execz .LBB126_366
; %bb.361:
	v_cmp_eq_u32_e32 vcc, 14, v15
	s_and_saveexec_b64 s[12:13], vcc
	s_cbranch_execz .LBB126_365
; %bb.362:
	v_cmp_ne_u32_e32 vcc, 14, v4
	s_xor_b64 s[4:5], s[8:9], -1
	s_and_b64 s[4:5], s[4:5], vcc
	s_and_saveexec_b64 s[14:15], s[4:5]
	s_cbranch_execz .LBB126_364
; %bb.363:
	v_ashrrev_i32_e32 v5, 31, v4
	v_lshl_add_u64 v[6:7], v[4:5], 2, v[10:11]
	global_load_dword v5, v[6:7], off
	global_load_dword v14, v[10:11], off offset:56
	s_waitcnt vmcnt(1)
	global_store_dword v[10:11], v5, off offset:56
	s_waitcnt vmcnt(1)
	global_store_dword v[6:7], v14, off
.LBB126_364:
	s_or_b64 exec, exec, s[14:15]
	v_mov_b32_e32 v15, v4
	v_mov_b32_e32 v14, v4
.LBB126_365:
	s_or_b64 exec, exec, s[12:13]
.LBB126_366:
	s_andn2_saveexec_b64 s[0:1], s[0:1]
	s_cbranch_execz .LBB126_370
; %bb.367:
	s_mov_b32 s4, 0
	v_add_u32_e32 v4, 0xf0, v12
.LBB126_368:                            ; =>This Inner Loop Header: Depth=1
	s_add_i32 s12, s4, 0xf0
	s_add_i32 s13, s4, 0x100
	;; [unrolled: 1-line block ×7, first 2 shown]
	scratch_load_dwordx4 v[16:19], off, s12
	scratch_load_dwordx4 v[20:23], off, s13
	;; [unrolled: 1-line block ×7, first 2 shown]
	v_add_u32_e32 v5, s4, v4
	s_addk_i32 s4, 0x70
	s_cmpk_eq_i32 s4, 0x310
	s_waitcnt vmcnt(6)
	ds_write2_b64 v5, v[16:17], v[18:19] offset1:1
	s_waitcnt vmcnt(5)
	ds_write2_b64 v5, v[20:21], v[22:23] offset0:2 offset1:3
	s_waitcnt vmcnt(4)
	ds_write2_b64 v5, v[24:25], v[26:27] offset0:4 offset1:5
	;; [unrolled: 2-line block ×6, first 2 shown]
	s_cbranch_scc0 .LBB126_368
; %bb.369:
	v_mov_b32_e32 v15, 14
.LBB126_370:
	s_or_b64 exec, exec, s[0:1]
	v_cmp_lt_i32_e32 vcc, 14, v15
	s_waitcnt lgkmcnt(0)
	s_barrier
	s_and_saveexec_b64 s[0:1], vcc
	s_cbranch_execz .LBB126_373
; %bb.371:
	scratch_load_dwordx4 v[16:19], off, off offset:224
	s_mov_b32 s12, 0
	s_waitcnt vmcnt(0)
	v_mul_f64 v[4:5], v[2:3], v[18:19]
	v_mul_f64 v[6:7], v[0:1], v[18:19]
	v_fma_f64 v[4:5], v[0:1], v[16:17], -v[4:5]
	v_fmac_f64_e32 v[6:7], v[2:3], v[16:17]
	v_add_u32_e32 v0, 0xf0, v12
	scratch_store_dwordx4 off, v[4:7], off offset:224
.LBB126_372:                            ; =>This Inner Loop Header: Depth=1
	v_add_u32_e32 v1, s12, v0
	ds_read2_b64 v[16:19], v1 offset1:1
	ds_read2_b64 v[20:23], v1 offset0:2 offset1:3
	ds_read2_b64 v[24:27], v1 offset0:4 offset1:5
	;; [unrolled: 1-line block ×5, first 2 shown]
	s_add_i32 s13, s12, 0xf0
	s_add_i32 s5, s12, 0x100
	;; [unrolled: 1-line block ×6, first 2 shown]
	scratch_load_dwordx4 v[40:43], off, s13
	scratch_load_dwordx4 v[44:47], off, s5
	;; [unrolled: 1-line block ×6, first 2 shown]
	s_waitcnt lgkmcnt(5)
	v_mul_f64 v[2:3], v[18:19], v[6:7]
	v_mul_f64 v[64:65], v[16:17], v[6:7]
	s_waitcnt lgkmcnt(4)
	v_mul_f64 v[66:67], v[22:23], v[6:7]
	v_mul_f64 v[68:69], v[20:21], v[6:7]
	;; [unrolled: 3-line block ×6, first 2 shown]
	s_add_i32 s4, s12, 0x150
	v_fma_f64 v[2:3], v[16:17], v[4:5], -v[2:3]
	v_fmac_f64_e32 v[64:65], v[18:19], v[4:5]
	v_fma_f64 v[66:67], v[20:21], v[4:5], -v[66:67]
	v_fmac_f64_e32 v[68:69], v[22:23], v[4:5]
	;; [unrolled: 2-line block ×6, first 2 shown]
	scratch_load_dwordx4 v[4:7], off, off offset:224
	scratch_load_dwordx4 v[16:19], off, s4
	ds_read2_b64 v[20:23], v1 offset0:12 offset1:13
	s_addk_i32 s12, 0x70
	s_cmpk_lg_i32 s12, 0x310
	s_waitcnt vmcnt(7)
	v_add_f64 v[24:25], v[40:41], -v[2:3]
	v_add_f64 v[26:27], v[42:43], -v[64:65]
	s_waitcnt vmcnt(6)
	v_add_f64 v[28:29], v[44:45], -v[66:67]
	v_add_f64 v[30:31], v[46:47], -v[68:69]
	;; [unrolled: 3-line block ×6, first 2 shown]
	scratch_store_dwordx4 off, v[24:27], s13
	scratch_store_dwordx4 off, v[28:31], s5
	;; [unrolled: 1-line block ×6, first 2 shown]
	s_waitcnt vmcnt(7) lgkmcnt(0)
	v_mul_f64 v[2:3], v[22:23], v[6:7]
	v_mul_f64 v[24:25], v[20:21], v[6:7]
	v_fma_f64 v[2:3], v[20:21], v[4:5], -v[2:3]
	v_fmac_f64_e32 v[24:25], v[22:23], v[4:5]
	s_waitcnt vmcnt(6)
	v_add_f64 v[16:17], v[16:17], -v[2:3]
	v_add_f64 v[18:19], v[18:19], -v[24:25]
	scratch_store_dwordx4 off, v[16:19], s4
	s_cbranch_scc1 .LBB126_372
.LBB126_373:
	s_or_b64 exec, exec, s[0:1]
	s_barrier
	scratch_load_dwordx4 v[0:3], off, s80
	v_lshl_add_u32 v4, v15, 4, v12
	s_cmp_lt_i32 s67, 17
	s_waitcnt vmcnt(0)
	ds_write2_b64 v4, v[0:1], v[2:3] offset1:1
	s_waitcnt lgkmcnt(0)
	s_barrier
	ds_read2_b64 v[0:3], v12 offset0:30 offset1:31
	v_mov_b32_e32 v4, 15
	s_cbranch_scc1 .LBB126_376
; %bb.374:
	v_add_u32_e32 v5, 0x100, v12
	s_mov_b32 s4, 16
	v_mov_b32_e32 v4, 15
.LBB126_375:                            ; =>This Inner Loop Header: Depth=1
	ds_read2_b64 v[16:19], v5 offset1:1
	s_waitcnt lgkmcnt(1)
	v_xor_b32_e32 v7, 0x80000000, v1
	v_xor_b32_e32 v21, 0x80000000, v3
	v_cmp_gt_f64_e32 vcc, 0, v[2:3]
	v_cmp_gt_f64_e64 s[0:1], 0, v[0:1]
	v_mov_b32_e32 v6, v0
	v_mov_b32_e32 v20, v2
	v_cndmask_b32_e64 v7, v1, v7, s[0:1]
	v_cndmask_b32_e32 v21, v3, v21, vcc
	v_add_f64 v[6:7], v[6:7], v[20:21]
	s_waitcnt lgkmcnt(0)
	v_xor_b32_e32 v21, 0x80000000, v17
	v_xor_b32_e32 v23, 0x80000000, v19
	v_cmp_gt_f64_e32 vcc, 0, v[18:19]
	v_cmp_gt_f64_e64 s[0:1], 0, v[16:17]
	v_mov_b32_e32 v20, v16
	v_mov_b32_e32 v22, v18
	v_cndmask_b32_e64 v21, v17, v21, s[0:1]
	v_cndmask_b32_e32 v23, v19, v23, vcc
	v_add_f64 v[20:21], v[20:21], v[22:23]
	v_mov_b32_e32 v24, s4
	s_add_i32 s4, s4, 1
	v_cmp_lt_f64_e32 vcc, v[6:7], v[20:21]
	v_add_u32_e32 v5, 16, v5
	s_cmp_lg_u32 s67, s4
	v_cndmask_b32_e32 v1, v1, v17, vcc
	v_cndmask_b32_e32 v0, v0, v16, vcc
	;; [unrolled: 1-line block ×5, first 2 shown]
	s_cbranch_scc1 .LBB126_375
.LBB126_376:
	s_waitcnt lgkmcnt(0)
	v_cmp_eq_f64_e32 vcc, 0, v[0:1]
	v_cmp_eq_f64_e64 s[0:1], 0, v[2:3]
	s_and_b64 s[0:1], vcc, s[0:1]
	s_and_saveexec_b64 s[4:5], s[0:1]
	s_xor_b64 s[0:1], exec, s[4:5]
; %bb.377:
	v_cmp_ne_u32_e32 vcc, 0, v13
	s_nop 1
	v_cndmask_b32_e32 v13, 16, v13, vcc
; %bb.378:
	s_andn2_saveexec_b64 s[0:1], s[0:1]
	s_cbranch_execz .LBB126_384
; %bb.379:
	v_cmp_ngt_f64_e64 s[4:5], |v[0:1]|, |v[2:3]|
	s_and_saveexec_b64 s[12:13], s[4:5]
	s_xor_b64 s[12:13], exec, s[12:13]
	s_cbranch_execz .LBB126_381
; %bb.380:
	v_div_scale_f64 v[6:7], s[4:5], v[2:3], v[2:3], v[0:1]
	v_rcp_f64_e32 v[16:17], v[6:7]
	v_div_scale_f64 v[18:19], vcc, v[0:1], v[2:3], v[0:1]
	v_fma_f64 v[20:21], -v[6:7], v[16:17], 1.0
	v_fmac_f64_e32 v[16:17], v[16:17], v[20:21]
	v_fma_f64 v[20:21], -v[6:7], v[16:17], 1.0
	v_fmac_f64_e32 v[16:17], v[16:17], v[20:21]
	v_mul_f64 v[20:21], v[18:19], v[16:17]
	v_fma_f64 v[6:7], -v[6:7], v[20:21], v[18:19]
	v_div_fmas_f64 v[6:7], v[6:7], v[16:17], v[20:21]
	v_div_fixup_f64 v[6:7], v[6:7], v[2:3], v[0:1]
	v_fmac_f64_e32 v[2:3], v[0:1], v[6:7]
	v_div_scale_f64 v[0:1], s[4:5], v[2:3], v[2:3], 1.0
	v_rcp_f64_e32 v[16:17], v[0:1]
	s_nop 0
	v_fma_f64 v[18:19], -v[0:1], v[16:17], 1.0
	v_fmac_f64_e32 v[16:17], v[16:17], v[18:19]
	v_fma_f64 v[18:19], -v[0:1], v[16:17], 1.0
	v_fmac_f64_e32 v[16:17], v[16:17], v[18:19]
	v_div_scale_f64 v[18:19], vcc, 1.0, v[2:3], 1.0
	v_mul_f64 v[20:21], v[18:19], v[16:17]
	v_fma_f64 v[0:1], -v[0:1], v[20:21], v[18:19]
	s_nop 1
	v_div_fmas_f64 v[0:1], v[0:1], v[16:17], v[20:21]
	v_div_fixup_f64 v[2:3], v[0:1], v[2:3], 1.0
	v_mul_f64 v[0:1], v[6:7], v[2:3]
	v_xor_b32_e32 v3, 0x80000000, v3
.LBB126_381:
	s_andn2_saveexec_b64 s[12:13], s[12:13]
	s_cbranch_execz .LBB126_383
; %bb.382:
	v_div_scale_f64 v[6:7], s[4:5], v[0:1], v[0:1], v[2:3]
	v_rcp_f64_e32 v[16:17], v[6:7]
	v_div_scale_f64 v[18:19], vcc, v[2:3], v[0:1], v[2:3]
	v_fma_f64 v[20:21], -v[6:7], v[16:17], 1.0
	v_fmac_f64_e32 v[16:17], v[16:17], v[20:21]
	v_fma_f64 v[20:21], -v[6:7], v[16:17], 1.0
	v_fmac_f64_e32 v[16:17], v[16:17], v[20:21]
	v_mul_f64 v[20:21], v[18:19], v[16:17]
	v_fma_f64 v[6:7], -v[6:7], v[20:21], v[18:19]
	v_div_fmas_f64 v[6:7], v[6:7], v[16:17], v[20:21]
	v_div_fixup_f64 v[6:7], v[6:7], v[0:1], v[2:3]
	v_fmac_f64_e32 v[0:1], v[2:3], v[6:7]
	v_div_scale_f64 v[2:3], s[4:5], v[0:1], v[0:1], 1.0
	v_rcp_f64_e32 v[16:17], v[2:3]
	s_nop 0
	v_fma_f64 v[18:19], -v[2:3], v[16:17], 1.0
	v_fmac_f64_e32 v[16:17], v[16:17], v[18:19]
	v_fma_f64 v[18:19], -v[2:3], v[16:17], 1.0
	v_fmac_f64_e32 v[16:17], v[16:17], v[18:19]
	v_div_scale_f64 v[18:19], vcc, 1.0, v[0:1], 1.0
	v_mul_f64 v[20:21], v[18:19], v[16:17]
	v_fma_f64 v[2:3], -v[2:3], v[20:21], v[18:19]
	s_nop 1
	v_div_fmas_f64 v[2:3], v[2:3], v[16:17], v[20:21]
	v_div_fixup_f64 v[0:1], v[2:3], v[0:1], 1.0
	v_mul_f64 v[2:3], v[6:7], -v[0:1]
.LBB126_383:
	s_or_b64 exec, exec, s[12:13]
.LBB126_384:
	s_or_b64 exec, exec, s[0:1]
	v_cmp_ne_u32_e32 vcc, v15, v4
	s_and_saveexec_b64 s[0:1], vcc
	s_xor_b64 s[0:1], exec, s[0:1]
	s_cbranch_execz .LBB126_390
; %bb.385:
	v_cmp_eq_u32_e32 vcc, 15, v15
	s_and_saveexec_b64 s[12:13], vcc
	s_cbranch_execz .LBB126_389
; %bb.386:
	v_cmp_ne_u32_e32 vcc, 15, v4
	s_xor_b64 s[4:5], s[8:9], -1
	s_and_b64 s[4:5], s[4:5], vcc
	s_and_saveexec_b64 s[14:15], s[4:5]
	s_cbranch_execz .LBB126_388
; %bb.387:
	v_ashrrev_i32_e32 v5, 31, v4
	v_lshl_add_u64 v[6:7], v[4:5], 2, v[10:11]
	global_load_dword v5, v[6:7], off
	global_load_dword v14, v[10:11], off offset:60
	s_waitcnt vmcnt(1)
	global_store_dword v[10:11], v5, off offset:60
	s_waitcnt vmcnt(1)
	global_store_dword v[6:7], v14, off
.LBB126_388:
	s_or_b64 exec, exec, s[14:15]
	v_mov_b32_e32 v15, v4
	v_mov_b32_e32 v14, v4
.LBB126_389:
	s_or_b64 exec, exec, s[12:13]
.LBB126_390:
	s_andn2_saveexec_b64 s[0:1], s[0:1]
	s_cbranch_execz .LBB126_394
; %bb.391:
	s_mov_b32 s4, 0
	v_add_u32_e32 v4, 0x100, v12
.LBB126_392:                            ; =>This Inner Loop Header: Depth=1
	s_add_i32 s12, s4, 0x100
	s_add_i32 s13, s4, 0x110
	;; [unrolled: 1-line block ×16, first 2 shown]
	scratch_load_dwordx4 v[16:19], off, s12
	scratch_load_dwordx4 v[20:23], off, s13
	;; [unrolled: 1-line block ×16, first 2 shown]
	v_add_u32_e32 v5, s4, v4
	s_addk_i32 s4, 0x100
	s_cmpk_eq_i32 s4, 0x300
	s_waitcnt vmcnt(15)
	ds_write2_b64 v5, v[16:17], v[18:19] offset1:1
	s_waitcnt vmcnt(14)
	ds_write2_b64 v5, v[20:21], v[22:23] offset0:2 offset1:3
	s_waitcnt vmcnt(13)
	ds_write2_b64 v5, v[24:25], v[26:27] offset0:4 offset1:5
	;; [unrolled: 2-line block ×15, first 2 shown]
	s_cbranch_scc0 .LBB126_392
; %bb.393:
	v_mov_b32_e32 v15, 15
.LBB126_394:
	s_or_b64 exec, exec, s[0:1]
	v_cmp_lt_i32_e32 vcc, 15, v15
	s_waitcnt lgkmcnt(0)
	s_barrier
	s_and_saveexec_b64 s[0:1], vcc
	s_cbranch_execz .LBB126_397
; %bb.395:
	scratch_load_dwordx4 v[16:19], off, off offset:240
	s_mov_b32 s12, 0
	s_waitcnt vmcnt(0)
	v_mul_f64 v[4:5], v[2:3], v[18:19]
	v_mul_f64 v[6:7], v[0:1], v[18:19]
	v_fma_f64 v[4:5], v[0:1], v[16:17], -v[4:5]
	v_fmac_f64_e32 v[6:7], v[2:3], v[16:17]
	v_add_u32_e32 v0, 0x100, v12
	scratch_store_dwordx4 off, v[4:7], off offset:240
.LBB126_396:                            ; =>This Inner Loop Header: Depth=1
	v_add_u32_e32 v1, s12, v0
	ds_read2_b64 v[16:19], v1 offset1:1
	ds_read2_b64 v[20:23], v1 offset0:2 offset1:3
	ds_read2_b64 v[24:27], v1 offset0:4 offset1:5
	;; [unrolled: 1-line block ×5, first 2 shown]
	s_add_i32 s13, s12, 0x100
	s_waitcnt lgkmcnt(5)
	v_mul_f64 v[2:3], v[18:19], v[6:7]
	v_mul_f64 v[68:69], v[16:17], v[6:7]
	s_waitcnt lgkmcnt(4)
	v_mul_f64 v[70:71], v[22:23], v[6:7]
	v_mul_f64 v[72:73], v[20:21], v[6:7]
	;; [unrolled: 3-line block ×6, first 2 shown]
	s_add_i32 s14, s12, 0x110
	s_add_i32 s5, s12, 0x120
	;; [unrolled: 1-line block ×7, first 2 shown]
	scratch_load_dwordx4 v[40:43], off, s13
	scratch_load_dwordx4 v[44:47], off, s14
	;; [unrolled: 1-line block ×7, first 2 shown]
	v_fma_f64 v[2:3], v[16:17], v[4:5], -v[2:3]
	v_fmac_f64_e32 v[68:69], v[18:19], v[4:5]
	v_fma_f64 v[70:71], v[20:21], v[4:5], -v[70:71]
	v_fmac_f64_e32 v[72:73], v[22:23], v[4:5]
	v_fma_f64 v[74:75], v[24:25], v[4:5], -v[74:75]
	v_fmac_f64_e32 v[76:77], v[26:27], v[4:5]
	v_fma_f64 v[78:79], v[28:29], v[4:5], -v[78:79]
	v_fmac_f64_e32 v[80:81], v[30:31], v[4:5]
	v_fma_f64 v[82:83], v[32:33], v[4:5], -v[82:83]
	v_fmac_f64_e32 v[84:85], v[34:35], v[4:5]
	v_fma_f64 v[86:87], v[36:37], v[4:5], -v[86:87]
	v_fmac_f64_e32 v[88:89], v[38:39], v[4:5]
	scratch_load_dwordx4 v[4:7], off, off offset:240
	scratch_load_dwordx4 v[16:19], off, s4
	ds_read2_b64 v[20:23], v1 offset0:12 offset1:13
	ds_read2_b64 v[24:27], v1 offset0:14 offset1:15
	s_addk_i32 s12, 0x80
	s_cmpk_lg_i32 s12, 0x300
	s_waitcnt vmcnt(8)
	v_add_f64 v[28:29], v[40:41], -v[2:3]
	v_add_f64 v[30:31], v[42:43], -v[68:69]
	s_waitcnt vmcnt(7)
	v_add_f64 v[32:33], v[44:45], -v[70:71]
	v_add_f64 v[34:35], v[46:47], -v[72:73]
	;; [unrolled: 3-line block ×6, first 2 shown]
	scratch_store_dwordx4 off, v[28:31], s13
	scratch_store_dwordx4 off, v[32:35], s14
	;; [unrolled: 1-line block ×6, first 2 shown]
	s_waitcnt vmcnt(7) lgkmcnt(1)
	v_mul_f64 v[2:3], v[22:23], v[6:7]
	v_mul_f64 v[28:29], v[20:21], v[6:7]
	s_waitcnt lgkmcnt(0)
	v_mul_f64 v[30:31], v[26:27], v[6:7]
	v_mul_f64 v[32:33], v[24:25], v[6:7]
	v_fma_f64 v[2:3], v[20:21], v[4:5], -v[2:3]
	v_fmac_f64_e32 v[28:29], v[22:23], v[4:5]
	v_fma_f64 v[24:25], v[24:25], v[4:5], -v[30:31]
	v_fmac_f64_e32 v[32:33], v[26:27], v[4:5]
	v_add_f64 v[20:21], v[64:65], -v[2:3]
	v_add_f64 v[22:23], v[66:67], -v[28:29]
	s_waitcnt vmcnt(6)
	v_add_f64 v[16:17], v[16:17], -v[24:25]
	v_add_f64 v[18:19], v[18:19], -v[32:33]
	scratch_store_dwordx4 off, v[20:23], s69
	scratch_store_dwordx4 off, v[16:19], s4
	s_cbranch_scc1 .LBB126_396
.LBB126_397:
	s_or_b64 exec, exec, s[0:1]
	s_barrier
	scratch_load_dwordx4 v[0:3], off, s79
	v_lshl_add_u32 v4, v15, 4, v12
	s_cmp_lt_i32 s67, 18
	s_waitcnt vmcnt(0)
	ds_write2_b64 v4, v[0:1], v[2:3] offset1:1
	s_waitcnt lgkmcnt(0)
	s_barrier
	ds_read2_b64 v[0:3], v12 offset0:32 offset1:33
	v_mov_b32_e32 v4, 16
	s_cbranch_scc1 .LBB126_400
; %bb.398:
	v_add_u32_e32 v5, 0x110, v12
	s_mov_b32 s4, 17
	v_mov_b32_e32 v4, 16
.LBB126_399:                            ; =>This Inner Loop Header: Depth=1
	ds_read2_b64 v[16:19], v5 offset1:1
	s_waitcnt lgkmcnt(1)
	v_xor_b32_e32 v7, 0x80000000, v1
	v_xor_b32_e32 v21, 0x80000000, v3
	v_cmp_gt_f64_e32 vcc, 0, v[2:3]
	v_cmp_gt_f64_e64 s[0:1], 0, v[0:1]
	v_mov_b32_e32 v6, v0
	v_mov_b32_e32 v20, v2
	v_cndmask_b32_e64 v7, v1, v7, s[0:1]
	v_cndmask_b32_e32 v21, v3, v21, vcc
	v_add_f64 v[6:7], v[6:7], v[20:21]
	s_waitcnt lgkmcnt(0)
	v_xor_b32_e32 v21, 0x80000000, v17
	v_xor_b32_e32 v23, 0x80000000, v19
	v_cmp_gt_f64_e32 vcc, 0, v[18:19]
	v_cmp_gt_f64_e64 s[0:1], 0, v[16:17]
	v_mov_b32_e32 v20, v16
	v_mov_b32_e32 v22, v18
	v_cndmask_b32_e64 v21, v17, v21, s[0:1]
	v_cndmask_b32_e32 v23, v19, v23, vcc
	v_add_f64 v[20:21], v[20:21], v[22:23]
	v_mov_b32_e32 v24, s4
	s_add_i32 s4, s4, 1
	v_cmp_lt_f64_e32 vcc, v[6:7], v[20:21]
	v_add_u32_e32 v5, 16, v5
	s_cmp_lg_u32 s67, s4
	v_cndmask_b32_e32 v1, v1, v17, vcc
	v_cndmask_b32_e32 v0, v0, v16, vcc
	;; [unrolled: 1-line block ×5, first 2 shown]
	s_cbranch_scc1 .LBB126_399
.LBB126_400:
	s_waitcnt lgkmcnt(0)
	v_cmp_eq_f64_e32 vcc, 0, v[0:1]
	v_cmp_eq_f64_e64 s[0:1], 0, v[2:3]
	s_and_b64 s[0:1], vcc, s[0:1]
	s_and_saveexec_b64 s[4:5], s[0:1]
	s_xor_b64 s[0:1], exec, s[4:5]
; %bb.401:
	v_cmp_ne_u32_e32 vcc, 0, v13
	s_nop 1
	v_cndmask_b32_e32 v13, 17, v13, vcc
; %bb.402:
	s_andn2_saveexec_b64 s[0:1], s[0:1]
	s_cbranch_execz .LBB126_408
; %bb.403:
	v_cmp_ngt_f64_e64 s[4:5], |v[0:1]|, |v[2:3]|
	s_and_saveexec_b64 s[12:13], s[4:5]
	s_xor_b64 s[12:13], exec, s[12:13]
	s_cbranch_execz .LBB126_405
; %bb.404:
	v_div_scale_f64 v[6:7], s[4:5], v[2:3], v[2:3], v[0:1]
	v_rcp_f64_e32 v[16:17], v[6:7]
	v_div_scale_f64 v[18:19], vcc, v[0:1], v[2:3], v[0:1]
	v_fma_f64 v[20:21], -v[6:7], v[16:17], 1.0
	v_fmac_f64_e32 v[16:17], v[16:17], v[20:21]
	v_fma_f64 v[20:21], -v[6:7], v[16:17], 1.0
	v_fmac_f64_e32 v[16:17], v[16:17], v[20:21]
	v_mul_f64 v[20:21], v[18:19], v[16:17]
	v_fma_f64 v[6:7], -v[6:7], v[20:21], v[18:19]
	v_div_fmas_f64 v[6:7], v[6:7], v[16:17], v[20:21]
	v_div_fixup_f64 v[6:7], v[6:7], v[2:3], v[0:1]
	v_fmac_f64_e32 v[2:3], v[0:1], v[6:7]
	v_div_scale_f64 v[0:1], s[4:5], v[2:3], v[2:3], 1.0
	v_rcp_f64_e32 v[16:17], v[0:1]
	s_nop 0
	v_fma_f64 v[18:19], -v[0:1], v[16:17], 1.0
	v_fmac_f64_e32 v[16:17], v[16:17], v[18:19]
	v_fma_f64 v[18:19], -v[0:1], v[16:17], 1.0
	v_fmac_f64_e32 v[16:17], v[16:17], v[18:19]
	v_div_scale_f64 v[18:19], vcc, 1.0, v[2:3], 1.0
	v_mul_f64 v[20:21], v[18:19], v[16:17]
	v_fma_f64 v[0:1], -v[0:1], v[20:21], v[18:19]
	s_nop 1
	v_div_fmas_f64 v[0:1], v[0:1], v[16:17], v[20:21]
	v_div_fixup_f64 v[2:3], v[0:1], v[2:3], 1.0
	v_mul_f64 v[0:1], v[6:7], v[2:3]
	v_xor_b32_e32 v3, 0x80000000, v3
.LBB126_405:
	s_andn2_saveexec_b64 s[12:13], s[12:13]
	s_cbranch_execz .LBB126_407
; %bb.406:
	v_div_scale_f64 v[6:7], s[4:5], v[0:1], v[0:1], v[2:3]
	v_rcp_f64_e32 v[16:17], v[6:7]
	v_div_scale_f64 v[18:19], vcc, v[2:3], v[0:1], v[2:3]
	v_fma_f64 v[20:21], -v[6:7], v[16:17], 1.0
	v_fmac_f64_e32 v[16:17], v[16:17], v[20:21]
	v_fma_f64 v[20:21], -v[6:7], v[16:17], 1.0
	v_fmac_f64_e32 v[16:17], v[16:17], v[20:21]
	v_mul_f64 v[20:21], v[18:19], v[16:17]
	v_fma_f64 v[6:7], -v[6:7], v[20:21], v[18:19]
	v_div_fmas_f64 v[6:7], v[6:7], v[16:17], v[20:21]
	v_div_fixup_f64 v[6:7], v[6:7], v[0:1], v[2:3]
	v_fmac_f64_e32 v[0:1], v[2:3], v[6:7]
	v_div_scale_f64 v[2:3], s[4:5], v[0:1], v[0:1], 1.0
	v_rcp_f64_e32 v[16:17], v[2:3]
	s_nop 0
	v_fma_f64 v[18:19], -v[2:3], v[16:17], 1.0
	v_fmac_f64_e32 v[16:17], v[16:17], v[18:19]
	v_fma_f64 v[18:19], -v[2:3], v[16:17], 1.0
	v_fmac_f64_e32 v[16:17], v[16:17], v[18:19]
	v_div_scale_f64 v[18:19], vcc, 1.0, v[0:1], 1.0
	v_mul_f64 v[20:21], v[18:19], v[16:17]
	v_fma_f64 v[2:3], -v[2:3], v[20:21], v[18:19]
	s_nop 1
	v_div_fmas_f64 v[2:3], v[2:3], v[16:17], v[20:21]
	v_div_fixup_f64 v[0:1], v[2:3], v[0:1], 1.0
	v_mul_f64 v[2:3], v[6:7], -v[0:1]
.LBB126_407:
	s_or_b64 exec, exec, s[12:13]
.LBB126_408:
	s_or_b64 exec, exec, s[0:1]
	v_cmp_ne_u32_e32 vcc, v15, v4
	s_and_saveexec_b64 s[0:1], vcc
	s_xor_b64 s[0:1], exec, s[0:1]
	s_cbranch_execz .LBB126_414
; %bb.409:
	v_cmp_eq_u32_e32 vcc, 16, v15
	s_and_saveexec_b64 s[12:13], vcc
	s_cbranch_execz .LBB126_413
; %bb.410:
	v_cmp_ne_u32_e32 vcc, 16, v4
	s_xor_b64 s[4:5], s[8:9], -1
	s_and_b64 s[4:5], s[4:5], vcc
	s_and_saveexec_b64 s[14:15], s[4:5]
	s_cbranch_execz .LBB126_412
; %bb.411:
	v_ashrrev_i32_e32 v5, 31, v4
	v_lshl_add_u64 v[6:7], v[4:5], 2, v[10:11]
	global_load_dword v5, v[6:7], off
	global_load_dword v14, v[10:11], off offset:64
	s_waitcnt vmcnt(1)
	global_store_dword v[10:11], v5, off offset:64
	s_waitcnt vmcnt(1)
	global_store_dword v[6:7], v14, off
.LBB126_412:
	s_or_b64 exec, exec, s[14:15]
	v_mov_b32_e32 v15, v4
	v_mov_b32_e32 v14, v4
.LBB126_413:
	s_or_b64 exec, exec, s[12:13]
.LBB126_414:
	s_andn2_saveexec_b64 s[0:1], s[0:1]
	s_cbranch_execz .LBB126_420
; %bb.415:
	s_mov_b32 s4, 0
	v_add_u32_e32 v4, 0x110, v12
	s_branch .LBB126_417
.LBB126_416:                            ;   in Loop: Header=BB126_417 Depth=1
	s_andn2_b64 vcc, exec, s[12:13]
	s_cbranch_vccz .LBB126_419
.LBB126_417:                            ; =>This Inner Loop Header: Depth=1
	s_add_i32 s12, s4, 0x110
	s_add_i32 s13, s4, 0x120
	scratch_load_dwordx4 v[16:19], off, s12
	scratch_load_dwordx4 v[20:23], off, s13
	s_add_i32 s12, s4, 0x130
	s_add_i32 s13, s4, 0x140
	scratch_load_dwordx4 v[24:27], off, s12
	scratch_load_dwordx4 v[28:31], off, s13
	;; [unrolled: 4-line block ×3, first 2 shown]
	s_add_i32 s12, s4, 0x170
	scratch_load_dwordx4 v[40:43], off, s12
	s_mov_b32 s5, s4
	v_add_u32_e32 v5, s4, v4
	s_cmpk_eq_i32 s4, 0x280
	s_mov_b64 s[12:13], -1
	s_waitcnt vmcnt(6)
	ds_write2_b64 v5, v[16:17], v[18:19] offset1:1
	s_waitcnt vmcnt(5)
	ds_write2_b64 v5, v[20:21], v[22:23] offset0:2 offset1:3
	s_waitcnt vmcnt(4)
	ds_write2_b64 v5, v[24:25], v[26:27] offset0:4 offset1:5
	;; [unrolled: 2-line block ×6, first 2 shown]
	s_cbranch_scc1 .LBB126_416
; %bb.418:                              ;   in Loop: Header=BB126_417 Depth=1
	s_addk_i32 s5, 0x180
	scratch_load_dwordx4 v[16:19], off, s5
	s_addk_i32 s4, 0x80
	s_mov_b64 s[12:13], 0
	s_waitcnt vmcnt(0)
	ds_write2_b64 v5, v[16:17], v[18:19] offset0:14 offset1:15
	s_branch .LBB126_416
.LBB126_419:
	v_mov_b32_e32 v15, 16
.LBB126_420:
	s_or_b64 exec, exec, s[0:1]
	v_cmp_lt_i32_e32 vcc, 16, v15
	s_waitcnt lgkmcnt(0)
	s_barrier
	s_and_saveexec_b64 s[0:1], vcc
	s_cbranch_execz .LBB126_425
; %bb.421:
	scratch_load_dwordx4 v[16:19], off, off offset:256
	s_mov_b32 s14, 0
	s_waitcnt vmcnt(0)
	v_mul_f64 v[4:5], v[2:3], v[18:19]
	v_mul_f64 v[6:7], v[0:1], v[18:19]
	v_fma_f64 v[4:5], v[0:1], v[16:17], -v[4:5]
	v_fmac_f64_e32 v[6:7], v[2:3], v[16:17]
	v_add_u32_e32 v0, 0x110, v12
	scratch_store_dwordx4 off, v[4:7], off offset:256
	s_branch .LBB126_423
.LBB126_422:                            ;   in Loop: Header=BB126_423 Depth=1
	s_andn2_b64 vcc, exec, s[12:13]
	s_cbranch_vccz .LBB126_425
.LBB126_423:                            ; =>This Inner Loop Header: Depth=1
	s_add_i32 s4, s14, 0x110
	scratch_load_dwordx4 v[16:19], off, s4
	s_add_i32 s5, s14, 0x120
	s_add_i32 s12, s14, 0x130
	;; [unrolled: 1-line block ×5, first 2 shown]
	scratch_load_dwordx4 v[20:23], off, s5
	scratch_load_dwordx4 v[24:27], off, s12
	scratch_load_dwordx4 v[28:31], off, s13
	scratch_load_dwordx4 v[32:35], off, s16
	scratch_load_dwordx4 v[36:39], off, s68
	v_add_u32_e32 v1, s14, v0
	ds_read2_b64 v[40:43], v1 offset1:1
	ds_read2_b64 v[44:47], v1 offset0:2 offset1:3
	ds_read2_b64 v[48:51], v1 offset0:4 offset1:5
	;; [unrolled: 1-line block ×5, first 2 shown]
	s_waitcnt lgkmcnt(5)
	v_mul_f64 v[2:3], v[42:43], v[6:7]
	v_mul_f64 v[64:65], v[40:41], v[6:7]
	s_waitcnt lgkmcnt(4)
	v_mul_f64 v[66:67], v[46:47], v[6:7]
	v_mul_f64 v[68:69], v[44:45], v[6:7]
	;; [unrolled: 3-line block ×6, first 2 shown]
	v_fma_f64 v[2:3], v[40:41], v[4:5], -v[2:3]
	v_fmac_f64_e32 v[64:65], v[42:43], v[4:5]
	v_fma_f64 v[40:41], v[44:45], v[4:5], -v[66:67]
	v_fmac_f64_e32 v[68:69], v[46:47], v[4:5]
	v_fma_f64 v[42:43], v[48:49], v[4:5], -v[70:71]
	v_fmac_f64_e32 v[72:73], v[50:51], v[4:5]
	v_fma_f64 v[44:45], v[52:53], v[4:5], -v[74:75]
	v_fmac_f64_e32 v[76:77], v[54:55], v[4:5]
	v_fma_f64 v[46:47], v[56:57], v[4:5], -v[78:79]
	v_fmac_f64_e32 v[80:81], v[58:59], v[4:5]
	v_fma_f64 v[48:49], v[60:61], v[4:5], -v[82:83]
	v_fmac_f64_e32 v[6:7], v[62:63], v[4:5]
	s_mov_b32 s15, s14
	s_waitcnt vmcnt(5)
	v_add_f64 v[2:3], v[16:17], -v[2:3]
	v_add_f64 v[4:5], v[18:19], -v[64:65]
	s_waitcnt vmcnt(4)
	v_add_f64 v[16:17], v[20:21], -v[40:41]
	v_add_f64 v[18:19], v[22:23], -v[68:69]
	;; [unrolled: 3-line block ×6, first 2 shown]
	scratch_store_dwordx4 off, v[2:5], s4
	scratch_store_dwordx4 off, v[16:19], s5
	scratch_store_dwordx4 off, v[20:23], s12
	scratch_store_dwordx4 off, v[24:27], s13
	scratch_store_dwordx4 off, v[28:31], s16
	scratch_store_dwordx4 off, v[32:35], s68
	scratch_load_dwordx4 v[4:7], off, off offset:256
	s_add_i32 s4, s14, 0x170
	scratch_load_dwordx4 v[16:19], off, s4
	ds_read2_b64 v[20:23], v1 offset0:12 offset1:13
	s_cmpk_eq_i32 s14, 0x280
	s_mov_b64 s[12:13], -1
	s_waitcnt vmcnt(1) lgkmcnt(0)
	v_mul_f64 v[2:3], v[22:23], v[6:7]
	v_mul_f64 v[24:25], v[20:21], v[6:7]
	v_fma_f64 v[2:3], v[20:21], v[4:5], -v[2:3]
	v_fmac_f64_e32 v[24:25], v[22:23], v[4:5]
	s_waitcnt vmcnt(0)
	v_add_f64 v[16:17], v[16:17], -v[2:3]
	v_add_f64 v[18:19], v[18:19], -v[24:25]
	scratch_store_dwordx4 off, v[16:19], s4
	s_cbranch_scc1 .LBB126_422
; %bb.424:                              ;   in Loop: Header=BB126_423 Depth=1
	s_addk_i32 s15, 0x180
	scratch_load_dwordx4 v[16:19], off, s15
	ds_read2_b64 v[20:23], v1 offset0:14 offset1:15
	s_addk_i32 s14, 0x80
	s_mov_b64 s[12:13], 0
	s_waitcnt lgkmcnt(0)
	v_mul_f64 v[2:3], v[22:23], v[6:7]
	v_mul_f64 v[24:25], v[20:21], v[6:7]
	v_fma_f64 v[2:3], v[20:21], v[4:5], -v[2:3]
	v_fmac_f64_e32 v[24:25], v[22:23], v[4:5]
	s_waitcnt vmcnt(0)
	v_add_f64 v[16:17], v[16:17], -v[2:3]
	v_add_f64 v[18:19], v[18:19], -v[24:25]
	scratch_store_dwordx4 off, v[16:19], s15
	s_branch .LBB126_422
.LBB126_425:
	s_or_b64 exec, exec, s[0:1]
	s_barrier
	scratch_load_dwordx4 v[0:3], off, s86
	v_lshl_add_u32 v4, v15, 4, v12
	s_cmp_lt_i32 s67, 19
	s_waitcnt vmcnt(0)
	ds_write2_b64 v4, v[0:1], v[2:3] offset1:1
	s_waitcnt lgkmcnt(0)
	s_barrier
	ds_read2_b64 v[0:3], v12 offset0:34 offset1:35
	v_mov_b32_e32 v4, 17
	s_cbranch_scc1 .LBB126_428
; %bb.426:
	v_add_u32_e32 v5, 0x120, v12
	s_mov_b32 s4, 18
	v_mov_b32_e32 v4, 17
.LBB126_427:                            ; =>This Inner Loop Header: Depth=1
	ds_read2_b64 v[16:19], v5 offset1:1
	s_waitcnt lgkmcnt(1)
	v_xor_b32_e32 v7, 0x80000000, v1
	v_xor_b32_e32 v21, 0x80000000, v3
	v_cmp_gt_f64_e32 vcc, 0, v[2:3]
	v_cmp_gt_f64_e64 s[0:1], 0, v[0:1]
	v_mov_b32_e32 v6, v0
	v_mov_b32_e32 v20, v2
	v_cndmask_b32_e64 v7, v1, v7, s[0:1]
	v_cndmask_b32_e32 v21, v3, v21, vcc
	v_add_f64 v[6:7], v[6:7], v[20:21]
	s_waitcnt lgkmcnt(0)
	v_xor_b32_e32 v21, 0x80000000, v17
	v_xor_b32_e32 v23, 0x80000000, v19
	v_cmp_gt_f64_e32 vcc, 0, v[18:19]
	v_cmp_gt_f64_e64 s[0:1], 0, v[16:17]
	v_mov_b32_e32 v20, v16
	v_mov_b32_e32 v22, v18
	v_cndmask_b32_e64 v21, v17, v21, s[0:1]
	v_cndmask_b32_e32 v23, v19, v23, vcc
	v_add_f64 v[20:21], v[20:21], v[22:23]
	v_mov_b32_e32 v24, s4
	s_add_i32 s4, s4, 1
	v_cmp_lt_f64_e32 vcc, v[6:7], v[20:21]
	v_add_u32_e32 v5, 16, v5
	s_cmp_lg_u32 s67, s4
	v_cndmask_b32_e32 v1, v1, v17, vcc
	v_cndmask_b32_e32 v0, v0, v16, vcc
	;; [unrolled: 1-line block ×5, first 2 shown]
	s_cbranch_scc1 .LBB126_427
.LBB126_428:
	s_waitcnt lgkmcnt(0)
	v_cmp_eq_f64_e32 vcc, 0, v[0:1]
	v_cmp_eq_f64_e64 s[0:1], 0, v[2:3]
	s_and_b64 s[0:1], vcc, s[0:1]
	s_and_saveexec_b64 s[4:5], s[0:1]
	s_xor_b64 s[0:1], exec, s[4:5]
; %bb.429:
	v_cmp_ne_u32_e32 vcc, 0, v13
	s_nop 1
	v_cndmask_b32_e32 v13, 18, v13, vcc
; %bb.430:
	s_andn2_saveexec_b64 s[0:1], s[0:1]
	s_cbranch_execz .LBB126_436
; %bb.431:
	v_cmp_ngt_f64_e64 s[4:5], |v[0:1]|, |v[2:3]|
	s_and_saveexec_b64 s[12:13], s[4:5]
	s_xor_b64 s[12:13], exec, s[12:13]
	s_cbranch_execz .LBB126_433
; %bb.432:
	v_div_scale_f64 v[6:7], s[4:5], v[2:3], v[2:3], v[0:1]
	v_rcp_f64_e32 v[16:17], v[6:7]
	v_div_scale_f64 v[18:19], vcc, v[0:1], v[2:3], v[0:1]
	v_fma_f64 v[20:21], -v[6:7], v[16:17], 1.0
	v_fmac_f64_e32 v[16:17], v[16:17], v[20:21]
	v_fma_f64 v[20:21], -v[6:7], v[16:17], 1.0
	v_fmac_f64_e32 v[16:17], v[16:17], v[20:21]
	v_mul_f64 v[20:21], v[18:19], v[16:17]
	v_fma_f64 v[6:7], -v[6:7], v[20:21], v[18:19]
	v_div_fmas_f64 v[6:7], v[6:7], v[16:17], v[20:21]
	v_div_fixup_f64 v[6:7], v[6:7], v[2:3], v[0:1]
	v_fmac_f64_e32 v[2:3], v[0:1], v[6:7]
	v_div_scale_f64 v[0:1], s[4:5], v[2:3], v[2:3], 1.0
	v_rcp_f64_e32 v[16:17], v[0:1]
	s_nop 0
	v_fma_f64 v[18:19], -v[0:1], v[16:17], 1.0
	v_fmac_f64_e32 v[16:17], v[16:17], v[18:19]
	v_fma_f64 v[18:19], -v[0:1], v[16:17], 1.0
	v_fmac_f64_e32 v[16:17], v[16:17], v[18:19]
	v_div_scale_f64 v[18:19], vcc, 1.0, v[2:3], 1.0
	v_mul_f64 v[20:21], v[18:19], v[16:17]
	v_fma_f64 v[0:1], -v[0:1], v[20:21], v[18:19]
	s_nop 1
	v_div_fmas_f64 v[0:1], v[0:1], v[16:17], v[20:21]
	v_div_fixup_f64 v[2:3], v[0:1], v[2:3], 1.0
	v_mul_f64 v[0:1], v[6:7], v[2:3]
	v_xor_b32_e32 v3, 0x80000000, v3
.LBB126_433:
	s_andn2_saveexec_b64 s[12:13], s[12:13]
	s_cbranch_execz .LBB126_435
; %bb.434:
	v_div_scale_f64 v[6:7], s[4:5], v[0:1], v[0:1], v[2:3]
	v_rcp_f64_e32 v[16:17], v[6:7]
	v_div_scale_f64 v[18:19], vcc, v[2:3], v[0:1], v[2:3]
	v_fma_f64 v[20:21], -v[6:7], v[16:17], 1.0
	v_fmac_f64_e32 v[16:17], v[16:17], v[20:21]
	v_fma_f64 v[20:21], -v[6:7], v[16:17], 1.0
	v_fmac_f64_e32 v[16:17], v[16:17], v[20:21]
	v_mul_f64 v[20:21], v[18:19], v[16:17]
	v_fma_f64 v[6:7], -v[6:7], v[20:21], v[18:19]
	v_div_fmas_f64 v[6:7], v[6:7], v[16:17], v[20:21]
	v_div_fixup_f64 v[6:7], v[6:7], v[0:1], v[2:3]
	v_fmac_f64_e32 v[0:1], v[2:3], v[6:7]
	v_div_scale_f64 v[2:3], s[4:5], v[0:1], v[0:1], 1.0
	v_rcp_f64_e32 v[16:17], v[2:3]
	s_nop 0
	v_fma_f64 v[18:19], -v[2:3], v[16:17], 1.0
	v_fmac_f64_e32 v[16:17], v[16:17], v[18:19]
	v_fma_f64 v[18:19], -v[2:3], v[16:17], 1.0
	v_fmac_f64_e32 v[16:17], v[16:17], v[18:19]
	v_div_scale_f64 v[18:19], vcc, 1.0, v[0:1], 1.0
	v_mul_f64 v[20:21], v[18:19], v[16:17]
	v_fma_f64 v[2:3], -v[2:3], v[20:21], v[18:19]
	s_nop 1
	v_div_fmas_f64 v[2:3], v[2:3], v[16:17], v[20:21]
	v_div_fixup_f64 v[0:1], v[2:3], v[0:1], 1.0
	v_mul_f64 v[2:3], v[6:7], -v[0:1]
.LBB126_435:
	s_or_b64 exec, exec, s[12:13]
.LBB126_436:
	s_or_b64 exec, exec, s[0:1]
	v_cmp_ne_u32_e32 vcc, v15, v4
	s_and_saveexec_b64 s[0:1], vcc
	s_xor_b64 s[0:1], exec, s[0:1]
	s_cbranch_execz .LBB126_442
; %bb.437:
	v_cmp_eq_u32_e32 vcc, 17, v15
	s_and_saveexec_b64 s[12:13], vcc
	s_cbranch_execz .LBB126_441
; %bb.438:
	v_cmp_ne_u32_e32 vcc, 17, v4
	s_xor_b64 s[4:5], s[8:9], -1
	s_and_b64 s[4:5], s[4:5], vcc
	s_and_saveexec_b64 s[14:15], s[4:5]
	s_cbranch_execz .LBB126_440
; %bb.439:
	v_ashrrev_i32_e32 v5, 31, v4
	v_lshl_add_u64 v[6:7], v[4:5], 2, v[10:11]
	global_load_dword v5, v[6:7], off
	global_load_dword v14, v[10:11], off offset:68
	s_waitcnt vmcnt(1)
	global_store_dword v[10:11], v5, off offset:68
	s_waitcnt vmcnt(1)
	global_store_dword v[6:7], v14, off
.LBB126_440:
	s_or_b64 exec, exec, s[14:15]
	v_mov_b32_e32 v15, v4
	v_mov_b32_e32 v14, v4
.LBB126_441:
	s_or_b64 exec, exec, s[12:13]
.LBB126_442:
	s_andn2_saveexec_b64 s[0:1], s[0:1]
	s_cbranch_execz .LBB126_446
; %bb.443:
	s_mov_b32 s4, 0
	v_add_u32_e32 v4, 0x120, v12
.LBB126_444:                            ; =>This Inner Loop Header: Depth=1
	s_add_i32 s12, s4, 0x120
	s_add_i32 s5, s4, 0x130
	scratch_load_dwordx4 v[16:19], off, s12
	scratch_load_dwordx4 v[20:23], off, s5
	v_add_u32_e32 v5, s4, v4
	s_add_i32 s4, s4, 32
	s_cmpk_eq_i32 s4, 0x2e0
	s_waitcnt vmcnt(1)
	ds_write2_b64 v5, v[16:17], v[18:19] offset1:1
	s_waitcnt vmcnt(0)
	ds_write2_b64 v5, v[20:21], v[22:23] offset0:2 offset1:3
	s_cbranch_scc0 .LBB126_444
; %bb.445:
	v_mov_b32_e32 v15, 17
.LBB126_446:
	s_or_b64 exec, exec, s[0:1]
	v_cmp_lt_i32_e32 vcc, 17, v15
	s_waitcnt lgkmcnt(0)
	s_barrier
	s_and_saveexec_b64 s[0:1], vcc
	s_cbranch_execz .LBB126_449
; %bb.447:
	scratch_load_dwordx4 v[16:19], off, off offset:272
	s_mov_b32 s4, 0
	s_waitcnt vmcnt(0)
	v_mul_f64 v[4:5], v[2:3], v[18:19]
	v_mul_f64 v[6:7], v[0:1], v[18:19]
	v_fma_f64 v[4:5], v[0:1], v[16:17], -v[4:5]
	v_fmac_f64_e32 v[6:7], v[2:3], v[16:17]
	v_add_u32_e32 v0, 0x120, v12
	scratch_store_dwordx4 off, v[4:7], off offset:272
.LBB126_448:                            ; =>This Inner Loop Header: Depth=1
	s_add_i32 s12, s4, 0x120
	s_add_i32 s5, s4, 0x130
	scratch_load_dwordx4 v[16:19], off, s12
	scratch_load_dwordx4 v[20:23], off, s5
	v_add_u32_e32 v1, s4, v0
	ds_read2_b64 v[24:27], v1 offset1:1
	ds_read2_b64 v[28:31], v1 offset0:2 offset1:3
	s_add_i32 s4, s4, 32
	s_cmpk_lg_i32 s4, 0x2e0
	s_waitcnt lgkmcnt(1)
	v_mul_f64 v[2:3], v[26:27], v[6:7]
	v_mul_f64 v[32:33], v[24:25], v[6:7]
	s_waitcnt lgkmcnt(0)
	v_mul_f64 v[34:35], v[30:31], v[6:7]
	v_mul_f64 v[36:37], v[28:29], v[6:7]
	v_fma_f64 v[2:3], v[24:25], v[4:5], -v[2:3]
	v_fmac_f64_e32 v[32:33], v[26:27], v[4:5]
	v_fma_f64 v[24:25], v[28:29], v[4:5], -v[34:35]
	v_fmac_f64_e32 v[36:37], v[30:31], v[4:5]
	s_waitcnt vmcnt(1)
	v_add_f64 v[16:17], v[16:17], -v[2:3]
	v_add_f64 v[18:19], v[18:19], -v[32:33]
	s_waitcnt vmcnt(0)
	v_add_f64 v[20:21], v[20:21], -v[24:25]
	v_add_f64 v[22:23], v[22:23], -v[36:37]
	scratch_store_dwordx4 off, v[16:19], s12
	scratch_store_dwordx4 off, v[20:23], s5
	s_cbranch_scc1 .LBB126_448
.LBB126_449:
	s_or_b64 exec, exec, s[0:1]
	s_barrier
	scratch_load_dwordx4 v[0:3], off, s58
	v_lshl_add_u32 v4, v15, 4, v12
	s_cmp_lt_i32 s67, 20
	s_waitcnt vmcnt(0)
	ds_write2_b64 v4, v[0:1], v[2:3] offset1:1
	s_waitcnt lgkmcnt(0)
	s_barrier
	ds_read2_b64 v[0:3], v12 offset0:36 offset1:37
	v_mov_b32_e32 v4, 18
	s_cbranch_scc1 .LBB126_452
; %bb.450:
	v_add_u32_e32 v5, 0x130, v12
	s_mov_b32 s4, 19
	v_mov_b32_e32 v4, 18
.LBB126_451:                            ; =>This Inner Loop Header: Depth=1
	ds_read2_b64 v[16:19], v5 offset1:1
	s_waitcnt lgkmcnt(1)
	v_xor_b32_e32 v7, 0x80000000, v1
	v_xor_b32_e32 v21, 0x80000000, v3
	v_cmp_gt_f64_e32 vcc, 0, v[2:3]
	v_cmp_gt_f64_e64 s[0:1], 0, v[0:1]
	v_mov_b32_e32 v6, v0
	v_mov_b32_e32 v20, v2
	v_cndmask_b32_e64 v7, v1, v7, s[0:1]
	v_cndmask_b32_e32 v21, v3, v21, vcc
	v_add_f64 v[6:7], v[6:7], v[20:21]
	s_waitcnt lgkmcnt(0)
	v_xor_b32_e32 v21, 0x80000000, v17
	v_xor_b32_e32 v23, 0x80000000, v19
	v_cmp_gt_f64_e32 vcc, 0, v[18:19]
	v_cmp_gt_f64_e64 s[0:1], 0, v[16:17]
	v_mov_b32_e32 v20, v16
	v_mov_b32_e32 v22, v18
	v_cndmask_b32_e64 v21, v17, v21, s[0:1]
	v_cndmask_b32_e32 v23, v19, v23, vcc
	v_add_f64 v[20:21], v[20:21], v[22:23]
	v_mov_b32_e32 v24, s4
	s_add_i32 s4, s4, 1
	v_cmp_lt_f64_e32 vcc, v[6:7], v[20:21]
	v_add_u32_e32 v5, 16, v5
	s_cmp_lg_u32 s67, s4
	v_cndmask_b32_e32 v1, v1, v17, vcc
	v_cndmask_b32_e32 v0, v0, v16, vcc
	;; [unrolled: 1-line block ×5, first 2 shown]
	s_cbranch_scc1 .LBB126_451
.LBB126_452:
	s_waitcnt lgkmcnt(0)
	v_cmp_eq_f64_e32 vcc, 0, v[0:1]
	v_cmp_eq_f64_e64 s[0:1], 0, v[2:3]
	s_and_b64 s[0:1], vcc, s[0:1]
	s_and_saveexec_b64 s[4:5], s[0:1]
	s_xor_b64 s[0:1], exec, s[4:5]
; %bb.453:
	v_cmp_ne_u32_e32 vcc, 0, v13
	s_nop 1
	v_cndmask_b32_e32 v13, 19, v13, vcc
; %bb.454:
	s_andn2_saveexec_b64 s[0:1], s[0:1]
	s_cbranch_execz .LBB126_460
; %bb.455:
	v_cmp_ngt_f64_e64 s[4:5], |v[0:1]|, |v[2:3]|
	s_and_saveexec_b64 s[12:13], s[4:5]
	s_xor_b64 s[12:13], exec, s[12:13]
	s_cbranch_execz .LBB126_457
; %bb.456:
	v_div_scale_f64 v[6:7], s[4:5], v[2:3], v[2:3], v[0:1]
	v_rcp_f64_e32 v[16:17], v[6:7]
	v_div_scale_f64 v[18:19], vcc, v[0:1], v[2:3], v[0:1]
	v_fma_f64 v[20:21], -v[6:7], v[16:17], 1.0
	v_fmac_f64_e32 v[16:17], v[16:17], v[20:21]
	v_fma_f64 v[20:21], -v[6:7], v[16:17], 1.0
	v_fmac_f64_e32 v[16:17], v[16:17], v[20:21]
	v_mul_f64 v[20:21], v[18:19], v[16:17]
	v_fma_f64 v[6:7], -v[6:7], v[20:21], v[18:19]
	v_div_fmas_f64 v[6:7], v[6:7], v[16:17], v[20:21]
	v_div_fixup_f64 v[6:7], v[6:7], v[2:3], v[0:1]
	v_fmac_f64_e32 v[2:3], v[0:1], v[6:7]
	v_div_scale_f64 v[0:1], s[4:5], v[2:3], v[2:3], 1.0
	v_rcp_f64_e32 v[16:17], v[0:1]
	s_nop 0
	v_fma_f64 v[18:19], -v[0:1], v[16:17], 1.0
	v_fmac_f64_e32 v[16:17], v[16:17], v[18:19]
	v_fma_f64 v[18:19], -v[0:1], v[16:17], 1.0
	v_fmac_f64_e32 v[16:17], v[16:17], v[18:19]
	v_div_scale_f64 v[18:19], vcc, 1.0, v[2:3], 1.0
	v_mul_f64 v[20:21], v[18:19], v[16:17]
	v_fma_f64 v[0:1], -v[0:1], v[20:21], v[18:19]
	s_nop 1
	v_div_fmas_f64 v[0:1], v[0:1], v[16:17], v[20:21]
	v_div_fixup_f64 v[2:3], v[0:1], v[2:3], 1.0
	v_mul_f64 v[0:1], v[6:7], v[2:3]
	v_xor_b32_e32 v3, 0x80000000, v3
.LBB126_457:
	s_andn2_saveexec_b64 s[12:13], s[12:13]
	s_cbranch_execz .LBB126_459
; %bb.458:
	v_div_scale_f64 v[6:7], s[4:5], v[0:1], v[0:1], v[2:3]
	v_rcp_f64_e32 v[16:17], v[6:7]
	v_div_scale_f64 v[18:19], vcc, v[2:3], v[0:1], v[2:3]
	v_fma_f64 v[20:21], -v[6:7], v[16:17], 1.0
	v_fmac_f64_e32 v[16:17], v[16:17], v[20:21]
	v_fma_f64 v[20:21], -v[6:7], v[16:17], 1.0
	v_fmac_f64_e32 v[16:17], v[16:17], v[20:21]
	v_mul_f64 v[20:21], v[18:19], v[16:17]
	v_fma_f64 v[6:7], -v[6:7], v[20:21], v[18:19]
	v_div_fmas_f64 v[6:7], v[6:7], v[16:17], v[20:21]
	v_div_fixup_f64 v[6:7], v[6:7], v[0:1], v[2:3]
	v_fmac_f64_e32 v[0:1], v[2:3], v[6:7]
	v_div_scale_f64 v[2:3], s[4:5], v[0:1], v[0:1], 1.0
	v_rcp_f64_e32 v[16:17], v[2:3]
	s_nop 0
	v_fma_f64 v[18:19], -v[2:3], v[16:17], 1.0
	v_fmac_f64_e32 v[16:17], v[16:17], v[18:19]
	v_fma_f64 v[18:19], -v[2:3], v[16:17], 1.0
	v_fmac_f64_e32 v[16:17], v[16:17], v[18:19]
	v_div_scale_f64 v[18:19], vcc, 1.0, v[0:1], 1.0
	v_mul_f64 v[20:21], v[18:19], v[16:17]
	v_fma_f64 v[2:3], -v[2:3], v[20:21], v[18:19]
	s_nop 1
	v_div_fmas_f64 v[2:3], v[2:3], v[16:17], v[20:21]
	v_div_fixup_f64 v[0:1], v[2:3], v[0:1], 1.0
	v_mul_f64 v[2:3], v[6:7], -v[0:1]
.LBB126_459:
	s_or_b64 exec, exec, s[12:13]
.LBB126_460:
	s_or_b64 exec, exec, s[0:1]
	v_cmp_ne_u32_e32 vcc, v15, v4
	s_and_saveexec_b64 s[0:1], vcc
	s_xor_b64 s[0:1], exec, s[0:1]
	s_cbranch_execz .LBB126_466
; %bb.461:
	v_cmp_eq_u32_e32 vcc, 18, v15
	s_and_saveexec_b64 s[12:13], vcc
	s_cbranch_execz .LBB126_465
; %bb.462:
	v_cmp_ne_u32_e32 vcc, 18, v4
	s_xor_b64 s[4:5], s[8:9], -1
	s_and_b64 s[4:5], s[4:5], vcc
	s_and_saveexec_b64 s[14:15], s[4:5]
	s_cbranch_execz .LBB126_464
; %bb.463:
	v_ashrrev_i32_e32 v5, 31, v4
	v_lshl_add_u64 v[6:7], v[4:5], 2, v[10:11]
	global_load_dword v5, v[6:7], off
	global_load_dword v14, v[10:11], off offset:72
	s_waitcnt vmcnt(1)
	global_store_dword v[10:11], v5, off offset:72
	s_waitcnt vmcnt(1)
	global_store_dword v[6:7], v14, off
.LBB126_464:
	s_or_b64 exec, exec, s[14:15]
	v_mov_b32_e32 v15, v4
	v_mov_b32_e32 v14, v4
.LBB126_465:
	s_or_b64 exec, exec, s[12:13]
.LBB126_466:
	s_andn2_saveexec_b64 s[0:1], s[0:1]
	s_cbranch_execz .LBB126_470
; %bb.467:
	s_mov_b32 s4, 0
	v_add_u32_e32 v4, 0x130, v12
.LBB126_468:                            ; =>This Inner Loop Header: Depth=1
	s_add_i32 s12, s4, 0x130
	s_add_i32 s13, s4, 0x140
	;; [unrolled: 1-line block ×15, first 2 shown]
	scratch_load_dwordx4 v[16:19], off, s12
	scratch_load_dwordx4 v[20:23], off, s13
	;; [unrolled: 1-line block ×15, first 2 shown]
	v_add_u32_e32 v5, s4, v4
	s_addk_i32 s4, 0xf0
	s_cmpk_eq_i32 s4, 0x2d0
	s_waitcnt vmcnt(14)
	ds_write2_b64 v5, v[16:17], v[18:19] offset1:1
	s_waitcnt vmcnt(13)
	ds_write2_b64 v5, v[20:21], v[22:23] offset0:2 offset1:3
	s_waitcnt vmcnt(12)
	ds_write2_b64 v5, v[24:25], v[26:27] offset0:4 offset1:5
	;; [unrolled: 2-line block ×14, first 2 shown]
	s_cbranch_scc0 .LBB126_468
; %bb.469:
	v_mov_b32_e32 v15, 18
.LBB126_470:
	s_or_b64 exec, exec, s[0:1]
	v_cmp_lt_i32_e32 vcc, 18, v15
	s_waitcnt lgkmcnt(0)
	s_barrier
	s_and_saveexec_b64 s[0:1], vcc
	s_cbranch_execz .LBB126_473
; %bb.471:
	scratch_load_dwordx4 v[16:19], off, off offset:288
	s_mov_b32 s12, 0
	s_waitcnt vmcnt(0)
	v_mul_f64 v[4:5], v[2:3], v[18:19]
	v_mul_f64 v[6:7], v[0:1], v[18:19]
	v_fma_f64 v[4:5], v[0:1], v[16:17], -v[4:5]
	v_fmac_f64_e32 v[6:7], v[2:3], v[16:17]
	v_add_u32_e32 v0, 0x130, v12
	scratch_store_dwordx4 off, v[4:7], off offset:288
.LBB126_472:                            ; =>This Inner Loop Header: Depth=1
	v_add_u32_e32 v1, s12, v0
	ds_read2_b64 v[16:19], v1 offset1:1
	ds_read2_b64 v[20:23], v1 offset0:2 offset1:3
	ds_read2_b64 v[24:27], v1 offset0:4 offset1:5
	;; [unrolled: 1-line block ×5, first 2 shown]
	s_add_i32 s13, s12, 0x130
	s_waitcnt lgkmcnt(5)
	v_mul_f64 v[2:3], v[18:19], v[6:7]
	v_mul_f64 v[72:73], v[16:17], v[6:7]
	s_waitcnt lgkmcnt(4)
	v_mul_f64 v[74:75], v[22:23], v[6:7]
	v_mul_f64 v[76:77], v[20:21], v[6:7]
	;; [unrolled: 3-line block ×6, first 2 shown]
	s_add_i32 s14, s12, 0x140
	s_add_i32 s15, s12, 0x150
	;; [unrolled: 1-line block ×8, first 2 shown]
	scratch_load_dwordx4 v[40:43], off, s13
	scratch_load_dwordx4 v[44:47], off, s14
	scratch_load_dwordx4 v[48:51], off, s15
	scratch_load_dwordx4 v[52:55], off, s5
	scratch_load_dwordx4 v[56:59], off, s16
	scratch_load_dwordx4 v[60:63], off, s68
	scratch_load_dwordx4 v[64:67], off, s69
	scratch_load_dwordx4 v[68:71], off, s70
	v_fma_f64 v[2:3], v[16:17], v[4:5], -v[2:3]
	v_fmac_f64_e32 v[72:73], v[18:19], v[4:5]
	v_fma_f64 v[74:75], v[20:21], v[4:5], -v[74:75]
	v_fmac_f64_e32 v[76:77], v[22:23], v[4:5]
	;; [unrolled: 2-line block ×6, first 2 shown]
	scratch_load_dwordx4 v[4:7], off, off offset:288
	scratch_load_dwordx4 v[16:19], off, s4
	ds_read2_b64 v[20:23], v1 offset0:12 offset1:13
	ds_read2_b64 v[24:27], v1 offset0:14 offset1:15
	;; [unrolled: 1-line block ×3, first 2 shown]
	s_addk_i32 s12, 0x90
	s_cmpk_lg_i32 s12, 0x2d0
	s_waitcnt vmcnt(9)
	v_add_f64 v[32:33], v[40:41], -v[2:3]
	v_add_f64 v[34:35], v[42:43], -v[72:73]
	s_waitcnt vmcnt(8)
	v_add_f64 v[36:37], v[44:45], -v[74:75]
	v_add_f64 v[38:39], v[46:47], -v[76:77]
	;; [unrolled: 3-line block ×6, first 2 shown]
	scratch_store_dwordx4 off, v[32:35], s13
	scratch_store_dwordx4 off, v[36:39], s14
	scratch_store_dwordx4 off, v[40:43], s15
	scratch_store_dwordx4 off, v[44:47], s5
	scratch_store_dwordx4 off, v[48:51], s16
	scratch_store_dwordx4 off, v[52:55], s68
	s_waitcnt vmcnt(7) lgkmcnt(2)
	v_mul_f64 v[2:3], v[22:23], v[6:7]
	v_mul_f64 v[32:33], v[20:21], v[6:7]
	s_waitcnt lgkmcnt(1)
	v_mul_f64 v[34:35], v[26:27], v[6:7]
	v_mul_f64 v[36:37], v[24:25], v[6:7]
	s_waitcnt lgkmcnt(0)
	v_mul_f64 v[38:39], v[30:31], v[6:7]
	v_mul_f64 v[40:41], v[28:29], v[6:7]
	v_fma_f64 v[2:3], v[20:21], v[4:5], -v[2:3]
	v_fmac_f64_e32 v[32:33], v[22:23], v[4:5]
	v_fma_f64 v[24:25], v[24:25], v[4:5], -v[34:35]
	v_fmac_f64_e32 v[36:37], v[26:27], v[4:5]
	;; [unrolled: 2-line block ×3, first 2 shown]
	v_add_f64 v[20:21], v[64:65], -v[2:3]
	v_add_f64 v[22:23], v[66:67], -v[32:33]
	v_add_f64 v[24:25], v[68:69], -v[24:25]
	v_add_f64 v[26:27], v[70:71], -v[36:37]
	s_waitcnt vmcnt(6)
	v_add_f64 v[16:17], v[16:17], -v[28:29]
	v_add_f64 v[18:19], v[18:19], -v[40:41]
	scratch_store_dwordx4 off, v[20:23], s69
	scratch_store_dwordx4 off, v[24:27], s70
	;; [unrolled: 1-line block ×3, first 2 shown]
	s_cbranch_scc1 .LBB126_472
.LBB126_473:
	s_or_b64 exec, exec, s[0:1]
	s_barrier
	scratch_load_dwordx4 v[0:3], off, s55
	v_lshl_add_u32 v4, v15, 4, v12
	s_cmp_lt_i32 s67, 21
	s_waitcnt vmcnt(0)
	ds_write2_b64 v4, v[0:1], v[2:3] offset1:1
	s_waitcnt lgkmcnt(0)
	s_barrier
	ds_read2_b64 v[0:3], v12 offset0:38 offset1:39
	v_mov_b32_e32 v4, 19
	s_cbranch_scc1 .LBB126_476
; %bb.474:
	v_add_u32_e32 v5, 0x140, v12
	s_mov_b32 s4, 20
	v_mov_b32_e32 v4, 19
.LBB126_475:                            ; =>This Inner Loop Header: Depth=1
	ds_read2_b64 v[16:19], v5 offset1:1
	s_waitcnt lgkmcnt(1)
	v_xor_b32_e32 v7, 0x80000000, v1
	v_xor_b32_e32 v21, 0x80000000, v3
	v_cmp_gt_f64_e32 vcc, 0, v[2:3]
	v_cmp_gt_f64_e64 s[0:1], 0, v[0:1]
	v_mov_b32_e32 v6, v0
	v_mov_b32_e32 v20, v2
	v_cndmask_b32_e64 v7, v1, v7, s[0:1]
	v_cndmask_b32_e32 v21, v3, v21, vcc
	v_add_f64 v[6:7], v[6:7], v[20:21]
	s_waitcnt lgkmcnt(0)
	v_xor_b32_e32 v21, 0x80000000, v17
	v_xor_b32_e32 v23, 0x80000000, v19
	v_cmp_gt_f64_e32 vcc, 0, v[18:19]
	v_cmp_gt_f64_e64 s[0:1], 0, v[16:17]
	v_mov_b32_e32 v20, v16
	v_mov_b32_e32 v22, v18
	v_cndmask_b32_e64 v21, v17, v21, s[0:1]
	v_cndmask_b32_e32 v23, v19, v23, vcc
	v_add_f64 v[20:21], v[20:21], v[22:23]
	v_mov_b32_e32 v24, s4
	s_add_i32 s4, s4, 1
	v_cmp_lt_f64_e32 vcc, v[6:7], v[20:21]
	v_add_u32_e32 v5, 16, v5
	s_cmp_lg_u32 s67, s4
	v_cndmask_b32_e32 v1, v1, v17, vcc
	v_cndmask_b32_e32 v0, v0, v16, vcc
	;; [unrolled: 1-line block ×5, first 2 shown]
	s_cbranch_scc1 .LBB126_475
.LBB126_476:
	s_waitcnt lgkmcnt(0)
	v_cmp_eq_f64_e32 vcc, 0, v[0:1]
	v_cmp_eq_f64_e64 s[0:1], 0, v[2:3]
	s_and_b64 s[0:1], vcc, s[0:1]
	s_and_saveexec_b64 s[4:5], s[0:1]
	s_xor_b64 s[0:1], exec, s[4:5]
; %bb.477:
	v_cmp_ne_u32_e32 vcc, 0, v13
	s_nop 1
	v_cndmask_b32_e32 v13, 20, v13, vcc
; %bb.478:
	s_andn2_saveexec_b64 s[0:1], s[0:1]
	s_cbranch_execz .LBB126_484
; %bb.479:
	v_cmp_ngt_f64_e64 s[4:5], |v[0:1]|, |v[2:3]|
	s_and_saveexec_b64 s[12:13], s[4:5]
	s_xor_b64 s[12:13], exec, s[12:13]
	s_cbranch_execz .LBB126_481
; %bb.480:
	v_div_scale_f64 v[6:7], s[4:5], v[2:3], v[2:3], v[0:1]
	v_rcp_f64_e32 v[16:17], v[6:7]
	v_div_scale_f64 v[18:19], vcc, v[0:1], v[2:3], v[0:1]
	v_fma_f64 v[20:21], -v[6:7], v[16:17], 1.0
	v_fmac_f64_e32 v[16:17], v[16:17], v[20:21]
	v_fma_f64 v[20:21], -v[6:7], v[16:17], 1.0
	v_fmac_f64_e32 v[16:17], v[16:17], v[20:21]
	v_mul_f64 v[20:21], v[18:19], v[16:17]
	v_fma_f64 v[6:7], -v[6:7], v[20:21], v[18:19]
	v_div_fmas_f64 v[6:7], v[6:7], v[16:17], v[20:21]
	v_div_fixup_f64 v[6:7], v[6:7], v[2:3], v[0:1]
	v_fmac_f64_e32 v[2:3], v[0:1], v[6:7]
	v_div_scale_f64 v[0:1], s[4:5], v[2:3], v[2:3], 1.0
	v_rcp_f64_e32 v[16:17], v[0:1]
	s_nop 0
	v_fma_f64 v[18:19], -v[0:1], v[16:17], 1.0
	v_fmac_f64_e32 v[16:17], v[16:17], v[18:19]
	v_fma_f64 v[18:19], -v[0:1], v[16:17], 1.0
	v_fmac_f64_e32 v[16:17], v[16:17], v[18:19]
	v_div_scale_f64 v[18:19], vcc, 1.0, v[2:3], 1.0
	v_mul_f64 v[20:21], v[18:19], v[16:17]
	v_fma_f64 v[0:1], -v[0:1], v[20:21], v[18:19]
	s_nop 1
	v_div_fmas_f64 v[0:1], v[0:1], v[16:17], v[20:21]
	v_div_fixup_f64 v[2:3], v[0:1], v[2:3], 1.0
	v_mul_f64 v[0:1], v[6:7], v[2:3]
	v_xor_b32_e32 v3, 0x80000000, v3
.LBB126_481:
	s_andn2_saveexec_b64 s[12:13], s[12:13]
	s_cbranch_execz .LBB126_483
; %bb.482:
	v_div_scale_f64 v[6:7], s[4:5], v[0:1], v[0:1], v[2:3]
	v_rcp_f64_e32 v[16:17], v[6:7]
	v_div_scale_f64 v[18:19], vcc, v[2:3], v[0:1], v[2:3]
	v_fma_f64 v[20:21], -v[6:7], v[16:17], 1.0
	v_fmac_f64_e32 v[16:17], v[16:17], v[20:21]
	v_fma_f64 v[20:21], -v[6:7], v[16:17], 1.0
	v_fmac_f64_e32 v[16:17], v[16:17], v[20:21]
	v_mul_f64 v[20:21], v[18:19], v[16:17]
	v_fma_f64 v[6:7], -v[6:7], v[20:21], v[18:19]
	v_div_fmas_f64 v[6:7], v[6:7], v[16:17], v[20:21]
	v_div_fixup_f64 v[6:7], v[6:7], v[0:1], v[2:3]
	v_fmac_f64_e32 v[0:1], v[2:3], v[6:7]
	v_div_scale_f64 v[2:3], s[4:5], v[0:1], v[0:1], 1.0
	v_rcp_f64_e32 v[16:17], v[2:3]
	s_nop 0
	v_fma_f64 v[18:19], -v[2:3], v[16:17], 1.0
	v_fmac_f64_e32 v[16:17], v[16:17], v[18:19]
	v_fma_f64 v[18:19], -v[2:3], v[16:17], 1.0
	v_fmac_f64_e32 v[16:17], v[16:17], v[18:19]
	v_div_scale_f64 v[18:19], vcc, 1.0, v[0:1], 1.0
	v_mul_f64 v[20:21], v[18:19], v[16:17]
	v_fma_f64 v[2:3], -v[2:3], v[20:21], v[18:19]
	s_nop 1
	v_div_fmas_f64 v[2:3], v[2:3], v[16:17], v[20:21]
	v_div_fixup_f64 v[0:1], v[2:3], v[0:1], 1.0
	v_mul_f64 v[2:3], v[6:7], -v[0:1]
.LBB126_483:
	s_or_b64 exec, exec, s[12:13]
.LBB126_484:
	s_or_b64 exec, exec, s[0:1]
	v_cmp_ne_u32_e32 vcc, v15, v4
	s_and_saveexec_b64 s[0:1], vcc
	s_xor_b64 s[0:1], exec, s[0:1]
	s_cbranch_execz .LBB126_490
; %bb.485:
	v_cmp_eq_u32_e32 vcc, 19, v15
	s_and_saveexec_b64 s[12:13], vcc
	s_cbranch_execz .LBB126_489
; %bb.486:
	v_cmp_ne_u32_e32 vcc, 19, v4
	s_xor_b64 s[4:5], s[8:9], -1
	s_and_b64 s[4:5], s[4:5], vcc
	s_and_saveexec_b64 s[14:15], s[4:5]
	s_cbranch_execz .LBB126_488
; %bb.487:
	v_ashrrev_i32_e32 v5, 31, v4
	v_lshl_add_u64 v[6:7], v[4:5], 2, v[10:11]
	global_load_dword v5, v[6:7], off
	global_load_dword v14, v[10:11], off offset:76
	s_waitcnt vmcnt(1)
	global_store_dword v[10:11], v5, off offset:76
	s_waitcnt vmcnt(1)
	global_store_dword v[6:7], v14, off
.LBB126_488:
	s_or_b64 exec, exec, s[14:15]
	v_mov_b32_e32 v15, v4
	v_mov_b32_e32 v14, v4
.LBB126_489:
	s_or_b64 exec, exec, s[12:13]
.LBB126_490:
	s_andn2_saveexec_b64 s[0:1], s[0:1]
	s_cbranch_execz .LBB126_494
; %bb.491:
	s_mov_b32 s4, 0
	v_add_u32_e32 v4, 0x140, v12
.LBB126_492:                            ; =>This Inner Loop Header: Depth=1
	s_add_i32 s12, s4, 0x140
	s_add_i32 s13, s4, 0x150
	;; [unrolled: 1-line block ×11, first 2 shown]
	scratch_load_dwordx4 v[16:19], off, s12
	scratch_load_dwordx4 v[20:23], off, s13
	scratch_load_dwordx4 v[24:27], off, s14
	scratch_load_dwordx4 v[28:31], off, s15
	scratch_load_dwordx4 v[32:35], off, s16
	scratch_load_dwordx4 v[36:39], off, s68
	scratch_load_dwordx4 v[40:43], off, s69
	scratch_load_dwordx4 v[44:47], off, s70
	scratch_load_dwordx4 v[48:51], off, s71
	scratch_load_dwordx4 v[52:55], off, s72
	scratch_load_dwordx4 v[56:59], off, s5
	v_add_u32_e32 v5, s4, v4
	s_addk_i32 s4, 0xb0
	s_cmpk_eq_i32 s4, 0x2c0
	s_waitcnt vmcnt(10)
	ds_write2_b64 v5, v[16:17], v[18:19] offset1:1
	s_waitcnt vmcnt(9)
	ds_write2_b64 v5, v[20:21], v[22:23] offset0:2 offset1:3
	s_waitcnt vmcnt(8)
	ds_write2_b64 v5, v[24:25], v[26:27] offset0:4 offset1:5
	;; [unrolled: 2-line block ×10, first 2 shown]
	s_cbranch_scc0 .LBB126_492
; %bb.493:
	v_mov_b32_e32 v15, 19
.LBB126_494:
	s_or_b64 exec, exec, s[0:1]
	v_cmp_lt_i32_e32 vcc, 19, v15
	s_waitcnt lgkmcnt(0)
	s_barrier
	s_and_saveexec_b64 s[0:1], vcc
	s_cbranch_execz .LBB126_497
; %bb.495:
	scratch_load_dwordx4 v[16:19], off, off offset:304
	s_mov_b32 s4, 0
	s_waitcnt vmcnt(0)
	v_mul_f64 v[4:5], v[2:3], v[18:19]
	v_mul_f64 v[6:7], v[0:1], v[18:19]
	v_fma_f64 v[4:5], v[0:1], v[16:17], -v[4:5]
	v_fmac_f64_e32 v[6:7], v[2:3], v[16:17]
	v_add_u32_e32 v0, 0x140, v12
	scratch_store_dwordx4 off, v[4:7], off offset:304
.LBB126_496:                            ; =>This Inner Loop Header: Depth=1
	s_add_i32 s12, s4, 0x140
	s_add_i32 s13, s4, 0x150
	;; [unrolled: 1-line block ×4, first 2 shown]
	scratch_load_dwordx4 v[16:19], off, s12
	scratch_load_dwordx4 v[20:23], off, s13
	;; [unrolled: 1-line block ×4, first 2 shown]
	v_add_u32_e32 v1, s4, v0
	ds_read2_b64 v[32:35], v1 offset1:1
	ds_read2_b64 v[36:39], v1 offset0:2 offset1:3
	ds_read2_b64 v[40:43], v1 offset0:4 offset1:5
	;; [unrolled: 1-line block ×3, first 2 shown]
	s_add_i32 s4, s4, 64
	s_waitcnt lgkmcnt(3)
	v_mul_f64 v[2:3], v[34:35], v[6:7]
	v_mul_f64 v[48:49], v[32:33], v[6:7]
	s_waitcnt lgkmcnt(2)
	v_mul_f64 v[50:51], v[38:39], v[6:7]
	v_mul_f64 v[52:53], v[36:37], v[6:7]
	s_waitcnt lgkmcnt(1)
	v_mul_f64 v[54:55], v[42:43], v[6:7]
	v_mul_f64 v[56:57], v[40:41], v[6:7]
	s_waitcnt lgkmcnt(0)
	v_mul_f64 v[58:59], v[46:47], v[6:7]
	v_mul_f64 v[60:61], v[44:45], v[6:7]
	v_fma_f64 v[2:3], v[32:33], v[4:5], -v[2:3]
	v_fmac_f64_e32 v[48:49], v[34:35], v[4:5]
	s_cmpk_lg_i32 s4, 0x2c0
	v_fma_f64 v[32:33], v[36:37], v[4:5], -v[50:51]
	v_fmac_f64_e32 v[52:53], v[38:39], v[4:5]
	v_fma_f64 v[34:35], v[40:41], v[4:5], -v[54:55]
	v_fmac_f64_e32 v[56:57], v[42:43], v[4:5]
	;; [unrolled: 2-line block ×3, first 2 shown]
	s_waitcnt vmcnt(3)
	v_add_f64 v[16:17], v[16:17], -v[2:3]
	v_add_f64 v[18:19], v[18:19], -v[48:49]
	s_waitcnt vmcnt(2)
	v_add_f64 v[20:21], v[20:21], -v[32:33]
	v_add_f64 v[22:23], v[22:23], -v[52:53]
	;; [unrolled: 3-line block ×4, first 2 shown]
	scratch_store_dwordx4 off, v[16:19], s12
	scratch_store_dwordx4 off, v[20:23], s13
	scratch_store_dwordx4 off, v[24:27], s14
	scratch_store_dwordx4 off, v[28:31], s5
	s_cbranch_scc1 .LBB126_496
.LBB126_497:
	s_or_b64 exec, exec, s[0:1]
	s_barrier
	scratch_load_dwordx4 v[0:3], off, s63
	v_lshl_add_u32 v4, v15, 4, v12
	s_cmp_lt_i32 s67, 22
	s_waitcnt vmcnt(0)
	ds_write2_b64 v4, v[0:1], v[2:3] offset1:1
	s_waitcnt lgkmcnt(0)
	s_barrier
	ds_read2_b64 v[0:3], v12 offset0:40 offset1:41
	v_mov_b32_e32 v4, 20
	s_cbranch_scc1 .LBB126_500
; %bb.498:
	v_add_u32_e32 v5, 0x150, v12
	s_mov_b32 s4, 21
	v_mov_b32_e32 v4, 20
.LBB126_499:                            ; =>This Inner Loop Header: Depth=1
	ds_read2_b64 v[16:19], v5 offset1:1
	s_waitcnt lgkmcnt(1)
	v_xor_b32_e32 v7, 0x80000000, v1
	v_xor_b32_e32 v21, 0x80000000, v3
	v_cmp_gt_f64_e32 vcc, 0, v[2:3]
	v_cmp_gt_f64_e64 s[0:1], 0, v[0:1]
	v_mov_b32_e32 v6, v0
	v_mov_b32_e32 v20, v2
	v_cndmask_b32_e64 v7, v1, v7, s[0:1]
	v_cndmask_b32_e32 v21, v3, v21, vcc
	v_add_f64 v[6:7], v[6:7], v[20:21]
	s_waitcnt lgkmcnt(0)
	v_xor_b32_e32 v21, 0x80000000, v17
	v_xor_b32_e32 v23, 0x80000000, v19
	v_cmp_gt_f64_e32 vcc, 0, v[18:19]
	v_cmp_gt_f64_e64 s[0:1], 0, v[16:17]
	v_mov_b32_e32 v20, v16
	v_mov_b32_e32 v22, v18
	v_cndmask_b32_e64 v21, v17, v21, s[0:1]
	v_cndmask_b32_e32 v23, v19, v23, vcc
	v_add_f64 v[20:21], v[20:21], v[22:23]
	v_mov_b32_e32 v24, s4
	s_add_i32 s4, s4, 1
	v_cmp_lt_f64_e32 vcc, v[6:7], v[20:21]
	v_add_u32_e32 v5, 16, v5
	s_cmp_lg_u32 s67, s4
	v_cndmask_b32_e32 v1, v1, v17, vcc
	v_cndmask_b32_e32 v0, v0, v16, vcc
	;; [unrolled: 1-line block ×5, first 2 shown]
	s_cbranch_scc1 .LBB126_499
.LBB126_500:
	s_waitcnt lgkmcnt(0)
	v_cmp_eq_f64_e32 vcc, 0, v[0:1]
	v_cmp_eq_f64_e64 s[0:1], 0, v[2:3]
	s_and_b64 s[0:1], vcc, s[0:1]
	s_and_saveexec_b64 s[4:5], s[0:1]
	s_xor_b64 s[0:1], exec, s[4:5]
; %bb.501:
	v_cmp_ne_u32_e32 vcc, 0, v13
	s_nop 1
	v_cndmask_b32_e32 v13, 21, v13, vcc
; %bb.502:
	s_andn2_saveexec_b64 s[0:1], s[0:1]
	s_cbranch_execz .LBB126_508
; %bb.503:
	v_cmp_ngt_f64_e64 s[4:5], |v[0:1]|, |v[2:3]|
	s_and_saveexec_b64 s[12:13], s[4:5]
	s_xor_b64 s[12:13], exec, s[12:13]
	s_cbranch_execz .LBB126_505
; %bb.504:
	v_div_scale_f64 v[6:7], s[4:5], v[2:3], v[2:3], v[0:1]
	v_rcp_f64_e32 v[16:17], v[6:7]
	v_div_scale_f64 v[18:19], vcc, v[0:1], v[2:3], v[0:1]
	v_fma_f64 v[20:21], -v[6:7], v[16:17], 1.0
	v_fmac_f64_e32 v[16:17], v[16:17], v[20:21]
	v_fma_f64 v[20:21], -v[6:7], v[16:17], 1.0
	v_fmac_f64_e32 v[16:17], v[16:17], v[20:21]
	v_mul_f64 v[20:21], v[18:19], v[16:17]
	v_fma_f64 v[6:7], -v[6:7], v[20:21], v[18:19]
	v_div_fmas_f64 v[6:7], v[6:7], v[16:17], v[20:21]
	v_div_fixup_f64 v[6:7], v[6:7], v[2:3], v[0:1]
	v_fmac_f64_e32 v[2:3], v[0:1], v[6:7]
	v_div_scale_f64 v[0:1], s[4:5], v[2:3], v[2:3], 1.0
	v_rcp_f64_e32 v[16:17], v[0:1]
	s_nop 0
	v_fma_f64 v[18:19], -v[0:1], v[16:17], 1.0
	v_fmac_f64_e32 v[16:17], v[16:17], v[18:19]
	v_fma_f64 v[18:19], -v[0:1], v[16:17], 1.0
	v_fmac_f64_e32 v[16:17], v[16:17], v[18:19]
	v_div_scale_f64 v[18:19], vcc, 1.0, v[2:3], 1.0
	v_mul_f64 v[20:21], v[18:19], v[16:17]
	v_fma_f64 v[0:1], -v[0:1], v[20:21], v[18:19]
	s_nop 1
	v_div_fmas_f64 v[0:1], v[0:1], v[16:17], v[20:21]
	v_div_fixup_f64 v[2:3], v[0:1], v[2:3], 1.0
	v_mul_f64 v[0:1], v[6:7], v[2:3]
	v_xor_b32_e32 v3, 0x80000000, v3
.LBB126_505:
	s_andn2_saveexec_b64 s[12:13], s[12:13]
	s_cbranch_execz .LBB126_507
; %bb.506:
	v_div_scale_f64 v[6:7], s[4:5], v[0:1], v[0:1], v[2:3]
	v_rcp_f64_e32 v[16:17], v[6:7]
	v_div_scale_f64 v[18:19], vcc, v[2:3], v[0:1], v[2:3]
	v_fma_f64 v[20:21], -v[6:7], v[16:17], 1.0
	v_fmac_f64_e32 v[16:17], v[16:17], v[20:21]
	v_fma_f64 v[20:21], -v[6:7], v[16:17], 1.0
	v_fmac_f64_e32 v[16:17], v[16:17], v[20:21]
	v_mul_f64 v[20:21], v[18:19], v[16:17]
	v_fma_f64 v[6:7], -v[6:7], v[20:21], v[18:19]
	v_div_fmas_f64 v[6:7], v[6:7], v[16:17], v[20:21]
	v_div_fixup_f64 v[6:7], v[6:7], v[0:1], v[2:3]
	v_fmac_f64_e32 v[0:1], v[2:3], v[6:7]
	v_div_scale_f64 v[2:3], s[4:5], v[0:1], v[0:1], 1.0
	v_rcp_f64_e32 v[16:17], v[2:3]
	s_nop 0
	v_fma_f64 v[18:19], -v[2:3], v[16:17], 1.0
	v_fmac_f64_e32 v[16:17], v[16:17], v[18:19]
	v_fma_f64 v[18:19], -v[2:3], v[16:17], 1.0
	v_fmac_f64_e32 v[16:17], v[16:17], v[18:19]
	v_div_scale_f64 v[18:19], vcc, 1.0, v[0:1], 1.0
	v_mul_f64 v[20:21], v[18:19], v[16:17]
	v_fma_f64 v[2:3], -v[2:3], v[20:21], v[18:19]
	s_nop 1
	v_div_fmas_f64 v[2:3], v[2:3], v[16:17], v[20:21]
	v_div_fixup_f64 v[0:1], v[2:3], v[0:1], 1.0
	v_mul_f64 v[2:3], v[6:7], -v[0:1]
.LBB126_507:
	s_or_b64 exec, exec, s[12:13]
.LBB126_508:
	s_or_b64 exec, exec, s[0:1]
	v_cmp_ne_u32_e32 vcc, v15, v4
	s_and_saveexec_b64 s[0:1], vcc
	s_xor_b64 s[0:1], exec, s[0:1]
	s_cbranch_execz .LBB126_514
; %bb.509:
	v_cmp_eq_u32_e32 vcc, 20, v15
	s_and_saveexec_b64 s[12:13], vcc
	s_cbranch_execz .LBB126_513
; %bb.510:
	v_cmp_ne_u32_e32 vcc, 20, v4
	s_xor_b64 s[4:5], s[8:9], -1
	s_and_b64 s[4:5], s[4:5], vcc
	s_and_saveexec_b64 s[14:15], s[4:5]
	s_cbranch_execz .LBB126_512
; %bb.511:
	v_ashrrev_i32_e32 v5, 31, v4
	v_lshl_add_u64 v[6:7], v[4:5], 2, v[10:11]
	global_load_dword v5, v[6:7], off
	global_load_dword v14, v[10:11], off offset:80
	s_waitcnt vmcnt(1)
	global_store_dword v[10:11], v5, off offset:80
	s_waitcnt vmcnt(1)
	global_store_dword v[6:7], v14, off
.LBB126_512:
	s_or_b64 exec, exec, s[14:15]
	v_mov_b32_e32 v15, v4
	v_mov_b32_e32 v14, v4
.LBB126_513:
	s_or_b64 exec, exec, s[12:13]
.LBB126_514:
	s_andn2_saveexec_b64 s[0:1], s[0:1]
	s_cbranch_execz .LBB126_520
; %bb.515:
	s_mov_b32 s4, 0
	v_add_u32_e32 v4, 0x150, v12
	s_branch .LBB126_517
.LBB126_516:                            ;   in Loop: Header=BB126_517 Depth=1
	s_andn2_b64 vcc, exec, s[12:13]
	s_cbranch_vccz .LBB126_519
.LBB126_517:                            ; =>This Inner Loop Header: Depth=1
	s_add_i32 s12, s4, 0x150
	s_add_i32 s13, s4, 0x160
	scratch_load_dwordx4 v[16:19], off, s12
	scratch_load_dwordx4 v[20:23], off, s13
	s_add_i32 s12, s4, 0x170
	scratch_load_dwordx4 v[24:27], off, s12
	s_mov_b32 s5, s4
	v_add_u32_e32 v5, s4, v4
	s_cmpk_eq_i32 s4, 0x280
	s_mov_b64 s[12:13], -1
	s_waitcnt vmcnt(2)
	ds_write2_b64 v5, v[16:17], v[18:19] offset1:1
	s_waitcnt vmcnt(1)
	ds_write2_b64 v5, v[20:21], v[22:23] offset0:2 offset1:3
	s_waitcnt vmcnt(0)
	ds_write2_b64 v5, v[24:25], v[26:27] offset0:4 offset1:5
	s_cbranch_scc1 .LBB126_516
; %bb.518:                              ;   in Loop: Header=BB126_517 Depth=1
	s_add_i32 s12, s5, 0x180
	s_add_i32 s13, s5, 0x190
	scratch_load_dwordx4 v[16:19], off, s12
	scratch_load_dwordx4 v[20:23], off, s13
	s_add_i32 s12, s5, 0x1a0
	s_add_i32 s13, s5, 0x1b0
	scratch_load_dwordx4 v[24:27], off, s12
	scratch_load_dwordx4 v[28:31], off, s13
	s_addk_i32 s5, 0x1c0
	scratch_load_dwordx4 v[32:35], off, s5
	s_addk_i32 s4, 0x80
	s_mov_b64 s[12:13], 0
	s_waitcnt vmcnt(4)
	ds_write2_b64 v5, v[16:17], v[18:19] offset0:6 offset1:7
	s_waitcnt vmcnt(3)
	ds_write2_b64 v5, v[20:21], v[22:23] offset0:8 offset1:9
	;; [unrolled: 2-line block ×5, first 2 shown]
	s_branch .LBB126_516
.LBB126_519:
	v_mov_b32_e32 v15, 20
.LBB126_520:
	s_or_b64 exec, exec, s[0:1]
	v_cmp_lt_i32_e32 vcc, 20, v15
	s_waitcnt lgkmcnt(0)
	s_barrier
	s_and_saveexec_b64 s[0:1], vcc
	s_cbranch_execz .LBB126_525
; %bb.521:
	scratch_load_dwordx4 v[16:19], off, off offset:320
	s_mov_b32 s14, 0
	s_waitcnt vmcnt(0)
	v_mul_f64 v[4:5], v[2:3], v[18:19]
	v_mul_f64 v[6:7], v[0:1], v[18:19]
	v_fma_f64 v[4:5], v[0:1], v[16:17], -v[4:5]
	v_fmac_f64_e32 v[6:7], v[2:3], v[16:17]
	v_add_u32_e32 v0, 0x150, v12
	scratch_store_dwordx4 off, v[4:7], off offset:320
	s_branch .LBB126_523
.LBB126_522:                            ;   in Loop: Header=BB126_523 Depth=1
	s_andn2_b64 vcc, exec, s[12:13]
	s_cbranch_vccz .LBB126_525
.LBB126_523:                            ; =>This Inner Loop Header: Depth=1
	s_add_i32 s4, s14, 0x150
	scratch_load_dwordx4 v[16:19], off, s4
	s_add_i32 s5, s14, 0x160
	s_add_i32 s12, s14, 0x170
	scratch_load_dwordx4 v[20:23], off, s5
	scratch_load_dwordx4 v[24:27], off, s12
	v_add_u32_e32 v1, s14, v0
	ds_read2_b64 v[28:31], v1 offset1:1
	ds_read2_b64 v[32:35], v1 offset0:2 offset1:3
	ds_read2_b64 v[36:39], v1 offset0:4 offset1:5
	s_mov_b32 s15, s14
	s_cmpk_eq_i32 s14, 0x280
	s_waitcnt lgkmcnt(2)
	v_mul_f64 v[2:3], v[30:31], v[6:7]
	v_mul_f64 v[40:41], v[28:29], v[6:7]
	s_waitcnt lgkmcnt(1)
	v_mul_f64 v[42:43], v[34:35], v[6:7]
	v_mul_f64 v[44:45], v[32:33], v[6:7]
	;; [unrolled: 3-line block ×3, first 2 shown]
	v_fma_f64 v[2:3], v[28:29], v[4:5], -v[2:3]
	v_fmac_f64_e32 v[40:41], v[30:31], v[4:5]
	v_fma_f64 v[28:29], v[32:33], v[4:5], -v[42:43]
	v_fmac_f64_e32 v[44:45], v[34:35], v[4:5]
	;; [unrolled: 2-line block ×3, first 2 shown]
	s_waitcnt vmcnt(2)
	v_add_f64 v[16:17], v[16:17], -v[2:3]
	v_add_f64 v[18:19], v[18:19], -v[40:41]
	s_waitcnt vmcnt(1)
	v_add_f64 v[20:21], v[20:21], -v[28:29]
	v_add_f64 v[22:23], v[22:23], -v[44:45]
	;; [unrolled: 3-line block ×3, first 2 shown]
	scratch_store_dwordx4 off, v[16:19], s4
	scratch_store_dwordx4 off, v[20:23], s5
	;; [unrolled: 1-line block ×3, first 2 shown]
	s_mov_b64 s[12:13], -1
	s_cbranch_scc1 .LBB126_522
; %bb.524:                              ;   in Loop: Header=BB126_523 Depth=1
	s_add_i32 s4, s15, 0x180
	scratch_load_dwordx4 v[16:19], off, s4
	s_add_i32 s5, s15, 0x190
	s_add_i32 s12, s15, 0x1a0
	;; [unrolled: 1-line block ×3, first 2 shown]
	s_addk_i32 s15, 0x1c0
	scratch_load_dwordx4 v[20:23], off, s5
	scratch_load_dwordx4 v[24:27], off, s12
	;; [unrolled: 1-line block ×4, first 2 shown]
	ds_read2_b64 v[36:39], v1 offset0:6 offset1:7
	ds_read2_b64 v[40:43], v1 offset0:8 offset1:9
	;; [unrolled: 1-line block ×5, first 2 shown]
	s_waitcnt lgkmcnt(4)
	v_mul_f64 v[2:3], v[38:39], v[6:7]
	v_mul_f64 v[56:57], v[36:37], v[6:7]
	s_waitcnt lgkmcnt(3)
	v_mul_f64 v[58:59], v[42:43], v[6:7]
	v_mul_f64 v[60:61], v[40:41], v[6:7]
	;; [unrolled: 3-line block ×5, first 2 shown]
	v_fma_f64 v[2:3], v[36:37], v[4:5], -v[2:3]
	v_fmac_f64_e32 v[56:57], v[38:39], v[4:5]
	v_fma_f64 v[36:37], v[40:41], v[4:5], -v[58:59]
	v_fmac_f64_e32 v[60:61], v[42:43], v[4:5]
	;; [unrolled: 2-line block ×5, first 2 shown]
	s_addk_i32 s14, 0x80
	s_waitcnt vmcnt(4)
	v_add_f64 v[16:17], v[16:17], -v[2:3]
	v_add_f64 v[18:19], v[18:19], -v[56:57]
	s_waitcnt vmcnt(3)
	v_add_f64 v[20:21], v[20:21], -v[36:37]
	v_add_f64 v[22:23], v[22:23], -v[60:61]
	;; [unrolled: 3-line block ×5, first 2 shown]
	scratch_store_dwordx4 off, v[16:19], s4
	scratch_store_dwordx4 off, v[20:23], s5
	;; [unrolled: 1-line block ×5, first 2 shown]
	s_mov_b64 s[12:13], 0
	s_branch .LBB126_522
.LBB126_525:
	s_or_b64 exec, exec, s[0:1]
	s_barrier
	scratch_load_dwordx4 v[0:3], off, s60
	v_lshl_add_u32 v4, v15, 4, v12
	s_cmp_lt_i32 s67, 23
	s_waitcnt vmcnt(0)
	ds_write2_b64 v4, v[0:1], v[2:3] offset1:1
	s_waitcnt lgkmcnt(0)
	s_barrier
	ds_read2_b64 v[0:3], v12 offset0:42 offset1:43
	v_mov_b32_e32 v4, 21
	s_cbranch_scc1 .LBB126_528
; %bb.526:
	v_add_u32_e32 v5, 0x160, v12
	s_mov_b32 s4, 22
	v_mov_b32_e32 v4, 21
.LBB126_527:                            ; =>This Inner Loop Header: Depth=1
	ds_read2_b64 v[16:19], v5 offset1:1
	s_waitcnt lgkmcnt(1)
	v_xor_b32_e32 v7, 0x80000000, v1
	v_xor_b32_e32 v21, 0x80000000, v3
	v_cmp_gt_f64_e32 vcc, 0, v[2:3]
	v_cmp_gt_f64_e64 s[0:1], 0, v[0:1]
	v_mov_b32_e32 v6, v0
	v_mov_b32_e32 v20, v2
	v_cndmask_b32_e64 v7, v1, v7, s[0:1]
	v_cndmask_b32_e32 v21, v3, v21, vcc
	v_add_f64 v[6:7], v[6:7], v[20:21]
	s_waitcnt lgkmcnt(0)
	v_xor_b32_e32 v21, 0x80000000, v17
	v_xor_b32_e32 v23, 0x80000000, v19
	v_cmp_gt_f64_e32 vcc, 0, v[18:19]
	v_cmp_gt_f64_e64 s[0:1], 0, v[16:17]
	v_mov_b32_e32 v20, v16
	v_mov_b32_e32 v22, v18
	v_cndmask_b32_e64 v21, v17, v21, s[0:1]
	v_cndmask_b32_e32 v23, v19, v23, vcc
	v_add_f64 v[20:21], v[20:21], v[22:23]
	v_mov_b32_e32 v24, s4
	s_add_i32 s4, s4, 1
	v_cmp_lt_f64_e32 vcc, v[6:7], v[20:21]
	v_add_u32_e32 v5, 16, v5
	s_cmp_lg_u32 s67, s4
	v_cndmask_b32_e32 v1, v1, v17, vcc
	v_cndmask_b32_e32 v0, v0, v16, vcc
	;; [unrolled: 1-line block ×5, first 2 shown]
	s_cbranch_scc1 .LBB126_527
.LBB126_528:
	s_waitcnt lgkmcnt(0)
	v_cmp_eq_f64_e32 vcc, 0, v[0:1]
	v_cmp_eq_f64_e64 s[0:1], 0, v[2:3]
	s_and_b64 s[0:1], vcc, s[0:1]
	s_and_saveexec_b64 s[4:5], s[0:1]
	s_xor_b64 s[0:1], exec, s[4:5]
; %bb.529:
	v_cmp_ne_u32_e32 vcc, 0, v13
	s_nop 1
	v_cndmask_b32_e32 v13, 22, v13, vcc
; %bb.530:
	s_andn2_saveexec_b64 s[0:1], s[0:1]
	s_cbranch_execz .LBB126_536
; %bb.531:
	v_cmp_ngt_f64_e64 s[4:5], |v[0:1]|, |v[2:3]|
	s_and_saveexec_b64 s[12:13], s[4:5]
	s_xor_b64 s[12:13], exec, s[12:13]
	s_cbranch_execz .LBB126_533
; %bb.532:
	v_div_scale_f64 v[6:7], s[4:5], v[2:3], v[2:3], v[0:1]
	v_rcp_f64_e32 v[16:17], v[6:7]
	v_div_scale_f64 v[18:19], vcc, v[0:1], v[2:3], v[0:1]
	v_fma_f64 v[20:21], -v[6:7], v[16:17], 1.0
	v_fmac_f64_e32 v[16:17], v[16:17], v[20:21]
	v_fma_f64 v[20:21], -v[6:7], v[16:17], 1.0
	v_fmac_f64_e32 v[16:17], v[16:17], v[20:21]
	v_mul_f64 v[20:21], v[18:19], v[16:17]
	v_fma_f64 v[6:7], -v[6:7], v[20:21], v[18:19]
	v_div_fmas_f64 v[6:7], v[6:7], v[16:17], v[20:21]
	v_div_fixup_f64 v[6:7], v[6:7], v[2:3], v[0:1]
	v_fmac_f64_e32 v[2:3], v[0:1], v[6:7]
	v_div_scale_f64 v[0:1], s[4:5], v[2:3], v[2:3], 1.0
	v_rcp_f64_e32 v[16:17], v[0:1]
	s_nop 0
	v_fma_f64 v[18:19], -v[0:1], v[16:17], 1.0
	v_fmac_f64_e32 v[16:17], v[16:17], v[18:19]
	v_fma_f64 v[18:19], -v[0:1], v[16:17], 1.0
	v_fmac_f64_e32 v[16:17], v[16:17], v[18:19]
	v_div_scale_f64 v[18:19], vcc, 1.0, v[2:3], 1.0
	v_mul_f64 v[20:21], v[18:19], v[16:17]
	v_fma_f64 v[0:1], -v[0:1], v[20:21], v[18:19]
	s_nop 1
	v_div_fmas_f64 v[0:1], v[0:1], v[16:17], v[20:21]
	v_div_fixup_f64 v[2:3], v[0:1], v[2:3], 1.0
	v_mul_f64 v[0:1], v[6:7], v[2:3]
	v_xor_b32_e32 v3, 0x80000000, v3
.LBB126_533:
	s_andn2_saveexec_b64 s[12:13], s[12:13]
	s_cbranch_execz .LBB126_535
; %bb.534:
	v_div_scale_f64 v[6:7], s[4:5], v[0:1], v[0:1], v[2:3]
	v_rcp_f64_e32 v[16:17], v[6:7]
	v_div_scale_f64 v[18:19], vcc, v[2:3], v[0:1], v[2:3]
	v_fma_f64 v[20:21], -v[6:7], v[16:17], 1.0
	v_fmac_f64_e32 v[16:17], v[16:17], v[20:21]
	v_fma_f64 v[20:21], -v[6:7], v[16:17], 1.0
	v_fmac_f64_e32 v[16:17], v[16:17], v[20:21]
	v_mul_f64 v[20:21], v[18:19], v[16:17]
	v_fma_f64 v[6:7], -v[6:7], v[20:21], v[18:19]
	v_div_fmas_f64 v[6:7], v[6:7], v[16:17], v[20:21]
	v_div_fixup_f64 v[6:7], v[6:7], v[0:1], v[2:3]
	v_fmac_f64_e32 v[0:1], v[2:3], v[6:7]
	v_div_scale_f64 v[2:3], s[4:5], v[0:1], v[0:1], 1.0
	v_rcp_f64_e32 v[16:17], v[2:3]
	s_nop 0
	v_fma_f64 v[18:19], -v[2:3], v[16:17], 1.0
	v_fmac_f64_e32 v[16:17], v[16:17], v[18:19]
	v_fma_f64 v[18:19], -v[2:3], v[16:17], 1.0
	v_fmac_f64_e32 v[16:17], v[16:17], v[18:19]
	v_div_scale_f64 v[18:19], vcc, 1.0, v[0:1], 1.0
	v_mul_f64 v[20:21], v[18:19], v[16:17]
	v_fma_f64 v[2:3], -v[2:3], v[20:21], v[18:19]
	s_nop 1
	v_div_fmas_f64 v[2:3], v[2:3], v[16:17], v[20:21]
	v_div_fixup_f64 v[0:1], v[2:3], v[0:1], 1.0
	v_mul_f64 v[2:3], v[6:7], -v[0:1]
.LBB126_535:
	s_or_b64 exec, exec, s[12:13]
.LBB126_536:
	s_or_b64 exec, exec, s[0:1]
	v_cmp_ne_u32_e32 vcc, v15, v4
	s_and_saveexec_b64 s[0:1], vcc
	s_xor_b64 s[0:1], exec, s[0:1]
	s_cbranch_execz .LBB126_542
; %bb.537:
	v_cmp_eq_u32_e32 vcc, 21, v15
	s_and_saveexec_b64 s[12:13], vcc
	s_cbranch_execz .LBB126_541
; %bb.538:
	v_cmp_ne_u32_e32 vcc, 21, v4
	s_xor_b64 s[4:5], s[8:9], -1
	s_and_b64 s[4:5], s[4:5], vcc
	s_and_saveexec_b64 s[14:15], s[4:5]
	s_cbranch_execz .LBB126_540
; %bb.539:
	v_ashrrev_i32_e32 v5, 31, v4
	v_lshl_add_u64 v[6:7], v[4:5], 2, v[10:11]
	global_load_dword v5, v[6:7], off
	global_load_dword v14, v[10:11], off offset:84
	s_waitcnt vmcnt(1)
	global_store_dword v[10:11], v5, off offset:84
	s_waitcnt vmcnt(1)
	global_store_dword v[6:7], v14, off
.LBB126_540:
	s_or_b64 exec, exec, s[14:15]
	v_mov_b32_e32 v15, v4
	v_mov_b32_e32 v14, v4
.LBB126_541:
	s_or_b64 exec, exec, s[12:13]
.LBB126_542:
	s_andn2_saveexec_b64 s[0:1], s[0:1]
	s_cbranch_execz .LBB126_546
; %bb.543:
	s_mov_b32 s4, 0
	v_add_u32_e32 v4, 0x160, v12
.LBB126_544:                            ; =>This Inner Loop Header: Depth=1
	s_add_i32 s12, s4, 0x160
	s_add_i32 s13, s4, 0x170
	;; [unrolled: 1-line block ×14, first 2 shown]
	scratch_load_dwordx4 v[16:19], off, s12
	scratch_load_dwordx4 v[20:23], off, s13
	;; [unrolled: 1-line block ×14, first 2 shown]
	v_add_u32_e32 v5, s4, v4
	s_addk_i32 s4, 0xe0
	s_cmpk_eq_i32 s4, 0x2a0
	s_waitcnt vmcnt(13)
	ds_write2_b64 v5, v[16:17], v[18:19] offset1:1
	s_waitcnt vmcnt(12)
	ds_write2_b64 v5, v[20:21], v[22:23] offset0:2 offset1:3
	s_waitcnt vmcnt(11)
	ds_write2_b64 v5, v[24:25], v[26:27] offset0:4 offset1:5
	;; [unrolled: 2-line block ×13, first 2 shown]
	s_cbranch_scc0 .LBB126_544
; %bb.545:
	v_mov_b32_e32 v15, 21
.LBB126_546:
	s_or_b64 exec, exec, s[0:1]
	v_cmp_lt_i32_e32 vcc, 21, v15
	s_waitcnt lgkmcnt(0)
	s_barrier
	s_and_saveexec_b64 s[0:1], vcc
	s_cbranch_execz .LBB126_549
; %bb.547:
	scratch_load_dwordx4 v[16:19], off, off offset:336
	s_mov_b32 s12, 0
	s_waitcnt vmcnt(0)
	v_mul_f64 v[4:5], v[2:3], v[18:19]
	v_mul_f64 v[6:7], v[0:1], v[18:19]
	v_fma_f64 v[4:5], v[0:1], v[16:17], -v[4:5]
	v_fmac_f64_e32 v[6:7], v[2:3], v[16:17]
	v_add_u32_e32 v0, 0x160, v12
	scratch_store_dwordx4 off, v[4:7], off offset:336
.LBB126_548:                            ; =>This Inner Loop Header: Depth=1
	v_add_u32_e32 v1, s12, v0
	ds_read2_b64 v[16:19], v1 offset1:1
	ds_read2_b64 v[20:23], v1 offset0:2 offset1:3
	ds_read2_b64 v[24:27], v1 offset0:4 offset1:5
	;; [unrolled: 1-line block ×5, first 2 shown]
	s_add_i32 s13, s12, 0x160
	s_add_i32 s5, s12, 0x170
	;; [unrolled: 1-line block ×6, first 2 shown]
	scratch_load_dwordx4 v[40:43], off, s13
	scratch_load_dwordx4 v[44:47], off, s5
	;; [unrolled: 1-line block ×6, first 2 shown]
	s_waitcnt lgkmcnt(5)
	v_mul_f64 v[2:3], v[18:19], v[6:7]
	v_mul_f64 v[64:65], v[16:17], v[6:7]
	s_waitcnt lgkmcnt(4)
	v_mul_f64 v[66:67], v[22:23], v[6:7]
	v_mul_f64 v[68:69], v[20:21], v[6:7]
	;; [unrolled: 3-line block ×6, first 2 shown]
	s_add_i32 s4, s12, 0x1c0
	v_fma_f64 v[2:3], v[16:17], v[4:5], -v[2:3]
	v_fmac_f64_e32 v[64:65], v[18:19], v[4:5]
	v_fma_f64 v[66:67], v[20:21], v[4:5], -v[66:67]
	v_fmac_f64_e32 v[68:69], v[22:23], v[4:5]
	;; [unrolled: 2-line block ×6, first 2 shown]
	scratch_load_dwordx4 v[4:7], off, off offset:336
	scratch_load_dwordx4 v[16:19], off, s4
	ds_read2_b64 v[20:23], v1 offset0:12 offset1:13
	s_addk_i32 s12, 0x70
	s_cmpk_lg_i32 s12, 0x2a0
	s_waitcnt vmcnt(7)
	v_add_f64 v[24:25], v[40:41], -v[2:3]
	v_add_f64 v[26:27], v[42:43], -v[64:65]
	s_waitcnt vmcnt(6)
	v_add_f64 v[28:29], v[44:45], -v[66:67]
	v_add_f64 v[30:31], v[46:47], -v[68:69]
	;; [unrolled: 3-line block ×6, first 2 shown]
	scratch_store_dwordx4 off, v[24:27], s13
	scratch_store_dwordx4 off, v[28:31], s5
	;; [unrolled: 1-line block ×6, first 2 shown]
	s_waitcnt vmcnt(7) lgkmcnt(0)
	v_mul_f64 v[2:3], v[22:23], v[6:7]
	v_mul_f64 v[24:25], v[20:21], v[6:7]
	v_fma_f64 v[2:3], v[20:21], v[4:5], -v[2:3]
	v_fmac_f64_e32 v[24:25], v[22:23], v[4:5]
	s_waitcnt vmcnt(6)
	v_add_f64 v[16:17], v[16:17], -v[2:3]
	v_add_f64 v[18:19], v[18:19], -v[24:25]
	scratch_store_dwordx4 off, v[16:19], s4
	s_cbranch_scc1 .LBB126_548
.LBB126_549:
	s_or_b64 exec, exec, s[0:1]
	s_barrier
	scratch_load_dwordx4 v[0:3], off, s56
	v_lshl_add_u32 v4, v15, 4, v12
	s_cmp_lt_i32 s67, 24
	s_waitcnt vmcnt(0)
	ds_write2_b64 v4, v[0:1], v[2:3] offset1:1
	s_waitcnt lgkmcnt(0)
	s_barrier
	ds_read2_b64 v[0:3], v12 offset0:44 offset1:45
	v_mov_b32_e32 v4, 22
	s_cbranch_scc1 .LBB126_552
; %bb.550:
	v_add_u32_e32 v5, 0x170, v12
	s_mov_b32 s4, 23
	v_mov_b32_e32 v4, 22
.LBB126_551:                            ; =>This Inner Loop Header: Depth=1
	ds_read2_b64 v[16:19], v5 offset1:1
	s_waitcnt lgkmcnt(1)
	v_xor_b32_e32 v7, 0x80000000, v1
	v_xor_b32_e32 v21, 0x80000000, v3
	v_cmp_gt_f64_e32 vcc, 0, v[2:3]
	v_cmp_gt_f64_e64 s[0:1], 0, v[0:1]
	v_mov_b32_e32 v6, v0
	v_mov_b32_e32 v20, v2
	v_cndmask_b32_e64 v7, v1, v7, s[0:1]
	v_cndmask_b32_e32 v21, v3, v21, vcc
	v_add_f64 v[6:7], v[6:7], v[20:21]
	s_waitcnt lgkmcnt(0)
	v_xor_b32_e32 v21, 0x80000000, v17
	v_xor_b32_e32 v23, 0x80000000, v19
	v_cmp_gt_f64_e32 vcc, 0, v[18:19]
	v_cmp_gt_f64_e64 s[0:1], 0, v[16:17]
	v_mov_b32_e32 v20, v16
	v_mov_b32_e32 v22, v18
	v_cndmask_b32_e64 v21, v17, v21, s[0:1]
	v_cndmask_b32_e32 v23, v19, v23, vcc
	v_add_f64 v[20:21], v[20:21], v[22:23]
	v_mov_b32_e32 v24, s4
	s_add_i32 s4, s4, 1
	v_cmp_lt_f64_e32 vcc, v[6:7], v[20:21]
	v_add_u32_e32 v5, 16, v5
	s_cmp_lg_u32 s67, s4
	v_cndmask_b32_e32 v1, v1, v17, vcc
	v_cndmask_b32_e32 v0, v0, v16, vcc
	;; [unrolled: 1-line block ×5, first 2 shown]
	s_cbranch_scc1 .LBB126_551
.LBB126_552:
	s_waitcnt lgkmcnt(0)
	v_cmp_eq_f64_e32 vcc, 0, v[0:1]
	v_cmp_eq_f64_e64 s[0:1], 0, v[2:3]
	s_and_b64 s[0:1], vcc, s[0:1]
	s_and_saveexec_b64 s[4:5], s[0:1]
	s_xor_b64 s[0:1], exec, s[4:5]
; %bb.553:
	v_cmp_ne_u32_e32 vcc, 0, v13
	s_nop 1
	v_cndmask_b32_e32 v13, 23, v13, vcc
; %bb.554:
	s_andn2_saveexec_b64 s[0:1], s[0:1]
	s_cbranch_execz .LBB126_560
; %bb.555:
	v_cmp_ngt_f64_e64 s[4:5], |v[0:1]|, |v[2:3]|
	s_and_saveexec_b64 s[12:13], s[4:5]
	s_xor_b64 s[12:13], exec, s[12:13]
	s_cbranch_execz .LBB126_557
; %bb.556:
	v_div_scale_f64 v[6:7], s[4:5], v[2:3], v[2:3], v[0:1]
	v_rcp_f64_e32 v[16:17], v[6:7]
	v_div_scale_f64 v[18:19], vcc, v[0:1], v[2:3], v[0:1]
	v_fma_f64 v[20:21], -v[6:7], v[16:17], 1.0
	v_fmac_f64_e32 v[16:17], v[16:17], v[20:21]
	v_fma_f64 v[20:21], -v[6:7], v[16:17], 1.0
	v_fmac_f64_e32 v[16:17], v[16:17], v[20:21]
	v_mul_f64 v[20:21], v[18:19], v[16:17]
	v_fma_f64 v[6:7], -v[6:7], v[20:21], v[18:19]
	v_div_fmas_f64 v[6:7], v[6:7], v[16:17], v[20:21]
	v_div_fixup_f64 v[6:7], v[6:7], v[2:3], v[0:1]
	v_fmac_f64_e32 v[2:3], v[0:1], v[6:7]
	v_div_scale_f64 v[0:1], s[4:5], v[2:3], v[2:3], 1.0
	v_rcp_f64_e32 v[16:17], v[0:1]
	s_nop 0
	v_fma_f64 v[18:19], -v[0:1], v[16:17], 1.0
	v_fmac_f64_e32 v[16:17], v[16:17], v[18:19]
	v_fma_f64 v[18:19], -v[0:1], v[16:17], 1.0
	v_fmac_f64_e32 v[16:17], v[16:17], v[18:19]
	v_div_scale_f64 v[18:19], vcc, 1.0, v[2:3], 1.0
	v_mul_f64 v[20:21], v[18:19], v[16:17]
	v_fma_f64 v[0:1], -v[0:1], v[20:21], v[18:19]
	s_nop 1
	v_div_fmas_f64 v[0:1], v[0:1], v[16:17], v[20:21]
	v_div_fixup_f64 v[2:3], v[0:1], v[2:3], 1.0
	v_mul_f64 v[0:1], v[6:7], v[2:3]
	v_xor_b32_e32 v3, 0x80000000, v3
.LBB126_557:
	s_andn2_saveexec_b64 s[12:13], s[12:13]
	s_cbranch_execz .LBB126_559
; %bb.558:
	v_div_scale_f64 v[6:7], s[4:5], v[0:1], v[0:1], v[2:3]
	v_rcp_f64_e32 v[16:17], v[6:7]
	v_div_scale_f64 v[18:19], vcc, v[2:3], v[0:1], v[2:3]
	v_fma_f64 v[20:21], -v[6:7], v[16:17], 1.0
	v_fmac_f64_e32 v[16:17], v[16:17], v[20:21]
	v_fma_f64 v[20:21], -v[6:7], v[16:17], 1.0
	v_fmac_f64_e32 v[16:17], v[16:17], v[20:21]
	v_mul_f64 v[20:21], v[18:19], v[16:17]
	v_fma_f64 v[6:7], -v[6:7], v[20:21], v[18:19]
	v_div_fmas_f64 v[6:7], v[6:7], v[16:17], v[20:21]
	v_div_fixup_f64 v[6:7], v[6:7], v[0:1], v[2:3]
	v_fmac_f64_e32 v[0:1], v[2:3], v[6:7]
	v_div_scale_f64 v[2:3], s[4:5], v[0:1], v[0:1], 1.0
	v_rcp_f64_e32 v[16:17], v[2:3]
	s_nop 0
	v_fma_f64 v[18:19], -v[2:3], v[16:17], 1.0
	v_fmac_f64_e32 v[16:17], v[16:17], v[18:19]
	v_fma_f64 v[18:19], -v[2:3], v[16:17], 1.0
	v_fmac_f64_e32 v[16:17], v[16:17], v[18:19]
	v_div_scale_f64 v[18:19], vcc, 1.0, v[0:1], 1.0
	v_mul_f64 v[20:21], v[18:19], v[16:17]
	v_fma_f64 v[2:3], -v[2:3], v[20:21], v[18:19]
	s_nop 1
	v_div_fmas_f64 v[2:3], v[2:3], v[16:17], v[20:21]
	v_div_fixup_f64 v[0:1], v[2:3], v[0:1], 1.0
	v_mul_f64 v[2:3], v[6:7], -v[0:1]
.LBB126_559:
	s_or_b64 exec, exec, s[12:13]
.LBB126_560:
	s_or_b64 exec, exec, s[0:1]
	v_cmp_ne_u32_e32 vcc, v15, v4
	s_and_saveexec_b64 s[0:1], vcc
	s_xor_b64 s[0:1], exec, s[0:1]
	s_cbranch_execz .LBB126_566
; %bb.561:
	v_cmp_eq_u32_e32 vcc, 22, v15
	s_and_saveexec_b64 s[12:13], vcc
	s_cbranch_execz .LBB126_565
; %bb.562:
	v_cmp_ne_u32_e32 vcc, 22, v4
	s_xor_b64 s[4:5], s[8:9], -1
	s_and_b64 s[4:5], s[4:5], vcc
	s_and_saveexec_b64 s[14:15], s[4:5]
	s_cbranch_execz .LBB126_564
; %bb.563:
	v_ashrrev_i32_e32 v5, 31, v4
	v_lshl_add_u64 v[6:7], v[4:5], 2, v[10:11]
	global_load_dword v5, v[6:7], off
	global_load_dword v14, v[10:11], off offset:88
	s_waitcnt vmcnt(1)
	global_store_dword v[10:11], v5, off offset:88
	s_waitcnt vmcnt(1)
	global_store_dword v[6:7], v14, off
.LBB126_564:
	s_or_b64 exec, exec, s[14:15]
	v_mov_b32_e32 v15, v4
	v_mov_b32_e32 v14, v4
.LBB126_565:
	s_or_b64 exec, exec, s[12:13]
.LBB126_566:
	s_andn2_saveexec_b64 s[0:1], s[0:1]
	s_cbranch_execz .LBB126_572
; %bb.567:
	s_mov_b32 s4, 0
	v_add_u32_e32 v4, 0x170, v12
	s_branch .LBB126_569
.LBB126_568:                            ;   in Loop: Header=BB126_569 Depth=1
	s_andn2_b64 vcc, exec, s[12:13]
	s_cbranch_vccz .LBB126_571
.LBB126_569:                            ; =>This Inner Loop Header: Depth=1
	s_add_i32 s12, s4, 0x170
	scratch_load_dwordx4 v[16:19], off, s12
	s_mov_b32 s5, s4
	v_add_u32_e32 v5, s4, v4
	s_cmpk_eq_i32 s4, 0x280
	s_mov_b64 s[12:13], -1
	s_waitcnt vmcnt(0)
	ds_write2_b64 v5, v[16:17], v[18:19] offset1:1
	s_cbranch_scc1 .LBB126_568
; %bb.570:                              ;   in Loop: Header=BB126_569 Depth=1
	s_add_i32 s12, s5, 0x180
	s_add_i32 s13, s5, 0x190
	scratch_load_dwordx4 v[16:19], off, s12
	scratch_load_dwordx4 v[20:23], off, s13
	s_add_i32 s12, s5, 0x1a0
	s_add_i32 s13, s5, 0x1b0
	scratch_load_dwordx4 v[24:27], off, s12
	scratch_load_dwordx4 v[28:31], off, s13
	;; [unrolled: 4-line block ×3, first 2 shown]
	s_addk_i32 s5, 0x1e0
	scratch_load_dwordx4 v[40:43], off, s5
	s_addk_i32 s4, 0x80
	s_mov_b64 s[12:13], 0
	s_waitcnt vmcnt(6)
	ds_write2_b64 v5, v[16:17], v[18:19] offset0:2 offset1:3
	s_waitcnt vmcnt(5)
	ds_write2_b64 v5, v[20:21], v[22:23] offset0:4 offset1:5
	;; [unrolled: 2-line block ×7, first 2 shown]
	s_branch .LBB126_568
.LBB126_571:
	v_mov_b32_e32 v15, 22
.LBB126_572:
	s_or_b64 exec, exec, s[0:1]
	v_cmp_lt_i32_e32 vcc, 22, v15
	s_waitcnt lgkmcnt(0)
	s_barrier
	s_and_saveexec_b64 s[0:1], vcc
	s_cbranch_execz .LBB126_577
; %bb.573:
	scratch_load_dwordx4 v[16:19], off, off offset:352
	s_mov_b32 s14, 0
	s_waitcnt vmcnt(0)
	v_mul_f64 v[4:5], v[2:3], v[18:19]
	v_mul_f64 v[6:7], v[0:1], v[18:19]
	v_fma_f64 v[4:5], v[0:1], v[16:17], -v[4:5]
	v_fmac_f64_e32 v[6:7], v[2:3], v[16:17]
	v_add_u32_e32 v0, 0x170, v12
	scratch_store_dwordx4 off, v[4:7], off offset:352
	s_branch .LBB126_575
.LBB126_574:                            ;   in Loop: Header=BB126_575 Depth=1
	s_andn2_b64 vcc, exec, s[12:13]
	s_cbranch_vccz .LBB126_577
.LBB126_575:                            ; =>This Inner Loop Header: Depth=1
	s_add_i32 s4, s14, 0x170
	scratch_load_dwordx4 v[16:19], off, s4
	v_add_u32_e32 v1, s14, v0
	ds_read2_b64 v[20:23], v1 offset1:1
	s_mov_b32 s15, s14
	s_cmpk_eq_i32 s14, 0x280
	s_mov_b64 s[12:13], -1
	s_waitcnt lgkmcnt(0)
	v_mul_f64 v[2:3], v[22:23], v[6:7]
	v_mul_f64 v[24:25], v[20:21], v[6:7]
	v_fma_f64 v[2:3], v[20:21], v[4:5], -v[2:3]
	v_fmac_f64_e32 v[24:25], v[22:23], v[4:5]
	s_waitcnt vmcnt(0)
	v_add_f64 v[16:17], v[16:17], -v[2:3]
	v_add_f64 v[18:19], v[18:19], -v[24:25]
	scratch_store_dwordx4 off, v[16:19], s4
	s_cbranch_scc1 .LBB126_574
; %bb.576:                              ;   in Loop: Header=BB126_575 Depth=1
	s_add_i32 s4, s15, 0x180
	scratch_load_dwordx4 v[16:19], off, s4
	s_add_i32 s5, s15, 0x190
	s_add_i32 s12, s15, 0x1a0
	;; [unrolled: 1-line block ×5, first 2 shown]
	scratch_load_dwordx4 v[20:23], off, s5
	scratch_load_dwordx4 v[24:27], off, s12
	;; [unrolled: 1-line block ×5, first 2 shown]
	ds_read2_b64 v[40:43], v1 offset0:2 offset1:3
	ds_read2_b64 v[44:47], v1 offset0:4 offset1:5
	;; [unrolled: 1-line block ×6, first 2 shown]
	s_waitcnt lgkmcnt(5)
	v_mul_f64 v[2:3], v[42:43], v[6:7]
	v_mul_f64 v[64:65], v[40:41], v[6:7]
	s_waitcnt lgkmcnt(4)
	v_mul_f64 v[66:67], v[46:47], v[6:7]
	v_mul_f64 v[68:69], v[44:45], v[6:7]
	;; [unrolled: 3-line block ×6, first 2 shown]
	v_fma_f64 v[2:3], v[40:41], v[4:5], -v[2:3]
	v_fmac_f64_e32 v[64:65], v[42:43], v[4:5]
	v_fma_f64 v[40:41], v[44:45], v[4:5], -v[66:67]
	v_fmac_f64_e32 v[68:69], v[46:47], v[4:5]
	;; [unrolled: 2-line block ×6, first 2 shown]
	s_addk_i32 s15, 0x1e0
	s_addk_i32 s14, 0x80
	s_waitcnt vmcnt(5)
	v_add_f64 v[2:3], v[16:17], -v[2:3]
	v_add_f64 v[4:5], v[18:19], -v[64:65]
	s_waitcnt vmcnt(4)
	v_add_f64 v[16:17], v[20:21], -v[40:41]
	v_add_f64 v[18:19], v[22:23], -v[68:69]
	;; [unrolled: 3-line block ×6, first 2 shown]
	scratch_store_dwordx4 off, v[2:5], s4
	scratch_store_dwordx4 off, v[16:19], s5
	;; [unrolled: 1-line block ×6, first 2 shown]
	scratch_load_dwordx4 v[4:7], off, off offset:352
	scratch_load_dwordx4 v[16:19], off, s15
	ds_read2_b64 v[20:23], v1 offset0:14 offset1:15
	s_mov_b64 s[12:13], 0
	s_waitcnt vmcnt(1) lgkmcnt(0)
	v_mul_f64 v[2:3], v[22:23], v[6:7]
	v_mul_f64 v[24:25], v[20:21], v[6:7]
	v_fma_f64 v[2:3], v[20:21], v[4:5], -v[2:3]
	v_fmac_f64_e32 v[24:25], v[22:23], v[4:5]
	s_waitcnt vmcnt(0)
	v_add_f64 v[16:17], v[16:17], -v[2:3]
	v_add_f64 v[18:19], v[18:19], -v[24:25]
	scratch_store_dwordx4 off, v[16:19], s15
	s_branch .LBB126_574
.LBB126_577:
	s_or_b64 exec, exec, s[0:1]
	s_barrier
	scratch_load_dwordx4 v[0:3], off, s62
	v_lshl_add_u32 v4, v15, 4, v12
	s_cmp_lt_i32 s67, 25
	s_waitcnt vmcnt(0)
	ds_write2_b64 v4, v[0:1], v[2:3] offset1:1
	s_waitcnt lgkmcnt(0)
	s_barrier
	ds_read2_b64 v[0:3], v12 offset0:46 offset1:47
	v_mov_b32_e32 v4, 23
	s_cbranch_scc1 .LBB126_580
; %bb.578:
	v_add_u32_e32 v5, 0x180, v12
	s_mov_b32 s4, 24
	v_mov_b32_e32 v4, 23
.LBB126_579:                            ; =>This Inner Loop Header: Depth=1
	ds_read2_b64 v[16:19], v5 offset1:1
	s_waitcnt lgkmcnt(1)
	v_xor_b32_e32 v7, 0x80000000, v1
	v_xor_b32_e32 v21, 0x80000000, v3
	v_cmp_gt_f64_e32 vcc, 0, v[2:3]
	v_cmp_gt_f64_e64 s[0:1], 0, v[0:1]
	v_mov_b32_e32 v6, v0
	v_mov_b32_e32 v20, v2
	v_cndmask_b32_e64 v7, v1, v7, s[0:1]
	v_cndmask_b32_e32 v21, v3, v21, vcc
	v_add_f64 v[6:7], v[6:7], v[20:21]
	s_waitcnt lgkmcnt(0)
	v_xor_b32_e32 v21, 0x80000000, v17
	v_xor_b32_e32 v23, 0x80000000, v19
	v_cmp_gt_f64_e32 vcc, 0, v[18:19]
	v_cmp_gt_f64_e64 s[0:1], 0, v[16:17]
	v_mov_b32_e32 v20, v16
	v_mov_b32_e32 v22, v18
	v_cndmask_b32_e64 v21, v17, v21, s[0:1]
	v_cndmask_b32_e32 v23, v19, v23, vcc
	v_add_f64 v[20:21], v[20:21], v[22:23]
	v_mov_b32_e32 v24, s4
	s_add_i32 s4, s4, 1
	v_cmp_lt_f64_e32 vcc, v[6:7], v[20:21]
	v_add_u32_e32 v5, 16, v5
	s_cmp_lg_u32 s67, s4
	v_cndmask_b32_e32 v1, v1, v17, vcc
	v_cndmask_b32_e32 v0, v0, v16, vcc
	;; [unrolled: 1-line block ×5, first 2 shown]
	s_cbranch_scc1 .LBB126_579
.LBB126_580:
	s_waitcnt lgkmcnt(0)
	v_cmp_eq_f64_e32 vcc, 0, v[0:1]
	v_cmp_eq_f64_e64 s[0:1], 0, v[2:3]
	s_and_b64 s[0:1], vcc, s[0:1]
	s_and_saveexec_b64 s[4:5], s[0:1]
	s_xor_b64 s[0:1], exec, s[4:5]
; %bb.581:
	v_cmp_ne_u32_e32 vcc, 0, v13
	s_nop 1
	v_cndmask_b32_e32 v13, 24, v13, vcc
; %bb.582:
	s_andn2_saveexec_b64 s[0:1], s[0:1]
	s_cbranch_execz .LBB126_588
; %bb.583:
	v_cmp_ngt_f64_e64 s[4:5], |v[0:1]|, |v[2:3]|
	s_and_saveexec_b64 s[12:13], s[4:5]
	s_xor_b64 s[12:13], exec, s[12:13]
	s_cbranch_execz .LBB126_585
; %bb.584:
	v_div_scale_f64 v[6:7], s[4:5], v[2:3], v[2:3], v[0:1]
	v_rcp_f64_e32 v[16:17], v[6:7]
	v_div_scale_f64 v[18:19], vcc, v[0:1], v[2:3], v[0:1]
	v_fma_f64 v[20:21], -v[6:7], v[16:17], 1.0
	v_fmac_f64_e32 v[16:17], v[16:17], v[20:21]
	v_fma_f64 v[20:21], -v[6:7], v[16:17], 1.0
	v_fmac_f64_e32 v[16:17], v[16:17], v[20:21]
	v_mul_f64 v[20:21], v[18:19], v[16:17]
	v_fma_f64 v[6:7], -v[6:7], v[20:21], v[18:19]
	v_div_fmas_f64 v[6:7], v[6:7], v[16:17], v[20:21]
	v_div_fixup_f64 v[6:7], v[6:7], v[2:3], v[0:1]
	v_fmac_f64_e32 v[2:3], v[0:1], v[6:7]
	v_div_scale_f64 v[0:1], s[4:5], v[2:3], v[2:3], 1.0
	v_rcp_f64_e32 v[16:17], v[0:1]
	s_nop 0
	v_fma_f64 v[18:19], -v[0:1], v[16:17], 1.0
	v_fmac_f64_e32 v[16:17], v[16:17], v[18:19]
	v_fma_f64 v[18:19], -v[0:1], v[16:17], 1.0
	v_fmac_f64_e32 v[16:17], v[16:17], v[18:19]
	v_div_scale_f64 v[18:19], vcc, 1.0, v[2:3], 1.0
	v_mul_f64 v[20:21], v[18:19], v[16:17]
	v_fma_f64 v[0:1], -v[0:1], v[20:21], v[18:19]
	s_nop 1
	v_div_fmas_f64 v[0:1], v[0:1], v[16:17], v[20:21]
	v_div_fixup_f64 v[2:3], v[0:1], v[2:3], 1.0
	v_mul_f64 v[0:1], v[6:7], v[2:3]
	v_xor_b32_e32 v3, 0x80000000, v3
.LBB126_585:
	s_andn2_saveexec_b64 s[12:13], s[12:13]
	s_cbranch_execz .LBB126_587
; %bb.586:
	v_div_scale_f64 v[6:7], s[4:5], v[0:1], v[0:1], v[2:3]
	v_rcp_f64_e32 v[16:17], v[6:7]
	v_div_scale_f64 v[18:19], vcc, v[2:3], v[0:1], v[2:3]
	v_fma_f64 v[20:21], -v[6:7], v[16:17], 1.0
	v_fmac_f64_e32 v[16:17], v[16:17], v[20:21]
	v_fma_f64 v[20:21], -v[6:7], v[16:17], 1.0
	v_fmac_f64_e32 v[16:17], v[16:17], v[20:21]
	v_mul_f64 v[20:21], v[18:19], v[16:17]
	v_fma_f64 v[6:7], -v[6:7], v[20:21], v[18:19]
	v_div_fmas_f64 v[6:7], v[6:7], v[16:17], v[20:21]
	v_div_fixup_f64 v[6:7], v[6:7], v[0:1], v[2:3]
	v_fmac_f64_e32 v[0:1], v[2:3], v[6:7]
	v_div_scale_f64 v[2:3], s[4:5], v[0:1], v[0:1], 1.0
	v_rcp_f64_e32 v[16:17], v[2:3]
	s_nop 0
	v_fma_f64 v[18:19], -v[2:3], v[16:17], 1.0
	v_fmac_f64_e32 v[16:17], v[16:17], v[18:19]
	v_fma_f64 v[18:19], -v[2:3], v[16:17], 1.0
	v_fmac_f64_e32 v[16:17], v[16:17], v[18:19]
	v_div_scale_f64 v[18:19], vcc, 1.0, v[0:1], 1.0
	v_mul_f64 v[20:21], v[18:19], v[16:17]
	v_fma_f64 v[2:3], -v[2:3], v[20:21], v[18:19]
	s_nop 1
	v_div_fmas_f64 v[2:3], v[2:3], v[16:17], v[20:21]
	v_div_fixup_f64 v[0:1], v[2:3], v[0:1], 1.0
	v_mul_f64 v[2:3], v[6:7], -v[0:1]
.LBB126_587:
	s_or_b64 exec, exec, s[12:13]
.LBB126_588:
	s_or_b64 exec, exec, s[0:1]
	v_cmp_ne_u32_e32 vcc, v15, v4
	s_and_saveexec_b64 s[0:1], vcc
	s_xor_b64 s[0:1], exec, s[0:1]
	s_cbranch_execz .LBB126_594
; %bb.589:
	v_cmp_eq_u32_e32 vcc, 23, v15
	s_and_saveexec_b64 s[12:13], vcc
	s_cbranch_execz .LBB126_593
; %bb.590:
	v_cmp_ne_u32_e32 vcc, 23, v4
	s_xor_b64 s[4:5], s[8:9], -1
	s_and_b64 s[4:5], s[4:5], vcc
	s_and_saveexec_b64 s[14:15], s[4:5]
	s_cbranch_execz .LBB126_592
; %bb.591:
	v_ashrrev_i32_e32 v5, 31, v4
	v_lshl_add_u64 v[6:7], v[4:5], 2, v[10:11]
	global_load_dword v5, v[6:7], off
	global_load_dword v14, v[10:11], off offset:92
	s_waitcnt vmcnt(1)
	global_store_dword v[10:11], v5, off offset:92
	s_waitcnt vmcnt(1)
	global_store_dword v[6:7], v14, off
.LBB126_592:
	s_or_b64 exec, exec, s[14:15]
	v_mov_b32_e32 v15, v4
	v_mov_b32_e32 v14, v4
.LBB126_593:
	s_or_b64 exec, exec, s[12:13]
.LBB126_594:
	s_andn2_saveexec_b64 s[0:1], s[0:1]
	s_cbranch_execz .LBB126_598
; %bb.595:
	s_mov_b32 s4, 0
	v_add_u32_e32 v4, 0x180, v12
.LBB126_596:                            ; =>This Inner Loop Header: Depth=1
	s_add_i32 s12, s4, 0x180
	s_add_i32 s13, s4, 0x190
	;; [unrolled: 1-line block ×10, first 2 shown]
	scratch_load_dwordx4 v[16:19], off, s12
	scratch_load_dwordx4 v[20:23], off, s13
	scratch_load_dwordx4 v[24:27], off, s14
	scratch_load_dwordx4 v[28:31], off, s15
	scratch_load_dwordx4 v[32:35], off, s16
	scratch_load_dwordx4 v[36:39], off, s68
	scratch_load_dwordx4 v[40:43], off, s69
	scratch_load_dwordx4 v[44:47], off, s70
	scratch_load_dwordx4 v[48:51], off, s71
	scratch_load_dwordx4 v[52:55], off, s5
	v_add_u32_e32 v5, s4, v4
	s_addk_i32 s4, 0xa0
	s_cmpk_eq_i32 s4, 0x280
	s_waitcnt vmcnt(9)
	ds_write2_b64 v5, v[16:17], v[18:19] offset1:1
	s_waitcnt vmcnt(8)
	ds_write2_b64 v5, v[20:21], v[22:23] offset0:2 offset1:3
	s_waitcnt vmcnt(7)
	ds_write2_b64 v5, v[24:25], v[26:27] offset0:4 offset1:5
	;; [unrolled: 2-line block ×9, first 2 shown]
	s_cbranch_scc0 .LBB126_596
; %bb.597:
	v_mov_b32_e32 v15, 23
.LBB126_598:
	s_or_b64 exec, exec, s[0:1]
	v_cmp_lt_i32_e32 vcc, 23, v15
	s_waitcnt lgkmcnt(0)
	s_barrier
	s_and_saveexec_b64 s[0:1], vcc
	s_cbranch_execz .LBB126_601
; %bb.599:
	scratch_load_dwordx4 v[16:19], off, off offset:368
	s_mov_b32 s12, 0
	s_waitcnt vmcnt(0)
	v_mul_f64 v[4:5], v[2:3], v[18:19]
	v_mul_f64 v[6:7], v[0:1], v[18:19]
	v_fma_f64 v[4:5], v[0:1], v[16:17], -v[4:5]
	v_fmac_f64_e32 v[6:7], v[2:3], v[16:17]
	v_add_u32_e32 v0, 0x180, v12
	scratch_store_dwordx4 off, v[4:7], off offset:368
.LBB126_600:                            ; =>This Inner Loop Header: Depth=1
	v_add_u32_e32 v1, s12, v0
	ds_read2_b64 v[16:19], v1 offset1:1
	ds_read2_b64 v[20:23], v1 offset0:2 offset1:3
	ds_read2_b64 v[24:27], v1 offset0:4 offset1:5
	;; [unrolled: 1-line block ×5, first 2 shown]
	s_add_i32 s13, s12, 0x180
	s_waitcnt lgkmcnt(5)
	v_mul_f64 v[2:3], v[18:19], v[6:7]
	v_mul_f64 v[68:69], v[16:17], v[6:7]
	s_waitcnt lgkmcnt(4)
	v_mul_f64 v[70:71], v[22:23], v[6:7]
	v_mul_f64 v[72:73], v[20:21], v[6:7]
	;; [unrolled: 3-line block ×6, first 2 shown]
	s_add_i32 s14, s12, 0x190
	s_add_i32 s5, s12, 0x1a0
	s_add_i32 s15, s12, 0x1b0
	s_add_i32 s16, s12, 0x1c0
	s_add_i32 s68, s12, 0x1d0
	s_add_i32 s69, s12, 0x1e0
	s_add_i32 s4, s12, 0x1f0
	scratch_load_dwordx4 v[40:43], off, s13
	scratch_load_dwordx4 v[44:47], off, s14
	scratch_load_dwordx4 v[48:51], off, s5
	scratch_load_dwordx4 v[52:55], off, s15
	scratch_load_dwordx4 v[56:59], off, s16
	scratch_load_dwordx4 v[60:63], off, s68
	scratch_load_dwordx4 v[64:67], off, s69
	v_fma_f64 v[2:3], v[16:17], v[4:5], -v[2:3]
	v_fmac_f64_e32 v[68:69], v[18:19], v[4:5]
	v_fma_f64 v[70:71], v[20:21], v[4:5], -v[70:71]
	v_fmac_f64_e32 v[72:73], v[22:23], v[4:5]
	;; [unrolled: 2-line block ×6, first 2 shown]
	scratch_load_dwordx4 v[4:7], off, off offset:368
	scratch_load_dwordx4 v[16:19], off, s4
	ds_read2_b64 v[20:23], v1 offset0:12 offset1:13
	ds_read2_b64 v[24:27], v1 offset0:14 offset1:15
	s_addk_i32 s12, 0x80
	s_cmpk_lg_i32 s12, 0x280
	s_waitcnt vmcnt(8)
	v_add_f64 v[28:29], v[40:41], -v[2:3]
	v_add_f64 v[30:31], v[42:43], -v[68:69]
	s_waitcnt vmcnt(7)
	v_add_f64 v[32:33], v[44:45], -v[70:71]
	v_add_f64 v[34:35], v[46:47], -v[72:73]
	;; [unrolled: 3-line block ×6, first 2 shown]
	scratch_store_dwordx4 off, v[28:31], s13
	scratch_store_dwordx4 off, v[32:35], s14
	;; [unrolled: 1-line block ×6, first 2 shown]
	s_waitcnt vmcnt(7) lgkmcnt(1)
	v_mul_f64 v[2:3], v[22:23], v[6:7]
	v_mul_f64 v[28:29], v[20:21], v[6:7]
	s_waitcnt lgkmcnt(0)
	v_mul_f64 v[30:31], v[26:27], v[6:7]
	v_mul_f64 v[32:33], v[24:25], v[6:7]
	v_fma_f64 v[2:3], v[20:21], v[4:5], -v[2:3]
	v_fmac_f64_e32 v[28:29], v[22:23], v[4:5]
	v_fma_f64 v[24:25], v[24:25], v[4:5], -v[30:31]
	v_fmac_f64_e32 v[32:33], v[26:27], v[4:5]
	v_add_f64 v[20:21], v[64:65], -v[2:3]
	v_add_f64 v[22:23], v[66:67], -v[28:29]
	s_waitcnt vmcnt(6)
	v_add_f64 v[16:17], v[16:17], -v[24:25]
	v_add_f64 v[18:19], v[18:19], -v[32:33]
	scratch_store_dwordx4 off, v[20:23], s69
	scratch_store_dwordx4 off, v[16:19], s4
	s_cbranch_scc1 .LBB126_600
.LBB126_601:
	s_or_b64 exec, exec, s[0:1]
	s_barrier
	scratch_load_dwordx4 v[0:3], off, s61
	v_lshl_add_u32 v4, v15, 4, v12
	s_cmp_lt_i32 s67, 26
	s_waitcnt vmcnt(0)
	ds_write2_b64 v4, v[0:1], v[2:3] offset1:1
	s_waitcnt lgkmcnt(0)
	s_barrier
	ds_read2_b64 v[0:3], v12 offset0:48 offset1:49
	v_mov_b32_e32 v4, 24
	s_cbranch_scc1 .LBB126_604
; %bb.602:
	v_add_u32_e32 v5, 0x190, v12
	s_mov_b32 s4, 25
	v_mov_b32_e32 v4, 24
.LBB126_603:                            ; =>This Inner Loop Header: Depth=1
	ds_read2_b64 v[16:19], v5 offset1:1
	s_waitcnt lgkmcnt(1)
	v_xor_b32_e32 v7, 0x80000000, v1
	v_xor_b32_e32 v21, 0x80000000, v3
	v_cmp_gt_f64_e32 vcc, 0, v[2:3]
	v_cmp_gt_f64_e64 s[0:1], 0, v[0:1]
	v_mov_b32_e32 v6, v0
	v_mov_b32_e32 v20, v2
	v_cndmask_b32_e64 v7, v1, v7, s[0:1]
	v_cndmask_b32_e32 v21, v3, v21, vcc
	v_add_f64 v[6:7], v[6:7], v[20:21]
	s_waitcnt lgkmcnt(0)
	v_xor_b32_e32 v21, 0x80000000, v17
	v_xor_b32_e32 v23, 0x80000000, v19
	v_cmp_gt_f64_e32 vcc, 0, v[18:19]
	v_cmp_gt_f64_e64 s[0:1], 0, v[16:17]
	v_mov_b32_e32 v20, v16
	v_mov_b32_e32 v22, v18
	v_cndmask_b32_e64 v21, v17, v21, s[0:1]
	v_cndmask_b32_e32 v23, v19, v23, vcc
	v_add_f64 v[20:21], v[20:21], v[22:23]
	v_mov_b32_e32 v24, s4
	s_add_i32 s4, s4, 1
	v_cmp_lt_f64_e32 vcc, v[6:7], v[20:21]
	v_add_u32_e32 v5, 16, v5
	s_cmp_lg_u32 s67, s4
	v_cndmask_b32_e32 v1, v1, v17, vcc
	v_cndmask_b32_e32 v0, v0, v16, vcc
	;; [unrolled: 1-line block ×5, first 2 shown]
	s_cbranch_scc1 .LBB126_603
.LBB126_604:
	s_waitcnt lgkmcnt(0)
	v_cmp_eq_f64_e32 vcc, 0, v[0:1]
	v_cmp_eq_f64_e64 s[0:1], 0, v[2:3]
	s_and_b64 s[0:1], vcc, s[0:1]
	s_and_saveexec_b64 s[4:5], s[0:1]
	s_xor_b64 s[0:1], exec, s[4:5]
; %bb.605:
	v_cmp_ne_u32_e32 vcc, 0, v13
	s_nop 1
	v_cndmask_b32_e32 v13, 25, v13, vcc
; %bb.606:
	s_andn2_saveexec_b64 s[0:1], s[0:1]
	s_cbranch_execz .LBB126_612
; %bb.607:
	v_cmp_ngt_f64_e64 s[4:5], |v[0:1]|, |v[2:3]|
	s_and_saveexec_b64 s[12:13], s[4:5]
	s_xor_b64 s[12:13], exec, s[12:13]
	s_cbranch_execz .LBB126_609
; %bb.608:
	v_div_scale_f64 v[6:7], s[4:5], v[2:3], v[2:3], v[0:1]
	v_rcp_f64_e32 v[16:17], v[6:7]
	v_div_scale_f64 v[18:19], vcc, v[0:1], v[2:3], v[0:1]
	v_fma_f64 v[20:21], -v[6:7], v[16:17], 1.0
	v_fmac_f64_e32 v[16:17], v[16:17], v[20:21]
	v_fma_f64 v[20:21], -v[6:7], v[16:17], 1.0
	v_fmac_f64_e32 v[16:17], v[16:17], v[20:21]
	v_mul_f64 v[20:21], v[18:19], v[16:17]
	v_fma_f64 v[6:7], -v[6:7], v[20:21], v[18:19]
	v_div_fmas_f64 v[6:7], v[6:7], v[16:17], v[20:21]
	v_div_fixup_f64 v[6:7], v[6:7], v[2:3], v[0:1]
	v_fmac_f64_e32 v[2:3], v[0:1], v[6:7]
	v_div_scale_f64 v[0:1], s[4:5], v[2:3], v[2:3], 1.0
	v_rcp_f64_e32 v[16:17], v[0:1]
	s_nop 0
	v_fma_f64 v[18:19], -v[0:1], v[16:17], 1.0
	v_fmac_f64_e32 v[16:17], v[16:17], v[18:19]
	v_fma_f64 v[18:19], -v[0:1], v[16:17], 1.0
	v_fmac_f64_e32 v[16:17], v[16:17], v[18:19]
	v_div_scale_f64 v[18:19], vcc, 1.0, v[2:3], 1.0
	v_mul_f64 v[20:21], v[18:19], v[16:17]
	v_fma_f64 v[0:1], -v[0:1], v[20:21], v[18:19]
	s_nop 1
	v_div_fmas_f64 v[0:1], v[0:1], v[16:17], v[20:21]
	v_div_fixup_f64 v[2:3], v[0:1], v[2:3], 1.0
	v_mul_f64 v[0:1], v[6:7], v[2:3]
	v_xor_b32_e32 v3, 0x80000000, v3
.LBB126_609:
	s_andn2_saveexec_b64 s[12:13], s[12:13]
	s_cbranch_execz .LBB126_611
; %bb.610:
	v_div_scale_f64 v[6:7], s[4:5], v[0:1], v[0:1], v[2:3]
	v_rcp_f64_e32 v[16:17], v[6:7]
	v_div_scale_f64 v[18:19], vcc, v[2:3], v[0:1], v[2:3]
	v_fma_f64 v[20:21], -v[6:7], v[16:17], 1.0
	v_fmac_f64_e32 v[16:17], v[16:17], v[20:21]
	v_fma_f64 v[20:21], -v[6:7], v[16:17], 1.0
	v_fmac_f64_e32 v[16:17], v[16:17], v[20:21]
	v_mul_f64 v[20:21], v[18:19], v[16:17]
	v_fma_f64 v[6:7], -v[6:7], v[20:21], v[18:19]
	v_div_fmas_f64 v[6:7], v[6:7], v[16:17], v[20:21]
	v_div_fixup_f64 v[6:7], v[6:7], v[0:1], v[2:3]
	v_fmac_f64_e32 v[0:1], v[2:3], v[6:7]
	v_div_scale_f64 v[2:3], s[4:5], v[0:1], v[0:1], 1.0
	v_rcp_f64_e32 v[16:17], v[2:3]
	s_nop 0
	v_fma_f64 v[18:19], -v[2:3], v[16:17], 1.0
	v_fmac_f64_e32 v[16:17], v[16:17], v[18:19]
	v_fma_f64 v[18:19], -v[2:3], v[16:17], 1.0
	v_fmac_f64_e32 v[16:17], v[16:17], v[18:19]
	v_div_scale_f64 v[18:19], vcc, 1.0, v[0:1], 1.0
	v_mul_f64 v[20:21], v[18:19], v[16:17]
	v_fma_f64 v[2:3], -v[2:3], v[20:21], v[18:19]
	s_nop 1
	v_div_fmas_f64 v[2:3], v[2:3], v[16:17], v[20:21]
	v_div_fixup_f64 v[0:1], v[2:3], v[0:1], 1.0
	v_mul_f64 v[2:3], v[6:7], -v[0:1]
.LBB126_611:
	s_or_b64 exec, exec, s[12:13]
.LBB126_612:
	s_or_b64 exec, exec, s[0:1]
	v_cmp_ne_u32_e32 vcc, v15, v4
	s_and_saveexec_b64 s[0:1], vcc
	s_xor_b64 s[0:1], exec, s[0:1]
	s_cbranch_execz .LBB126_618
; %bb.613:
	v_cmp_eq_u32_e32 vcc, 24, v15
	s_and_saveexec_b64 s[12:13], vcc
	s_cbranch_execz .LBB126_617
; %bb.614:
	v_cmp_ne_u32_e32 vcc, 24, v4
	s_xor_b64 s[4:5], s[8:9], -1
	s_and_b64 s[4:5], s[4:5], vcc
	s_and_saveexec_b64 s[14:15], s[4:5]
	s_cbranch_execz .LBB126_616
; %bb.615:
	v_ashrrev_i32_e32 v5, 31, v4
	v_lshl_add_u64 v[6:7], v[4:5], 2, v[10:11]
	global_load_dword v5, v[6:7], off
	global_load_dword v14, v[10:11], off offset:96
	s_waitcnt vmcnt(1)
	global_store_dword v[10:11], v5, off offset:96
	s_waitcnt vmcnt(1)
	global_store_dword v[6:7], v14, off
.LBB126_616:
	s_or_b64 exec, exec, s[14:15]
	v_mov_b32_e32 v15, v4
	v_mov_b32_e32 v14, v4
.LBB126_617:
	s_or_b64 exec, exec, s[12:13]
.LBB126_618:
	s_andn2_saveexec_b64 s[0:1], s[0:1]
	s_cbranch_execz .LBB126_622
; %bb.619:
	s_mov_b32 s4, 0
	v_add_u32_e32 v4, 0x190, v12
.LBB126_620:                            ; =>This Inner Loop Header: Depth=1
	s_add_i32 s12, s4, 0x190
	s_add_i32 s13, s4, 0x1a0
	;; [unrolled: 1-line block ×13, first 2 shown]
	scratch_load_dwordx4 v[16:19], off, s12
	scratch_load_dwordx4 v[20:23], off, s13
	;; [unrolled: 1-line block ×13, first 2 shown]
	v_add_u32_e32 v5, s4, v4
	s_addk_i32 s4, 0xd0
	s_cmpk_eq_i32 s4, 0x270
	s_waitcnt vmcnt(12)
	ds_write2_b64 v5, v[16:17], v[18:19] offset1:1
	s_waitcnt vmcnt(11)
	ds_write2_b64 v5, v[20:21], v[22:23] offset0:2 offset1:3
	s_waitcnt vmcnt(10)
	ds_write2_b64 v5, v[24:25], v[26:27] offset0:4 offset1:5
	;; [unrolled: 2-line block ×12, first 2 shown]
	s_cbranch_scc0 .LBB126_620
; %bb.621:
	v_mov_b32_e32 v15, 24
.LBB126_622:
	s_or_b64 exec, exec, s[0:1]
	v_cmp_lt_i32_e32 vcc, 24, v15
	s_waitcnt lgkmcnt(0)
	s_barrier
	s_and_saveexec_b64 s[0:1], vcc
	s_cbranch_execz .LBB126_625
; %bb.623:
	scratch_load_dwordx4 v[16:19], off, off offset:384
	s_mov_b32 s4, 0
	s_waitcnt vmcnt(0)
	v_mul_f64 v[4:5], v[2:3], v[18:19]
	v_mul_f64 v[6:7], v[0:1], v[18:19]
	v_fma_f64 v[4:5], v[0:1], v[16:17], -v[4:5]
	v_fmac_f64_e32 v[6:7], v[2:3], v[16:17]
	v_add_u32_e32 v0, 0x190, v12
	scratch_store_dwordx4 off, v[4:7], off offset:384
.LBB126_624:                            ; =>This Inner Loop Header: Depth=1
	s_add_i32 s12, s4, 0x190
	s_add_i32 s13, s4, 0x1a0
	;; [unrolled: 1-line block ×3, first 2 shown]
	scratch_load_dwordx4 v[16:19], off, s12
	scratch_load_dwordx4 v[20:23], off, s13
	;; [unrolled: 1-line block ×3, first 2 shown]
	v_add_u32_e32 v1, s4, v0
	ds_read2_b64 v[28:31], v1 offset1:1
	ds_read2_b64 v[32:35], v1 offset0:2 offset1:3
	ds_read2_b64 v[36:39], v1 offset0:4 offset1:5
	s_add_i32 s4, s4, 48
	s_cmpk_lg_i32 s4, 0x270
	s_waitcnt lgkmcnt(2)
	v_mul_f64 v[2:3], v[30:31], v[6:7]
	v_mul_f64 v[40:41], v[28:29], v[6:7]
	s_waitcnt lgkmcnt(1)
	v_mul_f64 v[42:43], v[34:35], v[6:7]
	v_mul_f64 v[44:45], v[32:33], v[6:7]
	;; [unrolled: 3-line block ×3, first 2 shown]
	v_fma_f64 v[2:3], v[28:29], v[4:5], -v[2:3]
	v_fmac_f64_e32 v[40:41], v[30:31], v[4:5]
	v_fma_f64 v[28:29], v[32:33], v[4:5], -v[42:43]
	v_fmac_f64_e32 v[44:45], v[34:35], v[4:5]
	;; [unrolled: 2-line block ×3, first 2 shown]
	s_waitcnt vmcnt(2)
	v_add_f64 v[16:17], v[16:17], -v[2:3]
	v_add_f64 v[18:19], v[18:19], -v[40:41]
	s_waitcnt vmcnt(1)
	v_add_f64 v[20:21], v[20:21], -v[28:29]
	v_add_f64 v[22:23], v[22:23], -v[44:45]
	;; [unrolled: 3-line block ×3, first 2 shown]
	scratch_store_dwordx4 off, v[16:19], s12
	scratch_store_dwordx4 off, v[20:23], s13
	;; [unrolled: 1-line block ×3, first 2 shown]
	s_cbranch_scc1 .LBB126_624
.LBB126_625:
	s_or_b64 exec, exec, s[0:1]
	s_barrier
	scratch_load_dwordx4 v[0:3], off, s65
	v_lshl_add_u32 v4, v15, 4, v12
	s_cmp_lt_i32 s67, 27
	s_waitcnt vmcnt(0)
	ds_write2_b64 v4, v[0:1], v[2:3] offset1:1
	s_waitcnt lgkmcnt(0)
	s_barrier
	ds_read2_b64 v[0:3], v12 offset0:50 offset1:51
	v_mov_b32_e32 v4, 25
	s_cbranch_scc1 .LBB126_628
; %bb.626:
	v_add_u32_e32 v5, 0x1a0, v12
	s_mov_b32 s4, 26
	v_mov_b32_e32 v4, 25
.LBB126_627:                            ; =>This Inner Loop Header: Depth=1
	ds_read2_b64 v[16:19], v5 offset1:1
	s_waitcnt lgkmcnt(1)
	v_xor_b32_e32 v7, 0x80000000, v1
	v_xor_b32_e32 v21, 0x80000000, v3
	v_cmp_gt_f64_e32 vcc, 0, v[2:3]
	v_cmp_gt_f64_e64 s[0:1], 0, v[0:1]
	v_mov_b32_e32 v6, v0
	v_mov_b32_e32 v20, v2
	v_cndmask_b32_e64 v7, v1, v7, s[0:1]
	v_cndmask_b32_e32 v21, v3, v21, vcc
	v_add_f64 v[6:7], v[6:7], v[20:21]
	s_waitcnt lgkmcnt(0)
	v_xor_b32_e32 v21, 0x80000000, v17
	v_xor_b32_e32 v23, 0x80000000, v19
	v_cmp_gt_f64_e32 vcc, 0, v[18:19]
	v_cmp_gt_f64_e64 s[0:1], 0, v[16:17]
	v_mov_b32_e32 v20, v16
	v_mov_b32_e32 v22, v18
	v_cndmask_b32_e64 v21, v17, v21, s[0:1]
	v_cndmask_b32_e32 v23, v19, v23, vcc
	v_add_f64 v[20:21], v[20:21], v[22:23]
	v_mov_b32_e32 v24, s4
	s_add_i32 s4, s4, 1
	v_cmp_lt_f64_e32 vcc, v[6:7], v[20:21]
	v_add_u32_e32 v5, 16, v5
	s_cmp_lg_u32 s67, s4
	v_cndmask_b32_e32 v1, v1, v17, vcc
	v_cndmask_b32_e32 v0, v0, v16, vcc
	;; [unrolled: 1-line block ×5, first 2 shown]
	s_cbranch_scc1 .LBB126_627
.LBB126_628:
	s_waitcnt lgkmcnt(0)
	v_cmp_eq_f64_e32 vcc, 0, v[0:1]
	v_cmp_eq_f64_e64 s[0:1], 0, v[2:3]
	s_and_b64 s[0:1], vcc, s[0:1]
	s_and_saveexec_b64 s[4:5], s[0:1]
	s_xor_b64 s[0:1], exec, s[4:5]
; %bb.629:
	v_cmp_ne_u32_e32 vcc, 0, v13
	s_nop 1
	v_cndmask_b32_e32 v13, 26, v13, vcc
; %bb.630:
	s_andn2_saveexec_b64 s[0:1], s[0:1]
	s_cbranch_execz .LBB126_636
; %bb.631:
	v_cmp_ngt_f64_e64 s[4:5], |v[0:1]|, |v[2:3]|
	s_and_saveexec_b64 s[12:13], s[4:5]
	s_xor_b64 s[12:13], exec, s[12:13]
	s_cbranch_execz .LBB126_633
; %bb.632:
	v_div_scale_f64 v[6:7], s[4:5], v[2:3], v[2:3], v[0:1]
	v_rcp_f64_e32 v[16:17], v[6:7]
	v_div_scale_f64 v[18:19], vcc, v[0:1], v[2:3], v[0:1]
	v_fma_f64 v[20:21], -v[6:7], v[16:17], 1.0
	v_fmac_f64_e32 v[16:17], v[16:17], v[20:21]
	v_fma_f64 v[20:21], -v[6:7], v[16:17], 1.0
	v_fmac_f64_e32 v[16:17], v[16:17], v[20:21]
	v_mul_f64 v[20:21], v[18:19], v[16:17]
	v_fma_f64 v[6:7], -v[6:7], v[20:21], v[18:19]
	v_div_fmas_f64 v[6:7], v[6:7], v[16:17], v[20:21]
	v_div_fixup_f64 v[6:7], v[6:7], v[2:3], v[0:1]
	v_fmac_f64_e32 v[2:3], v[0:1], v[6:7]
	v_div_scale_f64 v[0:1], s[4:5], v[2:3], v[2:3], 1.0
	v_rcp_f64_e32 v[16:17], v[0:1]
	s_nop 0
	v_fma_f64 v[18:19], -v[0:1], v[16:17], 1.0
	v_fmac_f64_e32 v[16:17], v[16:17], v[18:19]
	v_fma_f64 v[18:19], -v[0:1], v[16:17], 1.0
	v_fmac_f64_e32 v[16:17], v[16:17], v[18:19]
	v_div_scale_f64 v[18:19], vcc, 1.0, v[2:3], 1.0
	v_mul_f64 v[20:21], v[18:19], v[16:17]
	v_fma_f64 v[0:1], -v[0:1], v[20:21], v[18:19]
	s_nop 1
	v_div_fmas_f64 v[0:1], v[0:1], v[16:17], v[20:21]
	v_div_fixup_f64 v[2:3], v[0:1], v[2:3], 1.0
	v_mul_f64 v[0:1], v[6:7], v[2:3]
	v_xor_b32_e32 v3, 0x80000000, v3
.LBB126_633:
	s_andn2_saveexec_b64 s[12:13], s[12:13]
	s_cbranch_execz .LBB126_635
; %bb.634:
	v_div_scale_f64 v[6:7], s[4:5], v[0:1], v[0:1], v[2:3]
	v_rcp_f64_e32 v[16:17], v[6:7]
	v_div_scale_f64 v[18:19], vcc, v[2:3], v[0:1], v[2:3]
	v_fma_f64 v[20:21], -v[6:7], v[16:17], 1.0
	v_fmac_f64_e32 v[16:17], v[16:17], v[20:21]
	v_fma_f64 v[20:21], -v[6:7], v[16:17], 1.0
	v_fmac_f64_e32 v[16:17], v[16:17], v[20:21]
	v_mul_f64 v[20:21], v[18:19], v[16:17]
	v_fma_f64 v[6:7], -v[6:7], v[20:21], v[18:19]
	v_div_fmas_f64 v[6:7], v[6:7], v[16:17], v[20:21]
	v_div_fixup_f64 v[6:7], v[6:7], v[0:1], v[2:3]
	v_fmac_f64_e32 v[0:1], v[2:3], v[6:7]
	v_div_scale_f64 v[2:3], s[4:5], v[0:1], v[0:1], 1.0
	v_rcp_f64_e32 v[16:17], v[2:3]
	s_nop 0
	v_fma_f64 v[18:19], -v[2:3], v[16:17], 1.0
	v_fmac_f64_e32 v[16:17], v[16:17], v[18:19]
	v_fma_f64 v[18:19], -v[2:3], v[16:17], 1.0
	v_fmac_f64_e32 v[16:17], v[16:17], v[18:19]
	v_div_scale_f64 v[18:19], vcc, 1.0, v[0:1], 1.0
	v_mul_f64 v[20:21], v[18:19], v[16:17]
	v_fma_f64 v[2:3], -v[2:3], v[20:21], v[18:19]
	s_nop 1
	v_div_fmas_f64 v[2:3], v[2:3], v[16:17], v[20:21]
	v_div_fixup_f64 v[0:1], v[2:3], v[0:1], 1.0
	v_mul_f64 v[2:3], v[6:7], -v[0:1]
.LBB126_635:
	s_or_b64 exec, exec, s[12:13]
.LBB126_636:
	s_or_b64 exec, exec, s[0:1]
	v_cmp_ne_u32_e32 vcc, v15, v4
	s_and_saveexec_b64 s[0:1], vcc
	s_xor_b64 s[0:1], exec, s[0:1]
	s_cbranch_execz .LBB126_642
; %bb.637:
	v_cmp_eq_u32_e32 vcc, 25, v15
	s_and_saveexec_b64 s[12:13], vcc
	s_cbranch_execz .LBB126_641
; %bb.638:
	v_cmp_ne_u32_e32 vcc, 25, v4
	s_xor_b64 s[4:5], s[8:9], -1
	s_and_b64 s[4:5], s[4:5], vcc
	s_and_saveexec_b64 s[14:15], s[4:5]
	s_cbranch_execz .LBB126_640
; %bb.639:
	v_ashrrev_i32_e32 v5, 31, v4
	v_lshl_add_u64 v[6:7], v[4:5], 2, v[10:11]
	global_load_dword v5, v[6:7], off
	global_load_dword v14, v[10:11], off offset:100
	s_waitcnt vmcnt(1)
	global_store_dword v[10:11], v5, off offset:100
	s_waitcnt vmcnt(1)
	global_store_dword v[6:7], v14, off
.LBB126_640:
	s_or_b64 exec, exec, s[14:15]
	v_mov_b32_e32 v15, v4
	v_mov_b32_e32 v14, v4
.LBB126_641:
	s_or_b64 exec, exec, s[12:13]
.LBB126_642:
	s_andn2_saveexec_b64 s[0:1], s[0:1]
	s_cbranch_execz .LBB126_646
; %bb.643:
	s_mov_b32 s4, 0
	v_add_u32_e32 v4, 0x1a0, v12
.LBB126_644:                            ; =>This Inner Loop Header: Depth=1
	s_add_i32 s12, s4, 0x1a0
	s_add_i32 s5, s4, 0x1b0
	scratch_load_dwordx4 v[16:19], off, s12
	scratch_load_dwordx4 v[20:23], off, s5
	v_add_u32_e32 v5, s4, v4
	s_add_i32 s4, s4, 32
	s_cmpk_eq_i32 s4, 0x260
	s_waitcnt vmcnt(1)
	ds_write2_b64 v5, v[16:17], v[18:19] offset1:1
	s_waitcnt vmcnt(0)
	ds_write2_b64 v5, v[20:21], v[22:23] offset0:2 offset1:3
	s_cbranch_scc0 .LBB126_644
; %bb.645:
	v_mov_b32_e32 v15, 25
.LBB126_646:
	s_or_b64 exec, exec, s[0:1]
	v_cmp_lt_i32_e32 vcc, 25, v15
	s_waitcnt lgkmcnt(0)
	s_barrier
	s_and_saveexec_b64 s[0:1], vcc
	s_cbranch_execz .LBB126_649
; %bb.647:
	scratch_load_dwordx4 v[16:19], off, off offset:400
	s_mov_b32 s4, 0
	s_waitcnt vmcnt(0)
	v_mul_f64 v[4:5], v[2:3], v[18:19]
	v_mul_f64 v[6:7], v[0:1], v[18:19]
	v_fma_f64 v[4:5], v[0:1], v[16:17], -v[4:5]
	v_fmac_f64_e32 v[6:7], v[2:3], v[16:17]
	v_add_u32_e32 v0, 0x1a0, v12
	scratch_store_dwordx4 off, v[4:7], off offset:400
.LBB126_648:                            ; =>This Inner Loop Header: Depth=1
	s_add_i32 s12, s4, 0x1a0
	s_add_i32 s5, s4, 0x1b0
	scratch_load_dwordx4 v[16:19], off, s12
	scratch_load_dwordx4 v[20:23], off, s5
	v_add_u32_e32 v1, s4, v0
	ds_read2_b64 v[24:27], v1 offset1:1
	ds_read2_b64 v[28:31], v1 offset0:2 offset1:3
	s_add_i32 s4, s4, 32
	s_cmpk_lg_i32 s4, 0x260
	s_waitcnt lgkmcnt(1)
	v_mul_f64 v[2:3], v[26:27], v[6:7]
	v_mul_f64 v[32:33], v[24:25], v[6:7]
	s_waitcnt lgkmcnt(0)
	v_mul_f64 v[34:35], v[30:31], v[6:7]
	v_mul_f64 v[36:37], v[28:29], v[6:7]
	v_fma_f64 v[2:3], v[24:25], v[4:5], -v[2:3]
	v_fmac_f64_e32 v[32:33], v[26:27], v[4:5]
	v_fma_f64 v[24:25], v[28:29], v[4:5], -v[34:35]
	v_fmac_f64_e32 v[36:37], v[30:31], v[4:5]
	s_waitcnt vmcnt(1)
	v_add_f64 v[16:17], v[16:17], -v[2:3]
	v_add_f64 v[18:19], v[18:19], -v[32:33]
	s_waitcnt vmcnt(0)
	v_add_f64 v[20:21], v[20:21], -v[24:25]
	v_add_f64 v[22:23], v[22:23], -v[36:37]
	scratch_store_dwordx4 off, v[16:19], s12
	scratch_store_dwordx4 off, v[20:23], s5
	s_cbranch_scc1 .LBB126_648
.LBB126_649:
	s_or_b64 exec, exec, s[0:1]
	s_barrier
	scratch_load_dwordx4 v[0:3], off, s64
	v_lshl_add_u32 v4, v15, 4, v12
	s_cmp_lt_i32 s67, 28
	s_waitcnt vmcnt(0)
	ds_write2_b64 v4, v[0:1], v[2:3] offset1:1
	s_waitcnt lgkmcnt(0)
	s_barrier
	ds_read2_b64 v[0:3], v12 offset0:52 offset1:53
	v_mov_b32_e32 v4, 26
	s_cbranch_scc1 .LBB126_652
; %bb.650:
	v_add_u32_e32 v5, 0x1b0, v12
	s_mov_b32 s4, 27
	v_mov_b32_e32 v4, 26
.LBB126_651:                            ; =>This Inner Loop Header: Depth=1
	ds_read2_b64 v[16:19], v5 offset1:1
	s_waitcnt lgkmcnt(1)
	v_xor_b32_e32 v7, 0x80000000, v1
	v_xor_b32_e32 v21, 0x80000000, v3
	v_cmp_gt_f64_e32 vcc, 0, v[2:3]
	v_cmp_gt_f64_e64 s[0:1], 0, v[0:1]
	v_mov_b32_e32 v6, v0
	v_mov_b32_e32 v20, v2
	v_cndmask_b32_e64 v7, v1, v7, s[0:1]
	v_cndmask_b32_e32 v21, v3, v21, vcc
	v_add_f64 v[6:7], v[6:7], v[20:21]
	s_waitcnt lgkmcnt(0)
	v_xor_b32_e32 v21, 0x80000000, v17
	v_xor_b32_e32 v23, 0x80000000, v19
	v_cmp_gt_f64_e32 vcc, 0, v[18:19]
	v_cmp_gt_f64_e64 s[0:1], 0, v[16:17]
	v_mov_b32_e32 v20, v16
	v_mov_b32_e32 v22, v18
	v_cndmask_b32_e64 v21, v17, v21, s[0:1]
	v_cndmask_b32_e32 v23, v19, v23, vcc
	v_add_f64 v[20:21], v[20:21], v[22:23]
	v_mov_b32_e32 v24, s4
	s_add_i32 s4, s4, 1
	v_cmp_lt_f64_e32 vcc, v[6:7], v[20:21]
	v_add_u32_e32 v5, 16, v5
	s_cmp_lg_u32 s67, s4
	v_cndmask_b32_e32 v1, v1, v17, vcc
	v_cndmask_b32_e32 v0, v0, v16, vcc
	;; [unrolled: 1-line block ×5, first 2 shown]
	s_cbranch_scc1 .LBB126_651
.LBB126_652:
	s_waitcnt lgkmcnt(0)
	v_cmp_eq_f64_e32 vcc, 0, v[0:1]
	v_cmp_eq_f64_e64 s[0:1], 0, v[2:3]
	s_and_b64 s[0:1], vcc, s[0:1]
	s_and_saveexec_b64 s[4:5], s[0:1]
	s_xor_b64 s[0:1], exec, s[4:5]
; %bb.653:
	v_cmp_ne_u32_e32 vcc, 0, v13
	s_nop 1
	v_cndmask_b32_e32 v13, 27, v13, vcc
; %bb.654:
	s_andn2_saveexec_b64 s[0:1], s[0:1]
	s_cbranch_execz .LBB126_660
; %bb.655:
	v_cmp_ngt_f64_e64 s[4:5], |v[0:1]|, |v[2:3]|
	s_and_saveexec_b64 s[12:13], s[4:5]
	s_xor_b64 s[12:13], exec, s[12:13]
	s_cbranch_execz .LBB126_657
; %bb.656:
	v_div_scale_f64 v[6:7], s[4:5], v[2:3], v[2:3], v[0:1]
	v_rcp_f64_e32 v[16:17], v[6:7]
	v_div_scale_f64 v[18:19], vcc, v[0:1], v[2:3], v[0:1]
	v_fma_f64 v[20:21], -v[6:7], v[16:17], 1.0
	v_fmac_f64_e32 v[16:17], v[16:17], v[20:21]
	v_fma_f64 v[20:21], -v[6:7], v[16:17], 1.0
	v_fmac_f64_e32 v[16:17], v[16:17], v[20:21]
	v_mul_f64 v[20:21], v[18:19], v[16:17]
	v_fma_f64 v[6:7], -v[6:7], v[20:21], v[18:19]
	v_div_fmas_f64 v[6:7], v[6:7], v[16:17], v[20:21]
	v_div_fixup_f64 v[6:7], v[6:7], v[2:3], v[0:1]
	v_fmac_f64_e32 v[2:3], v[0:1], v[6:7]
	v_div_scale_f64 v[0:1], s[4:5], v[2:3], v[2:3], 1.0
	v_rcp_f64_e32 v[16:17], v[0:1]
	s_nop 0
	v_fma_f64 v[18:19], -v[0:1], v[16:17], 1.0
	v_fmac_f64_e32 v[16:17], v[16:17], v[18:19]
	v_fma_f64 v[18:19], -v[0:1], v[16:17], 1.0
	v_fmac_f64_e32 v[16:17], v[16:17], v[18:19]
	v_div_scale_f64 v[18:19], vcc, 1.0, v[2:3], 1.0
	v_mul_f64 v[20:21], v[18:19], v[16:17]
	v_fma_f64 v[0:1], -v[0:1], v[20:21], v[18:19]
	s_nop 1
	v_div_fmas_f64 v[0:1], v[0:1], v[16:17], v[20:21]
	v_div_fixup_f64 v[2:3], v[0:1], v[2:3], 1.0
	v_mul_f64 v[0:1], v[6:7], v[2:3]
	v_xor_b32_e32 v3, 0x80000000, v3
.LBB126_657:
	s_andn2_saveexec_b64 s[12:13], s[12:13]
	s_cbranch_execz .LBB126_659
; %bb.658:
	v_div_scale_f64 v[6:7], s[4:5], v[0:1], v[0:1], v[2:3]
	v_rcp_f64_e32 v[16:17], v[6:7]
	v_div_scale_f64 v[18:19], vcc, v[2:3], v[0:1], v[2:3]
	v_fma_f64 v[20:21], -v[6:7], v[16:17], 1.0
	v_fmac_f64_e32 v[16:17], v[16:17], v[20:21]
	v_fma_f64 v[20:21], -v[6:7], v[16:17], 1.0
	v_fmac_f64_e32 v[16:17], v[16:17], v[20:21]
	v_mul_f64 v[20:21], v[18:19], v[16:17]
	v_fma_f64 v[6:7], -v[6:7], v[20:21], v[18:19]
	v_div_fmas_f64 v[6:7], v[6:7], v[16:17], v[20:21]
	v_div_fixup_f64 v[6:7], v[6:7], v[0:1], v[2:3]
	v_fmac_f64_e32 v[0:1], v[2:3], v[6:7]
	v_div_scale_f64 v[2:3], s[4:5], v[0:1], v[0:1], 1.0
	v_rcp_f64_e32 v[16:17], v[2:3]
	s_nop 0
	v_fma_f64 v[18:19], -v[2:3], v[16:17], 1.0
	v_fmac_f64_e32 v[16:17], v[16:17], v[18:19]
	v_fma_f64 v[18:19], -v[2:3], v[16:17], 1.0
	v_fmac_f64_e32 v[16:17], v[16:17], v[18:19]
	v_div_scale_f64 v[18:19], vcc, 1.0, v[0:1], 1.0
	v_mul_f64 v[20:21], v[18:19], v[16:17]
	v_fma_f64 v[2:3], -v[2:3], v[20:21], v[18:19]
	s_nop 1
	v_div_fmas_f64 v[2:3], v[2:3], v[16:17], v[20:21]
	v_div_fixup_f64 v[0:1], v[2:3], v[0:1], 1.0
	v_mul_f64 v[2:3], v[6:7], -v[0:1]
.LBB126_659:
	s_or_b64 exec, exec, s[12:13]
.LBB126_660:
	s_or_b64 exec, exec, s[0:1]
	v_cmp_ne_u32_e32 vcc, v15, v4
	s_and_saveexec_b64 s[0:1], vcc
	s_xor_b64 s[0:1], exec, s[0:1]
	s_cbranch_execz .LBB126_666
; %bb.661:
	v_cmp_eq_u32_e32 vcc, 26, v15
	s_and_saveexec_b64 s[12:13], vcc
	s_cbranch_execz .LBB126_665
; %bb.662:
	v_cmp_ne_u32_e32 vcc, 26, v4
	s_xor_b64 s[4:5], s[8:9], -1
	s_and_b64 s[4:5], s[4:5], vcc
	s_and_saveexec_b64 s[14:15], s[4:5]
	s_cbranch_execz .LBB126_664
; %bb.663:
	v_ashrrev_i32_e32 v5, 31, v4
	v_lshl_add_u64 v[6:7], v[4:5], 2, v[10:11]
	global_load_dword v5, v[6:7], off
	global_load_dword v14, v[10:11], off offset:104
	s_waitcnt vmcnt(1)
	global_store_dword v[10:11], v5, off offset:104
	s_waitcnt vmcnt(1)
	global_store_dword v[6:7], v14, off
.LBB126_664:
	s_or_b64 exec, exec, s[14:15]
	v_mov_b32_e32 v15, v4
	v_mov_b32_e32 v14, v4
.LBB126_665:
	s_or_b64 exec, exec, s[12:13]
.LBB126_666:
	s_andn2_saveexec_b64 s[0:1], s[0:1]
	s_cbranch_execz .LBB126_672
; %bb.667:
	s_mov_b32 s4, 0
	v_add_u32_e32 v4, 0x1b0, v12
	s_branch .LBB126_669
.LBB126_668:                            ;   in Loop: Header=BB126_669 Depth=1
	s_andn2_b64 vcc, exec, s[12:13]
	s_cbranch_vccz .LBB126_671
.LBB126_669:                            ; =>This Inner Loop Header: Depth=1
	s_add_i32 s12, s4, 0x1b0
	s_add_i32 s13, s4, 0x1c0
	scratch_load_dwordx4 v[16:19], off, s12
	scratch_load_dwordx4 v[20:23], off, s13
	s_add_i32 s12, s4, 0x1d0
	s_add_i32 s13, s4, 0x1e0
	scratch_load_dwordx4 v[24:27], off, s12
	scratch_load_dwordx4 v[28:31], off, s13
	s_add_i32 s12, s4, 0x1f0
	scratch_load_dwordx4 v[32:35], off, s12
	s_mov_b32 s5, s4
	v_add_u32_e32 v5, s4, v4
	s_cmpk_eq_i32 s4, 0x200
	s_mov_b64 s[12:13], -1
	s_waitcnt vmcnt(4)
	ds_write2_b64 v5, v[16:17], v[18:19] offset1:1
	s_waitcnt vmcnt(3)
	ds_write2_b64 v5, v[20:21], v[22:23] offset0:2 offset1:3
	s_waitcnt vmcnt(2)
	ds_write2_b64 v5, v[24:25], v[26:27] offset0:4 offset1:5
	;; [unrolled: 2-line block ×4, first 2 shown]
	s_cbranch_scc1 .LBB126_668
; %bb.670:                              ;   in Loop: Header=BB126_669 Depth=1
	s_add_i32 s12, s5, 0x200
	s_add_i32 s13, s5, 0x210
	scratch_load_dwordx4 v[16:19], off, s12
	scratch_load_dwordx4 v[20:23], off, s13
	s_addk_i32 s5, 0x220
	scratch_load_dwordx4 v[24:27], off, s5
	s_addk_i32 s4, 0x80
	s_mov_b64 s[12:13], 0
	s_waitcnt vmcnt(2)
	ds_write2_b64 v5, v[16:17], v[18:19] offset0:10 offset1:11
	s_waitcnt vmcnt(1)
	ds_write2_b64 v5, v[20:21], v[22:23] offset0:12 offset1:13
	;; [unrolled: 2-line block ×3, first 2 shown]
	s_branch .LBB126_668
.LBB126_671:
	v_mov_b32_e32 v15, 26
.LBB126_672:
	s_or_b64 exec, exec, s[0:1]
	v_cmp_lt_i32_e32 vcc, 26, v15
	s_waitcnt lgkmcnt(0)
	s_barrier
	s_and_saveexec_b64 s[0:1], vcc
	s_cbranch_execz .LBB126_677
; %bb.673:
	scratch_load_dwordx4 v[16:19], off, off offset:416
	s_mov_b32 s14, 0
	s_waitcnt vmcnt(0)
	v_mul_f64 v[4:5], v[2:3], v[18:19]
	v_mul_f64 v[6:7], v[0:1], v[18:19]
	v_fma_f64 v[4:5], v[0:1], v[16:17], -v[4:5]
	v_fmac_f64_e32 v[6:7], v[2:3], v[16:17]
	v_add_u32_e32 v0, 0x1b0, v12
	scratch_store_dwordx4 off, v[4:7], off offset:416
	s_branch .LBB126_675
.LBB126_674:                            ;   in Loop: Header=BB126_675 Depth=1
	s_andn2_b64 vcc, exec, s[12:13]
	s_cbranch_vccz .LBB126_677
.LBB126_675:                            ; =>This Inner Loop Header: Depth=1
	s_add_i32 s4, s14, 0x1b0
	scratch_load_dwordx4 v[16:19], off, s4
	s_add_i32 s5, s14, 0x1c0
	s_add_i32 s12, s14, 0x1d0
	;; [unrolled: 1-line block ×4, first 2 shown]
	scratch_load_dwordx4 v[20:23], off, s5
	scratch_load_dwordx4 v[24:27], off, s12
	;; [unrolled: 1-line block ×4, first 2 shown]
	v_add_u32_e32 v1, s14, v0
	ds_read2_b64 v[36:39], v1 offset1:1
	ds_read2_b64 v[40:43], v1 offset0:2 offset1:3
	ds_read2_b64 v[44:47], v1 offset0:4 offset1:5
	;; [unrolled: 1-line block ×4, first 2 shown]
	s_waitcnt lgkmcnt(4)
	v_mul_f64 v[2:3], v[38:39], v[6:7]
	v_mul_f64 v[56:57], v[36:37], v[6:7]
	s_waitcnt lgkmcnt(3)
	v_mul_f64 v[58:59], v[42:43], v[6:7]
	v_mul_f64 v[60:61], v[40:41], v[6:7]
	s_waitcnt lgkmcnt(2)
	v_mul_f64 v[62:63], v[46:47], v[6:7]
	v_mul_f64 v[64:65], v[44:45], v[6:7]
	s_waitcnt lgkmcnt(1)
	v_mul_f64 v[66:67], v[50:51], v[6:7]
	v_mul_f64 v[68:69], v[48:49], v[6:7]
	s_waitcnt lgkmcnt(0)
	v_mul_f64 v[70:71], v[54:55], v[6:7]
	v_mul_f64 v[72:73], v[52:53], v[6:7]
	v_fma_f64 v[2:3], v[36:37], v[4:5], -v[2:3]
	v_fmac_f64_e32 v[56:57], v[38:39], v[4:5]
	v_fma_f64 v[36:37], v[40:41], v[4:5], -v[58:59]
	v_fmac_f64_e32 v[60:61], v[42:43], v[4:5]
	;; [unrolled: 2-line block ×5, first 2 shown]
	s_mov_b32 s15, s14
	s_cmpk_eq_i32 s14, 0x200
	s_waitcnt vmcnt(4)
	v_add_f64 v[16:17], v[16:17], -v[2:3]
	v_add_f64 v[18:19], v[18:19], -v[56:57]
	s_waitcnt vmcnt(3)
	v_add_f64 v[20:21], v[20:21], -v[36:37]
	v_add_f64 v[22:23], v[22:23], -v[60:61]
	;; [unrolled: 3-line block ×5, first 2 shown]
	scratch_store_dwordx4 off, v[16:19], s4
	scratch_store_dwordx4 off, v[20:23], s5
	;; [unrolled: 1-line block ×5, first 2 shown]
	s_mov_b64 s[12:13], -1
	s_cbranch_scc1 .LBB126_674
; %bb.676:                              ;   in Loop: Header=BB126_675 Depth=1
	s_add_i32 s4, s15, 0x200
	scratch_load_dwordx4 v[16:19], off, s4
	s_add_i32 s5, s15, 0x210
	s_addk_i32 s15, 0x220
	scratch_load_dwordx4 v[20:23], off, s5
	scratch_load_dwordx4 v[24:27], off, s15
	ds_read2_b64 v[28:31], v1 offset0:10 offset1:11
	ds_read2_b64 v[32:35], v1 offset0:12 offset1:13
	;; [unrolled: 1-line block ×3, first 2 shown]
	s_addk_i32 s14, 0x80
	s_mov_b64 s[12:13], 0
	s_waitcnt lgkmcnt(2)
	v_mul_f64 v[2:3], v[30:31], v[6:7]
	v_mul_f64 v[40:41], v[28:29], v[6:7]
	s_waitcnt lgkmcnt(1)
	v_mul_f64 v[42:43], v[34:35], v[6:7]
	v_mul_f64 v[44:45], v[32:33], v[6:7]
	;; [unrolled: 3-line block ×3, first 2 shown]
	v_fma_f64 v[2:3], v[28:29], v[4:5], -v[2:3]
	v_fmac_f64_e32 v[40:41], v[30:31], v[4:5]
	v_fma_f64 v[28:29], v[32:33], v[4:5], -v[42:43]
	v_fmac_f64_e32 v[44:45], v[34:35], v[4:5]
	;; [unrolled: 2-line block ×3, first 2 shown]
	s_waitcnt vmcnt(2)
	v_add_f64 v[16:17], v[16:17], -v[2:3]
	v_add_f64 v[18:19], v[18:19], -v[40:41]
	s_waitcnt vmcnt(1)
	v_add_f64 v[20:21], v[20:21], -v[28:29]
	v_add_f64 v[22:23], v[22:23], -v[44:45]
	;; [unrolled: 3-line block ×3, first 2 shown]
	scratch_store_dwordx4 off, v[16:19], s4
	scratch_store_dwordx4 off, v[20:23], s5
	;; [unrolled: 1-line block ×3, first 2 shown]
	s_branch .LBB126_674
.LBB126_677:
	s_or_b64 exec, exec, s[0:1]
	s_barrier
	scratch_load_dwordx4 v[0:3], off, s57
	v_lshl_add_u32 v4, v15, 4, v12
	s_cmp_lt_i32 s67, 29
	s_waitcnt vmcnt(0)
	ds_write2_b64 v4, v[0:1], v[2:3] offset1:1
	s_waitcnt lgkmcnt(0)
	s_barrier
	ds_read2_b64 v[0:3], v12 offset0:54 offset1:55
	v_mov_b32_e32 v4, 27
	s_cbranch_scc1 .LBB126_680
; %bb.678:
	v_add_u32_e32 v5, 0x1c0, v12
	s_mov_b32 s4, 28
	v_mov_b32_e32 v4, 27
.LBB126_679:                            ; =>This Inner Loop Header: Depth=1
	ds_read2_b64 v[16:19], v5 offset1:1
	s_waitcnt lgkmcnt(1)
	v_xor_b32_e32 v7, 0x80000000, v1
	v_xor_b32_e32 v21, 0x80000000, v3
	v_cmp_gt_f64_e32 vcc, 0, v[2:3]
	v_cmp_gt_f64_e64 s[0:1], 0, v[0:1]
	v_mov_b32_e32 v6, v0
	v_mov_b32_e32 v20, v2
	v_cndmask_b32_e64 v7, v1, v7, s[0:1]
	v_cndmask_b32_e32 v21, v3, v21, vcc
	v_add_f64 v[6:7], v[6:7], v[20:21]
	s_waitcnt lgkmcnt(0)
	v_xor_b32_e32 v21, 0x80000000, v17
	v_xor_b32_e32 v23, 0x80000000, v19
	v_cmp_gt_f64_e32 vcc, 0, v[18:19]
	v_cmp_gt_f64_e64 s[0:1], 0, v[16:17]
	v_mov_b32_e32 v20, v16
	v_mov_b32_e32 v22, v18
	v_cndmask_b32_e64 v21, v17, v21, s[0:1]
	v_cndmask_b32_e32 v23, v19, v23, vcc
	v_add_f64 v[20:21], v[20:21], v[22:23]
	v_mov_b32_e32 v24, s4
	s_add_i32 s4, s4, 1
	v_cmp_lt_f64_e32 vcc, v[6:7], v[20:21]
	v_add_u32_e32 v5, 16, v5
	s_cmp_lg_u32 s67, s4
	v_cndmask_b32_e32 v1, v1, v17, vcc
	v_cndmask_b32_e32 v0, v0, v16, vcc
	;; [unrolled: 1-line block ×5, first 2 shown]
	s_cbranch_scc1 .LBB126_679
.LBB126_680:
	s_waitcnt lgkmcnt(0)
	v_cmp_eq_f64_e32 vcc, 0, v[0:1]
	v_cmp_eq_f64_e64 s[0:1], 0, v[2:3]
	s_and_b64 s[0:1], vcc, s[0:1]
	s_and_saveexec_b64 s[4:5], s[0:1]
	s_xor_b64 s[0:1], exec, s[4:5]
; %bb.681:
	v_cmp_ne_u32_e32 vcc, 0, v13
	s_nop 1
	v_cndmask_b32_e32 v13, 28, v13, vcc
; %bb.682:
	s_andn2_saveexec_b64 s[0:1], s[0:1]
	s_cbranch_execz .LBB126_688
; %bb.683:
	v_cmp_ngt_f64_e64 s[4:5], |v[0:1]|, |v[2:3]|
	s_and_saveexec_b64 s[12:13], s[4:5]
	s_xor_b64 s[12:13], exec, s[12:13]
	s_cbranch_execz .LBB126_685
; %bb.684:
	v_div_scale_f64 v[6:7], s[4:5], v[2:3], v[2:3], v[0:1]
	v_rcp_f64_e32 v[16:17], v[6:7]
	v_div_scale_f64 v[18:19], vcc, v[0:1], v[2:3], v[0:1]
	v_fma_f64 v[20:21], -v[6:7], v[16:17], 1.0
	v_fmac_f64_e32 v[16:17], v[16:17], v[20:21]
	v_fma_f64 v[20:21], -v[6:7], v[16:17], 1.0
	v_fmac_f64_e32 v[16:17], v[16:17], v[20:21]
	v_mul_f64 v[20:21], v[18:19], v[16:17]
	v_fma_f64 v[6:7], -v[6:7], v[20:21], v[18:19]
	v_div_fmas_f64 v[6:7], v[6:7], v[16:17], v[20:21]
	v_div_fixup_f64 v[6:7], v[6:7], v[2:3], v[0:1]
	v_fmac_f64_e32 v[2:3], v[0:1], v[6:7]
	v_div_scale_f64 v[0:1], s[4:5], v[2:3], v[2:3], 1.0
	v_rcp_f64_e32 v[16:17], v[0:1]
	s_nop 0
	v_fma_f64 v[18:19], -v[0:1], v[16:17], 1.0
	v_fmac_f64_e32 v[16:17], v[16:17], v[18:19]
	v_fma_f64 v[18:19], -v[0:1], v[16:17], 1.0
	v_fmac_f64_e32 v[16:17], v[16:17], v[18:19]
	v_div_scale_f64 v[18:19], vcc, 1.0, v[2:3], 1.0
	v_mul_f64 v[20:21], v[18:19], v[16:17]
	v_fma_f64 v[0:1], -v[0:1], v[20:21], v[18:19]
	s_nop 1
	v_div_fmas_f64 v[0:1], v[0:1], v[16:17], v[20:21]
	v_div_fixup_f64 v[2:3], v[0:1], v[2:3], 1.0
	v_mul_f64 v[0:1], v[6:7], v[2:3]
	v_xor_b32_e32 v3, 0x80000000, v3
.LBB126_685:
	s_andn2_saveexec_b64 s[12:13], s[12:13]
	s_cbranch_execz .LBB126_687
; %bb.686:
	v_div_scale_f64 v[6:7], s[4:5], v[0:1], v[0:1], v[2:3]
	v_rcp_f64_e32 v[16:17], v[6:7]
	v_div_scale_f64 v[18:19], vcc, v[2:3], v[0:1], v[2:3]
	v_fma_f64 v[20:21], -v[6:7], v[16:17], 1.0
	v_fmac_f64_e32 v[16:17], v[16:17], v[20:21]
	v_fma_f64 v[20:21], -v[6:7], v[16:17], 1.0
	v_fmac_f64_e32 v[16:17], v[16:17], v[20:21]
	v_mul_f64 v[20:21], v[18:19], v[16:17]
	v_fma_f64 v[6:7], -v[6:7], v[20:21], v[18:19]
	v_div_fmas_f64 v[6:7], v[6:7], v[16:17], v[20:21]
	v_div_fixup_f64 v[6:7], v[6:7], v[0:1], v[2:3]
	v_fmac_f64_e32 v[0:1], v[2:3], v[6:7]
	v_div_scale_f64 v[2:3], s[4:5], v[0:1], v[0:1], 1.0
	v_rcp_f64_e32 v[16:17], v[2:3]
	s_nop 0
	v_fma_f64 v[18:19], -v[2:3], v[16:17], 1.0
	v_fmac_f64_e32 v[16:17], v[16:17], v[18:19]
	v_fma_f64 v[18:19], -v[2:3], v[16:17], 1.0
	v_fmac_f64_e32 v[16:17], v[16:17], v[18:19]
	v_div_scale_f64 v[18:19], vcc, 1.0, v[0:1], 1.0
	v_mul_f64 v[20:21], v[18:19], v[16:17]
	v_fma_f64 v[2:3], -v[2:3], v[20:21], v[18:19]
	s_nop 1
	v_div_fmas_f64 v[2:3], v[2:3], v[16:17], v[20:21]
	v_div_fixup_f64 v[0:1], v[2:3], v[0:1], 1.0
	v_mul_f64 v[2:3], v[6:7], -v[0:1]
.LBB126_687:
	s_or_b64 exec, exec, s[12:13]
.LBB126_688:
	s_or_b64 exec, exec, s[0:1]
	v_cmp_ne_u32_e32 vcc, v15, v4
	s_and_saveexec_b64 s[0:1], vcc
	s_xor_b64 s[0:1], exec, s[0:1]
	s_cbranch_execz .LBB126_694
; %bb.689:
	v_cmp_eq_u32_e32 vcc, 27, v15
	s_and_saveexec_b64 s[12:13], vcc
	s_cbranch_execz .LBB126_693
; %bb.690:
	v_cmp_ne_u32_e32 vcc, 27, v4
	s_xor_b64 s[4:5], s[8:9], -1
	s_and_b64 s[4:5], s[4:5], vcc
	s_and_saveexec_b64 s[14:15], s[4:5]
	s_cbranch_execz .LBB126_692
; %bb.691:
	v_ashrrev_i32_e32 v5, 31, v4
	v_lshl_add_u64 v[6:7], v[4:5], 2, v[10:11]
	global_load_dword v5, v[6:7], off
	global_load_dword v14, v[10:11], off offset:108
	s_waitcnt vmcnt(1)
	global_store_dword v[10:11], v5, off offset:108
	s_waitcnt vmcnt(1)
	global_store_dword v[6:7], v14, off
.LBB126_692:
	s_or_b64 exec, exec, s[14:15]
	v_mov_b32_e32 v15, v4
	v_mov_b32_e32 v14, v4
.LBB126_693:
	s_or_b64 exec, exec, s[12:13]
.LBB126_694:
	s_andn2_saveexec_b64 s[0:1], s[0:1]
	s_cbranch_execz .LBB126_696
; %bb.695:
	scratch_load_dwordx4 v[4:7], off, s59
	scratch_load_dwordx4 v[16:19], off, s54
	;; [unrolled: 1-line block ×21, first 2 shown]
	v_mov_b32_e32 v15, 27
	s_waitcnt vmcnt(20)
	ds_write2_b64 v12, v[4:5], v[6:7] offset0:56 offset1:57
	scratch_load_dwordx4 v[4:7], off, s34
	s_waitcnt vmcnt(20)
	ds_write2_b64 v12, v[16:17], v[18:19] offset0:58 offset1:59
	scratch_load_dwordx4 v[16:19], off, s33
	;; [unrolled: 3-line block ×15, first 2 shown]
	s_waitcnt vmcnt(20)
	ds_write2_b64 v12, v[72:73], v[74:75] offset0:86 offset1:87
	s_waitcnt vmcnt(19)
	ds_write2_b64 v12, v[76:77], v[78:79] offset0:88 offset1:89
	;; [unrolled: 2-line block ×21, first 2 shown]
.LBB126_696:
	s_or_b64 exec, exec, s[0:1]
	v_cmp_lt_i32_e32 vcc, 27, v15
	s_waitcnt lgkmcnt(0)
	s_barrier
	s_and_saveexec_b64 s[0:1], vcc
	s_cbranch_execz .LBB126_699
; %bb.697:
	scratch_load_dwordx4 v[16:19], off, off offset:432
	s_mov_b32 s12, 0
	s_waitcnt vmcnt(0)
	v_mul_f64 v[4:5], v[2:3], v[18:19]
	v_mul_f64 v[6:7], v[0:1], v[18:19]
	v_fma_f64 v[4:5], v[0:1], v[16:17], -v[4:5]
	v_fmac_f64_e32 v[6:7], v[2:3], v[16:17]
	v_add_u32_e32 v0, 0x1c0, v12
	scratch_store_dwordx4 off, v[4:7], off offset:432
.LBB126_698:                            ; =>This Inner Loop Header: Depth=1
	v_add_u32_e32 v1, s12, v0
	ds_read2_b64 v[16:19], v1 offset1:1
	ds_read2_b64 v[20:23], v1 offset0:2 offset1:3
	ds_read2_b64 v[24:27], v1 offset0:4 offset1:5
	ds_read2_b64 v[28:31], v1 offset0:6 offset1:7
	ds_read2_b64 v[32:35], v1 offset0:8 offset1:9
	ds_read2_b64 v[36:39], v1 offset0:10 offset1:11
	s_add_i32 s13, s12, 0x1c0
	s_waitcnt lgkmcnt(5)
	v_mul_f64 v[2:3], v[18:19], v[6:7]
	v_mul_f64 v[72:73], v[16:17], v[6:7]
	s_waitcnt lgkmcnt(4)
	v_mul_f64 v[74:75], v[22:23], v[6:7]
	v_mul_f64 v[76:77], v[20:21], v[6:7]
	;; [unrolled: 3-line block ×6, first 2 shown]
	s_add_i32 s14, s12, 0x1d0
	s_add_i32 s15, s12, 0x1e0
	;; [unrolled: 1-line block ×8, first 2 shown]
	scratch_load_dwordx4 v[40:43], off, s13
	scratch_load_dwordx4 v[44:47], off, s14
	scratch_load_dwordx4 v[48:51], off, s15
	scratch_load_dwordx4 v[52:55], off, s5
	scratch_load_dwordx4 v[56:59], off, s16
	scratch_load_dwordx4 v[60:63], off, s68
	scratch_load_dwordx4 v[64:67], off, s69
	scratch_load_dwordx4 v[68:71], off, s70
	v_fma_f64 v[2:3], v[16:17], v[4:5], -v[2:3]
	v_fmac_f64_e32 v[72:73], v[18:19], v[4:5]
	v_fma_f64 v[74:75], v[20:21], v[4:5], -v[74:75]
	v_fmac_f64_e32 v[76:77], v[22:23], v[4:5]
	;; [unrolled: 2-line block ×6, first 2 shown]
	scratch_load_dwordx4 v[4:7], off, off offset:432
	scratch_load_dwordx4 v[16:19], off, s4
	ds_read2_b64 v[20:23], v1 offset0:12 offset1:13
	ds_read2_b64 v[24:27], v1 offset0:14 offset1:15
	;; [unrolled: 1-line block ×3, first 2 shown]
	s_addk_i32 s12, 0x90
	s_cmpk_lg_i32 s12, 0x240
	s_waitcnt vmcnt(9)
	v_add_f64 v[32:33], v[40:41], -v[2:3]
	v_add_f64 v[34:35], v[42:43], -v[72:73]
	s_waitcnt vmcnt(8)
	v_add_f64 v[36:37], v[44:45], -v[74:75]
	v_add_f64 v[38:39], v[46:47], -v[76:77]
	;; [unrolled: 3-line block ×6, first 2 shown]
	scratch_store_dwordx4 off, v[32:35], s13
	scratch_store_dwordx4 off, v[36:39], s14
	;; [unrolled: 1-line block ×6, first 2 shown]
	s_waitcnt vmcnt(7) lgkmcnt(2)
	v_mul_f64 v[2:3], v[22:23], v[6:7]
	v_mul_f64 v[32:33], v[20:21], v[6:7]
	s_waitcnt lgkmcnt(1)
	v_mul_f64 v[34:35], v[26:27], v[6:7]
	v_mul_f64 v[36:37], v[24:25], v[6:7]
	s_waitcnt lgkmcnt(0)
	v_mul_f64 v[38:39], v[30:31], v[6:7]
	v_mul_f64 v[40:41], v[28:29], v[6:7]
	v_fma_f64 v[2:3], v[20:21], v[4:5], -v[2:3]
	v_fmac_f64_e32 v[32:33], v[22:23], v[4:5]
	v_fma_f64 v[24:25], v[24:25], v[4:5], -v[34:35]
	v_fmac_f64_e32 v[36:37], v[26:27], v[4:5]
	;; [unrolled: 2-line block ×3, first 2 shown]
	v_add_f64 v[20:21], v[64:65], -v[2:3]
	v_add_f64 v[22:23], v[66:67], -v[32:33]
	;; [unrolled: 1-line block ×4, first 2 shown]
	s_waitcnt vmcnt(6)
	v_add_f64 v[16:17], v[16:17], -v[28:29]
	v_add_f64 v[18:19], v[18:19], -v[40:41]
	scratch_store_dwordx4 off, v[20:23], s69
	scratch_store_dwordx4 off, v[24:27], s70
	;; [unrolled: 1-line block ×3, first 2 shown]
	s_cbranch_scc1 .LBB126_698
.LBB126_699:
	s_or_b64 exec, exec, s[0:1]
	s_barrier
	scratch_load_dwordx4 v[0:3], off, s59
	v_lshl_add_u32 v4, v15, 4, v12
	s_cmp_lt_i32 s67, 30
	s_waitcnt vmcnt(0)
	ds_write2_b64 v4, v[0:1], v[2:3] offset1:1
	s_waitcnt lgkmcnt(0)
	s_barrier
	ds_read2_b64 v[0:3], v12 offset0:56 offset1:57
	v_mov_b32_e32 v4, 28
	s_cbranch_scc1 .LBB126_702
; %bb.700:
	v_add_u32_e32 v5, 0x1d0, v12
	s_mov_b32 s4, 29
	v_mov_b32_e32 v4, 28
.LBB126_701:                            ; =>This Inner Loop Header: Depth=1
	ds_read2_b64 v[16:19], v5 offset1:1
	s_waitcnt lgkmcnt(1)
	v_xor_b32_e32 v7, 0x80000000, v1
	v_xor_b32_e32 v21, 0x80000000, v3
	v_cmp_gt_f64_e32 vcc, 0, v[2:3]
	v_cmp_gt_f64_e64 s[0:1], 0, v[0:1]
	v_mov_b32_e32 v6, v0
	v_mov_b32_e32 v20, v2
	v_cndmask_b32_e64 v7, v1, v7, s[0:1]
	v_cndmask_b32_e32 v21, v3, v21, vcc
	v_add_f64 v[6:7], v[6:7], v[20:21]
	s_waitcnt lgkmcnt(0)
	v_xor_b32_e32 v21, 0x80000000, v17
	v_xor_b32_e32 v23, 0x80000000, v19
	v_cmp_gt_f64_e32 vcc, 0, v[18:19]
	v_cmp_gt_f64_e64 s[0:1], 0, v[16:17]
	v_mov_b32_e32 v20, v16
	v_mov_b32_e32 v22, v18
	v_cndmask_b32_e64 v21, v17, v21, s[0:1]
	v_cndmask_b32_e32 v23, v19, v23, vcc
	v_add_f64 v[20:21], v[20:21], v[22:23]
	v_mov_b32_e32 v24, s4
	s_add_i32 s4, s4, 1
	v_cmp_lt_f64_e32 vcc, v[6:7], v[20:21]
	v_add_u32_e32 v5, 16, v5
	s_cmp_lg_u32 s67, s4
	v_cndmask_b32_e32 v1, v1, v17, vcc
	v_cndmask_b32_e32 v0, v0, v16, vcc
	;; [unrolled: 1-line block ×5, first 2 shown]
	s_cbranch_scc1 .LBB126_701
.LBB126_702:
	s_waitcnt lgkmcnt(0)
	v_cmp_eq_f64_e32 vcc, 0, v[0:1]
	v_cmp_eq_f64_e64 s[0:1], 0, v[2:3]
	s_and_b64 s[0:1], vcc, s[0:1]
	s_and_saveexec_b64 s[4:5], s[0:1]
	s_xor_b64 s[0:1], exec, s[4:5]
; %bb.703:
	v_cmp_ne_u32_e32 vcc, 0, v13
	s_nop 1
	v_cndmask_b32_e32 v13, 29, v13, vcc
; %bb.704:
	s_andn2_saveexec_b64 s[0:1], s[0:1]
	s_cbranch_execz .LBB126_710
; %bb.705:
	v_cmp_ngt_f64_e64 s[4:5], |v[0:1]|, |v[2:3]|
	s_and_saveexec_b64 s[12:13], s[4:5]
	s_xor_b64 s[12:13], exec, s[12:13]
	s_cbranch_execz .LBB126_707
; %bb.706:
	v_div_scale_f64 v[6:7], s[4:5], v[2:3], v[2:3], v[0:1]
	v_rcp_f64_e32 v[16:17], v[6:7]
	v_div_scale_f64 v[18:19], vcc, v[0:1], v[2:3], v[0:1]
	v_fma_f64 v[20:21], -v[6:7], v[16:17], 1.0
	v_fmac_f64_e32 v[16:17], v[16:17], v[20:21]
	v_fma_f64 v[20:21], -v[6:7], v[16:17], 1.0
	v_fmac_f64_e32 v[16:17], v[16:17], v[20:21]
	v_mul_f64 v[20:21], v[18:19], v[16:17]
	v_fma_f64 v[6:7], -v[6:7], v[20:21], v[18:19]
	v_div_fmas_f64 v[6:7], v[6:7], v[16:17], v[20:21]
	v_div_fixup_f64 v[6:7], v[6:7], v[2:3], v[0:1]
	v_fmac_f64_e32 v[2:3], v[0:1], v[6:7]
	v_div_scale_f64 v[0:1], s[4:5], v[2:3], v[2:3], 1.0
	v_rcp_f64_e32 v[16:17], v[0:1]
	s_nop 0
	v_fma_f64 v[18:19], -v[0:1], v[16:17], 1.0
	v_fmac_f64_e32 v[16:17], v[16:17], v[18:19]
	v_fma_f64 v[18:19], -v[0:1], v[16:17], 1.0
	v_fmac_f64_e32 v[16:17], v[16:17], v[18:19]
	v_div_scale_f64 v[18:19], vcc, 1.0, v[2:3], 1.0
	v_mul_f64 v[20:21], v[18:19], v[16:17]
	v_fma_f64 v[0:1], -v[0:1], v[20:21], v[18:19]
	s_nop 1
	v_div_fmas_f64 v[0:1], v[0:1], v[16:17], v[20:21]
	v_div_fixup_f64 v[2:3], v[0:1], v[2:3], 1.0
	v_mul_f64 v[0:1], v[6:7], v[2:3]
	v_xor_b32_e32 v3, 0x80000000, v3
.LBB126_707:
	s_andn2_saveexec_b64 s[12:13], s[12:13]
	s_cbranch_execz .LBB126_709
; %bb.708:
	v_div_scale_f64 v[6:7], s[4:5], v[0:1], v[0:1], v[2:3]
	v_rcp_f64_e32 v[16:17], v[6:7]
	v_div_scale_f64 v[18:19], vcc, v[2:3], v[0:1], v[2:3]
	v_fma_f64 v[20:21], -v[6:7], v[16:17], 1.0
	v_fmac_f64_e32 v[16:17], v[16:17], v[20:21]
	v_fma_f64 v[20:21], -v[6:7], v[16:17], 1.0
	v_fmac_f64_e32 v[16:17], v[16:17], v[20:21]
	v_mul_f64 v[20:21], v[18:19], v[16:17]
	v_fma_f64 v[6:7], -v[6:7], v[20:21], v[18:19]
	v_div_fmas_f64 v[6:7], v[6:7], v[16:17], v[20:21]
	v_div_fixup_f64 v[6:7], v[6:7], v[0:1], v[2:3]
	v_fmac_f64_e32 v[0:1], v[2:3], v[6:7]
	v_div_scale_f64 v[2:3], s[4:5], v[0:1], v[0:1], 1.0
	v_rcp_f64_e32 v[16:17], v[2:3]
	s_nop 0
	v_fma_f64 v[18:19], -v[2:3], v[16:17], 1.0
	v_fmac_f64_e32 v[16:17], v[16:17], v[18:19]
	v_fma_f64 v[18:19], -v[2:3], v[16:17], 1.0
	v_fmac_f64_e32 v[16:17], v[16:17], v[18:19]
	v_div_scale_f64 v[18:19], vcc, 1.0, v[0:1], 1.0
	v_mul_f64 v[20:21], v[18:19], v[16:17]
	v_fma_f64 v[2:3], -v[2:3], v[20:21], v[18:19]
	s_nop 1
	v_div_fmas_f64 v[2:3], v[2:3], v[16:17], v[20:21]
	v_div_fixup_f64 v[0:1], v[2:3], v[0:1], 1.0
	v_mul_f64 v[2:3], v[6:7], -v[0:1]
.LBB126_709:
	s_or_b64 exec, exec, s[12:13]
.LBB126_710:
	s_or_b64 exec, exec, s[0:1]
	v_cmp_ne_u32_e32 vcc, v15, v4
	s_and_saveexec_b64 s[0:1], vcc
	s_xor_b64 s[0:1], exec, s[0:1]
	s_cbranch_execz .LBB126_716
; %bb.711:
	v_cmp_eq_u32_e32 vcc, 28, v15
	s_and_saveexec_b64 s[12:13], vcc
	s_cbranch_execz .LBB126_715
; %bb.712:
	v_cmp_ne_u32_e32 vcc, 28, v4
	s_xor_b64 s[4:5], s[8:9], -1
	s_and_b64 s[4:5], s[4:5], vcc
	s_and_saveexec_b64 s[14:15], s[4:5]
	s_cbranch_execz .LBB126_714
; %bb.713:
	v_ashrrev_i32_e32 v5, 31, v4
	v_lshl_add_u64 v[6:7], v[4:5], 2, v[10:11]
	global_load_dword v5, v[6:7], off
	global_load_dword v14, v[10:11], off offset:112
	s_waitcnt vmcnt(1)
	global_store_dword v[10:11], v5, off offset:112
	s_waitcnt vmcnt(1)
	global_store_dword v[6:7], v14, off
.LBB126_714:
	s_or_b64 exec, exec, s[14:15]
	v_mov_b32_e32 v15, v4
	v_mov_b32_e32 v14, v4
.LBB126_715:
	s_or_b64 exec, exec, s[12:13]
.LBB126_716:
	s_andn2_saveexec_b64 s[0:1], s[0:1]
	s_cbranch_execz .LBB126_718
; %bb.717:
	scratch_load_dwordx4 v[4:7], off, s54
	v_mov_b32_e32 v15, 28
	s_waitcnt vmcnt(0)
	ds_write2_b64 v12, v[4:5], v[6:7] offset0:58 offset1:59
	scratch_load_dwordx4 v[4:7], off, s53
	s_waitcnt vmcnt(0)
	ds_write2_b64 v12, v[4:5], v[6:7] offset0:60 offset1:61
	scratch_load_dwordx4 v[4:7], off, s87
	;; [unrolled: 3-line block ×34, first 2 shown]
	s_waitcnt vmcnt(0)
	ds_write2_b64 v12, v[4:5], v[6:7] offset0:126 offset1:127
.LBB126_718:
	s_or_b64 exec, exec, s[0:1]
	v_cmp_lt_i32_e32 vcc, 28, v15
	s_waitcnt lgkmcnt(0)
	s_barrier
	s_and_saveexec_b64 s[0:1], vcc
	s_cbranch_execz .LBB126_721
; %bb.719:
	scratch_load_dwordx4 v[16:19], off, off offset:448
	s_mov_b32 s12, 0
	s_waitcnt vmcnt(0)
	v_mul_f64 v[4:5], v[2:3], v[18:19]
	v_mul_f64 v[6:7], v[0:1], v[18:19]
	v_fma_f64 v[4:5], v[0:1], v[16:17], -v[4:5]
	v_fmac_f64_e32 v[6:7], v[2:3], v[16:17]
	v_add_u32_e32 v0, 0x1d0, v12
	scratch_store_dwordx4 off, v[4:7], off offset:448
.LBB126_720:                            ; =>This Inner Loop Header: Depth=1
	v_add_u32_e32 v1, s12, v0
	ds_read2_b64 v[16:19], v1 offset1:1
	ds_read2_b64 v[20:23], v1 offset0:2 offset1:3
	ds_read2_b64 v[24:27], v1 offset0:4 offset1:5
	;; [unrolled: 1-line block ×5, first 2 shown]
	s_add_i32 s13, s12, 0x1d0
	s_add_i32 s5, s12, 0x1e0
	;; [unrolled: 1-line block ×6, first 2 shown]
	scratch_load_dwordx4 v[40:43], off, s13
	scratch_load_dwordx4 v[44:47], off, s5
	;; [unrolled: 1-line block ×6, first 2 shown]
	s_waitcnt lgkmcnt(5)
	v_mul_f64 v[2:3], v[18:19], v[6:7]
	v_mul_f64 v[64:65], v[16:17], v[6:7]
	s_waitcnt lgkmcnt(4)
	v_mul_f64 v[66:67], v[22:23], v[6:7]
	v_mul_f64 v[68:69], v[20:21], v[6:7]
	;; [unrolled: 3-line block ×6, first 2 shown]
	s_add_i32 s4, s12, 0x230
	v_fma_f64 v[2:3], v[16:17], v[4:5], -v[2:3]
	v_fmac_f64_e32 v[64:65], v[18:19], v[4:5]
	v_fma_f64 v[66:67], v[20:21], v[4:5], -v[66:67]
	v_fmac_f64_e32 v[68:69], v[22:23], v[4:5]
	;; [unrolled: 2-line block ×6, first 2 shown]
	scratch_load_dwordx4 v[4:7], off, off offset:448
	scratch_load_dwordx4 v[16:19], off, s4
	ds_read2_b64 v[20:23], v1 offset0:12 offset1:13
	s_addk_i32 s12, 0x70
	s_cmpk_lg_i32 s12, 0x230
	s_waitcnt vmcnt(7)
	v_add_f64 v[24:25], v[40:41], -v[2:3]
	v_add_f64 v[26:27], v[42:43], -v[64:65]
	s_waitcnt vmcnt(6)
	v_add_f64 v[28:29], v[44:45], -v[66:67]
	v_add_f64 v[30:31], v[46:47], -v[68:69]
	;; [unrolled: 3-line block ×6, first 2 shown]
	scratch_store_dwordx4 off, v[24:27], s13
	scratch_store_dwordx4 off, v[28:31], s5
	;; [unrolled: 1-line block ×6, first 2 shown]
	s_waitcnt vmcnt(7) lgkmcnt(0)
	v_mul_f64 v[2:3], v[22:23], v[6:7]
	v_mul_f64 v[24:25], v[20:21], v[6:7]
	v_fma_f64 v[2:3], v[20:21], v[4:5], -v[2:3]
	v_fmac_f64_e32 v[24:25], v[22:23], v[4:5]
	s_waitcnt vmcnt(6)
	v_add_f64 v[16:17], v[16:17], -v[2:3]
	v_add_f64 v[18:19], v[18:19], -v[24:25]
	scratch_store_dwordx4 off, v[16:19], s4
	s_cbranch_scc1 .LBB126_720
.LBB126_721:
	s_or_b64 exec, exec, s[0:1]
	s_barrier
	scratch_load_dwordx4 v[0:3], off, s54
	v_lshl_add_u32 v4, v15, 4, v12
	v_readlane_b32 s16, v128, 0
	s_cmp_lt_i32 s67, 31
	v_readlane_b32 s17, v128, 1
	s_waitcnt vmcnt(0)
	ds_write2_b64 v4, v[0:1], v[2:3] offset1:1
	s_waitcnt lgkmcnt(0)
	s_barrier
	ds_read2_b64 v[0:3], v12 offset0:58 offset1:59
	v_mov_b32_e32 v4, 29
	s_cbranch_scc1 .LBB126_724
; %bb.722:
	v_add_u32_e32 v5, 0x1e0, v12
	s_mov_b32 s4, 30
	v_mov_b32_e32 v4, 29
.LBB126_723:                            ; =>This Inner Loop Header: Depth=1
	ds_read2_b64 v[16:19], v5 offset1:1
	s_waitcnt lgkmcnt(1)
	v_xor_b32_e32 v7, 0x80000000, v1
	v_xor_b32_e32 v21, 0x80000000, v3
	v_cmp_gt_f64_e32 vcc, 0, v[2:3]
	v_cmp_gt_f64_e64 s[0:1], 0, v[0:1]
	v_mov_b32_e32 v6, v0
	v_mov_b32_e32 v20, v2
	v_cndmask_b32_e64 v7, v1, v7, s[0:1]
	v_cndmask_b32_e32 v21, v3, v21, vcc
	v_add_f64 v[6:7], v[6:7], v[20:21]
	s_waitcnt lgkmcnt(0)
	v_xor_b32_e32 v21, 0x80000000, v17
	v_xor_b32_e32 v23, 0x80000000, v19
	v_cmp_gt_f64_e32 vcc, 0, v[18:19]
	v_cmp_gt_f64_e64 s[0:1], 0, v[16:17]
	v_mov_b32_e32 v20, v16
	v_mov_b32_e32 v22, v18
	v_cndmask_b32_e64 v21, v17, v21, s[0:1]
	v_cndmask_b32_e32 v23, v19, v23, vcc
	v_add_f64 v[20:21], v[20:21], v[22:23]
	v_mov_b32_e32 v24, s4
	s_add_i32 s4, s4, 1
	v_cmp_lt_f64_e32 vcc, v[6:7], v[20:21]
	v_add_u32_e32 v5, 16, v5
	s_cmp_lg_u32 s67, s4
	v_cndmask_b32_e32 v1, v1, v17, vcc
	v_cndmask_b32_e32 v0, v0, v16, vcc
	;; [unrolled: 1-line block ×5, first 2 shown]
	s_cbranch_scc1 .LBB126_723
.LBB126_724:
	s_waitcnt lgkmcnt(0)
	v_cmp_eq_f64_e32 vcc, 0, v[0:1]
	v_cmp_eq_f64_e64 s[0:1], 0, v[2:3]
	s_and_b64 s[0:1], vcc, s[0:1]
	s_and_saveexec_b64 s[4:5], s[0:1]
	s_xor_b64 s[0:1], exec, s[4:5]
; %bb.725:
	v_cmp_ne_u32_e32 vcc, 0, v13
	s_nop 1
	v_cndmask_b32_e32 v13, 30, v13, vcc
; %bb.726:
	s_andn2_saveexec_b64 s[0:1], s[0:1]
	s_cbranch_execz .LBB126_732
; %bb.727:
	v_cmp_ngt_f64_e64 s[4:5], |v[0:1]|, |v[2:3]|
	s_and_saveexec_b64 s[12:13], s[4:5]
	s_xor_b64 s[12:13], exec, s[12:13]
	s_cbranch_execz .LBB126_729
; %bb.728:
	v_div_scale_f64 v[6:7], s[4:5], v[2:3], v[2:3], v[0:1]
	v_rcp_f64_e32 v[16:17], v[6:7]
	v_div_scale_f64 v[18:19], vcc, v[0:1], v[2:3], v[0:1]
	v_fma_f64 v[20:21], -v[6:7], v[16:17], 1.0
	v_fmac_f64_e32 v[16:17], v[16:17], v[20:21]
	v_fma_f64 v[20:21], -v[6:7], v[16:17], 1.0
	v_fmac_f64_e32 v[16:17], v[16:17], v[20:21]
	v_mul_f64 v[20:21], v[18:19], v[16:17]
	v_fma_f64 v[6:7], -v[6:7], v[20:21], v[18:19]
	v_div_fmas_f64 v[6:7], v[6:7], v[16:17], v[20:21]
	v_div_fixup_f64 v[6:7], v[6:7], v[2:3], v[0:1]
	v_fmac_f64_e32 v[2:3], v[0:1], v[6:7]
	v_div_scale_f64 v[0:1], s[4:5], v[2:3], v[2:3], 1.0
	v_rcp_f64_e32 v[16:17], v[0:1]
	s_nop 0
	v_fma_f64 v[18:19], -v[0:1], v[16:17], 1.0
	v_fmac_f64_e32 v[16:17], v[16:17], v[18:19]
	v_fma_f64 v[18:19], -v[0:1], v[16:17], 1.0
	v_fmac_f64_e32 v[16:17], v[16:17], v[18:19]
	v_div_scale_f64 v[18:19], vcc, 1.0, v[2:3], 1.0
	v_mul_f64 v[20:21], v[18:19], v[16:17]
	v_fma_f64 v[0:1], -v[0:1], v[20:21], v[18:19]
	s_nop 1
	v_div_fmas_f64 v[0:1], v[0:1], v[16:17], v[20:21]
	v_div_fixup_f64 v[2:3], v[0:1], v[2:3], 1.0
	v_mul_f64 v[0:1], v[6:7], v[2:3]
	v_xor_b32_e32 v3, 0x80000000, v3
.LBB126_729:
	s_andn2_saveexec_b64 s[12:13], s[12:13]
	s_cbranch_execz .LBB126_731
; %bb.730:
	v_div_scale_f64 v[6:7], s[4:5], v[0:1], v[0:1], v[2:3]
	v_rcp_f64_e32 v[16:17], v[6:7]
	v_div_scale_f64 v[18:19], vcc, v[2:3], v[0:1], v[2:3]
	v_fma_f64 v[20:21], -v[6:7], v[16:17], 1.0
	v_fmac_f64_e32 v[16:17], v[16:17], v[20:21]
	v_fma_f64 v[20:21], -v[6:7], v[16:17], 1.0
	v_fmac_f64_e32 v[16:17], v[16:17], v[20:21]
	v_mul_f64 v[20:21], v[18:19], v[16:17]
	v_fma_f64 v[6:7], -v[6:7], v[20:21], v[18:19]
	v_div_fmas_f64 v[6:7], v[6:7], v[16:17], v[20:21]
	v_div_fixup_f64 v[6:7], v[6:7], v[0:1], v[2:3]
	v_fmac_f64_e32 v[0:1], v[2:3], v[6:7]
	v_div_scale_f64 v[2:3], s[4:5], v[0:1], v[0:1], 1.0
	v_rcp_f64_e32 v[16:17], v[2:3]
	s_nop 0
	v_fma_f64 v[18:19], -v[2:3], v[16:17], 1.0
	v_fmac_f64_e32 v[16:17], v[16:17], v[18:19]
	v_fma_f64 v[18:19], -v[2:3], v[16:17], 1.0
	v_fmac_f64_e32 v[16:17], v[16:17], v[18:19]
	v_div_scale_f64 v[18:19], vcc, 1.0, v[0:1], 1.0
	v_mul_f64 v[20:21], v[18:19], v[16:17]
	v_fma_f64 v[2:3], -v[2:3], v[20:21], v[18:19]
	s_nop 1
	v_div_fmas_f64 v[2:3], v[2:3], v[16:17], v[20:21]
	v_div_fixup_f64 v[0:1], v[2:3], v[0:1], 1.0
	v_mul_f64 v[2:3], v[6:7], -v[0:1]
.LBB126_731:
	s_or_b64 exec, exec, s[12:13]
.LBB126_732:
	s_or_b64 exec, exec, s[0:1]
	v_cmp_ne_u32_e32 vcc, v15, v4
	s_and_saveexec_b64 s[0:1], vcc
	s_xor_b64 s[0:1], exec, s[0:1]
	s_cbranch_execz .LBB126_738
; %bb.733:
	v_cmp_eq_u32_e32 vcc, 29, v15
	s_and_saveexec_b64 s[12:13], vcc
	s_cbranch_execz .LBB126_737
; %bb.734:
	v_cmp_ne_u32_e32 vcc, 29, v4
	s_xor_b64 s[4:5], s[8:9], -1
	s_and_b64 s[4:5], s[4:5], vcc
	s_and_saveexec_b64 s[14:15], s[4:5]
	s_cbranch_execz .LBB126_736
; %bb.735:
	v_ashrrev_i32_e32 v5, 31, v4
	v_lshl_add_u64 v[6:7], v[4:5], 2, v[10:11]
	global_load_dword v5, v[6:7], off
	global_load_dword v14, v[10:11], off offset:116
	s_waitcnt vmcnt(1)
	global_store_dword v[10:11], v5, off offset:116
	s_waitcnt vmcnt(1)
	global_store_dword v[6:7], v14, off
.LBB126_736:
	s_or_b64 exec, exec, s[14:15]
	v_mov_b32_e32 v15, v4
	v_mov_b32_e32 v14, v4
.LBB126_737:
	s_or_b64 exec, exec, s[12:13]
.LBB126_738:
	s_andn2_saveexec_b64 s[0:1], s[0:1]
	s_cbranch_execz .LBB126_740
; %bb.739:
	scratch_load_dwordx4 v[4:7], off, s53
	v_mov_b32_e32 v15, 29
	s_waitcnt vmcnt(0)
	ds_write2_b64 v12, v[4:5], v[6:7] offset0:60 offset1:61
	scratch_load_dwordx4 v[4:7], off, s87
	s_waitcnt vmcnt(0)
	ds_write2_b64 v12, v[4:5], v[6:7] offset0:62 offset1:63
	scratch_load_dwordx4 v[4:7], off, s52
	;; [unrolled: 3-line block ×33, first 2 shown]
	s_waitcnt vmcnt(0)
	ds_write2_b64 v12, v[4:5], v[6:7] offset0:126 offset1:127
.LBB126_740:
	s_or_b64 exec, exec, s[0:1]
	v_cmp_lt_i32_e32 vcc, 29, v15
	s_waitcnt lgkmcnt(0)
	s_barrier
	s_and_saveexec_b64 s[0:1], vcc
	s_cbranch_execz .LBB126_743
; %bb.741:
	scratch_load_dwordx4 v[16:19], off, off offset:464
	s_mov_b32 s4, 0
	s_waitcnt vmcnt(0)
	v_mul_f64 v[4:5], v[2:3], v[18:19]
	v_mul_f64 v[6:7], v[0:1], v[18:19]
	v_fma_f64 v[4:5], v[0:1], v[16:17], -v[4:5]
	v_fmac_f64_e32 v[6:7], v[2:3], v[16:17]
	v_add_u32_e32 v0, 0x1e0, v12
	scratch_store_dwordx4 off, v[4:7], off offset:464
.LBB126_742:                            ; =>This Inner Loop Header: Depth=1
	s_add_i32 s12, s4, 0x1e0
	s_add_i32 s5, s4, 0x1f0
	scratch_load_dwordx4 v[16:19], off, s12
	scratch_load_dwordx4 v[20:23], off, s5
	v_add_u32_e32 v1, s4, v0
	ds_read2_b64 v[24:27], v1 offset1:1
	ds_read2_b64 v[28:31], v1 offset0:2 offset1:3
	s_add_i32 s4, s4, 32
	s_cmpk_lg_i32 s4, 0x220
	s_waitcnt lgkmcnt(1)
	v_mul_f64 v[2:3], v[26:27], v[6:7]
	v_mul_f64 v[32:33], v[24:25], v[6:7]
	s_waitcnt lgkmcnt(0)
	v_mul_f64 v[34:35], v[30:31], v[6:7]
	v_mul_f64 v[36:37], v[28:29], v[6:7]
	v_fma_f64 v[2:3], v[24:25], v[4:5], -v[2:3]
	v_fmac_f64_e32 v[32:33], v[26:27], v[4:5]
	v_fma_f64 v[24:25], v[28:29], v[4:5], -v[34:35]
	v_fmac_f64_e32 v[36:37], v[30:31], v[4:5]
	s_waitcnt vmcnt(1)
	v_add_f64 v[16:17], v[16:17], -v[2:3]
	v_add_f64 v[18:19], v[18:19], -v[32:33]
	s_waitcnt vmcnt(0)
	v_add_f64 v[20:21], v[20:21], -v[24:25]
	v_add_f64 v[22:23], v[22:23], -v[36:37]
	scratch_store_dwordx4 off, v[16:19], s12
	scratch_store_dwordx4 off, v[20:23], s5
	s_cbranch_scc1 .LBB126_742
.LBB126_743:
	s_or_b64 exec, exec, s[0:1]
	s_barrier
	scratch_load_dwordx4 v[0:3], off, s53
	v_lshl_add_u32 v4, v15, 4, v12
	s_cmp_lt_i32 s67, 32
	s_waitcnt vmcnt(0)
	ds_write2_b64 v4, v[0:1], v[2:3] offset1:1
	s_waitcnt lgkmcnt(0)
	s_barrier
	ds_read2_b64 v[0:3], v12 offset0:60 offset1:61
	v_mov_b32_e32 v4, 30
	s_cbranch_scc1 .LBB126_746
; %bb.744:
	v_add_u32_e32 v5, 0x1f0, v12
	s_mov_b32 s4, 31
	v_mov_b32_e32 v4, 30
.LBB126_745:                            ; =>This Inner Loop Header: Depth=1
	ds_read2_b64 v[16:19], v5 offset1:1
	s_waitcnt lgkmcnt(1)
	v_xor_b32_e32 v7, 0x80000000, v1
	v_xor_b32_e32 v21, 0x80000000, v3
	v_cmp_gt_f64_e32 vcc, 0, v[2:3]
	v_cmp_gt_f64_e64 s[0:1], 0, v[0:1]
	v_mov_b32_e32 v6, v0
	v_mov_b32_e32 v20, v2
	v_cndmask_b32_e64 v7, v1, v7, s[0:1]
	v_cndmask_b32_e32 v21, v3, v21, vcc
	v_add_f64 v[6:7], v[6:7], v[20:21]
	s_waitcnt lgkmcnt(0)
	v_xor_b32_e32 v21, 0x80000000, v17
	v_xor_b32_e32 v23, 0x80000000, v19
	v_cmp_gt_f64_e32 vcc, 0, v[18:19]
	v_cmp_gt_f64_e64 s[0:1], 0, v[16:17]
	v_mov_b32_e32 v20, v16
	v_mov_b32_e32 v22, v18
	v_cndmask_b32_e64 v21, v17, v21, s[0:1]
	v_cndmask_b32_e32 v23, v19, v23, vcc
	v_add_f64 v[20:21], v[20:21], v[22:23]
	v_mov_b32_e32 v24, s4
	s_add_i32 s4, s4, 1
	v_cmp_lt_f64_e32 vcc, v[6:7], v[20:21]
	v_add_u32_e32 v5, 16, v5
	s_cmp_lg_u32 s67, s4
	v_cndmask_b32_e32 v1, v1, v17, vcc
	v_cndmask_b32_e32 v0, v0, v16, vcc
	;; [unrolled: 1-line block ×5, first 2 shown]
	s_cbranch_scc1 .LBB126_745
.LBB126_746:
	s_waitcnt lgkmcnt(0)
	v_cmp_eq_f64_e32 vcc, 0, v[0:1]
	v_cmp_eq_f64_e64 s[0:1], 0, v[2:3]
	s_and_b64 s[0:1], vcc, s[0:1]
	s_and_saveexec_b64 s[4:5], s[0:1]
	s_xor_b64 s[0:1], exec, s[4:5]
; %bb.747:
	v_cmp_ne_u32_e32 vcc, 0, v13
	s_nop 1
	v_cndmask_b32_e32 v13, 31, v13, vcc
; %bb.748:
	s_andn2_saveexec_b64 s[0:1], s[0:1]
	s_cbranch_execz .LBB126_754
; %bb.749:
	v_cmp_ngt_f64_e64 s[4:5], |v[0:1]|, |v[2:3]|
	s_and_saveexec_b64 s[12:13], s[4:5]
	s_xor_b64 s[12:13], exec, s[12:13]
	s_cbranch_execz .LBB126_751
; %bb.750:
	v_div_scale_f64 v[6:7], s[4:5], v[2:3], v[2:3], v[0:1]
	v_rcp_f64_e32 v[16:17], v[6:7]
	v_div_scale_f64 v[18:19], vcc, v[0:1], v[2:3], v[0:1]
	v_fma_f64 v[20:21], -v[6:7], v[16:17], 1.0
	v_fmac_f64_e32 v[16:17], v[16:17], v[20:21]
	v_fma_f64 v[20:21], -v[6:7], v[16:17], 1.0
	v_fmac_f64_e32 v[16:17], v[16:17], v[20:21]
	v_mul_f64 v[20:21], v[18:19], v[16:17]
	v_fma_f64 v[6:7], -v[6:7], v[20:21], v[18:19]
	v_div_fmas_f64 v[6:7], v[6:7], v[16:17], v[20:21]
	v_div_fixup_f64 v[6:7], v[6:7], v[2:3], v[0:1]
	v_fmac_f64_e32 v[2:3], v[0:1], v[6:7]
	v_div_scale_f64 v[0:1], s[4:5], v[2:3], v[2:3], 1.0
	v_rcp_f64_e32 v[16:17], v[0:1]
	s_nop 0
	v_fma_f64 v[18:19], -v[0:1], v[16:17], 1.0
	v_fmac_f64_e32 v[16:17], v[16:17], v[18:19]
	v_fma_f64 v[18:19], -v[0:1], v[16:17], 1.0
	v_fmac_f64_e32 v[16:17], v[16:17], v[18:19]
	v_div_scale_f64 v[18:19], vcc, 1.0, v[2:3], 1.0
	v_mul_f64 v[20:21], v[18:19], v[16:17]
	v_fma_f64 v[0:1], -v[0:1], v[20:21], v[18:19]
	s_nop 1
	v_div_fmas_f64 v[0:1], v[0:1], v[16:17], v[20:21]
	v_div_fixup_f64 v[2:3], v[0:1], v[2:3], 1.0
	v_mul_f64 v[0:1], v[6:7], v[2:3]
	v_xor_b32_e32 v3, 0x80000000, v3
.LBB126_751:
	s_andn2_saveexec_b64 s[12:13], s[12:13]
	s_cbranch_execz .LBB126_753
; %bb.752:
	v_div_scale_f64 v[6:7], s[4:5], v[0:1], v[0:1], v[2:3]
	v_rcp_f64_e32 v[16:17], v[6:7]
	v_div_scale_f64 v[18:19], vcc, v[2:3], v[0:1], v[2:3]
	v_fma_f64 v[20:21], -v[6:7], v[16:17], 1.0
	v_fmac_f64_e32 v[16:17], v[16:17], v[20:21]
	v_fma_f64 v[20:21], -v[6:7], v[16:17], 1.0
	v_fmac_f64_e32 v[16:17], v[16:17], v[20:21]
	v_mul_f64 v[20:21], v[18:19], v[16:17]
	v_fma_f64 v[6:7], -v[6:7], v[20:21], v[18:19]
	v_div_fmas_f64 v[6:7], v[6:7], v[16:17], v[20:21]
	v_div_fixup_f64 v[6:7], v[6:7], v[0:1], v[2:3]
	v_fmac_f64_e32 v[0:1], v[2:3], v[6:7]
	v_div_scale_f64 v[2:3], s[4:5], v[0:1], v[0:1], 1.0
	v_rcp_f64_e32 v[16:17], v[2:3]
	s_nop 0
	v_fma_f64 v[18:19], -v[2:3], v[16:17], 1.0
	v_fmac_f64_e32 v[16:17], v[16:17], v[18:19]
	v_fma_f64 v[18:19], -v[2:3], v[16:17], 1.0
	v_fmac_f64_e32 v[16:17], v[16:17], v[18:19]
	v_div_scale_f64 v[18:19], vcc, 1.0, v[0:1], 1.0
	v_mul_f64 v[20:21], v[18:19], v[16:17]
	v_fma_f64 v[2:3], -v[2:3], v[20:21], v[18:19]
	s_nop 1
	v_div_fmas_f64 v[2:3], v[2:3], v[16:17], v[20:21]
	v_div_fixup_f64 v[0:1], v[2:3], v[0:1], 1.0
	v_mul_f64 v[2:3], v[6:7], -v[0:1]
.LBB126_753:
	s_or_b64 exec, exec, s[12:13]
.LBB126_754:
	s_or_b64 exec, exec, s[0:1]
	v_cmp_ne_u32_e32 vcc, v15, v4
	s_and_saveexec_b64 s[0:1], vcc
	s_xor_b64 s[0:1], exec, s[0:1]
	s_cbranch_execz .LBB126_760
; %bb.755:
	v_cmp_eq_u32_e32 vcc, 30, v15
	s_and_saveexec_b64 s[12:13], vcc
	s_cbranch_execz .LBB126_759
; %bb.756:
	v_cmp_ne_u32_e32 vcc, 30, v4
	s_xor_b64 s[4:5], s[8:9], -1
	s_and_b64 s[4:5], s[4:5], vcc
	s_and_saveexec_b64 s[14:15], s[4:5]
	s_cbranch_execz .LBB126_758
; %bb.757:
	v_ashrrev_i32_e32 v5, 31, v4
	v_lshl_add_u64 v[6:7], v[4:5], 2, v[10:11]
	global_load_dword v5, v[6:7], off
	global_load_dword v14, v[10:11], off offset:120
	s_waitcnt vmcnt(1)
	global_store_dword v[10:11], v5, off offset:120
	s_waitcnt vmcnt(1)
	global_store_dword v[6:7], v14, off
.LBB126_758:
	s_or_b64 exec, exec, s[14:15]
	v_mov_b32_e32 v15, v4
	v_mov_b32_e32 v14, v4
.LBB126_759:
	s_or_b64 exec, exec, s[12:13]
.LBB126_760:
	s_andn2_saveexec_b64 s[0:1], s[0:1]
	s_cbranch_execz .LBB126_762
; %bb.761:
	scratch_load_dwordx4 v[4:7], off, s87
	v_mov_b32_e32 v15, 30
	s_waitcnt vmcnt(0)
	ds_write2_b64 v12, v[4:5], v[6:7] offset0:62 offset1:63
	scratch_load_dwordx4 v[4:7], off, s52
	s_waitcnt vmcnt(0)
	ds_write2_b64 v12, v[4:5], v[6:7] offset0:64 offset1:65
	scratch_load_dwordx4 v[4:7], off, s50
	;; [unrolled: 3-line block ×32, first 2 shown]
	s_waitcnt vmcnt(0)
	ds_write2_b64 v12, v[4:5], v[6:7] offset0:126 offset1:127
.LBB126_762:
	s_or_b64 exec, exec, s[0:1]
	v_cmp_lt_i32_e32 vcc, 30, v15
	s_waitcnt lgkmcnt(0)
	s_barrier
	s_and_saveexec_b64 s[0:1], vcc
	s_cbranch_execz .LBB126_765
; %bb.763:
	scratch_load_dwordx4 v[16:19], off, off offset:480
	s_mov_b32 s4, 0
	s_waitcnt vmcnt(0)
	v_mul_f64 v[4:5], v[2:3], v[18:19]
	v_mul_f64 v[6:7], v[0:1], v[18:19]
	v_fma_f64 v[4:5], v[0:1], v[16:17], -v[4:5]
	v_fmac_f64_e32 v[6:7], v[2:3], v[16:17]
	v_add_u32_e32 v0, 0x1f0, v12
	scratch_store_dwordx4 off, v[4:7], off offset:480
.LBB126_764:                            ; =>This Inner Loop Header: Depth=1
	s_add_i32 s12, s4, 0x1f0
	s_add_i32 s13, s4, 0x200
	;; [unrolled: 1-line block ×3, first 2 shown]
	scratch_load_dwordx4 v[16:19], off, s12
	scratch_load_dwordx4 v[20:23], off, s13
	;; [unrolled: 1-line block ×3, first 2 shown]
	v_add_u32_e32 v1, s4, v0
	ds_read2_b64 v[28:31], v1 offset1:1
	ds_read2_b64 v[32:35], v1 offset0:2 offset1:3
	ds_read2_b64 v[36:39], v1 offset0:4 offset1:5
	s_add_i32 s4, s4, 48
	s_cmpk_lg_i32 s4, 0x210
	s_waitcnt lgkmcnt(2)
	v_mul_f64 v[2:3], v[30:31], v[6:7]
	v_mul_f64 v[40:41], v[28:29], v[6:7]
	s_waitcnt lgkmcnt(1)
	v_mul_f64 v[42:43], v[34:35], v[6:7]
	v_mul_f64 v[44:45], v[32:33], v[6:7]
	;; [unrolled: 3-line block ×3, first 2 shown]
	v_fma_f64 v[2:3], v[28:29], v[4:5], -v[2:3]
	v_fmac_f64_e32 v[40:41], v[30:31], v[4:5]
	v_fma_f64 v[28:29], v[32:33], v[4:5], -v[42:43]
	v_fmac_f64_e32 v[44:45], v[34:35], v[4:5]
	;; [unrolled: 2-line block ×3, first 2 shown]
	s_waitcnt vmcnt(2)
	v_add_f64 v[16:17], v[16:17], -v[2:3]
	v_add_f64 v[18:19], v[18:19], -v[40:41]
	s_waitcnt vmcnt(1)
	v_add_f64 v[20:21], v[20:21], -v[28:29]
	v_add_f64 v[22:23], v[22:23], -v[44:45]
	;; [unrolled: 3-line block ×3, first 2 shown]
	scratch_store_dwordx4 off, v[16:19], s12
	scratch_store_dwordx4 off, v[20:23], s13
	;; [unrolled: 1-line block ×3, first 2 shown]
	s_cbranch_scc1 .LBB126_764
.LBB126_765:
	s_or_b64 exec, exec, s[0:1]
	s_barrier
	scratch_load_dwordx4 v[0:3], off, s87
	v_lshl_add_u32 v4, v15, 4, v12
	s_cmp_lt_i32 s67, 33
	s_waitcnt vmcnt(0)
	ds_write2_b64 v4, v[0:1], v[2:3] offset1:1
	s_waitcnt lgkmcnt(0)
	s_barrier
	ds_read2_b64 v[0:3], v12 offset0:62 offset1:63
	v_mov_b32_e32 v4, 31
	s_cbranch_scc1 .LBB126_768
; %bb.766:
	v_add_u32_e32 v5, 0x200, v12
	s_mov_b32 s4, 32
	v_mov_b32_e32 v4, 31
.LBB126_767:                            ; =>This Inner Loop Header: Depth=1
	ds_read2_b64 v[16:19], v5 offset1:1
	s_waitcnt lgkmcnt(1)
	v_xor_b32_e32 v7, 0x80000000, v1
	v_xor_b32_e32 v21, 0x80000000, v3
	v_cmp_gt_f64_e32 vcc, 0, v[2:3]
	v_cmp_gt_f64_e64 s[0:1], 0, v[0:1]
	v_mov_b32_e32 v6, v0
	v_mov_b32_e32 v20, v2
	v_cndmask_b32_e64 v7, v1, v7, s[0:1]
	v_cndmask_b32_e32 v21, v3, v21, vcc
	v_add_f64 v[6:7], v[6:7], v[20:21]
	s_waitcnt lgkmcnt(0)
	v_xor_b32_e32 v21, 0x80000000, v17
	v_xor_b32_e32 v23, 0x80000000, v19
	v_cmp_gt_f64_e32 vcc, 0, v[18:19]
	v_cmp_gt_f64_e64 s[0:1], 0, v[16:17]
	v_mov_b32_e32 v20, v16
	v_mov_b32_e32 v22, v18
	v_cndmask_b32_e64 v21, v17, v21, s[0:1]
	v_cndmask_b32_e32 v23, v19, v23, vcc
	v_add_f64 v[20:21], v[20:21], v[22:23]
	v_mov_b32_e32 v24, s4
	s_add_i32 s4, s4, 1
	v_cmp_lt_f64_e32 vcc, v[6:7], v[20:21]
	v_add_u32_e32 v5, 16, v5
	s_cmp_lg_u32 s67, s4
	v_cndmask_b32_e32 v1, v1, v17, vcc
	v_cndmask_b32_e32 v0, v0, v16, vcc
	;; [unrolled: 1-line block ×5, first 2 shown]
	s_cbranch_scc1 .LBB126_767
.LBB126_768:
	s_waitcnt lgkmcnt(0)
	v_cmp_eq_f64_e32 vcc, 0, v[0:1]
	v_cmp_eq_f64_e64 s[0:1], 0, v[2:3]
	s_and_b64 s[0:1], vcc, s[0:1]
	s_and_saveexec_b64 s[4:5], s[0:1]
	s_xor_b64 s[0:1], exec, s[4:5]
; %bb.769:
	v_cmp_ne_u32_e32 vcc, 0, v13
	s_nop 1
	v_cndmask_b32_e32 v13, 32, v13, vcc
; %bb.770:
	s_andn2_saveexec_b64 s[0:1], s[0:1]
	s_cbranch_execz .LBB126_776
; %bb.771:
	v_cmp_ngt_f64_e64 s[4:5], |v[0:1]|, |v[2:3]|
	s_and_saveexec_b64 s[12:13], s[4:5]
	s_xor_b64 s[12:13], exec, s[12:13]
	s_cbranch_execz .LBB126_773
; %bb.772:
	v_div_scale_f64 v[6:7], s[4:5], v[2:3], v[2:3], v[0:1]
	v_rcp_f64_e32 v[16:17], v[6:7]
	v_div_scale_f64 v[18:19], vcc, v[0:1], v[2:3], v[0:1]
	v_fma_f64 v[20:21], -v[6:7], v[16:17], 1.0
	v_fmac_f64_e32 v[16:17], v[16:17], v[20:21]
	v_fma_f64 v[20:21], -v[6:7], v[16:17], 1.0
	v_fmac_f64_e32 v[16:17], v[16:17], v[20:21]
	v_mul_f64 v[20:21], v[18:19], v[16:17]
	v_fma_f64 v[6:7], -v[6:7], v[20:21], v[18:19]
	v_div_fmas_f64 v[6:7], v[6:7], v[16:17], v[20:21]
	v_div_fixup_f64 v[6:7], v[6:7], v[2:3], v[0:1]
	v_fmac_f64_e32 v[2:3], v[0:1], v[6:7]
	v_div_scale_f64 v[0:1], s[4:5], v[2:3], v[2:3], 1.0
	v_rcp_f64_e32 v[16:17], v[0:1]
	s_nop 0
	v_fma_f64 v[18:19], -v[0:1], v[16:17], 1.0
	v_fmac_f64_e32 v[16:17], v[16:17], v[18:19]
	v_fma_f64 v[18:19], -v[0:1], v[16:17], 1.0
	v_fmac_f64_e32 v[16:17], v[16:17], v[18:19]
	v_div_scale_f64 v[18:19], vcc, 1.0, v[2:3], 1.0
	v_mul_f64 v[20:21], v[18:19], v[16:17]
	v_fma_f64 v[0:1], -v[0:1], v[20:21], v[18:19]
	s_nop 1
	v_div_fmas_f64 v[0:1], v[0:1], v[16:17], v[20:21]
	v_div_fixup_f64 v[2:3], v[0:1], v[2:3], 1.0
	v_mul_f64 v[0:1], v[6:7], v[2:3]
	v_xor_b32_e32 v3, 0x80000000, v3
.LBB126_773:
	s_andn2_saveexec_b64 s[12:13], s[12:13]
	s_cbranch_execz .LBB126_775
; %bb.774:
	v_div_scale_f64 v[6:7], s[4:5], v[0:1], v[0:1], v[2:3]
	v_rcp_f64_e32 v[16:17], v[6:7]
	v_div_scale_f64 v[18:19], vcc, v[2:3], v[0:1], v[2:3]
	v_fma_f64 v[20:21], -v[6:7], v[16:17], 1.0
	v_fmac_f64_e32 v[16:17], v[16:17], v[20:21]
	v_fma_f64 v[20:21], -v[6:7], v[16:17], 1.0
	v_fmac_f64_e32 v[16:17], v[16:17], v[20:21]
	v_mul_f64 v[20:21], v[18:19], v[16:17]
	v_fma_f64 v[6:7], -v[6:7], v[20:21], v[18:19]
	v_div_fmas_f64 v[6:7], v[6:7], v[16:17], v[20:21]
	v_div_fixup_f64 v[6:7], v[6:7], v[0:1], v[2:3]
	v_fmac_f64_e32 v[0:1], v[2:3], v[6:7]
	v_div_scale_f64 v[2:3], s[4:5], v[0:1], v[0:1], 1.0
	v_rcp_f64_e32 v[16:17], v[2:3]
	s_nop 0
	v_fma_f64 v[18:19], -v[2:3], v[16:17], 1.0
	v_fmac_f64_e32 v[16:17], v[16:17], v[18:19]
	v_fma_f64 v[18:19], -v[2:3], v[16:17], 1.0
	v_fmac_f64_e32 v[16:17], v[16:17], v[18:19]
	v_div_scale_f64 v[18:19], vcc, 1.0, v[0:1], 1.0
	v_mul_f64 v[20:21], v[18:19], v[16:17]
	v_fma_f64 v[2:3], -v[2:3], v[20:21], v[18:19]
	s_nop 1
	v_div_fmas_f64 v[2:3], v[2:3], v[16:17], v[20:21]
	v_div_fixup_f64 v[0:1], v[2:3], v[0:1], 1.0
	v_mul_f64 v[2:3], v[6:7], -v[0:1]
.LBB126_775:
	s_or_b64 exec, exec, s[12:13]
.LBB126_776:
	s_or_b64 exec, exec, s[0:1]
	v_cmp_ne_u32_e32 vcc, v15, v4
	s_and_saveexec_b64 s[0:1], vcc
	s_xor_b64 s[0:1], exec, s[0:1]
	s_cbranch_execz .LBB126_782
; %bb.777:
	v_cmp_eq_u32_e32 vcc, 31, v15
	s_and_saveexec_b64 s[12:13], vcc
	s_cbranch_execz .LBB126_781
; %bb.778:
	v_cmp_ne_u32_e32 vcc, 31, v4
	s_xor_b64 s[4:5], s[8:9], -1
	s_and_b64 s[4:5], s[4:5], vcc
	s_and_saveexec_b64 s[14:15], s[4:5]
	s_cbranch_execz .LBB126_780
; %bb.779:
	v_ashrrev_i32_e32 v5, 31, v4
	v_lshl_add_u64 v[6:7], v[4:5], 2, v[10:11]
	global_load_dword v5, v[6:7], off
	global_load_dword v14, v[10:11], off offset:124
	s_waitcnt vmcnt(1)
	global_store_dword v[10:11], v5, off offset:124
	s_waitcnt vmcnt(1)
	global_store_dword v[6:7], v14, off
.LBB126_780:
	s_or_b64 exec, exec, s[14:15]
	v_mov_b32_e32 v15, v4
	v_mov_b32_e32 v14, v4
.LBB126_781:
	s_or_b64 exec, exec, s[12:13]
.LBB126_782:
	s_andn2_saveexec_b64 s[0:1], s[0:1]
	s_cbranch_execz .LBB126_784
; %bb.783:
	scratch_load_dwordx4 v[4:7], off, s52
	v_mov_b32_e32 v15, 31
	s_waitcnt vmcnt(0)
	ds_write2_b64 v12, v[4:5], v[6:7] offset0:64 offset1:65
	scratch_load_dwordx4 v[4:7], off, s50
	s_waitcnt vmcnt(0)
	ds_write2_b64 v12, v[4:5], v[6:7] offset0:66 offset1:67
	scratch_load_dwordx4 v[4:7], off, s51
	s_waitcnt vmcnt(0)
	ds_write2_b64 v12, v[4:5], v[6:7] offset0:68 offset1:69
	scratch_load_dwordx4 v[4:7], off, s48
	s_waitcnt vmcnt(0)
	ds_write2_b64 v12, v[4:5], v[6:7] offset0:70 offset1:71
	scratch_load_dwordx4 v[4:7], off, s47
	s_waitcnt vmcnt(0)
	ds_write2_b64 v12, v[4:5], v[6:7] offset0:72 offset1:73
	scratch_load_dwordx4 v[4:7], off, s46
	s_waitcnt vmcnt(0)
	ds_write2_b64 v12, v[4:5], v[6:7] offset0:74 offset1:75
	scratch_load_dwordx4 v[4:7], off, s45
	s_waitcnt vmcnt(0)
	ds_write2_b64 v12, v[4:5], v[6:7] offset0:76 offset1:77
	scratch_load_dwordx4 v[4:7], off, s44
	s_waitcnt vmcnt(0)
	ds_write2_b64 v12, v[4:5], v[6:7] offset0:78 offset1:79
	scratch_load_dwordx4 v[4:7], off, s43
	s_waitcnt vmcnt(0)
	ds_write2_b64 v12, v[4:5], v[6:7] offset0:80 offset1:81
	scratch_load_dwordx4 v[4:7], off, s42
	s_waitcnt vmcnt(0)
	ds_write2_b64 v12, v[4:5], v[6:7] offset0:82 offset1:83
	scratch_load_dwordx4 v[4:7], off, s41
	s_waitcnt vmcnt(0)
	ds_write2_b64 v12, v[4:5], v[6:7] offset0:84 offset1:85
	scratch_load_dwordx4 v[4:7], off, s40
	s_waitcnt vmcnt(0)
	ds_write2_b64 v12, v[4:5], v[6:7] offset0:86 offset1:87
	scratch_load_dwordx4 v[4:7], off, s39
	s_waitcnt vmcnt(0)
	ds_write2_b64 v12, v[4:5], v[6:7] offset0:88 offset1:89
	scratch_load_dwordx4 v[4:7], off, s38
	s_waitcnt vmcnt(0)
	ds_write2_b64 v12, v[4:5], v[6:7] offset0:90 offset1:91
	scratch_load_dwordx4 v[4:7], off, s37
	s_waitcnt vmcnt(0)
	ds_write2_b64 v12, v[4:5], v[6:7] offset0:92 offset1:93
	scratch_load_dwordx4 v[4:7], off, s36
	s_waitcnt vmcnt(0)
	ds_write2_b64 v12, v[4:5], v[6:7] offset0:94 offset1:95
	scratch_load_dwordx4 v[4:7], off, s35
	s_waitcnt vmcnt(0)
	ds_write2_b64 v12, v[4:5], v[6:7] offset0:96 offset1:97
	scratch_load_dwordx4 v[4:7], off, s34
	s_waitcnt vmcnt(0)
	ds_write2_b64 v12, v[4:5], v[6:7] offset0:98 offset1:99
	scratch_load_dwordx4 v[4:7], off, s33
	s_waitcnt vmcnt(0)
	ds_write2_b64 v12, v[4:5], v[6:7] offset0:100 offset1:101
	scratch_load_dwordx4 v[4:7], off, s31
	s_waitcnt vmcnt(0)
	ds_write2_b64 v12, v[4:5], v[6:7] offset0:102 offset1:103
	scratch_load_dwordx4 v[4:7], off, s30
	s_waitcnt vmcnt(0)
	ds_write2_b64 v12, v[4:5], v[6:7] offset0:104 offset1:105
	scratch_load_dwordx4 v[4:7], off, s29
	s_waitcnt vmcnt(0)
	ds_write2_b64 v12, v[4:5], v[6:7] offset0:106 offset1:107
	scratch_load_dwordx4 v[4:7], off, s28
	s_waitcnt vmcnt(0)
	ds_write2_b64 v12, v[4:5], v[6:7] offset0:108 offset1:109
	scratch_load_dwordx4 v[4:7], off, s27
	s_waitcnt vmcnt(0)
	ds_write2_b64 v12, v[4:5], v[6:7] offset0:110 offset1:111
	scratch_load_dwordx4 v[4:7], off, s26
	s_waitcnt vmcnt(0)
	ds_write2_b64 v12, v[4:5], v[6:7] offset0:112 offset1:113
	scratch_load_dwordx4 v[4:7], off, s25
	s_waitcnt vmcnt(0)
	ds_write2_b64 v12, v[4:5], v[6:7] offset0:114 offset1:115
	scratch_load_dwordx4 v[4:7], off, s24
	s_waitcnt vmcnt(0)
	ds_write2_b64 v12, v[4:5], v[6:7] offset0:116 offset1:117
	scratch_load_dwordx4 v[4:7], off, s23
	s_waitcnt vmcnt(0)
	ds_write2_b64 v12, v[4:5], v[6:7] offset0:118 offset1:119
	scratch_load_dwordx4 v[4:7], off, s22
	s_waitcnt vmcnt(0)
	ds_write2_b64 v12, v[4:5], v[6:7] offset0:120 offset1:121
	scratch_load_dwordx4 v[4:7], off, s21
	s_waitcnt vmcnt(0)
	ds_write2_b64 v12, v[4:5], v[6:7] offset0:122 offset1:123
	scratch_load_dwordx4 v[4:7], off, s20
	s_waitcnt vmcnt(0)
	ds_write2_b64 v12, v[4:5], v[6:7] offset0:124 offset1:125
	scratch_load_dwordx4 v[4:7], off, s66
	s_waitcnt vmcnt(0)
	ds_write2_b64 v12, v[4:5], v[6:7] offset0:126 offset1:127
.LBB126_784:
	s_or_b64 exec, exec, s[0:1]
	v_cmp_lt_i32_e32 vcc, 31, v15
	s_waitcnt lgkmcnt(0)
	s_barrier
	s_and_saveexec_b64 s[0:1], vcc
	s_cbranch_execz .LBB126_786
; %bb.785:
	scratch_load_dwordx4 v[4:7], off, off offset:496
	s_waitcnt vmcnt(0)
	v_mul_f64 v[16:17], v[2:3], v[6:7]
	v_mul_f64 v[18:19], v[0:1], v[6:7]
	v_fma_f64 v[16:17], v[0:1], v[4:5], -v[16:17]
	v_fmac_f64_e32 v[18:19], v[2:3], v[4:5]
	ds_read2_b64 v[0:3], v12 offset0:64 offset1:65
	scratch_store_dwordx4 off, v[16:19], off offset:496
	s_waitcnt lgkmcnt(0)
	v_mul_f64 v[4:5], v[2:3], v[18:19]
	v_mul_f64 v[6:7], v[0:1], v[18:19]
	v_fma_f64 v[4:5], v[0:1], v[16:17], -v[4:5]
	v_fmac_f64_e32 v[6:7], v[2:3], v[16:17]
	scratch_load_dwordx4 v[0:3], off, off offset:512
	s_waitcnt vmcnt(0)
	v_add_f64 v[0:1], v[0:1], -v[4:5]
	v_add_f64 v[2:3], v[2:3], -v[6:7]
	scratch_store_dwordx4 off, v[0:3], off offset:512
	ds_read2_b64 v[0:3], v12 offset0:66 offset1:67
	s_waitcnt lgkmcnt(0)
	v_mul_f64 v[4:5], v[2:3], v[18:19]
	v_mul_f64 v[6:7], v[0:1], v[18:19]
	v_fma_f64 v[4:5], v[0:1], v[16:17], -v[4:5]
	v_fmac_f64_e32 v[6:7], v[2:3], v[16:17]
	scratch_load_dwordx4 v[0:3], off, off offset:528
	s_waitcnt vmcnt(0)
	v_add_f64 v[0:1], v[0:1], -v[4:5]
	v_add_f64 v[2:3], v[2:3], -v[6:7]
	scratch_store_dwordx4 off, v[0:3], off offset:528
	ds_read2_b64 v[0:3], v12 offset0:68 offset1:69
	;; [unrolled: 11-line block ×6, first 2 shown]
	scratch_load_dwordx2 v[16:17], off, off offset:496
	scratch_load_dwordx4 v[0:3], off, off offset:496
	s_waitcnt vmcnt(0) lgkmcnt(0)
	v_mul_f64 v[18:19], v[6:7], v[2:3]
	v_mul_f64 v[20:21], v[4:5], v[2:3]
	v_fma_f64 v[18:19], v[4:5], v[16:17], -v[18:19]
	v_fmac_f64_e32 v[20:21], v[6:7], v[16:17]
	scratch_load_dwordx4 v[4:7], off, off offset:608
	s_waitcnt vmcnt(0)
	v_add_f64 v[4:5], v[4:5], -v[18:19]
	v_add_f64 v[6:7], v[6:7], -v[20:21]
	scratch_store_dwordx4 off, v[4:7], off offset:608
	ds_read2_b64 v[4:7], v12 offset0:78 offset1:79
	s_waitcnt lgkmcnt(0)
	v_mul_f64 v[18:19], v[6:7], v[2:3]
	v_mul_f64 v[20:21], v[4:5], v[2:3]
	v_fma_f64 v[18:19], v[4:5], v[16:17], -v[18:19]
	v_fmac_f64_e32 v[20:21], v[6:7], v[16:17]
	scratch_load_dwordx4 v[4:7], off, off offset:624
	s_waitcnt vmcnt(0)
	v_add_f64 v[4:5], v[4:5], -v[18:19]
	v_add_f64 v[6:7], v[6:7], -v[20:21]
	scratch_store_dwordx4 off, v[4:7], off offset:624
	ds_read2_b64 v[4:7], v12 offset0:80 offset1:81
	s_waitcnt lgkmcnt(0)
	;; [unrolled: 11-line block ×5, first 2 shown]
	v_mul_f64 v[18:19], v[6:7], v[2:3]
	v_fma_f64 v[18:19], v[4:5], v[16:17], -v[18:19]
	v_mul_f64 v[20:21], v[4:5], v[2:3]
	scratch_load_dwordx4 v[2:5], off, off offset:688
	v_fmac_f64_e32 v[20:21], v[6:7], v[16:17]
	s_waitcnt vmcnt(0)
	v_add_f64 v[2:3], v[2:3], -v[18:19]
	v_add_f64 v[4:5], v[4:5], -v[20:21]
	scratch_store_dwordx4 off, v[2:5], off offset:688
	ds_read2_b64 v[16:19], v12 offset0:88 offset1:89
	scratch_load_dwordx2 v[2:3], off, off offset:496
	scratch_load_dwordx2 v[4:5], off, off offset:504
	s_waitcnt vmcnt(0) lgkmcnt(0)
	v_mul_f64 v[6:7], v[18:19], v[4:5]
	v_mul_f64 v[20:21], v[16:17], v[4:5]
	v_fma_f64 v[6:7], v[16:17], v[2:3], -v[6:7]
	v_fmac_f64_e32 v[20:21], v[18:19], v[2:3]
	scratch_load_dwordx4 v[16:19], off, off offset:704
	s_waitcnt vmcnt(0)
	v_add_f64 v[16:17], v[16:17], -v[6:7]
	v_add_f64 v[18:19], v[18:19], -v[20:21]
	scratch_store_dwordx4 off, v[16:19], off offset:704
	ds_read2_b64 v[16:19], v12 offset0:90 offset1:91
	s_waitcnt lgkmcnt(0)
	v_mul_f64 v[6:7], v[18:19], v[4:5]
	v_mul_f64 v[20:21], v[16:17], v[4:5]
	v_fma_f64 v[6:7], v[16:17], v[2:3], -v[6:7]
	v_fmac_f64_e32 v[20:21], v[18:19], v[2:3]
	scratch_load_dwordx4 v[16:19], off, off offset:720
	s_waitcnt vmcnt(0)
	v_add_f64 v[16:17], v[16:17], -v[6:7]
	v_add_f64 v[18:19], v[18:19], -v[20:21]
	scratch_store_dwordx4 off, v[16:19], off offset:720
	ds_read2_b64 v[16:19], v12 offset0:92 offset1:93
	s_waitcnt lgkmcnt(0)
	;; [unrolled: 11-line block ×5, first 2 shown]
	v_mul_f64 v[6:7], v[18:19], v[4:5]
	v_fma_f64 v[6:7], v[16:17], v[2:3], -v[6:7]
	v_mul_f64 v[16:17], v[16:17], v[4:5]
	v_fmac_f64_e32 v[16:17], v[18:19], v[2:3]
	scratch_load_dwordx4 v[2:5], off, off offset:784
	s_waitcnt vmcnt(0)
	v_add_f64 v[2:3], v[2:3], -v[6:7]
	v_add_f64 v[4:5], v[4:5], -v[16:17]
	scratch_store_dwordx4 off, v[2:5], off offset:784
	ds_read2_b64 v[16:19], v12 offset0:100 offset1:101
	scratch_load_dwordx2 v[2:3], off, off offset:496
	scratch_load_dwordx2 v[4:5], off, off offset:504
	s_waitcnt vmcnt(0) lgkmcnt(0)
	v_mul_f64 v[6:7], v[18:19], v[4:5]
	v_mul_f64 v[20:21], v[16:17], v[4:5]
	v_fma_f64 v[6:7], v[16:17], v[2:3], -v[6:7]
	v_fmac_f64_e32 v[20:21], v[18:19], v[2:3]
	scratch_load_dwordx4 v[16:19], off, off offset:800
	s_waitcnt vmcnt(0)
	v_add_f64 v[16:17], v[16:17], -v[6:7]
	v_add_f64 v[18:19], v[18:19], -v[20:21]
	scratch_store_dwordx4 off, v[16:19], off offset:800
	ds_read2_b64 v[16:19], v12 offset0:102 offset1:103
	s_waitcnt lgkmcnt(0)
	v_mul_f64 v[6:7], v[18:19], v[4:5]
	v_mul_f64 v[20:21], v[16:17], v[4:5]
	v_fma_f64 v[6:7], v[16:17], v[2:3], -v[6:7]
	v_fmac_f64_e32 v[20:21], v[18:19], v[2:3]
	scratch_load_dwordx4 v[16:19], off, off offset:816
	s_waitcnt vmcnt(0)
	v_add_f64 v[16:17], v[16:17], -v[6:7]
	v_add_f64 v[18:19], v[18:19], -v[20:21]
	scratch_store_dwordx4 off, v[16:19], off offset:816
	ds_read2_b64 v[16:19], v12 offset0:104 offset1:105
	s_waitcnt lgkmcnt(0)
	;; [unrolled: 11-line block ×5, first 2 shown]
	v_mul_f64 v[6:7], v[18:19], v[4:5]
	v_fma_f64 v[6:7], v[16:17], v[2:3], -v[6:7]
	v_mul_f64 v[16:17], v[16:17], v[4:5]
	v_fmac_f64_e32 v[16:17], v[18:19], v[2:3]
	scratch_load_dwordx4 v[2:5], off, off offset:880
	s_waitcnt vmcnt(0)
	v_add_f64 v[2:3], v[2:3], -v[6:7]
	v_add_f64 v[4:5], v[4:5], -v[16:17]
	scratch_store_dwordx4 off, v[2:5], off offset:880
	ds_read2_b64 v[2:5], v12 offset0:112 offset1:113
	scratch_load_dwordx2 v[6:7], off, off offset:496
	scratch_load_dwordx2 v[16:17], off, off offset:504
	s_waitcnt vmcnt(0) lgkmcnt(0)
	v_mul_f64 v[18:19], v[4:5], v[16:17]
	v_mul_f64 v[20:21], v[2:3], v[16:17]
	v_fma_f64 v[18:19], v[2:3], v[6:7], -v[18:19]
	v_fmac_f64_e32 v[20:21], v[4:5], v[6:7]
	scratch_load_dwordx4 v[2:5], off, off offset:896
	s_waitcnt vmcnt(0)
	v_add_f64 v[2:3], v[2:3], -v[18:19]
	v_add_f64 v[4:5], v[4:5], -v[20:21]
	scratch_store_dwordx4 off, v[2:5], off offset:896
	ds_read2_b64 v[2:5], v12 offset0:114 offset1:115
	s_waitcnt lgkmcnt(0)
	v_mul_f64 v[18:19], v[4:5], v[16:17]
	v_mul_f64 v[20:21], v[2:3], v[16:17]
	v_fma_f64 v[18:19], v[2:3], v[6:7], -v[18:19]
	v_fmac_f64_e32 v[20:21], v[4:5], v[6:7]
	scratch_load_dwordx4 v[2:5], off, off offset:912
	s_waitcnt vmcnt(0)
	v_add_f64 v[2:3], v[2:3], -v[18:19]
	v_add_f64 v[4:5], v[4:5], -v[20:21]
	scratch_store_dwordx4 off, v[2:5], off offset:912
	ds_read2_b64 v[2:5], v12 offset0:116 offset1:117
	s_waitcnt lgkmcnt(0)
	;; [unrolled: 11-line block ×5, first 2 shown]
	v_mul_f64 v[18:19], v[4:5], v[16:17]
	v_mul_f64 v[16:17], v[2:3], v[16:17]
	v_fma_f64 v[18:19], v[2:3], v[6:7], -v[18:19]
	v_fmac_f64_e32 v[16:17], v[4:5], v[6:7]
	scratch_load_dwordx4 v[2:5], off, off offset:976
	scratch_load_dwordx2 v[6:7], off, off offset:504
	s_waitcnt vmcnt(1)
	v_add_f64 v[2:3], v[2:3], -v[18:19]
	v_add_f64 v[4:5], v[4:5], -v[16:17]
	scratch_store_dwordx4 off, v[2:5], off offset:976
	ds_read2_b64 v[2:5], v12 offset0:124 offset1:125
	s_waitcnt vmcnt(1) lgkmcnt(0)
	v_mul_f64 v[16:17], v[4:5], v[6:7]
	v_mul_f64 v[18:19], v[2:3], v[6:7]
	v_fma_f64 v[16:17], v[2:3], v[0:1], -v[16:17]
	v_fmac_f64_e32 v[18:19], v[4:5], v[0:1]
	scratch_load_dwordx4 v[2:5], off, off offset:992
	s_waitcnt vmcnt(0)
	v_add_f64 v[2:3], v[2:3], -v[16:17]
	v_add_f64 v[4:5], v[4:5], -v[18:19]
	scratch_store_dwordx4 off, v[2:5], off offset:992
	ds_read2_b64 v[2:5], v12 offset0:126 offset1:127
	s_waitcnt lgkmcnt(0)
	v_mul_f64 v[16:17], v[4:5], v[6:7]
	v_mul_f64 v[6:7], v[2:3], v[6:7]
	v_fma_f64 v[16:17], v[2:3], v[0:1], -v[16:17]
	v_fmac_f64_e32 v[6:7], v[4:5], v[0:1]
	scratch_load_dwordx4 v[0:3], off, off offset:1008
	s_waitcnt vmcnt(0)
	v_add_f64 v[0:1], v[0:1], -v[16:17]
	v_add_f64 v[2:3], v[2:3], -v[6:7]
	scratch_store_dwordx4 off, v[0:3], off offset:1008
.LBB126_786:
	s_or_b64 exec, exec, s[0:1]
	s_barrier
	scratch_load_dwordx4 v[0:3], off, s52
	v_lshl_add_u32 v4, v15, 4, v12
	s_cmp_lt_i32 s67, 34
	s_waitcnt vmcnt(0)
	ds_write2_b64 v4, v[0:1], v[2:3] offset1:1
	s_waitcnt lgkmcnt(0)
	s_barrier
	ds_read2_b64 v[0:3], v12 offset0:64 offset1:65
	v_mov_b32_e32 v4, 32
	s_cbranch_scc1 .LBB126_789
; %bb.787:
	v_add_u32_e32 v5, 0x210, v12
	s_mov_b32 s4, 33
	v_mov_b32_e32 v4, 32
.LBB126_788:                            ; =>This Inner Loop Header: Depth=1
	ds_read2_b64 v[16:19], v5 offset1:1
	s_waitcnt lgkmcnt(1)
	v_xor_b32_e32 v7, 0x80000000, v1
	v_xor_b32_e32 v21, 0x80000000, v3
	v_cmp_gt_f64_e32 vcc, 0, v[2:3]
	v_cmp_gt_f64_e64 s[0:1], 0, v[0:1]
	v_mov_b32_e32 v6, v0
	v_mov_b32_e32 v20, v2
	v_cndmask_b32_e64 v7, v1, v7, s[0:1]
	v_cndmask_b32_e32 v21, v3, v21, vcc
	v_add_f64 v[6:7], v[6:7], v[20:21]
	s_waitcnt lgkmcnt(0)
	v_xor_b32_e32 v21, 0x80000000, v17
	v_xor_b32_e32 v23, 0x80000000, v19
	v_cmp_gt_f64_e32 vcc, 0, v[18:19]
	v_cmp_gt_f64_e64 s[0:1], 0, v[16:17]
	v_mov_b32_e32 v20, v16
	v_mov_b32_e32 v22, v18
	v_cndmask_b32_e64 v21, v17, v21, s[0:1]
	v_cndmask_b32_e32 v23, v19, v23, vcc
	v_add_f64 v[20:21], v[20:21], v[22:23]
	v_mov_b32_e32 v24, s4
	s_add_i32 s4, s4, 1
	v_cmp_lt_f64_e32 vcc, v[6:7], v[20:21]
	v_add_u32_e32 v5, 16, v5
	s_cmp_lg_u32 s67, s4
	v_cndmask_b32_e32 v1, v1, v17, vcc
	v_cndmask_b32_e32 v0, v0, v16, vcc
	;; [unrolled: 1-line block ×5, first 2 shown]
	s_cbranch_scc1 .LBB126_788
.LBB126_789:
	s_waitcnt lgkmcnt(0)
	v_cmp_eq_f64_e32 vcc, 0, v[0:1]
	v_cmp_eq_f64_e64 s[0:1], 0, v[2:3]
	s_and_b64 s[0:1], vcc, s[0:1]
	s_and_saveexec_b64 s[4:5], s[0:1]
	s_xor_b64 s[0:1], exec, s[4:5]
; %bb.790:
	v_cmp_ne_u32_e32 vcc, 0, v13
	s_nop 1
	v_cndmask_b32_e32 v13, 33, v13, vcc
; %bb.791:
	s_andn2_saveexec_b64 s[0:1], s[0:1]
	s_cbranch_execz .LBB126_797
; %bb.792:
	v_cmp_ngt_f64_e64 s[4:5], |v[0:1]|, |v[2:3]|
	s_and_saveexec_b64 s[12:13], s[4:5]
	s_xor_b64 s[12:13], exec, s[12:13]
	s_cbranch_execz .LBB126_794
; %bb.793:
	v_div_scale_f64 v[6:7], s[4:5], v[2:3], v[2:3], v[0:1]
	v_rcp_f64_e32 v[16:17], v[6:7]
	v_div_scale_f64 v[18:19], vcc, v[0:1], v[2:3], v[0:1]
	v_fma_f64 v[20:21], -v[6:7], v[16:17], 1.0
	v_fmac_f64_e32 v[16:17], v[16:17], v[20:21]
	v_fma_f64 v[20:21], -v[6:7], v[16:17], 1.0
	v_fmac_f64_e32 v[16:17], v[16:17], v[20:21]
	v_mul_f64 v[20:21], v[18:19], v[16:17]
	v_fma_f64 v[6:7], -v[6:7], v[20:21], v[18:19]
	v_div_fmas_f64 v[6:7], v[6:7], v[16:17], v[20:21]
	v_div_fixup_f64 v[6:7], v[6:7], v[2:3], v[0:1]
	v_fmac_f64_e32 v[2:3], v[0:1], v[6:7]
	v_div_scale_f64 v[0:1], s[4:5], v[2:3], v[2:3], 1.0
	v_rcp_f64_e32 v[16:17], v[0:1]
	s_nop 0
	v_fma_f64 v[18:19], -v[0:1], v[16:17], 1.0
	v_fmac_f64_e32 v[16:17], v[16:17], v[18:19]
	v_fma_f64 v[18:19], -v[0:1], v[16:17], 1.0
	v_fmac_f64_e32 v[16:17], v[16:17], v[18:19]
	v_div_scale_f64 v[18:19], vcc, 1.0, v[2:3], 1.0
	v_mul_f64 v[20:21], v[18:19], v[16:17]
	v_fma_f64 v[0:1], -v[0:1], v[20:21], v[18:19]
	s_nop 1
	v_div_fmas_f64 v[0:1], v[0:1], v[16:17], v[20:21]
	v_div_fixup_f64 v[2:3], v[0:1], v[2:3], 1.0
	v_mul_f64 v[0:1], v[6:7], v[2:3]
	v_xor_b32_e32 v3, 0x80000000, v3
.LBB126_794:
	s_andn2_saveexec_b64 s[12:13], s[12:13]
	s_cbranch_execz .LBB126_796
; %bb.795:
	v_div_scale_f64 v[6:7], s[4:5], v[0:1], v[0:1], v[2:3]
	v_rcp_f64_e32 v[16:17], v[6:7]
	v_div_scale_f64 v[18:19], vcc, v[2:3], v[0:1], v[2:3]
	v_fma_f64 v[20:21], -v[6:7], v[16:17], 1.0
	v_fmac_f64_e32 v[16:17], v[16:17], v[20:21]
	v_fma_f64 v[20:21], -v[6:7], v[16:17], 1.0
	v_fmac_f64_e32 v[16:17], v[16:17], v[20:21]
	v_mul_f64 v[20:21], v[18:19], v[16:17]
	v_fma_f64 v[6:7], -v[6:7], v[20:21], v[18:19]
	v_div_fmas_f64 v[6:7], v[6:7], v[16:17], v[20:21]
	v_div_fixup_f64 v[6:7], v[6:7], v[0:1], v[2:3]
	v_fmac_f64_e32 v[0:1], v[2:3], v[6:7]
	v_div_scale_f64 v[2:3], s[4:5], v[0:1], v[0:1], 1.0
	v_rcp_f64_e32 v[16:17], v[2:3]
	s_nop 0
	v_fma_f64 v[18:19], -v[2:3], v[16:17], 1.0
	v_fmac_f64_e32 v[16:17], v[16:17], v[18:19]
	v_fma_f64 v[18:19], -v[2:3], v[16:17], 1.0
	v_fmac_f64_e32 v[16:17], v[16:17], v[18:19]
	v_div_scale_f64 v[18:19], vcc, 1.0, v[0:1], 1.0
	v_mul_f64 v[20:21], v[18:19], v[16:17]
	v_fma_f64 v[2:3], -v[2:3], v[20:21], v[18:19]
	s_nop 1
	v_div_fmas_f64 v[2:3], v[2:3], v[16:17], v[20:21]
	v_div_fixup_f64 v[0:1], v[2:3], v[0:1], 1.0
	v_mul_f64 v[2:3], v[6:7], -v[0:1]
.LBB126_796:
	s_or_b64 exec, exec, s[12:13]
.LBB126_797:
	s_or_b64 exec, exec, s[0:1]
	v_cmp_ne_u32_e32 vcc, v15, v4
	s_and_saveexec_b64 s[0:1], vcc
	s_xor_b64 s[0:1], exec, s[0:1]
	s_cbranch_execz .LBB126_803
; %bb.798:
	v_cmp_eq_u32_e32 vcc, 32, v15
	s_and_saveexec_b64 s[12:13], vcc
	s_cbranch_execz .LBB126_802
; %bb.799:
	v_cmp_ne_u32_e32 vcc, 32, v4
	s_xor_b64 s[4:5], s[8:9], -1
	s_and_b64 s[4:5], s[4:5], vcc
	s_and_saveexec_b64 s[14:15], s[4:5]
	s_cbranch_execz .LBB126_801
; %bb.800:
	v_ashrrev_i32_e32 v5, 31, v4
	v_lshl_add_u64 v[6:7], v[4:5], 2, v[10:11]
	global_load_dword v5, v[6:7], off
	global_load_dword v14, v[10:11], off offset:128
	s_waitcnt vmcnt(1)
	global_store_dword v[10:11], v5, off offset:128
	s_waitcnt vmcnt(1)
	global_store_dword v[6:7], v14, off
.LBB126_801:
	s_or_b64 exec, exec, s[14:15]
	v_mov_b32_e32 v15, v4
	v_mov_b32_e32 v14, v4
.LBB126_802:
	s_or_b64 exec, exec, s[12:13]
.LBB126_803:
	s_andn2_saveexec_b64 s[0:1], s[0:1]
	s_cbranch_execz .LBB126_805
; %bb.804:
	scratch_load_dwordx4 v[4:7], off, s50
	v_mov_b32_e32 v15, 32
	s_waitcnt vmcnt(0)
	ds_write2_b64 v12, v[4:5], v[6:7] offset0:66 offset1:67
	scratch_load_dwordx4 v[4:7], off, s51
	s_waitcnt vmcnt(0)
	ds_write2_b64 v12, v[4:5], v[6:7] offset0:68 offset1:69
	scratch_load_dwordx4 v[4:7], off, s48
	;; [unrolled: 3-line block ×30, first 2 shown]
	s_waitcnt vmcnt(0)
	ds_write2_b64 v12, v[4:5], v[6:7] offset0:126 offset1:127
.LBB126_805:
	s_or_b64 exec, exec, s[0:1]
	v_cmp_lt_i32_e32 vcc, 32, v15
	s_waitcnt lgkmcnt(0)
	s_barrier
	s_and_saveexec_b64 s[0:1], vcc
	s_cbranch_execz .LBB126_807
; %bb.806:
	scratch_load_dwordx4 v[4:7], off, off offset:512
	s_waitcnt vmcnt(0)
	v_mul_f64 v[16:17], v[2:3], v[6:7]
	v_mul_f64 v[18:19], v[0:1], v[6:7]
	v_fma_f64 v[16:17], v[0:1], v[4:5], -v[16:17]
	v_fmac_f64_e32 v[18:19], v[2:3], v[4:5]
	ds_read2_b64 v[0:3], v12 offset0:66 offset1:67
	scratch_store_dwordx4 off, v[16:19], off offset:512
	s_waitcnt lgkmcnt(0)
	v_mul_f64 v[4:5], v[2:3], v[18:19]
	v_mul_f64 v[6:7], v[0:1], v[18:19]
	v_fma_f64 v[4:5], v[0:1], v[16:17], -v[4:5]
	v_fmac_f64_e32 v[6:7], v[2:3], v[16:17]
	scratch_load_dwordx4 v[0:3], off, off offset:528
	s_waitcnt vmcnt(0)
	v_add_f64 v[0:1], v[0:1], -v[4:5]
	v_add_f64 v[2:3], v[2:3], -v[6:7]
	scratch_store_dwordx4 off, v[0:3], off offset:528
	ds_read2_b64 v[0:3], v12 offset0:68 offset1:69
	s_waitcnt lgkmcnt(0)
	v_mul_f64 v[4:5], v[2:3], v[18:19]
	v_mul_f64 v[6:7], v[0:1], v[18:19]
	v_fma_f64 v[4:5], v[0:1], v[16:17], -v[4:5]
	v_fmac_f64_e32 v[6:7], v[2:3], v[16:17]
	scratch_load_dwordx4 v[0:3], off, off offset:544
	s_waitcnt vmcnt(0)
	v_add_f64 v[0:1], v[0:1], -v[4:5]
	v_add_f64 v[2:3], v[2:3], -v[6:7]
	scratch_store_dwordx4 off, v[0:3], off offset:544
	ds_read2_b64 v[0:3], v12 offset0:70 offset1:71
	;; [unrolled: 11-line block ×6, first 2 shown]
	scratch_load_dwordx2 v[16:17], off, off offset:512
	scratch_load_dwordx4 v[0:3], off, off offset:512
	s_waitcnt vmcnt(0) lgkmcnt(0)
	v_mul_f64 v[18:19], v[6:7], v[2:3]
	v_mul_f64 v[20:21], v[4:5], v[2:3]
	v_fma_f64 v[18:19], v[4:5], v[16:17], -v[18:19]
	v_fmac_f64_e32 v[20:21], v[6:7], v[16:17]
	scratch_load_dwordx4 v[4:7], off, off offset:624
	s_waitcnt vmcnt(0)
	v_add_f64 v[4:5], v[4:5], -v[18:19]
	v_add_f64 v[6:7], v[6:7], -v[20:21]
	scratch_store_dwordx4 off, v[4:7], off offset:624
	ds_read2_b64 v[4:7], v12 offset0:80 offset1:81
	s_waitcnt lgkmcnt(0)
	v_mul_f64 v[18:19], v[6:7], v[2:3]
	v_mul_f64 v[20:21], v[4:5], v[2:3]
	v_fma_f64 v[18:19], v[4:5], v[16:17], -v[18:19]
	v_fmac_f64_e32 v[20:21], v[6:7], v[16:17]
	scratch_load_dwordx4 v[4:7], off, off offset:640
	s_waitcnt vmcnt(0)
	v_add_f64 v[4:5], v[4:5], -v[18:19]
	v_add_f64 v[6:7], v[6:7], -v[20:21]
	scratch_store_dwordx4 off, v[4:7], off offset:640
	ds_read2_b64 v[4:7], v12 offset0:82 offset1:83
	s_waitcnt lgkmcnt(0)
	;; [unrolled: 11-line block ×5, first 2 shown]
	v_mul_f64 v[18:19], v[6:7], v[2:3]
	v_fma_f64 v[18:19], v[4:5], v[16:17], -v[18:19]
	v_mul_f64 v[20:21], v[4:5], v[2:3]
	scratch_load_dwordx4 v[2:5], off, off offset:704
	v_fmac_f64_e32 v[20:21], v[6:7], v[16:17]
	s_waitcnt vmcnt(0)
	v_add_f64 v[2:3], v[2:3], -v[18:19]
	v_add_f64 v[4:5], v[4:5], -v[20:21]
	scratch_store_dwordx4 off, v[2:5], off offset:704
	ds_read2_b64 v[16:19], v12 offset0:90 offset1:91
	scratch_load_dwordx2 v[2:3], off, off offset:512
	scratch_load_dwordx2 v[4:5], off, off offset:520
	s_waitcnt vmcnt(0) lgkmcnt(0)
	v_mul_f64 v[6:7], v[18:19], v[4:5]
	v_mul_f64 v[20:21], v[16:17], v[4:5]
	v_fma_f64 v[6:7], v[16:17], v[2:3], -v[6:7]
	v_fmac_f64_e32 v[20:21], v[18:19], v[2:3]
	scratch_load_dwordx4 v[16:19], off, off offset:720
	s_waitcnt vmcnt(0)
	v_add_f64 v[16:17], v[16:17], -v[6:7]
	v_add_f64 v[18:19], v[18:19], -v[20:21]
	scratch_store_dwordx4 off, v[16:19], off offset:720
	ds_read2_b64 v[16:19], v12 offset0:92 offset1:93
	s_waitcnt lgkmcnt(0)
	v_mul_f64 v[6:7], v[18:19], v[4:5]
	v_mul_f64 v[20:21], v[16:17], v[4:5]
	v_fma_f64 v[6:7], v[16:17], v[2:3], -v[6:7]
	v_fmac_f64_e32 v[20:21], v[18:19], v[2:3]
	scratch_load_dwordx4 v[16:19], off, off offset:736
	s_waitcnt vmcnt(0)
	v_add_f64 v[16:17], v[16:17], -v[6:7]
	v_add_f64 v[18:19], v[18:19], -v[20:21]
	scratch_store_dwordx4 off, v[16:19], off offset:736
	ds_read2_b64 v[16:19], v12 offset0:94 offset1:95
	s_waitcnt lgkmcnt(0)
	;; [unrolled: 11-line block ×5, first 2 shown]
	v_mul_f64 v[6:7], v[18:19], v[4:5]
	v_fma_f64 v[6:7], v[16:17], v[2:3], -v[6:7]
	v_mul_f64 v[16:17], v[16:17], v[4:5]
	v_fmac_f64_e32 v[16:17], v[18:19], v[2:3]
	scratch_load_dwordx4 v[2:5], off, off offset:800
	s_waitcnt vmcnt(0)
	v_add_f64 v[2:3], v[2:3], -v[6:7]
	v_add_f64 v[4:5], v[4:5], -v[16:17]
	scratch_store_dwordx4 off, v[2:5], off offset:800
	ds_read2_b64 v[16:19], v12 offset0:102 offset1:103
	scratch_load_dwordx2 v[2:3], off, off offset:512
	scratch_load_dwordx2 v[4:5], off, off offset:520
	s_waitcnt vmcnt(0) lgkmcnt(0)
	v_mul_f64 v[6:7], v[18:19], v[4:5]
	v_mul_f64 v[20:21], v[16:17], v[4:5]
	v_fma_f64 v[6:7], v[16:17], v[2:3], -v[6:7]
	v_fmac_f64_e32 v[20:21], v[18:19], v[2:3]
	scratch_load_dwordx4 v[16:19], off, off offset:816
	s_waitcnt vmcnt(0)
	v_add_f64 v[16:17], v[16:17], -v[6:7]
	v_add_f64 v[18:19], v[18:19], -v[20:21]
	scratch_store_dwordx4 off, v[16:19], off offset:816
	ds_read2_b64 v[16:19], v12 offset0:104 offset1:105
	s_waitcnt lgkmcnt(0)
	v_mul_f64 v[6:7], v[18:19], v[4:5]
	v_mul_f64 v[20:21], v[16:17], v[4:5]
	v_fma_f64 v[6:7], v[16:17], v[2:3], -v[6:7]
	v_fmac_f64_e32 v[20:21], v[18:19], v[2:3]
	scratch_load_dwordx4 v[16:19], off, off offset:832
	s_waitcnt vmcnt(0)
	v_add_f64 v[16:17], v[16:17], -v[6:7]
	v_add_f64 v[18:19], v[18:19], -v[20:21]
	scratch_store_dwordx4 off, v[16:19], off offset:832
	ds_read2_b64 v[16:19], v12 offset0:106 offset1:107
	s_waitcnt lgkmcnt(0)
	;; [unrolled: 11-line block ×5, first 2 shown]
	v_mul_f64 v[6:7], v[18:19], v[4:5]
	v_fma_f64 v[6:7], v[16:17], v[2:3], -v[6:7]
	v_mul_f64 v[16:17], v[16:17], v[4:5]
	v_fmac_f64_e32 v[16:17], v[18:19], v[2:3]
	scratch_load_dwordx4 v[2:5], off, off offset:896
	s_waitcnt vmcnt(0)
	v_add_f64 v[2:3], v[2:3], -v[6:7]
	v_add_f64 v[4:5], v[4:5], -v[16:17]
	scratch_store_dwordx4 off, v[2:5], off offset:896
	ds_read2_b64 v[16:19], v12 offset0:114 offset1:115
	scratch_load_dwordx2 v[2:3], off, off offset:512
	scratch_load_dwordx2 v[4:5], off, off offset:520
	s_waitcnt vmcnt(0) lgkmcnt(0)
	v_mul_f64 v[6:7], v[18:19], v[4:5]
	v_mul_f64 v[20:21], v[16:17], v[4:5]
	v_fma_f64 v[6:7], v[16:17], v[2:3], -v[6:7]
	v_fmac_f64_e32 v[20:21], v[18:19], v[2:3]
	scratch_load_dwordx4 v[16:19], off, off offset:912
	s_waitcnt vmcnt(0)
	v_add_f64 v[16:17], v[16:17], -v[6:7]
	v_add_f64 v[18:19], v[18:19], -v[20:21]
	scratch_store_dwordx4 off, v[16:19], off offset:912
	ds_read2_b64 v[16:19], v12 offset0:116 offset1:117
	s_waitcnt lgkmcnt(0)
	v_mul_f64 v[6:7], v[18:19], v[4:5]
	v_mul_f64 v[20:21], v[16:17], v[4:5]
	v_fma_f64 v[6:7], v[16:17], v[2:3], -v[6:7]
	v_fmac_f64_e32 v[20:21], v[18:19], v[2:3]
	scratch_load_dwordx4 v[16:19], off, off offset:928
	s_waitcnt vmcnt(0)
	v_add_f64 v[16:17], v[16:17], -v[6:7]
	v_add_f64 v[18:19], v[18:19], -v[20:21]
	scratch_store_dwordx4 off, v[16:19], off offset:928
	ds_read2_b64 v[16:19], v12 offset0:118 offset1:119
	s_waitcnt lgkmcnt(0)
	;; [unrolled: 11-line block ×5, first 2 shown]
	v_mul_f64 v[6:7], v[18:19], v[4:5]
	v_fma_f64 v[6:7], v[16:17], v[2:3], -v[6:7]
	v_mul_f64 v[16:17], v[16:17], v[4:5]
	v_fmac_f64_e32 v[16:17], v[18:19], v[2:3]
	scratch_load_dwordx4 v[2:5], off, off offset:992
	s_waitcnt vmcnt(0)
	v_add_f64 v[2:3], v[2:3], -v[6:7]
	scratch_load_dwordx2 v[6:7], off, off offset:520
	v_add_f64 v[4:5], v[4:5], -v[16:17]
	scratch_store_dwordx4 off, v[2:5], off offset:992
	ds_read2_b64 v[2:5], v12 offset0:126 offset1:127
	s_waitcnt vmcnt(1) lgkmcnt(0)
	v_mul_f64 v[16:17], v[4:5], v[6:7]
	v_mul_f64 v[6:7], v[2:3], v[6:7]
	v_fma_f64 v[16:17], v[2:3], v[0:1], -v[16:17]
	v_fmac_f64_e32 v[6:7], v[4:5], v[0:1]
	scratch_load_dwordx4 v[0:3], off, off offset:1008
	s_waitcnt vmcnt(0)
	v_add_f64 v[0:1], v[0:1], -v[16:17]
	v_add_f64 v[2:3], v[2:3], -v[6:7]
	scratch_store_dwordx4 off, v[0:3], off offset:1008
.LBB126_807:
	s_or_b64 exec, exec, s[0:1]
	s_barrier
	scratch_load_dwordx4 v[0:3], off, s50
	v_lshl_add_u32 v4, v15, 4, v12
	s_cmp_lt_i32 s67, 35
	s_waitcnt vmcnt(0)
	ds_write2_b64 v4, v[0:1], v[2:3] offset1:1
	s_waitcnt lgkmcnt(0)
	s_barrier
	ds_read2_b64 v[0:3], v12 offset0:66 offset1:67
	v_mov_b32_e32 v4, 33
	s_cbranch_scc1 .LBB126_810
; %bb.808:
	v_add_u32_e32 v5, 0x220, v12
	s_mov_b32 s4, 34
	v_mov_b32_e32 v4, 33
.LBB126_809:                            ; =>This Inner Loop Header: Depth=1
	ds_read2_b64 v[16:19], v5 offset1:1
	s_waitcnt lgkmcnt(1)
	v_xor_b32_e32 v7, 0x80000000, v1
	v_xor_b32_e32 v21, 0x80000000, v3
	v_cmp_gt_f64_e32 vcc, 0, v[2:3]
	v_cmp_gt_f64_e64 s[0:1], 0, v[0:1]
	v_mov_b32_e32 v6, v0
	v_mov_b32_e32 v20, v2
	v_cndmask_b32_e64 v7, v1, v7, s[0:1]
	v_cndmask_b32_e32 v21, v3, v21, vcc
	v_add_f64 v[6:7], v[6:7], v[20:21]
	s_waitcnt lgkmcnt(0)
	v_xor_b32_e32 v21, 0x80000000, v17
	v_xor_b32_e32 v23, 0x80000000, v19
	v_cmp_gt_f64_e32 vcc, 0, v[18:19]
	v_cmp_gt_f64_e64 s[0:1], 0, v[16:17]
	v_mov_b32_e32 v20, v16
	v_mov_b32_e32 v22, v18
	v_cndmask_b32_e64 v21, v17, v21, s[0:1]
	v_cndmask_b32_e32 v23, v19, v23, vcc
	v_add_f64 v[20:21], v[20:21], v[22:23]
	v_mov_b32_e32 v24, s4
	s_add_i32 s4, s4, 1
	v_cmp_lt_f64_e32 vcc, v[6:7], v[20:21]
	v_add_u32_e32 v5, 16, v5
	s_cmp_lg_u32 s67, s4
	v_cndmask_b32_e32 v1, v1, v17, vcc
	v_cndmask_b32_e32 v0, v0, v16, vcc
	;; [unrolled: 1-line block ×5, first 2 shown]
	s_cbranch_scc1 .LBB126_809
.LBB126_810:
	s_waitcnt lgkmcnt(0)
	v_cmp_eq_f64_e32 vcc, 0, v[0:1]
	v_cmp_eq_f64_e64 s[0:1], 0, v[2:3]
	s_and_b64 s[0:1], vcc, s[0:1]
	s_and_saveexec_b64 s[4:5], s[0:1]
	s_xor_b64 s[0:1], exec, s[4:5]
; %bb.811:
	v_cmp_ne_u32_e32 vcc, 0, v13
	s_nop 1
	v_cndmask_b32_e32 v13, 34, v13, vcc
; %bb.812:
	s_andn2_saveexec_b64 s[0:1], s[0:1]
	s_cbranch_execz .LBB126_818
; %bb.813:
	v_cmp_ngt_f64_e64 s[4:5], |v[0:1]|, |v[2:3]|
	s_and_saveexec_b64 s[12:13], s[4:5]
	s_xor_b64 s[12:13], exec, s[12:13]
	s_cbranch_execz .LBB126_815
; %bb.814:
	v_div_scale_f64 v[6:7], s[4:5], v[2:3], v[2:3], v[0:1]
	v_rcp_f64_e32 v[16:17], v[6:7]
	v_div_scale_f64 v[18:19], vcc, v[0:1], v[2:3], v[0:1]
	v_fma_f64 v[20:21], -v[6:7], v[16:17], 1.0
	v_fmac_f64_e32 v[16:17], v[16:17], v[20:21]
	v_fma_f64 v[20:21], -v[6:7], v[16:17], 1.0
	v_fmac_f64_e32 v[16:17], v[16:17], v[20:21]
	v_mul_f64 v[20:21], v[18:19], v[16:17]
	v_fma_f64 v[6:7], -v[6:7], v[20:21], v[18:19]
	v_div_fmas_f64 v[6:7], v[6:7], v[16:17], v[20:21]
	v_div_fixup_f64 v[6:7], v[6:7], v[2:3], v[0:1]
	v_fmac_f64_e32 v[2:3], v[0:1], v[6:7]
	v_div_scale_f64 v[0:1], s[4:5], v[2:3], v[2:3], 1.0
	v_rcp_f64_e32 v[16:17], v[0:1]
	s_nop 0
	v_fma_f64 v[18:19], -v[0:1], v[16:17], 1.0
	v_fmac_f64_e32 v[16:17], v[16:17], v[18:19]
	v_fma_f64 v[18:19], -v[0:1], v[16:17], 1.0
	v_fmac_f64_e32 v[16:17], v[16:17], v[18:19]
	v_div_scale_f64 v[18:19], vcc, 1.0, v[2:3], 1.0
	v_mul_f64 v[20:21], v[18:19], v[16:17]
	v_fma_f64 v[0:1], -v[0:1], v[20:21], v[18:19]
	s_nop 1
	v_div_fmas_f64 v[0:1], v[0:1], v[16:17], v[20:21]
	v_div_fixup_f64 v[2:3], v[0:1], v[2:3], 1.0
	v_mul_f64 v[0:1], v[6:7], v[2:3]
	v_xor_b32_e32 v3, 0x80000000, v3
.LBB126_815:
	s_andn2_saveexec_b64 s[12:13], s[12:13]
	s_cbranch_execz .LBB126_817
; %bb.816:
	v_div_scale_f64 v[6:7], s[4:5], v[0:1], v[0:1], v[2:3]
	v_rcp_f64_e32 v[16:17], v[6:7]
	v_div_scale_f64 v[18:19], vcc, v[2:3], v[0:1], v[2:3]
	v_fma_f64 v[20:21], -v[6:7], v[16:17], 1.0
	v_fmac_f64_e32 v[16:17], v[16:17], v[20:21]
	v_fma_f64 v[20:21], -v[6:7], v[16:17], 1.0
	v_fmac_f64_e32 v[16:17], v[16:17], v[20:21]
	v_mul_f64 v[20:21], v[18:19], v[16:17]
	v_fma_f64 v[6:7], -v[6:7], v[20:21], v[18:19]
	v_div_fmas_f64 v[6:7], v[6:7], v[16:17], v[20:21]
	v_div_fixup_f64 v[6:7], v[6:7], v[0:1], v[2:3]
	v_fmac_f64_e32 v[0:1], v[2:3], v[6:7]
	v_div_scale_f64 v[2:3], s[4:5], v[0:1], v[0:1], 1.0
	v_rcp_f64_e32 v[16:17], v[2:3]
	s_nop 0
	v_fma_f64 v[18:19], -v[2:3], v[16:17], 1.0
	v_fmac_f64_e32 v[16:17], v[16:17], v[18:19]
	v_fma_f64 v[18:19], -v[2:3], v[16:17], 1.0
	v_fmac_f64_e32 v[16:17], v[16:17], v[18:19]
	v_div_scale_f64 v[18:19], vcc, 1.0, v[0:1], 1.0
	v_mul_f64 v[20:21], v[18:19], v[16:17]
	v_fma_f64 v[2:3], -v[2:3], v[20:21], v[18:19]
	s_nop 1
	v_div_fmas_f64 v[2:3], v[2:3], v[16:17], v[20:21]
	v_div_fixup_f64 v[0:1], v[2:3], v[0:1], 1.0
	v_mul_f64 v[2:3], v[6:7], -v[0:1]
.LBB126_817:
	s_or_b64 exec, exec, s[12:13]
.LBB126_818:
	s_or_b64 exec, exec, s[0:1]
	v_cmp_ne_u32_e32 vcc, v15, v4
	s_and_saveexec_b64 s[0:1], vcc
	s_xor_b64 s[0:1], exec, s[0:1]
	s_cbranch_execz .LBB126_824
; %bb.819:
	v_cmp_eq_u32_e32 vcc, 33, v15
	s_and_saveexec_b64 s[12:13], vcc
	s_cbranch_execz .LBB126_823
; %bb.820:
	v_cmp_ne_u32_e32 vcc, 33, v4
	s_xor_b64 s[4:5], s[8:9], -1
	s_and_b64 s[4:5], s[4:5], vcc
	s_and_saveexec_b64 s[14:15], s[4:5]
	s_cbranch_execz .LBB126_822
; %bb.821:
	v_ashrrev_i32_e32 v5, 31, v4
	v_lshl_add_u64 v[6:7], v[4:5], 2, v[10:11]
	global_load_dword v5, v[6:7], off
	global_load_dword v14, v[10:11], off offset:132
	s_waitcnt vmcnt(1)
	global_store_dword v[10:11], v5, off offset:132
	s_waitcnt vmcnt(1)
	global_store_dword v[6:7], v14, off
.LBB126_822:
	s_or_b64 exec, exec, s[14:15]
	v_mov_b32_e32 v15, v4
	v_mov_b32_e32 v14, v4
.LBB126_823:
	s_or_b64 exec, exec, s[12:13]
.LBB126_824:
	s_andn2_saveexec_b64 s[0:1], s[0:1]
	s_cbranch_execz .LBB126_826
; %bb.825:
	scratch_load_dwordx4 v[4:7], off, s51
	v_mov_b32_e32 v15, 33
	s_waitcnt vmcnt(0)
	ds_write2_b64 v12, v[4:5], v[6:7] offset0:68 offset1:69
	scratch_load_dwordx4 v[4:7], off, s48
	s_waitcnt vmcnt(0)
	ds_write2_b64 v12, v[4:5], v[6:7] offset0:70 offset1:71
	scratch_load_dwordx4 v[4:7], off, s47
	;; [unrolled: 3-line block ×29, first 2 shown]
	s_waitcnt vmcnt(0)
	ds_write2_b64 v12, v[4:5], v[6:7] offset0:126 offset1:127
.LBB126_826:
	s_or_b64 exec, exec, s[0:1]
	v_cmp_lt_i32_e32 vcc, 33, v15
	s_waitcnt lgkmcnt(0)
	s_barrier
	s_and_saveexec_b64 s[0:1], vcc
	s_cbranch_execz .LBB126_828
; %bb.827:
	scratch_load_dwordx4 v[4:7], off, off offset:528
	s_waitcnt vmcnt(0)
	v_mul_f64 v[16:17], v[2:3], v[6:7]
	v_mul_f64 v[18:19], v[0:1], v[6:7]
	v_fma_f64 v[16:17], v[0:1], v[4:5], -v[16:17]
	v_fmac_f64_e32 v[18:19], v[2:3], v[4:5]
	ds_read2_b64 v[0:3], v12 offset0:68 offset1:69
	scratch_store_dwordx4 off, v[16:19], off offset:528
	s_waitcnt lgkmcnt(0)
	v_mul_f64 v[4:5], v[2:3], v[18:19]
	v_mul_f64 v[6:7], v[0:1], v[18:19]
	v_fma_f64 v[4:5], v[0:1], v[16:17], -v[4:5]
	v_fmac_f64_e32 v[6:7], v[2:3], v[16:17]
	scratch_load_dwordx4 v[0:3], off, off offset:544
	s_waitcnt vmcnt(0)
	v_add_f64 v[0:1], v[0:1], -v[4:5]
	v_add_f64 v[2:3], v[2:3], -v[6:7]
	scratch_store_dwordx4 off, v[0:3], off offset:544
	ds_read2_b64 v[0:3], v12 offset0:70 offset1:71
	s_waitcnt lgkmcnt(0)
	v_mul_f64 v[4:5], v[2:3], v[18:19]
	v_mul_f64 v[6:7], v[0:1], v[18:19]
	v_fma_f64 v[4:5], v[0:1], v[16:17], -v[4:5]
	v_fmac_f64_e32 v[6:7], v[2:3], v[16:17]
	scratch_load_dwordx4 v[0:3], off, off offset:560
	s_waitcnt vmcnt(0)
	v_add_f64 v[0:1], v[0:1], -v[4:5]
	v_add_f64 v[2:3], v[2:3], -v[6:7]
	scratch_store_dwordx4 off, v[0:3], off offset:560
	ds_read2_b64 v[0:3], v12 offset0:72 offset1:73
	;; [unrolled: 11-line block ×6, first 2 shown]
	scratch_load_dwordx2 v[16:17], off, off offset:528
	scratch_load_dwordx4 v[0:3], off, off offset:528
	s_waitcnt vmcnt(0) lgkmcnt(0)
	v_mul_f64 v[18:19], v[6:7], v[2:3]
	v_mul_f64 v[20:21], v[4:5], v[2:3]
	v_fma_f64 v[18:19], v[4:5], v[16:17], -v[18:19]
	v_fmac_f64_e32 v[20:21], v[6:7], v[16:17]
	scratch_load_dwordx4 v[4:7], off, off offset:640
	s_waitcnt vmcnt(0)
	v_add_f64 v[4:5], v[4:5], -v[18:19]
	v_add_f64 v[6:7], v[6:7], -v[20:21]
	scratch_store_dwordx4 off, v[4:7], off offset:640
	ds_read2_b64 v[4:7], v12 offset0:82 offset1:83
	s_waitcnt lgkmcnt(0)
	v_mul_f64 v[18:19], v[6:7], v[2:3]
	v_mul_f64 v[20:21], v[4:5], v[2:3]
	v_fma_f64 v[18:19], v[4:5], v[16:17], -v[18:19]
	v_fmac_f64_e32 v[20:21], v[6:7], v[16:17]
	scratch_load_dwordx4 v[4:7], off, off offset:656
	s_waitcnt vmcnt(0)
	v_add_f64 v[4:5], v[4:5], -v[18:19]
	v_add_f64 v[6:7], v[6:7], -v[20:21]
	scratch_store_dwordx4 off, v[4:7], off offset:656
	ds_read2_b64 v[4:7], v12 offset0:84 offset1:85
	s_waitcnt lgkmcnt(0)
	;; [unrolled: 11-line block ×5, first 2 shown]
	v_mul_f64 v[18:19], v[6:7], v[2:3]
	v_fma_f64 v[18:19], v[4:5], v[16:17], -v[18:19]
	v_mul_f64 v[20:21], v[4:5], v[2:3]
	scratch_load_dwordx4 v[2:5], off, off offset:720
	v_fmac_f64_e32 v[20:21], v[6:7], v[16:17]
	s_waitcnt vmcnt(0)
	v_add_f64 v[2:3], v[2:3], -v[18:19]
	v_add_f64 v[4:5], v[4:5], -v[20:21]
	scratch_store_dwordx4 off, v[2:5], off offset:720
	ds_read2_b64 v[2:5], v12 offset0:92 offset1:93
	scratch_load_dwordx2 v[6:7], off, off offset:528
	scratch_load_dwordx2 v[16:17], off, off offset:536
	s_waitcnt vmcnt(0) lgkmcnt(0)
	v_mul_f64 v[18:19], v[4:5], v[16:17]
	v_mul_f64 v[20:21], v[2:3], v[16:17]
	v_fma_f64 v[18:19], v[2:3], v[6:7], -v[18:19]
	v_fmac_f64_e32 v[20:21], v[4:5], v[6:7]
	scratch_load_dwordx4 v[2:5], off, off offset:736
	s_waitcnt vmcnt(0)
	v_add_f64 v[2:3], v[2:3], -v[18:19]
	v_add_f64 v[4:5], v[4:5], -v[20:21]
	scratch_store_dwordx4 off, v[2:5], off offset:736
	ds_read2_b64 v[2:5], v12 offset0:94 offset1:95
	s_waitcnt lgkmcnt(0)
	v_mul_f64 v[18:19], v[4:5], v[16:17]
	v_mul_f64 v[20:21], v[2:3], v[16:17]
	v_fma_f64 v[18:19], v[2:3], v[6:7], -v[18:19]
	v_fmac_f64_e32 v[20:21], v[4:5], v[6:7]
	scratch_load_dwordx4 v[2:5], off, off offset:752
	s_waitcnt vmcnt(0)
	v_add_f64 v[2:3], v[2:3], -v[18:19]
	v_add_f64 v[4:5], v[4:5], -v[20:21]
	scratch_store_dwordx4 off, v[2:5], off offset:752
	ds_read2_b64 v[2:5], v12 offset0:96 offset1:97
	s_waitcnt lgkmcnt(0)
	;; [unrolled: 11-line block ×5, first 2 shown]
	v_mul_f64 v[18:19], v[4:5], v[16:17]
	v_mul_f64 v[16:17], v[2:3], v[16:17]
	v_fma_f64 v[18:19], v[2:3], v[6:7], -v[18:19]
	v_fmac_f64_e32 v[16:17], v[4:5], v[6:7]
	scratch_load_dwordx4 v[2:5], off, off offset:816
	s_waitcnt vmcnt(0)
	v_add_f64 v[2:3], v[2:3], -v[18:19]
	v_add_f64 v[4:5], v[4:5], -v[16:17]
	scratch_store_dwordx4 off, v[2:5], off offset:816
	ds_read2_b64 v[2:5], v12 offset0:104 offset1:105
	scratch_load_dwordx2 v[6:7], off, off offset:528
	scratch_load_dwordx2 v[16:17], off, off offset:536
	s_waitcnt vmcnt(0) lgkmcnt(0)
	v_mul_f64 v[18:19], v[4:5], v[16:17]
	v_mul_f64 v[20:21], v[2:3], v[16:17]
	v_fma_f64 v[18:19], v[2:3], v[6:7], -v[18:19]
	v_fmac_f64_e32 v[20:21], v[4:5], v[6:7]
	scratch_load_dwordx4 v[2:5], off, off offset:832
	s_waitcnt vmcnt(0)
	v_add_f64 v[2:3], v[2:3], -v[18:19]
	v_add_f64 v[4:5], v[4:5], -v[20:21]
	scratch_store_dwordx4 off, v[2:5], off offset:832
	ds_read2_b64 v[2:5], v12 offset0:106 offset1:107
	s_waitcnt lgkmcnt(0)
	v_mul_f64 v[18:19], v[4:5], v[16:17]
	v_mul_f64 v[20:21], v[2:3], v[16:17]
	v_fma_f64 v[18:19], v[2:3], v[6:7], -v[18:19]
	v_fmac_f64_e32 v[20:21], v[4:5], v[6:7]
	scratch_load_dwordx4 v[2:5], off, off offset:848
	s_waitcnt vmcnt(0)
	v_add_f64 v[2:3], v[2:3], -v[18:19]
	v_add_f64 v[4:5], v[4:5], -v[20:21]
	scratch_store_dwordx4 off, v[2:5], off offset:848
	ds_read2_b64 v[2:5], v12 offset0:108 offset1:109
	s_waitcnt lgkmcnt(0)
	;; [unrolled: 11-line block ×5, first 2 shown]
	v_mul_f64 v[18:19], v[4:5], v[16:17]
	v_mul_f64 v[16:17], v[2:3], v[16:17]
	v_fma_f64 v[18:19], v[2:3], v[6:7], -v[18:19]
	v_fmac_f64_e32 v[16:17], v[4:5], v[6:7]
	scratch_load_dwordx4 v[2:5], off, off offset:912
	scratch_load_dwordx2 v[6:7], off, off offset:536
	s_waitcnt vmcnt(1)
	v_add_f64 v[2:3], v[2:3], -v[18:19]
	v_add_f64 v[4:5], v[4:5], -v[16:17]
	scratch_store_dwordx4 off, v[2:5], off offset:912
	ds_read2_b64 v[2:5], v12 offset0:116 offset1:117
	s_waitcnt vmcnt(1) lgkmcnt(0)
	v_mul_f64 v[16:17], v[4:5], v[6:7]
	v_mul_f64 v[18:19], v[2:3], v[6:7]
	v_fma_f64 v[16:17], v[2:3], v[0:1], -v[16:17]
	v_fmac_f64_e32 v[18:19], v[4:5], v[0:1]
	scratch_load_dwordx4 v[2:5], off, off offset:928
	s_waitcnt vmcnt(0)
	v_add_f64 v[2:3], v[2:3], -v[16:17]
	v_add_f64 v[4:5], v[4:5], -v[18:19]
	scratch_store_dwordx4 off, v[2:5], off offset:928
	ds_read2_b64 v[2:5], v12 offset0:118 offset1:119
	s_waitcnt lgkmcnt(0)
	v_mul_f64 v[16:17], v[4:5], v[6:7]
	v_mul_f64 v[18:19], v[2:3], v[6:7]
	v_fma_f64 v[16:17], v[2:3], v[0:1], -v[16:17]
	v_fmac_f64_e32 v[18:19], v[4:5], v[0:1]
	scratch_load_dwordx4 v[2:5], off, off offset:944
	s_waitcnt vmcnt(0)
	v_add_f64 v[2:3], v[2:3], -v[16:17]
	v_add_f64 v[4:5], v[4:5], -v[18:19]
	scratch_store_dwordx4 off, v[2:5], off offset:944
	ds_read2_b64 v[2:5], v12 offset0:120 offset1:121
	s_waitcnt lgkmcnt(0)
	;; [unrolled: 11-line block ×5, first 2 shown]
	v_mul_f64 v[16:17], v[4:5], v[6:7]
	v_mul_f64 v[6:7], v[2:3], v[6:7]
	v_fma_f64 v[16:17], v[2:3], v[0:1], -v[16:17]
	v_fmac_f64_e32 v[6:7], v[4:5], v[0:1]
	scratch_load_dwordx4 v[0:3], off, off offset:1008
	s_waitcnt vmcnt(0)
	v_add_f64 v[0:1], v[0:1], -v[16:17]
	v_add_f64 v[2:3], v[2:3], -v[6:7]
	scratch_store_dwordx4 off, v[0:3], off offset:1008
.LBB126_828:
	s_or_b64 exec, exec, s[0:1]
	s_barrier
	scratch_load_dwordx4 v[0:3], off, s51
	v_lshl_add_u32 v4, v15, 4, v12
	s_cmp_lt_i32 s67, 36
	s_waitcnt vmcnt(0)
	ds_write2_b64 v4, v[0:1], v[2:3] offset1:1
	s_waitcnt lgkmcnt(0)
	s_barrier
	ds_read2_b64 v[0:3], v12 offset0:68 offset1:69
	v_mov_b32_e32 v4, 34
	s_cbranch_scc1 .LBB126_831
; %bb.829:
	v_add_u32_e32 v5, 0x230, v12
	s_mov_b32 s4, 35
	v_mov_b32_e32 v4, 34
.LBB126_830:                            ; =>This Inner Loop Header: Depth=1
	ds_read2_b64 v[16:19], v5 offset1:1
	s_waitcnt lgkmcnt(1)
	v_xor_b32_e32 v7, 0x80000000, v1
	v_xor_b32_e32 v21, 0x80000000, v3
	v_cmp_gt_f64_e32 vcc, 0, v[2:3]
	v_cmp_gt_f64_e64 s[0:1], 0, v[0:1]
	v_mov_b32_e32 v6, v0
	v_mov_b32_e32 v20, v2
	v_cndmask_b32_e64 v7, v1, v7, s[0:1]
	v_cndmask_b32_e32 v21, v3, v21, vcc
	v_add_f64 v[6:7], v[6:7], v[20:21]
	s_waitcnt lgkmcnt(0)
	v_xor_b32_e32 v21, 0x80000000, v17
	v_xor_b32_e32 v23, 0x80000000, v19
	v_cmp_gt_f64_e32 vcc, 0, v[18:19]
	v_cmp_gt_f64_e64 s[0:1], 0, v[16:17]
	v_mov_b32_e32 v20, v16
	v_mov_b32_e32 v22, v18
	v_cndmask_b32_e64 v21, v17, v21, s[0:1]
	v_cndmask_b32_e32 v23, v19, v23, vcc
	v_add_f64 v[20:21], v[20:21], v[22:23]
	v_mov_b32_e32 v24, s4
	s_add_i32 s4, s4, 1
	v_cmp_lt_f64_e32 vcc, v[6:7], v[20:21]
	v_add_u32_e32 v5, 16, v5
	s_cmp_lg_u32 s67, s4
	v_cndmask_b32_e32 v1, v1, v17, vcc
	v_cndmask_b32_e32 v0, v0, v16, vcc
	;; [unrolled: 1-line block ×5, first 2 shown]
	s_cbranch_scc1 .LBB126_830
.LBB126_831:
	s_waitcnt lgkmcnt(0)
	v_cmp_eq_f64_e32 vcc, 0, v[0:1]
	v_cmp_eq_f64_e64 s[0:1], 0, v[2:3]
	s_and_b64 s[0:1], vcc, s[0:1]
	s_and_saveexec_b64 s[4:5], s[0:1]
	s_xor_b64 s[0:1], exec, s[4:5]
; %bb.832:
	v_cmp_ne_u32_e32 vcc, 0, v13
	s_nop 1
	v_cndmask_b32_e32 v13, 35, v13, vcc
; %bb.833:
	s_andn2_saveexec_b64 s[0:1], s[0:1]
	s_cbranch_execz .LBB126_839
; %bb.834:
	v_cmp_ngt_f64_e64 s[4:5], |v[0:1]|, |v[2:3]|
	s_and_saveexec_b64 s[12:13], s[4:5]
	s_xor_b64 s[12:13], exec, s[12:13]
	s_cbranch_execz .LBB126_836
; %bb.835:
	v_div_scale_f64 v[6:7], s[4:5], v[2:3], v[2:3], v[0:1]
	v_rcp_f64_e32 v[16:17], v[6:7]
	v_div_scale_f64 v[18:19], vcc, v[0:1], v[2:3], v[0:1]
	v_fma_f64 v[20:21], -v[6:7], v[16:17], 1.0
	v_fmac_f64_e32 v[16:17], v[16:17], v[20:21]
	v_fma_f64 v[20:21], -v[6:7], v[16:17], 1.0
	v_fmac_f64_e32 v[16:17], v[16:17], v[20:21]
	v_mul_f64 v[20:21], v[18:19], v[16:17]
	v_fma_f64 v[6:7], -v[6:7], v[20:21], v[18:19]
	v_div_fmas_f64 v[6:7], v[6:7], v[16:17], v[20:21]
	v_div_fixup_f64 v[6:7], v[6:7], v[2:3], v[0:1]
	v_fmac_f64_e32 v[2:3], v[0:1], v[6:7]
	v_div_scale_f64 v[0:1], s[4:5], v[2:3], v[2:3], 1.0
	v_rcp_f64_e32 v[16:17], v[0:1]
	s_nop 0
	v_fma_f64 v[18:19], -v[0:1], v[16:17], 1.0
	v_fmac_f64_e32 v[16:17], v[16:17], v[18:19]
	v_fma_f64 v[18:19], -v[0:1], v[16:17], 1.0
	v_fmac_f64_e32 v[16:17], v[16:17], v[18:19]
	v_div_scale_f64 v[18:19], vcc, 1.0, v[2:3], 1.0
	v_mul_f64 v[20:21], v[18:19], v[16:17]
	v_fma_f64 v[0:1], -v[0:1], v[20:21], v[18:19]
	s_nop 1
	v_div_fmas_f64 v[0:1], v[0:1], v[16:17], v[20:21]
	v_div_fixup_f64 v[2:3], v[0:1], v[2:3], 1.0
	v_mul_f64 v[0:1], v[6:7], v[2:3]
	v_xor_b32_e32 v3, 0x80000000, v3
.LBB126_836:
	s_andn2_saveexec_b64 s[12:13], s[12:13]
	s_cbranch_execz .LBB126_838
; %bb.837:
	v_div_scale_f64 v[6:7], s[4:5], v[0:1], v[0:1], v[2:3]
	v_rcp_f64_e32 v[16:17], v[6:7]
	v_div_scale_f64 v[18:19], vcc, v[2:3], v[0:1], v[2:3]
	v_fma_f64 v[20:21], -v[6:7], v[16:17], 1.0
	v_fmac_f64_e32 v[16:17], v[16:17], v[20:21]
	v_fma_f64 v[20:21], -v[6:7], v[16:17], 1.0
	v_fmac_f64_e32 v[16:17], v[16:17], v[20:21]
	v_mul_f64 v[20:21], v[18:19], v[16:17]
	v_fma_f64 v[6:7], -v[6:7], v[20:21], v[18:19]
	v_div_fmas_f64 v[6:7], v[6:7], v[16:17], v[20:21]
	v_div_fixup_f64 v[6:7], v[6:7], v[0:1], v[2:3]
	v_fmac_f64_e32 v[0:1], v[2:3], v[6:7]
	v_div_scale_f64 v[2:3], s[4:5], v[0:1], v[0:1], 1.0
	v_rcp_f64_e32 v[16:17], v[2:3]
	s_nop 0
	v_fma_f64 v[18:19], -v[2:3], v[16:17], 1.0
	v_fmac_f64_e32 v[16:17], v[16:17], v[18:19]
	v_fma_f64 v[18:19], -v[2:3], v[16:17], 1.0
	v_fmac_f64_e32 v[16:17], v[16:17], v[18:19]
	v_div_scale_f64 v[18:19], vcc, 1.0, v[0:1], 1.0
	v_mul_f64 v[20:21], v[18:19], v[16:17]
	v_fma_f64 v[2:3], -v[2:3], v[20:21], v[18:19]
	s_nop 1
	v_div_fmas_f64 v[2:3], v[2:3], v[16:17], v[20:21]
	v_div_fixup_f64 v[0:1], v[2:3], v[0:1], 1.0
	v_mul_f64 v[2:3], v[6:7], -v[0:1]
.LBB126_838:
	s_or_b64 exec, exec, s[12:13]
.LBB126_839:
	s_or_b64 exec, exec, s[0:1]
	v_cmp_ne_u32_e32 vcc, v15, v4
	s_and_saveexec_b64 s[0:1], vcc
	s_xor_b64 s[0:1], exec, s[0:1]
	s_cbranch_execz .LBB126_845
; %bb.840:
	v_cmp_eq_u32_e32 vcc, 34, v15
	s_and_saveexec_b64 s[12:13], vcc
	s_cbranch_execz .LBB126_844
; %bb.841:
	v_cmp_ne_u32_e32 vcc, 34, v4
	s_xor_b64 s[4:5], s[8:9], -1
	s_and_b64 s[4:5], s[4:5], vcc
	s_and_saveexec_b64 s[14:15], s[4:5]
	s_cbranch_execz .LBB126_843
; %bb.842:
	v_ashrrev_i32_e32 v5, 31, v4
	v_lshl_add_u64 v[6:7], v[4:5], 2, v[10:11]
	global_load_dword v5, v[6:7], off
	global_load_dword v14, v[10:11], off offset:136
	s_waitcnt vmcnt(1)
	global_store_dword v[10:11], v5, off offset:136
	s_waitcnt vmcnt(1)
	global_store_dword v[6:7], v14, off
.LBB126_843:
	s_or_b64 exec, exec, s[14:15]
	v_mov_b32_e32 v15, v4
	v_mov_b32_e32 v14, v4
.LBB126_844:
	s_or_b64 exec, exec, s[12:13]
.LBB126_845:
	s_andn2_saveexec_b64 s[0:1], s[0:1]
	s_cbranch_execz .LBB126_847
; %bb.846:
	scratch_load_dwordx4 v[4:7], off, s48
	v_mov_b32_e32 v15, 34
	s_waitcnt vmcnt(0)
	ds_write2_b64 v12, v[4:5], v[6:7] offset0:70 offset1:71
	scratch_load_dwordx4 v[4:7], off, s47
	s_waitcnt vmcnt(0)
	ds_write2_b64 v12, v[4:5], v[6:7] offset0:72 offset1:73
	scratch_load_dwordx4 v[4:7], off, s46
	;; [unrolled: 3-line block ×28, first 2 shown]
	s_waitcnt vmcnt(0)
	ds_write2_b64 v12, v[4:5], v[6:7] offset0:126 offset1:127
.LBB126_847:
	s_or_b64 exec, exec, s[0:1]
	v_cmp_lt_i32_e32 vcc, 34, v15
	s_waitcnt lgkmcnt(0)
	s_barrier
	s_and_saveexec_b64 s[0:1], vcc
	s_cbranch_execz .LBB126_849
; %bb.848:
	scratch_load_dwordx4 v[4:7], off, off offset:544
	s_waitcnt vmcnt(0)
	v_mul_f64 v[16:17], v[2:3], v[6:7]
	v_mul_f64 v[18:19], v[0:1], v[6:7]
	v_fma_f64 v[16:17], v[0:1], v[4:5], -v[16:17]
	v_fmac_f64_e32 v[18:19], v[2:3], v[4:5]
	ds_read2_b64 v[0:3], v12 offset0:70 offset1:71
	scratch_store_dwordx4 off, v[16:19], off offset:544
	s_waitcnt lgkmcnt(0)
	v_mul_f64 v[4:5], v[2:3], v[18:19]
	v_mul_f64 v[6:7], v[0:1], v[18:19]
	v_fma_f64 v[4:5], v[0:1], v[16:17], -v[4:5]
	v_fmac_f64_e32 v[6:7], v[2:3], v[16:17]
	scratch_load_dwordx4 v[0:3], off, off offset:560
	s_waitcnt vmcnt(0)
	v_add_f64 v[0:1], v[0:1], -v[4:5]
	v_add_f64 v[2:3], v[2:3], -v[6:7]
	scratch_store_dwordx4 off, v[0:3], off offset:560
	ds_read2_b64 v[0:3], v12 offset0:72 offset1:73
	s_waitcnt lgkmcnt(0)
	v_mul_f64 v[4:5], v[2:3], v[18:19]
	v_mul_f64 v[6:7], v[0:1], v[18:19]
	v_fma_f64 v[4:5], v[0:1], v[16:17], -v[4:5]
	v_fmac_f64_e32 v[6:7], v[2:3], v[16:17]
	scratch_load_dwordx4 v[0:3], off, off offset:576
	s_waitcnt vmcnt(0)
	v_add_f64 v[0:1], v[0:1], -v[4:5]
	v_add_f64 v[2:3], v[2:3], -v[6:7]
	scratch_store_dwordx4 off, v[0:3], off offset:576
	ds_read2_b64 v[0:3], v12 offset0:74 offset1:75
	;; [unrolled: 11-line block ×6, first 2 shown]
	scratch_load_dwordx2 v[16:17], off, off offset:544
	scratch_load_dwordx4 v[0:3], off, off offset:544
	s_waitcnt vmcnt(0) lgkmcnt(0)
	v_mul_f64 v[18:19], v[6:7], v[2:3]
	v_mul_f64 v[20:21], v[4:5], v[2:3]
	v_fma_f64 v[18:19], v[4:5], v[16:17], -v[18:19]
	v_fmac_f64_e32 v[20:21], v[6:7], v[16:17]
	scratch_load_dwordx4 v[4:7], off, off offset:656
	s_waitcnt vmcnt(0)
	v_add_f64 v[4:5], v[4:5], -v[18:19]
	v_add_f64 v[6:7], v[6:7], -v[20:21]
	scratch_store_dwordx4 off, v[4:7], off offset:656
	ds_read2_b64 v[4:7], v12 offset0:84 offset1:85
	s_waitcnt lgkmcnt(0)
	v_mul_f64 v[18:19], v[6:7], v[2:3]
	v_mul_f64 v[20:21], v[4:5], v[2:3]
	v_fma_f64 v[18:19], v[4:5], v[16:17], -v[18:19]
	v_fmac_f64_e32 v[20:21], v[6:7], v[16:17]
	scratch_load_dwordx4 v[4:7], off, off offset:672
	s_waitcnt vmcnt(0)
	v_add_f64 v[4:5], v[4:5], -v[18:19]
	v_add_f64 v[6:7], v[6:7], -v[20:21]
	scratch_store_dwordx4 off, v[4:7], off offset:672
	ds_read2_b64 v[4:7], v12 offset0:86 offset1:87
	s_waitcnt lgkmcnt(0)
	;; [unrolled: 11-line block ×5, first 2 shown]
	v_mul_f64 v[18:19], v[6:7], v[2:3]
	v_fma_f64 v[18:19], v[4:5], v[16:17], -v[18:19]
	v_mul_f64 v[20:21], v[4:5], v[2:3]
	scratch_load_dwordx4 v[2:5], off, off offset:736
	v_fmac_f64_e32 v[20:21], v[6:7], v[16:17]
	s_waitcnt vmcnt(0)
	v_add_f64 v[2:3], v[2:3], -v[18:19]
	v_add_f64 v[4:5], v[4:5], -v[20:21]
	scratch_store_dwordx4 off, v[2:5], off offset:736
	ds_read2_b64 v[2:5], v12 offset0:94 offset1:95
	scratch_load_dwordx2 v[6:7], off, off offset:544
	scratch_load_dwordx2 v[16:17], off, off offset:552
	s_waitcnt vmcnt(0) lgkmcnt(0)
	v_mul_f64 v[18:19], v[4:5], v[16:17]
	v_mul_f64 v[20:21], v[2:3], v[16:17]
	v_fma_f64 v[18:19], v[2:3], v[6:7], -v[18:19]
	v_fmac_f64_e32 v[20:21], v[4:5], v[6:7]
	scratch_load_dwordx4 v[2:5], off, off offset:752
	s_waitcnt vmcnt(0)
	v_add_f64 v[2:3], v[2:3], -v[18:19]
	v_add_f64 v[4:5], v[4:5], -v[20:21]
	scratch_store_dwordx4 off, v[2:5], off offset:752
	ds_read2_b64 v[2:5], v12 offset0:96 offset1:97
	s_waitcnt lgkmcnt(0)
	v_mul_f64 v[18:19], v[4:5], v[16:17]
	v_mul_f64 v[20:21], v[2:3], v[16:17]
	v_fma_f64 v[18:19], v[2:3], v[6:7], -v[18:19]
	v_fmac_f64_e32 v[20:21], v[4:5], v[6:7]
	scratch_load_dwordx4 v[2:5], off, off offset:768
	s_waitcnt vmcnt(0)
	v_add_f64 v[2:3], v[2:3], -v[18:19]
	v_add_f64 v[4:5], v[4:5], -v[20:21]
	scratch_store_dwordx4 off, v[2:5], off offset:768
	ds_read2_b64 v[2:5], v12 offset0:98 offset1:99
	s_waitcnt lgkmcnt(0)
	;; [unrolled: 11-line block ×5, first 2 shown]
	v_mul_f64 v[18:19], v[4:5], v[16:17]
	v_mul_f64 v[16:17], v[2:3], v[16:17]
	v_fma_f64 v[18:19], v[2:3], v[6:7], -v[18:19]
	v_fmac_f64_e32 v[16:17], v[4:5], v[6:7]
	scratch_load_dwordx4 v[2:5], off, off offset:832
	s_waitcnt vmcnt(0)
	v_add_f64 v[2:3], v[2:3], -v[18:19]
	v_add_f64 v[4:5], v[4:5], -v[16:17]
	scratch_store_dwordx4 off, v[2:5], off offset:832
	ds_read2_b64 v[2:5], v12 offset0:106 offset1:107
	scratch_load_dwordx2 v[6:7], off, off offset:544
	scratch_load_dwordx2 v[16:17], off, off offset:552
	s_waitcnt vmcnt(0) lgkmcnt(0)
	v_mul_f64 v[18:19], v[4:5], v[16:17]
	v_mul_f64 v[20:21], v[2:3], v[16:17]
	v_fma_f64 v[18:19], v[2:3], v[6:7], -v[18:19]
	v_fmac_f64_e32 v[20:21], v[4:5], v[6:7]
	scratch_load_dwordx4 v[2:5], off, off offset:848
	s_waitcnt vmcnt(0)
	v_add_f64 v[2:3], v[2:3], -v[18:19]
	v_add_f64 v[4:5], v[4:5], -v[20:21]
	scratch_store_dwordx4 off, v[2:5], off offset:848
	ds_read2_b64 v[2:5], v12 offset0:108 offset1:109
	s_waitcnt lgkmcnt(0)
	v_mul_f64 v[18:19], v[4:5], v[16:17]
	v_mul_f64 v[20:21], v[2:3], v[16:17]
	v_fma_f64 v[18:19], v[2:3], v[6:7], -v[18:19]
	v_fmac_f64_e32 v[20:21], v[4:5], v[6:7]
	scratch_load_dwordx4 v[2:5], off, off offset:864
	s_waitcnt vmcnt(0)
	v_add_f64 v[2:3], v[2:3], -v[18:19]
	v_add_f64 v[4:5], v[4:5], -v[20:21]
	scratch_store_dwordx4 off, v[2:5], off offset:864
	ds_read2_b64 v[2:5], v12 offset0:110 offset1:111
	s_waitcnt lgkmcnt(0)
	;; [unrolled: 11-line block ×5, first 2 shown]
	v_mul_f64 v[18:19], v[4:5], v[16:17]
	v_mul_f64 v[16:17], v[2:3], v[16:17]
	v_fma_f64 v[18:19], v[2:3], v[6:7], -v[18:19]
	v_fmac_f64_e32 v[16:17], v[4:5], v[6:7]
	scratch_load_dwordx4 v[2:5], off, off offset:928
	scratch_load_dwordx2 v[6:7], off, off offset:552
	s_waitcnt vmcnt(1)
	v_add_f64 v[2:3], v[2:3], -v[18:19]
	v_add_f64 v[4:5], v[4:5], -v[16:17]
	scratch_store_dwordx4 off, v[2:5], off offset:928
	ds_read2_b64 v[2:5], v12 offset0:118 offset1:119
	s_waitcnt vmcnt(1) lgkmcnt(0)
	v_mul_f64 v[16:17], v[4:5], v[6:7]
	v_mul_f64 v[18:19], v[2:3], v[6:7]
	v_fma_f64 v[16:17], v[2:3], v[0:1], -v[16:17]
	v_fmac_f64_e32 v[18:19], v[4:5], v[0:1]
	scratch_load_dwordx4 v[2:5], off, off offset:944
	s_waitcnt vmcnt(0)
	v_add_f64 v[2:3], v[2:3], -v[16:17]
	v_add_f64 v[4:5], v[4:5], -v[18:19]
	scratch_store_dwordx4 off, v[2:5], off offset:944
	ds_read2_b64 v[2:5], v12 offset0:120 offset1:121
	s_waitcnt lgkmcnt(0)
	v_mul_f64 v[16:17], v[4:5], v[6:7]
	v_mul_f64 v[18:19], v[2:3], v[6:7]
	v_fma_f64 v[16:17], v[2:3], v[0:1], -v[16:17]
	v_fmac_f64_e32 v[18:19], v[4:5], v[0:1]
	scratch_load_dwordx4 v[2:5], off, off offset:960
	s_waitcnt vmcnt(0)
	v_add_f64 v[2:3], v[2:3], -v[16:17]
	v_add_f64 v[4:5], v[4:5], -v[18:19]
	scratch_store_dwordx4 off, v[2:5], off offset:960
	ds_read2_b64 v[2:5], v12 offset0:122 offset1:123
	s_waitcnt lgkmcnt(0)
	;; [unrolled: 11-line block ×4, first 2 shown]
	v_mul_f64 v[16:17], v[4:5], v[6:7]
	v_mul_f64 v[6:7], v[2:3], v[6:7]
	v_fma_f64 v[16:17], v[2:3], v[0:1], -v[16:17]
	v_fmac_f64_e32 v[6:7], v[4:5], v[0:1]
	scratch_load_dwordx4 v[0:3], off, off offset:1008
	s_waitcnt vmcnt(0)
	v_add_f64 v[0:1], v[0:1], -v[16:17]
	v_add_f64 v[2:3], v[2:3], -v[6:7]
	scratch_store_dwordx4 off, v[0:3], off offset:1008
.LBB126_849:
	s_or_b64 exec, exec, s[0:1]
	s_barrier
	scratch_load_dwordx4 v[0:3], off, s48
	v_lshl_add_u32 v4, v15, 4, v12
	s_cmp_lt_i32 s67, 37
	s_waitcnt vmcnt(0)
	ds_write2_b64 v4, v[0:1], v[2:3] offset1:1
	s_waitcnt lgkmcnt(0)
	s_barrier
	ds_read2_b64 v[0:3], v12 offset0:70 offset1:71
	v_mov_b32_e32 v4, 35
	s_cbranch_scc1 .LBB126_852
; %bb.850:
	v_add_u32_e32 v5, 0x240, v12
	s_mov_b32 s4, 36
	v_mov_b32_e32 v4, 35
.LBB126_851:                            ; =>This Inner Loop Header: Depth=1
	ds_read2_b64 v[16:19], v5 offset1:1
	s_waitcnt lgkmcnt(1)
	v_xor_b32_e32 v7, 0x80000000, v1
	v_xor_b32_e32 v21, 0x80000000, v3
	v_cmp_gt_f64_e32 vcc, 0, v[2:3]
	v_cmp_gt_f64_e64 s[0:1], 0, v[0:1]
	v_mov_b32_e32 v6, v0
	v_mov_b32_e32 v20, v2
	v_cndmask_b32_e64 v7, v1, v7, s[0:1]
	v_cndmask_b32_e32 v21, v3, v21, vcc
	v_add_f64 v[6:7], v[6:7], v[20:21]
	s_waitcnt lgkmcnt(0)
	v_xor_b32_e32 v21, 0x80000000, v17
	v_xor_b32_e32 v23, 0x80000000, v19
	v_cmp_gt_f64_e32 vcc, 0, v[18:19]
	v_cmp_gt_f64_e64 s[0:1], 0, v[16:17]
	v_mov_b32_e32 v20, v16
	v_mov_b32_e32 v22, v18
	v_cndmask_b32_e64 v21, v17, v21, s[0:1]
	v_cndmask_b32_e32 v23, v19, v23, vcc
	v_add_f64 v[20:21], v[20:21], v[22:23]
	v_mov_b32_e32 v24, s4
	s_add_i32 s4, s4, 1
	v_cmp_lt_f64_e32 vcc, v[6:7], v[20:21]
	v_add_u32_e32 v5, 16, v5
	s_cmp_lg_u32 s67, s4
	v_cndmask_b32_e32 v1, v1, v17, vcc
	v_cndmask_b32_e32 v0, v0, v16, vcc
	;; [unrolled: 1-line block ×5, first 2 shown]
	s_cbranch_scc1 .LBB126_851
.LBB126_852:
	s_waitcnt lgkmcnt(0)
	v_cmp_eq_f64_e32 vcc, 0, v[0:1]
	v_cmp_eq_f64_e64 s[0:1], 0, v[2:3]
	s_and_b64 s[0:1], vcc, s[0:1]
	s_and_saveexec_b64 s[4:5], s[0:1]
	s_xor_b64 s[0:1], exec, s[4:5]
; %bb.853:
	v_cmp_ne_u32_e32 vcc, 0, v13
	s_nop 1
	v_cndmask_b32_e32 v13, 36, v13, vcc
; %bb.854:
	s_andn2_saveexec_b64 s[0:1], s[0:1]
	s_cbranch_execz .LBB126_860
; %bb.855:
	v_cmp_ngt_f64_e64 s[4:5], |v[0:1]|, |v[2:3]|
	s_and_saveexec_b64 s[12:13], s[4:5]
	s_xor_b64 s[12:13], exec, s[12:13]
	s_cbranch_execz .LBB126_857
; %bb.856:
	v_div_scale_f64 v[6:7], s[4:5], v[2:3], v[2:3], v[0:1]
	v_rcp_f64_e32 v[16:17], v[6:7]
	v_div_scale_f64 v[18:19], vcc, v[0:1], v[2:3], v[0:1]
	v_fma_f64 v[20:21], -v[6:7], v[16:17], 1.0
	v_fmac_f64_e32 v[16:17], v[16:17], v[20:21]
	v_fma_f64 v[20:21], -v[6:7], v[16:17], 1.0
	v_fmac_f64_e32 v[16:17], v[16:17], v[20:21]
	v_mul_f64 v[20:21], v[18:19], v[16:17]
	v_fma_f64 v[6:7], -v[6:7], v[20:21], v[18:19]
	v_div_fmas_f64 v[6:7], v[6:7], v[16:17], v[20:21]
	v_div_fixup_f64 v[6:7], v[6:7], v[2:3], v[0:1]
	v_fmac_f64_e32 v[2:3], v[0:1], v[6:7]
	v_div_scale_f64 v[0:1], s[4:5], v[2:3], v[2:3], 1.0
	v_rcp_f64_e32 v[16:17], v[0:1]
	s_nop 0
	v_fma_f64 v[18:19], -v[0:1], v[16:17], 1.0
	v_fmac_f64_e32 v[16:17], v[16:17], v[18:19]
	v_fma_f64 v[18:19], -v[0:1], v[16:17], 1.0
	v_fmac_f64_e32 v[16:17], v[16:17], v[18:19]
	v_div_scale_f64 v[18:19], vcc, 1.0, v[2:3], 1.0
	v_mul_f64 v[20:21], v[18:19], v[16:17]
	v_fma_f64 v[0:1], -v[0:1], v[20:21], v[18:19]
	s_nop 1
	v_div_fmas_f64 v[0:1], v[0:1], v[16:17], v[20:21]
	v_div_fixup_f64 v[2:3], v[0:1], v[2:3], 1.0
	v_mul_f64 v[0:1], v[6:7], v[2:3]
	v_xor_b32_e32 v3, 0x80000000, v3
.LBB126_857:
	s_andn2_saveexec_b64 s[12:13], s[12:13]
	s_cbranch_execz .LBB126_859
; %bb.858:
	v_div_scale_f64 v[6:7], s[4:5], v[0:1], v[0:1], v[2:3]
	v_rcp_f64_e32 v[16:17], v[6:7]
	v_div_scale_f64 v[18:19], vcc, v[2:3], v[0:1], v[2:3]
	v_fma_f64 v[20:21], -v[6:7], v[16:17], 1.0
	v_fmac_f64_e32 v[16:17], v[16:17], v[20:21]
	v_fma_f64 v[20:21], -v[6:7], v[16:17], 1.0
	v_fmac_f64_e32 v[16:17], v[16:17], v[20:21]
	v_mul_f64 v[20:21], v[18:19], v[16:17]
	v_fma_f64 v[6:7], -v[6:7], v[20:21], v[18:19]
	v_div_fmas_f64 v[6:7], v[6:7], v[16:17], v[20:21]
	v_div_fixup_f64 v[6:7], v[6:7], v[0:1], v[2:3]
	v_fmac_f64_e32 v[0:1], v[2:3], v[6:7]
	v_div_scale_f64 v[2:3], s[4:5], v[0:1], v[0:1], 1.0
	v_rcp_f64_e32 v[16:17], v[2:3]
	s_nop 0
	v_fma_f64 v[18:19], -v[2:3], v[16:17], 1.0
	v_fmac_f64_e32 v[16:17], v[16:17], v[18:19]
	v_fma_f64 v[18:19], -v[2:3], v[16:17], 1.0
	v_fmac_f64_e32 v[16:17], v[16:17], v[18:19]
	v_div_scale_f64 v[18:19], vcc, 1.0, v[0:1], 1.0
	v_mul_f64 v[20:21], v[18:19], v[16:17]
	v_fma_f64 v[2:3], -v[2:3], v[20:21], v[18:19]
	s_nop 1
	v_div_fmas_f64 v[2:3], v[2:3], v[16:17], v[20:21]
	v_div_fixup_f64 v[0:1], v[2:3], v[0:1], 1.0
	v_mul_f64 v[2:3], v[6:7], -v[0:1]
.LBB126_859:
	s_or_b64 exec, exec, s[12:13]
.LBB126_860:
	s_or_b64 exec, exec, s[0:1]
	v_cmp_ne_u32_e32 vcc, v15, v4
	s_and_saveexec_b64 s[0:1], vcc
	s_xor_b64 s[0:1], exec, s[0:1]
	s_cbranch_execz .LBB126_866
; %bb.861:
	v_cmp_eq_u32_e32 vcc, 35, v15
	s_and_saveexec_b64 s[12:13], vcc
	s_cbranch_execz .LBB126_865
; %bb.862:
	v_cmp_ne_u32_e32 vcc, 35, v4
	s_xor_b64 s[4:5], s[8:9], -1
	s_and_b64 s[4:5], s[4:5], vcc
	s_and_saveexec_b64 s[14:15], s[4:5]
	s_cbranch_execz .LBB126_864
; %bb.863:
	v_ashrrev_i32_e32 v5, 31, v4
	v_lshl_add_u64 v[6:7], v[4:5], 2, v[10:11]
	global_load_dword v5, v[6:7], off
	global_load_dword v14, v[10:11], off offset:140
	s_waitcnt vmcnt(1)
	global_store_dword v[10:11], v5, off offset:140
	s_waitcnt vmcnt(1)
	global_store_dword v[6:7], v14, off
.LBB126_864:
	s_or_b64 exec, exec, s[14:15]
	v_mov_b32_e32 v15, v4
	v_mov_b32_e32 v14, v4
.LBB126_865:
	s_or_b64 exec, exec, s[12:13]
.LBB126_866:
	s_andn2_saveexec_b64 s[0:1], s[0:1]
	s_cbranch_execz .LBB126_868
; %bb.867:
	scratch_load_dwordx4 v[4:7], off, s47
	scratch_load_dwordx4 v[16:19], off, s46
	;; [unrolled: 1-line block ×28, first 2 shown]
	v_mov_b32_e32 v15, 35
	s_waitcnt vmcnt(27)
	ds_write2_b64 v12, v[4:5], v[6:7] offset0:72 offset1:73
	s_waitcnt vmcnt(26)
	ds_write2_b64 v12, v[16:17], v[18:19] offset0:74 offset1:75
	;; [unrolled: 2-line block ×28, first 2 shown]
.LBB126_868:
	s_or_b64 exec, exec, s[0:1]
	v_cmp_lt_i32_e32 vcc, 35, v15
	s_waitcnt lgkmcnt(0)
	s_barrier
	s_and_saveexec_b64 s[0:1], vcc
	s_cbranch_execz .LBB126_870
; %bb.869:
	scratch_load_dwordx4 v[4:7], off, off offset:560
	s_waitcnt vmcnt(0)
	v_mul_f64 v[16:17], v[2:3], v[6:7]
	v_mul_f64 v[18:19], v[0:1], v[6:7]
	v_fma_f64 v[16:17], v[0:1], v[4:5], -v[16:17]
	v_fmac_f64_e32 v[18:19], v[2:3], v[4:5]
	ds_read2_b64 v[0:3], v12 offset0:72 offset1:73
	scratch_store_dwordx4 off, v[16:19], off offset:560
	s_waitcnt lgkmcnt(0)
	v_mul_f64 v[4:5], v[2:3], v[18:19]
	v_mul_f64 v[6:7], v[0:1], v[18:19]
	v_fma_f64 v[4:5], v[0:1], v[16:17], -v[4:5]
	v_fmac_f64_e32 v[6:7], v[2:3], v[16:17]
	scratch_load_dwordx4 v[0:3], off, off offset:576
	s_waitcnt vmcnt(0)
	v_add_f64 v[0:1], v[0:1], -v[4:5]
	v_add_f64 v[2:3], v[2:3], -v[6:7]
	scratch_store_dwordx4 off, v[0:3], off offset:576
	ds_read2_b64 v[0:3], v12 offset0:74 offset1:75
	s_waitcnt lgkmcnt(0)
	v_mul_f64 v[4:5], v[2:3], v[18:19]
	v_mul_f64 v[6:7], v[0:1], v[18:19]
	v_fma_f64 v[4:5], v[0:1], v[16:17], -v[4:5]
	v_fmac_f64_e32 v[6:7], v[2:3], v[16:17]
	scratch_load_dwordx4 v[0:3], off, off offset:592
	s_waitcnt vmcnt(0)
	v_add_f64 v[0:1], v[0:1], -v[4:5]
	v_add_f64 v[2:3], v[2:3], -v[6:7]
	scratch_store_dwordx4 off, v[0:3], off offset:592
	ds_read2_b64 v[0:3], v12 offset0:76 offset1:77
	;; [unrolled: 11-line block ×6, first 2 shown]
	scratch_load_dwordx2 v[16:17], off, off offset:560
	scratch_load_dwordx4 v[0:3], off, off offset:560
	s_waitcnt vmcnt(0) lgkmcnt(0)
	v_mul_f64 v[18:19], v[6:7], v[2:3]
	v_mul_f64 v[20:21], v[4:5], v[2:3]
	v_fma_f64 v[18:19], v[4:5], v[16:17], -v[18:19]
	v_fmac_f64_e32 v[20:21], v[6:7], v[16:17]
	scratch_load_dwordx4 v[4:7], off, off offset:672
	s_waitcnt vmcnt(0)
	v_add_f64 v[4:5], v[4:5], -v[18:19]
	v_add_f64 v[6:7], v[6:7], -v[20:21]
	scratch_store_dwordx4 off, v[4:7], off offset:672
	ds_read2_b64 v[4:7], v12 offset0:86 offset1:87
	s_waitcnt lgkmcnt(0)
	v_mul_f64 v[18:19], v[6:7], v[2:3]
	v_mul_f64 v[20:21], v[4:5], v[2:3]
	v_fma_f64 v[18:19], v[4:5], v[16:17], -v[18:19]
	v_fmac_f64_e32 v[20:21], v[6:7], v[16:17]
	scratch_load_dwordx4 v[4:7], off, off offset:688
	s_waitcnt vmcnt(0)
	v_add_f64 v[4:5], v[4:5], -v[18:19]
	v_add_f64 v[6:7], v[6:7], -v[20:21]
	scratch_store_dwordx4 off, v[4:7], off offset:688
	ds_read2_b64 v[4:7], v12 offset0:88 offset1:89
	s_waitcnt lgkmcnt(0)
	;; [unrolled: 11-line block ×5, first 2 shown]
	v_mul_f64 v[18:19], v[6:7], v[2:3]
	v_fma_f64 v[18:19], v[4:5], v[16:17], -v[18:19]
	v_mul_f64 v[20:21], v[4:5], v[2:3]
	scratch_load_dwordx4 v[2:5], off, off offset:752
	v_fmac_f64_e32 v[20:21], v[6:7], v[16:17]
	s_waitcnt vmcnt(0)
	v_add_f64 v[2:3], v[2:3], -v[18:19]
	v_add_f64 v[4:5], v[4:5], -v[20:21]
	scratch_store_dwordx4 off, v[2:5], off offset:752
	ds_read2_b64 v[2:5], v12 offset0:96 offset1:97
	scratch_load_dwordx2 v[6:7], off, off offset:560
	scratch_load_dwordx2 v[16:17], off, off offset:568
	s_waitcnt vmcnt(0) lgkmcnt(0)
	v_mul_f64 v[18:19], v[4:5], v[16:17]
	v_mul_f64 v[20:21], v[2:3], v[16:17]
	v_fma_f64 v[18:19], v[2:3], v[6:7], -v[18:19]
	v_fmac_f64_e32 v[20:21], v[4:5], v[6:7]
	scratch_load_dwordx4 v[2:5], off, off offset:768
	s_waitcnt vmcnt(0)
	v_add_f64 v[2:3], v[2:3], -v[18:19]
	v_add_f64 v[4:5], v[4:5], -v[20:21]
	scratch_store_dwordx4 off, v[2:5], off offset:768
	ds_read2_b64 v[2:5], v12 offset0:98 offset1:99
	s_waitcnt lgkmcnt(0)
	v_mul_f64 v[18:19], v[4:5], v[16:17]
	v_mul_f64 v[20:21], v[2:3], v[16:17]
	v_fma_f64 v[18:19], v[2:3], v[6:7], -v[18:19]
	v_fmac_f64_e32 v[20:21], v[4:5], v[6:7]
	scratch_load_dwordx4 v[2:5], off, off offset:784
	s_waitcnt vmcnt(0)
	v_add_f64 v[2:3], v[2:3], -v[18:19]
	v_add_f64 v[4:5], v[4:5], -v[20:21]
	scratch_store_dwordx4 off, v[2:5], off offset:784
	ds_read2_b64 v[2:5], v12 offset0:100 offset1:101
	s_waitcnt lgkmcnt(0)
	;; [unrolled: 11-line block ×5, first 2 shown]
	v_mul_f64 v[18:19], v[4:5], v[16:17]
	v_mul_f64 v[16:17], v[2:3], v[16:17]
	v_fma_f64 v[18:19], v[2:3], v[6:7], -v[18:19]
	v_fmac_f64_e32 v[16:17], v[4:5], v[6:7]
	scratch_load_dwordx4 v[2:5], off, off offset:848
	s_waitcnt vmcnt(0)
	v_add_f64 v[2:3], v[2:3], -v[18:19]
	v_add_f64 v[4:5], v[4:5], -v[16:17]
	scratch_store_dwordx4 off, v[2:5], off offset:848
	ds_read2_b64 v[2:5], v12 offset0:108 offset1:109
	scratch_load_dwordx2 v[6:7], off, off offset:560
	scratch_load_dwordx2 v[16:17], off, off offset:568
	s_waitcnt vmcnt(0) lgkmcnt(0)
	v_mul_f64 v[18:19], v[4:5], v[16:17]
	v_mul_f64 v[20:21], v[2:3], v[16:17]
	v_fma_f64 v[18:19], v[2:3], v[6:7], -v[18:19]
	v_fmac_f64_e32 v[20:21], v[4:5], v[6:7]
	scratch_load_dwordx4 v[2:5], off, off offset:864
	s_waitcnt vmcnt(0)
	v_add_f64 v[2:3], v[2:3], -v[18:19]
	v_add_f64 v[4:5], v[4:5], -v[20:21]
	scratch_store_dwordx4 off, v[2:5], off offset:864
	ds_read2_b64 v[2:5], v12 offset0:110 offset1:111
	s_waitcnt lgkmcnt(0)
	v_mul_f64 v[18:19], v[4:5], v[16:17]
	v_mul_f64 v[20:21], v[2:3], v[16:17]
	v_fma_f64 v[18:19], v[2:3], v[6:7], -v[18:19]
	v_fmac_f64_e32 v[20:21], v[4:5], v[6:7]
	scratch_load_dwordx4 v[2:5], off, off offset:880
	s_waitcnt vmcnt(0)
	v_add_f64 v[2:3], v[2:3], -v[18:19]
	v_add_f64 v[4:5], v[4:5], -v[20:21]
	scratch_store_dwordx4 off, v[2:5], off offset:880
	ds_read2_b64 v[2:5], v12 offset0:112 offset1:113
	s_waitcnt lgkmcnt(0)
	v_mul_f64 v[18:19], v[4:5], v[16:17]
	v_mul_f64 v[20:21], v[2:3], v[16:17]
	v_fma_f64 v[18:19], v[2:3], v[6:7], -v[18:19]
	v_fmac_f64_e32 v[20:21], v[4:5], v[6:7]
	scratch_load_dwordx4 v[2:5], off, off offset:896
	s_waitcnt vmcnt(0)
	v_add_f64 v[2:3], v[2:3], -v[18:19]
	v_add_f64 v[4:5], v[4:5], -v[20:21]
	scratch_store_dwordx4 off, v[2:5], off offset:896
	ds_read2_b64 v[2:5], v12 offset0:114 offset1:115
	s_waitcnt lgkmcnt(0)
	v_mul_f64 v[18:19], v[4:5], v[16:17]
	v_mul_f64 v[20:21], v[2:3], v[16:17]
	v_fma_f64 v[18:19], v[2:3], v[6:7], -v[18:19]
	v_fmac_f64_e32 v[20:21], v[4:5], v[6:7]
	scratch_load_dwordx4 v[2:5], off, off offset:912
	s_waitcnt vmcnt(0)
	v_add_f64 v[2:3], v[2:3], -v[18:19]
	v_add_f64 v[4:5], v[4:5], -v[20:21]
	scratch_store_dwordx4 off, v[2:5], off offset:912
	ds_read2_b64 v[2:5], v12 offset0:116 offset1:117
	s_waitcnt lgkmcnt(0)
	v_mul_f64 v[18:19], v[4:5], v[16:17]
	v_mul_f64 v[20:21], v[2:3], v[16:17]
	v_fma_f64 v[18:19], v[2:3], v[6:7], -v[18:19]
	v_fmac_f64_e32 v[20:21], v[4:5], v[6:7]
	scratch_load_dwordx4 v[2:5], off, off offset:928
	s_waitcnt vmcnt(0)
	v_add_f64 v[2:3], v[2:3], -v[18:19]
	v_add_f64 v[4:5], v[4:5], -v[20:21]
	scratch_store_dwordx4 off, v[2:5], off offset:928
	ds_read2_b64 v[2:5], v12 offset0:118 offset1:119
	s_waitcnt lgkmcnt(0)
	v_mul_f64 v[18:19], v[4:5], v[16:17]
	v_mul_f64 v[16:17], v[2:3], v[16:17]
	v_fma_f64 v[18:19], v[2:3], v[6:7], -v[18:19]
	v_fmac_f64_e32 v[16:17], v[4:5], v[6:7]
	scratch_load_dwordx4 v[2:5], off, off offset:944
	scratch_load_dwordx2 v[6:7], off, off offset:568
	s_waitcnt vmcnt(1)
	v_add_f64 v[2:3], v[2:3], -v[18:19]
	v_add_f64 v[4:5], v[4:5], -v[16:17]
	scratch_store_dwordx4 off, v[2:5], off offset:944
	ds_read2_b64 v[2:5], v12 offset0:120 offset1:121
	s_waitcnt vmcnt(1) lgkmcnt(0)
	v_mul_f64 v[16:17], v[4:5], v[6:7]
	v_mul_f64 v[18:19], v[2:3], v[6:7]
	v_fma_f64 v[16:17], v[2:3], v[0:1], -v[16:17]
	v_fmac_f64_e32 v[18:19], v[4:5], v[0:1]
	scratch_load_dwordx4 v[2:5], off, off offset:960
	s_waitcnt vmcnt(0)
	v_add_f64 v[2:3], v[2:3], -v[16:17]
	v_add_f64 v[4:5], v[4:5], -v[18:19]
	scratch_store_dwordx4 off, v[2:5], off offset:960
	ds_read2_b64 v[2:5], v12 offset0:122 offset1:123
	s_waitcnt lgkmcnt(0)
	v_mul_f64 v[16:17], v[4:5], v[6:7]
	v_mul_f64 v[18:19], v[2:3], v[6:7]
	v_fma_f64 v[16:17], v[2:3], v[0:1], -v[16:17]
	v_fmac_f64_e32 v[18:19], v[4:5], v[0:1]
	scratch_load_dwordx4 v[2:5], off, off offset:976
	s_waitcnt vmcnt(0)
	v_add_f64 v[2:3], v[2:3], -v[16:17]
	v_add_f64 v[4:5], v[4:5], -v[18:19]
	scratch_store_dwordx4 off, v[2:5], off offset:976
	ds_read2_b64 v[2:5], v12 offset0:124 offset1:125
	s_waitcnt lgkmcnt(0)
	;; [unrolled: 11-line block ×3, first 2 shown]
	v_mul_f64 v[16:17], v[4:5], v[6:7]
	v_mul_f64 v[6:7], v[2:3], v[6:7]
	v_fma_f64 v[16:17], v[2:3], v[0:1], -v[16:17]
	v_fmac_f64_e32 v[6:7], v[4:5], v[0:1]
	scratch_load_dwordx4 v[0:3], off, off offset:1008
	s_waitcnt vmcnt(0)
	v_add_f64 v[0:1], v[0:1], -v[16:17]
	v_add_f64 v[2:3], v[2:3], -v[6:7]
	scratch_store_dwordx4 off, v[0:3], off offset:1008
.LBB126_870:
	s_or_b64 exec, exec, s[0:1]
	s_barrier
	scratch_load_dwordx4 v[0:3], off, s47
	v_lshl_add_u32 v4, v15, 4, v12
	s_cmp_lt_i32 s67, 38
	s_waitcnt vmcnt(0)
	ds_write2_b64 v4, v[0:1], v[2:3] offset1:1
	s_waitcnt lgkmcnt(0)
	s_barrier
	ds_read2_b64 v[0:3], v12 offset0:72 offset1:73
	v_mov_b32_e32 v4, 36
	s_cbranch_scc1 .LBB126_873
; %bb.871:
	v_add_u32_e32 v5, 0x250, v12
	s_mov_b32 s4, 37
	v_mov_b32_e32 v4, 36
.LBB126_872:                            ; =>This Inner Loop Header: Depth=1
	ds_read2_b64 v[16:19], v5 offset1:1
	s_waitcnt lgkmcnt(1)
	v_xor_b32_e32 v7, 0x80000000, v1
	v_xor_b32_e32 v21, 0x80000000, v3
	v_cmp_gt_f64_e32 vcc, 0, v[2:3]
	v_cmp_gt_f64_e64 s[0:1], 0, v[0:1]
	v_mov_b32_e32 v6, v0
	v_mov_b32_e32 v20, v2
	v_cndmask_b32_e64 v7, v1, v7, s[0:1]
	v_cndmask_b32_e32 v21, v3, v21, vcc
	v_add_f64 v[6:7], v[6:7], v[20:21]
	s_waitcnt lgkmcnt(0)
	v_xor_b32_e32 v21, 0x80000000, v17
	v_xor_b32_e32 v23, 0x80000000, v19
	v_cmp_gt_f64_e32 vcc, 0, v[18:19]
	v_cmp_gt_f64_e64 s[0:1], 0, v[16:17]
	v_mov_b32_e32 v20, v16
	v_mov_b32_e32 v22, v18
	v_cndmask_b32_e64 v21, v17, v21, s[0:1]
	v_cndmask_b32_e32 v23, v19, v23, vcc
	v_add_f64 v[20:21], v[20:21], v[22:23]
	v_mov_b32_e32 v24, s4
	s_add_i32 s4, s4, 1
	v_cmp_lt_f64_e32 vcc, v[6:7], v[20:21]
	v_add_u32_e32 v5, 16, v5
	s_cmp_lg_u32 s67, s4
	v_cndmask_b32_e32 v1, v1, v17, vcc
	v_cndmask_b32_e32 v0, v0, v16, vcc
	;; [unrolled: 1-line block ×5, first 2 shown]
	s_cbranch_scc1 .LBB126_872
.LBB126_873:
	s_waitcnt lgkmcnt(0)
	v_cmp_eq_f64_e32 vcc, 0, v[0:1]
	v_cmp_eq_f64_e64 s[0:1], 0, v[2:3]
	s_and_b64 s[0:1], vcc, s[0:1]
	s_and_saveexec_b64 s[4:5], s[0:1]
	s_xor_b64 s[0:1], exec, s[4:5]
; %bb.874:
	v_cmp_ne_u32_e32 vcc, 0, v13
	s_nop 1
	v_cndmask_b32_e32 v13, 37, v13, vcc
; %bb.875:
	s_andn2_saveexec_b64 s[0:1], s[0:1]
	s_cbranch_execz .LBB126_881
; %bb.876:
	v_cmp_ngt_f64_e64 s[4:5], |v[0:1]|, |v[2:3]|
	s_and_saveexec_b64 s[12:13], s[4:5]
	s_xor_b64 s[12:13], exec, s[12:13]
	s_cbranch_execz .LBB126_878
; %bb.877:
	v_div_scale_f64 v[6:7], s[4:5], v[2:3], v[2:3], v[0:1]
	v_rcp_f64_e32 v[16:17], v[6:7]
	v_div_scale_f64 v[18:19], vcc, v[0:1], v[2:3], v[0:1]
	v_fma_f64 v[20:21], -v[6:7], v[16:17], 1.0
	v_fmac_f64_e32 v[16:17], v[16:17], v[20:21]
	v_fma_f64 v[20:21], -v[6:7], v[16:17], 1.0
	v_fmac_f64_e32 v[16:17], v[16:17], v[20:21]
	v_mul_f64 v[20:21], v[18:19], v[16:17]
	v_fma_f64 v[6:7], -v[6:7], v[20:21], v[18:19]
	v_div_fmas_f64 v[6:7], v[6:7], v[16:17], v[20:21]
	v_div_fixup_f64 v[6:7], v[6:7], v[2:3], v[0:1]
	v_fmac_f64_e32 v[2:3], v[0:1], v[6:7]
	v_div_scale_f64 v[0:1], s[4:5], v[2:3], v[2:3], 1.0
	v_rcp_f64_e32 v[16:17], v[0:1]
	s_nop 0
	v_fma_f64 v[18:19], -v[0:1], v[16:17], 1.0
	v_fmac_f64_e32 v[16:17], v[16:17], v[18:19]
	v_fma_f64 v[18:19], -v[0:1], v[16:17], 1.0
	v_fmac_f64_e32 v[16:17], v[16:17], v[18:19]
	v_div_scale_f64 v[18:19], vcc, 1.0, v[2:3], 1.0
	v_mul_f64 v[20:21], v[18:19], v[16:17]
	v_fma_f64 v[0:1], -v[0:1], v[20:21], v[18:19]
	s_nop 1
	v_div_fmas_f64 v[0:1], v[0:1], v[16:17], v[20:21]
	v_div_fixup_f64 v[2:3], v[0:1], v[2:3], 1.0
	v_mul_f64 v[0:1], v[6:7], v[2:3]
	v_xor_b32_e32 v3, 0x80000000, v3
.LBB126_878:
	s_andn2_saveexec_b64 s[12:13], s[12:13]
	s_cbranch_execz .LBB126_880
; %bb.879:
	v_div_scale_f64 v[6:7], s[4:5], v[0:1], v[0:1], v[2:3]
	v_rcp_f64_e32 v[16:17], v[6:7]
	v_div_scale_f64 v[18:19], vcc, v[2:3], v[0:1], v[2:3]
	v_fma_f64 v[20:21], -v[6:7], v[16:17], 1.0
	v_fmac_f64_e32 v[16:17], v[16:17], v[20:21]
	v_fma_f64 v[20:21], -v[6:7], v[16:17], 1.0
	v_fmac_f64_e32 v[16:17], v[16:17], v[20:21]
	v_mul_f64 v[20:21], v[18:19], v[16:17]
	v_fma_f64 v[6:7], -v[6:7], v[20:21], v[18:19]
	v_div_fmas_f64 v[6:7], v[6:7], v[16:17], v[20:21]
	v_div_fixup_f64 v[6:7], v[6:7], v[0:1], v[2:3]
	v_fmac_f64_e32 v[0:1], v[2:3], v[6:7]
	v_div_scale_f64 v[2:3], s[4:5], v[0:1], v[0:1], 1.0
	v_rcp_f64_e32 v[16:17], v[2:3]
	s_nop 0
	v_fma_f64 v[18:19], -v[2:3], v[16:17], 1.0
	v_fmac_f64_e32 v[16:17], v[16:17], v[18:19]
	v_fma_f64 v[18:19], -v[2:3], v[16:17], 1.0
	v_fmac_f64_e32 v[16:17], v[16:17], v[18:19]
	v_div_scale_f64 v[18:19], vcc, 1.0, v[0:1], 1.0
	v_mul_f64 v[20:21], v[18:19], v[16:17]
	v_fma_f64 v[2:3], -v[2:3], v[20:21], v[18:19]
	s_nop 1
	v_div_fmas_f64 v[2:3], v[2:3], v[16:17], v[20:21]
	v_div_fixup_f64 v[0:1], v[2:3], v[0:1], 1.0
	v_mul_f64 v[2:3], v[6:7], -v[0:1]
.LBB126_880:
	s_or_b64 exec, exec, s[12:13]
.LBB126_881:
	s_or_b64 exec, exec, s[0:1]
	v_cmp_ne_u32_e32 vcc, v15, v4
	s_and_saveexec_b64 s[0:1], vcc
	s_xor_b64 s[0:1], exec, s[0:1]
	s_cbranch_execz .LBB126_887
; %bb.882:
	v_cmp_eq_u32_e32 vcc, 36, v15
	s_and_saveexec_b64 s[12:13], vcc
	s_cbranch_execz .LBB126_886
; %bb.883:
	v_cmp_ne_u32_e32 vcc, 36, v4
	s_xor_b64 s[4:5], s[8:9], -1
	s_and_b64 s[4:5], s[4:5], vcc
	s_and_saveexec_b64 s[14:15], s[4:5]
	s_cbranch_execz .LBB126_885
; %bb.884:
	v_ashrrev_i32_e32 v5, 31, v4
	v_lshl_add_u64 v[6:7], v[4:5], 2, v[10:11]
	global_load_dword v5, v[6:7], off
	global_load_dword v14, v[10:11], off offset:144
	s_waitcnt vmcnt(1)
	global_store_dword v[10:11], v5, off offset:144
	s_waitcnt vmcnt(1)
	global_store_dword v[6:7], v14, off
.LBB126_885:
	s_or_b64 exec, exec, s[14:15]
	v_mov_b32_e32 v15, v4
	v_mov_b32_e32 v14, v4
.LBB126_886:
	s_or_b64 exec, exec, s[12:13]
.LBB126_887:
	s_andn2_saveexec_b64 s[0:1], s[0:1]
	s_cbranch_execz .LBB126_889
; %bb.888:
	scratch_load_dwordx4 v[4:7], off, s46
	scratch_load_dwordx4 v[16:19], off, s45
	;; [unrolled: 1-line block ×27, first 2 shown]
	v_mov_b32_e32 v15, 36
	s_waitcnt vmcnt(26)
	ds_write2_b64 v12, v[4:5], v[6:7] offset0:74 offset1:75
	s_waitcnt vmcnt(25)
	ds_write2_b64 v12, v[16:17], v[18:19] offset0:76 offset1:77
	s_waitcnt vmcnt(24)
	ds_write2_b64 v12, v[20:21], v[22:23] offset0:78 offset1:79
	s_waitcnt vmcnt(23)
	ds_write2_b64 v12, v[24:25], v[26:27] offset0:80 offset1:81
	s_waitcnt vmcnt(22)
	ds_write2_b64 v12, v[28:29], v[30:31] offset0:82 offset1:83
	s_waitcnt vmcnt(21)
	ds_write2_b64 v12, v[32:33], v[34:35] offset0:84 offset1:85
	s_waitcnt vmcnt(20)
	ds_write2_b64 v12, v[36:37], v[38:39] offset0:86 offset1:87
	s_waitcnt vmcnt(19)
	ds_write2_b64 v12, v[40:41], v[42:43] offset0:88 offset1:89
	s_waitcnt vmcnt(18)
	ds_write2_b64 v12, v[44:45], v[46:47] offset0:90 offset1:91
	s_waitcnt vmcnt(17)
	ds_write2_b64 v12, v[48:49], v[50:51] offset0:92 offset1:93
	s_waitcnt vmcnt(16)
	ds_write2_b64 v12, v[52:53], v[54:55] offset0:94 offset1:95
	s_waitcnt vmcnt(15)
	ds_write2_b64 v12, v[56:57], v[58:59] offset0:96 offset1:97
	s_waitcnt vmcnt(14)
	ds_write2_b64 v12, v[60:61], v[62:63] offset0:98 offset1:99
	s_waitcnt vmcnt(13)
	ds_write2_b64 v12, v[64:65], v[66:67] offset0:100 offset1:101
	s_waitcnt vmcnt(12)
	ds_write2_b64 v12, v[68:69], v[70:71] offset0:102 offset1:103
	s_waitcnt vmcnt(11)
	ds_write2_b64 v12, v[72:73], v[74:75] offset0:104 offset1:105
	s_waitcnt vmcnt(10)
	ds_write2_b64 v12, v[76:77], v[78:79] offset0:106 offset1:107
	s_waitcnt vmcnt(9)
	ds_write2_b64 v12, v[80:81], v[82:83] offset0:108 offset1:109
	s_waitcnt vmcnt(8)
	ds_write2_b64 v12, v[84:85], v[86:87] offset0:110 offset1:111
	s_waitcnt vmcnt(7)
	ds_write2_b64 v12, v[88:89], v[90:91] offset0:112 offset1:113
	s_waitcnt vmcnt(6)
	ds_write2_b64 v12, v[92:93], v[94:95] offset0:114 offset1:115
	s_waitcnt vmcnt(5)
	ds_write2_b64 v12, v[96:97], v[98:99] offset0:116 offset1:117
	s_waitcnt vmcnt(4)
	ds_write2_b64 v12, v[100:101], v[102:103] offset0:118 offset1:119
	s_waitcnt vmcnt(3)
	ds_write2_b64 v12, v[104:105], v[106:107] offset0:120 offset1:121
	s_waitcnt vmcnt(2)
	ds_write2_b64 v12, v[108:109], v[110:111] offset0:122 offset1:123
	s_waitcnt vmcnt(1)
	ds_write2_b64 v12, v[114:115], v[116:117] offset0:124 offset1:125
	s_waitcnt vmcnt(0)
	ds_write2_b64 v12, v[118:119], v[120:121] offset0:126 offset1:127
.LBB126_889:
	s_or_b64 exec, exec, s[0:1]
	v_cmp_lt_i32_e32 vcc, 36, v15
	s_waitcnt lgkmcnt(0)
	s_barrier
	s_and_saveexec_b64 s[0:1], vcc
	s_cbranch_execz .LBB126_891
; %bb.890:
	scratch_load_dwordx4 v[4:7], off, off offset:576
	s_waitcnt vmcnt(0)
	v_mul_f64 v[16:17], v[2:3], v[6:7]
	v_mul_f64 v[18:19], v[0:1], v[6:7]
	v_fma_f64 v[16:17], v[0:1], v[4:5], -v[16:17]
	v_fmac_f64_e32 v[18:19], v[2:3], v[4:5]
	ds_read2_b64 v[0:3], v12 offset0:74 offset1:75
	scratch_store_dwordx4 off, v[16:19], off offset:576
	s_waitcnt lgkmcnt(0)
	v_mul_f64 v[4:5], v[2:3], v[18:19]
	v_mul_f64 v[6:7], v[0:1], v[18:19]
	v_fma_f64 v[4:5], v[0:1], v[16:17], -v[4:5]
	v_fmac_f64_e32 v[6:7], v[2:3], v[16:17]
	scratch_load_dwordx4 v[0:3], off, off offset:592
	s_waitcnt vmcnt(0)
	v_add_f64 v[0:1], v[0:1], -v[4:5]
	v_add_f64 v[2:3], v[2:3], -v[6:7]
	scratch_store_dwordx4 off, v[0:3], off offset:592
	ds_read2_b64 v[0:3], v12 offset0:76 offset1:77
	s_waitcnt lgkmcnt(0)
	v_mul_f64 v[4:5], v[2:3], v[18:19]
	v_mul_f64 v[6:7], v[0:1], v[18:19]
	v_fma_f64 v[4:5], v[0:1], v[16:17], -v[4:5]
	v_fmac_f64_e32 v[6:7], v[2:3], v[16:17]
	scratch_load_dwordx4 v[0:3], off, off offset:608
	s_waitcnt vmcnt(0)
	v_add_f64 v[0:1], v[0:1], -v[4:5]
	v_add_f64 v[2:3], v[2:3], -v[6:7]
	scratch_store_dwordx4 off, v[0:3], off offset:608
	ds_read2_b64 v[0:3], v12 offset0:78 offset1:79
	;; [unrolled: 11-line block ×6, first 2 shown]
	scratch_load_dwordx2 v[16:17], off, off offset:576
	scratch_load_dwordx4 v[0:3], off, off offset:576
	s_waitcnt vmcnt(0) lgkmcnt(0)
	v_mul_f64 v[18:19], v[6:7], v[2:3]
	v_mul_f64 v[20:21], v[4:5], v[2:3]
	v_fma_f64 v[18:19], v[4:5], v[16:17], -v[18:19]
	v_fmac_f64_e32 v[20:21], v[6:7], v[16:17]
	scratch_load_dwordx4 v[4:7], off, off offset:688
	s_waitcnt vmcnt(0)
	v_add_f64 v[4:5], v[4:5], -v[18:19]
	v_add_f64 v[6:7], v[6:7], -v[20:21]
	scratch_store_dwordx4 off, v[4:7], off offset:688
	ds_read2_b64 v[4:7], v12 offset0:88 offset1:89
	s_waitcnt lgkmcnt(0)
	v_mul_f64 v[18:19], v[6:7], v[2:3]
	v_mul_f64 v[20:21], v[4:5], v[2:3]
	v_fma_f64 v[18:19], v[4:5], v[16:17], -v[18:19]
	v_fmac_f64_e32 v[20:21], v[6:7], v[16:17]
	scratch_load_dwordx4 v[4:7], off, off offset:704
	s_waitcnt vmcnt(0)
	v_add_f64 v[4:5], v[4:5], -v[18:19]
	v_add_f64 v[6:7], v[6:7], -v[20:21]
	scratch_store_dwordx4 off, v[4:7], off offset:704
	ds_read2_b64 v[4:7], v12 offset0:90 offset1:91
	s_waitcnt lgkmcnt(0)
	;; [unrolled: 11-line block ×5, first 2 shown]
	v_mul_f64 v[18:19], v[6:7], v[2:3]
	v_fma_f64 v[18:19], v[4:5], v[16:17], -v[18:19]
	v_mul_f64 v[20:21], v[4:5], v[2:3]
	scratch_load_dwordx4 v[2:5], off, off offset:768
	v_fmac_f64_e32 v[20:21], v[6:7], v[16:17]
	s_waitcnt vmcnt(0)
	v_add_f64 v[2:3], v[2:3], -v[18:19]
	v_add_f64 v[4:5], v[4:5], -v[20:21]
	scratch_store_dwordx4 off, v[2:5], off offset:768
	ds_read2_b64 v[2:5], v12 offset0:98 offset1:99
	scratch_load_dwordx2 v[6:7], off, off offset:576
	scratch_load_dwordx2 v[16:17], off, off offset:584
	s_waitcnt vmcnt(0) lgkmcnt(0)
	v_mul_f64 v[18:19], v[4:5], v[16:17]
	v_mul_f64 v[20:21], v[2:3], v[16:17]
	v_fma_f64 v[18:19], v[2:3], v[6:7], -v[18:19]
	v_fmac_f64_e32 v[20:21], v[4:5], v[6:7]
	scratch_load_dwordx4 v[2:5], off, off offset:784
	s_waitcnt vmcnt(0)
	v_add_f64 v[2:3], v[2:3], -v[18:19]
	v_add_f64 v[4:5], v[4:5], -v[20:21]
	scratch_store_dwordx4 off, v[2:5], off offset:784
	ds_read2_b64 v[2:5], v12 offset0:100 offset1:101
	s_waitcnt lgkmcnt(0)
	v_mul_f64 v[18:19], v[4:5], v[16:17]
	v_mul_f64 v[20:21], v[2:3], v[16:17]
	v_fma_f64 v[18:19], v[2:3], v[6:7], -v[18:19]
	v_fmac_f64_e32 v[20:21], v[4:5], v[6:7]
	scratch_load_dwordx4 v[2:5], off, off offset:800
	s_waitcnt vmcnt(0)
	v_add_f64 v[2:3], v[2:3], -v[18:19]
	v_add_f64 v[4:5], v[4:5], -v[20:21]
	scratch_store_dwordx4 off, v[2:5], off offset:800
	ds_read2_b64 v[2:5], v12 offset0:102 offset1:103
	s_waitcnt lgkmcnt(0)
	;; [unrolled: 11-line block ×5, first 2 shown]
	v_mul_f64 v[18:19], v[4:5], v[16:17]
	v_mul_f64 v[16:17], v[2:3], v[16:17]
	v_fma_f64 v[18:19], v[2:3], v[6:7], -v[18:19]
	v_fmac_f64_e32 v[16:17], v[4:5], v[6:7]
	scratch_load_dwordx4 v[2:5], off, off offset:864
	s_waitcnt vmcnt(0)
	v_add_f64 v[2:3], v[2:3], -v[18:19]
	v_add_f64 v[4:5], v[4:5], -v[16:17]
	scratch_store_dwordx4 off, v[2:5], off offset:864
	ds_read2_b64 v[2:5], v12 offset0:110 offset1:111
	scratch_load_dwordx2 v[6:7], off, off offset:576
	scratch_load_dwordx2 v[16:17], off, off offset:584
	s_waitcnt vmcnt(0) lgkmcnt(0)
	v_mul_f64 v[18:19], v[4:5], v[16:17]
	v_mul_f64 v[20:21], v[2:3], v[16:17]
	v_fma_f64 v[18:19], v[2:3], v[6:7], -v[18:19]
	v_fmac_f64_e32 v[20:21], v[4:5], v[6:7]
	scratch_load_dwordx4 v[2:5], off, off offset:880
	s_waitcnt vmcnt(0)
	v_add_f64 v[2:3], v[2:3], -v[18:19]
	v_add_f64 v[4:5], v[4:5], -v[20:21]
	scratch_store_dwordx4 off, v[2:5], off offset:880
	ds_read2_b64 v[2:5], v12 offset0:112 offset1:113
	s_waitcnt lgkmcnt(0)
	v_mul_f64 v[18:19], v[4:5], v[16:17]
	v_mul_f64 v[20:21], v[2:3], v[16:17]
	v_fma_f64 v[18:19], v[2:3], v[6:7], -v[18:19]
	v_fmac_f64_e32 v[20:21], v[4:5], v[6:7]
	scratch_load_dwordx4 v[2:5], off, off offset:896
	s_waitcnt vmcnt(0)
	v_add_f64 v[2:3], v[2:3], -v[18:19]
	v_add_f64 v[4:5], v[4:5], -v[20:21]
	scratch_store_dwordx4 off, v[2:5], off offset:896
	ds_read2_b64 v[2:5], v12 offset0:114 offset1:115
	s_waitcnt lgkmcnt(0)
	v_mul_f64 v[18:19], v[4:5], v[16:17]
	v_mul_f64 v[20:21], v[2:3], v[16:17]
	v_fma_f64 v[18:19], v[2:3], v[6:7], -v[18:19]
	v_fmac_f64_e32 v[20:21], v[4:5], v[6:7]
	scratch_load_dwordx4 v[2:5], off, off offset:912
	s_waitcnt vmcnt(0)
	v_add_f64 v[2:3], v[2:3], -v[18:19]
	v_add_f64 v[4:5], v[4:5], -v[20:21]
	scratch_store_dwordx4 off, v[2:5], off offset:912
	ds_read2_b64 v[2:5], v12 offset0:116 offset1:117
	s_waitcnt lgkmcnt(0)
	v_mul_f64 v[18:19], v[4:5], v[16:17]
	v_mul_f64 v[20:21], v[2:3], v[16:17]
	v_fma_f64 v[18:19], v[2:3], v[6:7], -v[18:19]
	v_fmac_f64_e32 v[20:21], v[4:5], v[6:7]
	scratch_load_dwordx4 v[2:5], off, off offset:928
	s_waitcnt vmcnt(0)
	v_add_f64 v[2:3], v[2:3], -v[18:19]
	v_add_f64 v[4:5], v[4:5], -v[20:21]
	scratch_store_dwordx4 off, v[2:5], off offset:928
	ds_read2_b64 v[2:5], v12 offset0:118 offset1:119
	s_waitcnt lgkmcnt(0)
	v_mul_f64 v[18:19], v[4:5], v[16:17]
	v_mul_f64 v[20:21], v[2:3], v[16:17]
	v_fma_f64 v[18:19], v[2:3], v[6:7], -v[18:19]
	v_fmac_f64_e32 v[20:21], v[4:5], v[6:7]
	scratch_load_dwordx4 v[2:5], off, off offset:944
	s_waitcnt vmcnt(0)
	v_add_f64 v[2:3], v[2:3], -v[18:19]
	v_add_f64 v[4:5], v[4:5], -v[20:21]
	scratch_store_dwordx4 off, v[2:5], off offset:944
	ds_read2_b64 v[2:5], v12 offset0:120 offset1:121
	s_waitcnt lgkmcnt(0)
	v_mul_f64 v[18:19], v[4:5], v[16:17]
	v_mul_f64 v[16:17], v[2:3], v[16:17]
	v_fma_f64 v[18:19], v[2:3], v[6:7], -v[18:19]
	v_fmac_f64_e32 v[16:17], v[4:5], v[6:7]
	scratch_load_dwordx4 v[2:5], off, off offset:960
	s_waitcnt vmcnt(0)
	v_add_f64 v[4:5], v[4:5], -v[16:17]
	scratch_load_dwordx2 v[16:17], off, off offset:584
	v_add_f64 v[2:3], v[2:3], -v[18:19]
	scratch_store_dwordx4 off, v[2:5], off offset:960
	ds_read2_b64 v[2:5], v12 offset0:122 offset1:123
	s_waitcnt vmcnt(1) lgkmcnt(0)
	v_mul_f64 v[6:7], v[4:5], v[16:17]
	v_mul_f64 v[18:19], v[2:3], v[16:17]
	v_fma_f64 v[6:7], v[2:3], v[0:1], -v[6:7]
	v_fmac_f64_e32 v[18:19], v[4:5], v[0:1]
	scratch_load_dwordx4 v[2:5], off, off offset:976
	s_waitcnt vmcnt(0)
	v_add_f64 v[2:3], v[2:3], -v[6:7]
	v_add_f64 v[4:5], v[4:5], -v[18:19]
	scratch_store_dwordx4 off, v[2:5], off offset:976
	ds_read2_b64 v[2:5], v12 offset0:124 offset1:125
	s_waitcnt lgkmcnt(0)
	v_mul_f64 v[6:7], v[4:5], v[16:17]
	v_mul_f64 v[18:19], v[2:3], v[16:17]
	v_fma_f64 v[6:7], v[2:3], v[0:1], -v[6:7]
	v_fmac_f64_e32 v[18:19], v[4:5], v[0:1]
	scratch_load_dwordx4 v[2:5], off, off offset:992
	s_waitcnt vmcnt(0)
	v_add_f64 v[2:3], v[2:3], -v[6:7]
	v_add_f64 v[4:5], v[4:5], -v[18:19]
	scratch_store_dwordx4 off, v[2:5], off offset:992
	ds_read2_b64 v[4:7], v12 offset0:126 offset1:127
	s_waitcnt lgkmcnt(0)
	v_mul_f64 v[2:3], v[6:7], v[16:17]
	v_fma_f64 v[2:3], v[4:5], v[0:1], -v[2:3]
	v_mul_f64 v[4:5], v[4:5], v[16:17]
	scratch_load_dwordx4 v[16:19], off, off offset:1008
	v_fmac_f64_e32 v[4:5], v[6:7], v[0:1]
	s_waitcnt vmcnt(0)
	v_add_f64 v[0:1], v[16:17], -v[2:3]
	v_add_f64 v[2:3], v[18:19], -v[4:5]
	scratch_store_dwordx4 off, v[0:3], off offset:1008
.LBB126_891:
	s_or_b64 exec, exec, s[0:1]
	s_barrier
	scratch_load_dwordx4 v[0:3], off, s46
	v_lshl_add_u32 v4, v15, 4, v12
	s_cmp_lt_i32 s67, 39
	s_waitcnt vmcnt(0)
	ds_write2_b64 v4, v[0:1], v[2:3] offset1:1
	s_waitcnt lgkmcnt(0)
	s_barrier
	ds_read2_b64 v[0:3], v12 offset0:74 offset1:75
	v_mov_b32_e32 v4, 37
	s_cbranch_scc1 .LBB126_894
; %bb.892:
	v_add_u32_e32 v5, 0x260, v12
	s_mov_b32 s4, 38
	v_mov_b32_e32 v4, 37
.LBB126_893:                            ; =>This Inner Loop Header: Depth=1
	ds_read2_b64 v[16:19], v5 offset1:1
	s_waitcnt lgkmcnt(1)
	v_xor_b32_e32 v7, 0x80000000, v1
	v_xor_b32_e32 v21, 0x80000000, v3
	v_cmp_gt_f64_e32 vcc, 0, v[2:3]
	v_cmp_gt_f64_e64 s[0:1], 0, v[0:1]
	v_mov_b32_e32 v6, v0
	v_mov_b32_e32 v20, v2
	v_cndmask_b32_e64 v7, v1, v7, s[0:1]
	v_cndmask_b32_e32 v21, v3, v21, vcc
	v_add_f64 v[6:7], v[6:7], v[20:21]
	s_waitcnt lgkmcnt(0)
	v_xor_b32_e32 v21, 0x80000000, v17
	v_xor_b32_e32 v23, 0x80000000, v19
	v_cmp_gt_f64_e32 vcc, 0, v[18:19]
	v_cmp_gt_f64_e64 s[0:1], 0, v[16:17]
	v_mov_b32_e32 v20, v16
	v_mov_b32_e32 v22, v18
	v_cndmask_b32_e64 v21, v17, v21, s[0:1]
	v_cndmask_b32_e32 v23, v19, v23, vcc
	v_add_f64 v[20:21], v[20:21], v[22:23]
	v_mov_b32_e32 v24, s4
	s_add_i32 s4, s4, 1
	v_cmp_lt_f64_e32 vcc, v[6:7], v[20:21]
	v_add_u32_e32 v5, 16, v5
	s_cmp_lg_u32 s67, s4
	v_cndmask_b32_e32 v1, v1, v17, vcc
	v_cndmask_b32_e32 v0, v0, v16, vcc
	;; [unrolled: 1-line block ×5, first 2 shown]
	s_cbranch_scc1 .LBB126_893
.LBB126_894:
	s_waitcnt lgkmcnt(0)
	v_cmp_eq_f64_e32 vcc, 0, v[0:1]
	v_cmp_eq_f64_e64 s[0:1], 0, v[2:3]
	s_and_b64 s[0:1], vcc, s[0:1]
	s_and_saveexec_b64 s[4:5], s[0:1]
	s_xor_b64 s[0:1], exec, s[4:5]
; %bb.895:
	v_cmp_ne_u32_e32 vcc, 0, v13
	s_nop 1
	v_cndmask_b32_e32 v13, 38, v13, vcc
; %bb.896:
	s_andn2_saveexec_b64 s[0:1], s[0:1]
	s_cbranch_execz .LBB126_902
; %bb.897:
	v_cmp_ngt_f64_e64 s[4:5], |v[0:1]|, |v[2:3]|
	s_and_saveexec_b64 s[12:13], s[4:5]
	s_xor_b64 s[12:13], exec, s[12:13]
	s_cbranch_execz .LBB126_899
; %bb.898:
	v_div_scale_f64 v[6:7], s[4:5], v[2:3], v[2:3], v[0:1]
	v_rcp_f64_e32 v[16:17], v[6:7]
	v_div_scale_f64 v[18:19], vcc, v[0:1], v[2:3], v[0:1]
	v_fma_f64 v[20:21], -v[6:7], v[16:17], 1.0
	v_fmac_f64_e32 v[16:17], v[16:17], v[20:21]
	v_fma_f64 v[20:21], -v[6:7], v[16:17], 1.0
	v_fmac_f64_e32 v[16:17], v[16:17], v[20:21]
	v_mul_f64 v[20:21], v[18:19], v[16:17]
	v_fma_f64 v[6:7], -v[6:7], v[20:21], v[18:19]
	v_div_fmas_f64 v[6:7], v[6:7], v[16:17], v[20:21]
	v_div_fixup_f64 v[6:7], v[6:7], v[2:3], v[0:1]
	v_fmac_f64_e32 v[2:3], v[0:1], v[6:7]
	v_div_scale_f64 v[0:1], s[4:5], v[2:3], v[2:3], 1.0
	v_rcp_f64_e32 v[16:17], v[0:1]
	s_nop 0
	v_fma_f64 v[18:19], -v[0:1], v[16:17], 1.0
	v_fmac_f64_e32 v[16:17], v[16:17], v[18:19]
	v_fma_f64 v[18:19], -v[0:1], v[16:17], 1.0
	v_fmac_f64_e32 v[16:17], v[16:17], v[18:19]
	v_div_scale_f64 v[18:19], vcc, 1.0, v[2:3], 1.0
	v_mul_f64 v[20:21], v[18:19], v[16:17]
	v_fma_f64 v[0:1], -v[0:1], v[20:21], v[18:19]
	s_nop 1
	v_div_fmas_f64 v[0:1], v[0:1], v[16:17], v[20:21]
	v_div_fixup_f64 v[2:3], v[0:1], v[2:3], 1.0
	v_mul_f64 v[0:1], v[6:7], v[2:3]
	v_xor_b32_e32 v3, 0x80000000, v3
.LBB126_899:
	s_andn2_saveexec_b64 s[12:13], s[12:13]
	s_cbranch_execz .LBB126_901
; %bb.900:
	v_div_scale_f64 v[6:7], s[4:5], v[0:1], v[0:1], v[2:3]
	v_rcp_f64_e32 v[16:17], v[6:7]
	v_div_scale_f64 v[18:19], vcc, v[2:3], v[0:1], v[2:3]
	v_fma_f64 v[20:21], -v[6:7], v[16:17], 1.0
	v_fmac_f64_e32 v[16:17], v[16:17], v[20:21]
	v_fma_f64 v[20:21], -v[6:7], v[16:17], 1.0
	v_fmac_f64_e32 v[16:17], v[16:17], v[20:21]
	v_mul_f64 v[20:21], v[18:19], v[16:17]
	v_fma_f64 v[6:7], -v[6:7], v[20:21], v[18:19]
	v_div_fmas_f64 v[6:7], v[6:7], v[16:17], v[20:21]
	v_div_fixup_f64 v[6:7], v[6:7], v[0:1], v[2:3]
	v_fmac_f64_e32 v[0:1], v[2:3], v[6:7]
	v_div_scale_f64 v[2:3], s[4:5], v[0:1], v[0:1], 1.0
	v_rcp_f64_e32 v[16:17], v[2:3]
	s_nop 0
	v_fma_f64 v[18:19], -v[2:3], v[16:17], 1.0
	v_fmac_f64_e32 v[16:17], v[16:17], v[18:19]
	v_fma_f64 v[18:19], -v[2:3], v[16:17], 1.0
	v_fmac_f64_e32 v[16:17], v[16:17], v[18:19]
	v_div_scale_f64 v[18:19], vcc, 1.0, v[0:1], 1.0
	v_mul_f64 v[20:21], v[18:19], v[16:17]
	v_fma_f64 v[2:3], -v[2:3], v[20:21], v[18:19]
	s_nop 1
	v_div_fmas_f64 v[2:3], v[2:3], v[16:17], v[20:21]
	v_div_fixup_f64 v[0:1], v[2:3], v[0:1], 1.0
	v_mul_f64 v[2:3], v[6:7], -v[0:1]
.LBB126_901:
	s_or_b64 exec, exec, s[12:13]
.LBB126_902:
	s_or_b64 exec, exec, s[0:1]
	v_cmp_ne_u32_e32 vcc, v15, v4
	s_and_saveexec_b64 s[0:1], vcc
	s_xor_b64 s[0:1], exec, s[0:1]
	s_cbranch_execz .LBB126_908
; %bb.903:
	v_cmp_eq_u32_e32 vcc, 37, v15
	s_and_saveexec_b64 s[12:13], vcc
	s_cbranch_execz .LBB126_907
; %bb.904:
	v_cmp_ne_u32_e32 vcc, 37, v4
	s_xor_b64 s[4:5], s[8:9], -1
	s_and_b64 s[4:5], s[4:5], vcc
	s_and_saveexec_b64 s[14:15], s[4:5]
	s_cbranch_execz .LBB126_906
; %bb.905:
	v_ashrrev_i32_e32 v5, 31, v4
	v_lshl_add_u64 v[6:7], v[4:5], 2, v[10:11]
	global_load_dword v5, v[6:7], off
	global_load_dword v14, v[10:11], off offset:148
	s_waitcnt vmcnt(1)
	global_store_dword v[10:11], v5, off offset:148
	s_waitcnt vmcnt(1)
	global_store_dword v[6:7], v14, off
.LBB126_906:
	s_or_b64 exec, exec, s[14:15]
	v_mov_b32_e32 v15, v4
	v_mov_b32_e32 v14, v4
.LBB126_907:
	s_or_b64 exec, exec, s[12:13]
.LBB126_908:
	s_andn2_saveexec_b64 s[0:1], s[0:1]
	s_cbranch_execz .LBB126_910
; %bb.909:
	scratch_load_dwordx4 v[4:7], off, s45
	scratch_load_dwordx4 v[16:19], off, s44
	;; [unrolled: 1-line block ×26, first 2 shown]
	v_mov_b32_e32 v15, 37
	s_waitcnt vmcnt(25)
	ds_write2_b64 v12, v[4:5], v[6:7] offset0:76 offset1:77
	s_waitcnt vmcnt(24)
	ds_write2_b64 v12, v[16:17], v[18:19] offset0:78 offset1:79
	;; [unrolled: 2-line block ×26, first 2 shown]
.LBB126_910:
	s_or_b64 exec, exec, s[0:1]
	v_cmp_lt_i32_e32 vcc, 37, v15
	s_waitcnt lgkmcnt(0)
	s_barrier
	s_and_saveexec_b64 s[0:1], vcc
	s_cbranch_execz .LBB126_912
; %bb.911:
	scratch_load_dwordx4 v[4:7], off, off offset:592
	s_waitcnt vmcnt(0)
	v_mul_f64 v[16:17], v[2:3], v[6:7]
	v_mul_f64 v[18:19], v[0:1], v[6:7]
	v_fma_f64 v[16:17], v[0:1], v[4:5], -v[16:17]
	v_fmac_f64_e32 v[18:19], v[2:3], v[4:5]
	ds_read2_b64 v[0:3], v12 offset0:76 offset1:77
	scratch_store_dwordx4 off, v[16:19], off offset:592
	s_waitcnt lgkmcnt(0)
	v_mul_f64 v[4:5], v[2:3], v[18:19]
	v_mul_f64 v[6:7], v[0:1], v[18:19]
	v_fma_f64 v[4:5], v[0:1], v[16:17], -v[4:5]
	v_fmac_f64_e32 v[6:7], v[2:3], v[16:17]
	scratch_load_dwordx4 v[0:3], off, off offset:608
	s_waitcnt vmcnt(0)
	v_add_f64 v[0:1], v[0:1], -v[4:5]
	v_add_f64 v[2:3], v[2:3], -v[6:7]
	scratch_store_dwordx4 off, v[0:3], off offset:608
	ds_read2_b64 v[0:3], v12 offset0:78 offset1:79
	s_waitcnt lgkmcnt(0)
	v_mul_f64 v[4:5], v[2:3], v[18:19]
	v_mul_f64 v[6:7], v[0:1], v[18:19]
	v_fma_f64 v[4:5], v[0:1], v[16:17], -v[4:5]
	v_fmac_f64_e32 v[6:7], v[2:3], v[16:17]
	scratch_load_dwordx4 v[0:3], off, off offset:624
	s_waitcnt vmcnt(0)
	v_add_f64 v[0:1], v[0:1], -v[4:5]
	v_add_f64 v[2:3], v[2:3], -v[6:7]
	scratch_store_dwordx4 off, v[0:3], off offset:624
	ds_read2_b64 v[0:3], v12 offset0:80 offset1:81
	;; [unrolled: 11-line block ×6, first 2 shown]
	scratch_load_dwordx2 v[16:17], off, off offset:592
	scratch_load_dwordx4 v[0:3], off, off offset:592
	s_waitcnt vmcnt(0) lgkmcnt(0)
	v_mul_f64 v[18:19], v[6:7], v[2:3]
	v_mul_f64 v[20:21], v[4:5], v[2:3]
	v_fma_f64 v[18:19], v[4:5], v[16:17], -v[18:19]
	v_fmac_f64_e32 v[20:21], v[6:7], v[16:17]
	scratch_load_dwordx4 v[4:7], off, off offset:704
	s_waitcnt vmcnt(0)
	v_add_f64 v[4:5], v[4:5], -v[18:19]
	v_add_f64 v[6:7], v[6:7], -v[20:21]
	scratch_store_dwordx4 off, v[4:7], off offset:704
	ds_read2_b64 v[4:7], v12 offset0:90 offset1:91
	s_waitcnt lgkmcnt(0)
	v_mul_f64 v[18:19], v[6:7], v[2:3]
	v_mul_f64 v[20:21], v[4:5], v[2:3]
	v_fma_f64 v[18:19], v[4:5], v[16:17], -v[18:19]
	v_fmac_f64_e32 v[20:21], v[6:7], v[16:17]
	scratch_load_dwordx4 v[4:7], off, off offset:720
	s_waitcnt vmcnt(0)
	v_add_f64 v[4:5], v[4:5], -v[18:19]
	v_add_f64 v[6:7], v[6:7], -v[20:21]
	scratch_store_dwordx4 off, v[4:7], off offset:720
	ds_read2_b64 v[4:7], v12 offset0:92 offset1:93
	s_waitcnt lgkmcnt(0)
	v_mul_f64 v[18:19], v[6:7], v[2:3]
	v_mul_f64 v[20:21], v[4:5], v[2:3]
	v_fma_f64 v[18:19], v[4:5], v[16:17], -v[18:19]
	v_fmac_f64_e32 v[20:21], v[6:7], v[16:17]
	scratch_load_dwordx4 v[4:7], off, off offset:736
	s_waitcnt vmcnt(0)
	v_add_f64 v[4:5], v[4:5], -v[18:19]
	v_add_f64 v[6:7], v[6:7], -v[20:21]
	scratch_store_dwordx4 off, v[4:7], off offset:736
	ds_read2_b64 v[4:7], v12 offset0:94 offset1:95
	s_waitcnt lgkmcnt(0)
	v_mul_f64 v[18:19], v[6:7], v[2:3]
	v_mul_f64 v[20:21], v[4:5], v[2:3]
	v_fma_f64 v[18:19], v[4:5], v[16:17], -v[18:19]
	v_fmac_f64_e32 v[20:21], v[6:7], v[16:17]
	scratch_load_dwordx4 v[4:7], off, off offset:752
	s_waitcnt vmcnt(0)
	v_add_f64 v[4:5], v[4:5], -v[18:19]
	v_add_f64 v[6:7], v[6:7], -v[20:21]
	scratch_store_dwordx4 off, v[4:7], off offset:752
	ds_read2_b64 v[4:7], v12 offset0:96 offset1:97
	s_waitcnt lgkmcnt(0)
	v_mul_f64 v[18:19], v[6:7], v[2:3]
	v_mul_f64 v[20:21], v[4:5], v[2:3]
	v_fma_f64 v[18:19], v[4:5], v[16:17], -v[18:19]
	v_fmac_f64_e32 v[20:21], v[6:7], v[16:17]
	scratch_load_dwordx4 v[4:7], off, off offset:768
	s_waitcnt vmcnt(0)
	v_add_f64 v[4:5], v[4:5], -v[18:19]
	v_add_f64 v[6:7], v[6:7], -v[20:21]
	scratch_store_dwordx4 off, v[4:7], off offset:768
	ds_read2_b64 v[4:7], v12 offset0:98 offset1:99
	s_waitcnt lgkmcnt(0)
	v_mul_f64 v[18:19], v[6:7], v[2:3]
	v_fma_f64 v[18:19], v[4:5], v[16:17], -v[18:19]
	v_mul_f64 v[20:21], v[4:5], v[2:3]
	scratch_load_dwordx4 v[2:5], off, off offset:784
	v_fmac_f64_e32 v[20:21], v[6:7], v[16:17]
	s_waitcnt vmcnt(0)
	v_add_f64 v[2:3], v[2:3], -v[18:19]
	v_add_f64 v[4:5], v[4:5], -v[20:21]
	scratch_store_dwordx4 off, v[2:5], off offset:784
	ds_read2_b64 v[2:5], v12 offset0:100 offset1:101
	scratch_load_dwordx2 v[6:7], off, off offset:592
	scratch_load_dwordx2 v[16:17], off, off offset:600
	s_waitcnt vmcnt(0) lgkmcnt(0)
	v_mul_f64 v[18:19], v[4:5], v[16:17]
	v_mul_f64 v[20:21], v[2:3], v[16:17]
	v_fma_f64 v[18:19], v[2:3], v[6:7], -v[18:19]
	v_fmac_f64_e32 v[20:21], v[4:5], v[6:7]
	scratch_load_dwordx4 v[2:5], off, off offset:800
	s_waitcnt vmcnt(0)
	v_add_f64 v[2:3], v[2:3], -v[18:19]
	v_add_f64 v[4:5], v[4:5], -v[20:21]
	scratch_store_dwordx4 off, v[2:5], off offset:800
	ds_read2_b64 v[2:5], v12 offset0:102 offset1:103
	s_waitcnt lgkmcnt(0)
	v_mul_f64 v[18:19], v[4:5], v[16:17]
	v_mul_f64 v[20:21], v[2:3], v[16:17]
	v_fma_f64 v[18:19], v[2:3], v[6:7], -v[18:19]
	v_fmac_f64_e32 v[20:21], v[4:5], v[6:7]
	scratch_load_dwordx4 v[2:5], off, off offset:816
	s_waitcnt vmcnt(0)
	v_add_f64 v[2:3], v[2:3], -v[18:19]
	v_add_f64 v[4:5], v[4:5], -v[20:21]
	scratch_store_dwordx4 off, v[2:5], off offset:816
	ds_read2_b64 v[2:5], v12 offset0:104 offset1:105
	s_waitcnt lgkmcnt(0)
	;; [unrolled: 11-line block ×5, first 2 shown]
	v_mul_f64 v[18:19], v[4:5], v[16:17]
	v_mul_f64 v[16:17], v[2:3], v[16:17]
	v_fma_f64 v[18:19], v[2:3], v[6:7], -v[18:19]
	v_fmac_f64_e32 v[16:17], v[4:5], v[6:7]
	scratch_load_dwordx4 v[2:5], off, off offset:880
	s_waitcnt vmcnt(0)
	v_add_f64 v[2:3], v[2:3], -v[18:19]
	v_add_f64 v[4:5], v[4:5], -v[16:17]
	scratch_store_dwordx4 off, v[2:5], off offset:880
	ds_read2_b64 v[2:5], v12 offset0:112 offset1:113
	scratch_load_dwordx2 v[6:7], off, off offset:592
	scratch_load_dwordx2 v[16:17], off, off offset:600
	s_waitcnt vmcnt(0) lgkmcnt(0)
	v_mul_f64 v[18:19], v[4:5], v[16:17]
	v_mul_f64 v[20:21], v[2:3], v[16:17]
	v_fma_f64 v[18:19], v[2:3], v[6:7], -v[18:19]
	v_fmac_f64_e32 v[20:21], v[4:5], v[6:7]
	scratch_load_dwordx4 v[2:5], off, off offset:896
	s_waitcnt vmcnt(0)
	v_add_f64 v[2:3], v[2:3], -v[18:19]
	v_add_f64 v[4:5], v[4:5], -v[20:21]
	scratch_store_dwordx4 off, v[2:5], off offset:896
	ds_read2_b64 v[2:5], v12 offset0:114 offset1:115
	s_waitcnt lgkmcnt(0)
	v_mul_f64 v[18:19], v[4:5], v[16:17]
	v_mul_f64 v[20:21], v[2:3], v[16:17]
	v_fma_f64 v[18:19], v[2:3], v[6:7], -v[18:19]
	v_fmac_f64_e32 v[20:21], v[4:5], v[6:7]
	scratch_load_dwordx4 v[2:5], off, off offset:912
	s_waitcnt vmcnt(0)
	v_add_f64 v[2:3], v[2:3], -v[18:19]
	v_add_f64 v[4:5], v[4:5], -v[20:21]
	scratch_store_dwordx4 off, v[2:5], off offset:912
	ds_read2_b64 v[2:5], v12 offset0:116 offset1:117
	s_waitcnt lgkmcnt(0)
	;; [unrolled: 11-line block ×5, first 2 shown]
	v_mul_f64 v[18:19], v[4:5], v[16:17]
	v_mul_f64 v[16:17], v[2:3], v[16:17]
	v_fma_f64 v[18:19], v[2:3], v[6:7], -v[18:19]
	v_fmac_f64_e32 v[16:17], v[4:5], v[6:7]
	scratch_load_dwordx4 v[2:5], off, off offset:976
	s_waitcnt vmcnt(0)
	v_add_f64 v[4:5], v[4:5], -v[16:17]
	scratch_load_dwordx2 v[16:17], off, off offset:600
	v_add_f64 v[2:3], v[2:3], -v[18:19]
	scratch_store_dwordx4 off, v[2:5], off offset:976
	ds_read2_b64 v[2:5], v12 offset0:124 offset1:125
	s_waitcnt vmcnt(1) lgkmcnt(0)
	v_mul_f64 v[6:7], v[4:5], v[16:17]
	v_mul_f64 v[18:19], v[2:3], v[16:17]
	v_fma_f64 v[6:7], v[2:3], v[0:1], -v[6:7]
	v_fmac_f64_e32 v[18:19], v[4:5], v[0:1]
	scratch_load_dwordx4 v[2:5], off, off offset:992
	s_waitcnt vmcnt(0)
	v_add_f64 v[2:3], v[2:3], -v[6:7]
	v_add_f64 v[4:5], v[4:5], -v[18:19]
	scratch_store_dwordx4 off, v[2:5], off offset:992
	ds_read2_b64 v[4:7], v12 offset0:126 offset1:127
	s_waitcnt lgkmcnt(0)
	v_mul_f64 v[2:3], v[6:7], v[16:17]
	v_fma_f64 v[2:3], v[4:5], v[0:1], -v[2:3]
	v_mul_f64 v[4:5], v[4:5], v[16:17]
	scratch_load_dwordx4 v[16:19], off, off offset:1008
	v_fmac_f64_e32 v[4:5], v[6:7], v[0:1]
	s_waitcnt vmcnt(0)
	v_add_f64 v[0:1], v[16:17], -v[2:3]
	v_add_f64 v[2:3], v[18:19], -v[4:5]
	scratch_store_dwordx4 off, v[0:3], off offset:1008
.LBB126_912:
	s_or_b64 exec, exec, s[0:1]
	s_barrier
	scratch_load_dwordx4 v[0:3], off, s45
	v_lshl_add_u32 v4, v15, 4, v12
	s_cmp_lt_i32 s67, 40
	s_waitcnt vmcnt(0)
	ds_write2_b64 v4, v[0:1], v[2:3] offset1:1
	s_waitcnt lgkmcnt(0)
	s_barrier
	ds_read2_b64 v[0:3], v12 offset0:76 offset1:77
	v_mov_b32_e32 v4, 38
	s_cbranch_scc1 .LBB126_915
; %bb.913:
	v_add_u32_e32 v5, 0x270, v12
	s_mov_b32 s4, 39
	v_mov_b32_e32 v4, 38
.LBB126_914:                            ; =>This Inner Loop Header: Depth=1
	ds_read2_b64 v[16:19], v5 offset1:1
	s_waitcnt lgkmcnt(1)
	v_xor_b32_e32 v7, 0x80000000, v1
	v_xor_b32_e32 v21, 0x80000000, v3
	v_cmp_gt_f64_e32 vcc, 0, v[2:3]
	v_cmp_gt_f64_e64 s[0:1], 0, v[0:1]
	v_mov_b32_e32 v6, v0
	v_mov_b32_e32 v20, v2
	v_cndmask_b32_e64 v7, v1, v7, s[0:1]
	v_cndmask_b32_e32 v21, v3, v21, vcc
	v_add_f64 v[6:7], v[6:7], v[20:21]
	s_waitcnt lgkmcnt(0)
	v_xor_b32_e32 v21, 0x80000000, v17
	v_xor_b32_e32 v23, 0x80000000, v19
	v_cmp_gt_f64_e32 vcc, 0, v[18:19]
	v_cmp_gt_f64_e64 s[0:1], 0, v[16:17]
	v_mov_b32_e32 v20, v16
	v_mov_b32_e32 v22, v18
	v_cndmask_b32_e64 v21, v17, v21, s[0:1]
	v_cndmask_b32_e32 v23, v19, v23, vcc
	v_add_f64 v[20:21], v[20:21], v[22:23]
	v_mov_b32_e32 v24, s4
	s_add_i32 s4, s4, 1
	v_cmp_lt_f64_e32 vcc, v[6:7], v[20:21]
	v_add_u32_e32 v5, 16, v5
	s_cmp_lg_u32 s67, s4
	v_cndmask_b32_e32 v1, v1, v17, vcc
	v_cndmask_b32_e32 v0, v0, v16, vcc
	;; [unrolled: 1-line block ×5, first 2 shown]
	s_cbranch_scc1 .LBB126_914
.LBB126_915:
	s_waitcnt lgkmcnt(0)
	v_cmp_eq_f64_e32 vcc, 0, v[0:1]
	v_cmp_eq_f64_e64 s[0:1], 0, v[2:3]
	s_and_b64 s[0:1], vcc, s[0:1]
	s_and_saveexec_b64 s[4:5], s[0:1]
	s_xor_b64 s[0:1], exec, s[4:5]
; %bb.916:
	v_cmp_ne_u32_e32 vcc, 0, v13
	s_nop 1
	v_cndmask_b32_e32 v13, 39, v13, vcc
; %bb.917:
	s_andn2_saveexec_b64 s[0:1], s[0:1]
	s_cbranch_execz .LBB126_923
; %bb.918:
	v_cmp_ngt_f64_e64 s[4:5], |v[0:1]|, |v[2:3]|
	s_and_saveexec_b64 s[12:13], s[4:5]
	s_xor_b64 s[12:13], exec, s[12:13]
	s_cbranch_execz .LBB126_920
; %bb.919:
	v_div_scale_f64 v[6:7], s[4:5], v[2:3], v[2:3], v[0:1]
	v_rcp_f64_e32 v[16:17], v[6:7]
	v_div_scale_f64 v[18:19], vcc, v[0:1], v[2:3], v[0:1]
	v_fma_f64 v[20:21], -v[6:7], v[16:17], 1.0
	v_fmac_f64_e32 v[16:17], v[16:17], v[20:21]
	v_fma_f64 v[20:21], -v[6:7], v[16:17], 1.0
	v_fmac_f64_e32 v[16:17], v[16:17], v[20:21]
	v_mul_f64 v[20:21], v[18:19], v[16:17]
	v_fma_f64 v[6:7], -v[6:7], v[20:21], v[18:19]
	v_div_fmas_f64 v[6:7], v[6:7], v[16:17], v[20:21]
	v_div_fixup_f64 v[6:7], v[6:7], v[2:3], v[0:1]
	v_fmac_f64_e32 v[2:3], v[0:1], v[6:7]
	v_div_scale_f64 v[0:1], s[4:5], v[2:3], v[2:3], 1.0
	v_rcp_f64_e32 v[16:17], v[0:1]
	s_nop 0
	v_fma_f64 v[18:19], -v[0:1], v[16:17], 1.0
	v_fmac_f64_e32 v[16:17], v[16:17], v[18:19]
	v_fma_f64 v[18:19], -v[0:1], v[16:17], 1.0
	v_fmac_f64_e32 v[16:17], v[16:17], v[18:19]
	v_div_scale_f64 v[18:19], vcc, 1.0, v[2:3], 1.0
	v_mul_f64 v[20:21], v[18:19], v[16:17]
	v_fma_f64 v[0:1], -v[0:1], v[20:21], v[18:19]
	s_nop 1
	v_div_fmas_f64 v[0:1], v[0:1], v[16:17], v[20:21]
	v_div_fixup_f64 v[2:3], v[0:1], v[2:3], 1.0
	v_mul_f64 v[0:1], v[6:7], v[2:3]
	v_xor_b32_e32 v3, 0x80000000, v3
.LBB126_920:
	s_andn2_saveexec_b64 s[12:13], s[12:13]
	s_cbranch_execz .LBB126_922
; %bb.921:
	v_div_scale_f64 v[6:7], s[4:5], v[0:1], v[0:1], v[2:3]
	v_rcp_f64_e32 v[16:17], v[6:7]
	v_div_scale_f64 v[18:19], vcc, v[2:3], v[0:1], v[2:3]
	v_fma_f64 v[20:21], -v[6:7], v[16:17], 1.0
	v_fmac_f64_e32 v[16:17], v[16:17], v[20:21]
	v_fma_f64 v[20:21], -v[6:7], v[16:17], 1.0
	v_fmac_f64_e32 v[16:17], v[16:17], v[20:21]
	v_mul_f64 v[20:21], v[18:19], v[16:17]
	v_fma_f64 v[6:7], -v[6:7], v[20:21], v[18:19]
	v_div_fmas_f64 v[6:7], v[6:7], v[16:17], v[20:21]
	v_div_fixup_f64 v[6:7], v[6:7], v[0:1], v[2:3]
	v_fmac_f64_e32 v[0:1], v[2:3], v[6:7]
	v_div_scale_f64 v[2:3], s[4:5], v[0:1], v[0:1], 1.0
	v_rcp_f64_e32 v[16:17], v[2:3]
	s_nop 0
	v_fma_f64 v[18:19], -v[2:3], v[16:17], 1.0
	v_fmac_f64_e32 v[16:17], v[16:17], v[18:19]
	v_fma_f64 v[18:19], -v[2:3], v[16:17], 1.0
	v_fmac_f64_e32 v[16:17], v[16:17], v[18:19]
	v_div_scale_f64 v[18:19], vcc, 1.0, v[0:1], 1.0
	v_mul_f64 v[20:21], v[18:19], v[16:17]
	v_fma_f64 v[2:3], -v[2:3], v[20:21], v[18:19]
	s_nop 1
	v_div_fmas_f64 v[2:3], v[2:3], v[16:17], v[20:21]
	v_div_fixup_f64 v[0:1], v[2:3], v[0:1], 1.0
	v_mul_f64 v[2:3], v[6:7], -v[0:1]
.LBB126_922:
	s_or_b64 exec, exec, s[12:13]
.LBB126_923:
	s_or_b64 exec, exec, s[0:1]
	v_cmp_ne_u32_e32 vcc, v15, v4
	s_and_saveexec_b64 s[0:1], vcc
	s_xor_b64 s[0:1], exec, s[0:1]
	s_cbranch_execz .LBB126_929
; %bb.924:
	v_cmp_eq_u32_e32 vcc, 38, v15
	s_and_saveexec_b64 s[12:13], vcc
	s_cbranch_execz .LBB126_928
; %bb.925:
	v_cmp_ne_u32_e32 vcc, 38, v4
	s_xor_b64 s[4:5], s[8:9], -1
	s_and_b64 s[4:5], s[4:5], vcc
	s_and_saveexec_b64 s[14:15], s[4:5]
	s_cbranch_execz .LBB126_927
; %bb.926:
	v_ashrrev_i32_e32 v5, 31, v4
	v_lshl_add_u64 v[6:7], v[4:5], 2, v[10:11]
	global_load_dword v5, v[6:7], off
	global_load_dword v14, v[10:11], off offset:152
	s_waitcnt vmcnt(1)
	global_store_dword v[10:11], v5, off offset:152
	s_waitcnt vmcnt(1)
	global_store_dword v[6:7], v14, off
.LBB126_927:
	s_or_b64 exec, exec, s[14:15]
	v_mov_b32_e32 v15, v4
	v_mov_b32_e32 v14, v4
.LBB126_928:
	s_or_b64 exec, exec, s[12:13]
.LBB126_929:
	s_andn2_saveexec_b64 s[0:1], s[0:1]
	s_cbranch_execz .LBB126_931
; %bb.930:
	scratch_load_dwordx4 v[4:7], off, s44
	scratch_load_dwordx4 v[16:19], off, s43
	;; [unrolled: 1-line block ×25, first 2 shown]
	v_mov_b32_e32 v15, 38
	s_waitcnt vmcnt(24)
	ds_write2_b64 v12, v[4:5], v[6:7] offset0:78 offset1:79
	s_waitcnt vmcnt(23)
	ds_write2_b64 v12, v[16:17], v[18:19] offset0:80 offset1:81
	;; [unrolled: 2-line block ×25, first 2 shown]
.LBB126_931:
	s_or_b64 exec, exec, s[0:1]
	v_cmp_lt_i32_e32 vcc, 38, v15
	s_waitcnt lgkmcnt(0)
	s_barrier
	s_and_saveexec_b64 s[0:1], vcc
	s_cbranch_execz .LBB126_933
; %bb.932:
	scratch_load_dwordx4 v[4:7], off, off offset:608
	s_waitcnt vmcnt(0)
	v_mul_f64 v[16:17], v[2:3], v[6:7]
	v_mul_f64 v[18:19], v[0:1], v[6:7]
	v_fma_f64 v[16:17], v[0:1], v[4:5], -v[16:17]
	v_fmac_f64_e32 v[18:19], v[2:3], v[4:5]
	ds_read2_b64 v[0:3], v12 offset0:78 offset1:79
	scratch_store_dwordx4 off, v[16:19], off offset:608
	s_waitcnt lgkmcnt(0)
	v_mul_f64 v[4:5], v[2:3], v[18:19]
	v_mul_f64 v[6:7], v[0:1], v[18:19]
	v_fma_f64 v[4:5], v[0:1], v[16:17], -v[4:5]
	v_fmac_f64_e32 v[6:7], v[2:3], v[16:17]
	scratch_load_dwordx4 v[0:3], off, off offset:624
	s_waitcnt vmcnt(0)
	v_add_f64 v[0:1], v[0:1], -v[4:5]
	v_add_f64 v[2:3], v[2:3], -v[6:7]
	scratch_store_dwordx4 off, v[0:3], off offset:624
	ds_read2_b64 v[0:3], v12 offset0:80 offset1:81
	s_waitcnt lgkmcnt(0)
	v_mul_f64 v[4:5], v[2:3], v[18:19]
	v_mul_f64 v[6:7], v[0:1], v[18:19]
	v_fma_f64 v[4:5], v[0:1], v[16:17], -v[4:5]
	v_fmac_f64_e32 v[6:7], v[2:3], v[16:17]
	scratch_load_dwordx4 v[0:3], off, off offset:640
	s_waitcnt vmcnt(0)
	v_add_f64 v[0:1], v[0:1], -v[4:5]
	v_add_f64 v[2:3], v[2:3], -v[6:7]
	scratch_store_dwordx4 off, v[0:3], off offset:640
	ds_read2_b64 v[0:3], v12 offset0:82 offset1:83
	;; [unrolled: 11-line block ×6, first 2 shown]
	scratch_load_dwordx2 v[16:17], off, off offset:608
	scratch_load_dwordx4 v[0:3], off, off offset:608
	s_waitcnt vmcnt(0) lgkmcnt(0)
	v_mul_f64 v[18:19], v[6:7], v[2:3]
	v_mul_f64 v[20:21], v[4:5], v[2:3]
	v_fma_f64 v[18:19], v[4:5], v[16:17], -v[18:19]
	v_fmac_f64_e32 v[20:21], v[6:7], v[16:17]
	scratch_load_dwordx4 v[4:7], off, off offset:720
	s_waitcnt vmcnt(0)
	v_add_f64 v[4:5], v[4:5], -v[18:19]
	v_add_f64 v[6:7], v[6:7], -v[20:21]
	scratch_store_dwordx4 off, v[4:7], off offset:720
	ds_read2_b64 v[4:7], v12 offset0:92 offset1:93
	s_waitcnt lgkmcnt(0)
	v_mul_f64 v[18:19], v[6:7], v[2:3]
	v_mul_f64 v[20:21], v[4:5], v[2:3]
	v_fma_f64 v[18:19], v[4:5], v[16:17], -v[18:19]
	v_fmac_f64_e32 v[20:21], v[6:7], v[16:17]
	scratch_load_dwordx4 v[4:7], off, off offset:736
	s_waitcnt vmcnt(0)
	v_add_f64 v[4:5], v[4:5], -v[18:19]
	v_add_f64 v[6:7], v[6:7], -v[20:21]
	scratch_store_dwordx4 off, v[4:7], off offset:736
	ds_read2_b64 v[4:7], v12 offset0:94 offset1:95
	s_waitcnt lgkmcnt(0)
	;; [unrolled: 11-line block ×5, first 2 shown]
	v_mul_f64 v[18:19], v[6:7], v[2:3]
	v_fma_f64 v[18:19], v[4:5], v[16:17], -v[18:19]
	v_mul_f64 v[20:21], v[4:5], v[2:3]
	scratch_load_dwordx4 v[2:5], off, off offset:800
	v_fmac_f64_e32 v[20:21], v[6:7], v[16:17]
	s_waitcnt vmcnt(0)
	v_add_f64 v[2:3], v[2:3], -v[18:19]
	v_add_f64 v[4:5], v[4:5], -v[20:21]
	scratch_store_dwordx4 off, v[2:5], off offset:800
	ds_read2_b64 v[2:5], v12 offset0:102 offset1:103
	scratch_load_dwordx2 v[6:7], off, off offset:608
	scratch_load_dwordx2 v[16:17], off, off offset:616
	s_waitcnt vmcnt(0) lgkmcnt(0)
	v_mul_f64 v[18:19], v[4:5], v[16:17]
	v_mul_f64 v[20:21], v[2:3], v[16:17]
	v_fma_f64 v[18:19], v[2:3], v[6:7], -v[18:19]
	v_fmac_f64_e32 v[20:21], v[4:5], v[6:7]
	scratch_load_dwordx4 v[2:5], off, off offset:816
	s_waitcnt vmcnt(0)
	v_add_f64 v[2:3], v[2:3], -v[18:19]
	v_add_f64 v[4:5], v[4:5], -v[20:21]
	scratch_store_dwordx4 off, v[2:5], off offset:816
	ds_read2_b64 v[2:5], v12 offset0:104 offset1:105
	s_waitcnt lgkmcnt(0)
	v_mul_f64 v[18:19], v[4:5], v[16:17]
	v_mul_f64 v[20:21], v[2:3], v[16:17]
	v_fma_f64 v[18:19], v[2:3], v[6:7], -v[18:19]
	v_fmac_f64_e32 v[20:21], v[4:5], v[6:7]
	scratch_load_dwordx4 v[2:5], off, off offset:832
	s_waitcnt vmcnt(0)
	v_add_f64 v[2:3], v[2:3], -v[18:19]
	v_add_f64 v[4:5], v[4:5], -v[20:21]
	scratch_store_dwordx4 off, v[2:5], off offset:832
	ds_read2_b64 v[2:5], v12 offset0:106 offset1:107
	s_waitcnt lgkmcnt(0)
	v_mul_f64 v[18:19], v[4:5], v[16:17]
	v_mul_f64 v[20:21], v[2:3], v[16:17]
	v_fma_f64 v[18:19], v[2:3], v[6:7], -v[18:19]
	v_fmac_f64_e32 v[20:21], v[4:5], v[6:7]
	scratch_load_dwordx4 v[2:5], off, off offset:848
	s_waitcnt vmcnt(0)
	v_add_f64 v[2:3], v[2:3], -v[18:19]
	v_add_f64 v[4:5], v[4:5], -v[20:21]
	scratch_store_dwordx4 off, v[2:5], off offset:848
	ds_read2_b64 v[2:5], v12 offset0:108 offset1:109
	s_waitcnt lgkmcnt(0)
	v_mul_f64 v[18:19], v[4:5], v[16:17]
	v_mul_f64 v[20:21], v[2:3], v[16:17]
	v_fma_f64 v[18:19], v[2:3], v[6:7], -v[18:19]
	v_fmac_f64_e32 v[20:21], v[4:5], v[6:7]
	scratch_load_dwordx4 v[2:5], off, off offset:864
	s_waitcnt vmcnt(0)
	v_add_f64 v[2:3], v[2:3], -v[18:19]
	v_add_f64 v[4:5], v[4:5], -v[20:21]
	scratch_store_dwordx4 off, v[2:5], off offset:864
	ds_read2_b64 v[2:5], v12 offset0:110 offset1:111
	s_waitcnt lgkmcnt(0)
	v_mul_f64 v[18:19], v[4:5], v[16:17]
	v_mul_f64 v[20:21], v[2:3], v[16:17]
	v_fma_f64 v[18:19], v[2:3], v[6:7], -v[18:19]
	v_fmac_f64_e32 v[20:21], v[4:5], v[6:7]
	scratch_load_dwordx4 v[2:5], off, off offset:880
	s_waitcnt vmcnt(0)
	v_add_f64 v[2:3], v[2:3], -v[18:19]
	v_add_f64 v[4:5], v[4:5], -v[20:21]
	scratch_store_dwordx4 off, v[2:5], off offset:880
	ds_read2_b64 v[2:5], v12 offset0:112 offset1:113
	s_waitcnt lgkmcnt(0)
	v_mul_f64 v[18:19], v[4:5], v[16:17]
	v_mul_f64 v[16:17], v[2:3], v[16:17]
	v_fma_f64 v[18:19], v[2:3], v[6:7], -v[18:19]
	v_fmac_f64_e32 v[16:17], v[4:5], v[6:7]
	scratch_load_dwordx4 v[2:5], off, off offset:896
	s_waitcnt vmcnt(0)
	v_add_f64 v[2:3], v[2:3], -v[18:19]
	v_add_f64 v[4:5], v[4:5], -v[16:17]
	scratch_store_dwordx4 off, v[2:5], off offset:896
	ds_read2_b64 v[2:5], v12 offset0:114 offset1:115
	scratch_load_dwordx2 v[6:7], off, off offset:608
	scratch_load_dwordx2 v[16:17], off, off offset:616
	s_waitcnt vmcnt(0) lgkmcnt(0)
	v_mul_f64 v[18:19], v[4:5], v[16:17]
	v_mul_f64 v[20:21], v[2:3], v[16:17]
	v_fma_f64 v[18:19], v[2:3], v[6:7], -v[18:19]
	v_fmac_f64_e32 v[20:21], v[4:5], v[6:7]
	scratch_load_dwordx4 v[2:5], off, off offset:912
	s_waitcnt vmcnt(0)
	v_add_f64 v[2:3], v[2:3], -v[18:19]
	v_add_f64 v[4:5], v[4:5], -v[20:21]
	scratch_store_dwordx4 off, v[2:5], off offset:912
	ds_read2_b64 v[2:5], v12 offset0:116 offset1:117
	s_waitcnt lgkmcnt(0)
	v_mul_f64 v[18:19], v[4:5], v[16:17]
	v_mul_f64 v[20:21], v[2:3], v[16:17]
	v_fma_f64 v[18:19], v[2:3], v[6:7], -v[18:19]
	v_fmac_f64_e32 v[20:21], v[4:5], v[6:7]
	scratch_load_dwordx4 v[2:5], off, off offset:928
	s_waitcnt vmcnt(0)
	v_add_f64 v[2:3], v[2:3], -v[18:19]
	v_add_f64 v[4:5], v[4:5], -v[20:21]
	scratch_store_dwordx4 off, v[2:5], off offset:928
	ds_read2_b64 v[2:5], v12 offset0:118 offset1:119
	s_waitcnt lgkmcnt(0)
	;; [unrolled: 11-line block ×5, first 2 shown]
	v_mul_f64 v[18:19], v[4:5], v[16:17]
	v_mul_f64 v[16:17], v[2:3], v[16:17]
	v_fma_f64 v[18:19], v[2:3], v[6:7], -v[18:19]
	v_fmac_f64_e32 v[16:17], v[4:5], v[6:7]
	scratch_load_dwordx4 v[2:5], off, off offset:992
	s_waitcnt vmcnt(0)
	v_add_f64 v[4:5], v[4:5], -v[16:17]
	scratch_load_dwordx2 v[16:17], off, off offset:616
	v_add_f64 v[2:3], v[2:3], -v[18:19]
	scratch_store_dwordx4 off, v[2:5], off offset:992
	ds_read2_b64 v[2:5], v12 offset0:126 offset1:127
	s_waitcnt vmcnt(1) lgkmcnt(0)
	v_mul_f64 v[6:7], v[4:5], v[16:17]
	v_fma_f64 v[6:7], v[2:3], v[0:1], -v[6:7]
	v_mul_f64 v[2:3], v[2:3], v[16:17]
	scratch_load_dwordx4 v[16:19], off, off offset:1008
	v_fmac_f64_e32 v[2:3], v[4:5], v[0:1]
	s_waitcnt vmcnt(0)
	v_add_f64 v[0:1], v[16:17], -v[6:7]
	v_add_f64 v[2:3], v[18:19], -v[2:3]
	scratch_store_dwordx4 off, v[0:3], off offset:1008
.LBB126_933:
	s_or_b64 exec, exec, s[0:1]
	s_barrier
	scratch_load_dwordx4 v[0:3], off, s44
	v_lshl_add_u32 v4, v15, 4, v12
	s_cmp_lt_i32 s67, 41
	s_waitcnt vmcnt(0)
	ds_write2_b64 v4, v[0:1], v[2:3] offset1:1
	s_waitcnt lgkmcnt(0)
	s_barrier
	ds_read2_b64 v[0:3], v12 offset0:78 offset1:79
	v_mov_b32_e32 v4, 39
	s_cbranch_scc1 .LBB126_936
; %bb.934:
	v_add_u32_e32 v5, 0x280, v12
	s_mov_b32 s4, 40
	v_mov_b32_e32 v4, 39
.LBB126_935:                            ; =>This Inner Loop Header: Depth=1
	ds_read2_b64 v[16:19], v5 offset1:1
	s_waitcnt lgkmcnt(1)
	v_xor_b32_e32 v7, 0x80000000, v1
	v_xor_b32_e32 v21, 0x80000000, v3
	v_cmp_gt_f64_e32 vcc, 0, v[2:3]
	v_cmp_gt_f64_e64 s[0:1], 0, v[0:1]
	v_mov_b32_e32 v6, v0
	v_mov_b32_e32 v20, v2
	v_cndmask_b32_e64 v7, v1, v7, s[0:1]
	v_cndmask_b32_e32 v21, v3, v21, vcc
	v_add_f64 v[6:7], v[6:7], v[20:21]
	s_waitcnt lgkmcnt(0)
	v_xor_b32_e32 v21, 0x80000000, v17
	v_xor_b32_e32 v23, 0x80000000, v19
	v_cmp_gt_f64_e32 vcc, 0, v[18:19]
	v_cmp_gt_f64_e64 s[0:1], 0, v[16:17]
	v_mov_b32_e32 v20, v16
	v_mov_b32_e32 v22, v18
	v_cndmask_b32_e64 v21, v17, v21, s[0:1]
	v_cndmask_b32_e32 v23, v19, v23, vcc
	v_add_f64 v[20:21], v[20:21], v[22:23]
	v_mov_b32_e32 v24, s4
	s_add_i32 s4, s4, 1
	v_cmp_lt_f64_e32 vcc, v[6:7], v[20:21]
	v_add_u32_e32 v5, 16, v5
	s_cmp_lg_u32 s67, s4
	v_cndmask_b32_e32 v1, v1, v17, vcc
	v_cndmask_b32_e32 v0, v0, v16, vcc
	;; [unrolled: 1-line block ×5, first 2 shown]
	s_cbranch_scc1 .LBB126_935
.LBB126_936:
	s_waitcnt lgkmcnt(0)
	v_cmp_eq_f64_e32 vcc, 0, v[0:1]
	v_cmp_eq_f64_e64 s[0:1], 0, v[2:3]
	s_and_b64 s[0:1], vcc, s[0:1]
	s_and_saveexec_b64 s[4:5], s[0:1]
	s_xor_b64 s[0:1], exec, s[4:5]
; %bb.937:
	v_cmp_ne_u32_e32 vcc, 0, v13
	s_nop 1
	v_cndmask_b32_e32 v13, 40, v13, vcc
; %bb.938:
	s_andn2_saveexec_b64 s[0:1], s[0:1]
	s_cbranch_execz .LBB126_944
; %bb.939:
	v_cmp_ngt_f64_e64 s[4:5], |v[0:1]|, |v[2:3]|
	s_and_saveexec_b64 s[12:13], s[4:5]
	s_xor_b64 s[12:13], exec, s[12:13]
	s_cbranch_execz .LBB126_941
; %bb.940:
	v_div_scale_f64 v[6:7], s[4:5], v[2:3], v[2:3], v[0:1]
	v_rcp_f64_e32 v[16:17], v[6:7]
	v_div_scale_f64 v[18:19], vcc, v[0:1], v[2:3], v[0:1]
	v_fma_f64 v[20:21], -v[6:7], v[16:17], 1.0
	v_fmac_f64_e32 v[16:17], v[16:17], v[20:21]
	v_fma_f64 v[20:21], -v[6:7], v[16:17], 1.0
	v_fmac_f64_e32 v[16:17], v[16:17], v[20:21]
	v_mul_f64 v[20:21], v[18:19], v[16:17]
	v_fma_f64 v[6:7], -v[6:7], v[20:21], v[18:19]
	v_div_fmas_f64 v[6:7], v[6:7], v[16:17], v[20:21]
	v_div_fixup_f64 v[6:7], v[6:7], v[2:3], v[0:1]
	v_fmac_f64_e32 v[2:3], v[0:1], v[6:7]
	v_div_scale_f64 v[0:1], s[4:5], v[2:3], v[2:3], 1.0
	v_rcp_f64_e32 v[16:17], v[0:1]
	s_nop 0
	v_fma_f64 v[18:19], -v[0:1], v[16:17], 1.0
	v_fmac_f64_e32 v[16:17], v[16:17], v[18:19]
	v_fma_f64 v[18:19], -v[0:1], v[16:17], 1.0
	v_fmac_f64_e32 v[16:17], v[16:17], v[18:19]
	v_div_scale_f64 v[18:19], vcc, 1.0, v[2:3], 1.0
	v_mul_f64 v[20:21], v[18:19], v[16:17]
	v_fma_f64 v[0:1], -v[0:1], v[20:21], v[18:19]
	s_nop 1
	v_div_fmas_f64 v[0:1], v[0:1], v[16:17], v[20:21]
	v_div_fixup_f64 v[2:3], v[0:1], v[2:3], 1.0
	v_mul_f64 v[0:1], v[6:7], v[2:3]
	v_xor_b32_e32 v3, 0x80000000, v3
.LBB126_941:
	s_andn2_saveexec_b64 s[12:13], s[12:13]
	s_cbranch_execz .LBB126_943
; %bb.942:
	v_div_scale_f64 v[6:7], s[4:5], v[0:1], v[0:1], v[2:3]
	v_rcp_f64_e32 v[16:17], v[6:7]
	v_div_scale_f64 v[18:19], vcc, v[2:3], v[0:1], v[2:3]
	v_fma_f64 v[20:21], -v[6:7], v[16:17], 1.0
	v_fmac_f64_e32 v[16:17], v[16:17], v[20:21]
	v_fma_f64 v[20:21], -v[6:7], v[16:17], 1.0
	v_fmac_f64_e32 v[16:17], v[16:17], v[20:21]
	v_mul_f64 v[20:21], v[18:19], v[16:17]
	v_fma_f64 v[6:7], -v[6:7], v[20:21], v[18:19]
	v_div_fmas_f64 v[6:7], v[6:7], v[16:17], v[20:21]
	v_div_fixup_f64 v[6:7], v[6:7], v[0:1], v[2:3]
	v_fmac_f64_e32 v[0:1], v[2:3], v[6:7]
	v_div_scale_f64 v[2:3], s[4:5], v[0:1], v[0:1], 1.0
	v_rcp_f64_e32 v[16:17], v[2:3]
	s_nop 0
	v_fma_f64 v[18:19], -v[2:3], v[16:17], 1.0
	v_fmac_f64_e32 v[16:17], v[16:17], v[18:19]
	v_fma_f64 v[18:19], -v[2:3], v[16:17], 1.0
	v_fmac_f64_e32 v[16:17], v[16:17], v[18:19]
	v_div_scale_f64 v[18:19], vcc, 1.0, v[0:1], 1.0
	v_mul_f64 v[20:21], v[18:19], v[16:17]
	v_fma_f64 v[2:3], -v[2:3], v[20:21], v[18:19]
	s_nop 1
	v_div_fmas_f64 v[2:3], v[2:3], v[16:17], v[20:21]
	v_div_fixup_f64 v[0:1], v[2:3], v[0:1], 1.0
	v_mul_f64 v[2:3], v[6:7], -v[0:1]
.LBB126_943:
	s_or_b64 exec, exec, s[12:13]
.LBB126_944:
	s_or_b64 exec, exec, s[0:1]
	v_cmp_ne_u32_e32 vcc, v15, v4
	s_and_saveexec_b64 s[0:1], vcc
	s_xor_b64 s[0:1], exec, s[0:1]
	s_cbranch_execz .LBB126_950
; %bb.945:
	v_cmp_eq_u32_e32 vcc, 39, v15
	s_and_saveexec_b64 s[12:13], vcc
	s_cbranch_execz .LBB126_949
; %bb.946:
	v_cmp_ne_u32_e32 vcc, 39, v4
	s_xor_b64 s[4:5], s[8:9], -1
	s_and_b64 s[4:5], s[4:5], vcc
	s_and_saveexec_b64 s[14:15], s[4:5]
	s_cbranch_execz .LBB126_948
; %bb.947:
	v_ashrrev_i32_e32 v5, 31, v4
	v_lshl_add_u64 v[6:7], v[4:5], 2, v[10:11]
	global_load_dword v5, v[6:7], off
	global_load_dword v14, v[10:11], off offset:156
	s_waitcnt vmcnt(1)
	global_store_dword v[10:11], v5, off offset:156
	s_waitcnt vmcnt(1)
	global_store_dword v[6:7], v14, off
.LBB126_948:
	s_or_b64 exec, exec, s[14:15]
	v_mov_b32_e32 v15, v4
	v_mov_b32_e32 v14, v4
.LBB126_949:
	s_or_b64 exec, exec, s[12:13]
.LBB126_950:
	s_andn2_saveexec_b64 s[0:1], s[0:1]
	s_cbranch_execz .LBB126_952
; %bb.951:
	scratch_load_dwordx4 v[4:7], off, s43
	scratch_load_dwordx4 v[16:19], off, s42
	;; [unrolled: 1-line block ×24, first 2 shown]
	v_mov_b32_e32 v15, 39
	s_waitcnt vmcnt(23)
	ds_write2_b64 v12, v[4:5], v[6:7] offset0:80 offset1:81
	s_waitcnt vmcnt(22)
	ds_write2_b64 v12, v[16:17], v[18:19] offset0:82 offset1:83
	;; [unrolled: 2-line block ×24, first 2 shown]
.LBB126_952:
	s_or_b64 exec, exec, s[0:1]
	v_cmp_lt_i32_e32 vcc, 39, v15
	s_waitcnt lgkmcnt(0)
	s_barrier
	s_and_saveexec_b64 s[0:1], vcc
	s_cbranch_execz .LBB126_954
; %bb.953:
	scratch_load_dwordx4 v[4:7], off, off offset:624
	s_waitcnt vmcnt(0)
	v_mul_f64 v[16:17], v[2:3], v[6:7]
	v_mul_f64 v[18:19], v[0:1], v[6:7]
	v_fma_f64 v[16:17], v[0:1], v[4:5], -v[16:17]
	v_fmac_f64_e32 v[18:19], v[2:3], v[4:5]
	ds_read2_b64 v[0:3], v12 offset0:80 offset1:81
	scratch_store_dwordx4 off, v[16:19], off offset:624
	s_waitcnt lgkmcnt(0)
	v_mul_f64 v[4:5], v[2:3], v[18:19]
	v_mul_f64 v[6:7], v[0:1], v[18:19]
	v_fma_f64 v[4:5], v[0:1], v[16:17], -v[4:5]
	v_fmac_f64_e32 v[6:7], v[2:3], v[16:17]
	scratch_load_dwordx4 v[0:3], off, off offset:640
	s_waitcnt vmcnt(0)
	v_add_f64 v[0:1], v[0:1], -v[4:5]
	v_add_f64 v[2:3], v[2:3], -v[6:7]
	scratch_store_dwordx4 off, v[0:3], off offset:640
	ds_read2_b64 v[0:3], v12 offset0:82 offset1:83
	s_waitcnt lgkmcnt(0)
	v_mul_f64 v[4:5], v[2:3], v[18:19]
	v_mul_f64 v[6:7], v[0:1], v[18:19]
	v_fma_f64 v[4:5], v[0:1], v[16:17], -v[4:5]
	v_fmac_f64_e32 v[6:7], v[2:3], v[16:17]
	scratch_load_dwordx4 v[0:3], off, off offset:656
	s_waitcnt vmcnt(0)
	v_add_f64 v[0:1], v[0:1], -v[4:5]
	v_add_f64 v[2:3], v[2:3], -v[6:7]
	scratch_store_dwordx4 off, v[0:3], off offset:656
	ds_read2_b64 v[0:3], v12 offset0:84 offset1:85
	;; [unrolled: 11-line block ×6, first 2 shown]
	scratch_load_dwordx2 v[16:17], off, off offset:624
	scratch_load_dwordx4 v[0:3], off, off offset:624
	s_waitcnt vmcnt(0) lgkmcnt(0)
	v_mul_f64 v[18:19], v[6:7], v[2:3]
	v_mul_f64 v[20:21], v[4:5], v[2:3]
	v_fma_f64 v[18:19], v[4:5], v[16:17], -v[18:19]
	v_fmac_f64_e32 v[20:21], v[6:7], v[16:17]
	scratch_load_dwordx4 v[4:7], off, off offset:736
	s_waitcnt vmcnt(0)
	v_add_f64 v[4:5], v[4:5], -v[18:19]
	v_add_f64 v[6:7], v[6:7], -v[20:21]
	scratch_store_dwordx4 off, v[4:7], off offset:736
	ds_read2_b64 v[4:7], v12 offset0:94 offset1:95
	s_waitcnt lgkmcnt(0)
	v_mul_f64 v[18:19], v[6:7], v[2:3]
	v_mul_f64 v[20:21], v[4:5], v[2:3]
	v_fma_f64 v[18:19], v[4:5], v[16:17], -v[18:19]
	v_fmac_f64_e32 v[20:21], v[6:7], v[16:17]
	scratch_load_dwordx4 v[4:7], off, off offset:752
	s_waitcnt vmcnt(0)
	v_add_f64 v[4:5], v[4:5], -v[18:19]
	v_add_f64 v[6:7], v[6:7], -v[20:21]
	scratch_store_dwordx4 off, v[4:7], off offset:752
	ds_read2_b64 v[4:7], v12 offset0:96 offset1:97
	s_waitcnt lgkmcnt(0)
	v_mul_f64 v[18:19], v[6:7], v[2:3]
	v_mul_f64 v[20:21], v[4:5], v[2:3]
	v_fma_f64 v[18:19], v[4:5], v[16:17], -v[18:19]
	v_fmac_f64_e32 v[20:21], v[6:7], v[16:17]
	scratch_load_dwordx4 v[4:7], off, off offset:768
	s_waitcnt vmcnt(0)
	v_add_f64 v[4:5], v[4:5], -v[18:19]
	v_add_f64 v[6:7], v[6:7], -v[20:21]
	scratch_store_dwordx4 off, v[4:7], off offset:768
	ds_read2_b64 v[4:7], v12 offset0:98 offset1:99
	s_waitcnt lgkmcnt(0)
	v_mul_f64 v[18:19], v[6:7], v[2:3]
	v_mul_f64 v[20:21], v[4:5], v[2:3]
	v_fma_f64 v[18:19], v[4:5], v[16:17], -v[18:19]
	v_fmac_f64_e32 v[20:21], v[6:7], v[16:17]
	scratch_load_dwordx4 v[4:7], off, off offset:784
	s_waitcnt vmcnt(0)
	v_add_f64 v[4:5], v[4:5], -v[18:19]
	v_add_f64 v[6:7], v[6:7], -v[20:21]
	scratch_store_dwordx4 off, v[4:7], off offset:784
	ds_read2_b64 v[4:7], v12 offset0:100 offset1:101
	s_waitcnt lgkmcnt(0)
	v_mul_f64 v[18:19], v[6:7], v[2:3]
	v_mul_f64 v[20:21], v[4:5], v[2:3]
	v_fma_f64 v[18:19], v[4:5], v[16:17], -v[18:19]
	v_fmac_f64_e32 v[20:21], v[6:7], v[16:17]
	scratch_load_dwordx4 v[4:7], off, off offset:800
	s_waitcnt vmcnt(0)
	v_add_f64 v[4:5], v[4:5], -v[18:19]
	v_add_f64 v[6:7], v[6:7], -v[20:21]
	scratch_store_dwordx4 off, v[4:7], off offset:800
	ds_read2_b64 v[4:7], v12 offset0:102 offset1:103
	s_waitcnt lgkmcnt(0)
	v_mul_f64 v[18:19], v[6:7], v[2:3]
	v_fma_f64 v[18:19], v[4:5], v[16:17], -v[18:19]
	v_mul_f64 v[20:21], v[4:5], v[2:3]
	scratch_load_dwordx4 v[2:5], off, off offset:816
	v_fmac_f64_e32 v[20:21], v[6:7], v[16:17]
	s_waitcnt vmcnt(0)
	v_add_f64 v[2:3], v[2:3], -v[18:19]
	v_add_f64 v[4:5], v[4:5], -v[20:21]
	scratch_store_dwordx4 off, v[2:5], off offset:816
	ds_read2_b64 v[16:19], v12 offset0:104 offset1:105
	scratch_load_dwordx2 v[2:3], off, off offset:624
	scratch_load_dwordx2 v[4:5], off, off offset:632
	s_waitcnt vmcnt(0) lgkmcnt(0)
	v_mul_f64 v[6:7], v[18:19], v[4:5]
	v_mul_f64 v[20:21], v[16:17], v[4:5]
	v_fma_f64 v[6:7], v[16:17], v[2:3], -v[6:7]
	v_fmac_f64_e32 v[20:21], v[18:19], v[2:3]
	scratch_load_dwordx4 v[16:19], off, off offset:832
	s_waitcnt vmcnt(0)
	v_add_f64 v[16:17], v[16:17], -v[6:7]
	v_add_f64 v[18:19], v[18:19], -v[20:21]
	scratch_store_dwordx4 off, v[16:19], off offset:832
	ds_read2_b64 v[16:19], v12 offset0:106 offset1:107
	s_waitcnt lgkmcnt(0)
	v_mul_f64 v[6:7], v[18:19], v[4:5]
	v_mul_f64 v[20:21], v[16:17], v[4:5]
	v_fma_f64 v[6:7], v[16:17], v[2:3], -v[6:7]
	v_fmac_f64_e32 v[20:21], v[18:19], v[2:3]
	scratch_load_dwordx4 v[16:19], off, off offset:848
	s_waitcnt vmcnt(0)
	v_add_f64 v[16:17], v[16:17], -v[6:7]
	v_add_f64 v[18:19], v[18:19], -v[20:21]
	scratch_store_dwordx4 off, v[16:19], off offset:848
	ds_read2_b64 v[16:19], v12 offset0:108 offset1:109
	s_waitcnt lgkmcnt(0)
	;; [unrolled: 11-line block ×5, first 2 shown]
	v_mul_f64 v[6:7], v[18:19], v[4:5]
	v_fma_f64 v[6:7], v[16:17], v[2:3], -v[6:7]
	v_mul_f64 v[16:17], v[16:17], v[4:5]
	v_fmac_f64_e32 v[16:17], v[18:19], v[2:3]
	scratch_load_dwordx4 v[2:5], off, off offset:912
	s_waitcnt vmcnt(0)
	v_add_f64 v[2:3], v[2:3], -v[6:7]
	scratch_load_dwordx2 v[6:7], off, off offset:632
	v_add_f64 v[4:5], v[4:5], -v[16:17]
	scratch_store_dwordx4 off, v[2:5], off offset:912
	ds_read2_b64 v[2:5], v12 offset0:116 offset1:117
	s_waitcnt vmcnt(1) lgkmcnt(0)
	v_mul_f64 v[16:17], v[4:5], v[6:7]
	v_mul_f64 v[18:19], v[2:3], v[6:7]
	v_fma_f64 v[16:17], v[2:3], v[0:1], -v[16:17]
	v_fmac_f64_e32 v[18:19], v[4:5], v[0:1]
	scratch_load_dwordx4 v[2:5], off, off offset:928
	s_waitcnt vmcnt(0)
	v_add_f64 v[2:3], v[2:3], -v[16:17]
	v_add_f64 v[4:5], v[4:5], -v[18:19]
	scratch_store_dwordx4 off, v[2:5], off offset:928
	ds_read2_b64 v[2:5], v12 offset0:118 offset1:119
	s_waitcnt lgkmcnt(0)
	v_mul_f64 v[16:17], v[4:5], v[6:7]
	v_mul_f64 v[18:19], v[2:3], v[6:7]
	v_fma_f64 v[16:17], v[2:3], v[0:1], -v[16:17]
	v_fmac_f64_e32 v[18:19], v[4:5], v[0:1]
	scratch_load_dwordx4 v[2:5], off, off offset:944
	s_waitcnt vmcnt(0)
	v_add_f64 v[2:3], v[2:3], -v[16:17]
	v_add_f64 v[4:5], v[4:5], -v[18:19]
	scratch_store_dwordx4 off, v[2:5], off offset:944
	ds_read2_b64 v[2:5], v12 offset0:120 offset1:121
	s_waitcnt lgkmcnt(0)
	;; [unrolled: 11-line block ×5, first 2 shown]
	v_mul_f64 v[16:17], v[4:5], v[6:7]
	v_mul_f64 v[6:7], v[2:3], v[6:7]
	v_fma_f64 v[16:17], v[2:3], v[0:1], -v[16:17]
	v_fmac_f64_e32 v[6:7], v[4:5], v[0:1]
	scratch_load_dwordx4 v[0:3], off, off offset:1008
	s_waitcnt vmcnt(0)
	v_add_f64 v[0:1], v[0:1], -v[16:17]
	v_add_f64 v[2:3], v[2:3], -v[6:7]
	scratch_store_dwordx4 off, v[0:3], off offset:1008
.LBB126_954:
	s_or_b64 exec, exec, s[0:1]
	s_barrier
	scratch_load_dwordx4 v[0:3], off, s43
	v_lshl_add_u32 v4, v15, 4, v12
	s_cmp_lt_i32 s67, 42
	s_waitcnt vmcnt(0)
	ds_write2_b64 v4, v[0:1], v[2:3] offset1:1
	s_waitcnt lgkmcnt(0)
	s_barrier
	ds_read2_b64 v[0:3], v12 offset0:80 offset1:81
	v_mov_b32_e32 v4, 40
	s_cbranch_scc1 .LBB126_957
; %bb.955:
	v_add_u32_e32 v5, 0x290, v12
	s_mov_b32 s4, 41
	v_mov_b32_e32 v4, 40
.LBB126_956:                            ; =>This Inner Loop Header: Depth=1
	ds_read2_b64 v[16:19], v5 offset1:1
	s_waitcnt lgkmcnt(1)
	v_xor_b32_e32 v7, 0x80000000, v1
	v_xor_b32_e32 v21, 0x80000000, v3
	v_cmp_gt_f64_e32 vcc, 0, v[2:3]
	v_cmp_gt_f64_e64 s[0:1], 0, v[0:1]
	v_mov_b32_e32 v6, v0
	v_mov_b32_e32 v20, v2
	v_cndmask_b32_e64 v7, v1, v7, s[0:1]
	v_cndmask_b32_e32 v21, v3, v21, vcc
	v_add_f64 v[6:7], v[6:7], v[20:21]
	s_waitcnt lgkmcnt(0)
	v_xor_b32_e32 v21, 0x80000000, v17
	v_xor_b32_e32 v23, 0x80000000, v19
	v_cmp_gt_f64_e32 vcc, 0, v[18:19]
	v_cmp_gt_f64_e64 s[0:1], 0, v[16:17]
	v_mov_b32_e32 v20, v16
	v_mov_b32_e32 v22, v18
	v_cndmask_b32_e64 v21, v17, v21, s[0:1]
	v_cndmask_b32_e32 v23, v19, v23, vcc
	v_add_f64 v[20:21], v[20:21], v[22:23]
	v_mov_b32_e32 v24, s4
	s_add_i32 s4, s4, 1
	v_cmp_lt_f64_e32 vcc, v[6:7], v[20:21]
	v_add_u32_e32 v5, 16, v5
	s_cmp_lg_u32 s67, s4
	v_cndmask_b32_e32 v1, v1, v17, vcc
	v_cndmask_b32_e32 v0, v0, v16, vcc
	;; [unrolled: 1-line block ×5, first 2 shown]
	s_cbranch_scc1 .LBB126_956
.LBB126_957:
	s_waitcnt lgkmcnt(0)
	v_cmp_eq_f64_e32 vcc, 0, v[0:1]
	v_cmp_eq_f64_e64 s[0:1], 0, v[2:3]
	s_and_b64 s[0:1], vcc, s[0:1]
	s_and_saveexec_b64 s[4:5], s[0:1]
	s_xor_b64 s[0:1], exec, s[4:5]
; %bb.958:
	v_cmp_ne_u32_e32 vcc, 0, v13
	s_nop 1
	v_cndmask_b32_e32 v13, 41, v13, vcc
; %bb.959:
	s_andn2_saveexec_b64 s[0:1], s[0:1]
	s_cbranch_execz .LBB126_965
; %bb.960:
	v_cmp_ngt_f64_e64 s[4:5], |v[0:1]|, |v[2:3]|
	s_and_saveexec_b64 s[12:13], s[4:5]
	s_xor_b64 s[12:13], exec, s[12:13]
	s_cbranch_execz .LBB126_962
; %bb.961:
	v_div_scale_f64 v[6:7], s[4:5], v[2:3], v[2:3], v[0:1]
	v_rcp_f64_e32 v[16:17], v[6:7]
	v_div_scale_f64 v[18:19], vcc, v[0:1], v[2:3], v[0:1]
	v_fma_f64 v[20:21], -v[6:7], v[16:17], 1.0
	v_fmac_f64_e32 v[16:17], v[16:17], v[20:21]
	v_fma_f64 v[20:21], -v[6:7], v[16:17], 1.0
	v_fmac_f64_e32 v[16:17], v[16:17], v[20:21]
	v_mul_f64 v[20:21], v[18:19], v[16:17]
	v_fma_f64 v[6:7], -v[6:7], v[20:21], v[18:19]
	v_div_fmas_f64 v[6:7], v[6:7], v[16:17], v[20:21]
	v_div_fixup_f64 v[6:7], v[6:7], v[2:3], v[0:1]
	v_fmac_f64_e32 v[2:3], v[0:1], v[6:7]
	v_div_scale_f64 v[0:1], s[4:5], v[2:3], v[2:3], 1.0
	v_rcp_f64_e32 v[16:17], v[0:1]
	s_nop 0
	v_fma_f64 v[18:19], -v[0:1], v[16:17], 1.0
	v_fmac_f64_e32 v[16:17], v[16:17], v[18:19]
	v_fma_f64 v[18:19], -v[0:1], v[16:17], 1.0
	v_fmac_f64_e32 v[16:17], v[16:17], v[18:19]
	v_div_scale_f64 v[18:19], vcc, 1.0, v[2:3], 1.0
	v_mul_f64 v[20:21], v[18:19], v[16:17]
	v_fma_f64 v[0:1], -v[0:1], v[20:21], v[18:19]
	s_nop 1
	v_div_fmas_f64 v[0:1], v[0:1], v[16:17], v[20:21]
	v_div_fixup_f64 v[2:3], v[0:1], v[2:3], 1.0
	v_mul_f64 v[0:1], v[6:7], v[2:3]
	v_xor_b32_e32 v3, 0x80000000, v3
.LBB126_962:
	s_andn2_saveexec_b64 s[12:13], s[12:13]
	s_cbranch_execz .LBB126_964
; %bb.963:
	v_div_scale_f64 v[6:7], s[4:5], v[0:1], v[0:1], v[2:3]
	v_rcp_f64_e32 v[16:17], v[6:7]
	v_div_scale_f64 v[18:19], vcc, v[2:3], v[0:1], v[2:3]
	v_fma_f64 v[20:21], -v[6:7], v[16:17], 1.0
	v_fmac_f64_e32 v[16:17], v[16:17], v[20:21]
	v_fma_f64 v[20:21], -v[6:7], v[16:17], 1.0
	v_fmac_f64_e32 v[16:17], v[16:17], v[20:21]
	v_mul_f64 v[20:21], v[18:19], v[16:17]
	v_fma_f64 v[6:7], -v[6:7], v[20:21], v[18:19]
	v_div_fmas_f64 v[6:7], v[6:7], v[16:17], v[20:21]
	v_div_fixup_f64 v[6:7], v[6:7], v[0:1], v[2:3]
	v_fmac_f64_e32 v[0:1], v[2:3], v[6:7]
	v_div_scale_f64 v[2:3], s[4:5], v[0:1], v[0:1], 1.0
	v_rcp_f64_e32 v[16:17], v[2:3]
	s_nop 0
	v_fma_f64 v[18:19], -v[2:3], v[16:17], 1.0
	v_fmac_f64_e32 v[16:17], v[16:17], v[18:19]
	v_fma_f64 v[18:19], -v[2:3], v[16:17], 1.0
	v_fmac_f64_e32 v[16:17], v[16:17], v[18:19]
	v_div_scale_f64 v[18:19], vcc, 1.0, v[0:1], 1.0
	v_mul_f64 v[20:21], v[18:19], v[16:17]
	v_fma_f64 v[2:3], -v[2:3], v[20:21], v[18:19]
	s_nop 1
	v_div_fmas_f64 v[2:3], v[2:3], v[16:17], v[20:21]
	v_div_fixup_f64 v[0:1], v[2:3], v[0:1], 1.0
	v_mul_f64 v[2:3], v[6:7], -v[0:1]
.LBB126_964:
	s_or_b64 exec, exec, s[12:13]
.LBB126_965:
	s_or_b64 exec, exec, s[0:1]
	v_cmp_ne_u32_e32 vcc, v15, v4
	s_and_saveexec_b64 s[0:1], vcc
	s_xor_b64 s[0:1], exec, s[0:1]
	s_cbranch_execz .LBB126_971
; %bb.966:
	v_cmp_eq_u32_e32 vcc, 40, v15
	s_and_saveexec_b64 s[12:13], vcc
	s_cbranch_execz .LBB126_970
; %bb.967:
	v_cmp_ne_u32_e32 vcc, 40, v4
	s_xor_b64 s[4:5], s[8:9], -1
	s_and_b64 s[4:5], s[4:5], vcc
	s_and_saveexec_b64 s[14:15], s[4:5]
	s_cbranch_execz .LBB126_969
; %bb.968:
	v_ashrrev_i32_e32 v5, 31, v4
	v_lshl_add_u64 v[6:7], v[4:5], 2, v[10:11]
	global_load_dword v5, v[6:7], off
	global_load_dword v14, v[10:11], off offset:160
	s_waitcnt vmcnt(1)
	global_store_dword v[10:11], v5, off offset:160
	s_waitcnt vmcnt(1)
	global_store_dword v[6:7], v14, off
.LBB126_969:
	s_or_b64 exec, exec, s[14:15]
	v_mov_b32_e32 v15, v4
	v_mov_b32_e32 v14, v4
.LBB126_970:
	s_or_b64 exec, exec, s[12:13]
.LBB126_971:
	s_andn2_saveexec_b64 s[0:1], s[0:1]
	s_cbranch_execz .LBB126_973
; %bb.972:
	scratch_load_dwordx4 v[4:7], off, s42
	scratch_load_dwordx4 v[16:19], off, s41
	;; [unrolled: 1-line block ×23, first 2 shown]
	v_mov_b32_e32 v15, 40
	s_waitcnt vmcnt(22)
	ds_write2_b64 v12, v[4:5], v[6:7] offset0:82 offset1:83
	s_waitcnt vmcnt(21)
	ds_write2_b64 v12, v[16:17], v[18:19] offset0:84 offset1:85
	;; [unrolled: 2-line block ×23, first 2 shown]
.LBB126_973:
	s_or_b64 exec, exec, s[0:1]
	v_cmp_lt_i32_e32 vcc, 40, v15
	s_waitcnt lgkmcnt(0)
	s_barrier
	s_and_saveexec_b64 s[0:1], vcc
	s_cbranch_execz .LBB126_975
; %bb.974:
	scratch_load_dwordx4 v[4:7], off, off offset:640
	s_waitcnt vmcnt(0)
	v_mul_f64 v[16:17], v[2:3], v[6:7]
	v_mul_f64 v[18:19], v[0:1], v[6:7]
	v_fma_f64 v[16:17], v[0:1], v[4:5], -v[16:17]
	v_fmac_f64_e32 v[18:19], v[2:3], v[4:5]
	ds_read2_b64 v[0:3], v12 offset0:82 offset1:83
	scratch_store_dwordx4 off, v[16:19], off offset:640
	s_waitcnt lgkmcnt(0)
	v_mul_f64 v[4:5], v[2:3], v[18:19]
	v_mul_f64 v[6:7], v[0:1], v[18:19]
	v_fma_f64 v[4:5], v[0:1], v[16:17], -v[4:5]
	v_fmac_f64_e32 v[6:7], v[2:3], v[16:17]
	scratch_load_dwordx4 v[0:3], off, off offset:656
	s_waitcnt vmcnt(0)
	v_add_f64 v[0:1], v[0:1], -v[4:5]
	v_add_f64 v[2:3], v[2:3], -v[6:7]
	scratch_store_dwordx4 off, v[0:3], off offset:656
	ds_read2_b64 v[0:3], v12 offset0:84 offset1:85
	s_waitcnt lgkmcnt(0)
	v_mul_f64 v[4:5], v[2:3], v[18:19]
	v_mul_f64 v[6:7], v[0:1], v[18:19]
	v_fma_f64 v[4:5], v[0:1], v[16:17], -v[4:5]
	v_fmac_f64_e32 v[6:7], v[2:3], v[16:17]
	scratch_load_dwordx4 v[0:3], off, off offset:672
	s_waitcnt vmcnt(0)
	v_add_f64 v[0:1], v[0:1], -v[4:5]
	v_add_f64 v[2:3], v[2:3], -v[6:7]
	scratch_store_dwordx4 off, v[0:3], off offset:672
	ds_read2_b64 v[0:3], v12 offset0:86 offset1:87
	;; [unrolled: 11-line block ×6, first 2 shown]
	scratch_load_dwordx2 v[16:17], off, off offset:640
	scratch_load_dwordx4 v[0:3], off, off offset:640
	s_waitcnt vmcnt(0) lgkmcnt(0)
	v_mul_f64 v[18:19], v[6:7], v[2:3]
	v_mul_f64 v[20:21], v[4:5], v[2:3]
	v_fma_f64 v[18:19], v[4:5], v[16:17], -v[18:19]
	v_fmac_f64_e32 v[20:21], v[6:7], v[16:17]
	scratch_load_dwordx4 v[4:7], off, off offset:752
	s_waitcnt vmcnt(0)
	v_add_f64 v[4:5], v[4:5], -v[18:19]
	v_add_f64 v[6:7], v[6:7], -v[20:21]
	scratch_store_dwordx4 off, v[4:7], off offset:752
	ds_read2_b64 v[4:7], v12 offset0:96 offset1:97
	s_waitcnt lgkmcnt(0)
	v_mul_f64 v[18:19], v[6:7], v[2:3]
	v_mul_f64 v[20:21], v[4:5], v[2:3]
	v_fma_f64 v[18:19], v[4:5], v[16:17], -v[18:19]
	v_fmac_f64_e32 v[20:21], v[6:7], v[16:17]
	scratch_load_dwordx4 v[4:7], off, off offset:768
	s_waitcnt vmcnt(0)
	v_add_f64 v[4:5], v[4:5], -v[18:19]
	v_add_f64 v[6:7], v[6:7], -v[20:21]
	scratch_store_dwordx4 off, v[4:7], off offset:768
	ds_read2_b64 v[4:7], v12 offset0:98 offset1:99
	s_waitcnt lgkmcnt(0)
	;; [unrolled: 11-line block ×5, first 2 shown]
	v_mul_f64 v[18:19], v[6:7], v[2:3]
	v_fma_f64 v[18:19], v[4:5], v[16:17], -v[18:19]
	v_mul_f64 v[20:21], v[4:5], v[2:3]
	scratch_load_dwordx4 v[2:5], off, off offset:832
	v_fmac_f64_e32 v[20:21], v[6:7], v[16:17]
	s_waitcnt vmcnt(0)
	v_add_f64 v[2:3], v[2:3], -v[18:19]
	v_add_f64 v[4:5], v[4:5], -v[20:21]
	scratch_store_dwordx4 off, v[2:5], off offset:832
	ds_read2_b64 v[16:19], v12 offset0:106 offset1:107
	scratch_load_dwordx2 v[2:3], off, off offset:640
	scratch_load_dwordx2 v[4:5], off, off offset:648
	s_waitcnt vmcnt(0) lgkmcnt(0)
	v_mul_f64 v[6:7], v[18:19], v[4:5]
	v_mul_f64 v[20:21], v[16:17], v[4:5]
	v_fma_f64 v[6:7], v[16:17], v[2:3], -v[6:7]
	v_fmac_f64_e32 v[20:21], v[18:19], v[2:3]
	scratch_load_dwordx4 v[16:19], off, off offset:848
	s_waitcnt vmcnt(0)
	v_add_f64 v[16:17], v[16:17], -v[6:7]
	v_add_f64 v[18:19], v[18:19], -v[20:21]
	scratch_store_dwordx4 off, v[16:19], off offset:848
	ds_read2_b64 v[16:19], v12 offset0:108 offset1:109
	s_waitcnt lgkmcnt(0)
	v_mul_f64 v[6:7], v[18:19], v[4:5]
	v_mul_f64 v[20:21], v[16:17], v[4:5]
	v_fma_f64 v[6:7], v[16:17], v[2:3], -v[6:7]
	v_fmac_f64_e32 v[20:21], v[18:19], v[2:3]
	scratch_load_dwordx4 v[16:19], off, off offset:864
	s_waitcnt vmcnt(0)
	v_add_f64 v[16:17], v[16:17], -v[6:7]
	v_add_f64 v[18:19], v[18:19], -v[20:21]
	scratch_store_dwordx4 off, v[16:19], off offset:864
	ds_read2_b64 v[16:19], v12 offset0:110 offset1:111
	s_waitcnt lgkmcnt(0)
	;; [unrolled: 11-line block ×5, first 2 shown]
	v_mul_f64 v[6:7], v[18:19], v[4:5]
	v_fma_f64 v[6:7], v[16:17], v[2:3], -v[6:7]
	v_mul_f64 v[16:17], v[16:17], v[4:5]
	v_fmac_f64_e32 v[16:17], v[18:19], v[2:3]
	scratch_load_dwordx4 v[2:5], off, off offset:928
	s_waitcnt vmcnt(0)
	v_add_f64 v[2:3], v[2:3], -v[6:7]
	scratch_load_dwordx2 v[6:7], off, off offset:648
	v_add_f64 v[4:5], v[4:5], -v[16:17]
	scratch_store_dwordx4 off, v[2:5], off offset:928
	ds_read2_b64 v[2:5], v12 offset0:118 offset1:119
	s_waitcnt vmcnt(1) lgkmcnt(0)
	v_mul_f64 v[16:17], v[4:5], v[6:7]
	v_mul_f64 v[18:19], v[2:3], v[6:7]
	v_fma_f64 v[16:17], v[2:3], v[0:1], -v[16:17]
	v_fmac_f64_e32 v[18:19], v[4:5], v[0:1]
	scratch_load_dwordx4 v[2:5], off, off offset:944
	s_waitcnt vmcnt(0)
	v_add_f64 v[2:3], v[2:3], -v[16:17]
	v_add_f64 v[4:5], v[4:5], -v[18:19]
	scratch_store_dwordx4 off, v[2:5], off offset:944
	ds_read2_b64 v[2:5], v12 offset0:120 offset1:121
	s_waitcnt lgkmcnt(0)
	v_mul_f64 v[16:17], v[4:5], v[6:7]
	v_mul_f64 v[18:19], v[2:3], v[6:7]
	v_fma_f64 v[16:17], v[2:3], v[0:1], -v[16:17]
	v_fmac_f64_e32 v[18:19], v[4:5], v[0:1]
	scratch_load_dwordx4 v[2:5], off, off offset:960
	s_waitcnt vmcnt(0)
	v_add_f64 v[2:3], v[2:3], -v[16:17]
	v_add_f64 v[4:5], v[4:5], -v[18:19]
	scratch_store_dwordx4 off, v[2:5], off offset:960
	ds_read2_b64 v[2:5], v12 offset0:122 offset1:123
	s_waitcnt lgkmcnt(0)
	;; [unrolled: 11-line block ×4, first 2 shown]
	v_mul_f64 v[16:17], v[4:5], v[6:7]
	v_mul_f64 v[6:7], v[2:3], v[6:7]
	v_fma_f64 v[16:17], v[2:3], v[0:1], -v[16:17]
	v_fmac_f64_e32 v[6:7], v[4:5], v[0:1]
	scratch_load_dwordx4 v[0:3], off, off offset:1008
	s_waitcnt vmcnt(0)
	v_add_f64 v[0:1], v[0:1], -v[16:17]
	v_add_f64 v[2:3], v[2:3], -v[6:7]
	scratch_store_dwordx4 off, v[0:3], off offset:1008
.LBB126_975:
	s_or_b64 exec, exec, s[0:1]
	s_barrier
	scratch_load_dwordx4 v[0:3], off, s42
	v_lshl_add_u32 v4, v15, 4, v12
	s_cmp_lt_i32 s67, 43
	s_waitcnt vmcnt(0)
	ds_write2_b64 v4, v[0:1], v[2:3] offset1:1
	s_waitcnt lgkmcnt(0)
	s_barrier
	ds_read2_b64 v[0:3], v12 offset0:82 offset1:83
	v_mov_b32_e32 v4, 41
	s_cbranch_scc1 .LBB126_978
; %bb.976:
	v_add_u32_e32 v5, 0x2a0, v12
	s_mov_b32 s4, 42
	v_mov_b32_e32 v4, 41
.LBB126_977:                            ; =>This Inner Loop Header: Depth=1
	ds_read2_b64 v[16:19], v5 offset1:1
	s_waitcnt lgkmcnt(1)
	v_xor_b32_e32 v7, 0x80000000, v1
	v_xor_b32_e32 v21, 0x80000000, v3
	v_cmp_gt_f64_e32 vcc, 0, v[2:3]
	v_cmp_gt_f64_e64 s[0:1], 0, v[0:1]
	v_mov_b32_e32 v6, v0
	v_mov_b32_e32 v20, v2
	v_cndmask_b32_e64 v7, v1, v7, s[0:1]
	v_cndmask_b32_e32 v21, v3, v21, vcc
	v_add_f64 v[6:7], v[6:7], v[20:21]
	s_waitcnt lgkmcnt(0)
	v_xor_b32_e32 v21, 0x80000000, v17
	v_xor_b32_e32 v23, 0x80000000, v19
	v_cmp_gt_f64_e32 vcc, 0, v[18:19]
	v_cmp_gt_f64_e64 s[0:1], 0, v[16:17]
	v_mov_b32_e32 v20, v16
	v_mov_b32_e32 v22, v18
	v_cndmask_b32_e64 v21, v17, v21, s[0:1]
	v_cndmask_b32_e32 v23, v19, v23, vcc
	v_add_f64 v[20:21], v[20:21], v[22:23]
	v_mov_b32_e32 v24, s4
	s_add_i32 s4, s4, 1
	v_cmp_lt_f64_e32 vcc, v[6:7], v[20:21]
	v_add_u32_e32 v5, 16, v5
	s_cmp_lg_u32 s67, s4
	v_cndmask_b32_e32 v1, v1, v17, vcc
	v_cndmask_b32_e32 v0, v0, v16, vcc
	;; [unrolled: 1-line block ×5, first 2 shown]
	s_cbranch_scc1 .LBB126_977
.LBB126_978:
	s_waitcnt lgkmcnt(0)
	v_cmp_eq_f64_e32 vcc, 0, v[0:1]
	v_cmp_eq_f64_e64 s[0:1], 0, v[2:3]
	s_and_b64 s[0:1], vcc, s[0:1]
	s_and_saveexec_b64 s[4:5], s[0:1]
	s_xor_b64 s[0:1], exec, s[4:5]
; %bb.979:
	v_cmp_ne_u32_e32 vcc, 0, v13
	s_nop 1
	v_cndmask_b32_e32 v13, 42, v13, vcc
; %bb.980:
	s_andn2_saveexec_b64 s[0:1], s[0:1]
	s_cbranch_execz .LBB126_986
; %bb.981:
	v_cmp_ngt_f64_e64 s[4:5], |v[0:1]|, |v[2:3]|
	s_and_saveexec_b64 s[12:13], s[4:5]
	s_xor_b64 s[12:13], exec, s[12:13]
	s_cbranch_execz .LBB126_983
; %bb.982:
	v_div_scale_f64 v[6:7], s[4:5], v[2:3], v[2:3], v[0:1]
	v_rcp_f64_e32 v[16:17], v[6:7]
	v_div_scale_f64 v[18:19], vcc, v[0:1], v[2:3], v[0:1]
	v_fma_f64 v[20:21], -v[6:7], v[16:17], 1.0
	v_fmac_f64_e32 v[16:17], v[16:17], v[20:21]
	v_fma_f64 v[20:21], -v[6:7], v[16:17], 1.0
	v_fmac_f64_e32 v[16:17], v[16:17], v[20:21]
	v_mul_f64 v[20:21], v[18:19], v[16:17]
	v_fma_f64 v[6:7], -v[6:7], v[20:21], v[18:19]
	v_div_fmas_f64 v[6:7], v[6:7], v[16:17], v[20:21]
	v_div_fixup_f64 v[6:7], v[6:7], v[2:3], v[0:1]
	v_fmac_f64_e32 v[2:3], v[0:1], v[6:7]
	v_div_scale_f64 v[0:1], s[4:5], v[2:3], v[2:3], 1.0
	v_rcp_f64_e32 v[16:17], v[0:1]
	s_nop 0
	v_fma_f64 v[18:19], -v[0:1], v[16:17], 1.0
	v_fmac_f64_e32 v[16:17], v[16:17], v[18:19]
	v_fma_f64 v[18:19], -v[0:1], v[16:17], 1.0
	v_fmac_f64_e32 v[16:17], v[16:17], v[18:19]
	v_div_scale_f64 v[18:19], vcc, 1.0, v[2:3], 1.0
	v_mul_f64 v[20:21], v[18:19], v[16:17]
	v_fma_f64 v[0:1], -v[0:1], v[20:21], v[18:19]
	s_nop 1
	v_div_fmas_f64 v[0:1], v[0:1], v[16:17], v[20:21]
	v_div_fixup_f64 v[2:3], v[0:1], v[2:3], 1.0
	v_mul_f64 v[0:1], v[6:7], v[2:3]
	v_xor_b32_e32 v3, 0x80000000, v3
.LBB126_983:
	s_andn2_saveexec_b64 s[12:13], s[12:13]
	s_cbranch_execz .LBB126_985
; %bb.984:
	v_div_scale_f64 v[6:7], s[4:5], v[0:1], v[0:1], v[2:3]
	v_rcp_f64_e32 v[16:17], v[6:7]
	v_div_scale_f64 v[18:19], vcc, v[2:3], v[0:1], v[2:3]
	v_fma_f64 v[20:21], -v[6:7], v[16:17], 1.0
	v_fmac_f64_e32 v[16:17], v[16:17], v[20:21]
	v_fma_f64 v[20:21], -v[6:7], v[16:17], 1.0
	v_fmac_f64_e32 v[16:17], v[16:17], v[20:21]
	v_mul_f64 v[20:21], v[18:19], v[16:17]
	v_fma_f64 v[6:7], -v[6:7], v[20:21], v[18:19]
	v_div_fmas_f64 v[6:7], v[6:7], v[16:17], v[20:21]
	v_div_fixup_f64 v[6:7], v[6:7], v[0:1], v[2:3]
	v_fmac_f64_e32 v[0:1], v[2:3], v[6:7]
	v_div_scale_f64 v[2:3], s[4:5], v[0:1], v[0:1], 1.0
	v_rcp_f64_e32 v[16:17], v[2:3]
	s_nop 0
	v_fma_f64 v[18:19], -v[2:3], v[16:17], 1.0
	v_fmac_f64_e32 v[16:17], v[16:17], v[18:19]
	v_fma_f64 v[18:19], -v[2:3], v[16:17], 1.0
	v_fmac_f64_e32 v[16:17], v[16:17], v[18:19]
	v_div_scale_f64 v[18:19], vcc, 1.0, v[0:1], 1.0
	v_mul_f64 v[20:21], v[18:19], v[16:17]
	v_fma_f64 v[2:3], -v[2:3], v[20:21], v[18:19]
	s_nop 1
	v_div_fmas_f64 v[2:3], v[2:3], v[16:17], v[20:21]
	v_div_fixup_f64 v[0:1], v[2:3], v[0:1], 1.0
	v_mul_f64 v[2:3], v[6:7], -v[0:1]
.LBB126_985:
	s_or_b64 exec, exec, s[12:13]
.LBB126_986:
	s_or_b64 exec, exec, s[0:1]
	v_cmp_ne_u32_e32 vcc, v15, v4
	s_and_saveexec_b64 s[0:1], vcc
	s_xor_b64 s[0:1], exec, s[0:1]
	s_cbranch_execz .LBB126_992
; %bb.987:
	v_cmp_eq_u32_e32 vcc, 41, v15
	s_and_saveexec_b64 s[12:13], vcc
	s_cbranch_execz .LBB126_991
; %bb.988:
	v_cmp_ne_u32_e32 vcc, 41, v4
	s_xor_b64 s[4:5], s[8:9], -1
	s_and_b64 s[4:5], s[4:5], vcc
	s_and_saveexec_b64 s[14:15], s[4:5]
	s_cbranch_execz .LBB126_990
; %bb.989:
	v_ashrrev_i32_e32 v5, 31, v4
	v_lshl_add_u64 v[6:7], v[4:5], 2, v[10:11]
	global_load_dword v5, v[6:7], off
	global_load_dword v14, v[10:11], off offset:164
	s_waitcnt vmcnt(1)
	global_store_dword v[10:11], v5, off offset:164
	s_waitcnt vmcnt(1)
	global_store_dword v[6:7], v14, off
.LBB126_990:
	s_or_b64 exec, exec, s[14:15]
	v_mov_b32_e32 v15, v4
	v_mov_b32_e32 v14, v4
.LBB126_991:
	s_or_b64 exec, exec, s[12:13]
.LBB126_992:
	s_andn2_saveexec_b64 s[0:1], s[0:1]
	s_cbranch_execz .LBB126_994
; %bb.993:
	scratch_load_dwordx4 v[4:7], off, s41
	scratch_load_dwordx4 v[16:19], off, s40
	;; [unrolled: 1-line block ×22, first 2 shown]
	v_mov_b32_e32 v15, 41
	s_waitcnt vmcnt(21)
	ds_write2_b64 v12, v[4:5], v[6:7] offset0:84 offset1:85
	s_waitcnt vmcnt(20)
	ds_write2_b64 v12, v[16:17], v[18:19] offset0:86 offset1:87
	s_waitcnt vmcnt(19)
	ds_write2_b64 v12, v[20:21], v[22:23] offset0:88 offset1:89
	s_waitcnt vmcnt(18)
	ds_write2_b64 v12, v[24:25], v[26:27] offset0:90 offset1:91
	s_waitcnt vmcnt(17)
	ds_write2_b64 v12, v[28:29], v[30:31] offset0:92 offset1:93
	s_waitcnt vmcnt(16)
	ds_write2_b64 v12, v[32:33], v[34:35] offset0:94 offset1:95
	s_waitcnt vmcnt(15)
	ds_write2_b64 v12, v[36:37], v[38:39] offset0:96 offset1:97
	s_waitcnt vmcnt(14)
	ds_write2_b64 v12, v[40:41], v[42:43] offset0:98 offset1:99
	s_waitcnt vmcnt(13)
	ds_write2_b64 v12, v[44:45], v[46:47] offset0:100 offset1:101
	s_waitcnt vmcnt(12)
	ds_write2_b64 v12, v[48:49], v[50:51] offset0:102 offset1:103
	s_waitcnt vmcnt(11)
	ds_write2_b64 v12, v[52:53], v[54:55] offset0:104 offset1:105
	s_waitcnt vmcnt(10)
	ds_write2_b64 v12, v[56:57], v[58:59] offset0:106 offset1:107
	s_waitcnt vmcnt(9)
	ds_write2_b64 v12, v[60:61], v[62:63] offset0:108 offset1:109
	s_waitcnt vmcnt(8)
	ds_write2_b64 v12, v[64:65], v[66:67] offset0:110 offset1:111
	s_waitcnt vmcnt(7)
	ds_write2_b64 v12, v[68:69], v[70:71] offset0:112 offset1:113
	s_waitcnt vmcnt(6)
	ds_write2_b64 v12, v[72:73], v[74:75] offset0:114 offset1:115
	s_waitcnt vmcnt(5)
	ds_write2_b64 v12, v[76:77], v[78:79] offset0:116 offset1:117
	s_waitcnt vmcnt(4)
	ds_write2_b64 v12, v[80:81], v[82:83] offset0:118 offset1:119
	s_waitcnt vmcnt(3)
	ds_write2_b64 v12, v[84:85], v[86:87] offset0:120 offset1:121
	s_waitcnt vmcnt(2)
	ds_write2_b64 v12, v[88:89], v[90:91] offset0:122 offset1:123
	s_waitcnt vmcnt(1)
	ds_write2_b64 v12, v[92:93], v[94:95] offset0:124 offset1:125
	s_waitcnt vmcnt(0)
	ds_write2_b64 v12, v[96:97], v[98:99] offset0:126 offset1:127
.LBB126_994:
	s_or_b64 exec, exec, s[0:1]
	v_cmp_lt_i32_e32 vcc, 41, v15
	s_waitcnt lgkmcnt(0)
	s_barrier
	s_and_saveexec_b64 s[0:1], vcc
	s_cbranch_execz .LBB126_996
; %bb.995:
	scratch_load_dwordx4 v[4:7], off, off offset:656
	s_waitcnt vmcnt(0)
	v_mul_f64 v[16:17], v[2:3], v[6:7]
	v_mul_f64 v[18:19], v[0:1], v[6:7]
	v_fma_f64 v[16:17], v[0:1], v[4:5], -v[16:17]
	v_fmac_f64_e32 v[18:19], v[2:3], v[4:5]
	ds_read2_b64 v[0:3], v12 offset0:84 offset1:85
	scratch_store_dwordx4 off, v[16:19], off offset:656
	s_waitcnt lgkmcnt(0)
	v_mul_f64 v[4:5], v[2:3], v[18:19]
	v_mul_f64 v[6:7], v[0:1], v[18:19]
	v_fma_f64 v[4:5], v[0:1], v[16:17], -v[4:5]
	v_fmac_f64_e32 v[6:7], v[2:3], v[16:17]
	scratch_load_dwordx4 v[0:3], off, off offset:672
	s_waitcnt vmcnt(0)
	v_add_f64 v[0:1], v[0:1], -v[4:5]
	v_add_f64 v[2:3], v[2:3], -v[6:7]
	scratch_store_dwordx4 off, v[0:3], off offset:672
	ds_read2_b64 v[0:3], v12 offset0:86 offset1:87
	s_waitcnt lgkmcnt(0)
	v_mul_f64 v[4:5], v[2:3], v[18:19]
	v_mul_f64 v[6:7], v[0:1], v[18:19]
	v_fma_f64 v[4:5], v[0:1], v[16:17], -v[4:5]
	v_fmac_f64_e32 v[6:7], v[2:3], v[16:17]
	scratch_load_dwordx4 v[0:3], off, off offset:688
	s_waitcnt vmcnt(0)
	v_add_f64 v[0:1], v[0:1], -v[4:5]
	v_add_f64 v[2:3], v[2:3], -v[6:7]
	scratch_store_dwordx4 off, v[0:3], off offset:688
	ds_read2_b64 v[0:3], v12 offset0:88 offset1:89
	;; [unrolled: 11-line block ×6, first 2 shown]
	scratch_load_dwordx2 v[16:17], off, off offset:656
	scratch_load_dwordx4 v[0:3], off, off offset:656
	s_waitcnt vmcnt(0) lgkmcnt(0)
	v_mul_f64 v[18:19], v[6:7], v[2:3]
	v_mul_f64 v[20:21], v[4:5], v[2:3]
	v_fma_f64 v[18:19], v[4:5], v[16:17], -v[18:19]
	v_fmac_f64_e32 v[20:21], v[6:7], v[16:17]
	scratch_load_dwordx4 v[4:7], off, off offset:768
	s_waitcnt vmcnt(0)
	v_add_f64 v[4:5], v[4:5], -v[18:19]
	v_add_f64 v[6:7], v[6:7], -v[20:21]
	scratch_store_dwordx4 off, v[4:7], off offset:768
	ds_read2_b64 v[4:7], v12 offset0:98 offset1:99
	s_waitcnt lgkmcnt(0)
	v_mul_f64 v[18:19], v[6:7], v[2:3]
	v_mul_f64 v[20:21], v[4:5], v[2:3]
	v_fma_f64 v[18:19], v[4:5], v[16:17], -v[18:19]
	v_fmac_f64_e32 v[20:21], v[6:7], v[16:17]
	scratch_load_dwordx4 v[4:7], off, off offset:784
	s_waitcnt vmcnt(0)
	v_add_f64 v[4:5], v[4:5], -v[18:19]
	v_add_f64 v[6:7], v[6:7], -v[20:21]
	scratch_store_dwordx4 off, v[4:7], off offset:784
	ds_read2_b64 v[4:7], v12 offset0:100 offset1:101
	s_waitcnt lgkmcnt(0)
	;; [unrolled: 11-line block ×5, first 2 shown]
	v_mul_f64 v[18:19], v[6:7], v[2:3]
	v_fma_f64 v[18:19], v[4:5], v[16:17], -v[18:19]
	v_mul_f64 v[20:21], v[4:5], v[2:3]
	scratch_load_dwordx4 v[2:5], off, off offset:848
	v_fmac_f64_e32 v[20:21], v[6:7], v[16:17]
	s_waitcnt vmcnt(0)
	v_add_f64 v[2:3], v[2:3], -v[18:19]
	v_add_f64 v[4:5], v[4:5], -v[20:21]
	scratch_store_dwordx4 off, v[2:5], off offset:848
	ds_read2_b64 v[16:19], v12 offset0:108 offset1:109
	scratch_load_dwordx2 v[2:3], off, off offset:656
	scratch_load_dwordx2 v[4:5], off, off offset:664
	s_waitcnt vmcnt(0) lgkmcnt(0)
	v_mul_f64 v[6:7], v[18:19], v[4:5]
	v_mul_f64 v[20:21], v[16:17], v[4:5]
	v_fma_f64 v[6:7], v[16:17], v[2:3], -v[6:7]
	v_fmac_f64_e32 v[20:21], v[18:19], v[2:3]
	scratch_load_dwordx4 v[16:19], off, off offset:864
	s_waitcnt vmcnt(0)
	v_add_f64 v[16:17], v[16:17], -v[6:7]
	v_add_f64 v[18:19], v[18:19], -v[20:21]
	scratch_store_dwordx4 off, v[16:19], off offset:864
	ds_read2_b64 v[16:19], v12 offset0:110 offset1:111
	s_waitcnt lgkmcnt(0)
	v_mul_f64 v[6:7], v[18:19], v[4:5]
	v_mul_f64 v[20:21], v[16:17], v[4:5]
	v_fma_f64 v[6:7], v[16:17], v[2:3], -v[6:7]
	v_fmac_f64_e32 v[20:21], v[18:19], v[2:3]
	scratch_load_dwordx4 v[16:19], off, off offset:880
	s_waitcnt vmcnt(0)
	v_add_f64 v[16:17], v[16:17], -v[6:7]
	v_add_f64 v[18:19], v[18:19], -v[20:21]
	scratch_store_dwordx4 off, v[16:19], off offset:880
	ds_read2_b64 v[16:19], v12 offset0:112 offset1:113
	s_waitcnt lgkmcnt(0)
	;; [unrolled: 11-line block ×5, first 2 shown]
	v_mul_f64 v[6:7], v[18:19], v[4:5]
	v_fma_f64 v[6:7], v[16:17], v[2:3], -v[6:7]
	v_mul_f64 v[16:17], v[16:17], v[4:5]
	v_fmac_f64_e32 v[16:17], v[18:19], v[2:3]
	scratch_load_dwordx4 v[2:5], off, off offset:944
	s_waitcnt vmcnt(0)
	v_add_f64 v[2:3], v[2:3], -v[6:7]
	scratch_load_dwordx2 v[6:7], off, off offset:664
	v_add_f64 v[4:5], v[4:5], -v[16:17]
	scratch_store_dwordx4 off, v[2:5], off offset:944
	ds_read2_b64 v[2:5], v12 offset0:120 offset1:121
	s_waitcnt vmcnt(1) lgkmcnt(0)
	v_mul_f64 v[16:17], v[4:5], v[6:7]
	v_mul_f64 v[18:19], v[2:3], v[6:7]
	v_fma_f64 v[16:17], v[2:3], v[0:1], -v[16:17]
	v_fmac_f64_e32 v[18:19], v[4:5], v[0:1]
	scratch_load_dwordx4 v[2:5], off, off offset:960
	s_waitcnt vmcnt(0)
	v_add_f64 v[2:3], v[2:3], -v[16:17]
	v_add_f64 v[4:5], v[4:5], -v[18:19]
	scratch_store_dwordx4 off, v[2:5], off offset:960
	ds_read2_b64 v[2:5], v12 offset0:122 offset1:123
	s_waitcnt lgkmcnt(0)
	v_mul_f64 v[16:17], v[4:5], v[6:7]
	v_mul_f64 v[18:19], v[2:3], v[6:7]
	v_fma_f64 v[16:17], v[2:3], v[0:1], -v[16:17]
	v_fmac_f64_e32 v[18:19], v[4:5], v[0:1]
	scratch_load_dwordx4 v[2:5], off, off offset:976
	s_waitcnt vmcnt(0)
	v_add_f64 v[2:3], v[2:3], -v[16:17]
	v_add_f64 v[4:5], v[4:5], -v[18:19]
	scratch_store_dwordx4 off, v[2:5], off offset:976
	ds_read2_b64 v[2:5], v12 offset0:124 offset1:125
	s_waitcnt lgkmcnt(0)
	;; [unrolled: 11-line block ×3, first 2 shown]
	v_mul_f64 v[16:17], v[4:5], v[6:7]
	v_mul_f64 v[6:7], v[2:3], v[6:7]
	v_fma_f64 v[16:17], v[2:3], v[0:1], -v[16:17]
	v_fmac_f64_e32 v[6:7], v[4:5], v[0:1]
	scratch_load_dwordx4 v[0:3], off, off offset:1008
	s_waitcnt vmcnt(0)
	v_add_f64 v[0:1], v[0:1], -v[16:17]
	v_add_f64 v[2:3], v[2:3], -v[6:7]
	scratch_store_dwordx4 off, v[0:3], off offset:1008
.LBB126_996:
	s_or_b64 exec, exec, s[0:1]
	s_barrier
	scratch_load_dwordx4 v[0:3], off, s41
	v_lshl_add_u32 v4, v15, 4, v12
	s_cmp_lt_i32 s67, 44
	s_waitcnt vmcnt(0)
	ds_write2_b64 v4, v[0:1], v[2:3] offset1:1
	s_waitcnt lgkmcnt(0)
	s_barrier
	ds_read2_b64 v[0:3], v12 offset0:84 offset1:85
	v_mov_b32_e32 v4, 42
	s_cbranch_scc1 .LBB126_999
; %bb.997:
	v_add_u32_e32 v5, 0x2b0, v12
	s_mov_b32 s4, 43
	v_mov_b32_e32 v4, 42
.LBB126_998:                            ; =>This Inner Loop Header: Depth=1
	ds_read2_b64 v[16:19], v5 offset1:1
	s_waitcnt lgkmcnt(1)
	v_xor_b32_e32 v7, 0x80000000, v1
	v_xor_b32_e32 v21, 0x80000000, v3
	v_cmp_gt_f64_e32 vcc, 0, v[2:3]
	v_cmp_gt_f64_e64 s[0:1], 0, v[0:1]
	v_mov_b32_e32 v6, v0
	v_mov_b32_e32 v20, v2
	v_cndmask_b32_e64 v7, v1, v7, s[0:1]
	v_cndmask_b32_e32 v21, v3, v21, vcc
	v_add_f64 v[6:7], v[6:7], v[20:21]
	s_waitcnt lgkmcnt(0)
	v_xor_b32_e32 v21, 0x80000000, v17
	v_xor_b32_e32 v23, 0x80000000, v19
	v_cmp_gt_f64_e32 vcc, 0, v[18:19]
	v_cmp_gt_f64_e64 s[0:1], 0, v[16:17]
	v_mov_b32_e32 v20, v16
	v_mov_b32_e32 v22, v18
	v_cndmask_b32_e64 v21, v17, v21, s[0:1]
	v_cndmask_b32_e32 v23, v19, v23, vcc
	v_add_f64 v[20:21], v[20:21], v[22:23]
	v_mov_b32_e32 v24, s4
	s_add_i32 s4, s4, 1
	v_cmp_lt_f64_e32 vcc, v[6:7], v[20:21]
	v_add_u32_e32 v5, 16, v5
	s_cmp_lg_u32 s67, s4
	v_cndmask_b32_e32 v1, v1, v17, vcc
	v_cndmask_b32_e32 v0, v0, v16, vcc
	;; [unrolled: 1-line block ×5, first 2 shown]
	s_cbranch_scc1 .LBB126_998
.LBB126_999:
	s_waitcnt lgkmcnt(0)
	v_cmp_eq_f64_e32 vcc, 0, v[0:1]
	v_cmp_eq_f64_e64 s[0:1], 0, v[2:3]
	s_and_b64 s[0:1], vcc, s[0:1]
	s_and_saveexec_b64 s[4:5], s[0:1]
	s_xor_b64 s[0:1], exec, s[4:5]
; %bb.1000:
	v_cmp_ne_u32_e32 vcc, 0, v13
	s_nop 1
	v_cndmask_b32_e32 v13, 43, v13, vcc
; %bb.1001:
	s_andn2_saveexec_b64 s[0:1], s[0:1]
	s_cbranch_execz .LBB126_1007
; %bb.1002:
	v_cmp_ngt_f64_e64 s[4:5], |v[0:1]|, |v[2:3]|
	s_and_saveexec_b64 s[12:13], s[4:5]
	s_xor_b64 s[12:13], exec, s[12:13]
	s_cbranch_execz .LBB126_1004
; %bb.1003:
	v_div_scale_f64 v[6:7], s[4:5], v[2:3], v[2:3], v[0:1]
	v_rcp_f64_e32 v[16:17], v[6:7]
	v_div_scale_f64 v[18:19], vcc, v[0:1], v[2:3], v[0:1]
	v_fma_f64 v[20:21], -v[6:7], v[16:17], 1.0
	v_fmac_f64_e32 v[16:17], v[16:17], v[20:21]
	v_fma_f64 v[20:21], -v[6:7], v[16:17], 1.0
	v_fmac_f64_e32 v[16:17], v[16:17], v[20:21]
	v_mul_f64 v[20:21], v[18:19], v[16:17]
	v_fma_f64 v[6:7], -v[6:7], v[20:21], v[18:19]
	v_div_fmas_f64 v[6:7], v[6:7], v[16:17], v[20:21]
	v_div_fixup_f64 v[6:7], v[6:7], v[2:3], v[0:1]
	v_fmac_f64_e32 v[2:3], v[0:1], v[6:7]
	v_div_scale_f64 v[0:1], s[4:5], v[2:3], v[2:3], 1.0
	v_rcp_f64_e32 v[16:17], v[0:1]
	s_nop 0
	v_fma_f64 v[18:19], -v[0:1], v[16:17], 1.0
	v_fmac_f64_e32 v[16:17], v[16:17], v[18:19]
	v_fma_f64 v[18:19], -v[0:1], v[16:17], 1.0
	v_fmac_f64_e32 v[16:17], v[16:17], v[18:19]
	v_div_scale_f64 v[18:19], vcc, 1.0, v[2:3], 1.0
	v_mul_f64 v[20:21], v[18:19], v[16:17]
	v_fma_f64 v[0:1], -v[0:1], v[20:21], v[18:19]
	s_nop 1
	v_div_fmas_f64 v[0:1], v[0:1], v[16:17], v[20:21]
	v_div_fixup_f64 v[2:3], v[0:1], v[2:3], 1.0
	v_mul_f64 v[0:1], v[6:7], v[2:3]
	v_xor_b32_e32 v3, 0x80000000, v3
.LBB126_1004:
	s_andn2_saveexec_b64 s[12:13], s[12:13]
	s_cbranch_execz .LBB126_1006
; %bb.1005:
	v_div_scale_f64 v[6:7], s[4:5], v[0:1], v[0:1], v[2:3]
	v_rcp_f64_e32 v[16:17], v[6:7]
	v_div_scale_f64 v[18:19], vcc, v[2:3], v[0:1], v[2:3]
	v_fma_f64 v[20:21], -v[6:7], v[16:17], 1.0
	v_fmac_f64_e32 v[16:17], v[16:17], v[20:21]
	v_fma_f64 v[20:21], -v[6:7], v[16:17], 1.0
	v_fmac_f64_e32 v[16:17], v[16:17], v[20:21]
	v_mul_f64 v[20:21], v[18:19], v[16:17]
	v_fma_f64 v[6:7], -v[6:7], v[20:21], v[18:19]
	v_div_fmas_f64 v[6:7], v[6:7], v[16:17], v[20:21]
	v_div_fixup_f64 v[6:7], v[6:7], v[0:1], v[2:3]
	v_fmac_f64_e32 v[0:1], v[2:3], v[6:7]
	v_div_scale_f64 v[2:3], s[4:5], v[0:1], v[0:1], 1.0
	v_rcp_f64_e32 v[16:17], v[2:3]
	s_nop 0
	v_fma_f64 v[18:19], -v[2:3], v[16:17], 1.0
	v_fmac_f64_e32 v[16:17], v[16:17], v[18:19]
	v_fma_f64 v[18:19], -v[2:3], v[16:17], 1.0
	v_fmac_f64_e32 v[16:17], v[16:17], v[18:19]
	v_div_scale_f64 v[18:19], vcc, 1.0, v[0:1], 1.0
	v_mul_f64 v[20:21], v[18:19], v[16:17]
	v_fma_f64 v[2:3], -v[2:3], v[20:21], v[18:19]
	s_nop 1
	v_div_fmas_f64 v[2:3], v[2:3], v[16:17], v[20:21]
	v_div_fixup_f64 v[0:1], v[2:3], v[0:1], 1.0
	v_mul_f64 v[2:3], v[6:7], -v[0:1]
.LBB126_1006:
	s_or_b64 exec, exec, s[12:13]
.LBB126_1007:
	s_or_b64 exec, exec, s[0:1]
	v_cmp_ne_u32_e32 vcc, v15, v4
	s_and_saveexec_b64 s[0:1], vcc
	s_xor_b64 s[0:1], exec, s[0:1]
	s_cbranch_execz .LBB126_1013
; %bb.1008:
	v_cmp_eq_u32_e32 vcc, 42, v15
	s_and_saveexec_b64 s[12:13], vcc
	s_cbranch_execz .LBB126_1012
; %bb.1009:
	v_cmp_ne_u32_e32 vcc, 42, v4
	s_xor_b64 s[4:5], s[8:9], -1
	s_and_b64 s[4:5], s[4:5], vcc
	s_and_saveexec_b64 s[14:15], s[4:5]
	s_cbranch_execz .LBB126_1011
; %bb.1010:
	v_ashrrev_i32_e32 v5, 31, v4
	v_lshl_add_u64 v[6:7], v[4:5], 2, v[10:11]
	global_load_dword v5, v[6:7], off
	global_load_dword v14, v[10:11], off offset:168
	s_waitcnt vmcnt(1)
	global_store_dword v[10:11], v5, off offset:168
	s_waitcnt vmcnt(1)
	global_store_dword v[6:7], v14, off
.LBB126_1011:
	s_or_b64 exec, exec, s[14:15]
	v_mov_b32_e32 v15, v4
	v_mov_b32_e32 v14, v4
.LBB126_1012:
	s_or_b64 exec, exec, s[12:13]
.LBB126_1013:
	s_andn2_saveexec_b64 s[0:1], s[0:1]
	s_cbranch_execz .LBB126_1015
; %bb.1014:
	scratch_load_dwordx4 v[4:7], off, s40
	scratch_load_dwordx4 v[16:19], off, s39
	;; [unrolled: 1-line block ×21, first 2 shown]
	v_mov_b32_e32 v15, 42
	s_waitcnt vmcnt(20)
	ds_write2_b64 v12, v[4:5], v[6:7] offset0:86 offset1:87
	s_waitcnt vmcnt(19)
	ds_write2_b64 v12, v[16:17], v[18:19] offset0:88 offset1:89
	;; [unrolled: 2-line block ×21, first 2 shown]
.LBB126_1015:
	s_or_b64 exec, exec, s[0:1]
	v_cmp_lt_i32_e32 vcc, 42, v15
	s_waitcnt lgkmcnt(0)
	s_barrier
	s_and_saveexec_b64 s[0:1], vcc
	s_cbranch_execz .LBB126_1017
; %bb.1016:
	scratch_load_dwordx4 v[4:7], off, off offset:672
	s_waitcnt vmcnt(0)
	v_mul_f64 v[16:17], v[2:3], v[6:7]
	v_mul_f64 v[18:19], v[0:1], v[6:7]
	v_fma_f64 v[16:17], v[0:1], v[4:5], -v[16:17]
	v_fmac_f64_e32 v[18:19], v[2:3], v[4:5]
	ds_read2_b64 v[0:3], v12 offset0:86 offset1:87
	scratch_store_dwordx4 off, v[16:19], off offset:672
	s_waitcnt lgkmcnt(0)
	v_mul_f64 v[4:5], v[2:3], v[18:19]
	v_mul_f64 v[6:7], v[0:1], v[18:19]
	v_fma_f64 v[4:5], v[0:1], v[16:17], -v[4:5]
	v_fmac_f64_e32 v[6:7], v[2:3], v[16:17]
	scratch_load_dwordx4 v[0:3], off, off offset:688
	s_waitcnt vmcnt(0)
	v_add_f64 v[0:1], v[0:1], -v[4:5]
	v_add_f64 v[2:3], v[2:3], -v[6:7]
	scratch_store_dwordx4 off, v[0:3], off offset:688
	ds_read2_b64 v[0:3], v12 offset0:88 offset1:89
	s_waitcnt lgkmcnt(0)
	v_mul_f64 v[4:5], v[2:3], v[18:19]
	v_mul_f64 v[6:7], v[0:1], v[18:19]
	v_fma_f64 v[4:5], v[0:1], v[16:17], -v[4:5]
	v_fmac_f64_e32 v[6:7], v[2:3], v[16:17]
	scratch_load_dwordx4 v[0:3], off, off offset:704
	s_waitcnt vmcnt(0)
	v_add_f64 v[0:1], v[0:1], -v[4:5]
	v_add_f64 v[2:3], v[2:3], -v[6:7]
	scratch_store_dwordx4 off, v[0:3], off offset:704
	ds_read2_b64 v[0:3], v12 offset0:90 offset1:91
	;; [unrolled: 11-line block ×6, first 2 shown]
	scratch_load_dwordx2 v[16:17], off, off offset:672
	scratch_load_dwordx4 v[0:3], off, off offset:672
	s_waitcnt vmcnt(0) lgkmcnt(0)
	v_mul_f64 v[18:19], v[6:7], v[2:3]
	v_mul_f64 v[20:21], v[4:5], v[2:3]
	v_fma_f64 v[18:19], v[4:5], v[16:17], -v[18:19]
	v_fmac_f64_e32 v[20:21], v[6:7], v[16:17]
	scratch_load_dwordx4 v[4:7], off, off offset:784
	s_waitcnt vmcnt(0)
	v_add_f64 v[4:5], v[4:5], -v[18:19]
	v_add_f64 v[6:7], v[6:7], -v[20:21]
	scratch_store_dwordx4 off, v[4:7], off offset:784
	ds_read2_b64 v[4:7], v12 offset0:100 offset1:101
	s_waitcnt lgkmcnt(0)
	v_mul_f64 v[18:19], v[6:7], v[2:3]
	v_mul_f64 v[20:21], v[4:5], v[2:3]
	v_fma_f64 v[18:19], v[4:5], v[16:17], -v[18:19]
	v_fmac_f64_e32 v[20:21], v[6:7], v[16:17]
	scratch_load_dwordx4 v[4:7], off, off offset:800
	s_waitcnt vmcnt(0)
	v_add_f64 v[4:5], v[4:5], -v[18:19]
	v_add_f64 v[6:7], v[6:7], -v[20:21]
	scratch_store_dwordx4 off, v[4:7], off offset:800
	ds_read2_b64 v[4:7], v12 offset0:102 offset1:103
	s_waitcnt lgkmcnt(0)
	;; [unrolled: 11-line block ×5, first 2 shown]
	v_mul_f64 v[18:19], v[6:7], v[2:3]
	v_fma_f64 v[18:19], v[4:5], v[16:17], -v[18:19]
	v_mul_f64 v[20:21], v[4:5], v[2:3]
	scratch_load_dwordx4 v[2:5], off, off offset:864
	v_fmac_f64_e32 v[20:21], v[6:7], v[16:17]
	s_waitcnt vmcnt(0)
	v_add_f64 v[2:3], v[2:3], -v[18:19]
	v_add_f64 v[4:5], v[4:5], -v[20:21]
	scratch_store_dwordx4 off, v[2:5], off offset:864
	ds_read2_b64 v[16:19], v12 offset0:110 offset1:111
	scratch_load_dwordx2 v[2:3], off, off offset:672
	scratch_load_dwordx2 v[4:5], off, off offset:680
	s_waitcnt vmcnt(0) lgkmcnt(0)
	v_mul_f64 v[6:7], v[18:19], v[4:5]
	v_mul_f64 v[20:21], v[16:17], v[4:5]
	v_fma_f64 v[6:7], v[16:17], v[2:3], -v[6:7]
	v_fmac_f64_e32 v[20:21], v[18:19], v[2:3]
	scratch_load_dwordx4 v[16:19], off, off offset:880
	s_waitcnt vmcnt(0)
	v_add_f64 v[16:17], v[16:17], -v[6:7]
	v_add_f64 v[18:19], v[18:19], -v[20:21]
	scratch_store_dwordx4 off, v[16:19], off offset:880
	ds_read2_b64 v[16:19], v12 offset0:112 offset1:113
	s_waitcnt lgkmcnt(0)
	v_mul_f64 v[6:7], v[18:19], v[4:5]
	v_mul_f64 v[20:21], v[16:17], v[4:5]
	v_fma_f64 v[6:7], v[16:17], v[2:3], -v[6:7]
	v_fmac_f64_e32 v[20:21], v[18:19], v[2:3]
	scratch_load_dwordx4 v[16:19], off, off offset:896
	s_waitcnt vmcnt(0)
	v_add_f64 v[16:17], v[16:17], -v[6:7]
	v_add_f64 v[18:19], v[18:19], -v[20:21]
	scratch_store_dwordx4 off, v[16:19], off offset:896
	ds_read2_b64 v[16:19], v12 offset0:114 offset1:115
	s_waitcnt lgkmcnt(0)
	v_mul_f64 v[6:7], v[18:19], v[4:5]
	v_mul_f64 v[20:21], v[16:17], v[4:5]
	v_fma_f64 v[6:7], v[16:17], v[2:3], -v[6:7]
	v_fmac_f64_e32 v[20:21], v[18:19], v[2:3]
	scratch_load_dwordx4 v[16:19], off, off offset:912
	s_waitcnt vmcnt(0)
	v_add_f64 v[16:17], v[16:17], -v[6:7]
	v_add_f64 v[18:19], v[18:19], -v[20:21]
	scratch_store_dwordx4 off, v[16:19], off offset:912
	ds_read2_b64 v[16:19], v12 offset0:116 offset1:117
	s_waitcnt lgkmcnt(0)
	v_mul_f64 v[6:7], v[18:19], v[4:5]
	v_mul_f64 v[20:21], v[16:17], v[4:5]
	v_fma_f64 v[6:7], v[16:17], v[2:3], -v[6:7]
	v_fmac_f64_e32 v[20:21], v[18:19], v[2:3]
	scratch_load_dwordx4 v[16:19], off, off offset:928
	s_waitcnt vmcnt(0)
	v_add_f64 v[16:17], v[16:17], -v[6:7]
	v_add_f64 v[18:19], v[18:19], -v[20:21]
	scratch_store_dwordx4 off, v[16:19], off offset:928
	ds_read2_b64 v[16:19], v12 offset0:118 offset1:119
	s_waitcnt lgkmcnt(0)
	v_mul_f64 v[6:7], v[18:19], v[4:5]
	v_mul_f64 v[20:21], v[16:17], v[4:5]
	v_fma_f64 v[6:7], v[16:17], v[2:3], -v[6:7]
	v_fmac_f64_e32 v[20:21], v[18:19], v[2:3]
	scratch_load_dwordx4 v[16:19], off, off offset:944
	s_waitcnt vmcnt(0)
	v_add_f64 v[16:17], v[16:17], -v[6:7]
	v_add_f64 v[18:19], v[18:19], -v[20:21]
	scratch_store_dwordx4 off, v[16:19], off offset:944
	ds_read2_b64 v[16:19], v12 offset0:120 offset1:121
	s_waitcnt lgkmcnt(0)
	v_mul_f64 v[6:7], v[18:19], v[4:5]
	v_fma_f64 v[6:7], v[16:17], v[2:3], -v[6:7]
	v_mul_f64 v[16:17], v[16:17], v[4:5]
	v_fmac_f64_e32 v[16:17], v[18:19], v[2:3]
	scratch_load_dwordx4 v[2:5], off, off offset:960
	s_waitcnt vmcnt(0)
	v_add_f64 v[4:5], v[4:5], -v[16:17]
	scratch_load_dwordx2 v[16:17], off, off offset:680
	v_add_f64 v[2:3], v[2:3], -v[6:7]
	scratch_store_dwordx4 off, v[2:5], off offset:960
	ds_read2_b64 v[2:5], v12 offset0:122 offset1:123
	s_waitcnt vmcnt(1) lgkmcnt(0)
	v_mul_f64 v[6:7], v[4:5], v[16:17]
	v_mul_f64 v[18:19], v[2:3], v[16:17]
	v_fma_f64 v[6:7], v[2:3], v[0:1], -v[6:7]
	v_fmac_f64_e32 v[18:19], v[4:5], v[0:1]
	scratch_load_dwordx4 v[2:5], off, off offset:976
	s_waitcnt vmcnt(0)
	v_add_f64 v[2:3], v[2:3], -v[6:7]
	v_add_f64 v[4:5], v[4:5], -v[18:19]
	scratch_store_dwordx4 off, v[2:5], off offset:976
	ds_read2_b64 v[2:5], v12 offset0:124 offset1:125
	s_waitcnt lgkmcnt(0)
	v_mul_f64 v[6:7], v[4:5], v[16:17]
	v_mul_f64 v[18:19], v[2:3], v[16:17]
	v_fma_f64 v[6:7], v[2:3], v[0:1], -v[6:7]
	v_fmac_f64_e32 v[18:19], v[4:5], v[0:1]
	scratch_load_dwordx4 v[2:5], off, off offset:992
	s_waitcnt vmcnt(0)
	v_add_f64 v[2:3], v[2:3], -v[6:7]
	v_add_f64 v[4:5], v[4:5], -v[18:19]
	scratch_store_dwordx4 off, v[2:5], off offset:992
	ds_read2_b64 v[4:7], v12 offset0:126 offset1:127
	s_waitcnt lgkmcnt(0)
	v_mul_f64 v[2:3], v[6:7], v[16:17]
	v_fma_f64 v[2:3], v[4:5], v[0:1], -v[2:3]
	v_mul_f64 v[4:5], v[4:5], v[16:17]
	scratch_load_dwordx4 v[16:19], off, off offset:1008
	v_fmac_f64_e32 v[4:5], v[6:7], v[0:1]
	s_waitcnt vmcnt(0)
	v_add_f64 v[0:1], v[16:17], -v[2:3]
	v_add_f64 v[2:3], v[18:19], -v[4:5]
	scratch_store_dwordx4 off, v[0:3], off offset:1008
.LBB126_1017:
	s_or_b64 exec, exec, s[0:1]
	s_barrier
	scratch_load_dwordx4 v[0:3], off, s40
	v_lshl_add_u32 v4, v15, 4, v12
	s_cmp_lt_i32 s67, 45
	s_waitcnt vmcnt(0)
	ds_write2_b64 v4, v[0:1], v[2:3] offset1:1
	s_waitcnt lgkmcnt(0)
	s_barrier
	ds_read2_b64 v[0:3], v12 offset0:86 offset1:87
	v_mov_b32_e32 v4, 43
	s_cbranch_scc1 .LBB126_1020
; %bb.1018:
	v_add_u32_e32 v5, 0x2c0, v12
	s_mov_b32 s4, 44
	v_mov_b32_e32 v4, 43
.LBB126_1019:                           ; =>This Inner Loop Header: Depth=1
	ds_read2_b64 v[16:19], v5 offset1:1
	s_waitcnt lgkmcnt(1)
	v_xor_b32_e32 v7, 0x80000000, v1
	v_xor_b32_e32 v21, 0x80000000, v3
	v_cmp_gt_f64_e32 vcc, 0, v[2:3]
	v_cmp_gt_f64_e64 s[0:1], 0, v[0:1]
	v_mov_b32_e32 v6, v0
	v_mov_b32_e32 v20, v2
	v_cndmask_b32_e64 v7, v1, v7, s[0:1]
	v_cndmask_b32_e32 v21, v3, v21, vcc
	v_add_f64 v[6:7], v[6:7], v[20:21]
	s_waitcnt lgkmcnt(0)
	v_xor_b32_e32 v21, 0x80000000, v17
	v_xor_b32_e32 v23, 0x80000000, v19
	v_cmp_gt_f64_e32 vcc, 0, v[18:19]
	v_cmp_gt_f64_e64 s[0:1], 0, v[16:17]
	v_mov_b32_e32 v20, v16
	v_mov_b32_e32 v22, v18
	v_cndmask_b32_e64 v21, v17, v21, s[0:1]
	v_cndmask_b32_e32 v23, v19, v23, vcc
	v_add_f64 v[20:21], v[20:21], v[22:23]
	v_mov_b32_e32 v24, s4
	s_add_i32 s4, s4, 1
	v_cmp_lt_f64_e32 vcc, v[6:7], v[20:21]
	v_add_u32_e32 v5, 16, v5
	s_cmp_lg_u32 s67, s4
	v_cndmask_b32_e32 v1, v1, v17, vcc
	v_cndmask_b32_e32 v0, v0, v16, vcc
	;; [unrolled: 1-line block ×5, first 2 shown]
	s_cbranch_scc1 .LBB126_1019
.LBB126_1020:
	s_waitcnt lgkmcnt(0)
	v_cmp_eq_f64_e32 vcc, 0, v[0:1]
	v_cmp_eq_f64_e64 s[0:1], 0, v[2:3]
	s_and_b64 s[0:1], vcc, s[0:1]
	s_and_saveexec_b64 s[4:5], s[0:1]
	s_xor_b64 s[0:1], exec, s[4:5]
; %bb.1021:
	v_cmp_ne_u32_e32 vcc, 0, v13
	s_nop 1
	v_cndmask_b32_e32 v13, 44, v13, vcc
; %bb.1022:
	s_andn2_saveexec_b64 s[0:1], s[0:1]
	s_cbranch_execz .LBB126_1028
; %bb.1023:
	v_cmp_ngt_f64_e64 s[4:5], |v[0:1]|, |v[2:3]|
	s_and_saveexec_b64 s[12:13], s[4:5]
	s_xor_b64 s[12:13], exec, s[12:13]
	s_cbranch_execz .LBB126_1025
; %bb.1024:
	v_div_scale_f64 v[6:7], s[4:5], v[2:3], v[2:3], v[0:1]
	v_rcp_f64_e32 v[16:17], v[6:7]
	v_div_scale_f64 v[18:19], vcc, v[0:1], v[2:3], v[0:1]
	v_fma_f64 v[20:21], -v[6:7], v[16:17], 1.0
	v_fmac_f64_e32 v[16:17], v[16:17], v[20:21]
	v_fma_f64 v[20:21], -v[6:7], v[16:17], 1.0
	v_fmac_f64_e32 v[16:17], v[16:17], v[20:21]
	v_mul_f64 v[20:21], v[18:19], v[16:17]
	v_fma_f64 v[6:7], -v[6:7], v[20:21], v[18:19]
	v_div_fmas_f64 v[6:7], v[6:7], v[16:17], v[20:21]
	v_div_fixup_f64 v[6:7], v[6:7], v[2:3], v[0:1]
	v_fmac_f64_e32 v[2:3], v[0:1], v[6:7]
	v_div_scale_f64 v[0:1], s[4:5], v[2:3], v[2:3], 1.0
	v_rcp_f64_e32 v[16:17], v[0:1]
	s_nop 0
	v_fma_f64 v[18:19], -v[0:1], v[16:17], 1.0
	v_fmac_f64_e32 v[16:17], v[16:17], v[18:19]
	v_fma_f64 v[18:19], -v[0:1], v[16:17], 1.0
	v_fmac_f64_e32 v[16:17], v[16:17], v[18:19]
	v_div_scale_f64 v[18:19], vcc, 1.0, v[2:3], 1.0
	v_mul_f64 v[20:21], v[18:19], v[16:17]
	v_fma_f64 v[0:1], -v[0:1], v[20:21], v[18:19]
	s_nop 1
	v_div_fmas_f64 v[0:1], v[0:1], v[16:17], v[20:21]
	v_div_fixup_f64 v[2:3], v[0:1], v[2:3], 1.0
	v_mul_f64 v[0:1], v[6:7], v[2:3]
	v_xor_b32_e32 v3, 0x80000000, v3
.LBB126_1025:
	s_andn2_saveexec_b64 s[12:13], s[12:13]
	s_cbranch_execz .LBB126_1027
; %bb.1026:
	v_div_scale_f64 v[6:7], s[4:5], v[0:1], v[0:1], v[2:3]
	v_rcp_f64_e32 v[16:17], v[6:7]
	v_div_scale_f64 v[18:19], vcc, v[2:3], v[0:1], v[2:3]
	v_fma_f64 v[20:21], -v[6:7], v[16:17], 1.0
	v_fmac_f64_e32 v[16:17], v[16:17], v[20:21]
	v_fma_f64 v[20:21], -v[6:7], v[16:17], 1.0
	v_fmac_f64_e32 v[16:17], v[16:17], v[20:21]
	v_mul_f64 v[20:21], v[18:19], v[16:17]
	v_fma_f64 v[6:7], -v[6:7], v[20:21], v[18:19]
	v_div_fmas_f64 v[6:7], v[6:7], v[16:17], v[20:21]
	v_div_fixup_f64 v[6:7], v[6:7], v[0:1], v[2:3]
	v_fmac_f64_e32 v[0:1], v[2:3], v[6:7]
	v_div_scale_f64 v[2:3], s[4:5], v[0:1], v[0:1], 1.0
	v_rcp_f64_e32 v[16:17], v[2:3]
	s_nop 0
	v_fma_f64 v[18:19], -v[2:3], v[16:17], 1.0
	v_fmac_f64_e32 v[16:17], v[16:17], v[18:19]
	v_fma_f64 v[18:19], -v[2:3], v[16:17], 1.0
	v_fmac_f64_e32 v[16:17], v[16:17], v[18:19]
	v_div_scale_f64 v[18:19], vcc, 1.0, v[0:1], 1.0
	v_mul_f64 v[20:21], v[18:19], v[16:17]
	v_fma_f64 v[2:3], -v[2:3], v[20:21], v[18:19]
	s_nop 1
	v_div_fmas_f64 v[2:3], v[2:3], v[16:17], v[20:21]
	v_div_fixup_f64 v[0:1], v[2:3], v[0:1], 1.0
	v_mul_f64 v[2:3], v[6:7], -v[0:1]
.LBB126_1027:
	s_or_b64 exec, exec, s[12:13]
.LBB126_1028:
	s_or_b64 exec, exec, s[0:1]
	v_cmp_ne_u32_e32 vcc, v15, v4
	s_and_saveexec_b64 s[0:1], vcc
	s_xor_b64 s[0:1], exec, s[0:1]
	s_cbranch_execz .LBB126_1034
; %bb.1029:
	v_cmp_eq_u32_e32 vcc, 43, v15
	s_and_saveexec_b64 s[12:13], vcc
	s_cbranch_execz .LBB126_1033
; %bb.1030:
	v_cmp_ne_u32_e32 vcc, 43, v4
	s_xor_b64 s[4:5], s[8:9], -1
	s_and_b64 s[4:5], s[4:5], vcc
	s_and_saveexec_b64 s[14:15], s[4:5]
	s_cbranch_execz .LBB126_1032
; %bb.1031:
	v_ashrrev_i32_e32 v5, 31, v4
	v_lshl_add_u64 v[6:7], v[4:5], 2, v[10:11]
	global_load_dword v5, v[6:7], off
	global_load_dword v14, v[10:11], off offset:172
	s_waitcnt vmcnt(1)
	global_store_dword v[10:11], v5, off offset:172
	s_waitcnt vmcnt(1)
	global_store_dword v[6:7], v14, off
.LBB126_1032:
	s_or_b64 exec, exec, s[14:15]
	v_mov_b32_e32 v15, v4
	v_mov_b32_e32 v14, v4
.LBB126_1033:
	s_or_b64 exec, exec, s[12:13]
.LBB126_1034:
	s_andn2_saveexec_b64 s[0:1], s[0:1]
	s_cbranch_execz .LBB126_1036
; %bb.1035:
	scratch_load_dwordx4 v[4:7], off, s39
	scratch_load_dwordx4 v[16:19], off, s38
	;; [unrolled: 1-line block ×20, first 2 shown]
	v_mov_b32_e32 v15, 43
	s_waitcnt vmcnt(19)
	ds_write2_b64 v12, v[4:5], v[6:7] offset0:88 offset1:89
	s_waitcnt vmcnt(18)
	ds_write2_b64 v12, v[16:17], v[18:19] offset0:90 offset1:91
	s_waitcnt vmcnt(17)
	ds_write2_b64 v12, v[20:21], v[22:23] offset0:92 offset1:93
	s_waitcnt vmcnt(16)
	ds_write2_b64 v12, v[24:25], v[26:27] offset0:94 offset1:95
	s_waitcnt vmcnt(15)
	ds_write2_b64 v12, v[28:29], v[30:31] offset0:96 offset1:97
	s_waitcnt vmcnt(14)
	ds_write2_b64 v12, v[32:33], v[34:35] offset0:98 offset1:99
	s_waitcnt vmcnt(13)
	ds_write2_b64 v12, v[36:37], v[38:39] offset0:100 offset1:101
	s_waitcnt vmcnt(12)
	ds_write2_b64 v12, v[40:41], v[42:43] offset0:102 offset1:103
	s_waitcnt vmcnt(11)
	ds_write2_b64 v12, v[44:45], v[46:47] offset0:104 offset1:105
	s_waitcnt vmcnt(10)
	ds_write2_b64 v12, v[48:49], v[50:51] offset0:106 offset1:107
	s_waitcnt vmcnt(9)
	ds_write2_b64 v12, v[52:53], v[54:55] offset0:108 offset1:109
	s_waitcnt vmcnt(8)
	ds_write2_b64 v12, v[56:57], v[58:59] offset0:110 offset1:111
	s_waitcnt vmcnt(7)
	ds_write2_b64 v12, v[60:61], v[62:63] offset0:112 offset1:113
	s_waitcnt vmcnt(6)
	ds_write2_b64 v12, v[64:65], v[66:67] offset0:114 offset1:115
	s_waitcnt vmcnt(5)
	ds_write2_b64 v12, v[68:69], v[70:71] offset0:116 offset1:117
	s_waitcnt vmcnt(4)
	ds_write2_b64 v12, v[72:73], v[74:75] offset0:118 offset1:119
	s_waitcnt vmcnt(3)
	ds_write2_b64 v12, v[76:77], v[78:79] offset0:120 offset1:121
	s_waitcnt vmcnt(2)
	ds_write2_b64 v12, v[80:81], v[82:83] offset0:122 offset1:123
	s_waitcnt vmcnt(1)
	ds_write2_b64 v12, v[84:85], v[86:87] offset0:124 offset1:125
	s_waitcnt vmcnt(0)
	ds_write2_b64 v12, v[88:89], v[90:91] offset0:126 offset1:127
.LBB126_1036:
	s_or_b64 exec, exec, s[0:1]
	v_cmp_lt_i32_e32 vcc, 43, v15
	s_waitcnt lgkmcnt(0)
	s_barrier
	s_and_saveexec_b64 s[0:1], vcc
	s_cbranch_execz .LBB126_1038
; %bb.1037:
	scratch_load_dwordx4 v[4:7], off, off offset:688
	s_waitcnt vmcnt(0)
	v_mul_f64 v[16:17], v[2:3], v[6:7]
	v_mul_f64 v[18:19], v[0:1], v[6:7]
	v_fma_f64 v[16:17], v[0:1], v[4:5], -v[16:17]
	v_fmac_f64_e32 v[18:19], v[2:3], v[4:5]
	ds_read2_b64 v[0:3], v12 offset0:88 offset1:89
	scratch_store_dwordx4 off, v[16:19], off offset:688
	s_waitcnt lgkmcnt(0)
	v_mul_f64 v[4:5], v[2:3], v[18:19]
	v_mul_f64 v[6:7], v[0:1], v[18:19]
	v_fma_f64 v[4:5], v[0:1], v[16:17], -v[4:5]
	v_fmac_f64_e32 v[6:7], v[2:3], v[16:17]
	scratch_load_dwordx4 v[0:3], off, off offset:704
	s_waitcnt vmcnt(0)
	v_add_f64 v[0:1], v[0:1], -v[4:5]
	v_add_f64 v[2:3], v[2:3], -v[6:7]
	scratch_store_dwordx4 off, v[0:3], off offset:704
	ds_read2_b64 v[0:3], v12 offset0:90 offset1:91
	s_waitcnt lgkmcnt(0)
	v_mul_f64 v[4:5], v[2:3], v[18:19]
	v_mul_f64 v[6:7], v[0:1], v[18:19]
	v_fma_f64 v[4:5], v[0:1], v[16:17], -v[4:5]
	v_fmac_f64_e32 v[6:7], v[2:3], v[16:17]
	scratch_load_dwordx4 v[0:3], off, off offset:720
	s_waitcnt vmcnt(0)
	v_add_f64 v[0:1], v[0:1], -v[4:5]
	v_add_f64 v[2:3], v[2:3], -v[6:7]
	scratch_store_dwordx4 off, v[0:3], off offset:720
	ds_read2_b64 v[0:3], v12 offset0:92 offset1:93
	;; [unrolled: 11-line block ×6, first 2 shown]
	scratch_load_dwordx2 v[16:17], off, off offset:688
	scratch_load_dwordx4 v[0:3], off, off offset:688
	s_waitcnt vmcnt(0) lgkmcnt(0)
	v_mul_f64 v[18:19], v[6:7], v[2:3]
	v_mul_f64 v[20:21], v[4:5], v[2:3]
	v_fma_f64 v[18:19], v[4:5], v[16:17], -v[18:19]
	v_fmac_f64_e32 v[20:21], v[6:7], v[16:17]
	scratch_load_dwordx4 v[4:7], off, off offset:800
	s_waitcnt vmcnt(0)
	v_add_f64 v[4:5], v[4:5], -v[18:19]
	v_add_f64 v[6:7], v[6:7], -v[20:21]
	scratch_store_dwordx4 off, v[4:7], off offset:800
	ds_read2_b64 v[4:7], v12 offset0:102 offset1:103
	s_waitcnt lgkmcnt(0)
	v_mul_f64 v[18:19], v[6:7], v[2:3]
	v_mul_f64 v[20:21], v[4:5], v[2:3]
	v_fma_f64 v[18:19], v[4:5], v[16:17], -v[18:19]
	v_fmac_f64_e32 v[20:21], v[6:7], v[16:17]
	scratch_load_dwordx4 v[4:7], off, off offset:816
	s_waitcnt vmcnt(0)
	v_add_f64 v[4:5], v[4:5], -v[18:19]
	v_add_f64 v[6:7], v[6:7], -v[20:21]
	scratch_store_dwordx4 off, v[4:7], off offset:816
	ds_read2_b64 v[4:7], v12 offset0:104 offset1:105
	s_waitcnt lgkmcnt(0)
	;; [unrolled: 11-line block ×5, first 2 shown]
	v_mul_f64 v[18:19], v[6:7], v[2:3]
	v_fma_f64 v[18:19], v[4:5], v[16:17], -v[18:19]
	v_mul_f64 v[20:21], v[4:5], v[2:3]
	scratch_load_dwordx4 v[2:5], off, off offset:880
	v_fmac_f64_e32 v[20:21], v[6:7], v[16:17]
	s_waitcnt vmcnt(0)
	v_add_f64 v[2:3], v[2:3], -v[18:19]
	v_add_f64 v[4:5], v[4:5], -v[20:21]
	scratch_store_dwordx4 off, v[2:5], off offset:880
	ds_read2_b64 v[16:19], v12 offset0:112 offset1:113
	scratch_load_dwordx2 v[2:3], off, off offset:688
	scratch_load_dwordx2 v[4:5], off, off offset:696
	s_waitcnt vmcnt(0) lgkmcnt(0)
	v_mul_f64 v[6:7], v[18:19], v[4:5]
	v_mul_f64 v[20:21], v[16:17], v[4:5]
	v_fma_f64 v[6:7], v[16:17], v[2:3], -v[6:7]
	v_fmac_f64_e32 v[20:21], v[18:19], v[2:3]
	scratch_load_dwordx4 v[16:19], off, off offset:896
	s_waitcnt vmcnt(0)
	v_add_f64 v[16:17], v[16:17], -v[6:7]
	v_add_f64 v[18:19], v[18:19], -v[20:21]
	scratch_store_dwordx4 off, v[16:19], off offset:896
	ds_read2_b64 v[16:19], v12 offset0:114 offset1:115
	s_waitcnt lgkmcnt(0)
	v_mul_f64 v[6:7], v[18:19], v[4:5]
	v_mul_f64 v[20:21], v[16:17], v[4:5]
	v_fma_f64 v[6:7], v[16:17], v[2:3], -v[6:7]
	v_fmac_f64_e32 v[20:21], v[18:19], v[2:3]
	scratch_load_dwordx4 v[16:19], off, off offset:912
	s_waitcnt vmcnt(0)
	v_add_f64 v[16:17], v[16:17], -v[6:7]
	v_add_f64 v[18:19], v[18:19], -v[20:21]
	scratch_store_dwordx4 off, v[16:19], off offset:912
	ds_read2_b64 v[16:19], v12 offset0:116 offset1:117
	s_waitcnt lgkmcnt(0)
	;; [unrolled: 11-line block ×5, first 2 shown]
	v_mul_f64 v[6:7], v[18:19], v[4:5]
	v_fma_f64 v[6:7], v[16:17], v[2:3], -v[6:7]
	v_mul_f64 v[16:17], v[16:17], v[4:5]
	v_fmac_f64_e32 v[16:17], v[18:19], v[2:3]
	scratch_load_dwordx4 v[2:5], off, off offset:976
	s_waitcnt vmcnt(0)
	v_add_f64 v[2:3], v[2:3], -v[6:7]
	scratch_load_dwordx2 v[6:7], off, off offset:696
	v_add_f64 v[4:5], v[4:5], -v[16:17]
	scratch_store_dwordx4 off, v[2:5], off offset:976
	ds_read2_b64 v[2:5], v12 offset0:124 offset1:125
	s_waitcnt vmcnt(1) lgkmcnt(0)
	v_mul_f64 v[16:17], v[4:5], v[6:7]
	v_mul_f64 v[18:19], v[2:3], v[6:7]
	v_fma_f64 v[16:17], v[2:3], v[0:1], -v[16:17]
	v_fmac_f64_e32 v[18:19], v[4:5], v[0:1]
	scratch_load_dwordx4 v[2:5], off, off offset:992
	s_waitcnt vmcnt(0)
	v_add_f64 v[2:3], v[2:3], -v[16:17]
	v_add_f64 v[4:5], v[4:5], -v[18:19]
	scratch_store_dwordx4 off, v[2:5], off offset:992
	ds_read2_b64 v[2:5], v12 offset0:126 offset1:127
	s_waitcnt lgkmcnt(0)
	v_mul_f64 v[16:17], v[4:5], v[6:7]
	v_mul_f64 v[6:7], v[2:3], v[6:7]
	v_fma_f64 v[16:17], v[2:3], v[0:1], -v[16:17]
	v_fmac_f64_e32 v[6:7], v[4:5], v[0:1]
	scratch_load_dwordx4 v[0:3], off, off offset:1008
	s_waitcnt vmcnt(0)
	v_add_f64 v[0:1], v[0:1], -v[16:17]
	v_add_f64 v[2:3], v[2:3], -v[6:7]
	scratch_store_dwordx4 off, v[0:3], off offset:1008
.LBB126_1038:
	s_or_b64 exec, exec, s[0:1]
	s_barrier
	scratch_load_dwordx4 v[0:3], off, s39
	v_lshl_add_u32 v4, v15, 4, v12
	s_cmp_lt_i32 s67, 46
	s_waitcnt vmcnt(0)
	ds_write2_b64 v4, v[0:1], v[2:3] offset1:1
	s_waitcnt lgkmcnt(0)
	s_barrier
	ds_read2_b64 v[0:3], v12 offset0:88 offset1:89
	v_mov_b32_e32 v4, 44
	s_cbranch_scc1 .LBB126_1041
; %bb.1039:
	v_add_u32_e32 v5, 0x2d0, v12
	s_mov_b32 s4, 45
	v_mov_b32_e32 v4, 44
.LBB126_1040:                           ; =>This Inner Loop Header: Depth=1
	ds_read2_b64 v[16:19], v5 offset1:1
	s_waitcnt lgkmcnt(1)
	v_xor_b32_e32 v7, 0x80000000, v1
	v_xor_b32_e32 v21, 0x80000000, v3
	v_cmp_gt_f64_e32 vcc, 0, v[2:3]
	v_cmp_gt_f64_e64 s[0:1], 0, v[0:1]
	v_mov_b32_e32 v6, v0
	v_mov_b32_e32 v20, v2
	v_cndmask_b32_e64 v7, v1, v7, s[0:1]
	v_cndmask_b32_e32 v21, v3, v21, vcc
	v_add_f64 v[6:7], v[6:7], v[20:21]
	s_waitcnt lgkmcnt(0)
	v_xor_b32_e32 v21, 0x80000000, v17
	v_xor_b32_e32 v23, 0x80000000, v19
	v_cmp_gt_f64_e32 vcc, 0, v[18:19]
	v_cmp_gt_f64_e64 s[0:1], 0, v[16:17]
	v_mov_b32_e32 v20, v16
	v_mov_b32_e32 v22, v18
	v_cndmask_b32_e64 v21, v17, v21, s[0:1]
	v_cndmask_b32_e32 v23, v19, v23, vcc
	v_add_f64 v[20:21], v[20:21], v[22:23]
	v_mov_b32_e32 v24, s4
	s_add_i32 s4, s4, 1
	v_cmp_lt_f64_e32 vcc, v[6:7], v[20:21]
	v_add_u32_e32 v5, 16, v5
	s_cmp_lg_u32 s67, s4
	v_cndmask_b32_e32 v1, v1, v17, vcc
	v_cndmask_b32_e32 v0, v0, v16, vcc
	;; [unrolled: 1-line block ×5, first 2 shown]
	s_cbranch_scc1 .LBB126_1040
.LBB126_1041:
	s_waitcnt lgkmcnt(0)
	v_cmp_eq_f64_e32 vcc, 0, v[0:1]
	v_cmp_eq_f64_e64 s[0:1], 0, v[2:3]
	s_and_b64 s[0:1], vcc, s[0:1]
	s_and_saveexec_b64 s[4:5], s[0:1]
	s_xor_b64 s[0:1], exec, s[4:5]
; %bb.1042:
	v_cmp_ne_u32_e32 vcc, 0, v13
	s_nop 1
	v_cndmask_b32_e32 v13, 45, v13, vcc
; %bb.1043:
	s_andn2_saveexec_b64 s[0:1], s[0:1]
	s_cbranch_execz .LBB126_1049
; %bb.1044:
	v_cmp_ngt_f64_e64 s[4:5], |v[0:1]|, |v[2:3]|
	s_and_saveexec_b64 s[12:13], s[4:5]
	s_xor_b64 s[12:13], exec, s[12:13]
	s_cbranch_execz .LBB126_1046
; %bb.1045:
	v_div_scale_f64 v[6:7], s[4:5], v[2:3], v[2:3], v[0:1]
	v_rcp_f64_e32 v[16:17], v[6:7]
	v_div_scale_f64 v[18:19], vcc, v[0:1], v[2:3], v[0:1]
	v_fma_f64 v[20:21], -v[6:7], v[16:17], 1.0
	v_fmac_f64_e32 v[16:17], v[16:17], v[20:21]
	v_fma_f64 v[20:21], -v[6:7], v[16:17], 1.0
	v_fmac_f64_e32 v[16:17], v[16:17], v[20:21]
	v_mul_f64 v[20:21], v[18:19], v[16:17]
	v_fma_f64 v[6:7], -v[6:7], v[20:21], v[18:19]
	v_div_fmas_f64 v[6:7], v[6:7], v[16:17], v[20:21]
	v_div_fixup_f64 v[6:7], v[6:7], v[2:3], v[0:1]
	v_fmac_f64_e32 v[2:3], v[0:1], v[6:7]
	v_div_scale_f64 v[0:1], s[4:5], v[2:3], v[2:3], 1.0
	v_rcp_f64_e32 v[16:17], v[0:1]
	s_nop 0
	v_fma_f64 v[18:19], -v[0:1], v[16:17], 1.0
	v_fmac_f64_e32 v[16:17], v[16:17], v[18:19]
	v_fma_f64 v[18:19], -v[0:1], v[16:17], 1.0
	v_fmac_f64_e32 v[16:17], v[16:17], v[18:19]
	v_div_scale_f64 v[18:19], vcc, 1.0, v[2:3], 1.0
	v_mul_f64 v[20:21], v[18:19], v[16:17]
	v_fma_f64 v[0:1], -v[0:1], v[20:21], v[18:19]
	s_nop 1
	v_div_fmas_f64 v[0:1], v[0:1], v[16:17], v[20:21]
	v_div_fixup_f64 v[2:3], v[0:1], v[2:3], 1.0
	v_mul_f64 v[0:1], v[6:7], v[2:3]
	v_xor_b32_e32 v3, 0x80000000, v3
.LBB126_1046:
	s_andn2_saveexec_b64 s[12:13], s[12:13]
	s_cbranch_execz .LBB126_1048
; %bb.1047:
	v_div_scale_f64 v[6:7], s[4:5], v[0:1], v[0:1], v[2:3]
	v_rcp_f64_e32 v[16:17], v[6:7]
	v_div_scale_f64 v[18:19], vcc, v[2:3], v[0:1], v[2:3]
	v_fma_f64 v[20:21], -v[6:7], v[16:17], 1.0
	v_fmac_f64_e32 v[16:17], v[16:17], v[20:21]
	v_fma_f64 v[20:21], -v[6:7], v[16:17], 1.0
	v_fmac_f64_e32 v[16:17], v[16:17], v[20:21]
	v_mul_f64 v[20:21], v[18:19], v[16:17]
	v_fma_f64 v[6:7], -v[6:7], v[20:21], v[18:19]
	v_div_fmas_f64 v[6:7], v[6:7], v[16:17], v[20:21]
	v_div_fixup_f64 v[6:7], v[6:7], v[0:1], v[2:3]
	v_fmac_f64_e32 v[0:1], v[2:3], v[6:7]
	v_div_scale_f64 v[2:3], s[4:5], v[0:1], v[0:1], 1.0
	v_rcp_f64_e32 v[16:17], v[2:3]
	s_nop 0
	v_fma_f64 v[18:19], -v[2:3], v[16:17], 1.0
	v_fmac_f64_e32 v[16:17], v[16:17], v[18:19]
	v_fma_f64 v[18:19], -v[2:3], v[16:17], 1.0
	v_fmac_f64_e32 v[16:17], v[16:17], v[18:19]
	v_div_scale_f64 v[18:19], vcc, 1.0, v[0:1], 1.0
	v_mul_f64 v[20:21], v[18:19], v[16:17]
	v_fma_f64 v[2:3], -v[2:3], v[20:21], v[18:19]
	s_nop 1
	v_div_fmas_f64 v[2:3], v[2:3], v[16:17], v[20:21]
	v_div_fixup_f64 v[0:1], v[2:3], v[0:1], 1.0
	v_mul_f64 v[2:3], v[6:7], -v[0:1]
.LBB126_1048:
	s_or_b64 exec, exec, s[12:13]
.LBB126_1049:
	s_or_b64 exec, exec, s[0:1]
	v_cmp_ne_u32_e32 vcc, v15, v4
	s_and_saveexec_b64 s[0:1], vcc
	s_xor_b64 s[0:1], exec, s[0:1]
	s_cbranch_execz .LBB126_1055
; %bb.1050:
	v_cmp_eq_u32_e32 vcc, 44, v15
	s_and_saveexec_b64 s[12:13], vcc
	s_cbranch_execz .LBB126_1054
; %bb.1051:
	v_cmp_ne_u32_e32 vcc, 44, v4
	s_xor_b64 s[4:5], s[8:9], -1
	s_and_b64 s[4:5], s[4:5], vcc
	s_and_saveexec_b64 s[14:15], s[4:5]
	s_cbranch_execz .LBB126_1053
; %bb.1052:
	v_ashrrev_i32_e32 v5, 31, v4
	v_lshl_add_u64 v[6:7], v[4:5], 2, v[10:11]
	global_load_dword v5, v[6:7], off
	global_load_dword v14, v[10:11], off offset:176
	s_waitcnt vmcnt(1)
	global_store_dword v[10:11], v5, off offset:176
	s_waitcnt vmcnt(1)
	global_store_dword v[6:7], v14, off
.LBB126_1053:
	s_or_b64 exec, exec, s[14:15]
	v_mov_b32_e32 v15, v4
	v_mov_b32_e32 v14, v4
.LBB126_1054:
	s_or_b64 exec, exec, s[12:13]
.LBB126_1055:
	s_andn2_saveexec_b64 s[0:1], s[0:1]
	s_cbranch_execz .LBB126_1057
; %bb.1056:
	scratch_load_dwordx4 v[4:7], off, s38
	scratch_load_dwordx4 v[16:19], off, s37
	;; [unrolled: 1-line block ×19, first 2 shown]
	v_mov_b32_e32 v15, 44
	s_waitcnt vmcnt(18)
	ds_write2_b64 v12, v[4:5], v[6:7] offset0:90 offset1:91
	s_waitcnt vmcnt(17)
	ds_write2_b64 v12, v[16:17], v[18:19] offset0:92 offset1:93
	;; [unrolled: 2-line block ×19, first 2 shown]
.LBB126_1057:
	s_or_b64 exec, exec, s[0:1]
	v_cmp_lt_i32_e32 vcc, 44, v15
	s_waitcnt lgkmcnt(0)
	s_barrier
	s_and_saveexec_b64 s[0:1], vcc
	s_cbranch_execz .LBB126_1059
; %bb.1058:
	scratch_load_dwordx4 v[4:7], off, off offset:704
	s_waitcnt vmcnt(0)
	v_mul_f64 v[16:17], v[2:3], v[6:7]
	v_mul_f64 v[18:19], v[0:1], v[6:7]
	v_fma_f64 v[16:17], v[0:1], v[4:5], -v[16:17]
	v_fmac_f64_e32 v[18:19], v[2:3], v[4:5]
	ds_read2_b64 v[0:3], v12 offset0:90 offset1:91
	scratch_store_dwordx4 off, v[16:19], off offset:704
	s_waitcnt lgkmcnt(0)
	v_mul_f64 v[4:5], v[2:3], v[18:19]
	v_mul_f64 v[6:7], v[0:1], v[18:19]
	v_fma_f64 v[4:5], v[0:1], v[16:17], -v[4:5]
	v_fmac_f64_e32 v[6:7], v[2:3], v[16:17]
	scratch_load_dwordx4 v[0:3], off, off offset:720
	s_waitcnt vmcnt(0)
	v_add_f64 v[0:1], v[0:1], -v[4:5]
	v_add_f64 v[2:3], v[2:3], -v[6:7]
	scratch_store_dwordx4 off, v[0:3], off offset:720
	ds_read2_b64 v[0:3], v12 offset0:92 offset1:93
	s_waitcnt lgkmcnt(0)
	v_mul_f64 v[4:5], v[2:3], v[18:19]
	v_mul_f64 v[6:7], v[0:1], v[18:19]
	v_fma_f64 v[4:5], v[0:1], v[16:17], -v[4:5]
	v_fmac_f64_e32 v[6:7], v[2:3], v[16:17]
	scratch_load_dwordx4 v[0:3], off, off offset:736
	s_waitcnt vmcnt(0)
	v_add_f64 v[0:1], v[0:1], -v[4:5]
	v_add_f64 v[2:3], v[2:3], -v[6:7]
	scratch_store_dwordx4 off, v[0:3], off offset:736
	ds_read2_b64 v[0:3], v12 offset0:94 offset1:95
	;; [unrolled: 11-line block ×6, first 2 shown]
	scratch_load_dwordx2 v[16:17], off, off offset:704
	scratch_load_dwordx4 v[0:3], off, off offset:704
	s_waitcnt vmcnt(0) lgkmcnt(0)
	v_mul_f64 v[18:19], v[6:7], v[2:3]
	v_mul_f64 v[20:21], v[4:5], v[2:3]
	v_fma_f64 v[18:19], v[4:5], v[16:17], -v[18:19]
	v_fmac_f64_e32 v[20:21], v[6:7], v[16:17]
	scratch_load_dwordx4 v[4:7], off, off offset:816
	s_waitcnt vmcnt(0)
	v_add_f64 v[4:5], v[4:5], -v[18:19]
	v_add_f64 v[6:7], v[6:7], -v[20:21]
	scratch_store_dwordx4 off, v[4:7], off offset:816
	ds_read2_b64 v[4:7], v12 offset0:104 offset1:105
	s_waitcnt lgkmcnt(0)
	v_mul_f64 v[18:19], v[6:7], v[2:3]
	v_mul_f64 v[20:21], v[4:5], v[2:3]
	v_fma_f64 v[18:19], v[4:5], v[16:17], -v[18:19]
	v_fmac_f64_e32 v[20:21], v[6:7], v[16:17]
	scratch_load_dwordx4 v[4:7], off, off offset:832
	s_waitcnt vmcnt(0)
	v_add_f64 v[4:5], v[4:5], -v[18:19]
	v_add_f64 v[6:7], v[6:7], -v[20:21]
	scratch_store_dwordx4 off, v[4:7], off offset:832
	ds_read2_b64 v[4:7], v12 offset0:106 offset1:107
	s_waitcnt lgkmcnt(0)
	;; [unrolled: 11-line block ×5, first 2 shown]
	v_mul_f64 v[18:19], v[6:7], v[2:3]
	v_fma_f64 v[18:19], v[4:5], v[16:17], -v[18:19]
	v_mul_f64 v[20:21], v[4:5], v[2:3]
	scratch_load_dwordx4 v[2:5], off, off offset:896
	v_fmac_f64_e32 v[20:21], v[6:7], v[16:17]
	s_waitcnt vmcnt(0)
	v_add_f64 v[2:3], v[2:3], -v[18:19]
	v_add_f64 v[4:5], v[4:5], -v[20:21]
	scratch_store_dwordx4 off, v[2:5], off offset:896
	ds_read2_b64 v[16:19], v12 offset0:114 offset1:115
	scratch_load_dwordx2 v[2:3], off, off offset:704
	scratch_load_dwordx2 v[4:5], off, off offset:712
	s_waitcnt vmcnt(0) lgkmcnt(0)
	v_mul_f64 v[6:7], v[18:19], v[4:5]
	v_mul_f64 v[20:21], v[16:17], v[4:5]
	v_fma_f64 v[6:7], v[16:17], v[2:3], -v[6:7]
	v_fmac_f64_e32 v[20:21], v[18:19], v[2:3]
	scratch_load_dwordx4 v[16:19], off, off offset:912
	s_waitcnt vmcnt(0)
	v_add_f64 v[16:17], v[16:17], -v[6:7]
	v_add_f64 v[18:19], v[18:19], -v[20:21]
	scratch_store_dwordx4 off, v[16:19], off offset:912
	ds_read2_b64 v[16:19], v12 offset0:116 offset1:117
	s_waitcnt lgkmcnt(0)
	v_mul_f64 v[6:7], v[18:19], v[4:5]
	v_mul_f64 v[20:21], v[16:17], v[4:5]
	v_fma_f64 v[6:7], v[16:17], v[2:3], -v[6:7]
	v_fmac_f64_e32 v[20:21], v[18:19], v[2:3]
	scratch_load_dwordx4 v[16:19], off, off offset:928
	s_waitcnt vmcnt(0)
	v_add_f64 v[16:17], v[16:17], -v[6:7]
	v_add_f64 v[18:19], v[18:19], -v[20:21]
	scratch_store_dwordx4 off, v[16:19], off offset:928
	ds_read2_b64 v[16:19], v12 offset0:118 offset1:119
	s_waitcnt lgkmcnt(0)
	;; [unrolled: 11-line block ×5, first 2 shown]
	v_mul_f64 v[6:7], v[18:19], v[4:5]
	v_fma_f64 v[6:7], v[16:17], v[2:3], -v[6:7]
	v_mul_f64 v[16:17], v[16:17], v[4:5]
	v_fmac_f64_e32 v[16:17], v[18:19], v[2:3]
	scratch_load_dwordx4 v[2:5], off, off offset:992
	s_waitcnt vmcnt(0)
	v_add_f64 v[2:3], v[2:3], -v[6:7]
	scratch_load_dwordx2 v[6:7], off, off offset:712
	v_add_f64 v[4:5], v[4:5], -v[16:17]
	scratch_store_dwordx4 off, v[2:5], off offset:992
	ds_read2_b64 v[2:5], v12 offset0:126 offset1:127
	s_waitcnt vmcnt(1) lgkmcnt(0)
	v_mul_f64 v[16:17], v[4:5], v[6:7]
	v_mul_f64 v[6:7], v[2:3], v[6:7]
	v_fma_f64 v[16:17], v[2:3], v[0:1], -v[16:17]
	v_fmac_f64_e32 v[6:7], v[4:5], v[0:1]
	scratch_load_dwordx4 v[0:3], off, off offset:1008
	s_waitcnt vmcnt(0)
	v_add_f64 v[0:1], v[0:1], -v[16:17]
	v_add_f64 v[2:3], v[2:3], -v[6:7]
	scratch_store_dwordx4 off, v[0:3], off offset:1008
.LBB126_1059:
	s_or_b64 exec, exec, s[0:1]
	s_barrier
	scratch_load_dwordx4 v[0:3], off, s38
	v_lshl_add_u32 v4, v15, 4, v12
	s_cmp_lt_i32 s67, 47
	s_waitcnt vmcnt(0)
	ds_write2_b64 v4, v[0:1], v[2:3] offset1:1
	s_waitcnt lgkmcnt(0)
	s_barrier
	ds_read2_b64 v[0:3], v12 offset0:90 offset1:91
	v_mov_b32_e32 v4, 45
	s_cbranch_scc1 .LBB126_1062
; %bb.1060:
	v_add_u32_e32 v5, 0x2e0, v12
	s_mov_b32 s4, 46
	v_mov_b32_e32 v4, 45
.LBB126_1061:                           ; =>This Inner Loop Header: Depth=1
	ds_read2_b64 v[16:19], v5 offset1:1
	s_waitcnt lgkmcnt(1)
	v_xor_b32_e32 v7, 0x80000000, v1
	v_xor_b32_e32 v21, 0x80000000, v3
	v_cmp_gt_f64_e32 vcc, 0, v[2:3]
	v_cmp_gt_f64_e64 s[0:1], 0, v[0:1]
	v_mov_b32_e32 v6, v0
	v_mov_b32_e32 v20, v2
	v_cndmask_b32_e64 v7, v1, v7, s[0:1]
	v_cndmask_b32_e32 v21, v3, v21, vcc
	v_add_f64 v[6:7], v[6:7], v[20:21]
	s_waitcnt lgkmcnt(0)
	v_xor_b32_e32 v21, 0x80000000, v17
	v_xor_b32_e32 v23, 0x80000000, v19
	v_cmp_gt_f64_e32 vcc, 0, v[18:19]
	v_cmp_gt_f64_e64 s[0:1], 0, v[16:17]
	v_mov_b32_e32 v20, v16
	v_mov_b32_e32 v22, v18
	v_cndmask_b32_e64 v21, v17, v21, s[0:1]
	v_cndmask_b32_e32 v23, v19, v23, vcc
	v_add_f64 v[20:21], v[20:21], v[22:23]
	v_mov_b32_e32 v24, s4
	s_add_i32 s4, s4, 1
	v_cmp_lt_f64_e32 vcc, v[6:7], v[20:21]
	v_add_u32_e32 v5, 16, v5
	s_cmp_lg_u32 s67, s4
	v_cndmask_b32_e32 v1, v1, v17, vcc
	v_cndmask_b32_e32 v0, v0, v16, vcc
	;; [unrolled: 1-line block ×5, first 2 shown]
	s_cbranch_scc1 .LBB126_1061
.LBB126_1062:
	s_waitcnt lgkmcnt(0)
	v_cmp_eq_f64_e32 vcc, 0, v[0:1]
	v_cmp_eq_f64_e64 s[0:1], 0, v[2:3]
	s_and_b64 s[0:1], vcc, s[0:1]
	s_and_saveexec_b64 s[4:5], s[0:1]
	s_xor_b64 s[0:1], exec, s[4:5]
; %bb.1063:
	v_cmp_ne_u32_e32 vcc, 0, v13
	s_nop 1
	v_cndmask_b32_e32 v13, 46, v13, vcc
; %bb.1064:
	s_andn2_saveexec_b64 s[0:1], s[0:1]
	s_cbranch_execz .LBB126_1070
; %bb.1065:
	v_cmp_ngt_f64_e64 s[4:5], |v[0:1]|, |v[2:3]|
	s_and_saveexec_b64 s[12:13], s[4:5]
	s_xor_b64 s[12:13], exec, s[12:13]
	s_cbranch_execz .LBB126_1067
; %bb.1066:
	v_div_scale_f64 v[6:7], s[4:5], v[2:3], v[2:3], v[0:1]
	v_rcp_f64_e32 v[16:17], v[6:7]
	v_div_scale_f64 v[18:19], vcc, v[0:1], v[2:3], v[0:1]
	v_fma_f64 v[20:21], -v[6:7], v[16:17], 1.0
	v_fmac_f64_e32 v[16:17], v[16:17], v[20:21]
	v_fma_f64 v[20:21], -v[6:7], v[16:17], 1.0
	v_fmac_f64_e32 v[16:17], v[16:17], v[20:21]
	v_mul_f64 v[20:21], v[18:19], v[16:17]
	v_fma_f64 v[6:7], -v[6:7], v[20:21], v[18:19]
	v_div_fmas_f64 v[6:7], v[6:7], v[16:17], v[20:21]
	v_div_fixup_f64 v[6:7], v[6:7], v[2:3], v[0:1]
	v_fmac_f64_e32 v[2:3], v[0:1], v[6:7]
	v_div_scale_f64 v[0:1], s[4:5], v[2:3], v[2:3], 1.0
	v_rcp_f64_e32 v[16:17], v[0:1]
	s_nop 0
	v_fma_f64 v[18:19], -v[0:1], v[16:17], 1.0
	v_fmac_f64_e32 v[16:17], v[16:17], v[18:19]
	v_fma_f64 v[18:19], -v[0:1], v[16:17], 1.0
	v_fmac_f64_e32 v[16:17], v[16:17], v[18:19]
	v_div_scale_f64 v[18:19], vcc, 1.0, v[2:3], 1.0
	v_mul_f64 v[20:21], v[18:19], v[16:17]
	v_fma_f64 v[0:1], -v[0:1], v[20:21], v[18:19]
	s_nop 1
	v_div_fmas_f64 v[0:1], v[0:1], v[16:17], v[20:21]
	v_div_fixup_f64 v[2:3], v[0:1], v[2:3], 1.0
	v_mul_f64 v[0:1], v[6:7], v[2:3]
	v_xor_b32_e32 v3, 0x80000000, v3
.LBB126_1067:
	s_andn2_saveexec_b64 s[12:13], s[12:13]
	s_cbranch_execz .LBB126_1069
; %bb.1068:
	v_div_scale_f64 v[6:7], s[4:5], v[0:1], v[0:1], v[2:3]
	v_rcp_f64_e32 v[16:17], v[6:7]
	v_div_scale_f64 v[18:19], vcc, v[2:3], v[0:1], v[2:3]
	v_fma_f64 v[20:21], -v[6:7], v[16:17], 1.0
	v_fmac_f64_e32 v[16:17], v[16:17], v[20:21]
	v_fma_f64 v[20:21], -v[6:7], v[16:17], 1.0
	v_fmac_f64_e32 v[16:17], v[16:17], v[20:21]
	v_mul_f64 v[20:21], v[18:19], v[16:17]
	v_fma_f64 v[6:7], -v[6:7], v[20:21], v[18:19]
	v_div_fmas_f64 v[6:7], v[6:7], v[16:17], v[20:21]
	v_div_fixup_f64 v[6:7], v[6:7], v[0:1], v[2:3]
	v_fmac_f64_e32 v[0:1], v[2:3], v[6:7]
	v_div_scale_f64 v[2:3], s[4:5], v[0:1], v[0:1], 1.0
	v_rcp_f64_e32 v[16:17], v[2:3]
	s_nop 0
	v_fma_f64 v[18:19], -v[2:3], v[16:17], 1.0
	v_fmac_f64_e32 v[16:17], v[16:17], v[18:19]
	v_fma_f64 v[18:19], -v[2:3], v[16:17], 1.0
	v_fmac_f64_e32 v[16:17], v[16:17], v[18:19]
	v_div_scale_f64 v[18:19], vcc, 1.0, v[0:1], 1.0
	v_mul_f64 v[20:21], v[18:19], v[16:17]
	v_fma_f64 v[2:3], -v[2:3], v[20:21], v[18:19]
	s_nop 1
	v_div_fmas_f64 v[2:3], v[2:3], v[16:17], v[20:21]
	v_div_fixup_f64 v[0:1], v[2:3], v[0:1], 1.0
	v_mul_f64 v[2:3], v[6:7], -v[0:1]
.LBB126_1069:
	s_or_b64 exec, exec, s[12:13]
.LBB126_1070:
	s_or_b64 exec, exec, s[0:1]
	v_cmp_ne_u32_e32 vcc, v15, v4
	s_and_saveexec_b64 s[0:1], vcc
	s_xor_b64 s[0:1], exec, s[0:1]
	s_cbranch_execz .LBB126_1076
; %bb.1071:
	v_cmp_eq_u32_e32 vcc, 45, v15
	s_and_saveexec_b64 s[12:13], vcc
	s_cbranch_execz .LBB126_1075
; %bb.1072:
	v_cmp_ne_u32_e32 vcc, 45, v4
	s_xor_b64 s[4:5], s[8:9], -1
	s_and_b64 s[4:5], s[4:5], vcc
	s_and_saveexec_b64 s[14:15], s[4:5]
	s_cbranch_execz .LBB126_1074
; %bb.1073:
	v_ashrrev_i32_e32 v5, 31, v4
	v_lshl_add_u64 v[6:7], v[4:5], 2, v[10:11]
	global_load_dword v5, v[6:7], off
	global_load_dword v14, v[10:11], off offset:180
	s_waitcnt vmcnt(1)
	global_store_dword v[10:11], v5, off offset:180
	s_waitcnt vmcnt(1)
	global_store_dword v[6:7], v14, off
.LBB126_1074:
	s_or_b64 exec, exec, s[14:15]
	v_mov_b32_e32 v15, v4
	v_mov_b32_e32 v14, v4
.LBB126_1075:
	s_or_b64 exec, exec, s[12:13]
.LBB126_1076:
	s_andn2_saveexec_b64 s[0:1], s[0:1]
	s_cbranch_execz .LBB126_1078
; %bb.1077:
	scratch_load_dwordx4 v[4:7], off, s37
	scratch_load_dwordx4 v[16:19], off, s36
	;; [unrolled: 1-line block ×18, first 2 shown]
	v_mov_b32_e32 v15, 45
	s_waitcnt vmcnt(17)
	ds_write2_b64 v12, v[4:5], v[6:7] offset0:92 offset1:93
	s_waitcnt vmcnt(16)
	ds_write2_b64 v12, v[16:17], v[18:19] offset0:94 offset1:95
	;; [unrolled: 2-line block ×18, first 2 shown]
.LBB126_1078:
	s_or_b64 exec, exec, s[0:1]
	v_cmp_lt_i32_e32 vcc, 45, v15
	s_waitcnt lgkmcnt(0)
	s_barrier
	s_and_saveexec_b64 s[0:1], vcc
	s_cbranch_execz .LBB126_1080
; %bb.1079:
	scratch_load_dwordx4 v[4:7], off, off offset:720
	s_waitcnt vmcnt(0)
	v_mul_f64 v[16:17], v[2:3], v[6:7]
	v_mul_f64 v[18:19], v[0:1], v[6:7]
	v_fma_f64 v[16:17], v[0:1], v[4:5], -v[16:17]
	v_fmac_f64_e32 v[18:19], v[2:3], v[4:5]
	ds_read2_b64 v[0:3], v12 offset0:92 offset1:93
	scratch_store_dwordx4 off, v[16:19], off offset:720
	s_waitcnt lgkmcnt(0)
	v_mul_f64 v[4:5], v[2:3], v[18:19]
	v_mul_f64 v[6:7], v[0:1], v[18:19]
	v_fma_f64 v[4:5], v[0:1], v[16:17], -v[4:5]
	v_fmac_f64_e32 v[6:7], v[2:3], v[16:17]
	scratch_load_dwordx4 v[0:3], off, off offset:736
	s_waitcnt vmcnt(0)
	v_add_f64 v[0:1], v[0:1], -v[4:5]
	v_add_f64 v[2:3], v[2:3], -v[6:7]
	scratch_store_dwordx4 off, v[0:3], off offset:736
	ds_read2_b64 v[0:3], v12 offset0:94 offset1:95
	s_waitcnt lgkmcnt(0)
	v_mul_f64 v[4:5], v[2:3], v[18:19]
	v_mul_f64 v[6:7], v[0:1], v[18:19]
	v_fma_f64 v[4:5], v[0:1], v[16:17], -v[4:5]
	v_fmac_f64_e32 v[6:7], v[2:3], v[16:17]
	scratch_load_dwordx4 v[0:3], off, off offset:752
	s_waitcnt vmcnt(0)
	v_add_f64 v[0:1], v[0:1], -v[4:5]
	v_add_f64 v[2:3], v[2:3], -v[6:7]
	scratch_store_dwordx4 off, v[0:3], off offset:752
	ds_read2_b64 v[0:3], v12 offset0:96 offset1:97
	s_waitcnt lgkmcnt(0)
	v_mul_f64 v[4:5], v[2:3], v[18:19]
	v_mul_f64 v[6:7], v[0:1], v[18:19]
	v_fma_f64 v[4:5], v[0:1], v[16:17], -v[4:5]
	v_fmac_f64_e32 v[6:7], v[2:3], v[16:17]
	scratch_load_dwordx4 v[0:3], off, off offset:768
	s_waitcnt vmcnt(0)
	v_add_f64 v[0:1], v[0:1], -v[4:5]
	v_add_f64 v[2:3], v[2:3], -v[6:7]
	scratch_store_dwordx4 off, v[0:3], off offset:768
	ds_read2_b64 v[0:3], v12 offset0:98 offset1:99
	s_waitcnt lgkmcnt(0)
	v_mul_f64 v[4:5], v[2:3], v[18:19]
	v_mul_f64 v[6:7], v[0:1], v[18:19]
	v_fma_f64 v[4:5], v[0:1], v[16:17], -v[4:5]
	v_fmac_f64_e32 v[6:7], v[2:3], v[16:17]
	scratch_load_dwordx4 v[0:3], off, off offset:784
	s_waitcnt vmcnt(0)
	v_add_f64 v[0:1], v[0:1], -v[4:5]
	v_add_f64 v[2:3], v[2:3], -v[6:7]
	scratch_store_dwordx4 off, v[0:3], off offset:784
	ds_read2_b64 v[0:3], v12 offset0:100 offset1:101
	s_waitcnt lgkmcnt(0)
	v_mul_f64 v[4:5], v[2:3], v[18:19]
	v_mul_f64 v[6:7], v[0:1], v[18:19]
	v_fma_f64 v[4:5], v[0:1], v[16:17], -v[4:5]
	v_fmac_f64_e32 v[6:7], v[2:3], v[16:17]
	scratch_load_dwordx4 v[0:3], off, off offset:800
	s_waitcnt vmcnt(0)
	v_add_f64 v[0:1], v[0:1], -v[4:5]
	v_add_f64 v[2:3], v[2:3], -v[6:7]
	scratch_store_dwordx4 off, v[0:3], off offset:800
	ds_read2_b64 v[0:3], v12 offset0:102 offset1:103
	s_waitcnt lgkmcnt(0)
	v_mul_f64 v[4:5], v[2:3], v[18:19]
	v_mul_f64 v[6:7], v[0:1], v[18:19]
	v_fma_f64 v[4:5], v[0:1], v[16:17], -v[4:5]
	v_fmac_f64_e32 v[6:7], v[2:3], v[16:17]
	scratch_load_dwordx4 v[0:3], off, off offset:816
	s_waitcnt vmcnt(0)
	v_add_f64 v[0:1], v[0:1], -v[4:5]
	v_add_f64 v[2:3], v[2:3], -v[6:7]
	scratch_store_dwordx4 off, v[0:3], off offset:816
	ds_read2_b64 v[4:7], v12 offset0:104 offset1:105
	scratch_load_dwordx2 v[16:17], off, off offset:720
	scratch_load_dwordx4 v[0:3], off, off offset:720
	s_waitcnt vmcnt(0) lgkmcnt(0)
	v_mul_f64 v[18:19], v[6:7], v[2:3]
	v_mul_f64 v[20:21], v[4:5], v[2:3]
	v_fma_f64 v[18:19], v[4:5], v[16:17], -v[18:19]
	v_fmac_f64_e32 v[20:21], v[6:7], v[16:17]
	scratch_load_dwordx4 v[4:7], off, off offset:832
	s_waitcnt vmcnt(0)
	v_add_f64 v[4:5], v[4:5], -v[18:19]
	v_add_f64 v[6:7], v[6:7], -v[20:21]
	scratch_store_dwordx4 off, v[4:7], off offset:832
	ds_read2_b64 v[4:7], v12 offset0:106 offset1:107
	s_waitcnt lgkmcnt(0)
	v_mul_f64 v[18:19], v[6:7], v[2:3]
	v_mul_f64 v[20:21], v[4:5], v[2:3]
	v_fma_f64 v[18:19], v[4:5], v[16:17], -v[18:19]
	v_fmac_f64_e32 v[20:21], v[6:7], v[16:17]
	scratch_load_dwordx4 v[4:7], off, off offset:848
	s_waitcnt vmcnt(0)
	v_add_f64 v[4:5], v[4:5], -v[18:19]
	v_add_f64 v[6:7], v[6:7], -v[20:21]
	scratch_store_dwordx4 off, v[4:7], off offset:848
	ds_read2_b64 v[4:7], v12 offset0:108 offset1:109
	s_waitcnt lgkmcnt(0)
	;; [unrolled: 11-line block ×5, first 2 shown]
	v_mul_f64 v[18:19], v[6:7], v[2:3]
	v_fma_f64 v[18:19], v[4:5], v[16:17], -v[18:19]
	v_mul_f64 v[20:21], v[4:5], v[2:3]
	scratch_load_dwordx4 v[2:5], off, off offset:912
	v_fmac_f64_e32 v[20:21], v[6:7], v[16:17]
	s_waitcnt vmcnt(0)
	v_add_f64 v[2:3], v[2:3], -v[18:19]
	v_add_f64 v[4:5], v[4:5], -v[20:21]
	scratch_store_dwordx4 off, v[2:5], off offset:912
	scratch_load_dwordx2 v[2:3], off, off offset:728
	ds_read2_b64 v[4:7], v12 offset0:116 offset1:117
	s_waitcnt vmcnt(0) lgkmcnt(0)
	v_mul_f64 v[16:17], v[6:7], v[2:3]
	v_mul_f64 v[18:19], v[4:5], v[2:3]
	v_fma_f64 v[16:17], v[4:5], v[0:1], -v[16:17]
	v_fmac_f64_e32 v[18:19], v[6:7], v[0:1]
	scratch_load_dwordx4 v[4:7], off, off offset:928
	s_waitcnt vmcnt(0)
	v_add_f64 v[4:5], v[4:5], -v[16:17]
	v_add_f64 v[6:7], v[6:7], -v[18:19]
	scratch_store_dwordx4 off, v[4:7], off offset:928
	ds_read2_b64 v[4:7], v12 offset0:118 offset1:119
	s_waitcnt lgkmcnt(0)
	v_mul_f64 v[16:17], v[6:7], v[2:3]
	v_mul_f64 v[18:19], v[4:5], v[2:3]
	v_fma_f64 v[16:17], v[4:5], v[0:1], -v[16:17]
	v_fmac_f64_e32 v[18:19], v[6:7], v[0:1]
	scratch_load_dwordx4 v[4:7], off, off offset:944
	s_waitcnt vmcnt(0)
	v_add_f64 v[4:5], v[4:5], -v[16:17]
	v_add_f64 v[6:7], v[6:7], -v[18:19]
	scratch_store_dwordx4 off, v[4:7], off offset:944
	ds_read2_b64 v[4:7], v12 offset0:120 offset1:121
	s_waitcnt lgkmcnt(0)
	;; [unrolled: 11-line block ×5, first 2 shown]
	v_mul_f64 v[16:17], v[6:7], v[2:3]
	v_fma_f64 v[16:17], v[4:5], v[0:1], -v[16:17]
	v_mul_f64 v[4:5], v[4:5], v[2:3]
	v_fmac_f64_e32 v[4:5], v[6:7], v[0:1]
	scratch_load_dwordx4 v[0:3], off, off offset:1008
	s_waitcnt vmcnt(0)
	v_add_f64 v[0:1], v[0:1], -v[16:17]
	v_add_f64 v[2:3], v[2:3], -v[4:5]
	scratch_store_dwordx4 off, v[0:3], off offset:1008
.LBB126_1080:
	s_or_b64 exec, exec, s[0:1]
	s_barrier
	scratch_load_dwordx4 v[0:3], off, s37
	v_lshl_add_u32 v4, v15, 4, v12
	s_cmp_lt_i32 s67, 48
	s_waitcnt vmcnt(0)
	ds_write2_b64 v4, v[0:1], v[2:3] offset1:1
	s_waitcnt lgkmcnt(0)
	s_barrier
	ds_read2_b64 v[0:3], v12 offset0:92 offset1:93
	v_mov_b32_e32 v4, 46
	s_cbranch_scc1 .LBB126_1083
; %bb.1081:
	v_add_u32_e32 v5, 0x2f0, v12
	s_mov_b32 s4, 47
	v_mov_b32_e32 v4, 46
.LBB126_1082:                           ; =>This Inner Loop Header: Depth=1
	ds_read2_b64 v[16:19], v5 offset1:1
	s_waitcnt lgkmcnt(1)
	v_xor_b32_e32 v7, 0x80000000, v1
	v_xor_b32_e32 v21, 0x80000000, v3
	v_cmp_gt_f64_e32 vcc, 0, v[2:3]
	v_cmp_gt_f64_e64 s[0:1], 0, v[0:1]
	v_mov_b32_e32 v6, v0
	v_mov_b32_e32 v20, v2
	v_cndmask_b32_e64 v7, v1, v7, s[0:1]
	v_cndmask_b32_e32 v21, v3, v21, vcc
	v_add_f64 v[6:7], v[6:7], v[20:21]
	s_waitcnt lgkmcnt(0)
	v_xor_b32_e32 v21, 0x80000000, v17
	v_xor_b32_e32 v23, 0x80000000, v19
	v_cmp_gt_f64_e32 vcc, 0, v[18:19]
	v_cmp_gt_f64_e64 s[0:1], 0, v[16:17]
	v_mov_b32_e32 v20, v16
	v_mov_b32_e32 v22, v18
	v_cndmask_b32_e64 v21, v17, v21, s[0:1]
	v_cndmask_b32_e32 v23, v19, v23, vcc
	v_add_f64 v[20:21], v[20:21], v[22:23]
	v_mov_b32_e32 v24, s4
	s_add_i32 s4, s4, 1
	v_cmp_lt_f64_e32 vcc, v[6:7], v[20:21]
	v_add_u32_e32 v5, 16, v5
	s_cmp_lg_u32 s67, s4
	v_cndmask_b32_e32 v1, v1, v17, vcc
	v_cndmask_b32_e32 v0, v0, v16, vcc
	;; [unrolled: 1-line block ×5, first 2 shown]
	s_cbranch_scc1 .LBB126_1082
.LBB126_1083:
	s_waitcnt lgkmcnt(0)
	v_cmp_eq_f64_e32 vcc, 0, v[0:1]
	v_cmp_eq_f64_e64 s[0:1], 0, v[2:3]
	s_and_b64 s[0:1], vcc, s[0:1]
	s_and_saveexec_b64 s[4:5], s[0:1]
	s_xor_b64 s[0:1], exec, s[4:5]
; %bb.1084:
	v_cmp_ne_u32_e32 vcc, 0, v13
	s_nop 1
	v_cndmask_b32_e32 v13, 47, v13, vcc
; %bb.1085:
	s_andn2_saveexec_b64 s[0:1], s[0:1]
	s_cbranch_execz .LBB126_1091
; %bb.1086:
	v_cmp_ngt_f64_e64 s[4:5], |v[0:1]|, |v[2:3]|
	s_and_saveexec_b64 s[12:13], s[4:5]
	s_xor_b64 s[12:13], exec, s[12:13]
	s_cbranch_execz .LBB126_1088
; %bb.1087:
	v_div_scale_f64 v[6:7], s[4:5], v[2:3], v[2:3], v[0:1]
	v_rcp_f64_e32 v[16:17], v[6:7]
	v_div_scale_f64 v[18:19], vcc, v[0:1], v[2:3], v[0:1]
	v_fma_f64 v[20:21], -v[6:7], v[16:17], 1.0
	v_fmac_f64_e32 v[16:17], v[16:17], v[20:21]
	v_fma_f64 v[20:21], -v[6:7], v[16:17], 1.0
	v_fmac_f64_e32 v[16:17], v[16:17], v[20:21]
	v_mul_f64 v[20:21], v[18:19], v[16:17]
	v_fma_f64 v[6:7], -v[6:7], v[20:21], v[18:19]
	v_div_fmas_f64 v[6:7], v[6:7], v[16:17], v[20:21]
	v_div_fixup_f64 v[6:7], v[6:7], v[2:3], v[0:1]
	v_fmac_f64_e32 v[2:3], v[0:1], v[6:7]
	v_div_scale_f64 v[0:1], s[4:5], v[2:3], v[2:3], 1.0
	v_rcp_f64_e32 v[16:17], v[0:1]
	s_nop 0
	v_fma_f64 v[18:19], -v[0:1], v[16:17], 1.0
	v_fmac_f64_e32 v[16:17], v[16:17], v[18:19]
	v_fma_f64 v[18:19], -v[0:1], v[16:17], 1.0
	v_fmac_f64_e32 v[16:17], v[16:17], v[18:19]
	v_div_scale_f64 v[18:19], vcc, 1.0, v[2:3], 1.0
	v_mul_f64 v[20:21], v[18:19], v[16:17]
	v_fma_f64 v[0:1], -v[0:1], v[20:21], v[18:19]
	s_nop 1
	v_div_fmas_f64 v[0:1], v[0:1], v[16:17], v[20:21]
	v_div_fixup_f64 v[2:3], v[0:1], v[2:3], 1.0
	v_mul_f64 v[0:1], v[6:7], v[2:3]
	v_xor_b32_e32 v3, 0x80000000, v3
.LBB126_1088:
	s_andn2_saveexec_b64 s[12:13], s[12:13]
	s_cbranch_execz .LBB126_1090
; %bb.1089:
	v_div_scale_f64 v[6:7], s[4:5], v[0:1], v[0:1], v[2:3]
	v_rcp_f64_e32 v[16:17], v[6:7]
	v_div_scale_f64 v[18:19], vcc, v[2:3], v[0:1], v[2:3]
	v_fma_f64 v[20:21], -v[6:7], v[16:17], 1.0
	v_fmac_f64_e32 v[16:17], v[16:17], v[20:21]
	v_fma_f64 v[20:21], -v[6:7], v[16:17], 1.0
	v_fmac_f64_e32 v[16:17], v[16:17], v[20:21]
	v_mul_f64 v[20:21], v[18:19], v[16:17]
	v_fma_f64 v[6:7], -v[6:7], v[20:21], v[18:19]
	v_div_fmas_f64 v[6:7], v[6:7], v[16:17], v[20:21]
	v_div_fixup_f64 v[6:7], v[6:7], v[0:1], v[2:3]
	v_fmac_f64_e32 v[0:1], v[2:3], v[6:7]
	v_div_scale_f64 v[2:3], s[4:5], v[0:1], v[0:1], 1.0
	v_rcp_f64_e32 v[16:17], v[2:3]
	s_nop 0
	v_fma_f64 v[18:19], -v[2:3], v[16:17], 1.0
	v_fmac_f64_e32 v[16:17], v[16:17], v[18:19]
	v_fma_f64 v[18:19], -v[2:3], v[16:17], 1.0
	v_fmac_f64_e32 v[16:17], v[16:17], v[18:19]
	v_div_scale_f64 v[18:19], vcc, 1.0, v[0:1], 1.0
	v_mul_f64 v[20:21], v[18:19], v[16:17]
	v_fma_f64 v[2:3], -v[2:3], v[20:21], v[18:19]
	s_nop 1
	v_div_fmas_f64 v[2:3], v[2:3], v[16:17], v[20:21]
	v_div_fixup_f64 v[0:1], v[2:3], v[0:1], 1.0
	v_mul_f64 v[2:3], v[6:7], -v[0:1]
.LBB126_1090:
	s_or_b64 exec, exec, s[12:13]
.LBB126_1091:
	s_or_b64 exec, exec, s[0:1]
	v_cmp_ne_u32_e32 vcc, v15, v4
	s_and_saveexec_b64 s[0:1], vcc
	s_xor_b64 s[0:1], exec, s[0:1]
	s_cbranch_execz .LBB126_1097
; %bb.1092:
	v_cmp_eq_u32_e32 vcc, 46, v15
	s_and_saveexec_b64 s[12:13], vcc
	s_cbranch_execz .LBB126_1096
; %bb.1093:
	v_cmp_ne_u32_e32 vcc, 46, v4
	s_xor_b64 s[4:5], s[8:9], -1
	s_and_b64 s[4:5], s[4:5], vcc
	s_and_saveexec_b64 s[14:15], s[4:5]
	s_cbranch_execz .LBB126_1095
; %bb.1094:
	v_ashrrev_i32_e32 v5, 31, v4
	v_lshl_add_u64 v[6:7], v[4:5], 2, v[10:11]
	global_load_dword v5, v[6:7], off
	global_load_dword v14, v[10:11], off offset:184
	s_waitcnt vmcnt(1)
	global_store_dword v[10:11], v5, off offset:184
	s_waitcnt vmcnt(1)
	global_store_dword v[6:7], v14, off
.LBB126_1095:
	s_or_b64 exec, exec, s[14:15]
	v_mov_b32_e32 v15, v4
	v_mov_b32_e32 v14, v4
.LBB126_1096:
	s_or_b64 exec, exec, s[12:13]
.LBB126_1097:
	s_andn2_saveexec_b64 s[0:1], s[0:1]
	s_cbranch_execz .LBB126_1099
; %bb.1098:
	scratch_load_dwordx4 v[4:7], off, s36
	scratch_load_dwordx4 v[16:19], off, s35
	;; [unrolled: 1-line block ×17, first 2 shown]
	v_mov_b32_e32 v15, 46
	s_waitcnt vmcnt(16)
	ds_write2_b64 v12, v[4:5], v[6:7] offset0:94 offset1:95
	s_waitcnt vmcnt(15)
	ds_write2_b64 v12, v[16:17], v[18:19] offset0:96 offset1:97
	;; [unrolled: 2-line block ×17, first 2 shown]
.LBB126_1099:
	s_or_b64 exec, exec, s[0:1]
	v_cmp_lt_i32_e32 vcc, 46, v15
	s_waitcnt lgkmcnt(0)
	s_barrier
	s_and_saveexec_b64 s[0:1], vcc
	s_cbranch_execz .LBB126_1101
; %bb.1100:
	scratch_load_dwordx4 v[4:7], off, off offset:736
	s_waitcnt vmcnt(0)
	v_mul_f64 v[16:17], v[2:3], v[6:7]
	v_mul_f64 v[18:19], v[0:1], v[6:7]
	v_fma_f64 v[16:17], v[0:1], v[4:5], -v[16:17]
	v_fmac_f64_e32 v[18:19], v[2:3], v[4:5]
	ds_read2_b64 v[0:3], v12 offset0:94 offset1:95
	scratch_store_dwordx4 off, v[16:19], off offset:736
	s_waitcnt lgkmcnt(0)
	v_mul_f64 v[4:5], v[2:3], v[18:19]
	v_mul_f64 v[6:7], v[0:1], v[18:19]
	v_fma_f64 v[4:5], v[0:1], v[16:17], -v[4:5]
	v_fmac_f64_e32 v[6:7], v[2:3], v[16:17]
	scratch_load_dwordx4 v[0:3], off, off offset:752
	s_waitcnt vmcnt(0)
	v_add_f64 v[0:1], v[0:1], -v[4:5]
	v_add_f64 v[2:3], v[2:3], -v[6:7]
	scratch_store_dwordx4 off, v[0:3], off offset:752
	ds_read2_b64 v[0:3], v12 offset0:96 offset1:97
	s_waitcnt lgkmcnt(0)
	v_mul_f64 v[4:5], v[2:3], v[18:19]
	v_mul_f64 v[6:7], v[0:1], v[18:19]
	v_fma_f64 v[4:5], v[0:1], v[16:17], -v[4:5]
	v_fmac_f64_e32 v[6:7], v[2:3], v[16:17]
	scratch_load_dwordx4 v[0:3], off, off offset:768
	s_waitcnt vmcnt(0)
	v_add_f64 v[0:1], v[0:1], -v[4:5]
	v_add_f64 v[2:3], v[2:3], -v[6:7]
	scratch_store_dwordx4 off, v[0:3], off offset:768
	ds_read2_b64 v[0:3], v12 offset0:98 offset1:99
	;; [unrolled: 11-line block ×6, first 2 shown]
	scratch_load_dwordx2 v[16:17], off, off offset:736
	scratch_load_dwordx4 v[0:3], off, off offset:736
	s_waitcnt vmcnt(0) lgkmcnt(0)
	v_mul_f64 v[18:19], v[6:7], v[2:3]
	v_mul_f64 v[20:21], v[4:5], v[2:3]
	v_fma_f64 v[18:19], v[4:5], v[16:17], -v[18:19]
	v_fmac_f64_e32 v[20:21], v[6:7], v[16:17]
	scratch_load_dwordx4 v[4:7], off, off offset:848
	s_waitcnt vmcnt(0)
	v_add_f64 v[4:5], v[4:5], -v[18:19]
	v_add_f64 v[6:7], v[6:7], -v[20:21]
	scratch_store_dwordx4 off, v[4:7], off offset:848
	ds_read2_b64 v[4:7], v12 offset0:108 offset1:109
	s_waitcnt lgkmcnt(0)
	v_mul_f64 v[18:19], v[6:7], v[2:3]
	v_mul_f64 v[20:21], v[4:5], v[2:3]
	v_fma_f64 v[18:19], v[4:5], v[16:17], -v[18:19]
	v_fmac_f64_e32 v[20:21], v[6:7], v[16:17]
	scratch_load_dwordx4 v[4:7], off, off offset:864
	s_waitcnt vmcnt(0)
	v_add_f64 v[4:5], v[4:5], -v[18:19]
	v_add_f64 v[6:7], v[6:7], -v[20:21]
	scratch_store_dwordx4 off, v[4:7], off offset:864
	ds_read2_b64 v[4:7], v12 offset0:110 offset1:111
	s_waitcnt lgkmcnt(0)
	;; [unrolled: 11-line block ×5, first 2 shown]
	v_mul_f64 v[18:19], v[6:7], v[2:3]
	v_fma_f64 v[18:19], v[4:5], v[16:17], -v[18:19]
	v_mul_f64 v[20:21], v[4:5], v[2:3]
	scratch_load_dwordx4 v[2:5], off, off offset:928
	v_fmac_f64_e32 v[20:21], v[6:7], v[16:17]
	scratch_load_dwordx2 v[6:7], off, off offset:744
	s_waitcnt vmcnt(1)
	v_add_f64 v[2:3], v[2:3], -v[18:19]
	v_add_f64 v[4:5], v[4:5], -v[20:21]
	scratch_store_dwordx4 off, v[2:5], off offset:928
	ds_read2_b64 v[2:5], v12 offset0:118 offset1:119
	s_waitcnt vmcnt(1) lgkmcnt(0)
	v_mul_f64 v[16:17], v[4:5], v[6:7]
	v_mul_f64 v[18:19], v[2:3], v[6:7]
	v_fma_f64 v[16:17], v[2:3], v[0:1], -v[16:17]
	v_fmac_f64_e32 v[18:19], v[4:5], v[0:1]
	scratch_load_dwordx4 v[2:5], off, off offset:944
	s_waitcnt vmcnt(0)
	v_add_f64 v[2:3], v[2:3], -v[16:17]
	v_add_f64 v[4:5], v[4:5], -v[18:19]
	scratch_store_dwordx4 off, v[2:5], off offset:944
	ds_read2_b64 v[2:5], v12 offset0:120 offset1:121
	s_waitcnt lgkmcnt(0)
	v_mul_f64 v[16:17], v[4:5], v[6:7]
	v_mul_f64 v[18:19], v[2:3], v[6:7]
	v_fma_f64 v[16:17], v[2:3], v[0:1], -v[16:17]
	v_fmac_f64_e32 v[18:19], v[4:5], v[0:1]
	scratch_load_dwordx4 v[2:5], off, off offset:960
	s_waitcnt vmcnt(0)
	v_add_f64 v[2:3], v[2:3], -v[16:17]
	v_add_f64 v[4:5], v[4:5], -v[18:19]
	scratch_store_dwordx4 off, v[2:5], off offset:960
	ds_read2_b64 v[2:5], v12 offset0:122 offset1:123
	s_waitcnt lgkmcnt(0)
	;; [unrolled: 11-line block ×4, first 2 shown]
	v_mul_f64 v[16:17], v[4:5], v[6:7]
	v_mul_f64 v[6:7], v[2:3], v[6:7]
	v_fma_f64 v[16:17], v[2:3], v[0:1], -v[16:17]
	v_fmac_f64_e32 v[6:7], v[4:5], v[0:1]
	scratch_load_dwordx4 v[0:3], off, off offset:1008
	s_waitcnt vmcnt(0)
	v_add_f64 v[0:1], v[0:1], -v[16:17]
	v_add_f64 v[2:3], v[2:3], -v[6:7]
	scratch_store_dwordx4 off, v[0:3], off offset:1008
.LBB126_1101:
	s_or_b64 exec, exec, s[0:1]
	s_barrier
	scratch_load_dwordx4 v[0:3], off, s36
	v_lshl_add_u32 v4, v15, 4, v12
	s_cmp_lt_i32 s67, 49
	s_waitcnt vmcnt(0)
	ds_write2_b64 v4, v[0:1], v[2:3] offset1:1
	s_waitcnt lgkmcnt(0)
	s_barrier
	ds_read2_b64 v[0:3], v12 offset0:94 offset1:95
	v_mov_b32_e32 v4, 47
	s_cbranch_scc1 .LBB126_1104
; %bb.1102:
	v_add_u32_e32 v5, 0x300, v12
	s_mov_b32 s4, 48
	v_mov_b32_e32 v4, 47
.LBB126_1103:                           ; =>This Inner Loop Header: Depth=1
	ds_read2_b64 v[16:19], v5 offset1:1
	s_waitcnt lgkmcnt(1)
	v_xor_b32_e32 v7, 0x80000000, v1
	v_xor_b32_e32 v21, 0x80000000, v3
	v_cmp_gt_f64_e32 vcc, 0, v[2:3]
	v_cmp_gt_f64_e64 s[0:1], 0, v[0:1]
	v_mov_b32_e32 v6, v0
	v_mov_b32_e32 v20, v2
	v_cndmask_b32_e64 v7, v1, v7, s[0:1]
	v_cndmask_b32_e32 v21, v3, v21, vcc
	v_add_f64 v[6:7], v[6:7], v[20:21]
	s_waitcnt lgkmcnt(0)
	v_xor_b32_e32 v21, 0x80000000, v17
	v_xor_b32_e32 v23, 0x80000000, v19
	v_cmp_gt_f64_e32 vcc, 0, v[18:19]
	v_cmp_gt_f64_e64 s[0:1], 0, v[16:17]
	v_mov_b32_e32 v20, v16
	v_mov_b32_e32 v22, v18
	v_cndmask_b32_e64 v21, v17, v21, s[0:1]
	v_cndmask_b32_e32 v23, v19, v23, vcc
	v_add_f64 v[20:21], v[20:21], v[22:23]
	v_mov_b32_e32 v24, s4
	s_add_i32 s4, s4, 1
	v_cmp_lt_f64_e32 vcc, v[6:7], v[20:21]
	v_add_u32_e32 v5, 16, v5
	s_cmp_lg_u32 s67, s4
	v_cndmask_b32_e32 v1, v1, v17, vcc
	v_cndmask_b32_e32 v0, v0, v16, vcc
	;; [unrolled: 1-line block ×5, first 2 shown]
	s_cbranch_scc1 .LBB126_1103
.LBB126_1104:
	s_waitcnt lgkmcnt(0)
	v_cmp_eq_f64_e32 vcc, 0, v[0:1]
	v_cmp_eq_f64_e64 s[0:1], 0, v[2:3]
	s_and_b64 s[0:1], vcc, s[0:1]
	s_and_saveexec_b64 s[4:5], s[0:1]
	s_xor_b64 s[0:1], exec, s[4:5]
; %bb.1105:
	v_cmp_ne_u32_e32 vcc, 0, v13
	s_nop 1
	v_cndmask_b32_e32 v13, 48, v13, vcc
; %bb.1106:
	s_andn2_saveexec_b64 s[0:1], s[0:1]
	s_cbranch_execz .LBB126_1112
; %bb.1107:
	v_cmp_ngt_f64_e64 s[4:5], |v[0:1]|, |v[2:3]|
	s_and_saveexec_b64 s[12:13], s[4:5]
	s_xor_b64 s[12:13], exec, s[12:13]
	s_cbranch_execz .LBB126_1109
; %bb.1108:
	v_div_scale_f64 v[6:7], s[4:5], v[2:3], v[2:3], v[0:1]
	v_rcp_f64_e32 v[16:17], v[6:7]
	v_div_scale_f64 v[18:19], vcc, v[0:1], v[2:3], v[0:1]
	v_fma_f64 v[20:21], -v[6:7], v[16:17], 1.0
	v_fmac_f64_e32 v[16:17], v[16:17], v[20:21]
	v_fma_f64 v[20:21], -v[6:7], v[16:17], 1.0
	v_fmac_f64_e32 v[16:17], v[16:17], v[20:21]
	v_mul_f64 v[20:21], v[18:19], v[16:17]
	v_fma_f64 v[6:7], -v[6:7], v[20:21], v[18:19]
	v_div_fmas_f64 v[6:7], v[6:7], v[16:17], v[20:21]
	v_div_fixup_f64 v[6:7], v[6:7], v[2:3], v[0:1]
	v_fmac_f64_e32 v[2:3], v[0:1], v[6:7]
	v_div_scale_f64 v[0:1], s[4:5], v[2:3], v[2:3], 1.0
	v_rcp_f64_e32 v[16:17], v[0:1]
	s_nop 0
	v_fma_f64 v[18:19], -v[0:1], v[16:17], 1.0
	v_fmac_f64_e32 v[16:17], v[16:17], v[18:19]
	v_fma_f64 v[18:19], -v[0:1], v[16:17], 1.0
	v_fmac_f64_e32 v[16:17], v[16:17], v[18:19]
	v_div_scale_f64 v[18:19], vcc, 1.0, v[2:3], 1.0
	v_mul_f64 v[20:21], v[18:19], v[16:17]
	v_fma_f64 v[0:1], -v[0:1], v[20:21], v[18:19]
	s_nop 1
	v_div_fmas_f64 v[0:1], v[0:1], v[16:17], v[20:21]
	v_div_fixup_f64 v[2:3], v[0:1], v[2:3], 1.0
	v_mul_f64 v[0:1], v[6:7], v[2:3]
	v_xor_b32_e32 v3, 0x80000000, v3
.LBB126_1109:
	s_andn2_saveexec_b64 s[12:13], s[12:13]
	s_cbranch_execz .LBB126_1111
; %bb.1110:
	v_div_scale_f64 v[6:7], s[4:5], v[0:1], v[0:1], v[2:3]
	v_rcp_f64_e32 v[16:17], v[6:7]
	v_div_scale_f64 v[18:19], vcc, v[2:3], v[0:1], v[2:3]
	v_fma_f64 v[20:21], -v[6:7], v[16:17], 1.0
	v_fmac_f64_e32 v[16:17], v[16:17], v[20:21]
	v_fma_f64 v[20:21], -v[6:7], v[16:17], 1.0
	v_fmac_f64_e32 v[16:17], v[16:17], v[20:21]
	v_mul_f64 v[20:21], v[18:19], v[16:17]
	v_fma_f64 v[6:7], -v[6:7], v[20:21], v[18:19]
	v_div_fmas_f64 v[6:7], v[6:7], v[16:17], v[20:21]
	v_div_fixup_f64 v[6:7], v[6:7], v[0:1], v[2:3]
	v_fmac_f64_e32 v[0:1], v[2:3], v[6:7]
	v_div_scale_f64 v[2:3], s[4:5], v[0:1], v[0:1], 1.0
	v_rcp_f64_e32 v[16:17], v[2:3]
	s_nop 0
	v_fma_f64 v[18:19], -v[2:3], v[16:17], 1.0
	v_fmac_f64_e32 v[16:17], v[16:17], v[18:19]
	v_fma_f64 v[18:19], -v[2:3], v[16:17], 1.0
	v_fmac_f64_e32 v[16:17], v[16:17], v[18:19]
	v_div_scale_f64 v[18:19], vcc, 1.0, v[0:1], 1.0
	v_mul_f64 v[20:21], v[18:19], v[16:17]
	v_fma_f64 v[2:3], -v[2:3], v[20:21], v[18:19]
	s_nop 1
	v_div_fmas_f64 v[2:3], v[2:3], v[16:17], v[20:21]
	v_div_fixup_f64 v[0:1], v[2:3], v[0:1], 1.0
	v_mul_f64 v[2:3], v[6:7], -v[0:1]
.LBB126_1111:
	s_or_b64 exec, exec, s[12:13]
.LBB126_1112:
	s_or_b64 exec, exec, s[0:1]
	v_cmp_ne_u32_e32 vcc, v15, v4
	s_and_saveexec_b64 s[0:1], vcc
	s_xor_b64 s[0:1], exec, s[0:1]
	s_cbranch_execz .LBB126_1118
; %bb.1113:
	v_cmp_eq_u32_e32 vcc, 47, v15
	s_and_saveexec_b64 s[12:13], vcc
	s_cbranch_execz .LBB126_1117
; %bb.1114:
	v_cmp_ne_u32_e32 vcc, 47, v4
	s_xor_b64 s[4:5], s[8:9], -1
	s_and_b64 s[4:5], s[4:5], vcc
	s_and_saveexec_b64 s[14:15], s[4:5]
	s_cbranch_execz .LBB126_1116
; %bb.1115:
	v_ashrrev_i32_e32 v5, 31, v4
	v_lshl_add_u64 v[6:7], v[4:5], 2, v[10:11]
	global_load_dword v5, v[6:7], off
	global_load_dword v14, v[10:11], off offset:188
	s_waitcnt vmcnt(1)
	global_store_dword v[10:11], v5, off offset:188
	s_waitcnt vmcnt(1)
	global_store_dword v[6:7], v14, off
.LBB126_1116:
	s_or_b64 exec, exec, s[14:15]
	v_mov_b32_e32 v15, v4
	v_mov_b32_e32 v14, v4
.LBB126_1117:
	s_or_b64 exec, exec, s[12:13]
.LBB126_1118:
	s_andn2_saveexec_b64 s[0:1], s[0:1]
	s_cbranch_execz .LBB126_1120
; %bb.1119:
	scratch_load_dwordx4 v[4:7], off, s35
	scratch_load_dwordx4 v[16:19], off, s34
	;; [unrolled: 1-line block ×16, first 2 shown]
	v_mov_b32_e32 v15, 47
	s_waitcnt vmcnt(15)
	ds_write2_b64 v12, v[4:5], v[6:7] offset0:96 offset1:97
	s_waitcnt vmcnt(14)
	ds_write2_b64 v12, v[16:17], v[18:19] offset0:98 offset1:99
	;; [unrolled: 2-line block ×16, first 2 shown]
.LBB126_1120:
	s_or_b64 exec, exec, s[0:1]
	v_cmp_lt_i32_e32 vcc, 47, v15
	s_waitcnt lgkmcnt(0)
	s_barrier
	s_and_saveexec_b64 s[0:1], vcc
	s_cbranch_execz .LBB126_1122
; %bb.1121:
	scratch_load_dwordx4 v[4:7], off, off offset:752
	s_waitcnt vmcnt(0)
	v_mul_f64 v[16:17], v[2:3], v[6:7]
	v_mul_f64 v[18:19], v[0:1], v[6:7]
	v_fma_f64 v[16:17], v[0:1], v[4:5], -v[16:17]
	v_fmac_f64_e32 v[18:19], v[2:3], v[4:5]
	ds_read2_b64 v[0:3], v12 offset0:96 offset1:97
	scratch_store_dwordx4 off, v[16:19], off offset:752
	s_waitcnt lgkmcnt(0)
	v_mul_f64 v[4:5], v[2:3], v[18:19]
	v_mul_f64 v[6:7], v[0:1], v[18:19]
	v_fma_f64 v[4:5], v[0:1], v[16:17], -v[4:5]
	v_fmac_f64_e32 v[6:7], v[2:3], v[16:17]
	scratch_load_dwordx4 v[0:3], off, off offset:768
	s_waitcnt vmcnt(0)
	v_add_f64 v[0:1], v[0:1], -v[4:5]
	v_add_f64 v[2:3], v[2:3], -v[6:7]
	scratch_store_dwordx4 off, v[0:3], off offset:768
	ds_read2_b64 v[0:3], v12 offset0:98 offset1:99
	s_waitcnt lgkmcnt(0)
	v_mul_f64 v[4:5], v[2:3], v[18:19]
	v_mul_f64 v[6:7], v[0:1], v[18:19]
	v_fma_f64 v[4:5], v[0:1], v[16:17], -v[4:5]
	v_fmac_f64_e32 v[6:7], v[2:3], v[16:17]
	scratch_load_dwordx4 v[0:3], off, off offset:784
	s_waitcnt vmcnt(0)
	v_add_f64 v[0:1], v[0:1], -v[4:5]
	v_add_f64 v[2:3], v[2:3], -v[6:7]
	scratch_store_dwordx4 off, v[0:3], off offset:784
	ds_read2_b64 v[0:3], v12 offset0:100 offset1:101
	;; [unrolled: 11-line block ×6, first 2 shown]
	scratch_load_dwordx2 v[16:17], off, off offset:752
	scratch_load_dwordx4 v[0:3], off, off offset:752
	s_waitcnt vmcnt(0) lgkmcnt(0)
	v_mul_f64 v[18:19], v[6:7], v[2:3]
	v_mul_f64 v[20:21], v[4:5], v[2:3]
	v_fma_f64 v[18:19], v[4:5], v[16:17], -v[18:19]
	v_fmac_f64_e32 v[20:21], v[6:7], v[16:17]
	scratch_load_dwordx4 v[4:7], off, off offset:864
	s_waitcnt vmcnt(0)
	v_add_f64 v[4:5], v[4:5], -v[18:19]
	v_add_f64 v[6:7], v[6:7], -v[20:21]
	scratch_store_dwordx4 off, v[4:7], off offset:864
	ds_read2_b64 v[4:7], v12 offset0:110 offset1:111
	s_waitcnt lgkmcnt(0)
	v_mul_f64 v[18:19], v[6:7], v[2:3]
	v_mul_f64 v[20:21], v[4:5], v[2:3]
	v_fma_f64 v[18:19], v[4:5], v[16:17], -v[18:19]
	v_fmac_f64_e32 v[20:21], v[6:7], v[16:17]
	scratch_load_dwordx4 v[4:7], off, off offset:880
	s_waitcnt vmcnt(0)
	v_add_f64 v[4:5], v[4:5], -v[18:19]
	v_add_f64 v[6:7], v[6:7], -v[20:21]
	scratch_store_dwordx4 off, v[4:7], off offset:880
	ds_read2_b64 v[4:7], v12 offset0:112 offset1:113
	s_waitcnt lgkmcnt(0)
	;; [unrolled: 11-line block ×5, first 2 shown]
	v_mul_f64 v[18:19], v[6:7], v[2:3]
	v_fma_f64 v[18:19], v[4:5], v[16:17], -v[18:19]
	v_mul_f64 v[20:21], v[4:5], v[2:3]
	scratch_load_dwordx4 v[2:5], off, off offset:944
	v_fmac_f64_e32 v[20:21], v[6:7], v[16:17]
	scratch_load_dwordx2 v[6:7], off, off offset:760
	s_waitcnt vmcnt(1)
	v_add_f64 v[2:3], v[2:3], -v[18:19]
	v_add_f64 v[4:5], v[4:5], -v[20:21]
	scratch_store_dwordx4 off, v[2:5], off offset:944
	ds_read2_b64 v[2:5], v12 offset0:120 offset1:121
	s_waitcnt vmcnt(1) lgkmcnt(0)
	v_mul_f64 v[16:17], v[4:5], v[6:7]
	v_mul_f64 v[18:19], v[2:3], v[6:7]
	v_fma_f64 v[16:17], v[2:3], v[0:1], -v[16:17]
	v_fmac_f64_e32 v[18:19], v[4:5], v[0:1]
	scratch_load_dwordx4 v[2:5], off, off offset:960
	s_waitcnt vmcnt(0)
	v_add_f64 v[2:3], v[2:3], -v[16:17]
	v_add_f64 v[4:5], v[4:5], -v[18:19]
	scratch_store_dwordx4 off, v[2:5], off offset:960
	ds_read2_b64 v[2:5], v12 offset0:122 offset1:123
	s_waitcnt lgkmcnt(0)
	v_mul_f64 v[16:17], v[4:5], v[6:7]
	v_mul_f64 v[18:19], v[2:3], v[6:7]
	v_fma_f64 v[16:17], v[2:3], v[0:1], -v[16:17]
	v_fmac_f64_e32 v[18:19], v[4:5], v[0:1]
	scratch_load_dwordx4 v[2:5], off, off offset:976
	s_waitcnt vmcnt(0)
	v_add_f64 v[2:3], v[2:3], -v[16:17]
	v_add_f64 v[4:5], v[4:5], -v[18:19]
	scratch_store_dwordx4 off, v[2:5], off offset:976
	ds_read2_b64 v[2:5], v12 offset0:124 offset1:125
	s_waitcnt lgkmcnt(0)
	;; [unrolled: 11-line block ×3, first 2 shown]
	v_mul_f64 v[16:17], v[4:5], v[6:7]
	v_mul_f64 v[6:7], v[2:3], v[6:7]
	v_fma_f64 v[16:17], v[2:3], v[0:1], -v[16:17]
	v_fmac_f64_e32 v[6:7], v[4:5], v[0:1]
	scratch_load_dwordx4 v[0:3], off, off offset:1008
	s_waitcnt vmcnt(0)
	v_add_f64 v[0:1], v[0:1], -v[16:17]
	v_add_f64 v[2:3], v[2:3], -v[6:7]
	scratch_store_dwordx4 off, v[0:3], off offset:1008
.LBB126_1122:
	s_or_b64 exec, exec, s[0:1]
	s_barrier
	scratch_load_dwordx4 v[0:3], off, s35
	v_lshl_add_u32 v4, v15, 4, v12
	s_cmp_lt_i32 s67, 50
	s_waitcnt vmcnt(0)
	ds_write2_b64 v4, v[0:1], v[2:3] offset1:1
	s_waitcnt lgkmcnt(0)
	s_barrier
	ds_read2_b64 v[0:3], v12 offset0:96 offset1:97
	v_mov_b32_e32 v4, 48
	s_cbranch_scc1 .LBB126_1125
; %bb.1123:
	v_add_u32_e32 v5, 0x310, v12
	s_mov_b32 s4, 49
	v_mov_b32_e32 v4, 48
.LBB126_1124:                           ; =>This Inner Loop Header: Depth=1
	ds_read2_b64 v[16:19], v5 offset1:1
	s_waitcnt lgkmcnt(1)
	v_xor_b32_e32 v7, 0x80000000, v1
	v_xor_b32_e32 v21, 0x80000000, v3
	v_cmp_gt_f64_e32 vcc, 0, v[2:3]
	v_cmp_gt_f64_e64 s[0:1], 0, v[0:1]
	v_mov_b32_e32 v6, v0
	v_mov_b32_e32 v20, v2
	v_cndmask_b32_e64 v7, v1, v7, s[0:1]
	v_cndmask_b32_e32 v21, v3, v21, vcc
	v_add_f64 v[6:7], v[6:7], v[20:21]
	s_waitcnt lgkmcnt(0)
	v_xor_b32_e32 v21, 0x80000000, v17
	v_xor_b32_e32 v23, 0x80000000, v19
	v_cmp_gt_f64_e32 vcc, 0, v[18:19]
	v_cmp_gt_f64_e64 s[0:1], 0, v[16:17]
	v_mov_b32_e32 v20, v16
	v_mov_b32_e32 v22, v18
	v_cndmask_b32_e64 v21, v17, v21, s[0:1]
	v_cndmask_b32_e32 v23, v19, v23, vcc
	v_add_f64 v[20:21], v[20:21], v[22:23]
	v_mov_b32_e32 v24, s4
	s_add_i32 s4, s4, 1
	v_cmp_lt_f64_e32 vcc, v[6:7], v[20:21]
	v_add_u32_e32 v5, 16, v5
	s_cmp_lg_u32 s67, s4
	v_cndmask_b32_e32 v1, v1, v17, vcc
	v_cndmask_b32_e32 v0, v0, v16, vcc
	v_cndmask_b32_e32 v3, v3, v19, vcc
	v_cndmask_b32_e32 v2, v2, v18, vcc
	v_cndmask_b32_e32 v4, v4, v24, vcc
	s_cbranch_scc1 .LBB126_1124
.LBB126_1125:
	s_waitcnt lgkmcnt(0)
	v_cmp_eq_f64_e32 vcc, 0, v[0:1]
	v_cmp_eq_f64_e64 s[0:1], 0, v[2:3]
	s_and_b64 s[0:1], vcc, s[0:1]
	s_and_saveexec_b64 s[4:5], s[0:1]
	s_xor_b64 s[0:1], exec, s[4:5]
; %bb.1126:
	v_cmp_ne_u32_e32 vcc, 0, v13
	s_nop 1
	v_cndmask_b32_e32 v13, 49, v13, vcc
; %bb.1127:
	s_andn2_saveexec_b64 s[0:1], s[0:1]
	s_cbranch_execz .LBB126_1133
; %bb.1128:
	v_cmp_ngt_f64_e64 s[4:5], |v[0:1]|, |v[2:3]|
	s_and_saveexec_b64 s[12:13], s[4:5]
	s_xor_b64 s[12:13], exec, s[12:13]
	s_cbranch_execz .LBB126_1130
; %bb.1129:
	v_div_scale_f64 v[6:7], s[4:5], v[2:3], v[2:3], v[0:1]
	v_rcp_f64_e32 v[16:17], v[6:7]
	v_div_scale_f64 v[18:19], vcc, v[0:1], v[2:3], v[0:1]
	v_fma_f64 v[20:21], -v[6:7], v[16:17], 1.0
	v_fmac_f64_e32 v[16:17], v[16:17], v[20:21]
	v_fma_f64 v[20:21], -v[6:7], v[16:17], 1.0
	v_fmac_f64_e32 v[16:17], v[16:17], v[20:21]
	v_mul_f64 v[20:21], v[18:19], v[16:17]
	v_fma_f64 v[6:7], -v[6:7], v[20:21], v[18:19]
	v_div_fmas_f64 v[6:7], v[6:7], v[16:17], v[20:21]
	v_div_fixup_f64 v[6:7], v[6:7], v[2:3], v[0:1]
	v_fmac_f64_e32 v[2:3], v[0:1], v[6:7]
	v_div_scale_f64 v[0:1], s[4:5], v[2:3], v[2:3], 1.0
	v_rcp_f64_e32 v[16:17], v[0:1]
	s_nop 0
	v_fma_f64 v[18:19], -v[0:1], v[16:17], 1.0
	v_fmac_f64_e32 v[16:17], v[16:17], v[18:19]
	v_fma_f64 v[18:19], -v[0:1], v[16:17], 1.0
	v_fmac_f64_e32 v[16:17], v[16:17], v[18:19]
	v_div_scale_f64 v[18:19], vcc, 1.0, v[2:3], 1.0
	v_mul_f64 v[20:21], v[18:19], v[16:17]
	v_fma_f64 v[0:1], -v[0:1], v[20:21], v[18:19]
	s_nop 1
	v_div_fmas_f64 v[0:1], v[0:1], v[16:17], v[20:21]
	v_div_fixup_f64 v[2:3], v[0:1], v[2:3], 1.0
	v_mul_f64 v[0:1], v[6:7], v[2:3]
	v_xor_b32_e32 v3, 0x80000000, v3
.LBB126_1130:
	s_andn2_saveexec_b64 s[12:13], s[12:13]
	s_cbranch_execz .LBB126_1132
; %bb.1131:
	v_div_scale_f64 v[6:7], s[4:5], v[0:1], v[0:1], v[2:3]
	v_rcp_f64_e32 v[16:17], v[6:7]
	v_div_scale_f64 v[18:19], vcc, v[2:3], v[0:1], v[2:3]
	v_fma_f64 v[20:21], -v[6:7], v[16:17], 1.0
	v_fmac_f64_e32 v[16:17], v[16:17], v[20:21]
	v_fma_f64 v[20:21], -v[6:7], v[16:17], 1.0
	v_fmac_f64_e32 v[16:17], v[16:17], v[20:21]
	v_mul_f64 v[20:21], v[18:19], v[16:17]
	v_fma_f64 v[6:7], -v[6:7], v[20:21], v[18:19]
	v_div_fmas_f64 v[6:7], v[6:7], v[16:17], v[20:21]
	v_div_fixup_f64 v[6:7], v[6:7], v[0:1], v[2:3]
	v_fmac_f64_e32 v[0:1], v[2:3], v[6:7]
	v_div_scale_f64 v[2:3], s[4:5], v[0:1], v[0:1], 1.0
	v_rcp_f64_e32 v[16:17], v[2:3]
	s_nop 0
	v_fma_f64 v[18:19], -v[2:3], v[16:17], 1.0
	v_fmac_f64_e32 v[16:17], v[16:17], v[18:19]
	v_fma_f64 v[18:19], -v[2:3], v[16:17], 1.0
	v_fmac_f64_e32 v[16:17], v[16:17], v[18:19]
	v_div_scale_f64 v[18:19], vcc, 1.0, v[0:1], 1.0
	v_mul_f64 v[20:21], v[18:19], v[16:17]
	v_fma_f64 v[2:3], -v[2:3], v[20:21], v[18:19]
	s_nop 1
	v_div_fmas_f64 v[2:3], v[2:3], v[16:17], v[20:21]
	v_div_fixup_f64 v[0:1], v[2:3], v[0:1], 1.0
	v_mul_f64 v[2:3], v[6:7], -v[0:1]
.LBB126_1132:
	s_or_b64 exec, exec, s[12:13]
.LBB126_1133:
	s_or_b64 exec, exec, s[0:1]
	v_cmp_ne_u32_e32 vcc, v15, v4
	s_and_saveexec_b64 s[0:1], vcc
	s_xor_b64 s[0:1], exec, s[0:1]
	s_cbranch_execz .LBB126_1139
; %bb.1134:
	v_cmp_eq_u32_e32 vcc, 48, v15
	s_and_saveexec_b64 s[12:13], vcc
	s_cbranch_execz .LBB126_1138
; %bb.1135:
	v_cmp_ne_u32_e32 vcc, 48, v4
	s_xor_b64 s[4:5], s[8:9], -1
	s_and_b64 s[4:5], s[4:5], vcc
	s_and_saveexec_b64 s[14:15], s[4:5]
	s_cbranch_execz .LBB126_1137
; %bb.1136:
	v_ashrrev_i32_e32 v5, 31, v4
	v_lshl_add_u64 v[6:7], v[4:5], 2, v[10:11]
	global_load_dword v5, v[6:7], off
	global_load_dword v14, v[10:11], off offset:192
	s_waitcnt vmcnt(1)
	global_store_dword v[10:11], v5, off offset:192
	s_waitcnt vmcnt(1)
	global_store_dword v[6:7], v14, off
.LBB126_1137:
	s_or_b64 exec, exec, s[14:15]
	v_mov_b32_e32 v15, v4
	v_mov_b32_e32 v14, v4
.LBB126_1138:
	s_or_b64 exec, exec, s[12:13]
.LBB126_1139:
	s_andn2_saveexec_b64 s[0:1], s[0:1]
	s_cbranch_execz .LBB126_1141
; %bb.1140:
	scratch_load_dwordx4 v[4:7], off, s34
	scratch_load_dwordx4 v[16:19], off, s33
	;; [unrolled: 1-line block ×15, first 2 shown]
	v_mov_b32_e32 v15, 48
	s_waitcnt vmcnt(14)
	ds_write2_b64 v12, v[4:5], v[6:7] offset0:98 offset1:99
	s_waitcnt vmcnt(13)
	ds_write2_b64 v12, v[16:17], v[18:19] offset0:100 offset1:101
	s_waitcnt vmcnt(12)
	ds_write2_b64 v12, v[20:21], v[22:23] offset0:102 offset1:103
	s_waitcnt vmcnt(11)
	ds_write2_b64 v12, v[24:25], v[26:27] offset0:104 offset1:105
	s_waitcnt vmcnt(10)
	ds_write2_b64 v12, v[28:29], v[30:31] offset0:106 offset1:107
	s_waitcnt vmcnt(9)
	ds_write2_b64 v12, v[32:33], v[34:35] offset0:108 offset1:109
	s_waitcnt vmcnt(8)
	ds_write2_b64 v12, v[36:37], v[38:39] offset0:110 offset1:111
	s_waitcnt vmcnt(7)
	ds_write2_b64 v12, v[40:41], v[42:43] offset0:112 offset1:113
	s_waitcnt vmcnt(6)
	ds_write2_b64 v12, v[44:45], v[46:47] offset0:114 offset1:115
	s_waitcnt vmcnt(5)
	ds_write2_b64 v12, v[48:49], v[50:51] offset0:116 offset1:117
	s_waitcnt vmcnt(4)
	ds_write2_b64 v12, v[52:53], v[54:55] offset0:118 offset1:119
	s_waitcnt vmcnt(3)
	ds_write2_b64 v12, v[56:57], v[58:59] offset0:120 offset1:121
	s_waitcnt vmcnt(2)
	ds_write2_b64 v12, v[60:61], v[62:63] offset0:122 offset1:123
	s_waitcnt vmcnt(1)
	ds_write2_b64 v12, v[64:65], v[66:67] offset0:124 offset1:125
	s_waitcnt vmcnt(0)
	ds_write2_b64 v12, v[68:69], v[70:71] offset0:126 offset1:127
.LBB126_1141:
	s_or_b64 exec, exec, s[0:1]
	v_cmp_lt_i32_e32 vcc, 48, v15
	s_waitcnt lgkmcnt(0)
	s_barrier
	s_and_saveexec_b64 s[0:1], vcc
	s_cbranch_execz .LBB126_1143
; %bb.1142:
	scratch_load_dwordx4 v[4:7], off, off offset:768
	s_waitcnt vmcnt(0)
	v_mul_f64 v[16:17], v[2:3], v[6:7]
	v_mul_f64 v[18:19], v[0:1], v[6:7]
	v_fma_f64 v[16:17], v[0:1], v[4:5], -v[16:17]
	v_fmac_f64_e32 v[18:19], v[2:3], v[4:5]
	ds_read2_b64 v[0:3], v12 offset0:98 offset1:99
	scratch_store_dwordx4 off, v[16:19], off offset:768
	s_waitcnt lgkmcnt(0)
	v_mul_f64 v[4:5], v[2:3], v[18:19]
	v_mul_f64 v[6:7], v[0:1], v[18:19]
	v_fma_f64 v[4:5], v[0:1], v[16:17], -v[4:5]
	v_fmac_f64_e32 v[6:7], v[2:3], v[16:17]
	scratch_load_dwordx4 v[0:3], off, off offset:784
	s_waitcnt vmcnt(0)
	v_add_f64 v[0:1], v[0:1], -v[4:5]
	v_add_f64 v[2:3], v[2:3], -v[6:7]
	scratch_store_dwordx4 off, v[0:3], off offset:784
	ds_read2_b64 v[0:3], v12 offset0:100 offset1:101
	s_waitcnt lgkmcnt(0)
	v_mul_f64 v[4:5], v[2:3], v[18:19]
	v_mul_f64 v[6:7], v[0:1], v[18:19]
	v_fma_f64 v[4:5], v[0:1], v[16:17], -v[4:5]
	v_fmac_f64_e32 v[6:7], v[2:3], v[16:17]
	scratch_load_dwordx4 v[0:3], off, off offset:800
	s_waitcnt vmcnt(0)
	v_add_f64 v[0:1], v[0:1], -v[4:5]
	v_add_f64 v[2:3], v[2:3], -v[6:7]
	scratch_store_dwordx4 off, v[0:3], off offset:800
	ds_read2_b64 v[0:3], v12 offset0:102 offset1:103
	;; [unrolled: 11-line block ×6, first 2 shown]
	scratch_load_dwordx2 v[16:17], off, off offset:768
	scratch_load_dwordx4 v[0:3], off, off offset:768
	s_waitcnt vmcnt(0) lgkmcnt(0)
	v_mul_f64 v[18:19], v[6:7], v[2:3]
	v_mul_f64 v[20:21], v[4:5], v[2:3]
	v_fma_f64 v[18:19], v[4:5], v[16:17], -v[18:19]
	v_fmac_f64_e32 v[20:21], v[6:7], v[16:17]
	scratch_load_dwordx4 v[4:7], off, off offset:880
	s_waitcnt vmcnt(0)
	v_add_f64 v[4:5], v[4:5], -v[18:19]
	v_add_f64 v[6:7], v[6:7], -v[20:21]
	scratch_store_dwordx4 off, v[4:7], off offset:880
	ds_read2_b64 v[4:7], v12 offset0:112 offset1:113
	s_waitcnt lgkmcnt(0)
	v_mul_f64 v[18:19], v[6:7], v[2:3]
	v_mul_f64 v[20:21], v[4:5], v[2:3]
	v_fma_f64 v[18:19], v[4:5], v[16:17], -v[18:19]
	v_fmac_f64_e32 v[20:21], v[6:7], v[16:17]
	scratch_load_dwordx4 v[4:7], off, off offset:896
	s_waitcnt vmcnt(0)
	v_add_f64 v[4:5], v[4:5], -v[18:19]
	v_add_f64 v[6:7], v[6:7], -v[20:21]
	scratch_store_dwordx4 off, v[4:7], off offset:896
	ds_read2_b64 v[4:7], v12 offset0:114 offset1:115
	s_waitcnt lgkmcnt(0)
	;; [unrolled: 11-line block ×5, first 2 shown]
	v_mul_f64 v[18:19], v[6:7], v[2:3]
	v_fma_f64 v[18:19], v[4:5], v[16:17], -v[18:19]
	v_mul_f64 v[20:21], v[4:5], v[2:3]
	scratch_load_dwordx4 v[2:5], off, off offset:960
	v_fmac_f64_e32 v[20:21], v[6:7], v[16:17]
	scratch_load_dwordx2 v[6:7], off, off offset:776
	s_waitcnt vmcnt(1)
	v_add_f64 v[2:3], v[2:3], -v[18:19]
	v_add_f64 v[4:5], v[4:5], -v[20:21]
	scratch_store_dwordx4 off, v[2:5], off offset:960
	ds_read2_b64 v[2:5], v12 offset0:122 offset1:123
	s_waitcnt vmcnt(1) lgkmcnt(0)
	v_mul_f64 v[16:17], v[4:5], v[6:7]
	v_mul_f64 v[18:19], v[2:3], v[6:7]
	v_fma_f64 v[16:17], v[2:3], v[0:1], -v[16:17]
	v_fmac_f64_e32 v[18:19], v[4:5], v[0:1]
	scratch_load_dwordx4 v[2:5], off, off offset:976
	s_waitcnt vmcnt(0)
	v_add_f64 v[2:3], v[2:3], -v[16:17]
	v_add_f64 v[4:5], v[4:5], -v[18:19]
	scratch_store_dwordx4 off, v[2:5], off offset:976
	ds_read2_b64 v[2:5], v12 offset0:124 offset1:125
	s_waitcnt lgkmcnt(0)
	v_mul_f64 v[16:17], v[4:5], v[6:7]
	v_mul_f64 v[18:19], v[2:3], v[6:7]
	v_fma_f64 v[16:17], v[2:3], v[0:1], -v[16:17]
	v_fmac_f64_e32 v[18:19], v[4:5], v[0:1]
	scratch_load_dwordx4 v[2:5], off, off offset:992
	s_waitcnt vmcnt(0)
	v_add_f64 v[2:3], v[2:3], -v[16:17]
	v_add_f64 v[4:5], v[4:5], -v[18:19]
	scratch_store_dwordx4 off, v[2:5], off offset:992
	ds_read2_b64 v[2:5], v12 offset0:126 offset1:127
	s_waitcnt lgkmcnt(0)
	v_mul_f64 v[16:17], v[4:5], v[6:7]
	v_mul_f64 v[6:7], v[2:3], v[6:7]
	v_fma_f64 v[16:17], v[2:3], v[0:1], -v[16:17]
	v_fmac_f64_e32 v[6:7], v[4:5], v[0:1]
	scratch_load_dwordx4 v[0:3], off, off offset:1008
	s_waitcnt vmcnt(0)
	v_add_f64 v[0:1], v[0:1], -v[16:17]
	v_add_f64 v[2:3], v[2:3], -v[6:7]
	scratch_store_dwordx4 off, v[0:3], off offset:1008
.LBB126_1143:
	s_or_b64 exec, exec, s[0:1]
	s_barrier
	scratch_load_dwordx4 v[0:3], off, s34
	v_lshl_add_u32 v4, v15, 4, v12
	s_cmp_lt_i32 s67, 51
	s_waitcnt vmcnt(0)
	ds_write2_b64 v4, v[0:1], v[2:3] offset1:1
	s_waitcnt lgkmcnt(0)
	s_barrier
	ds_read2_b64 v[0:3], v12 offset0:98 offset1:99
	v_mov_b32_e32 v4, 49
	s_cbranch_scc1 .LBB126_1146
; %bb.1144:
	v_add_u32_e32 v5, 0x320, v12
	s_mov_b32 s4, 50
	v_mov_b32_e32 v4, 49
.LBB126_1145:                           ; =>This Inner Loop Header: Depth=1
	ds_read2_b64 v[16:19], v5 offset1:1
	s_waitcnt lgkmcnt(1)
	v_xor_b32_e32 v7, 0x80000000, v1
	v_xor_b32_e32 v21, 0x80000000, v3
	v_cmp_gt_f64_e32 vcc, 0, v[2:3]
	v_cmp_gt_f64_e64 s[0:1], 0, v[0:1]
	v_mov_b32_e32 v6, v0
	v_mov_b32_e32 v20, v2
	v_cndmask_b32_e64 v7, v1, v7, s[0:1]
	v_cndmask_b32_e32 v21, v3, v21, vcc
	v_add_f64 v[6:7], v[6:7], v[20:21]
	s_waitcnt lgkmcnt(0)
	v_xor_b32_e32 v21, 0x80000000, v17
	v_xor_b32_e32 v23, 0x80000000, v19
	v_cmp_gt_f64_e32 vcc, 0, v[18:19]
	v_cmp_gt_f64_e64 s[0:1], 0, v[16:17]
	v_mov_b32_e32 v20, v16
	v_mov_b32_e32 v22, v18
	v_cndmask_b32_e64 v21, v17, v21, s[0:1]
	v_cndmask_b32_e32 v23, v19, v23, vcc
	v_add_f64 v[20:21], v[20:21], v[22:23]
	v_mov_b32_e32 v24, s4
	s_add_i32 s4, s4, 1
	v_cmp_lt_f64_e32 vcc, v[6:7], v[20:21]
	v_add_u32_e32 v5, 16, v5
	s_cmp_lg_u32 s67, s4
	v_cndmask_b32_e32 v1, v1, v17, vcc
	v_cndmask_b32_e32 v0, v0, v16, vcc
	;; [unrolled: 1-line block ×5, first 2 shown]
	s_cbranch_scc1 .LBB126_1145
.LBB126_1146:
	s_waitcnt lgkmcnt(0)
	v_cmp_eq_f64_e32 vcc, 0, v[0:1]
	v_cmp_eq_f64_e64 s[0:1], 0, v[2:3]
	s_and_b64 s[0:1], vcc, s[0:1]
	s_and_saveexec_b64 s[4:5], s[0:1]
	s_xor_b64 s[0:1], exec, s[4:5]
; %bb.1147:
	v_cmp_ne_u32_e32 vcc, 0, v13
	s_nop 1
	v_cndmask_b32_e32 v13, 50, v13, vcc
; %bb.1148:
	s_andn2_saveexec_b64 s[0:1], s[0:1]
	s_cbranch_execz .LBB126_1154
; %bb.1149:
	v_cmp_ngt_f64_e64 s[4:5], |v[0:1]|, |v[2:3]|
	s_and_saveexec_b64 s[12:13], s[4:5]
	s_xor_b64 s[12:13], exec, s[12:13]
	s_cbranch_execz .LBB126_1151
; %bb.1150:
	v_div_scale_f64 v[6:7], s[4:5], v[2:3], v[2:3], v[0:1]
	v_rcp_f64_e32 v[16:17], v[6:7]
	v_div_scale_f64 v[18:19], vcc, v[0:1], v[2:3], v[0:1]
	v_fma_f64 v[20:21], -v[6:7], v[16:17], 1.0
	v_fmac_f64_e32 v[16:17], v[16:17], v[20:21]
	v_fma_f64 v[20:21], -v[6:7], v[16:17], 1.0
	v_fmac_f64_e32 v[16:17], v[16:17], v[20:21]
	v_mul_f64 v[20:21], v[18:19], v[16:17]
	v_fma_f64 v[6:7], -v[6:7], v[20:21], v[18:19]
	v_div_fmas_f64 v[6:7], v[6:7], v[16:17], v[20:21]
	v_div_fixup_f64 v[6:7], v[6:7], v[2:3], v[0:1]
	v_fmac_f64_e32 v[2:3], v[0:1], v[6:7]
	v_div_scale_f64 v[0:1], s[4:5], v[2:3], v[2:3], 1.0
	v_rcp_f64_e32 v[16:17], v[0:1]
	s_nop 0
	v_fma_f64 v[18:19], -v[0:1], v[16:17], 1.0
	v_fmac_f64_e32 v[16:17], v[16:17], v[18:19]
	v_fma_f64 v[18:19], -v[0:1], v[16:17], 1.0
	v_fmac_f64_e32 v[16:17], v[16:17], v[18:19]
	v_div_scale_f64 v[18:19], vcc, 1.0, v[2:3], 1.0
	v_mul_f64 v[20:21], v[18:19], v[16:17]
	v_fma_f64 v[0:1], -v[0:1], v[20:21], v[18:19]
	s_nop 1
	v_div_fmas_f64 v[0:1], v[0:1], v[16:17], v[20:21]
	v_div_fixup_f64 v[2:3], v[0:1], v[2:3], 1.0
	v_mul_f64 v[0:1], v[6:7], v[2:3]
	v_xor_b32_e32 v3, 0x80000000, v3
.LBB126_1151:
	s_andn2_saveexec_b64 s[12:13], s[12:13]
	s_cbranch_execz .LBB126_1153
; %bb.1152:
	v_div_scale_f64 v[6:7], s[4:5], v[0:1], v[0:1], v[2:3]
	v_rcp_f64_e32 v[16:17], v[6:7]
	v_div_scale_f64 v[18:19], vcc, v[2:3], v[0:1], v[2:3]
	v_fma_f64 v[20:21], -v[6:7], v[16:17], 1.0
	v_fmac_f64_e32 v[16:17], v[16:17], v[20:21]
	v_fma_f64 v[20:21], -v[6:7], v[16:17], 1.0
	v_fmac_f64_e32 v[16:17], v[16:17], v[20:21]
	v_mul_f64 v[20:21], v[18:19], v[16:17]
	v_fma_f64 v[6:7], -v[6:7], v[20:21], v[18:19]
	v_div_fmas_f64 v[6:7], v[6:7], v[16:17], v[20:21]
	v_div_fixup_f64 v[6:7], v[6:7], v[0:1], v[2:3]
	v_fmac_f64_e32 v[0:1], v[2:3], v[6:7]
	v_div_scale_f64 v[2:3], s[4:5], v[0:1], v[0:1], 1.0
	v_rcp_f64_e32 v[16:17], v[2:3]
	s_nop 0
	v_fma_f64 v[18:19], -v[2:3], v[16:17], 1.0
	v_fmac_f64_e32 v[16:17], v[16:17], v[18:19]
	v_fma_f64 v[18:19], -v[2:3], v[16:17], 1.0
	v_fmac_f64_e32 v[16:17], v[16:17], v[18:19]
	v_div_scale_f64 v[18:19], vcc, 1.0, v[0:1], 1.0
	v_mul_f64 v[20:21], v[18:19], v[16:17]
	v_fma_f64 v[2:3], -v[2:3], v[20:21], v[18:19]
	s_nop 1
	v_div_fmas_f64 v[2:3], v[2:3], v[16:17], v[20:21]
	v_div_fixup_f64 v[0:1], v[2:3], v[0:1], 1.0
	v_mul_f64 v[2:3], v[6:7], -v[0:1]
.LBB126_1153:
	s_or_b64 exec, exec, s[12:13]
.LBB126_1154:
	s_or_b64 exec, exec, s[0:1]
	v_cmp_ne_u32_e32 vcc, v15, v4
	s_and_saveexec_b64 s[0:1], vcc
	s_xor_b64 s[0:1], exec, s[0:1]
	s_cbranch_execz .LBB126_1160
; %bb.1155:
	v_cmp_eq_u32_e32 vcc, 49, v15
	s_and_saveexec_b64 s[12:13], vcc
	s_cbranch_execz .LBB126_1159
; %bb.1156:
	v_cmp_ne_u32_e32 vcc, 49, v4
	s_xor_b64 s[4:5], s[8:9], -1
	s_and_b64 s[4:5], s[4:5], vcc
	s_and_saveexec_b64 s[14:15], s[4:5]
	s_cbranch_execz .LBB126_1158
; %bb.1157:
	v_ashrrev_i32_e32 v5, 31, v4
	v_lshl_add_u64 v[6:7], v[4:5], 2, v[10:11]
	global_load_dword v5, v[6:7], off
	global_load_dword v14, v[10:11], off offset:196
	s_waitcnt vmcnt(1)
	global_store_dword v[10:11], v5, off offset:196
	s_waitcnt vmcnt(1)
	global_store_dword v[6:7], v14, off
.LBB126_1158:
	s_or_b64 exec, exec, s[14:15]
	v_mov_b32_e32 v15, v4
	v_mov_b32_e32 v14, v4
.LBB126_1159:
	s_or_b64 exec, exec, s[12:13]
.LBB126_1160:
	s_andn2_saveexec_b64 s[0:1], s[0:1]
	s_cbranch_execz .LBB126_1162
; %bb.1161:
	scratch_load_dwordx4 v[4:7], off, s33
	scratch_load_dwordx4 v[16:19], off, s31
	;; [unrolled: 1-line block ×14, first 2 shown]
	v_mov_b32_e32 v15, 49
	s_waitcnt vmcnt(13)
	ds_write2_b64 v12, v[4:5], v[6:7] offset0:100 offset1:101
	s_waitcnt vmcnt(12)
	ds_write2_b64 v12, v[16:17], v[18:19] offset0:102 offset1:103
	;; [unrolled: 2-line block ×14, first 2 shown]
.LBB126_1162:
	s_or_b64 exec, exec, s[0:1]
	v_cmp_lt_i32_e32 vcc, 49, v15
	s_waitcnt lgkmcnt(0)
	s_barrier
	s_and_saveexec_b64 s[0:1], vcc
	s_cbranch_execz .LBB126_1164
; %bb.1163:
	scratch_load_dwordx4 v[4:7], off, off offset:784
	s_waitcnt vmcnt(0)
	v_mul_f64 v[16:17], v[2:3], v[6:7]
	v_mul_f64 v[18:19], v[0:1], v[6:7]
	v_fma_f64 v[16:17], v[0:1], v[4:5], -v[16:17]
	v_fmac_f64_e32 v[18:19], v[2:3], v[4:5]
	ds_read2_b64 v[0:3], v12 offset0:100 offset1:101
	scratch_store_dwordx4 off, v[16:19], off offset:784
	s_waitcnt lgkmcnt(0)
	v_mul_f64 v[4:5], v[2:3], v[18:19]
	v_mul_f64 v[6:7], v[0:1], v[18:19]
	v_fma_f64 v[4:5], v[0:1], v[16:17], -v[4:5]
	v_fmac_f64_e32 v[6:7], v[2:3], v[16:17]
	scratch_load_dwordx4 v[0:3], off, off offset:800
	s_waitcnt vmcnt(0)
	v_add_f64 v[0:1], v[0:1], -v[4:5]
	v_add_f64 v[2:3], v[2:3], -v[6:7]
	scratch_store_dwordx4 off, v[0:3], off offset:800
	ds_read2_b64 v[0:3], v12 offset0:102 offset1:103
	s_waitcnt lgkmcnt(0)
	v_mul_f64 v[4:5], v[2:3], v[18:19]
	v_mul_f64 v[6:7], v[0:1], v[18:19]
	v_fma_f64 v[4:5], v[0:1], v[16:17], -v[4:5]
	v_fmac_f64_e32 v[6:7], v[2:3], v[16:17]
	scratch_load_dwordx4 v[0:3], off, off offset:816
	s_waitcnt vmcnt(0)
	v_add_f64 v[0:1], v[0:1], -v[4:5]
	v_add_f64 v[2:3], v[2:3], -v[6:7]
	scratch_store_dwordx4 off, v[0:3], off offset:816
	ds_read2_b64 v[0:3], v12 offset0:104 offset1:105
	;; [unrolled: 11-line block ×6, first 2 shown]
	scratch_load_dwordx2 v[16:17], off, off offset:784
	scratch_load_dwordx4 v[0:3], off, off offset:784
	s_waitcnt vmcnt(0) lgkmcnt(0)
	v_mul_f64 v[18:19], v[6:7], v[2:3]
	v_mul_f64 v[20:21], v[4:5], v[2:3]
	v_fma_f64 v[18:19], v[4:5], v[16:17], -v[18:19]
	v_fmac_f64_e32 v[20:21], v[6:7], v[16:17]
	scratch_load_dwordx4 v[4:7], off, off offset:896
	s_waitcnt vmcnt(0)
	v_add_f64 v[4:5], v[4:5], -v[18:19]
	v_add_f64 v[6:7], v[6:7], -v[20:21]
	scratch_store_dwordx4 off, v[4:7], off offset:896
	ds_read2_b64 v[4:7], v12 offset0:114 offset1:115
	s_waitcnt lgkmcnt(0)
	v_mul_f64 v[18:19], v[6:7], v[2:3]
	v_mul_f64 v[20:21], v[4:5], v[2:3]
	v_fma_f64 v[18:19], v[4:5], v[16:17], -v[18:19]
	v_fmac_f64_e32 v[20:21], v[6:7], v[16:17]
	scratch_load_dwordx4 v[4:7], off, off offset:912
	s_waitcnt vmcnt(0)
	v_add_f64 v[4:5], v[4:5], -v[18:19]
	v_add_f64 v[6:7], v[6:7], -v[20:21]
	scratch_store_dwordx4 off, v[4:7], off offset:912
	ds_read2_b64 v[4:7], v12 offset0:116 offset1:117
	s_waitcnt lgkmcnt(0)
	;; [unrolled: 11-line block ×5, first 2 shown]
	v_mul_f64 v[18:19], v[6:7], v[2:3]
	v_fma_f64 v[18:19], v[4:5], v[16:17], -v[18:19]
	v_mul_f64 v[20:21], v[4:5], v[2:3]
	scratch_load_dwordx4 v[2:5], off, off offset:976
	v_fmac_f64_e32 v[20:21], v[6:7], v[16:17]
	scratch_load_dwordx2 v[6:7], off, off offset:792
	s_waitcnt vmcnt(1)
	v_add_f64 v[2:3], v[2:3], -v[18:19]
	v_add_f64 v[4:5], v[4:5], -v[20:21]
	scratch_store_dwordx4 off, v[2:5], off offset:976
	ds_read2_b64 v[2:5], v12 offset0:124 offset1:125
	s_waitcnt vmcnt(1) lgkmcnt(0)
	v_mul_f64 v[16:17], v[4:5], v[6:7]
	v_mul_f64 v[18:19], v[2:3], v[6:7]
	v_fma_f64 v[16:17], v[2:3], v[0:1], -v[16:17]
	v_fmac_f64_e32 v[18:19], v[4:5], v[0:1]
	scratch_load_dwordx4 v[2:5], off, off offset:992
	s_waitcnt vmcnt(0)
	v_add_f64 v[2:3], v[2:3], -v[16:17]
	v_add_f64 v[4:5], v[4:5], -v[18:19]
	scratch_store_dwordx4 off, v[2:5], off offset:992
	ds_read2_b64 v[2:5], v12 offset0:126 offset1:127
	s_waitcnt lgkmcnt(0)
	v_mul_f64 v[16:17], v[4:5], v[6:7]
	v_mul_f64 v[6:7], v[2:3], v[6:7]
	v_fma_f64 v[16:17], v[2:3], v[0:1], -v[16:17]
	v_fmac_f64_e32 v[6:7], v[4:5], v[0:1]
	scratch_load_dwordx4 v[0:3], off, off offset:1008
	s_waitcnt vmcnt(0)
	v_add_f64 v[0:1], v[0:1], -v[16:17]
	v_add_f64 v[2:3], v[2:3], -v[6:7]
	scratch_store_dwordx4 off, v[0:3], off offset:1008
.LBB126_1164:
	s_or_b64 exec, exec, s[0:1]
	s_barrier
	scratch_load_dwordx4 v[0:3], off, s33
	v_lshl_add_u32 v4, v15, 4, v12
	s_cmp_lt_i32 s67, 52
	s_waitcnt vmcnt(0)
	ds_write2_b64 v4, v[0:1], v[2:3] offset1:1
	s_waitcnt lgkmcnt(0)
	s_barrier
	ds_read2_b64 v[0:3], v12 offset0:100 offset1:101
	v_mov_b32_e32 v4, 50
	s_cbranch_scc1 .LBB126_1167
; %bb.1165:
	v_add_u32_e32 v5, 0x330, v12
	s_mov_b32 s4, 51
	v_mov_b32_e32 v4, 50
.LBB126_1166:                           ; =>This Inner Loop Header: Depth=1
	ds_read2_b64 v[16:19], v5 offset1:1
	s_waitcnt lgkmcnt(1)
	v_xor_b32_e32 v7, 0x80000000, v1
	v_xor_b32_e32 v21, 0x80000000, v3
	v_cmp_gt_f64_e32 vcc, 0, v[2:3]
	v_cmp_gt_f64_e64 s[0:1], 0, v[0:1]
	v_mov_b32_e32 v6, v0
	v_mov_b32_e32 v20, v2
	v_cndmask_b32_e64 v7, v1, v7, s[0:1]
	v_cndmask_b32_e32 v21, v3, v21, vcc
	v_add_f64 v[6:7], v[6:7], v[20:21]
	s_waitcnt lgkmcnt(0)
	v_xor_b32_e32 v21, 0x80000000, v17
	v_xor_b32_e32 v23, 0x80000000, v19
	v_cmp_gt_f64_e32 vcc, 0, v[18:19]
	v_cmp_gt_f64_e64 s[0:1], 0, v[16:17]
	v_mov_b32_e32 v20, v16
	v_mov_b32_e32 v22, v18
	v_cndmask_b32_e64 v21, v17, v21, s[0:1]
	v_cndmask_b32_e32 v23, v19, v23, vcc
	v_add_f64 v[20:21], v[20:21], v[22:23]
	v_mov_b32_e32 v24, s4
	s_add_i32 s4, s4, 1
	v_cmp_lt_f64_e32 vcc, v[6:7], v[20:21]
	v_add_u32_e32 v5, 16, v5
	s_cmp_lg_u32 s67, s4
	v_cndmask_b32_e32 v1, v1, v17, vcc
	v_cndmask_b32_e32 v0, v0, v16, vcc
	;; [unrolled: 1-line block ×5, first 2 shown]
	s_cbranch_scc1 .LBB126_1166
.LBB126_1167:
	s_waitcnt lgkmcnt(0)
	v_cmp_eq_f64_e32 vcc, 0, v[0:1]
	v_cmp_eq_f64_e64 s[0:1], 0, v[2:3]
	s_and_b64 s[0:1], vcc, s[0:1]
	s_and_saveexec_b64 s[4:5], s[0:1]
	s_xor_b64 s[0:1], exec, s[4:5]
; %bb.1168:
	v_cmp_ne_u32_e32 vcc, 0, v13
	s_nop 1
	v_cndmask_b32_e32 v13, 51, v13, vcc
; %bb.1169:
	s_andn2_saveexec_b64 s[0:1], s[0:1]
	s_cbranch_execz .LBB126_1175
; %bb.1170:
	v_cmp_ngt_f64_e64 s[4:5], |v[0:1]|, |v[2:3]|
	s_and_saveexec_b64 s[12:13], s[4:5]
	s_xor_b64 s[12:13], exec, s[12:13]
	s_cbranch_execz .LBB126_1172
; %bb.1171:
	v_div_scale_f64 v[6:7], s[4:5], v[2:3], v[2:3], v[0:1]
	v_rcp_f64_e32 v[16:17], v[6:7]
	v_div_scale_f64 v[18:19], vcc, v[0:1], v[2:3], v[0:1]
	v_fma_f64 v[20:21], -v[6:7], v[16:17], 1.0
	v_fmac_f64_e32 v[16:17], v[16:17], v[20:21]
	v_fma_f64 v[20:21], -v[6:7], v[16:17], 1.0
	v_fmac_f64_e32 v[16:17], v[16:17], v[20:21]
	v_mul_f64 v[20:21], v[18:19], v[16:17]
	v_fma_f64 v[6:7], -v[6:7], v[20:21], v[18:19]
	v_div_fmas_f64 v[6:7], v[6:7], v[16:17], v[20:21]
	v_div_fixup_f64 v[6:7], v[6:7], v[2:3], v[0:1]
	v_fmac_f64_e32 v[2:3], v[0:1], v[6:7]
	v_div_scale_f64 v[0:1], s[4:5], v[2:3], v[2:3], 1.0
	v_rcp_f64_e32 v[16:17], v[0:1]
	s_nop 0
	v_fma_f64 v[18:19], -v[0:1], v[16:17], 1.0
	v_fmac_f64_e32 v[16:17], v[16:17], v[18:19]
	v_fma_f64 v[18:19], -v[0:1], v[16:17], 1.0
	v_fmac_f64_e32 v[16:17], v[16:17], v[18:19]
	v_div_scale_f64 v[18:19], vcc, 1.0, v[2:3], 1.0
	v_mul_f64 v[20:21], v[18:19], v[16:17]
	v_fma_f64 v[0:1], -v[0:1], v[20:21], v[18:19]
	s_nop 1
	v_div_fmas_f64 v[0:1], v[0:1], v[16:17], v[20:21]
	v_div_fixup_f64 v[2:3], v[0:1], v[2:3], 1.0
	v_mul_f64 v[0:1], v[6:7], v[2:3]
	v_xor_b32_e32 v3, 0x80000000, v3
.LBB126_1172:
	s_andn2_saveexec_b64 s[12:13], s[12:13]
	s_cbranch_execz .LBB126_1174
; %bb.1173:
	v_div_scale_f64 v[6:7], s[4:5], v[0:1], v[0:1], v[2:3]
	v_rcp_f64_e32 v[16:17], v[6:7]
	v_div_scale_f64 v[18:19], vcc, v[2:3], v[0:1], v[2:3]
	v_fma_f64 v[20:21], -v[6:7], v[16:17], 1.0
	v_fmac_f64_e32 v[16:17], v[16:17], v[20:21]
	v_fma_f64 v[20:21], -v[6:7], v[16:17], 1.0
	v_fmac_f64_e32 v[16:17], v[16:17], v[20:21]
	v_mul_f64 v[20:21], v[18:19], v[16:17]
	v_fma_f64 v[6:7], -v[6:7], v[20:21], v[18:19]
	v_div_fmas_f64 v[6:7], v[6:7], v[16:17], v[20:21]
	v_div_fixup_f64 v[6:7], v[6:7], v[0:1], v[2:3]
	v_fmac_f64_e32 v[0:1], v[2:3], v[6:7]
	v_div_scale_f64 v[2:3], s[4:5], v[0:1], v[0:1], 1.0
	v_rcp_f64_e32 v[16:17], v[2:3]
	s_nop 0
	v_fma_f64 v[18:19], -v[2:3], v[16:17], 1.0
	v_fmac_f64_e32 v[16:17], v[16:17], v[18:19]
	v_fma_f64 v[18:19], -v[2:3], v[16:17], 1.0
	v_fmac_f64_e32 v[16:17], v[16:17], v[18:19]
	v_div_scale_f64 v[18:19], vcc, 1.0, v[0:1], 1.0
	v_mul_f64 v[20:21], v[18:19], v[16:17]
	v_fma_f64 v[2:3], -v[2:3], v[20:21], v[18:19]
	s_nop 1
	v_div_fmas_f64 v[2:3], v[2:3], v[16:17], v[20:21]
	v_div_fixup_f64 v[0:1], v[2:3], v[0:1], 1.0
	v_mul_f64 v[2:3], v[6:7], -v[0:1]
.LBB126_1174:
	s_or_b64 exec, exec, s[12:13]
.LBB126_1175:
	s_or_b64 exec, exec, s[0:1]
	v_cmp_ne_u32_e32 vcc, v15, v4
	s_and_saveexec_b64 s[0:1], vcc
	s_xor_b64 s[0:1], exec, s[0:1]
	s_cbranch_execz .LBB126_1181
; %bb.1176:
	v_cmp_eq_u32_e32 vcc, 50, v15
	s_and_saveexec_b64 s[12:13], vcc
	s_cbranch_execz .LBB126_1180
; %bb.1177:
	v_cmp_ne_u32_e32 vcc, 50, v4
	s_xor_b64 s[4:5], s[8:9], -1
	s_and_b64 s[4:5], s[4:5], vcc
	s_and_saveexec_b64 s[14:15], s[4:5]
	s_cbranch_execz .LBB126_1179
; %bb.1178:
	v_ashrrev_i32_e32 v5, 31, v4
	v_lshl_add_u64 v[6:7], v[4:5], 2, v[10:11]
	global_load_dword v5, v[6:7], off
	global_load_dword v14, v[10:11], off offset:200
	s_waitcnt vmcnt(1)
	global_store_dword v[10:11], v5, off offset:200
	s_waitcnt vmcnt(1)
	global_store_dword v[6:7], v14, off
.LBB126_1179:
	s_or_b64 exec, exec, s[14:15]
	v_mov_b32_e32 v15, v4
	v_mov_b32_e32 v14, v4
.LBB126_1180:
	s_or_b64 exec, exec, s[12:13]
.LBB126_1181:
	s_andn2_saveexec_b64 s[0:1], s[0:1]
	s_cbranch_execz .LBB126_1183
; %bb.1182:
	scratch_load_dwordx4 v[4:7], off, s31
	scratch_load_dwordx4 v[16:19], off, s30
	;; [unrolled: 1-line block ×13, first 2 shown]
	v_mov_b32_e32 v15, 50
	s_waitcnt vmcnt(12)
	ds_write2_b64 v12, v[4:5], v[6:7] offset0:102 offset1:103
	s_waitcnt vmcnt(11)
	ds_write2_b64 v12, v[16:17], v[18:19] offset0:104 offset1:105
	;; [unrolled: 2-line block ×13, first 2 shown]
.LBB126_1183:
	s_or_b64 exec, exec, s[0:1]
	v_cmp_lt_i32_e32 vcc, 50, v15
	s_waitcnt lgkmcnt(0)
	s_barrier
	s_and_saveexec_b64 s[0:1], vcc
	s_cbranch_execz .LBB126_1185
; %bb.1184:
	scratch_load_dwordx4 v[4:7], off, off offset:800
	s_waitcnt vmcnt(0)
	v_mul_f64 v[16:17], v[2:3], v[6:7]
	v_mul_f64 v[18:19], v[0:1], v[6:7]
	v_fma_f64 v[16:17], v[0:1], v[4:5], -v[16:17]
	v_fmac_f64_e32 v[18:19], v[2:3], v[4:5]
	ds_read2_b64 v[0:3], v12 offset0:102 offset1:103
	scratch_store_dwordx4 off, v[16:19], off offset:800
	s_waitcnt lgkmcnt(0)
	v_mul_f64 v[4:5], v[2:3], v[18:19]
	v_mul_f64 v[6:7], v[0:1], v[18:19]
	v_fma_f64 v[4:5], v[0:1], v[16:17], -v[4:5]
	v_fmac_f64_e32 v[6:7], v[2:3], v[16:17]
	scratch_load_dwordx4 v[0:3], off, off offset:816
	s_waitcnt vmcnt(0)
	v_add_f64 v[0:1], v[0:1], -v[4:5]
	v_add_f64 v[2:3], v[2:3], -v[6:7]
	scratch_store_dwordx4 off, v[0:3], off offset:816
	ds_read2_b64 v[0:3], v12 offset0:104 offset1:105
	s_waitcnt lgkmcnt(0)
	v_mul_f64 v[4:5], v[2:3], v[18:19]
	v_mul_f64 v[6:7], v[0:1], v[18:19]
	v_fma_f64 v[4:5], v[0:1], v[16:17], -v[4:5]
	v_fmac_f64_e32 v[6:7], v[2:3], v[16:17]
	scratch_load_dwordx4 v[0:3], off, off offset:832
	s_waitcnt vmcnt(0)
	v_add_f64 v[0:1], v[0:1], -v[4:5]
	v_add_f64 v[2:3], v[2:3], -v[6:7]
	scratch_store_dwordx4 off, v[0:3], off offset:832
	ds_read2_b64 v[0:3], v12 offset0:106 offset1:107
	;; [unrolled: 11-line block ×6, first 2 shown]
	scratch_load_dwordx2 v[16:17], off, off offset:800
	scratch_load_dwordx4 v[4:7], off, off offset:800
	s_waitcnt vmcnt(0) lgkmcnt(0)
	v_mul_f64 v[18:19], v[2:3], v[6:7]
	v_mul_f64 v[20:21], v[0:1], v[6:7]
	v_fma_f64 v[18:19], v[0:1], v[16:17], -v[18:19]
	v_fmac_f64_e32 v[20:21], v[2:3], v[16:17]
	scratch_load_dwordx4 v[0:3], off, off offset:912
	s_waitcnt vmcnt(0)
	v_add_f64 v[0:1], v[0:1], -v[18:19]
	v_add_f64 v[2:3], v[2:3], -v[20:21]
	scratch_store_dwordx4 off, v[0:3], off offset:912
	ds_read2_b64 v[0:3], v12 offset0:116 offset1:117
	s_waitcnt lgkmcnt(0)
	v_mul_f64 v[18:19], v[2:3], v[6:7]
	v_mul_f64 v[20:21], v[0:1], v[6:7]
	v_fma_f64 v[18:19], v[0:1], v[16:17], -v[18:19]
	v_fmac_f64_e32 v[20:21], v[2:3], v[16:17]
	scratch_load_dwordx4 v[0:3], off, off offset:928
	s_waitcnt vmcnt(0)
	v_add_f64 v[0:1], v[0:1], -v[18:19]
	v_add_f64 v[2:3], v[2:3], -v[20:21]
	scratch_store_dwordx4 off, v[0:3], off offset:928
	ds_read2_b64 v[0:3], v12 offset0:118 offset1:119
	s_waitcnt lgkmcnt(0)
	v_mul_f64 v[18:19], v[2:3], v[6:7]
	v_mul_f64 v[20:21], v[0:1], v[6:7]
	v_fma_f64 v[18:19], v[0:1], v[16:17], -v[18:19]
	v_fmac_f64_e32 v[20:21], v[2:3], v[16:17]
	scratch_load_dwordx4 v[0:3], off, off offset:944
	s_waitcnt vmcnt(0)
	v_add_f64 v[0:1], v[0:1], -v[18:19]
	v_add_f64 v[2:3], v[2:3], -v[20:21]
	scratch_store_dwordx4 off, v[0:3], off offset:944
	ds_read2_b64 v[0:3], v12 offset0:120 offset1:121
	s_waitcnt lgkmcnt(0)
	v_mul_f64 v[18:19], v[2:3], v[6:7]
	v_mul_f64 v[20:21], v[0:1], v[6:7]
	v_fma_f64 v[18:19], v[0:1], v[16:17], -v[18:19]
	v_fmac_f64_e32 v[20:21], v[2:3], v[16:17]
	scratch_load_dwordx4 v[0:3], off, off offset:960
	s_waitcnt vmcnt(0)
	v_add_f64 v[0:1], v[0:1], -v[18:19]
	v_add_f64 v[2:3], v[2:3], -v[20:21]
	scratch_store_dwordx4 off, v[0:3], off offset:960
	ds_read2_b64 v[0:3], v12 offset0:122 offset1:123
	s_waitcnt lgkmcnt(0)
	v_mul_f64 v[18:19], v[2:3], v[6:7]
	v_mul_f64 v[20:21], v[0:1], v[6:7]
	v_fma_f64 v[18:19], v[0:1], v[16:17], -v[18:19]
	v_fmac_f64_e32 v[20:21], v[2:3], v[16:17]
	scratch_load_dwordx4 v[0:3], off, off offset:976
	s_waitcnt vmcnt(0)
	v_add_f64 v[0:1], v[0:1], -v[18:19]
	v_add_f64 v[2:3], v[2:3], -v[20:21]
	scratch_store_dwordx4 off, v[0:3], off offset:976
	ds_read2_b64 v[0:3], v12 offset0:124 offset1:125
	s_waitcnt lgkmcnt(0)
	v_mul_f64 v[18:19], v[2:3], v[6:7]
	v_mul_f64 v[6:7], v[0:1], v[6:7]
	v_fma_f64 v[18:19], v[0:1], v[16:17], -v[18:19]
	v_fmac_f64_e32 v[6:7], v[2:3], v[16:17]
	scratch_load_dwordx4 v[0:3], off, off offset:992
	s_waitcnt vmcnt(0)
	v_add_f64 v[2:3], v[2:3], -v[6:7]
	scratch_load_dwordx2 v[6:7], off, off offset:808
	v_add_f64 v[0:1], v[0:1], -v[18:19]
	scratch_store_dwordx4 off, v[0:3], off offset:992
	ds_read2_b64 v[0:3], v12 offset0:126 offset1:127
	s_waitcnt vmcnt(1) lgkmcnt(0)
	v_mul_f64 v[16:17], v[2:3], v[6:7]
	v_mul_f64 v[6:7], v[0:1], v[6:7]
	v_fma_f64 v[16:17], v[0:1], v[4:5], -v[16:17]
	v_fmac_f64_e32 v[6:7], v[2:3], v[4:5]
	scratch_load_dwordx4 v[0:3], off, off offset:1008
	s_waitcnt vmcnt(0)
	v_add_f64 v[0:1], v[0:1], -v[16:17]
	v_add_f64 v[2:3], v[2:3], -v[6:7]
	scratch_store_dwordx4 off, v[0:3], off offset:1008
.LBB126_1185:
	s_or_b64 exec, exec, s[0:1]
	s_barrier
	scratch_load_dwordx4 v[0:3], off, s31
	v_lshl_add_u32 v4, v15, 4, v12
	s_cmp_lt_i32 s67, 53
	s_waitcnt vmcnt(0)
	ds_write2_b64 v4, v[0:1], v[2:3] offset1:1
	s_waitcnt lgkmcnt(0)
	s_barrier
	ds_read2_b64 v[0:3], v12 offset0:102 offset1:103
	v_mov_b32_e32 v4, 51
	s_cbranch_scc1 .LBB126_1188
; %bb.1186:
	v_add_u32_e32 v5, 0x340, v12
	s_mov_b32 s4, 52
	v_mov_b32_e32 v4, 51
.LBB126_1187:                           ; =>This Inner Loop Header: Depth=1
	ds_read2_b64 v[16:19], v5 offset1:1
	s_waitcnt lgkmcnt(1)
	v_xor_b32_e32 v7, 0x80000000, v1
	v_xor_b32_e32 v21, 0x80000000, v3
	v_cmp_gt_f64_e32 vcc, 0, v[2:3]
	v_cmp_gt_f64_e64 s[0:1], 0, v[0:1]
	v_mov_b32_e32 v6, v0
	v_mov_b32_e32 v20, v2
	v_cndmask_b32_e64 v7, v1, v7, s[0:1]
	v_cndmask_b32_e32 v21, v3, v21, vcc
	v_add_f64 v[6:7], v[6:7], v[20:21]
	s_waitcnt lgkmcnt(0)
	v_xor_b32_e32 v21, 0x80000000, v17
	v_xor_b32_e32 v23, 0x80000000, v19
	v_cmp_gt_f64_e32 vcc, 0, v[18:19]
	v_cmp_gt_f64_e64 s[0:1], 0, v[16:17]
	v_mov_b32_e32 v20, v16
	v_mov_b32_e32 v22, v18
	v_cndmask_b32_e64 v21, v17, v21, s[0:1]
	v_cndmask_b32_e32 v23, v19, v23, vcc
	v_add_f64 v[20:21], v[20:21], v[22:23]
	v_mov_b32_e32 v24, s4
	s_add_i32 s4, s4, 1
	v_cmp_lt_f64_e32 vcc, v[6:7], v[20:21]
	v_add_u32_e32 v5, 16, v5
	s_cmp_lg_u32 s67, s4
	v_cndmask_b32_e32 v1, v1, v17, vcc
	v_cndmask_b32_e32 v0, v0, v16, vcc
	;; [unrolled: 1-line block ×5, first 2 shown]
	s_cbranch_scc1 .LBB126_1187
.LBB126_1188:
	s_waitcnt lgkmcnt(0)
	v_cmp_eq_f64_e32 vcc, 0, v[0:1]
	v_cmp_eq_f64_e64 s[0:1], 0, v[2:3]
	s_and_b64 s[0:1], vcc, s[0:1]
	s_and_saveexec_b64 s[4:5], s[0:1]
	s_xor_b64 s[0:1], exec, s[4:5]
; %bb.1189:
	v_cmp_ne_u32_e32 vcc, 0, v13
	s_nop 1
	v_cndmask_b32_e32 v13, 52, v13, vcc
; %bb.1190:
	s_andn2_saveexec_b64 s[0:1], s[0:1]
	s_cbranch_execz .LBB126_1196
; %bb.1191:
	v_cmp_ngt_f64_e64 s[4:5], |v[0:1]|, |v[2:3]|
	s_and_saveexec_b64 s[12:13], s[4:5]
	s_xor_b64 s[12:13], exec, s[12:13]
	s_cbranch_execz .LBB126_1193
; %bb.1192:
	v_div_scale_f64 v[6:7], s[4:5], v[2:3], v[2:3], v[0:1]
	v_rcp_f64_e32 v[16:17], v[6:7]
	v_div_scale_f64 v[18:19], vcc, v[0:1], v[2:3], v[0:1]
	v_fma_f64 v[20:21], -v[6:7], v[16:17], 1.0
	v_fmac_f64_e32 v[16:17], v[16:17], v[20:21]
	v_fma_f64 v[20:21], -v[6:7], v[16:17], 1.0
	v_fmac_f64_e32 v[16:17], v[16:17], v[20:21]
	v_mul_f64 v[20:21], v[18:19], v[16:17]
	v_fma_f64 v[6:7], -v[6:7], v[20:21], v[18:19]
	v_div_fmas_f64 v[6:7], v[6:7], v[16:17], v[20:21]
	v_div_fixup_f64 v[6:7], v[6:7], v[2:3], v[0:1]
	v_fmac_f64_e32 v[2:3], v[0:1], v[6:7]
	v_div_scale_f64 v[0:1], s[4:5], v[2:3], v[2:3], 1.0
	v_rcp_f64_e32 v[16:17], v[0:1]
	s_nop 0
	v_fma_f64 v[18:19], -v[0:1], v[16:17], 1.0
	v_fmac_f64_e32 v[16:17], v[16:17], v[18:19]
	v_fma_f64 v[18:19], -v[0:1], v[16:17], 1.0
	v_fmac_f64_e32 v[16:17], v[16:17], v[18:19]
	v_div_scale_f64 v[18:19], vcc, 1.0, v[2:3], 1.0
	v_mul_f64 v[20:21], v[18:19], v[16:17]
	v_fma_f64 v[0:1], -v[0:1], v[20:21], v[18:19]
	s_nop 1
	v_div_fmas_f64 v[0:1], v[0:1], v[16:17], v[20:21]
	v_div_fixup_f64 v[2:3], v[0:1], v[2:3], 1.0
	v_mul_f64 v[0:1], v[6:7], v[2:3]
	v_xor_b32_e32 v3, 0x80000000, v3
.LBB126_1193:
	s_andn2_saveexec_b64 s[12:13], s[12:13]
	s_cbranch_execz .LBB126_1195
; %bb.1194:
	v_div_scale_f64 v[6:7], s[4:5], v[0:1], v[0:1], v[2:3]
	v_rcp_f64_e32 v[16:17], v[6:7]
	v_div_scale_f64 v[18:19], vcc, v[2:3], v[0:1], v[2:3]
	v_fma_f64 v[20:21], -v[6:7], v[16:17], 1.0
	v_fmac_f64_e32 v[16:17], v[16:17], v[20:21]
	v_fma_f64 v[20:21], -v[6:7], v[16:17], 1.0
	v_fmac_f64_e32 v[16:17], v[16:17], v[20:21]
	v_mul_f64 v[20:21], v[18:19], v[16:17]
	v_fma_f64 v[6:7], -v[6:7], v[20:21], v[18:19]
	v_div_fmas_f64 v[6:7], v[6:7], v[16:17], v[20:21]
	v_div_fixup_f64 v[6:7], v[6:7], v[0:1], v[2:3]
	v_fmac_f64_e32 v[0:1], v[2:3], v[6:7]
	v_div_scale_f64 v[2:3], s[4:5], v[0:1], v[0:1], 1.0
	v_rcp_f64_e32 v[16:17], v[2:3]
	s_nop 0
	v_fma_f64 v[18:19], -v[2:3], v[16:17], 1.0
	v_fmac_f64_e32 v[16:17], v[16:17], v[18:19]
	v_fma_f64 v[18:19], -v[2:3], v[16:17], 1.0
	v_fmac_f64_e32 v[16:17], v[16:17], v[18:19]
	v_div_scale_f64 v[18:19], vcc, 1.0, v[0:1], 1.0
	v_mul_f64 v[20:21], v[18:19], v[16:17]
	v_fma_f64 v[2:3], -v[2:3], v[20:21], v[18:19]
	s_nop 1
	v_div_fmas_f64 v[2:3], v[2:3], v[16:17], v[20:21]
	v_div_fixup_f64 v[0:1], v[2:3], v[0:1], 1.0
	v_mul_f64 v[2:3], v[6:7], -v[0:1]
.LBB126_1195:
	s_or_b64 exec, exec, s[12:13]
.LBB126_1196:
	s_or_b64 exec, exec, s[0:1]
	v_cmp_ne_u32_e32 vcc, v15, v4
	s_and_saveexec_b64 s[0:1], vcc
	s_xor_b64 s[0:1], exec, s[0:1]
	s_cbranch_execz .LBB126_1202
; %bb.1197:
	v_cmp_eq_u32_e32 vcc, 51, v15
	s_and_saveexec_b64 s[12:13], vcc
	s_cbranch_execz .LBB126_1201
; %bb.1198:
	v_cmp_ne_u32_e32 vcc, 51, v4
	s_xor_b64 s[4:5], s[8:9], -1
	s_and_b64 s[4:5], s[4:5], vcc
	s_and_saveexec_b64 s[14:15], s[4:5]
	s_cbranch_execz .LBB126_1200
; %bb.1199:
	v_ashrrev_i32_e32 v5, 31, v4
	v_lshl_add_u64 v[6:7], v[4:5], 2, v[10:11]
	global_load_dword v5, v[6:7], off
	global_load_dword v14, v[10:11], off offset:204
	s_waitcnt vmcnt(1)
	global_store_dword v[10:11], v5, off offset:204
	s_waitcnt vmcnt(1)
	global_store_dword v[6:7], v14, off
.LBB126_1200:
	s_or_b64 exec, exec, s[14:15]
	v_mov_b32_e32 v15, v4
	v_mov_b32_e32 v14, v4
.LBB126_1201:
	s_or_b64 exec, exec, s[12:13]
.LBB126_1202:
	s_andn2_saveexec_b64 s[0:1], s[0:1]
	s_cbranch_execz .LBB126_1204
; %bb.1203:
	scratch_load_dwordx4 v[4:7], off, s30
	scratch_load_dwordx4 v[16:19], off, s29
	;; [unrolled: 1-line block ×12, first 2 shown]
	v_mov_b32_e32 v15, 51
	s_waitcnt vmcnt(11)
	ds_write2_b64 v12, v[4:5], v[6:7] offset0:104 offset1:105
	s_waitcnt vmcnt(10)
	ds_write2_b64 v12, v[16:17], v[18:19] offset0:106 offset1:107
	;; [unrolled: 2-line block ×12, first 2 shown]
.LBB126_1204:
	s_or_b64 exec, exec, s[0:1]
	v_cmp_lt_i32_e32 vcc, 51, v15
	s_waitcnt lgkmcnt(0)
	s_barrier
	s_and_saveexec_b64 s[0:1], vcc
	s_cbranch_execz .LBB126_1206
; %bb.1205:
	scratch_load_dwordx4 v[4:7], off, off offset:816
	s_waitcnt vmcnt(0)
	v_mul_f64 v[16:17], v[2:3], v[6:7]
	v_mul_f64 v[18:19], v[0:1], v[6:7]
	v_fma_f64 v[16:17], v[0:1], v[4:5], -v[16:17]
	v_fmac_f64_e32 v[18:19], v[2:3], v[4:5]
	ds_read2_b64 v[0:3], v12 offset0:104 offset1:105
	scratch_store_dwordx4 off, v[16:19], off offset:816
	s_waitcnt lgkmcnt(0)
	v_mul_f64 v[4:5], v[2:3], v[18:19]
	v_mul_f64 v[6:7], v[0:1], v[18:19]
	v_fma_f64 v[4:5], v[0:1], v[16:17], -v[4:5]
	v_fmac_f64_e32 v[6:7], v[2:3], v[16:17]
	scratch_load_dwordx4 v[0:3], off, off offset:832
	s_waitcnt vmcnt(0)
	v_add_f64 v[0:1], v[0:1], -v[4:5]
	v_add_f64 v[2:3], v[2:3], -v[6:7]
	scratch_store_dwordx4 off, v[0:3], off offset:832
	ds_read2_b64 v[0:3], v12 offset0:106 offset1:107
	s_waitcnt lgkmcnt(0)
	v_mul_f64 v[4:5], v[2:3], v[18:19]
	v_mul_f64 v[6:7], v[0:1], v[18:19]
	v_fma_f64 v[4:5], v[0:1], v[16:17], -v[4:5]
	v_fmac_f64_e32 v[6:7], v[2:3], v[16:17]
	scratch_load_dwordx4 v[0:3], off, off offset:848
	s_waitcnt vmcnt(0)
	v_add_f64 v[0:1], v[0:1], -v[4:5]
	v_add_f64 v[2:3], v[2:3], -v[6:7]
	scratch_store_dwordx4 off, v[0:3], off offset:848
	ds_read2_b64 v[0:3], v12 offset0:108 offset1:109
	;; [unrolled: 11-line block ×5, first 2 shown]
	s_waitcnt lgkmcnt(0)
	v_mul_f64 v[4:5], v[2:3], v[18:19]
	v_mul_f64 v[6:7], v[0:1], v[18:19]
	v_fma_f64 v[4:5], v[0:1], v[16:17], -v[4:5]
	v_fmac_f64_e32 v[6:7], v[2:3], v[16:17]
	scratch_load_dwordx4 v[0:3], off, off offset:912
	s_waitcnt vmcnt(0)
	v_add_f64 v[0:1], v[0:1], -v[4:5]
	v_add_f64 v[2:3], v[2:3], -v[6:7]
	scratch_load_dwordx4 v[4:7], off, off offset:816
	s_nop 0
	scratch_store_dwordx4 off, v[0:3], off offset:912
	ds_read2_b64 v[0:3], v12 offset0:116 offset1:117
	s_waitcnt vmcnt(1) lgkmcnt(0)
	v_mul_f64 v[16:17], v[2:3], v[6:7]
	v_mul_f64 v[18:19], v[0:1], v[6:7]
	v_fma_f64 v[16:17], v[0:1], v[4:5], -v[16:17]
	v_fmac_f64_e32 v[18:19], v[2:3], v[4:5]
	scratch_load_dwordx4 v[0:3], off, off offset:928
	s_waitcnt vmcnt(0)
	v_add_f64 v[0:1], v[0:1], -v[16:17]
	v_add_f64 v[2:3], v[2:3], -v[18:19]
	scratch_store_dwordx4 off, v[0:3], off offset:928
	ds_read2_b64 v[0:3], v12 offset0:118 offset1:119
	s_waitcnt lgkmcnt(0)
	v_mul_f64 v[16:17], v[2:3], v[6:7]
	v_mul_f64 v[18:19], v[0:1], v[6:7]
	v_fma_f64 v[16:17], v[0:1], v[4:5], -v[16:17]
	v_fmac_f64_e32 v[18:19], v[2:3], v[4:5]
	scratch_load_dwordx4 v[0:3], off, off offset:944
	s_waitcnt vmcnt(0)
	v_add_f64 v[0:1], v[0:1], -v[16:17]
	v_add_f64 v[2:3], v[2:3], -v[18:19]
	scratch_store_dwordx4 off, v[0:3], off offset:944
	ds_read2_b64 v[0:3], v12 offset0:120 offset1:121
	s_waitcnt lgkmcnt(0)
	;; [unrolled: 11-line block ×5, first 2 shown]
	v_mul_f64 v[16:17], v[2:3], v[6:7]
	v_mul_f64 v[6:7], v[0:1], v[6:7]
	v_fma_f64 v[16:17], v[0:1], v[4:5], -v[16:17]
	v_fmac_f64_e32 v[6:7], v[2:3], v[4:5]
	scratch_load_dwordx4 v[0:3], off, off offset:1008
	s_waitcnt vmcnt(0)
	v_add_f64 v[0:1], v[0:1], -v[16:17]
	v_add_f64 v[2:3], v[2:3], -v[6:7]
	scratch_store_dwordx4 off, v[0:3], off offset:1008
.LBB126_1206:
	s_or_b64 exec, exec, s[0:1]
	s_barrier
	scratch_load_dwordx4 v[0:3], off, s30
	v_lshl_add_u32 v4, v15, 4, v12
	s_cmp_lt_i32 s67, 54
	s_waitcnt vmcnt(0)
	ds_write2_b64 v4, v[0:1], v[2:3] offset1:1
	s_waitcnt lgkmcnt(0)
	s_barrier
	ds_read2_b64 v[0:3], v12 offset0:104 offset1:105
	v_mov_b32_e32 v4, 52
	s_cbranch_scc1 .LBB126_1209
; %bb.1207:
	v_add_u32_e32 v5, 0x350, v12
	s_mov_b32 s4, 53
	v_mov_b32_e32 v4, 52
.LBB126_1208:                           ; =>This Inner Loop Header: Depth=1
	ds_read2_b64 v[16:19], v5 offset1:1
	s_waitcnt lgkmcnt(1)
	v_xor_b32_e32 v7, 0x80000000, v1
	v_xor_b32_e32 v21, 0x80000000, v3
	v_cmp_gt_f64_e32 vcc, 0, v[2:3]
	v_cmp_gt_f64_e64 s[0:1], 0, v[0:1]
	v_mov_b32_e32 v6, v0
	v_mov_b32_e32 v20, v2
	v_cndmask_b32_e64 v7, v1, v7, s[0:1]
	v_cndmask_b32_e32 v21, v3, v21, vcc
	v_add_f64 v[6:7], v[6:7], v[20:21]
	s_waitcnt lgkmcnt(0)
	v_xor_b32_e32 v21, 0x80000000, v17
	v_xor_b32_e32 v23, 0x80000000, v19
	v_cmp_gt_f64_e32 vcc, 0, v[18:19]
	v_cmp_gt_f64_e64 s[0:1], 0, v[16:17]
	v_mov_b32_e32 v20, v16
	v_mov_b32_e32 v22, v18
	v_cndmask_b32_e64 v21, v17, v21, s[0:1]
	v_cndmask_b32_e32 v23, v19, v23, vcc
	v_add_f64 v[20:21], v[20:21], v[22:23]
	v_mov_b32_e32 v24, s4
	s_add_i32 s4, s4, 1
	v_cmp_lt_f64_e32 vcc, v[6:7], v[20:21]
	v_add_u32_e32 v5, 16, v5
	s_cmp_lg_u32 s67, s4
	v_cndmask_b32_e32 v1, v1, v17, vcc
	v_cndmask_b32_e32 v0, v0, v16, vcc
	;; [unrolled: 1-line block ×5, first 2 shown]
	s_cbranch_scc1 .LBB126_1208
.LBB126_1209:
	s_waitcnt lgkmcnt(0)
	v_cmp_eq_f64_e32 vcc, 0, v[0:1]
	v_cmp_eq_f64_e64 s[0:1], 0, v[2:3]
	s_and_b64 s[0:1], vcc, s[0:1]
	s_and_saveexec_b64 s[4:5], s[0:1]
	s_xor_b64 s[0:1], exec, s[4:5]
; %bb.1210:
	v_cmp_ne_u32_e32 vcc, 0, v13
	s_nop 1
	v_cndmask_b32_e32 v13, 53, v13, vcc
; %bb.1211:
	s_andn2_saveexec_b64 s[0:1], s[0:1]
	s_cbranch_execz .LBB126_1217
; %bb.1212:
	v_cmp_ngt_f64_e64 s[4:5], |v[0:1]|, |v[2:3]|
	s_and_saveexec_b64 s[12:13], s[4:5]
	s_xor_b64 s[12:13], exec, s[12:13]
	s_cbranch_execz .LBB126_1214
; %bb.1213:
	v_div_scale_f64 v[6:7], s[4:5], v[2:3], v[2:3], v[0:1]
	v_rcp_f64_e32 v[16:17], v[6:7]
	v_div_scale_f64 v[18:19], vcc, v[0:1], v[2:3], v[0:1]
	v_fma_f64 v[20:21], -v[6:7], v[16:17], 1.0
	v_fmac_f64_e32 v[16:17], v[16:17], v[20:21]
	v_fma_f64 v[20:21], -v[6:7], v[16:17], 1.0
	v_fmac_f64_e32 v[16:17], v[16:17], v[20:21]
	v_mul_f64 v[20:21], v[18:19], v[16:17]
	v_fma_f64 v[6:7], -v[6:7], v[20:21], v[18:19]
	v_div_fmas_f64 v[6:7], v[6:7], v[16:17], v[20:21]
	v_div_fixup_f64 v[6:7], v[6:7], v[2:3], v[0:1]
	v_fmac_f64_e32 v[2:3], v[0:1], v[6:7]
	v_div_scale_f64 v[0:1], s[4:5], v[2:3], v[2:3], 1.0
	v_rcp_f64_e32 v[16:17], v[0:1]
	s_nop 0
	v_fma_f64 v[18:19], -v[0:1], v[16:17], 1.0
	v_fmac_f64_e32 v[16:17], v[16:17], v[18:19]
	v_fma_f64 v[18:19], -v[0:1], v[16:17], 1.0
	v_fmac_f64_e32 v[16:17], v[16:17], v[18:19]
	v_div_scale_f64 v[18:19], vcc, 1.0, v[2:3], 1.0
	v_mul_f64 v[20:21], v[18:19], v[16:17]
	v_fma_f64 v[0:1], -v[0:1], v[20:21], v[18:19]
	s_nop 1
	v_div_fmas_f64 v[0:1], v[0:1], v[16:17], v[20:21]
	v_div_fixup_f64 v[2:3], v[0:1], v[2:3], 1.0
	v_mul_f64 v[0:1], v[6:7], v[2:3]
	v_xor_b32_e32 v3, 0x80000000, v3
.LBB126_1214:
	s_andn2_saveexec_b64 s[12:13], s[12:13]
	s_cbranch_execz .LBB126_1216
; %bb.1215:
	v_div_scale_f64 v[6:7], s[4:5], v[0:1], v[0:1], v[2:3]
	v_rcp_f64_e32 v[16:17], v[6:7]
	v_div_scale_f64 v[18:19], vcc, v[2:3], v[0:1], v[2:3]
	v_fma_f64 v[20:21], -v[6:7], v[16:17], 1.0
	v_fmac_f64_e32 v[16:17], v[16:17], v[20:21]
	v_fma_f64 v[20:21], -v[6:7], v[16:17], 1.0
	v_fmac_f64_e32 v[16:17], v[16:17], v[20:21]
	v_mul_f64 v[20:21], v[18:19], v[16:17]
	v_fma_f64 v[6:7], -v[6:7], v[20:21], v[18:19]
	v_div_fmas_f64 v[6:7], v[6:7], v[16:17], v[20:21]
	v_div_fixup_f64 v[6:7], v[6:7], v[0:1], v[2:3]
	v_fmac_f64_e32 v[0:1], v[2:3], v[6:7]
	v_div_scale_f64 v[2:3], s[4:5], v[0:1], v[0:1], 1.0
	v_rcp_f64_e32 v[16:17], v[2:3]
	s_nop 0
	v_fma_f64 v[18:19], -v[2:3], v[16:17], 1.0
	v_fmac_f64_e32 v[16:17], v[16:17], v[18:19]
	v_fma_f64 v[18:19], -v[2:3], v[16:17], 1.0
	v_fmac_f64_e32 v[16:17], v[16:17], v[18:19]
	v_div_scale_f64 v[18:19], vcc, 1.0, v[0:1], 1.0
	v_mul_f64 v[20:21], v[18:19], v[16:17]
	v_fma_f64 v[2:3], -v[2:3], v[20:21], v[18:19]
	s_nop 1
	v_div_fmas_f64 v[2:3], v[2:3], v[16:17], v[20:21]
	v_div_fixup_f64 v[0:1], v[2:3], v[0:1], 1.0
	v_mul_f64 v[2:3], v[6:7], -v[0:1]
.LBB126_1216:
	s_or_b64 exec, exec, s[12:13]
.LBB126_1217:
	s_or_b64 exec, exec, s[0:1]
	v_cmp_ne_u32_e32 vcc, v15, v4
	s_and_saveexec_b64 s[0:1], vcc
	s_xor_b64 s[0:1], exec, s[0:1]
	s_cbranch_execz .LBB126_1223
; %bb.1218:
	v_cmp_eq_u32_e32 vcc, 52, v15
	s_and_saveexec_b64 s[12:13], vcc
	s_cbranch_execz .LBB126_1222
; %bb.1219:
	v_cmp_ne_u32_e32 vcc, 52, v4
	s_xor_b64 s[4:5], s[8:9], -1
	s_and_b64 s[4:5], s[4:5], vcc
	s_and_saveexec_b64 s[14:15], s[4:5]
	s_cbranch_execz .LBB126_1221
; %bb.1220:
	v_ashrrev_i32_e32 v5, 31, v4
	v_lshl_add_u64 v[6:7], v[4:5], 2, v[10:11]
	global_load_dword v5, v[6:7], off
	global_load_dword v14, v[10:11], off offset:208
	s_waitcnt vmcnt(1)
	global_store_dword v[10:11], v5, off offset:208
	s_waitcnt vmcnt(1)
	global_store_dword v[6:7], v14, off
.LBB126_1221:
	s_or_b64 exec, exec, s[14:15]
	v_mov_b32_e32 v15, v4
	v_mov_b32_e32 v14, v4
.LBB126_1222:
	s_or_b64 exec, exec, s[12:13]
.LBB126_1223:
	s_andn2_saveexec_b64 s[0:1], s[0:1]
	s_cbranch_execz .LBB126_1225
; %bb.1224:
	scratch_load_dwordx4 v[4:7], off, s29
	scratch_load_dwordx4 v[16:19], off, s28
	;; [unrolled: 1-line block ×11, first 2 shown]
	v_mov_b32_e32 v15, 52
	s_waitcnt vmcnt(10)
	ds_write2_b64 v12, v[4:5], v[6:7] offset0:106 offset1:107
	s_waitcnt vmcnt(9)
	ds_write2_b64 v12, v[16:17], v[18:19] offset0:108 offset1:109
	;; [unrolled: 2-line block ×11, first 2 shown]
.LBB126_1225:
	s_or_b64 exec, exec, s[0:1]
	v_cmp_lt_i32_e32 vcc, 52, v15
	s_waitcnt lgkmcnt(0)
	s_barrier
	s_and_saveexec_b64 s[0:1], vcc
	s_cbranch_execz .LBB126_1227
; %bb.1226:
	scratch_load_dwordx4 v[4:7], off, off offset:832
	s_waitcnt vmcnt(0)
	v_mul_f64 v[16:17], v[2:3], v[6:7]
	v_mul_f64 v[18:19], v[0:1], v[6:7]
	v_fma_f64 v[16:17], v[0:1], v[4:5], -v[16:17]
	v_fmac_f64_e32 v[18:19], v[2:3], v[4:5]
	ds_read2_b64 v[0:3], v12 offset0:106 offset1:107
	scratch_store_dwordx4 off, v[16:19], off offset:832
	s_waitcnt lgkmcnt(0)
	v_mul_f64 v[4:5], v[2:3], v[18:19]
	v_mul_f64 v[6:7], v[0:1], v[18:19]
	v_fma_f64 v[4:5], v[0:1], v[16:17], -v[4:5]
	v_fmac_f64_e32 v[6:7], v[2:3], v[16:17]
	scratch_load_dwordx4 v[0:3], off, off offset:848
	s_waitcnt vmcnt(0)
	v_add_f64 v[0:1], v[0:1], -v[4:5]
	v_add_f64 v[2:3], v[2:3], -v[6:7]
	scratch_store_dwordx4 off, v[0:3], off offset:848
	ds_read2_b64 v[0:3], v12 offset0:108 offset1:109
	s_waitcnt lgkmcnt(0)
	v_mul_f64 v[4:5], v[2:3], v[18:19]
	v_mul_f64 v[6:7], v[0:1], v[18:19]
	v_fma_f64 v[4:5], v[0:1], v[16:17], -v[4:5]
	v_fmac_f64_e32 v[6:7], v[2:3], v[16:17]
	scratch_load_dwordx4 v[0:3], off, off offset:864
	s_waitcnt vmcnt(0)
	v_add_f64 v[0:1], v[0:1], -v[4:5]
	v_add_f64 v[2:3], v[2:3], -v[6:7]
	scratch_store_dwordx4 off, v[0:3], off offset:864
	ds_read2_b64 v[0:3], v12 offset0:110 offset1:111
	;; [unrolled: 11-line block ×5, first 2 shown]
	s_waitcnt lgkmcnt(0)
	v_mul_f64 v[4:5], v[2:3], v[18:19]
	v_mul_f64 v[6:7], v[0:1], v[18:19]
	v_fma_f64 v[4:5], v[0:1], v[16:17], -v[4:5]
	v_fmac_f64_e32 v[6:7], v[2:3], v[16:17]
	scratch_load_dwordx4 v[0:3], off, off offset:928
	s_waitcnt vmcnt(0)
	v_add_f64 v[0:1], v[0:1], -v[4:5]
	v_add_f64 v[2:3], v[2:3], -v[6:7]
	scratch_load_dwordx4 v[4:7], off, off offset:832
	s_nop 0
	scratch_store_dwordx4 off, v[0:3], off offset:928
	ds_read2_b64 v[0:3], v12 offset0:118 offset1:119
	s_waitcnt vmcnt(1) lgkmcnt(0)
	v_mul_f64 v[16:17], v[2:3], v[6:7]
	v_mul_f64 v[18:19], v[0:1], v[6:7]
	v_fma_f64 v[16:17], v[0:1], v[4:5], -v[16:17]
	v_fmac_f64_e32 v[18:19], v[2:3], v[4:5]
	scratch_load_dwordx4 v[0:3], off, off offset:944
	s_waitcnt vmcnt(0)
	v_add_f64 v[0:1], v[0:1], -v[16:17]
	v_add_f64 v[2:3], v[2:3], -v[18:19]
	scratch_store_dwordx4 off, v[0:3], off offset:944
	ds_read2_b64 v[0:3], v12 offset0:120 offset1:121
	s_waitcnt lgkmcnt(0)
	v_mul_f64 v[16:17], v[2:3], v[6:7]
	v_mul_f64 v[18:19], v[0:1], v[6:7]
	v_fma_f64 v[16:17], v[0:1], v[4:5], -v[16:17]
	v_fmac_f64_e32 v[18:19], v[2:3], v[4:5]
	scratch_load_dwordx4 v[0:3], off, off offset:960
	s_waitcnt vmcnt(0)
	v_add_f64 v[0:1], v[0:1], -v[16:17]
	v_add_f64 v[2:3], v[2:3], -v[18:19]
	scratch_store_dwordx4 off, v[0:3], off offset:960
	ds_read2_b64 v[0:3], v12 offset0:122 offset1:123
	s_waitcnt lgkmcnt(0)
	;; [unrolled: 11-line block ×4, first 2 shown]
	v_mul_f64 v[16:17], v[2:3], v[6:7]
	v_mul_f64 v[6:7], v[0:1], v[6:7]
	v_fma_f64 v[16:17], v[0:1], v[4:5], -v[16:17]
	v_fmac_f64_e32 v[6:7], v[2:3], v[4:5]
	scratch_load_dwordx4 v[0:3], off, off offset:1008
	s_waitcnt vmcnt(0)
	v_add_f64 v[0:1], v[0:1], -v[16:17]
	v_add_f64 v[2:3], v[2:3], -v[6:7]
	scratch_store_dwordx4 off, v[0:3], off offset:1008
.LBB126_1227:
	s_or_b64 exec, exec, s[0:1]
	s_barrier
	scratch_load_dwordx4 v[0:3], off, s29
	v_lshl_add_u32 v4, v15, 4, v12
	s_cmp_lt_i32 s67, 55
	s_waitcnt vmcnt(0)
	ds_write2_b64 v4, v[0:1], v[2:3] offset1:1
	s_waitcnt lgkmcnt(0)
	s_barrier
	ds_read2_b64 v[0:3], v12 offset0:106 offset1:107
	v_mov_b32_e32 v4, 53
	s_cbranch_scc1 .LBB126_1230
; %bb.1228:
	v_add_u32_e32 v5, 0x360, v12
	s_mov_b32 s4, 54
	v_mov_b32_e32 v4, 53
.LBB126_1229:                           ; =>This Inner Loop Header: Depth=1
	ds_read2_b64 v[16:19], v5 offset1:1
	s_waitcnt lgkmcnt(1)
	v_xor_b32_e32 v7, 0x80000000, v1
	v_xor_b32_e32 v21, 0x80000000, v3
	v_cmp_gt_f64_e32 vcc, 0, v[2:3]
	v_cmp_gt_f64_e64 s[0:1], 0, v[0:1]
	v_mov_b32_e32 v6, v0
	v_mov_b32_e32 v20, v2
	v_cndmask_b32_e64 v7, v1, v7, s[0:1]
	v_cndmask_b32_e32 v21, v3, v21, vcc
	v_add_f64 v[6:7], v[6:7], v[20:21]
	s_waitcnt lgkmcnt(0)
	v_xor_b32_e32 v21, 0x80000000, v17
	v_xor_b32_e32 v23, 0x80000000, v19
	v_cmp_gt_f64_e32 vcc, 0, v[18:19]
	v_cmp_gt_f64_e64 s[0:1], 0, v[16:17]
	v_mov_b32_e32 v20, v16
	v_mov_b32_e32 v22, v18
	v_cndmask_b32_e64 v21, v17, v21, s[0:1]
	v_cndmask_b32_e32 v23, v19, v23, vcc
	v_add_f64 v[20:21], v[20:21], v[22:23]
	v_mov_b32_e32 v24, s4
	s_add_i32 s4, s4, 1
	v_cmp_lt_f64_e32 vcc, v[6:7], v[20:21]
	v_add_u32_e32 v5, 16, v5
	s_cmp_lg_u32 s67, s4
	v_cndmask_b32_e32 v1, v1, v17, vcc
	v_cndmask_b32_e32 v0, v0, v16, vcc
	;; [unrolled: 1-line block ×5, first 2 shown]
	s_cbranch_scc1 .LBB126_1229
.LBB126_1230:
	s_waitcnt lgkmcnt(0)
	v_cmp_eq_f64_e32 vcc, 0, v[0:1]
	v_cmp_eq_f64_e64 s[0:1], 0, v[2:3]
	s_and_b64 s[0:1], vcc, s[0:1]
	s_and_saveexec_b64 s[4:5], s[0:1]
	s_xor_b64 s[0:1], exec, s[4:5]
; %bb.1231:
	v_cmp_ne_u32_e32 vcc, 0, v13
	s_nop 1
	v_cndmask_b32_e32 v13, 54, v13, vcc
; %bb.1232:
	s_andn2_saveexec_b64 s[0:1], s[0:1]
	s_cbranch_execz .LBB126_1238
; %bb.1233:
	v_cmp_ngt_f64_e64 s[4:5], |v[0:1]|, |v[2:3]|
	s_and_saveexec_b64 s[12:13], s[4:5]
	s_xor_b64 s[12:13], exec, s[12:13]
	s_cbranch_execz .LBB126_1235
; %bb.1234:
	v_div_scale_f64 v[6:7], s[4:5], v[2:3], v[2:3], v[0:1]
	v_rcp_f64_e32 v[16:17], v[6:7]
	v_div_scale_f64 v[18:19], vcc, v[0:1], v[2:3], v[0:1]
	v_fma_f64 v[20:21], -v[6:7], v[16:17], 1.0
	v_fmac_f64_e32 v[16:17], v[16:17], v[20:21]
	v_fma_f64 v[20:21], -v[6:7], v[16:17], 1.0
	v_fmac_f64_e32 v[16:17], v[16:17], v[20:21]
	v_mul_f64 v[20:21], v[18:19], v[16:17]
	v_fma_f64 v[6:7], -v[6:7], v[20:21], v[18:19]
	v_div_fmas_f64 v[6:7], v[6:7], v[16:17], v[20:21]
	v_div_fixup_f64 v[6:7], v[6:7], v[2:3], v[0:1]
	v_fmac_f64_e32 v[2:3], v[0:1], v[6:7]
	v_div_scale_f64 v[0:1], s[4:5], v[2:3], v[2:3], 1.0
	v_rcp_f64_e32 v[16:17], v[0:1]
	s_nop 0
	v_fma_f64 v[18:19], -v[0:1], v[16:17], 1.0
	v_fmac_f64_e32 v[16:17], v[16:17], v[18:19]
	v_fma_f64 v[18:19], -v[0:1], v[16:17], 1.0
	v_fmac_f64_e32 v[16:17], v[16:17], v[18:19]
	v_div_scale_f64 v[18:19], vcc, 1.0, v[2:3], 1.0
	v_mul_f64 v[20:21], v[18:19], v[16:17]
	v_fma_f64 v[0:1], -v[0:1], v[20:21], v[18:19]
	s_nop 1
	v_div_fmas_f64 v[0:1], v[0:1], v[16:17], v[20:21]
	v_div_fixup_f64 v[2:3], v[0:1], v[2:3], 1.0
	v_mul_f64 v[0:1], v[6:7], v[2:3]
	v_xor_b32_e32 v3, 0x80000000, v3
.LBB126_1235:
	s_andn2_saveexec_b64 s[12:13], s[12:13]
	s_cbranch_execz .LBB126_1237
; %bb.1236:
	v_div_scale_f64 v[6:7], s[4:5], v[0:1], v[0:1], v[2:3]
	v_rcp_f64_e32 v[16:17], v[6:7]
	v_div_scale_f64 v[18:19], vcc, v[2:3], v[0:1], v[2:3]
	v_fma_f64 v[20:21], -v[6:7], v[16:17], 1.0
	v_fmac_f64_e32 v[16:17], v[16:17], v[20:21]
	v_fma_f64 v[20:21], -v[6:7], v[16:17], 1.0
	v_fmac_f64_e32 v[16:17], v[16:17], v[20:21]
	v_mul_f64 v[20:21], v[18:19], v[16:17]
	v_fma_f64 v[6:7], -v[6:7], v[20:21], v[18:19]
	v_div_fmas_f64 v[6:7], v[6:7], v[16:17], v[20:21]
	v_div_fixup_f64 v[6:7], v[6:7], v[0:1], v[2:3]
	v_fmac_f64_e32 v[0:1], v[2:3], v[6:7]
	v_div_scale_f64 v[2:3], s[4:5], v[0:1], v[0:1], 1.0
	v_rcp_f64_e32 v[16:17], v[2:3]
	s_nop 0
	v_fma_f64 v[18:19], -v[2:3], v[16:17], 1.0
	v_fmac_f64_e32 v[16:17], v[16:17], v[18:19]
	v_fma_f64 v[18:19], -v[2:3], v[16:17], 1.0
	v_fmac_f64_e32 v[16:17], v[16:17], v[18:19]
	v_div_scale_f64 v[18:19], vcc, 1.0, v[0:1], 1.0
	v_mul_f64 v[20:21], v[18:19], v[16:17]
	v_fma_f64 v[2:3], -v[2:3], v[20:21], v[18:19]
	s_nop 1
	v_div_fmas_f64 v[2:3], v[2:3], v[16:17], v[20:21]
	v_div_fixup_f64 v[0:1], v[2:3], v[0:1], 1.0
	v_mul_f64 v[2:3], v[6:7], -v[0:1]
.LBB126_1237:
	s_or_b64 exec, exec, s[12:13]
.LBB126_1238:
	s_or_b64 exec, exec, s[0:1]
	v_cmp_ne_u32_e32 vcc, v15, v4
	s_and_saveexec_b64 s[0:1], vcc
	s_xor_b64 s[0:1], exec, s[0:1]
	s_cbranch_execz .LBB126_1244
; %bb.1239:
	v_cmp_eq_u32_e32 vcc, 53, v15
	s_and_saveexec_b64 s[12:13], vcc
	s_cbranch_execz .LBB126_1243
; %bb.1240:
	v_cmp_ne_u32_e32 vcc, 53, v4
	s_xor_b64 s[4:5], s[8:9], -1
	s_and_b64 s[4:5], s[4:5], vcc
	s_and_saveexec_b64 s[14:15], s[4:5]
	s_cbranch_execz .LBB126_1242
; %bb.1241:
	v_ashrrev_i32_e32 v5, 31, v4
	v_lshl_add_u64 v[6:7], v[4:5], 2, v[10:11]
	global_load_dword v5, v[6:7], off
	global_load_dword v14, v[10:11], off offset:212
	s_waitcnt vmcnt(1)
	global_store_dword v[10:11], v5, off offset:212
	s_waitcnt vmcnt(1)
	global_store_dword v[6:7], v14, off
.LBB126_1242:
	s_or_b64 exec, exec, s[14:15]
	v_mov_b32_e32 v15, v4
	v_mov_b32_e32 v14, v4
.LBB126_1243:
	s_or_b64 exec, exec, s[12:13]
.LBB126_1244:
	s_andn2_saveexec_b64 s[0:1], s[0:1]
	s_cbranch_execz .LBB126_1246
; %bb.1245:
	scratch_load_dwordx4 v[4:7], off, s28
	scratch_load_dwordx4 v[16:19], off, s27
	;; [unrolled: 1-line block ×10, first 2 shown]
	v_mov_b32_e32 v15, 53
	s_waitcnt vmcnt(9)
	ds_write2_b64 v12, v[4:5], v[6:7] offset0:108 offset1:109
	s_waitcnt vmcnt(8)
	ds_write2_b64 v12, v[16:17], v[18:19] offset0:110 offset1:111
	;; [unrolled: 2-line block ×10, first 2 shown]
.LBB126_1246:
	s_or_b64 exec, exec, s[0:1]
	v_cmp_lt_i32_e32 vcc, 53, v15
	s_waitcnt lgkmcnt(0)
	s_barrier
	s_and_saveexec_b64 s[0:1], vcc
	s_cbranch_execz .LBB126_1248
; %bb.1247:
	scratch_load_dwordx4 v[4:7], off, off offset:848
	scratch_load_dwordx4 v[16:19], off, off offset:864
	;; [unrolled: 1-line block ×7, first 2 shown]
	s_waitcnt vmcnt(6)
	v_mul_f64 v[40:41], v[2:3], v[6:7]
	v_mul_f64 v[42:43], v[0:1], v[6:7]
	v_fma_f64 v[40:41], v[0:1], v[4:5], -v[40:41]
	v_fmac_f64_e32 v[42:43], v[2:3], v[4:5]
	scratch_store_dwordx4 off, v[40:43], off offset:848
	scratch_load_dwordx4 v[0:3], off, off offset:848
	scratch_load_dwordx4 v[4:7], off, off offset:960
	;; [unrolled: 1-line block ×5, first 2 shown]
	ds_read2_b64 v[56:59], v12 offset0:108 offset1:109
	ds_read2_b64 v[60:63], v12 offset0:110 offset1:111
	ds_read2_b64 v[64:67], v12 offset0:112 offset1:113
	ds_read2_b64 v[68:71], v12 offset0:114 offset1:115
	ds_read2_b64 v[72:75], v12 offset0:116 offset1:117
	ds_read2_b64 v[76:79], v12 offset0:118 offset1:119
	ds_read2_b64 v[80:83], v12 offset0:120 offset1:121
	ds_read2_b64 v[84:87], v12 offset0:122 offset1:123
	ds_read2_b64 v[88:91], v12 offset0:124 offset1:125
	ds_read2_b64 v[92:95], v12 offset0:126 offset1:127
	s_waitcnt lgkmcnt(9)
	v_mul_f64 v[96:97], v[58:59], v[42:43]
	v_mul_f64 v[98:99], v[56:57], v[42:43]
	s_waitcnt lgkmcnt(8)
	v_mul_f64 v[100:101], v[62:63], v[42:43]
	v_mul_f64 v[102:103], v[60:61], v[42:43]
	;; [unrolled: 3-line block ×6, first 2 shown]
	v_fma_f64 v[56:57], v[56:57], v[40:41], -v[96:97]
	v_fmac_f64_e32 v[98:99], v[58:59], v[40:41]
	v_fma_f64 v[58:59], v[60:61], v[40:41], -v[100:101]
	v_fmac_f64_e32 v[102:103], v[62:63], v[40:41]
	;; [unrolled: 2-line block ×6, first 2 shown]
	s_waitcnt vmcnt(11)
	v_add_f64 v[16:17], v[16:17], -v[56:57]
	v_add_f64 v[18:19], v[18:19], -v[98:99]
	s_waitcnt vmcnt(10)
	v_add_f64 v[20:21], v[20:21], -v[58:59]
	v_add_f64 v[22:23], v[22:23], -v[102:103]
	;; [unrolled: 3-line block ×6, first 2 shown]
	scratch_store_dwordx4 off, v[16:19], off offset:864
	scratch_store_dwordx4 off, v[20:23], off offset:880
	;; [unrolled: 1-line block ×6, first 2 shown]
	s_waitcnt vmcnt(10) lgkmcnt(3)
	v_mul_f64 v[16:17], v[82:83], v[2:3]
	v_mul_f64 v[18:19], v[80:81], v[2:3]
	s_waitcnt lgkmcnt(2)
	v_mul_f64 v[20:21], v[86:87], v[2:3]
	v_mul_f64 v[22:23], v[84:85], v[2:3]
	s_waitcnt lgkmcnt(1)
	;; [unrolled: 3-line block ×3, first 2 shown]
	v_mul_f64 v[28:29], v[94:95], v[2:3]
	v_mul_f64 v[30:31], v[92:93], v[2:3]
	v_fma_f64 v[2:3], v[80:81], v[0:1], -v[16:17]
	v_fmac_f64_e32 v[18:19], v[82:83], v[0:1]
	v_fma_f64 v[16:17], v[84:85], v[0:1], -v[20:21]
	v_fmac_f64_e32 v[22:23], v[86:87], v[0:1]
	;; [unrolled: 2-line block ×4, first 2 shown]
	s_waitcnt vmcnt(9)
	v_add_f64 v[0:1], v[4:5], -v[2:3]
	v_add_f64 v[2:3], v[6:7], -v[18:19]
	s_waitcnt vmcnt(8)
	v_add_f64 v[4:5], v[44:45], -v[16:17]
	v_add_f64 v[6:7], v[46:47], -v[22:23]
	;; [unrolled: 3-line block ×4, first 2 shown]
	scratch_store_dwordx4 off, v[0:3], off offset:960
	scratch_store_dwordx4 off, v[4:7], off offset:976
	;; [unrolled: 1-line block ×4, first 2 shown]
.LBB126_1248:
	s_or_b64 exec, exec, s[0:1]
	s_barrier
	scratch_load_dwordx4 v[0:3], off, s28
	v_lshl_add_u32 v4, v15, 4, v12
	s_cmp_lt_i32 s67, 56
	s_waitcnt vmcnt(0)
	ds_write2_b64 v4, v[0:1], v[2:3] offset1:1
	s_waitcnt lgkmcnt(0)
	s_barrier
	ds_read2_b64 v[0:3], v12 offset0:108 offset1:109
	v_mov_b32_e32 v4, 54
	s_cbranch_scc1 .LBB126_1251
; %bb.1249:
	v_add_u32_e32 v5, 0x370, v12
	s_mov_b32 s4, 55
	v_mov_b32_e32 v4, 54
.LBB126_1250:                           ; =>This Inner Loop Header: Depth=1
	ds_read2_b64 v[16:19], v5 offset1:1
	s_waitcnt lgkmcnt(1)
	v_xor_b32_e32 v7, 0x80000000, v1
	v_xor_b32_e32 v21, 0x80000000, v3
	v_cmp_gt_f64_e32 vcc, 0, v[2:3]
	v_cmp_gt_f64_e64 s[0:1], 0, v[0:1]
	v_mov_b32_e32 v6, v0
	v_mov_b32_e32 v20, v2
	v_cndmask_b32_e64 v7, v1, v7, s[0:1]
	v_cndmask_b32_e32 v21, v3, v21, vcc
	v_add_f64 v[6:7], v[6:7], v[20:21]
	s_waitcnt lgkmcnt(0)
	v_xor_b32_e32 v21, 0x80000000, v17
	v_xor_b32_e32 v23, 0x80000000, v19
	v_cmp_gt_f64_e32 vcc, 0, v[18:19]
	v_cmp_gt_f64_e64 s[0:1], 0, v[16:17]
	v_mov_b32_e32 v20, v16
	v_mov_b32_e32 v22, v18
	v_cndmask_b32_e64 v21, v17, v21, s[0:1]
	v_cndmask_b32_e32 v23, v19, v23, vcc
	v_add_f64 v[20:21], v[20:21], v[22:23]
	v_mov_b32_e32 v24, s4
	s_add_i32 s4, s4, 1
	v_cmp_lt_f64_e32 vcc, v[6:7], v[20:21]
	v_add_u32_e32 v5, 16, v5
	s_cmp_lg_u32 s67, s4
	v_cndmask_b32_e32 v1, v1, v17, vcc
	v_cndmask_b32_e32 v0, v0, v16, vcc
	;; [unrolled: 1-line block ×5, first 2 shown]
	s_cbranch_scc1 .LBB126_1250
.LBB126_1251:
	s_waitcnt lgkmcnt(0)
	v_cmp_eq_f64_e32 vcc, 0, v[0:1]
	v_cmp_eq_f64_e64 s[0:1], 0, v[2:3]
	s_and_b64 s[0:1], vcc, s[0:1]
	s_and_saveexec_b64 s[4:5], s[0:1]
	s_xor_b64 s[0:1], exec, s[4:5]
; %bb.1252:
	v_cmp_ne_u32_e32 vcc, 0, v13
	s_nop 1
	v_cndmask_b32_e32 v13, 55, v13, vcc
; %bb.1253:
	s_andn2_saveexec_b64 s[0:1], s[0:1]
	s_cbranch_execz .LBB126_1259
; %bb.1254:
	v_cmp_ngt_f64_e64 s[4:5], |v[0:1]|, |v[2:3]|
	s_and_saveexec_b64 s[12:13], s[4:5]
	s_xor_b64 s[12:13], exec, s[12:13]
	s_cbranch_execz .LBB126_1256
; %bb.1255:
	v_div_scale_f64 v[6:7], s[4:5], v[2:3], v[2:3], v[0:1]
	v_rcp_f64_e32 v[16:17], v[6:7]
	v_div_scale_f64 v[18:19], vcc, v[0:1], v[2:3], v[0:1]
	v_fma_f64 v[20:21], -v[6:7], v[16:17], 1.0
	v_fmac_f64_e32 v[16:17], v[16:17], v[20:21]
	v_fma_f64 v[20:21], -v[6:7], v[16:17], 1.0
	v_fmac_f64_e32 v[16:17], v[16:17], v[20:21]
	v_mul_f64 v[20:21], v[18:19], v[16:17]
	v_fma_f64 v[6:7], -v[6:7], v[20:21], v[18:19]
	v_div_fmas_f64 v[6:7], v[6:7], v[16:17], v[20:21]
	v_div_fixup_f64 v[6:7], v[6:7], v[2:3], v[0:1]
	v_fmac_f64_e32 v[2:3], v[0:1], v[6:7]
	v_div_scale_f64 v[0:1], s[4:5], v[2:3], v[2:3], 1.0
	v_rcp_f64_e32 v[16:17], v[0:1]
	s_nop 0
	v_fma_f64 v[18:19], -v[0:1], v[16:17], 1.0
	v_fmac_f64_e32 v[16:17], v[16:17], v[18:19]
	v_fma_f64 v[18:19], -v[0:1], v[16:17], 1.0
	v_fmac_f64_e32 v[16:17], v[16:17], v[18:19]
	v_div_scale_f64 v[18:19], vcc, 1.0, v[2:3], 1.0
	v_mul_f64 v[20:21], v[18:19], v[16:17]
	v_fma_f64 v[0:1], -v[0:1], v[20:21], v[18:19]
	s_nop 1
	v_div_fmas_f64 v[0:1], v[0:1], v[16:17], v[20:21]
	v_div_fixup_f64 v[2:3], v[0:1], v[2:3], 1.0
	v_mul_f64 v[0:1], v[6:7], v[2:3]
	v_xor_b32_e32 v3, 0x80000000, v3
.LBB126_1256:
	s_andn2_saveexec_b64 s[12:13], s[12:13]
	s_cbranch_execz .LBB126_1258
; %bb.1257:
	v_div_scale_f64 v[6:7], s[4:5], v[0:1], v[0:1], v[2:3]
	v_rcp_f64_e32 v[16:17], v[6:7]
	v_div_scale_f64 v[18:19], vcc, v[2:3], v[0:1], v[2:3]
	v_fma_f64 v[20:21], -v[6:7], v[16:17], 1.0
	v_fmac_f64_e32 v[16:17], v[16:17], v[20:21]
	v_fma_f64 v[20:21], -v[6:7], v[16:17], 1.0
	v_fmac_f64_e32 v[16:17], v[16:17], v[20:21]
	v_mul_f64 v[20:21], v[18:19], v[16:17]
	v_fma_f64 v[6:7], -v[6:7], v[20:21], v[18:19]
	v_div_fmas_f64 v[6:7], v[6:7], v[16:17], v[20:21]
	v_div_fixup_f64 v[6:7], v[6:7], v[0:1], v[2:3]
	v_fmac_f64_e32 v[0:1], v[2:3], v[6:7]
	v_div_scale_f64 v[2:3], s[4:5], v[0:1], v[0:1], 1.0
	v_rcp_f64_e32 v[16:17], v[2:3]
	s_nop 0
	v_fma_f64 v[18:19], -v[2:3], v[16:17], 1.0
	v_fmac_f64_e32 v[16:17], v[16:17], v[18:19]
	v_fma_f64 v[18:19], -v[2:3], v[16:17], 1.0
	v_fmac_f64_e32 v[16:17], v[16:17], v[18:19]
	v_div_scale_f64 v[18:19], vcc, 1.0, v[0:1], 1.0
	v_mul_f64 v[20:21], v[18:19], v[16:17]
	v_fma_f64 v[2:3], -v[2:3], v[20:21], v[18:19]
	s_nop 1
	v_div_fmas_f64 v[2:3], v[2:3], v[16:17], v[20:21]
	v_div_fixup_f64 v[0:1], v[2:3], v[0:1], 1.0
	v_mul_f64 v[2:3], v[6:7], -v[0:1]
.LBB126_1258:
	s_or_b64 exec, exec, s[12:13]
.LBB126_1259:
	s_or_b64 exec, exec, s[0:1]
	v_cmp_ne_u32_e32 vcc, v15, v4
	s_and_saveexec_b64 s[0:1], vcc
	s_xor_b64 s[0:1], exec, s[0:1]
	s_cbranch_execz .LBB126_1265
; %bb.1260:
	v_cmp_eq_u32_e32 vcc, 54, v15
	s_and_saveexec_b64 s[12:13], vcc
	s_cbranch_execz .LBB126_1264
; %bb.1261:
	v_cmp_ne_u32_e32 vcc, 54, v4
	s_xor_b64 s[4:5], s[8:9], -1
	s_and_b64 s[4:5], s[4:5], vcc
	s_and_saveexec_b64 s[14:15], s[4:5]
	s_cbranch_execz .LBB126_1263
; %bb.1262:
	v_ashrrev_i32_e32 v5, 31, v4
	v_lshl_add_u64 v[6:7], v[4:5], 2, v[10:11]
	global_load_dword v5, v[6:7], off
	global_load_dword v14, v[10:11], off offset:216
	s_waitcnt vmcnt(1)
	global_store_dword v[10:11], v5, off offset:216
	s_waitcnt vmcnt(1)
	global_store_dword v[6:7], v14, off
.LBB126_1263:
	s_or_b64 exec, exec, s[14:15]
	v_mov_b32_e32 v15, v4
	v_mov_b32_e32 v14, v4
.LBB126_1264:
	s_or_b64 exec, exec, s[12:13]
.LBB126_1265:
	s_andn2_saveexec_b64 s[0:1], s[0:1]
	s_cbranch_execz .LBB126_1267
; %bb.1266:
	scratch_load_dwordx4 v[4:7], off, s27
	scratch_load_dwordx4 v[16:19], off, s26
	;; [unrolled: 1-line block ×9, first 2 shown]
	v_mov_b32_e32 v15, 54
	s_waitcnt vmcnt(8)
	ds_write2_b64 v12, v[4:5], v[6:7] offset0:110 offset1:111
	s_waitcnt vmcnt(7)
	ds_write2_b64 v12, v[16:17], v[18:19] offset0:112 offset1:113
	s_waitcnt vmcnt(6)
	ds_write2_b64 v12, v[20:21], v[22:23] offset0:114 offset1:115
	s_waitcnt vmcnt(5)
	ds_write2_b64 v12, v[24:25], v[26:27] offset0:116 offset1:117
	s_waitcnt vmcnt(4)
	ds_write2_b64 v12, v[28:29], v[30:31] offset0:118 offset1:119
	s_waitcnt vmcnt(3)
	ds_write2_b64 v12, v[32:33], v[34:35] offset0:120 offset1:121
	s_waitcnt vmcnt(2)
	ds_write2_b64 v12, v[36:37], v[38:39] offset0:122 offset1:123
	s_waitcnt vmcnt(1)
	ds_write2_b64 v12, v[40:41], v[42:43] offset0:124 offset1:125
	s_waitcnt vmcnt(0)
	ds_write2_b64 v12, v[44:45], v[46:47] offset0:126 offset1:127
.LBB126_1267:
	s_or_b64 exec, exec, s[0:1]
	v_cmp_lt_i32_e32 vcc, 54, v15
	s_waitcnt lgkmcnt(0)
	s_barrier
	s_and_saveexec_b64 s[0:1], vcc
	s_cbranch_execz .LBB126_1269
; %bb.1268:
	scratch_load_dwordx4 v[4:7], off, off offset:864
	scratch_load_dwordx4 v[16:19], off, off offset:880
	;; [unrolled: 1-line block ×7, first 2 shown]
	s_waitcnt vmcnt(6)
	v_mul_f64 v[40:41], v[2:3], v[6:7]
	v_mul_f64 v[42:43], v[0:1], v[6:7]
	v_fma_f64 v[40:41], v[0:1], v[4:5], -v[40:41]
	v_fmac_f64_e32 v[42:43], v[2:3], v[4:5]
	scratch_store_dwordx4 off, v[40:43], off offset:864
	scratch_load_dwordx4 v[0:3], off, off offset:864
	scratch_load_dwordx4 v[4:7], off, off offset:976
	;; [unrolled: 1-line block ×4, first 2 shown]
	ds_read2_b64 v[52:55], v12 offset0:110 offset1:111
	ds_read2_b64 v[56:59], v12 offset0:112 offset1:113
	;; [unrolled: 1-line block ×9, first 2 shown]
	s_waitcnt lgkmcnt(8)
	v_mul_f64 v[88:89], v[54:55], v[42:43]
	v_mul_f64 v[90:91], v[52:53], v[42:43]
	s_waitcnt lgkmcnt(7)
	v_mul_f64 v[92:93], v[58:59], v[42:43]
	v_mul_f64 v[94:95], v[56:57], v[42:43]
	;; [unrolled: 3-line block ×6, first 2 shown]
	v_fma_f64 v[52:53], v[52:53], v[40:41], -v[88:89]
	v_fmac_f64_e32 v[90:91], v[54:55], v[40:41]
	v_fma_f64 v[54:55], v[56:57], v[40:41], -v[92:93]
	v_fmac_f64_e32 v[94:95], v[58:59], v[40:41]
	;; [unrolled: 2-line block ×6, first 2 shown]
	s_waitcnt vmcnt(10)
	v_add_f64 v[16:17], v[16:17], -v[52:53]
	v_add_f64 v[18:19], v[18:19], -v[90:91]
	s_waitcnt vmcnt(9)
	v_add_f64 v[20:21], v[20:21], -v[54:55]
	v_add_f64 v[22:23], v[22:23], -v[94:95]
	;; [unrolled: 3-line block ×6, first 2 shown]
	scratch_store_dwordx4 off, v[16:19], off offset:880
	scratch_store_dwordx4 off, v[20:23], off offset:896
	;; [unrolled: 1-line block ×6, first 2 shown]
	s_waitcnt vmcnt(9) lgkmcnt(2)
	v_mul_f64 v[16:17], v[78:79], v[2:3]
	v_mul_f64 v[18:19], v[76:77], v[2:3]
	s_waitcnt lgkmcnt(1)
	v_mul_f64 v[20:21], v[82:83], v[2:3]
	v_mul_f64 v[22:23], v[80:81], v[2:3]
	s_waitcnt lgkmcnt(0)
	v_mul_f64 v[24:25], v[86:87], v[2:3]
	v_mul_f64 v[26:27], v[84:85], v[2:3]
	v_fma_f64 v[2:3], v[76:77], v[0:1], -v[16:17]
	v_fmac_f64_e32 v[18:19], v[78:79], v[0:1]
	v_fma_f64 v[16:17], v[80:81], v[0:1], -v[20:21]
	v_fmac_f64_e32 v[22:23], v[82:83], v[0:1]
	v_fma_f64 v[20:21], v[84:85], v[0:1], -v[24:25]
	v_fmac_f64_e32 v[26:27], v[86:87], v[0:1]
	s_waitcnt vmcnt(8)
	v_add_f64 v[0:1], v[4:5], -v[2:3]
	v_add_f64 v[2:3], v[6:7], -v[18:19]
	s_waitcnt vmcnt(7)
	v_add_f64 v[4:5], v[44:45], -v[16:17]
	v_add_f64 v[6:7], v[46:47], -v[22:23]
	;; [unrolled: 3-line block ×3, first 2 shown]
	scratch_store_dwordx4 off, v[0:3], off offset:976
	scratch_store_dwordx4 off, v[4:7], off offset:992
	;; [unrolled: 1-line block ×3, first 2 shown]
.LBB126_1269:
	s_or_b64 exec, exec, s[0:1]
	s_barrier
	scratch_load_dwordx4 v[0:3], off, s27
	v_lshl_add_u32 v4, v15, 4, v12
	s_cmp_lt_i32 s67, 57
	s_waitcnt vmcnt(0)
	ds_write2_b64 v4, v[0:1], v[2:3] offset1:1
	s_waitcnt lgkmcnt(0)
	s_barrier
	ds_read2_b64 v[0:3], v12 offset0:110 offset1:111
	v_mov_b32_e32 v4, 55
	s_cbranch_scc1 .LBB126_1272
; %bb.1270:
	v_add_u32_e32 v5, 0x380, v12
	s_mov_b32 s4, 56
	v_mov_b32_e32 v4, 55
.LBB126_1271:                           ; =>This Inner Loop Header: Depth=1
	ds_read2_b64 v[16:19], v5 offset1:1
	s_waitcnt lgkmcnt(1)
	v_xor_b32_e32 v7, 0x80000000, v1
	v_xor_b32_e32 v21, 0x80000000, v3
	v_cmp_gt_f64_e32 vcc, 0, v[2:3]
	v_cmp_gt_f64_e64 s[0:1], 0, v[0:1]
	v_mov_b32_e32 v6, v0
	v_mov_b32_e32 v20, v2
	v_cndmask_b32_e64 v7, v1, v7, s[0:1]
	v_cndmask_b32_e32 v21, v3, v21, vcc
	v_add_f64 v[6:7], v[6:7], v[20:21]
	s_waitcnt lgkmcnt(0)
	v_xor_b32_e32 v21, 0x80000000, v17
	v_xor_b32_e32 v23, 0x80000000, v19
	v_cmp_gt_f64_e32 vcc, 0, v[18:19]
	v_cmp_gt_f64_e64 s[0:1], 0, v[16:17]
	v_mov_b32_e32 v20, v16
	v_mov_b32_e32 v22, v18
	v_cndmask_b32_e64 v21, v17, v21, s[0:1]
	v_cndmask_b32_e32 v23, v19, v23, vcc
	v_add_f64 v[20:21], v[20:21], v[22:23]
	v_mov_b32_e32 v24, s4
	s_add_i32 s4, s4, 1
	v_cmp_lt_f64_e32 vcc, v[6:7], v[20:21]
	v_add_u32_e32 v5, 16, v5
	s_cmp_lg_u32 s67, s4
	v_cndmask_b32_e32 v1, v1, v17, vcc
	v_cndmask_b32_e32 v0, v0, v16, vcc
	;; [unrolled: 1-line block ×5, first 2 shown]
	s_cbranch_scc1 .LBB126_1271
.LBB126_1272:
	s_waitcnt lgkmcnt(0)
	v_cmp_eq_f64_e32 vcc, 0, v[0:1]
	v_cmp_eq_f64_e64 s[0:1], 0, v[2:3]
	s_and_b64 s[0:1], vcc, s[0:1]
	s_and_saveexec_b64 s[4:5], s[0:1]
	s_xor_b64 s[0:1], exec, s[4:5]
; %bb.1273:
	v_cmp_ne_u32_e32 vcc, 0, v13
	s_nop 1
	v_cndmask_b32_e32 v13, 56, v13, vcc
; %bb.1274:
	s_andn2_saveexec_b64 s[0:1], s[0:1]
	s_cbranch_execz .LBB126_1280
; %bb.1275:
	v_cmp_ngt_f64_e64 s[4:5], |v[0:1]|, |v[2:3]|
	s_and_saveexec_b64 s[12:13], s[4:5]
	s_xor_b64 s[12:13], exec, s[12:13]
	s_cbranch_execz .LBB126_1277
; %bb.1276:
	v_div_scale_f64 v[6:7], s[4:5], v[2:3], v[2:3], v[0:1]
	v_rcp_f64_e32 v[16:17], v[6:7]
	v_div_scale_f64 v[18:19], vcc, v[0:1], v[2:3], v[0:1]
	v_fma_f64 v[20:21], -v[6:7], v[16:17], 1.0
	v_fmac_f64_e32 v[16:17], v[16:17], v[20:21]
	v_fma_f64 v[20:21], -v[6:7], v[16:17], 1.0
	v_fmac_f64_e32 v[16:17], v[16:17], v[20:21]
	v_mul_f64 v[20:21], v[18:19], v[16:17]
	v_fma_f64 v[6:7], -v[6:7], v[20:21], v[18:19]
	v_div_fmas_f64 v[6:7], v[6:7], v[16:17], v[20:21]
	v_div_fixup_f64 v[6:7], v[6:7], v[2:3], v[0:1]
	v_fmac_f64_e32 v[2:3], v[0:1], v[6:7]
	v_div_scale_f64 v[0:1], s[4:5], v[2:3], v[2:3], 1.0
	v_rcp_f64_e32 v[16:17], v[0:1]
	s_nop 0
	v_fma_f64 v[18:19], -v[0:1], v[16:17], 1.0
	v_fmac_f64_e32 v[16:17], v[16:17], v[18:19]
	v_fma_f64 v[18:19], -v[0:1], v[16:17], 1.0
	v_fmac_f64_e32 v[16:17], v[16:17], v[18:19]
	v_div_scale_f64 v[18:19], vcc, 1.0, v[2:3], 1.0
	v_mul_f64 v[20:21], v[18:19], v[16:17]
	v_fma_f64 v[0:1], -v[0:1], v[20:21], v[18:19]
	s_nop 1
	v_div_fmas_f64 v[0:1], v[0:1], v[16:17], v[20:21]
	v_div_fixup_f64 v[2:3], v[0:1], v[2:3], 1.0
	v_mul_f64 v[0:1], v[6:7], v[2:3]
	v_xor_b32_e32 v3, 0x80000000, v3
.LBB126_1277:
	s_andn2_saveexec_b64 s[12:13], s[12:13]
	s_cbranch_execz .LBB126_1279
; %bb.1278:
	v_div_scale_f64 v[6:7], s[4:5], v[0:1], v[0:1], v[2:3]
	v_rcp_f64_e32 v[16:17], v[6:7]
	v_div_scale_f64 v[18:19], vcc, v[2:3], v[0:1], v[2:3]
	v_fma_f64 v[20:21], -v[6:7], v[16:17], 1.0
	v_fmac_f64_e32 v[16:17], v[16:17], v[20:21]
	v_fma_f64 v[20:21], -v[6:7], v[16:17], 1.0
	v_fmac_f64_e32 v[16:17], v[16:17], v[20:21]
	v_mul_f64 v[20:21], v[18:19], v[16:17]
	v_fma_f64 v[6:7], -v[6:7], v[20:21], v[18:19]
	v_div_fmas_f64 v[6:7], v[6:7], v[16:17], v[20:21]
	v_div_fixup_f64 v[6:7], v[6:7], v[0:1], v[2:3]
	v_fmac_f64_e32 v[0:1], v[2:3], v[6:7]
	v_div_scale_f64 v[2:3], s[4:5], v[0:1], v[0:1], 1.0
	v_rcp_f64_e32 v[16:17], v[2:3]
	s_nop 0
	v_fma_f64 v[18:19], -v[2:3], v[16:17], 1.0
	v_fmac_f64_e32 v[16:17], v[16:17], v[18:19]
	v_fma_f64 v[18:19], -v[2:3], v[16:17], 1.0
	v_fmac_f64_e32 v[16:17], v[16:17], v[18:19]
	v_div_scale_f64 v[18:19], vcc, 1.0, v[0:1], 1.0
	v_mul_f64 v[20:21], v[18:19], v[16:17]
	v_fma_f64 v[2:3], -v[2:3], v[20:21], v[18:19]
	s_nop 1
	v_div_fmas_f64 v[2:3], v[2:3], v[16:17], v[20:21]
	v_div_fixup_f64 v[0:1], v[2:3], v[0:1], 1.0
	v_mul_f64 v[2:3], v[6:7], -v[0:1]
.LBB126_1279:
	s_or_b64 exec, exec, s[12:13]
.LBB126_1280:
	s_or_b64 exec, exec, s[0:1]
	v_cmp_ne_u32_e32 vcc, v15, v4
	s_and_saveexec_b64 s[0:1], vcc
	s_xor_b64 s[0:1], exec, s[0:1]
	s_cbranch_execz .LBB126_1286
; %bb.1281:
	v_cmp_eq_u32_e32 vcc, 55, v15
	s_and_saveexec_b64 s[12:13], vcc
	s_cbranch_execz .LBB126_1285
; %bb.1282:
	v_cmp_ne_u32_e32 vcc, 55, v4
	s_xor_b64 s[4:5], s[8:9], -1
	s_and_b64 s[4:5], s[4:5], vcc
	s_and_saveexec_b64 s[14:15], s[4:5]
	s_cbranch_execz .LBB126_1284
; %bb.1283:
	v_ashrrev_i32_e32 v5, 31, v4
	v_lshl_add_u64 v[6:7], v[4:5], 2, v[10:11]
	global_load_dword v5, v[6:7], off
	global_load_dword v14, v[10:11], off offset:220
	s_waitcnt vmcnt(1)
	global_store_dword v[10:11], v5, off offset:220
	s_waitcnt vmcnt(1)
	global_store_dword v[6:7], v14, off
.LBB126_1284:
	s_or_b64 exec, exec, s[14:15]
	v_mov_b32_e32 v15, v4
	v_mov_b32_e32 v14, v4
.LBB126_1285:
	s_or_b64 exec, exec, s[12:13]
.LBB126_1286:
	s_andn2_saveexec_b64 s[0:1], s[0:1]
	s_cbranch_execz .LBB126_1288
; %bb.1287:
	scratch_load_dwordx4 v[4:7], off, s26
	scratch_load_dwordx4 v[16:19], off, s25
	;; [unrolled: 1-line block ×8, first 2 shown]
	v_mov_b32_e32 v15, 55
	s_waitcnt vmcnt(7)
	ds_write2_b64 v12, v[4:5], v[6:7] offset0:112 offset1:113
	s_waitcnt vmcnt(6)
	ds_write2_b64 v12, v[16:17], v[18:19] offset0:114 offset1:115
	;; [unrolled: 2-line block ×8, first 2 shown]
.LBB126_1288:
	s_or_b64 exec, exec, s[0:1]
	v_cmp_lt_i32_e32 vcc, 55, v15
	s_waitcnt lgkmcnt(0)
	s_barrier
	s_and_saveexec_b64 s[0:1], vcc
	s_cbranch_execz .LBB126_1290
; %bb.1289:
	scratch_load_dwordx4 v[4:7], off, off offset:880
	scratch_load_dwordx4 v[16:19], off, off offset:896
	scratch_load_dwordx4 v[20:23], off, off offset:912
	scratch_load_dwordx4 v[24:27], off, off offset:928
	scratch_load_dwordx4 v[28:31], off, off offset:944
	scratch_load_dwordx4 v[32:35], off, off offset:960
	scratch_load_dwordx4 v[36:39], off, off offset:976
	s_waitcnt vmcnt(6)
	v_mul_f64 v[40:41], v[2:3], v[6:7]
	v_mul_f64 v[42:43], v[0:1], v[6:7]
	v_fma_f64 v[40:41], v[0:1], v[4:5], -v[40:41]
	v_fmac_f64_e32 v[42:43], v[2:3], v[4:5]
	scratch_store_dwordx4 off, v[40:43], off offset:880
	scratch_load_dwordx4 v[0:3], off, off offset:880
	scratch_load_dwordx4 v[4:7], off, off offset:992
	;; [unrolled: 1-line block ×3, first 2 shown]
	ds_read2_b64 v[48:51], v12 offset0:112 offset1:113
	ds_read2_b64 v[52:55], v12 offset0:114 offset1:115
	;; [unrolled: 1-line block ×8, first 2 shown]
	s_waitcnt lgkmcnt(7)
	v_mul_f64 v[80:81], v[50:51], v[42:43]
	v_mul_f64 v[82:83], v[48:49], v[42:43]
	s_waitcnt lgkmcnt(6)
	v_mul_f64 v[84:85], v[54:55], v[42:43]
	v_mul_f64 v[86:87], v[52:53], v[42:43]
	;; [unrolled: 3-line block ×6, first 2 shown]
	v_fma_f64 v[48:49], v[48:49], v[40:41], -v[80:81]
	v_fmac_f64_e32 v[82:83], v[50:51], v[40:41]
	v_fma_f64 v[50:51], v[52:53], v[40:41], -v[84:85]
	v_fmac_f64_e32 v[86:87], v[54:55], v[40:41]
	;; [unrolled: 2-line block ×6, first 2 shown]
	s_waitcnt vmcnt(9)
	v_add_f64 v[16:17], v[16:17], -v[48:49]
	v_add_f64 v[18:19], v[18:19], -v[82:83]
	s_waitcnt vmcnt(8)
	v_add_f64 v[20:21], v[20:21], -v[50:51]
	v_add_f64 v[22:23], v[22:23], -v[86:87]
	;; [unrolled: 3-line block ×6, first 2 shown]
	scratch_store_dwordx4 off, v[16:19], off offset:896
	scratch_store_dwordx4 off, v[20:23], off offset:912
	;; [unrolled: 1-line block ×6, first 2 shown]
	s_waitcnt vmcnt(8) lgkmcnt(1)
	v_mul_f64 v[16:17], v[74:75], v[2:3]
	v_mul_f64 v[18:19], v[72:73], v[2:3]
	s_waitcnt lgkmcnt(0)
	v_mul_f64 v[20:21], v[78:79], v[2:3]
	v_mul_f64 v[22:23], v[76:77], v[2:3]
	v_fma_f64 v[2:3], v[72:73], v[0:1], -v[16:17]
	v_fmac_f64_e32 v[18:19], v[74:75], v[0:1]
	v_fma_f64 v[16:17], v[76:77], v[0:1], -v[20:21]
	v_fmac_f64_e32 v[22:23], v[78:79], v[0:1]
	s_waitcnt vmcnt(7)
	v_add_f64 v[0:1], v[4:5], -v[2:3]
	v_add_f64 v[2:3], v[6:7], -v[18:19]
	s_waitcnt vmcnt(6)
	v_add_f64 v[4:5], v[44:45], -v[16:17]
	v_add_f64 v[6:7], v[46:47], -v[22:23]
	scratch_store_dwordx4 off, v[0:3], off offset:992
	scratch_store_dwordx4 off, v[4:7], off offset:1008
.LBB126_1290:
	s_or_b64 exec, exec, s[0:1]
	s_barrier
	scratch_load_dwordx4 v[0:3], off, s26
	v_lshl_add_u32 v4, v15, 4, v12
	s_cmp_lt_i32 s67, 58
	s_waitcnt vmcnt(0)
	ds_write2_b64 v4, v[0:1], v[2:3] offset1:1
	s_waitcnt lgkmcnt(0)
	s_barrier
	ds_read2_b64 v[0:3], v12 offset0:112 offset1:113
	v_mov_b32_e32 v4, 56
	s_cbranch_scc1 .LBB126_1293
; %bb.1291:
	v_add_u32_e32 v5, 0x390, v12
	s_mov_b32 s4, 57
	v_mov_b32_e32 v4, 56
.LBB126_1292:                           ; =>This Inner Loop Header: Depth=1
	ds_read2_b64 v[16:19], v5 offset1:1
	s_waitcnt lgkmcnt(1)
	v_xor_b32_e32 v7, 0x80000000, v1
	v_xor_b32_e32 v21, 0x80000000, v3
	v_cmp_gt_f64_e32 vcc, 0, v[2:3]
	v_cmp_gt_f64_e64 s[0:1], 0, v[0:1]
	v_mov_b32_e32 v6, v0
	v_mov_b32_e32 v20, v2
	v_cndmask_b32_e64 v7, v1, v7, s[0:1]
	v_cndmask_b32_e32 v21, v3, v21, vcc
	v_add_f64 v[6:7], v[6:7], v[20:21]
	s_waitcnt lgkmcnt(0)
	v_xor_b32_e32 v21, 0x80000000, v17
	v_xor_b32_e32 v23, 0x80000000, v19
	v_cmp_gt_f64_e32 vcc, 0, v[18:19]
	v_cmp_gt_f64_e64 s[0:1], 0, v[16:17]
	v_mov_b32_e32 v20, v16
	v_mov_b32_e32 v22, v18
	v_cndmask_b32_e64 v21, v17, v21, s[0:1]
	v_cndmask_b32_e32 v23, v19, v23, vcc
	v_add_f64 v[20:21], v[20:21], v[22:23]
	v_mov_b32_e32 v24, s4
	s_add_i32 s4, s4, 1
	v_cmp_lt_f64_e32 vcc, v[6:7], v[20:21]
	v_add_u32_e32 v5, 16, v5
	s_cmp_lg_u32 s67, s4
	v_cndmask_b32_e32 v1, v1, v17, vcc
	v_cndmask_b32_e32 v0, v0, v16, vcc
	;; [unrolled: 1-line block ×5, first 2 shown]
	s_cbranch_scc1 .LBB126_1292
.LBB126_1293:
	s_waitcnt lgkmcnt(0)
	v_cmp_eq_f64_e32 vcc, 0, v[0:1]
	v_cmp_eq_f64_e64 s[0:1], 0, v[2:3]
	s_and_b64 s[0:1], vcc, s[0:1]
	s_and_saveexec_b64 s[4:5], s[0:1]
	s_xor_b64 s[0:1], exec, s[4:5]
; %bb.1294:
	v_cmp_ne_u32_e32 vcc, 0, v13
	s_nop 1
	v_cndmask_b32_e32 v13, 57, v13, vcc
; %bb.1295:
	s_andn2_saveexec_b64 s[0:1], s[0:1]
	s_cbranch_execz .LBB126_1301
; %bb.1296:
	v_cmp_ngt_f64_e64 s[4:5], |v[0:1]|, |v[2:3]|
	s_and_saveexec_b64 s[12:13], s[4:5]
	s_xor_b64 s[12:13], exec, s[12:13]
	s_cbranch_execz .LBB126_1298
; %bb.1297:
	v_div_scale_f64 v[6:7], s[4:5], v[2:3], v[2:3], v[0:1]
	v_rcp_f64_e32 v[16:17], v[6:7]
	v_div_scale_f64 v[18:19], vcc, v[0:1], v[2:3], v[0:1]
	v_fma_f64 v[20:21], -v[6:7], v[16:17], 1.0
	v_fmac_f64_e32 v[16:17], v[16:17], v[20:21]
	v_fma_f64 v[20:21], -v[6:7], v[16:17], 1.0
	v_fmac_f64_e32 v[16:17], v[16:17], v[20:21]
	v_mul_f64 v[20:21], v[18:19], v[16:17]
	v_fma_f64 v[6:7], -v[6:7], v[20:21], v[18:19]
	v_div_fmas_f64 v[6:7], v[6:7], v[16:17], v[20:21]
	v_div_fixup_f64 v[6:7], v[6:7], v[2:3], v[0:1]
	v_fmac_f64_e32 v[2:3], v[0:1], v[6:7]
	v_div_scale_f64 v[0:1], s[4:5], v[2:3], v[2:3], 1.0
	v_rcp_f64_e32 v[16:17], v[0:1]
	s_nop 0
	v_fma_f64 v[18:19], -v[0:1], v[16:17], 1.0
	v_fmac_f64_e32 v[16:17], v[16:17], v[18:19]
	v_fma_f64 v[18:19], -v[0:1], v[16:17], 1.0
	v_fmac_f64_e32 v[16:17], v[16:17], v[18:19]
	v_div_scale_f64 v[18:19], vcc, 1.0, v[2:3], 1.0
	v_mul_f64 v[20:21], v[18:19], v[16:17]
	v_fma_f64 v[0:1], -v[0:1], v[20:21], v[18:19]
	s_nop 1
	v_div_fmas_f64 v[0:1], v[0:1], v[16:17], v[20:21]
	v_div_fixup_f64 v[2:3], v[0:1], v[2:3], 1.0
	v_mul_f64 v[0:1], v[6:7], v[2:3]
	v_xor_b32_e32 v3, 0x80000000, v3
.LBB126_1298:
	s_andn2_saveexec_b64 s[12:13], s[12:13]
	s_cbranch_execz .LBB126_1300
; %bb.1299:
	v_div_scale_f64 v[6:7], s[4:5], v[0:1], v[0:1], v[2:3]
	v_rcp_f64_e32 v[16:17], v[6:7]
	v_div_scale_f64 v[18:19], vcc, v[2:3], v[0:1], v[2:3]
	v_fma_f64 v[20:21], -v[6:7], v[16:17], 1.0
	v_fmac_f64_e32 v[16:17], v[16:17], v[20:21]
	v_fma_f64 v[20:21], -v[6:7], v[16:17], 1.0
	v_fmac_f64_e32 v[16:17], v[16:17], v[20:21]
	v_mul_f64 v[20:21], v[18:19], v[16:17]
	v_fma_f64 v[6:7], -v[6:7], v[20:21], v[18:19]
	v_div_fmas_f64 v[6:7], v[6:7], v[16:17], v[20:21]
	v_div_fixup_f64 v[6:7], v[6:7], v[0:1], v[2:3]
	v_fmac_f64_e32 v[0:1], v[2:3], v[6:7]
	v_div_scale_f64 v[2:3], s[4:5], v[0:1], v[0:1], 1.0
	v_rcp_f64_e32 v[16:17], v[2:3]
	s_nop 0
	v_fma_f64 v[18:19], -v[2:3], v[16:17], 1.0
	v_fmac_f64_e32 v[16:17], v[16:17], v[18:19]
	v_fma_f64 v[18:19], -v[2:3], v[16:17], 1.0
	v_fmac_f64_e32 v[16:17], v[16:17], v[18:19]
	v_div_scale_f64 v[18:19], vcc, 1.0, v[0:1], 1.0
	v_mul_f64 v[20:21], v[18:19], v[16:17]
	v_fma_f64 v[2:3], -v[2:3], v[20:21], v[18:19]
	s_nop 1
	v_div_fmas_f64 v[2:3], v[2:3], v[16:17], v[20:21]
	v_div_fixup_f64 v[0:1], v[2:3], v[0:1], 1.0
	v_mul_f64 v[2:3], v[6:7], -v[0:1]
.LBB126_1300:
	s_or_b64 exec, exec, s[12:13]
.LBB126_1301:
	s_or_b64 exec, exec, s[0:1]
	v_cmp_ne_u32_e32 vcc, v15, v4
	s_and_saveexec_b64 s[0:1], vcc
	s_xor_b64 s[0:1], exec, s[0:1]
	s_cbranch_execz .LBB126_1307
; %bb.1302:
	v_cmp_eq_u32_e32 vcc, 56, v15
	s_and_saveexec_b64 s[12:13], vcc
	s_cbranch_execz .LBB126_1306
; %bb.1303:
	v_cmp_ne_u32_e32 vcc, 56, v4
	s_xor_b64 s[4:5], s[8:9], -1
	s_and_b64 s[4:5], s[4:5], vcc
	s_and_saveexec_b64 s[14:15], s[4:5]
	s_cbranch_execz .LBB126_1305
; %bb.1304:
	v_ashrrev_i32_e32 v5, 31, v4
	v_lshl_add_u64 v[6:7], v[4:5], 2, v[10:11]
	global_load_dword v5, v[6:7], off
	global_load_dword v14, v[10:11], off offset:224
	s_waitcnt vmcnt(1)
	global_store_dword v[10:11], v5, off offset:224
	s_waitcnt vmcnt(1)
	global_store_dword v[6:7], v14, off
.LBB126_1305:
	s_or_b64 exec, exec, s[14:15]
	v_mov_b32_e32 v15, v4
	v_mov_b32_e32 v14, v4
.LBB126_1306:
	s_or_b64 exec, exec, s[12:13]
.LBB126_1307:
	s_andn2_saveexec_b64 s[0:1], s[0:1]
	s_cbranch_execz .LBB126_1309
; %bb.1308:
	scratch_load_dwordx4 v[4:7], off, s25
	scratch_load_dwordx4 v[16:19], off, s24
	;; [unrolled: 1-line block ×7, first 2 shown]
	v_mov_b32_e32 v15, 56
	s_waitcnt vmcnt(6)
	ds_write2_b64 v12, v[4:5], v[6:7] offset0:114 offset1:115
	s_waitcnt vmcnt(5)
	ds_write2_b64 v12, v[16:17], v[18:19] offset0:116 offset1:117
	;; [unrolled: 2-line block ×7, first 2 shown]
.LBB126_1309:
	s_or_b64 exec, exec, s[0:1]
	v_cmp_lt_i32_e32 vcc, 56, v15
	s_waitcnt lgkmcnt(0)
	s_barrier
	s_and_saveexec_b64 s[0:1], vcc
	s_cbranch_execz .LBB126_1311
; %bb.1310:
	scratch_load_dwordx4 v[4:7], off, off offset:896
	scratch_load_dwordx4 v[16:19], off, off offset:912
	;; [unrolled: 1-line block ×7, first 2 shown]
	s_waitcnt vmcnt(6)
	v_mul_f64 v[40:41], v[2:3], v[6:7]
	v_mul_f64 v[42:43], v[0:1], v[6:7]
	v_fma_f64 v[40:41], v[0:1], v[4:5], -v[40:41]
	v_fmac_f64_e32 v[42:43], v[2:3], v[4:5]
	scratch_store_dwordx4 off, v[40:43], off offset:896
	scratch_load_dwordx4 v[0:3], off, off offset:896
	scratch_load_dwordx4 v[4:7], off, off offset:1008
	ds_read2_b64 v[44:47], v12 offset0:114 offset1:115
	ds_read2_b64 v[48:51], v12 offset0:116 offset1:117
	;; [unrolled: 1-line block ×7, first 2 shown]
	s_waitcnt lgkmcnt(6)
	v_mul_f64 v[72:73], v[46:47], v[42:43]
	v_mul_f64 v[74:75], v[44:45], v[42:43]
	s_waitcnt lgkmcnt(5)
	v_mul_f64 v[76:77], v[50:51], v[42:43]
	v_mul_f64 v[78:79], v[48:49], v[42:43]
	;; [unrolled: 3-line block ×6, first 2 shown]
	v_fma_f64 v[44:45], v[44:45], v[40:41], -v[72:73]
	v_fmac_f64_e32 v[74:75], v[46:47], v[40:41]
	v_fma_f64 v[46:47], v[48:49], v[40:41], -v[76:77]
	v_fmac_f64_e32 v[78:79], v[50:51], v[40:41]
	;; [unrolled: 2-line block ×6, first 2 shown]
	s_waitcnt vmcnt(8)
	v_add_f64 v[16:17], v[16:17], -v[44:45]
	v_add_f64 v[18:19], v[18:19], -v[74:75]
	s_waitcnt vmcnt(7)
	v_add_f64 v[20:21], v[20:21], -v[46:47]
	v_add_f64 v[22:23], v[22:23], -v[78:79]
	;; [unrolled: 3-line block ×6, first 2 shown]
	scratch_store_dwordx4 off, v[16:19], off offset:912
	scratch_store_dwordx4 off, v[20:23], off offset:928
	;; [unrolled: 1-line block ×6, first 2 shown]
	s_waitcnt vmcnt(7) lgkmcnt(0)
	v_mul_f64 v[16:17], v[70:71], v[2:3]
	v_mul_f64 v[2:3], v[68:69], v[2:3]
	v_fma_f64 v[16:17], v[68:69], v[0:1], -v[16:17]
	v_fmac_f64_e32 v[2:3], v[70:71], v[0:1]
	s_waitcnt vmcnt(6)
	v_add_f64 v[0:1], v[4:5], -v[16:17]
	v_add_f64 v[2:3], v[6:7], -v[2:3]
	scratch_store_dwordx4 off, v[0:3], off offset:1008
.LBB126_1311:
	s_or_b64 exec, exec, s[0:1]
	s_barrier
	scratch_load_dwordx4 v[0:3], off, s25
	v_lshl_add_u32 v4, v15, 4, v12
	s_cmp_lt_i32 s67, 59
	s_waitcnt vmcnt(0)
	ds_write2_b64 v4, v[0:1], v[2:3] offset1:1
	s_waitcnt lgkmcnt(0)
	s_barrier
	ds_read2_b64 v[0:3], v12 offset0:114 offset1:115
	v_mov_b32_e32 v4, 57
	s_cbranch_scc1 .LBB126_1314
; %bb.1312:
	v_add_u32_e32 v5, 0x3a0, v12
	s_mov_b32 s4, 58
	v_mov_b32_e32 v4, 57
.LBB126_1313:                           ; =>This Inner Loop Header: Depth=1
	ds_read2_b64 v[16:19], v5 offset1:1
	s_waitcnt lgkmcnt(1)
	v_xor_b32_e32 v7, 0x80000000, v1
	v_xor_b32_e32 v21, 0x80000000, v3
	v_cmp_gt_f64_e32 vcc, 0, v[2:3]
	v_cmp_gt_f64_e64 s[0:1], 0, v[0:1]
	v_mov_b32_e32 v6, v0
	v_mov_b32_e32 v20, v2
	v_cndmask_b32_e64 v7, v1, v7, s[0:1]
	v_cndmask_b32_e32 v21, v3, v21, vcc
	v_add_f64 v[6:7], v[6:7], v[20:21]
	s_waitcnt lgkmcnt(0)
	v_xor_b32_e32 v21, 0x80000000, v17
	v_xor_b32_e32 v23, 0x80000000, v19
	v_cmp_gt_f64_e32 vcc, 0, v[18:19]
	v_cmp_gt_f64_e64 s[0:1], 0, v[16:17]
	v_mov_b32_e32 v20, v16
	v_mov_b32_e32 v22, v18
	v_cndmask_b32_e64 v21, v17, v21, s[0:1]
	v_cndmask_b32_e32 v23, v19, v23, vcc
	v_add_f64 v[20:21], v[20:21], v[22:23]
	v_mov_b32_e32 v24, s4
	s_add_i32 s4, s4, 1
	v_cmp_lt_f64_e32 vcc, v[6:7], v[20:21]
	v_add_u32_e32 v5, 16, v5
	s_cmp_lg_u32 s67, s4
	v_cndmask_b32_e32 v1, v1, v17, vcc
	v_cndmask_b32_e32 v0, v0, v16, vcc
	v_cndmask_b32_e32 v3, v3, v19, vcc
	v_cndmask_b32_e32 v2, v2, v18, vcc
	v_cndmask_b32_e32 v4, v4, v24, vcc
	s_cbranch_scc1 .LBB126_1313
.LBB126_1314:
	s_waitcnt lgkmcnt(0)
	v_cmp_eq_f64_e32 vcc, 0, v[0:1]
	v_cmp_eq_f64_e64 s[0:1], 0, v[2:3]
	s_and_b64 s[0:1], vcc, s[0:1]
	s_and_saveexec_b64 s[4:5], s[0:1]
	s_xor_b64 s[0:1], exec, s[4:5]
; %bb.1315:
	v_cmp_ne_u32_e32 vcc, 0, v13
	s_nop 1
	v_cndmask_b32_e32 v13, 58, v13, vcc
; %bb.1316:
	s_andn2_saveexec_b64 s[0:1], s[0:1]
	s_cbranch_execz .LBB126_1322
; %bb.1317:
	v_cmp_ngt_f64_e64 s[4:5], |v[0:1]|, |v[2:3]|
	s_and_saveexec_b64 s[12:13], s[4:5]
	s_xor_b64 s[12:13], exec, s[12:13]
	s_cbranch_execz .LBB126_1319
; %bb.1318:
	v_div_scale_f64 v[6:7], s[4:5], v[2:3], v[2:3], v[0:1]
	v_rcp_f64_e32 v[16:17], v[6:7]
	v_div_scale_f64 v[18:19], vcc, v[0:1], v[2:3], v[0:1]
	v_fma_f64 v[20:21], -v[6:7], v[16:17], 1.0
	v_fmac_f64_e32 v[16:17], v[16:17], v[20:21]
	v_fma_f64 v[20:21], -v[6:7], v[16:17], 1.0
	v_fmac_f64_e32 v[16:17], v[16:17], v[20:21]
	v_mul_f64 v[20:21], v[18:19], v[16:17]
	v_fma_f64 v[6:7], -v[6:7], v[20:21], v[18:19]
	v_div_fmas_f64 v[6:7], v[6:7], v[16:17], v[20:21]
	v_div_fixup_f64 v[6:7], v[6:7], v[2:3], v[0:1]
	v_fmac_f64_e32 v[2:3], v[0:1], v[6:7]
	v_div_scale_f64 v[0:1], s[4:5], v[2:3], v[2:3], 1.0
	v_rcp_f64_e32 v[16:17], v[0:1]
	s_nop 0
	v_fma_f64 v[18:19], -v[0:1], v[16:17], 1.0
	v_fmac_f64_e32 v[16:17], v[16:17], v[18:19]
	v_fma_f64 v[18:19], -v[0:1], v[16:17], 1.0
	v_fmac_f64_e32 v[16:17], v[16:17], v[18:19]
	v_div_scale_f64 v[18:19], vcc, 1.0, v[2:3], 1.0
	v_mul_f64 v[20:21], v[18:19], v[16:17]
	v_fma_f64 v[0:1], -v[0:1], v[20:21], v[18:19]
	s_nop 1
	v_div_fmas_f64 v[0:1], v[0:1], v[16:17], v[20:21]
	v_div_fixup_f64 v[2:3], v[0:1], v[2:3], 1.0
	v_mul_f64 v[0:1], v[6:7], v[2:3]
	v_xor_b32_e32 v3, 0x80000000, v3
.LBB126_1319:
	s_andn2_saveexec_b64 s[12:13], s[12:13]
	s_cbranch_execz .LBB126_1321
; %bb.1320:
	v_div_scale_f64 v[6:7], s[4:5], v[0:1], v[0:1], v[2:3]
	v_rcp_f64_e32 v[16:17], v[6:7]
	v_div_scale_f64 v[18:19], vcc, v[2:3], v[0:1], v[2:3]
	v_fma_f64 v[20:21], -v[6:7], v[16:17], 1.0
	v_fmac_f64_e32 v[16:17], v[16:17], v[20:21]
	v_fma_f64 v[20:21], -v[6:7], v[16:17], 1.0
	v_fmac_f64_e32 v[16:17], v[16:17], v[20:21]
	v_mul_f64 v[20:21], v[18:19], v[16:17]
	v_fma_f64 v[6:7], -v[6:7], v[20:21], v[18:19]
	v_div_fmas_f64 v[6:7], v[6:7], v[16:17], v[20:21]
	v_div_fixup_f64 v[6:7], v[6:7], v[0:1], v[2:3]
	v_fmac_f64_e32 v[0:1], v[2:3], v[6:7]
	v_div_scale_f64 v[2:3], s[4:5], v[0:1], v[0:1], 1.0
	v_rcp_f64_e32 v[16:17], v[2:3]
	s_nop 0
	v_fma_f64 v[18:19], -v[2:3], v[16:17], 1.0
	v_fmac_f64_e32 v[16:17], v[16:17], v[18:19]
	v_fma_f64 v[18:19], -v[2:3], v[16:17], 1.0
	v_fmac_f64_e32 v[16:17], v[16:17], v[18:19]
	v_div_scale_f64 v[18:19], vcc, 1.0, v[0:1], 1.0
	v_mul_f64 v[20:21], v[18:19], v[16:17]
	v_fma_f64 v[2:3], -v[2:3], v[20:21], v[18:19]
	s_nop 1
	v_div_fmas_f64 v[2:3], v[2:3], v[16:17], v[20:21]
	v_div_fixup_f64 v[0:1], v[2:3], v[0:1], 1.0
	v_mul_f64 v[2:3], v[6:7], -v[0:1]
.LBB126_1321:
	s_or_b64 exec, exec, s[12:13]
.LBB126_1322:
	s_or_b64 exec, exec, s[0:1]
	v_cmp_ne_u32_e32 vcc, v15, v4
	s_and_saveexec_b64 s[0:1], vcc
	s_xor_b64 s[0:1], exec, s[0:1]
	s_cbranch_execz .LBB126_1328
; %bb.1323:
	v_cmp_eq_u32_e32 vcc, 57, v15
	s_and_saveexec_b64 s[12:13], vcc
	s_cbranch_execz .LBB126_1327
; %bb.1324:
	v_cmp_ne_u32_e32 vcc, 57, v4
	s_xor_b64 s[4:5], s[8:9], -1
	s_and_b64 s[4:5], s[4:5], vcc
	s_and_saveexec_b64 s[14:15], s[4:5]
	s_cbranch_execz .LBB126_1326
; %bb.1325:
	v_ashrrev_i32_e32 v5, 31, v4
	v_lshl_add_u64 v[6:7], v[4:5], 2, v[10:11]
	global_load_dword v5, v[6:7], off
	global_load_dword v14, v[10:11], off offset:228
	s_waitcnt vmcnt(1)
	global_store_dword v[10:11], v5, off offset:228
	s_waitcnt vmcnt(1)
	global_store_dword v[6:7], v14, off
.LBB126_1326:
	s_or_b64 exec, exec, s[14:15]
	v_mov_b32_e32 v15, v4
	v_mov_b32_e32 v14, v4
.LBB126_1327:
	s_or_b64 exec, exec, s[12:13]
.LBB126_1328:
	s_andn2_saveexec_b64 s[0:1], s[0:1]
	s_cbranch_execz .LBB126_1330
; %bb.1329:
	scratch_load_dwordx4 v[4:7], off, s24
	scratch_load_dwordx4 v[16:19], off, s23
	;; [unrolled: 1-line block ×6, first 2 shown]
	v_mov_b32_e32 v15, 57
	s_waitcnt vmcnt(5)
	ds_write2_b64 v12, v[4:5], v[6:7] offset0:116 offset1:117
	s_waitcnt vmcnt(4)
	ds_write2_b64 v12, v[16:17], v[18:19] offset0:118 offset1:119
	;; [unrolled: 2-line block ×6, first 2 shown]
.LBB126_1330:
	s_or_b64 exec, exec, s[0:1]
	v_cmp_lt_i32_e32 vcc, 57, v15
	s_waitcnt lgkmcnt(0)
	s_barrier
	s_and_saveexec_b64 s[0:1], vcc
	s_cbranch_execz .LBB126_1332
; %bb.1331:
	scratch_load_dwordx4 v[4:7], off, off offset:912
	scratch_load_dwordx4 v[16:19], off, off offset:928
	;; [unrolled: 1-line block ×7, first 2 shown]
	ds_read2_b64 v[40:43], v12 offset0:116 offset1:117
	ds_read2_b64 v[44:47], v12 offset0:118 offset1:119
	;; [unrolled: 1-line block ×6, first 2 shown]
	s_waitcnt vmcnt(6)
	v_mul_f64 v[66:67], v[0:1], v[6:7]
	v_mul_f64 v[64:65], v[2:3], v[6:7]
	v_fmac_f64_e32 v[66:67], v[2:3], v[4:5]
	v_fma_f64 v[64:65], v[0:1], v[4:5], -v[64:65]
	s_waitcnt lgkmcnt(5)
	v_mul_f64 v[0:1], v[42:43], v[66:67]
	v_mul_f64 v[2:3], v[40:41], v[66:67]
	scratch_store_dwordx4 off, v[64:67], off offset:912
	s_waitcnt lgkmcnt(4)
	v_mul_f64 v[4:5], v[46:47], v[66:67]
	v_mul_f64 v[6:7], v[44:45], v[66:67]
	s_waitcnt lgkmcnt(3)
	v_mul_f64 v[68:69], v[50:51], v[66:67]
	v_mul_f64 v[70:71], v[48:49], v[66:67]
	;; [unrolled: 3-line block ×5, first 2 shown]
	v_fma_f64 v[0:1], v[40:41], v[64:65], -v[0:1]
	v_fmac_f64_e32 v[2:3], v[42:43], v[64:65]
	v_fma_f64 v[4:5], v[44:45], v[64:65], -v[4:5]
	v_fmac_f64_e32 v[6:7], v[46:47], v[64:65]
	;; [unrolled: 2-line block ×6, first 2 shown]
	s_waitcnt vmcnt(6)
	v_add_f64 v[0:1], v[16:17], -v[0:1]
	v_add_f64 v[2:3], v[18:19], -v[2:3]
	s_waitcnt vmcnt(5)
	v_add_f64 v[4:5], v[20:21], -v[4:5]
	v_add_f64 v[6:7], v[22:23], -v[6:7]
	;; [unrolled: 3-line block ×6, first 2 shown]
	scratch_store_dwordx4 off, v[0:3], off offset:928
	scratch_store_dwordx4 off, v[4:7], off offset:944
	;; [unrolled: 1-line block ×6, first 2 shown]
.LBB126_1332:
	s_or_b64 exec, exec, s[0:1]
	s_barrier
	scratch_load_dwordx4 v[0:3], off, s24
	v_lshl_add_u32 v4, v15, 4, v12
	s_cmp_lt_i32 s67, 60
	s_waitcnt vmcnt(0)
	ds_write2_b64 v4, v[0:1], v[2:3] offset1:1
	s_waitcnt lgkmcnt(0)
	s_barrier
	ds_read2_b64 v[0:3], v12 offset0:116 offset1:117
	v_mov_b32_e32 v4, 58
	s_cbranch_scc1 .LBB126_1335
; %bb.1333:
	v_add_u32_e32 v5, 0x3b0, v12
	s_mov_b32 s4, 59
	v_mov_b32_e32 v4, 58
.LBB126_1334:                           ; =>This Inner Loop Header: Depth=1
	ds_read2_b64 v[16:19], v5 offset1:1
	s_waitcnt lgkmcnt(1)
	v_xor_b32_e32 v7, 0x80000000, v1
	v_xor_b32_e32 v21, 0x80000000, v3
	v_cmp_gt_f64_e32 vcc, 0, v[2:3]
	v_cmp_gt_f64_e64 s[0:1], 0, v[0:1]
	v_mov_b32_e32 v6, v0
	v_mov_b32_e32 v20, v2
	v_cndmask_b32_e64 v7, v1, v7, s[0:1]
	v_cndmask_b32_e32 v21, v3, v21, vcc
	v_add_f64 v[6:7], v[6:7], v[20:21]
	s_waitcnt lgkmcnt(0)
	v_xor_b32_e32 v21, 0x80000000, v17
	v_xor_b32_e32 v23, 0x80000000, v19
	v_cmp_gt_f64_e32 vcc, 0, v[18:19]
	v_cmp_gt_f64_e64 s[0:1], 0, v[16:17]
	v_mov_b32_e32 v20, v16
	v_mov_b32_e32 v22, v18
	v_cndmask_b32_e64 v21, v17, v21, s[0:1]
	v_cndmask_b32_e32 v23, v19, v23, vcc
	v_add_f64 v[20:21], v[20:21], v[22:23]
	v_mov_b32_e32 v24, s4
	s_add_i32 s4, s4, 1
	v_cmp_lt_f64_e32 vcc, v[6:7], v[20:21]
	v_add_u32_e32 v5, 16, v5
	s_cmp_lg_u32 s67, s4
	v_cndmask_b32_e32 v1, v1, v17, vcc
	v_cndmask_b32_e32 v0, v0, v16, vcc
	;; [unrolled: 1-line block ×5, first 2 shown]
	s_cbranch_scc1 .LBB126_1334
.LBB126_1335:
	s_waitcnt lgkmcnt(0)
	v_cmp_eq_f64_e32 vcc, 0, v[0:1]
	v_cmp_eq_f64_e64 s[0:1], 0, v[2:3]
	s_and_b64 s[0:1], vcc, s[0:1]
	s_and_saveexec_b64 s[4:5], s[0:1]
	s_xor_b64 s[0:1], exec, s[4:5]
; %bb.1336:
	v_cmp_ne_u32_e32 vcc, 0, v13
	s_nop 1
	v_cndmask_b32_e32 v13, 59, v13, vcc
; %bb.1337:
	s_andn2_saveexec_b64 s[0:1], s[0:1]
	s_cbranch_execz .LBB126_1343
; %bb.1338:
	v_cmp_ngt_f64_e64 s[4:5], |v[0:1]|, |v[2:3]|
	s_and_saveexec_b64 s[12:13], s[4:5]
	s_xor_b64 s[12:13], exec, s[12:13]
	s_cbranch_execz .LBB126_1340
; %bb.1339:
	v_div_scale_f64 v[6:7], s[4:5], v[2:3], v[2:3], v[0:1]
	v_rcp_f64_e32 v[16:17], v[6:7]
	v_div_scale_f64 v[18:19], vcc, v[0:1], v[2:3], v[0:1]
	v_fma_f64 v[20:21], -v[6:7], v[16:17], 1.0
	v_fmac_f64_e32 v[16:17], v[16:17], v[20:21]
	v_fma_f64 v[20:21], -v[6:7], v[16:17], 1.0
	v_fmac_f64_e32 v[16:17], v[16:17], v[20:21]
	v_mul_f64 v[20:21], v[18:19], v[16:17]
	v_fma_f64 v[6:7], -v[6:7], v[20:21], v[18:19]
	v_div_fmas_f64 v[6:7], v[6:7], v[16:17], v[20:21]
	v_div_fixup_f64 v[6:7], v[6:7], v[2:3], v[0:1]
	v_fmac_f64_e32 v[2:3], v[0:1], v[6:7]
	v_div_scale_f64 v[0:1], s[4:5], v[2:3], v[2:3], 1.0
	v_rcp_f64_e32 v[16:17], v[0:1]
	s_nop 0
	v_fma_f64 v[18:19], -v[0:1], v[16:17], 1.0
	v_fmac_f64_e32 v[16:17], v[16:17], v[18:19]
	v_fma_f64 v[18:19], -v[0:1], v[16:17], 1.0
	v_fmac_f64_e32 v[16:17], v[16:17], v[18:19]
	v_div_scale_f64 v[18:19], vcc, 1.0, v[2:3], 1.0
	v_mul_f64 v[20:21], v[18:19], v[16:17]
	v_fma_f64 v[0:1], -v[0:1], v[20:21], v[18:19]
	s_nop 1
	v_div_fmas_f64 v[0:1], v[0:1], v[16:17], v[20:21]
	v_div_fixup_f64 v[2:3], v[0:1], v[2:3], 1.0
	v_mul_f64 v[0:1], v[6:7], v[2:3]
	v_xor_b32_e32 v3, 0x80000000, v3
.LBB126_1340:
	s_andn2_saveexec_b64 s[12:13], s[12:13]
	s_cbranch_execz .LBB126_1342
; %bb.1341:
	v_div_scale_f64 v[6:7], s[4:5], v[0:1], v[0:1], v[2:3]
	v_rcp_f64_e32 v[16:17], v[6:7]
	v_div_scale_f64 v[18:19], vcc, v[2:3], v[0:1], v[2:3]
	v_fma_f64 v[20:21], -v[6:7], v[16:17], 1.0
	v_fmac_f64_e32 v[16:17], v[16:17], v[20:21]
	v_fma_f64 v[20:21], -v[6:7], v[16:17], 1.0
	v_fmac_f64_e32 v[16:17], v[16:17], v[20:21]
	v_mul_f64 v[20:21], v[18:19], v[16:17]
	v_fma_f64 v[6:7], -v[6:7], v[20:21], v[18:19]
	v_div_fmas_f64 v[6:7], v[6:7], v[16:17], v[20:21]
	v_div_fixup_f64 v[6:7], v[6:7], v[0:1], v[2:3]
	v_fmac_f64_e32 v[0:1], v[2:3], v[6:7]
	v_div_scale_f64 v[2:3], s[4:5], v[0:1], v[0:1], 1.0
	v_rcp_f64_e32 v[16:17], v[2:3]
	s_nop 0
	v_fma_f64 v[18:19], -v[2:3], v[16:17], 1.0
	v_fmac_f64_e32 v[16:17], v[16:17], v[18:19]
	v_fma_f64 v[18:19], -v[2:3], v[16:17], 1.0
	v_fmac_f64_e32 v[16:17], v[16:17], v[18:19]
	v_div_scale_f64 v[18:19], vcc, 1.0, v[0:1], 1.0
	v_mul_f64 v[20:21], v[18:19], v[16:17]
	v_fma_f64 v[2:3], -v[2:3], v[20:21], v[18:19]
	s_nop 1
	v_div_fmas_f64 v[2:3], v[2:3], v[16:17], v[20:21]
	v_div_fixup_f64 v[0:1], v[2:3], v[0:1], 1.0
	v_mul_f64 v[2:3], v[6:7], -v[0:1]
.LBB126_1342:
	s_or_b64 exec, exec, s[12:13]
.LBB126_1343:
	s_or_b64 exec, exec, s[0:1]
	v_cmp_ne_u32_e32 vcc, v15, v4
	s_and_saveexec_b64 s[0:1], vcc
	s_xor_b64 s[0:1], exec, s[0:1]
	s_cbranch_execz .LBB126_1349
; %bb.1344:
	v_cmp_eq_u32_e32 vcc, 58, v15
	s_and_saveexec_b64 s[12:13], vcc
	s_cbranch_execz .LBB126_1348
; %bb.1345:
	v_cmp_ne_u32_e32 vcc, 58, v4
	s_xor_b64 s[4:5], s[8:9], -1
	s_and_b64 s[4:5], s[4:5], vcc
	s_and_saveexec_b64 s[14:15], s[4:5]
	s_cbranch_execz .LBB126_1347
; %bb.1346:
	v_ashrrev_i32_e32 v5, 31, v4
	v_lshl_add_u64 v[6:7], v[4:5], 2, v[10:11]
	global_load_dword v5, v[6:7], off
	global_load_dword v14, v[10:11], off offset:232
	s_waitcnt vmcnt(1)
	global_store_dword v[10:11], v5, off offset:232
	s_waitcnt vmcnt(1)
	global_store_dword v[6:7], v14, off
.LBB126_1347:
	s_or_b64 exec, exec, s[14:15]
	v_mov_b32_e32 v15, v4
	v_mov_b32_e32 v14, v4
.LBB126_1348:
	s_or_b64 exec, exec, s[12:13]
.LBB126_1349:
	s_andn2_saveexec_b64 s[0:1], s[0:1]
	s_cbranch_execz .LBB126_1351
; %bb.1350:
	scratch_load_dwordx4 v[4:7], off, s23
	scratch_load_dwordx4 v[16:19], off, s22
	;; [unrolled: 1-line block ×5, first 2 shown]
	v_mov_b32_e32 v15, 58
	s_waitcnt vmcnt(4)
	ds_write2_b64 v12, v[4:5], v[6:7] offset0:118 offset1:119
	s_waitcnt vmcnt(3)
	ds_write2_b64 v12, v[16:17], v[18:19] offset0:120 offset1:121
	;; [unrolled: 2-line block ×5, first 2 shown]
.LBB126_1351:
	s_or_b64 exec, exec, s[0:1]
	v_cmp_lt_i32_e32 vcc, 58, v15
	s_waitcnt lgkmcnt(0)
	s_barrier
	s_and_saveexec_b64 s[0:1], vcc
	s_cbranch_execz .LBB126_1353
; %bb.1352:
	scratch_load_dwordx4 v[4:7], off, off offset:928
	scratch_load_dwordx4 v[16:19], off, off offset:944
	;; [unrolled: 1-line block ×6, first 2 shown]
	ds_read2_b64 v[36:39], v12 offset0:118 offset1:119
	ds_read2_b64 v[40:43], v12 offset0:120 offset1:121
	;; [unrolled: 1-line block ×5, first 2 shown]
	s_waitcnt vmcnt(5)
	v_mul_f64 v[58:59], v[0:1], v[6:7]
	v_mul_f64 v[56:57], v[2:3], v[6:7]
	v_fmac_f64_e32 v[58:59], v[2:3], v[4:5]
	v_fma_f64 v[56:57], v[0:1], v[4:5], -v[56:57]
	s_waitcnt lgkmcnt(4)
	v_mul_f64 v[0:1], v[38:39], v[58:59]
	v_mul_f64 v[2:3], v[36:37], v[58:59]
	scratch_store_dwordx4 off, v[56:59], off offset:928
	s_waitcnt lgkmcnt(3)
	v_mul_f64 v[4:5], v[42:43], v[58:59]
	v_mul_f64 v[6:7], v[40:41], v[58:59]
	s_waitcnt lgkmcnt(2)
	v_mul_f64 v[60:61], v[46:47], v[58:59]
	v_mul_f64 v[62:63], v[44:45], v[58:59]
	;; [unrolled: 3-line block ×4, first 2 shown]
	v_fma_f64 v[0:1], v[36:37], v[56:57], -v[0:1]
	v_fmac_f64_e32 v[2:3], v[38:39], v[56:57]
	v_fma_f64 v[4:5], v[40:41], v[56:57], -v[4:5]
	v_fmac_f64_e32 v[6:7], v[42:43], v[56:57]
	;; [unrolled: 2-line block ×5, first 2 shown]
	s_waitcnt vmcnt(5)
	v_add_f64 v[0:1], v[16:17], -v[0:1]
	v_add_f64 v[2:3], v[18:19], -v[2:3]
	s_waitcnt vmcnt(4)
	v_add_f64 v[4:5], v[20:21], -v[4:5]
	v_add_f64 v[6:7], v[22:23], -v[6:7]
	;; [unrolled: 3-line block ×5, first 2 shown]
	scratch_store_dwordx4 off, v[0:3], off offset:944
	scratch_store_dwordx4 off, v[4:7], off offset:960
	;; [unrolled: 1-line block ×5, first 2 shown]
.LBB126_1353:
	s_or_b64 exec, exec, s[0:1]
	s_barrier
	scratch_load_dwordx4 v[0:3], off, s23
	v_lshl_add_u32 v4, v15, 4, v12
	s_cmp_lt_i32 s67, 61
	s_waitcnt vmcnt(0)
	ds_write2_b64 v4, v[0:1], v[2:3] offset1:1
	s_waitcnt lgkmcnt(0)
	s_barrier
	ds_read2_b64 v[0:3], v12 offset0:118 offset1:119
	v_mov_b32_e32 v4, 59
	s_cbranch_scc1 .LBB126_1356
; %bb.1354:
	v_add_u32_e32 v5, 0x3c0, v12
	s_mov_b32 s4, 60
	v_mov_b32_e32 v4, 59
.LBB126_1355:                           ; =>This Inner Loop Header: Depth=1
	ds_read2_b64 v[16:19], v5 offset1:1
	s_waitcnt lgkmcnt(1)
	v_xor_b32_e32 v7, 0x80000000, v1
	v_xor_b32_e32 v21, 0x80000000, v3
	v_cmp_gt_f64_e32 vcc, 0, v[2:3]
	v_cmp_gt_f64_e64 s[0:1], 0, v[0:1]
	v_mov_b32_e32 v6, v0
	v_mov_b32_e32 v20, v2
	v_cndmask_b32_e64 v7, v1, v7, s[0:1]
	v_cndmask_b32_e32 v21, v3, v21, vcc
	v_add_f64 v[6:7], v[6:7], v[20:21]
	s_waitcnt lgkmcnt(0)
	v_xor_b32_e32 v21, 0x80000000, v17
	v_xor_b32_e32 v23, 0x80000000, v19
	v_cmp_gt_f64_e32 vcc, 0, v[18:19]
	v_cmp_gt_f64_e64 s[0:1], 0, v[16:17]
	v_mov_b32_e32 v20, v16
	v_mov_b32_e32 v22, v18
	v_cndmask_b32_e64 v21, v17, v21, s[0:1]
	v_cndmask_b32_e32 v23, v19, v23, vcc
	v_add_f64 v[20:21], v[20:21], v[22:23]
	v_mov_b32_e32 v24, s4
	s_add_i32 s4, s4, 1
	v_cmp_lt_f64_e32 vcc, v[6:7], v[20:21]
	v_add_u32_e32 v5, 16, v5
	s_cmp_lg_u32 s67, s4
	v_cndmask_b32_e32 v1, v1, v17, vcc
	v_cndmask_b32_e32 v0, v0, v16, vcc
	;; [unrolled: 1-line block ×5, first 2 shown]
	s_cbranch_scc1 .LBB126_1355
.LBB126_1356:
	s_waitcnt lgkmcnt(0)
	v_cmp_eq_f64_e32 vcc, 0, v[0:1]
	v_cmp_eq_f64_e64 s[0:1], 0, v[2:3]
	s_and_b64 s[0:1], vcc, s[0:1]
	s_and_saveexec_b64 s[4:5], s[0:1]
	s_xor_b64 s[0:1], exec, s[4:5]
; %bb.1357:
	v_cmp_ne_u32_e32 vcc, 0, v13
	s_nop 1
	v_cndmask_b32_e32 v13, 60, v13, vcc
; %bb.1358:
	s_andn2_saveexec_b64 s[0:1], s[0:1]
	s_cbranch_execz .LBB126_1364
; %bb.1359:
	v_cmp_ngt_f64_e64 s[4:5], |v[0:1]|, |v[2:3]|
	s_and_saveexec_b64 s[12:13], s[4:5]
	s_xor_b64 s[12:13], exec, s[12:13]
	s_cbranch_execz .LBB126_1361
; %bb.1360:
	v_div_scale_f64 v[6:7], s[4:5], v[2:3], v[2:3], v[0:1]
	v_rcp_f64_e32 v[16:17], v[6:7]
	v_div_scale_f64 v[18:19], vcc, v[0:1], v[2:3], v[0:1]
	v_fma_f64 v[20:21], -v[6:7], v[16:17], 1.0
	v_fmac_f64_e32 v[16:17], v[16:17], v[20:21]
	v_fma_f64 v[20:21], -v[6:7], v[16:17], 1.0
	v_fmac_f64_e32 v[16:17], v[16:17], v[20:21]
	v_mul_f64 v[20:21], v[18:19], v[16:17]
	v_fma_f64 v[6:7], -v[6:7], v[20:21], v[18:19]
	v_div_fmas_f64 v[6:7], v[6:7], v[16:17], v[20:21]
	v_div_fixup_f64 v[6:7], v[6:7], v[2:3], v[0:1]
	v_fmac_f64_e32 v[2:3], v[0:1], v[6:7]
	v_div_scale_f64 v[0:1], s[4:5], v[2:3], v[2:3], 1.0
	v_rcp_f64_e32 v[16:17], v[0:1]
	s_nop 0
	v_fma_f64 v[18:19], -v[0:1], v[16:17], 1.0
	v_fmac_f64_e32 v[16:17], v[16:17], v[18:19]
	v_fma_f64 v[18:19], -v[0:1], v[16:17], 1.0
	v_fmac_f64_e32 v[16:17], v[16:17], v[18:19]
	v_div_scale_f64 v[18:19], vcc, 1.0, v[2:3], 1.0
	v_mul_f64 v[20:21], v[18:19], v[16:17]
	v_fma_f64 v[0:1], -v[0:1], v[20:21], v[18:19]
	s_nop 1
	v_div_fmas_f64 v[0:1], v[0:1], v[16:17], v[20:21]
	v_div_fixup_f64 v[2:3], v[0:1], v[2:3], 1.0
	v_mul_f64 v[0:1], v[6:7], v[2:3]
	v_xor_b32_e32 v3, 0x80000000, v3
.LBB126_1361:
	s_andn2_saveexec_b64 s[12:13], s[12:13]
	s_cbranch_execz .LBB126_1363
; %bb.1362:
	v_div_scale_f64 v[6:7], s[4:5], v[0:1], v[0:1], v[2:3]
	v_rcp_f64_e32 v[16:17], v[6:7]
	v_div_scale_f64 v[18:19], vcc, v[2:3], v[0:1], v[2:3]
	v_fma_f64 v[20:21], -v[6:7], v[16:17], 1.0
	v_fmac_f64_e32 v[16:17], v[16:17], v[20:21]
	v_fma_f64 v[20:21], -v[6:7], v[16:17], 1.0
	v_fmac_f64_e32 v[16:17], v[16:17], v[20:21]
	v_mul_f64 v[20:21], v[18:19], v[16:17]
	v_fma_f64 v[6:7], -v[6:7], v[20:21], v[18:19]
	v_div_fmas_f64 v[6:7], v[6:7], v[16:17], v[20:21]
	v_div_fixup_f64 v[6:7], v[6:7], v[0:1], v[2:3]
	v_fmac_f64_e32 v[0:1], v[2:3], v[6:7]
	v_div_scale_f64 v[2:3], s[4:5], v[0:1], v[0:1], 1.0
	v_rcp_f64_e32 v[16:17], v[2:3]
	s_nop 0
	v_fma_f64 v[18:19], -v[2:3], v[16:17], 1.0
	v_fmac_f64_e32 v[16:17], v[16:17], v[18:19]
	v_fma_f64 v[18:19], -v[2:3], v[16:17], 1.0
	v_fmac_f64_e32 v[16:17], v[16:17], v[18:19]
	v_div_scale_f64 v[18:19], vcc, 1.0, v[0:1], 1.0
	v_mul_f64 v[20:21], v[18:19], v[16:17]
	v_fma_f64 v[2:3], -v[2:3], v[20:21], v[18:19]
	s_nop 1
	v_div_fmas_f64 v[2:3], v[2:3], v[16:17], v[20:21]
	v_div_fixup_f64 v[0:1], v[2:3], v[0:1], 1.0
	v_mul_f64 v[2:3], v[6:7], -v[0:1]
.LBB126_1363:
	s_or_b64 exec, exec, s[12:13]
.LBB126_1364:
	s_or_b64 exec, exec, s[0:1]
	v_cmp_ne_u32_e32 vcc, v15, v4
	s_and_saveexec_b64 s[0:1], vcc
	s_xor_b64 s[0:1], exec, s[0:1]
	s_cbranch_execz .LBB126_1370
; %bb.1365:
	v_cmp_eq_u32_e32 vcc, 59, v15
	s_and_saveexec_b64 s[12:13], vcc
	s_cbranch_execz .LBB126_1369
; %bb.1366:
	v_cmp_ne_u32_e32 vcc, 59, v4
	s_xor_b64 s[4:5], s[8:9], -1
	s_and_b64 s[4:5], s[4:5], vcc
	s_and_saveexec_b64 s[14:15], s[4:5]
	s_cbranch_execz .LBB126_1368
; %bb.1367:
	v_ashrrev_i32_e32 v5, 31, v4
	v_lshl_add_u64 v[6:7], v[4:5], 2, v[10:11]
	global_load_dword v5, v[6:7], off
	global_load_dword v14, v[10:11], off offset:236
	s_waitcnt vmcnt(1)
	global_store_dword v[10:11], v5, off offset:236
	s_waitcnt vmcnt(1)
	global_store_dword v[6:7], v14, off
.LBB126_1368:
	s_or_b64 exec, exec, s[14:15]
	v_mov_b32_e32 v15, v4
	v_mov_b32_e32 v14, v4
.LBB126_1369:
	s_or_b64 exec, exec, s[12:13]
.LBB126_1370:
	s_andn2_saveexec_b64 s[0:1], s[0:1]
	s_cbranch_execz .LBB126_1372
; %bb.1371:
	scratch_load_dwordx4 v[4:7], off, s22
	scratch_load_dwordx4 v[16:19], off, s21
	;; [unrolled: 1-line block ×4, first 2 shown]
	v_mov_b32_e32 v15, 59
	s_waitcnt vmcnt(3)
	ds_write2_b64 v12, v[4:5], v[6:7] offset0:120 offset1:121
	s_waitcnt vmcnt(2)
	ds_write2_b64 v12, v[16:17], v[18:19] offset0:122 offset1:123
	;; [unrolled: 2-line block ×4, first 2 shown]
.LBB126_1372:
	s_or_b64 exec, exec, s[0:1]
	v_cmp_lt_i32_e32 vcc, 59, v15
	s_waitcnt lgkmcnt(0)
	s_barrier
	s_and_saveexec_b64 s[0:1], vcc
	s_cbranch_execz .LBB126_1374
; %bb.1373:
	scratch_load_dwordx4 v[4:7], off, off offset:944
	scratch_load_dwordx4 v[16:19], off, off offset:960
	;; [unrolled: 1-line block ×5, first 2 shown]
	ds_read2_b64 v[32:35], v12 offset0:120 offset1:121
	ds_read2_b64 v[36:39], v12 offset0:122 offset1:123
	;; [unrolled: 1-line block ×4, first 2 shown]
	s_waitcnt vmcnt(4)
	v_mul_f64 v[50:51], v[0:1], v[6:7]
	v_mul_f64 v[48:49], v[2:3], v[6:7]
	v_fmac_f64_e32 v[50:51], v[2:3], v[4:5]
	v_fma_f64 v[48:49], v[0:1], v[4:5], -v[48:49]
	s_waitcnt lgkmcnt(3)
	v_mul_f64 v[0:1], v[34:35], v[50:51]
	v_mul_f64 v[2:3], v[32:33], v[50:51]
	scratch_store_dwordx4 off, v[48:51], off offset:944
	s_waitcnt lgkmcnt(2)
	v_mul_f64 v[4:5], v[38:39], v[50:51]
	v_mul_f64 v[6:7], v[36:37], v[50:51]
	s_waitcnt lgkmcnt(1)
	v_mul_f64 v[52:53], v[42:43], v[50:51]
	v_mul_f64 v[54:55], v[40:41], v[50:51]
	;; [unrolled: 3-line block ×3, first 2 shown]
	v_fma_f64 v[0:1], v[32:33], v[48:49], -v[0:1]
	v_fmac_f64_e32 v[2:3], v[34:35], v[48:49]
	v_fma_f64 v[4:5], v[36:37], v[48:49], -v[4:5]
	v_fmac_f64_e32 v[6:7], v[38:39], v[48:49]
	;; [unrolled: 2-line block ×4, first 2 shown]
	s_waitcnt vmcnt(4)
	v_add_f64 v[0:1], v[16:17], -v[0:1]
	v_add_f64 v[2:3], v[18:19], -v[2:3]
	s_waitcnt vmcnt(3)
	v_add_f64 v[4:5], v[20:21], -v[4:5]
	v_add_f64 v[6:7], v[22:23], -v[6:7]
	s_waitcnt vmcnt(2)
	v_add_f64 v[16:17], v[24:25], -v[32:33]
	v_add_f64 v[18:19], v[26:27], -v[54:55]
	s_waitcnt vmcnt(1)
	v_add_f64 v[20:21], v[28:29], -v[34:35]
	v_add_f64 v[22:23], v[30:31], -v[50:51]
	scratch_store_dwordx4 off, v[0:3], off offset:960
	scratch_store_dwordx4 off, v[4:7], off offset:976
	;; [unrolled: 1-line block ×4, first 2 shown]
.LBB126_1374:
	s_or_b64 exec, exec, s[0:1]
	s_barrier
	scratch_load_dwordx4 v[0:3], off, s22
	v_lshl_add_u32 v4, v15, 4, v12
	s_cmp_lt_i32 s67, 62
	s_waitcnt vmcnt(0)
	ds_write2_b64 v4, v[0:1], v[2:3] offset1:1
	s_waitcnt lgkmcnt(0)
	s_barrier
	ds_read2_b64 v[0:3], v12 offset0:120 offset1:121
	v_mov_b32_e32 v4, 60
	s_cbranch_scc1 .LBB126_1377
; %bb.1375:
	v_add_u32_e32 v5, 0x3d0, v12
	s_mov_b32 s4, 61
	v_mov_b32_e32 v4, 60
.LBB126_1376:                           ; =>This Inner Loop Header: Depth=1
	ds_read2_b64 v[16:19], v5 offset1:1
	s_waitcnt lgkmcnt(1)
	v_xor_b32_e32 v7, 0x80000000, v1
	v_xor_b32_e32 v21, 0x80000000, v3
	v_cmp_gt_f64_e32 vcc, 0, v[2:3]
	v_cmp_gt_f64_e64 s[0:1], 0, v[0:1]
	v_mov_b32_e32 v6, v0
	v_mov_b32_e32 v20, v2
	v_cndmask_b32_e64 v7, v1, v7, s[0:1]
	v_cndmask_b32_e32 v21, v3, v21, vcc
	v_add_f64 v[6:7], v[6:7], v[20:21]
	s_waitcnt lgkmcnt(0)
	v_xor_b32_e32 v21, 0x80000000, v17
	v_xor_b32_e32 v23, 0x80000000, v19
	v_cmp_gt_f64_e32 vcc, 0, v[18:19]
	v_cmp_gt_f64_e64 s[0:1], 0, v[16:17]
	v_mov_b32_e32 v20, v16
	v_mov_b32_e32 v22, v18
	v_cndmask_b32_e64 v21, v17, v21, s[0:1]
	v_cndmask_b32_e32 v23, v19, v23, vcc
	v_add_f64 v[20:21], v[20:21], v[22:23]
	v_mov_b32_e32 v24, s4
	s_add_i32 s4, s4, 1
	v_cmp_lt_f64_e32 vcc, v[6:7], v[20:21]
	v_add_u32_e32 v5, 16, v5
	s_cmp_lg_u32 s67, s4
	v_cndmask_b32_e32 v1, v1, v17, vcc
	v_cndmask_b32_e32 v0, v0, v16, vcc
	;; [unrolled: 1-line block ×5, first 2 shown]
	s_cbranch_scc1 .LBB126_1376
.LBB126_1377:
	s_waitcnt lgkmcnt(0)
	v_cmp_eq_f64_e32 vcc, 0, v[0:1]
	v_cmp_eq_f64_e64 s[0:1], 0, v[2:3]
	s_and_b64 s[0:1], vcc, s[0:1]
	s_and_saveexec_b64 s[4:5], s[0:1]
	s_xor_b64 s[0:1], exec, s[4:5]
; %bb.1378:
	v_cmp_ne_u32_e32 vcc, 0, v13
	s_nop 1
	v_cndmask_b32_e32 v13, 61, v13, vcc
; %bb.1379:
	s_andn2_saveexec_b64 s[0:1], s[0:1]
	s_cbranch_execz .LBB126_1385
; %bb.1380:
	v_cmp_ngt_f64_e64 s[4:5], |v[0:1]|, |v[2:3]|
	s_and_saveexec_b64 s[12:13], s[4:5]
	s_xor_b64 s[12:13], exec, s[12:13]
	s_cbranch_execz .LBB126_1382
; %bb.1381:
	v_div_scale_f64 v[6:7], s[4:5], v[2:3], v[2:3], v[0:1]
	v_rcp_f64_e32 v[16:17], v[6:7]
	v_div_scale_f64 v[18:19], vcc, v[0:1], v[2:3], v[0:1]
	v_fma_f64 v[20:21], -v[6:7], v[16:17], 1.0
	v_fmac_f64_e32 v[16:17], v[16:17], v[20:21]
	v_fma_f64 v[20:21], -v[6:7], v[16:17], 1.0
	v_fmac_f64_e32 v[16:17], v[16:17], v[20:21]
	v_mul_f64 v[20:21], v[18:19], v[16:17]
	v_fma_f64 v[6:7], -v[6:7], v[20:21], v[18:19]
	v_div_fmas_f64 v[6:7], v[6:7], v[16:17], v[20:21]
	v_div_fixup_f64 v[6:7], v[6:7], v[2:3], v[0:1]
	v_fmac_f64_e32 v[2:3], v[0:1], v[6:7]
	v_div_scale_f64 v[0:1], s[4:5], v[2:3], v[2:3], 1.0
	v_rcp_f64_e32 v[16:17], v[0:1]
	s_nop 0
	v_fma_f64 v[18:19], -v[0:1], v[16:17], 1.0
	v_fmac_f64_e32 v[16:17], v[16:17], v[18:19]
	v_fma_f64 v[18:19], -v[0:1], v[16:17], 1.0
	v_fmac_f64_e32 v[16:17], v[16:17], v[18:19]
	v_div_scale_f64 v[18:19], vcc, 1.0, v[2:3], 1.0
	v_mul_f64 v[20:21], v[18:19], v[16:17]
	v_fma_f64 v[0:1], -v[0:1], v[20:21], v[18:19]
	s_nop 1
	v_div_fmas_f64 v[0:1], v[0:1], v[16:17], v[20:21]
	v_div_fixup_f64 v[2:3], v[0:1], v[2:3], 1.0
	v_mul_f64 v[0:1], v[6:7], v[2:3]
	v_xor_b32_e32 v3, 0x80000000, v3
.LBB126_1382:
	s_andn2_saveexec_b64 s[12:13], s[12:13]
	s_cbranch_execz .LBB126_1384
; %bb.1383:
	v_div_scale_f64 v[6:7], s[4:5], v[0:1], v[0:1], v[2:3]
	v_rcp_f64_e32 v[16:17], v[6:7]
	v_div_scale_f64 v[18:19], vcc, v[2:3], v[0:1], v[2:3]
	v_fma_f64 v[20:21], -v[6:7], v[16:17], 1.0
	v_fmac_f64_e32 v[16:17], v[16:17], v[20:21]
	v_fma_f64 v[20:21], -v[6:7], v[16:17], 1.0
	v_fmac_f64_e32 v[16:17], v[16:17], v[20:21]
	v_mul_f64 v[20:21], v[18:19], v[16:17]
	v_fma_f64 v[6:7], -v[6:7], v[20:21], v[18:19]
	v_div_fmas_f64 v[6:7], v[6:7], v[16:17], v[20:21]
	v_div_fixup_f64 v[6:7], v[6:7], v[0:1], v[2:3]
	v_fmac_f64_e32 v[0:1], v[2:3], v[6:7]
	v_div_scale_f64 v[2:3], s[4:5], v[0:1], v[0:1], 1.0
	v_rcp_f64_e32 v[16:17], v[2:3]
	s_nop 0
	v_fma_f64 v[18:19], -v[2:3], v[16:17], 1.0
	v_fmac_f64_e32 v[16:17], v[16:17], v[18:19]
	v_fma_f64 v[18:19], -v[2:3], v[16:17], 1.0
	v_fmac_f64_e32 v[16:17], v[16:17], v[18:19]
	v_div_scale_f64 v[18:19], vcc, 1.0, v[0:1], 1.0
	v_mul_f64 v[20:21], v[18:19], v[16:17]
	v_fma_f64 v[2:3], -v[2:3], v[20:21], v[18:19]
	s_nop 1
	v_div_fmas_f64 v[2:3], v[2:3], v[16:17], v[20:21]
	v_div_fixup_f64 v[0:1], v[2:3], v[0:1], 1.0
	v_mul_f64 v[2:3], v[6:7], -v[0:1]
.LBB126_1384:
	s_or_b64 exec, exec, s[12:13]
.LBB126_1385:
	s_or_b64 exec, exec, s[0:1]
	v_cmp_ne_u32_e32 vcc, v15, v4
	s_and_saveexec_b64 s[0:1], vcc
	s_xor_b64 s[0:1], exec, s[0:1]
	s_cbranch_execz .LBB126_1391
; %bb.1386:
	v_cmp_eq_u32_e32 vcc, 60, v15
	s_and_saveexec_b64 s[12:13], vcc
	s_cbranch_execz .LBB126_1390
; %bb.1387:
	v_cmp_ne_u32_e32 vcc, 60, v4
	s_xor_b64 s[4:5], s[8:9], -1
	s_and_b64 s[4:5], s[4:5], vcc
	s_and_saveexec_b64 s[14:15], s[4:5]
	s_cbranch_execz .LBB126_1389
; %bb.1388:
	v_ashrrev_i32_e32 v5, 31, v4
	v_lshl_add_u64 v[6:7], v[4:5], 2, v[10:11]
	global_load_dword v5, v[6:7], off
	global_load_dword v14, v[10:11], off offset:240
	s_waitcnt vmcnt(1)
	global_store_dword v[10:11], v5, off offset:240
	s_waitcnt vmcnt(1)
	global_store_dword v[6:7], v14, off
.LBB126_1389:
	s_or_b64 exec, exec, s[14:15]
	v_mov_b32_e32 v15, v4
	v_mov_b32_e32 v14, v4
.LBB126_1390:
	s_or_b64 exec, exec, s[12:13]
.LBB126_1391:
	s_andn2_saveexec_b64 s[0:1], s[0:1]
	s_cbranch_execz .LBB126_1393
; %bb.1392:
	scratch_load_dwordx4 v[4:7], off, s21
	scratch_load_dwordx4 v[16:19], off, s20
	;; [unrolled: 1-line block ×3, first 2 shown]
	v_mov_b32_e32 v15, 60
	s_waitcnt vmcnt(2)
	ds_write2_b64 v12, v[4:5], v[6:7] offset0:122 offset1:123
	s_waitcnt vmcnt(1)
	ds_write2_b64 v12, v[16:17], v[18:19] offset0:124 offset1:125
	;; [unrolled: 2-line block ×3, first 2 shown]
.LBB126_1393:
	s_or_b64 exec, exec, s[0:1]
	v_cmp_lt_i32_e32 vcc, 60, v15
	s_waitcnt lgkmcnt(0)
	s_barrier
	s_and_saveexec_b64 s[0:1], vcc
	s_cbranch_execz .LBB126_1395
; %bb.1394:
	scratch_load_dwordx4 v[4:7], off, off offset:960
	scratch_load_dwordx4 v[16:19], off, off offset:976
	;; [unrolled: 1-line block ×4, first 2 shown]
	ds_read2_b64 v[28:31], v12 offset0:122 offset1:123
	ds_read2_b64 v[32:35], v12 offset0:124 offset1:125
	;; [unrolled: 1-line block ×3, first 2 shown]
	s_waitcnt vmcnt(3)
	v_mul_f64 v[42:43], v[0:1], v[6:7]
	v_mul_f64 v[40:41], v[2:3], v[6:7]
	v_fmac_f64_e32 v[42:43], v[2:3], v[4:5]
	v_fma_f64 v[40:41], v[0:1], v[4:5], -v[40:41]
	s_waitcnt lgkmcnt(2)
	v_mul_f64 v[0:1], v[30:31], v[42:43]
	v_mul_f64 v[2:3], v[28:29], v[42:43]
	scratch_store_dwordx4 off, v[40:43], off offset:960
	s_waitcnt lgkmcnt(1)
	v_mul_f64 v[4:5], v[34:35], v[42:43]
	v_mul_f64 v[6:7], v[32:33], v[42:43]
	s_waitcnt lgkmcnt(0)
	v_mul_f64 v[44:45], v[38:39], v[42:43]
	v_mul_f64 v[42:43], v[36:37], v[42:43]
	v_fma_f64 v[0:1], v[28:29], v[40:41], -v[0:1]
	v_fmac_f64_e32 v[2:3], v[30:31], v[40:41]
	v_fma_f64 v[4:5], v[32:33], v[40:41], -v[4:5]
	v_fmac_f64_e32 v[6:7], v[34:35], v[40:41]
	;; [unrolled: 2-line block ×3, first 2 shown]
	s_waitcnt vmcnt(3)
	v_add_f64 v[0:1], v[16:17], -v[0:1]
	v_add_f64 v[2:3], v[18:19], -v[2:3]
	s_waitcnt vmcnt(2)
	v_add_f64 v[4:5], v[20:21], -v[4:5]
	v_add_f64 v[6:7], v[22:23], -v[6:7]
	;; [unrolled: 3-line block ×3, first 2 shown]
	scratch_store_dwordx4 off, v[0:3], off offset:976
	scratch_store_dwordx4 off, v[4:7], off offset:992
	;; [unrolled: 1-line block ×3, first 2 shown]
.LBB126_1395:
	s_or_b64 exec, exec, s[0:1]
	s_barrier
	scratch_load_dwordx4 v[0:3], off, s21
	v_lshl_add_u32 v4, v15, 4, v12
	s_cmp_lt_i32 s67, 63
	s_waitcnt vmcnt(0)
	ds_write2_b64 v4, v[0:1], v[2:3] offset1:1
	s_waitcnt lgkmcnt(0)
	s_barrier
	ds_read2_b64 v[0:3], v12 offset0:122 offset1:123
	v_mov_b32_e32 v4, 61
	s_cbranch_scc1 .LBB126_1398
; %bb.1396:
	v_add_u32_e32 v5, 0x3e0, v12
	s_mov_b32 s4, 62
	v_mov_b32_e32 v4, 61
.LBB126_1397:                           ; =>This Inner Loop Header: Depth=1
	ds_read2_b64 v[16:19], v5 offset1:1
	s_waitcnt lgkmcnt(1)
	v_xor_b32_e32 v7, 0x80000000, v1
	v_xor_b32_e32 v21, 0x80000000, v3
	v_cmp_gt_f64_e32 vcc, 0, v[2:3]
	v_cmp_gt_f64_e64 s[0:1], 0, v[0:1]
	v_mov_b32_e32 v6, v0
	v_mov_b32_e32 v20, v2
	v_cndmask_b32_e64 v7, v1, v7, s[0:1]
	v_cndmask_b32_e32 v21, v3, v21, vcc
	v_add_f64 v[6:7], v[6:7], v[20:21]
	s_waitcnt lgkmcnt(0)
	v_xor_b32_e32 v21, 0x80000000, v17
	v_xor_b32_e32 v23, 0x80000000, v19
	v_cmp_gt_f64_e32 vcc, 0, v[18:19]
	v_cmp_gt_f64_e64 s[0:1], 0, v[16:17]
	v_mov_b32_e32 v20, v16
	v_mov_b32_e32 v22, v18
	v_cndmask_b32_e64 v21, v17, v21, s[0:1]
	v_cndmask_b32_e32 v23, v19, v23, vcc
	v_add_f64 v[20:21], v[20:21], v[22:23]
	v_mov_b32_e32 v24, s4
	s_add_i32 s4, s4, 1
	v_cmp_lt_f64_e32 vcc, v[6:7], v[20:21]
	v_add_u32_e32 v5, 16, v5
	s_cmp_lg_u32 s67, s4
	v_cndmask_b32_e32 v1, v1, v17, vcc
	v_cndmask_b32_e32 v0, v0, v16, vcc
	;; [unrolled: 1-line block ×5, first 2 shown]
	s_cbranch_scc1 .LBB126_1397
.LBB126_1398:
	s_waitcnt lgkmcnt(0)
	v_cmp_eq_f64_e32 vcc, 0, v[0:1]
	v_cmp_eq_f64_e64 s[0:1], 0, v[2:3]
	s_and_b64 s[0:1], vcc, s[0:1]
	s_and_saveexec_b64 s[4:5], s[0:1]
	s_xor_b64 s[0:1], exec, s[4:5]
; %bb.1399:
	v_cmp_ne_u32_e32 vcc, 0, v13
	s_nop 1
	v_cndmask_b32_e32 v13, 62, v13, vcc
; %bb.1400:
	s_andn2_saveexec_b64 s[0:1], s[0:1]
	s_cbranch_execz .LBB126_1406
; %bb.1401:
	v_cmp_ngt_f64_e64 s[4:5], |v[0:1]|, |v[2:3]|
	s_and_saveexec_b64 s[12:13], s[4:5]
	s_xor_b64 s[12:13], exec, s[12:13]
	s_cbranch_execz .LBB126_1403
; %bb.1402:
	v_div_scale_f64 v[6:7], s[4:5], v[2:3], v[2:3], v[0:1]
	v_rcp_f64_e32 v[16:17], v[6:7]
	v_div_scale_f64 v[18:19], vcc, v[0:1], v[2:3], v[0:1]
	v_fma_f64 v[20:21], -v[6:7], v[16:17], 1.0
	v_fmac_f64_e32 v[16:17], v[16:17], v[20:21]
	v_fma_f64 v[20:21], -v[6:7], v[16:17], 1.0
	v_fmac_f64_e32 v[16:17], v[16:17], v[20:21]
	v_mul_f64 v[20:21], v[18:19], v[16:17]
	v_fma_f64 v[6:7], -v[6:7], v[20:21], v[18:19]
	v_div_fmas_f64 v[6:7], v[6:7], v[16:17], v[20:21]
	v_div_fixup_f64 v[6:7], v[6:7], v[2:3], v[0:1]
	v_fmac_f64_e32 v[2:3], v[0:1], v[6:7]
	v_div_scale_f64 v[0:1], s[4:5], v[2:3], v[2:3], 1.0
	v_rcp_f64_e32 v[16:17], v[0:1]
	s_nop 0
	v_fma_f64 v[18:19], -v[0:1], v[16:17], 1.0
	v_fmac_f64_e32 v[16:17], v[16:17], v[18:19]
	v_fma_f64 v[18:19], -v[0:1], v[16:17], 1.0
	v_fmac_f64_e32 v[16:17], v[16:17], v[18:19]
	v_div_scale_f64 v[18:19], vcc, 1.0, v[2:3], 1.0
	v_mul_f64 v[20:21], v[18:19], v[16:17]
	v_fma_f64 v[0:1], -v[0:1], v[20:21], v[18:19]
	s_nop 1
	v_div_fmas_f64 v[0:1], v[0:1], v[16:17], v[20:21]
	v_div_fixup_f64 v[2:3], v[0:1], v[2:3], 1.0
	v_mul_f64 v[0:1], v[6:7], v[2:3]
	v_xor_b32_e32 v3, 0x80000000, v3
.LBB126_1403:
	s_andn2_saveexec_b64 s[12:13], s[12:13]
	s_cbranch_execz .LBB126_1405
; %bb.1404:
	v_div_scale_f64 v[6:7], s[4:5], v[0:1], v[0:1], v[2:3]
	v_rcp_f64_e32 v[16:17], v[6:7]
	v_div_scale_f64 v[18:19], vcc, v[2:3], v[0:1], v[2:3]
	v_fma_f64 v[20:21], -v[6:7], v[16:17], 1.0
	v_fmac_f64_e32 v[16:17], v[16:17], v[20:21]
	v_fma_f64 v[20:21], -v[6:7], v[16:17], 1.0
	v_fmac_f64_e32 v[16:17], v[16:17], v[20:21]
	v_mul_f64 v[20:21], v[18:19], v[16:17]
	v_fma_f64 v[6:7], -v[6:7], v[20:21], v[18:19]
	v_div_fmas_f64 v[6:7], v[6:7], v[16:17], v[20:21]
	v_div_fixup_f64 v[6:7], v[6:7], v[0:1], v[2:3]
	v_fmac_f64_e32 v[0:1], v[2:3], v[6:7]
	v_div_scale_f64 v[2:3], s[4:5], v[0:1], v[0:1], 1.0
	v_rcp_f64_e32 v[16:17], v[2:3]
	s_nop 0
	v_fma_f64 v[18:19], -v[2:3], v[16:17], 1.0
	v_fmac_f64_e32 v[16:17], v[16:17], v[18:19]
	v_fma_f64 v[18:19], -v[2:3], v[16:17], 1.0
	v_fmac_f64_e32 v[16:17], v[16:17], v[18:19]
	v_div_scale_f64 v[18:19], vcc, 1.0, v[0:1], 1.0
	v_mul_f64 v[20:21], v[18:19], v[16:17]
	v_fma_f64 v[2:3], -v[2:3], v[20:21], v[18:19]
	s_nop 1
	v_div_fmas_f64 v[2:3], v[2:3], v[16:17], v[20:21]
	v_div_fixup_f64 v[0:1], v[2:3], v[0:1], 1.0
	v_mul_f64 v[2:3], v[6:7], -v[0:1]
.LBB126_1405:
	s_or_b64 exec, exec, s[12:13]
.LBB126_1406:
	s_or_b64 exec, exec, s[0:1]
	v_cmp_ne_u32_e32 vcc, v15, v4
	s_and_saveexec_b64 s[0:1], vcc
	s_xor_b64 s[0:1], exec, s[0:1]
	s_cbranch_execz .LBB126_1412
; %bb.1407:
	v_cmp_eq_u32_e32 vcc, 61, v15
	s_and_saveexec_b64 s[12:13], vcc
	s_cbranch_execz .LBB126_1411
; %bb.1408:
	v_cmp_ne_u32_e32 vcc, 61, v4
	s_xor_b64 s[4:5], s[8:9], -1
	s_and_b64 s[4:5], s[4:5], vcc
	s_and_saveexec_b64 s[14:15], s[4:5]
	s_cbranch_execz .LBB126_1410
; %bb.1409:
	v_ashrrev_i32_e32 v5, 31, v4
	v_lshl_add_u64 v[6:7], v[4:5], 2, v[10:11]
	global_load_dword v5, v[6:7], off
	global_load_dword v14, v[10:11], off offset:244
	s_waitcnt vmcnt(1)
	global_store_dword v[10:11], v5, off offset:244
	s_waitcnt vmcnt(1)
	global_store_dword v[6:7], v14, off
.LBB126_1410:
	s_or_b64 exec, exec, s[14:15]
	v_mov_b32_e32 v15, v4
	v_mov_b32_e32 v14, v4
.LBB126_1411:
	s_or_b64 exec, exec, s[12:13]
.LBB126_1412:
	s_andn2_saveexec_b64 s[0:1], s[0:1]
	s_cbranch_execz .LBB126_1414
; %bb.1413:
	scratch_load_dwordx4 v[4:7], off, s20
	scratch_load_dwordx4 v[16:19], off, s66
	v_mov_b32_e32 v15, 61
	s_waitcnt vmcnt(1)
	ds_write2_b64 v12, v[4:5], v[6:7] offset0:124 offset1:125
	s_waitcnt vmcnt(0)
	ds_write2_b64 v12, v[16:17], v[18:19] offset0:126 offset1:127
.LBB126_1414:
	s_or_b64 exec, exec, s[0:1]
	v_cmp_lt_i32_e32 vcc, 61, v15
	s_waitcnt lgkmcnt(0)
	s_barrier
	s_and_saveexec_b64 s[0:1], vcc
	s_cbranch_execz .LBB126_1416
; %bb.1415:
	scratch_load_dwordx4 v[4:7], off, off offset:976
	scratch_load_dwordx4 v[16:19], off, off offset:992
	;; [unrolled: 1-line block ×3, first 2 shown]
	ds_read2_b64 v[24:27], v12 offset0:124 offset1:125
	ds_read2_b64 v[28:31], v12 offset0:126 offset1:127
	s_waitcnt vmcnt(2)
	v_mul_f64 v[34:35], v[0:1], v[6:7]
	v_mul_f64 v[32:33], v[2:3], v[6:7]
	v_fmac_f64_e32 v[34:35], v[2:3], v[4:5]
	v_fma_f64 v[32:33], v[0:1], v[4:5], -v[32:33]
	s_waitcnt lgkmcnt(1)
	v_mul_f64 v[0:1], v[26:27], v[34:35]
	v_mul_f64 v[2:3], v[24:25], v[34:35]
	s_waitcnt lgkmcnt(0)
	v_mul_f64 v[4:5], v[30:31], v[34:35]
	v_mul_f64 v[6:7], v[28:29], v[34:35]
	v_fma_f64 v[0:1], v[24:25], v[32:33], -v[0:1]
	v_fmac_f64_e32 v[2:3], v[26:27], v[32:33]
	v_fma_f64 v[4:5], v[28:29], v[32:33], -v[4:5]
	v_fmac_f64_e32 v[6:7], v[30:31], v[32:33]
	s_waitcnt vmcnt(1)
	v_add_f64 v[0:1], v[16:17], -v[0:1]
	v_add_f64 v[2:3], v[18:19], -v[2:3]
	scratch_store_dwordx4 off, v[32:35], off offset:976
	s_waitcnt vmcnt(1)
	v_add_f64 v[4:5], v[20:21], -v[4:5]
	v_add_f64 v[6:7], v[22:23], -v[6:7]
	scratch_store_dwordx4 off, v[0:3], off offset:992
	scratch_store_dwordx4 off, v[4:7], off offset:1008
.LBB126_1416:
	s_or_b64 exec, exec, s[0:1]
	s_barrier
	scratch_load_dwordx4 v[0:3], off, s20
	v_lshl_add_u32 v4, v15, 4, v12
	s_cmp_lt_i32 s67, 64
	s_waitcnt vmcnt(0)
	ds_write2_b64 v4, v[0:1], v[2:3] offset1:1
	s_waitcnt lgkmcnt(0)
	s_barrier
	ds_read2_b64 v[0:3], v12 offset0:124 offset1:125
	v_mov_b32_e32 v4, 62
	s_cbranch_scc1 .LBB126_1419
; %bb.1417:
	v_add_u32_e32 v5, 0x3f0, v12
	s_mov_b32 s4, 63
	v_mov_b32_e32 v4, 62
.LBB126_1418:                           ; =>This Inner Loop Header: Depth=1
	ds_read2_b64 v[16:19], v5 offset1:1
	s_waitcnt lgkmcnt(1)
	v_xor_b32_e32 v7, 0x80000000, v1
	v_xor_b32_e32 v21, 0x80000000, v3
	v_cmp_gt_f64_e32 vcc, 0, v[2:3]
	v_cmp_gt_f64_e64 s[0:1], 0, v[0:1]
	v_mov_b32_e32 v6, v0
	v_mov_b32_e32 v20, v2
	v_cndmask_b32_e64 v7, v1, v7, s[0:1]
	v_cndmask_b32_e32 v21, v3, v21, vcc
	v_add_f64 v[6:7], v[6:7], v[20:21]
	s_waitcnt lgkmcnt(0)
	v_xor_b32_e32 v21, 0x80000000, v17
	v_xor_b32_e32 v23, 0x80000000, v19
	v_cmp_gt_f64_e32 vcc, 0, v[18:19]
	v_cmp_gt_f64_e64 s[0:1], 0, v[16:17]
	v_mov_b32_e32 v20, v16
	v_mov_b32_e32 v22, v18
	v_cndmask_b32_e64 v21, v17, v21, s[0:1]
	v_cndmask_b32_e32 v23, v19, v23, vcc
	v_add_f64 v[20:21], v[20:21], v[22:23]
	v_mov_b32_e32 v24, s4
	s_add_i32 s4, s4, 1
	v_cmp_lt_f64_e32 vcc, v[6:7], v[20:21]
	v_add_u32_e32 v5, 16, v5
	s_cmp_lg_u32 s67, s4
	v_cndmask_b32_e32 v1, v1, v17, vcc
	v_cndmask_b32_e32 v0, v0, v16, vcc
	;; [unrolled: 1-line block ×5, first 2 shown]
	s_cbranch_scc1 .LBB126_1418
.LBB126_1419:
	s_waitcnt lgkmcnt(0)
	v_cmp_eq_f64_e32 vcc, 0, v[0:1]
	v_cmp_eq_f64_e64 s[0:1], 0, v[2:3]
	s_and_b64 s[0:1], vcc, s[0:1]
	s_and_saveexec_b64 s[4:5], s[0:1]
	s_xor_b64 s[0:1], exec, s[4:5]
; %bb.1420:
	v_cmp_ne_u32_e32 vcc, 0, v13
	s_nop 1
	v_cndmask_b32_e32 v13, 63, v13, vcc
; %bb.1421:
	s_andn2_saveexec_b64 s[0:1], s[0:1]
	s_cbranch_execz .LBB126_1427
; %bb.1422:
	v_cmp_ngt_f64_e64 s[4:5], |v[0:1]|, |v[2:3]|
	s_and_saveexec_b64 s[12:13], s[4:5]
	s_xor_b64 s[12:13], exec, s[12:13]
	s_cbranch_execz .LBB126_1424
; %bb.1423:
	v_div_scale_f64 v[6:7], s[4:5], v[2:3], v[2:3], v[0:1]
	v_rcp_f64_e32 v[16:17], v[6:7]
	v_div_scale_f64 v[18:19], vcc, v[0:1], v[2:3], v[0:1]
	v_fma_f64 v[20:21], -v[6:7], v[16:17], 1.0
	v_fmac_f64_e32 v[16:17], v[16:17], v[20:21]
	v_fma_f64 v[20:21], -v[6:7], v[16:17], 1.0
	v_fmac_f64_e32 v[16:17], v[16:17], v[20:21]
	v_mul_f64 v[20:21], v[18:19], v[16:17]
	v_fma_f64 v[6:7], -v[6:7], v[20:21], v[18:19]
	v_div_fmas_f64 v[6:7], v[6:7], v[16:17], v[20:21]
	v_div_fixup_f64 v[6:7], v[6:7], v[2:3], v[0:1]
	v_fmac_f64_e32 v[2:3], v[0:1], v[6:7]
	v_div_scale_f64 v[0:1], s[4:5], v[2:3], v[2:3], 1.0
	v_rcp_f64_e32 v[16:17], v[0:1]
	s_nop 0
	v_fma_f64 v[18:19], -v[0:1], v[16:17], 1.0
	v_fmac_f64_e32 v[16:17], v[16:17], v[18:19]
	v_fma_f64 v[18:19], -v[0:1], v[16:17], 1.0
	v_fmac_f64_e32 v[16:17], v[16:17], v[18:19]
	v_div_scale_f64 v[18:19], vcc, 1.0, v[2:3], 1.0
	v_mul_f64 v[20:21], v[18:19], v[16:17]
	v_fma_f64 v[0:1], -v[0:1], v[20:21], v[18:19]
	s_nop 1
	v_div_fmas_f64 v[0:1], v[0:1], v[16:17], v[20:21]
	v_div_fixup_f64 v[2:3], v[0:1], v[2:3], 1.0
	v_mul_f64 v[0:1], v[6:7], v[2:3]
	v_xor_b32_e32 v3, 0x80000000, v3
.LBB126_1424:
	s_andn2_saveexec_b64 s[12:13], s[12:13]
	s_cbranch_execz .LBB126_1426
; %bb.1425:
	v_div_scale_f64 v[6:7], s[4:5], v[0:1], v[0:1], v[2:3]
	v_rcp_f64_e32 v[16:17], v[6:7]
	v_div_scale_f64 v[18:19], vcc, v[2:3], v[0:1], v[2:3]
	v_fma_f64 v[20:21], -v[6:7], v[16:17], 1.0
	v_fmac_f64_e32 v[16:17], v[16:17], v[20:21]
	v_fma_f64 v[20:21], -v[6:7], v[16:17], 1.0
	v_fmac_f64_e32 v[16:17], v[16:17], v[20:21]
	v_mul_f64 v[20:21], v[18:19], v[16:17]
	v_fma_f64 v[6:7], -v[6:7], v[20:21], v[18:19]
	v_div_fmas_f64 v[6:7], v[6:7], v[16:17], v[20:21]
	v_div_fixup_f64 v[6:7], v[6:7], v[0:1], v[2:3]
	v_fmac_f64_e32 v[0:1], v[2:3], v[6:7]
	v_div_scale_f64 v[2:3], s[4:5], v[0:1], v[0:1], 1.0
	v_rcp_f64_e32 v[16:17], v[2:3]
	s_nop 0
	v_fma_f64 v[18:19], -v[2:3], v[16:17], 1.0
	v_fmac_f64_e32 v[16:17], v[16:17], v[18:19]
	v_fma_f64 v[18:19], -v[2:3], v[16:17], 1.0
	v_fmac_f64_e32 v[16:17], v[16:17], v[18:19]
	v_div_scale_f64 v[18:19], vcc, 1.0, v[0:1], 1.0
	v_mul_f64 v[20:21], v[18:19], v[16:17]
	v_fma_f64 v[2:3], -v[2:3], v[20:21], v[18:19]
	s_nop 1
	v_div_fmas_f64 v[2:3], v[2:3], v[16:17], v[20:21]
	v_div_fixup_f64 v[0:1], v[2:3], v[0:1], 1.0
	v_mul_f64 v[2:3], v[6:7], -v[0:1]
.LBB126_1426:
	s_or_b64 exec, exec, s[12:13]
.LBB126_1427:
	s_or_b64 exec, exec, s[0:1]
	v_cmp_ne_u32_e32 vcc, v15, v4
	s_and_saveexec_b64 s[0:1], vcc
	s_xor_b64 s[0:1], exec, s[0:1]
	s_cbranch_execz .LBB126_1433
; %bb.1428:
	v_cmp_eq_u32_e32 vcc, 62, v15
	s_and_saveexec_b64 s[12:13], vcc
	s_cbranch_execz .LBB126_1432
; %bb.1429:
	v_cmp_ne_u32_e32 vcc, 62, v4
	s_xor_b64 s[4:5], s[8:9], -1
	s_and_b64 s[4:5], s[4:5], vcc
	s_and_saveexec_b64 s[14:15], s[4:5]
	s_cbranch_execz .LBB126_1431
; %bb.1430:
	v_ashrrev_i32_e32 v5, 31, v4
	v_lshl_add_u64 v[6:7], v[4:5], 2, v[10:11]
	global_load_dword v5, v[6:7], off
	global_load_dword v14, v[10:11], off offset:248
	s_waitcnt vmcnt(1)
	global_store_dword v[10:11], v5, off offset:248
	s_waitcnt vmcnt(1)
	global_store_dword v[6:7], v14, off
.LBB126_1431:
	s_or_b64 exec, exec, s[14:15]
	v_mov_b32_e32 v15, v4
	v_mov_b32_e32 v14, v4
.LBB126_1432:
	s_or_b64 exec, exec, s[12:13]
.LBB126_1433:
	s_andn2_saveexec_b64 s[0:1], s[0:1]
	s_cbranch_execz .LBB126_1435
; %bb.1434:
	scratch_load_dwordx4 v[4:7], off, s66
	v_mov_b32_e32 v15, 62
	s_waitcnt vmcnt(0)
	ds_write2_b64 v12, v[4:5], v[6:7] offset0:126 offset1:127
.LBB126_1435:
	s_or_b64 exec, exec, s[0:1]
	v_cmp_lt_i32_e32 vcc, 62, v15
	s_waitcnt lgkmcnt(0)
	s_barrier
	s_and_saveexec_b64 s[0:1], vcc
	s_cbranch_execz .LBB126_1437
; %bb.1436:
	scratch_load_dwordx4 v[4:7], off, off offset:992
	scratch_load_dwordx4 v[16:19], off, off offset:1008
	ds_read2_b64 v[20:23], v12 offset0:126 offset1:127
	s_waitcnt vmcnt(1)
	v_mul_f64 v[26:27], v[0:1], v[6:7]
	v_mul_f64 v[24:25], v[2:3], v[6:7]
	v_fmac_f64_e32 v[26:27], v[2:3], v[4:5]
	v_fma_f64 v[24:25], v[0:1], v[4:5], -v[24:25]
	s_waitcnt lgkmcnt(0)
	v_mul_f64 v[0:1], v[22:23], v[26:27]
	v_mul_f64 v[2:3], v[20:21], v[26:27]
	v_fma_f64 v[0:1], v[20:21], v[24:25], -v[0:1]
	v_fmac_f64_e32 v[2:3], v[22:23], v[24:25]
	s_waitcnt vmcnt(0)
	v_add_f64 v[0:1], v[16:17], -v[0:1]
	v_add_f64 v[2:3], v[18:19], -v[2:3]
	scratch_store_dwordx4 off, v[24:27], off offset:992
	scratch_store_dwordx4 off, v[0:3], off offset:1008
.LBB126_1437:
	s_or_b64 exec, exec, s[0:1]
	s_barrier
	scratch_load_dwordx4 v[0:3], off, s66
	v_lshl_add_u32 v4, v15, 4, v12
	s_cmpk_lt_i32 s67, 0x41
	s_waitcnt vmcnt(0)
	ds_write2_b64 v4, v[0:1], v[2:3] offset1:1
	s_waitcnt lgkmcnt(0)
	s_barrier
	ds_read2_b64 v[0:3], v12 offset0:126 offset1:127
	v_mov_b32_e32 v4, 63
	s_cbranch_scc1 .LBB126_1440
; %bb.1438:
	v_add_u32_e32 v5, 0x400, v12
	s_mov_b32 s4, 64
	v_mov_b32_e32 v4, 63
.LBB126_1439:                           ; =>This Inner Loop Header: Depth=1
	ds_read2_b64 v[16:19], v5 offset1:1
	s_waitcnt lgkmcnt(1)
	v_xor_b32_e32 v7, 0x80000000, v1
	v_xor_b32_e32 v12, 0x80000000, v3
	v_cmp_gt_f64_e32 vcc, 0, v[2:3]
	v_cmp_gt_f64_e64 s[0:1], 0, v[0:1]
	v_mov_b32_e32 v6, v0
	v_mov_b32_e32 v20, v2
	v_cndmask_b32_e64 v7, v1, v7, s[0:1]
	v_cndmask_b32_e32 v21, v3, v12, vcc
	s_waitcnt lgkmcnt(0)
	v_xor_b32_e32 v12, 0x80000000, v17
	v_xor_b32_e32 v23, 0x80000000, v19
	v_cmp_gt_f64_e32 vcc, 0, v[18:19]
	v_cmp_gt_f64_e64 s[0:1], 0, v[16:17]
	v_add_f64 v[6:7], v[6:7], v[20:21]
	v_mov_b32_e32 v20, v16
	v_mov_b32_e32 v22, v18
	v_cndmask_b32_e64 v21, v17, v12, s[0:1]
	v_cndmask_b32_e32 v23, v19, v23, vcc
	v_add_f64 v[20:21], v[20:21], v[22:23]
	v_mov_b32_e32 v24, s4
	s_add_i32 s4, s4, 1
	v_cmp_lt_f64_e32 vcc, v[6:7], v[20:21]
	v_add_u32_e32 v5, 16, v5
	s_cmp_lg_u32 s67, s4
	v_cndmask_b32_e32 v1, v1, v17, vcc
	v_cndmask_b32_e32 v0, v0, v16, vcc
	;; [unrolled: 1-line block ×5, first 2 shown]
	s_cbranch_scc1 .LBB126_1439
.LBB126_1440:
	s_waitcnt lgkmcnt(0)
	v_cmp_eq_f64_e32 vcc, 0, v[0:1]
	v_cmp_eq_f64_e64 s[0:1], 0, v[2:3]
	s_and_b64 s[0:1], vcc, s[0:1]
	s_and_saveexec_b64 s[4:5], s[0:1]
	s_xor_b64 s[0:1], exec, s[4:5]
; %bb.1441:
	v_cmp_ne_u32_e32 vcc, 0, v13
	s_nop 1
	v_cndmask_b32_e32 v13, 64, v13, vcc
; %bb.1442:
	s_andn2_saveexec_b64 s[0:1], s[0:1]
	s_cbranch_execz .LBB126_1448
; %bb.1443:
	v_cmp_ngt_f64_e64 s[4:5], |v[0:1]|, |v[2:3]|
	s_and_saveexec_b64 s[12:13], s[4:5]
	s_xor_b64 s[12:13], exec, s[12:13]
	s_cbranch_execz .LBB126_1445
; %bb.1444:
	v_div_scale_f64 v[6:7], s[4:5], v[2:3], v[2:3], v[0:1]
	v_rcp_f64_e32 v[16:17], v[6:7]
	v_div_scale_f64 v[18:19], vcc, v[0:1], v[2:3], v[0:1]
	v_fma_f64 v[20:21], -v[6:7], v[16:17], 1.0
	v_fmac_f64_e32 v[16:17], v[16:17], v[20:21]
	v_fma_f64 v[20:21], -v[6:7], v[16:17], 1.0
	v_fmac_f64_e32 v[16:17], v[16:17], v[20:21]
	v_mul_f64 v[20:21], v[18:19], v[16:17]
	v_fma_f64 v[6:7], -v[6:7], v[20:21], v[18:19]
	v_div_fmas_f64 v[6:7], v[6:7], v[16:17], v[20:21]
	v_div_fixup_f64 v[6:7], v[6:7], v[2:3], v[0:1]
	v_fmac_f64_e32 v[2:3], v[0:1], v[6:7]
	v_div_scale_f64 v[0:1], s[4:5], v[2:3], v[2:3], 1.0
	v_rcp_f64_e32 v[16:17], v[0:1]
	s_nop 0
	v_fma_f64 v[18:19], -v[0:1], v[16:17], 1.0
	v_fmac_f64_e32 v[16:17], v[16:17], v[18:19]
	v_fma_f64 v[18:19], -v[0:1], v[16:17], 1.0
	v_fmac_f64_e32 v[16:17], v[16:17], v[18:19]
	v_div_scale_f64 v[18:19], vcc, 1.0, v[2:3], 1.0
	v_mul_f64 v[20:21], v[18:19], v[16:17]
	v_fma_f64 v[0:1], -v[0:1], v[20:21], v[18:19]
	s_nop 1
	v_div_fmas_f64 v[0:1], v[0:1], v[16:17], v[20:21]
	v_div_fixup_f64 v[2:3], v[0:1], v[2:3], 1.0
	v_mul_f64 v[0:1], v[6:7], v[2:3]
	v_xor_b32_e32 v3, 0x80000000, v3
.LBB126_1445:
	s_andn2_saveexec_b64 s[12:13], s[12:13]
	s_cbranch_execz .LBB126_1447
; %bb.1446:
	v_div_scale_f64 v[6:7], s[4:5], v[0:1], v[0:1], v[2:3]
	v_rcp_f64_e32 v[16:17], v[6:7]
	v_div_scale_f64 v[18:19], vcc, v[2:3], v[0:1], v[2:3]
	v_fma_f64 v[20:21], -v[6:7], v[16:17], 1.0
	v_fmac_f64_e32 v[16:17], v[16:17], v[20:21]
	v_fma_f64 v[20:21], -v[6:7], v[16:17], 1.0
	v_fmac_f64_e32 v[16:17], v[16:17], v[20:21]
	v_mul_f64 v[20:21], v[18:19], v[16:17]
	v_fma_f64 v[6:7], -v[6:7], v[20:21], v[18:19]
	v_div_fmas_f64 v[6:7], v[6:7], v[16:17], v[20:21]
	v_div_fixup_f64 v[6:7], v[6:7], v[0:1], v[2:3]
	v_fmac_f64_e32 v[0:1], v[2:3], v[6:7]
	v_div_scale_f64 v[2:3], s[4:5], v[0:1], v[0:1], 1.0
	v_rcp_f64_e32 v[16:17], v[2:3]
	s_nop 0
	v_fma_f64 v[18:19], -v[2:3], v[16:17], 1.0
	v_fmac_f64_e32 v[16:17], v[16:17], v[18:19]
	v_fma_f64 v[18:19], -v[2:3], v[16:17], 1.0
	v_fmac_f64_e32 v[16:17], v[16:17], v[18:19]
	v_div_scale_f64 v[18:19], vcc, 1.0, v[0:1], 1.0
	v_mul_f64 v[20:21], v[18:19], v[16:17]
	v_fma_f64 v[2:3], -v[2:3], v[20:21], v[18:19]
	s_nop 1
	v_div_fmas_f64 v[2:3], v[2:3], v[16:17], v[20:21]
	v_div_fixup_f64 v[0:1], v[2:3], v[0:1], 1.0
	v_mul_f64 v[2:3], v[6:7], -v[0:1]
.LBB126_1447:
	s_or_b64 exec, exec, s[12:13]
.LBB126_1448:
	s_or_b64 exec, exec, s[0:1]
	v_cmp_ne_u32_e32 vcc, v15, v4
	v_mov_b32_e32 v68, 63
	s_and_saveexec_b64 s[0:1], vcc
	s_cbranch_execz .LBB126_1454
; %bb.1449:
	v_cmp_eq_u32_e32 vcc, 63, v15
	s_and_saveexec_b64 s[12:13], vcc
	s_cbranch_execz .LBB126_1453
; %bb.1450:
	v_cmp_ne_u32_e32 vcc, 63, v4
	s_xor_b64 s[4:5], s[8:9], -1
	s_and_b64 s[4:5], s[4:5], vcc
	s_and_saveexec_b64 s[14:15], s[4:5]
	s_cbranch_execz .LBB126_1452
; %bb.1451:
	v_ashrrev_i32_e32 v5, 31, v4
	v_lshl_add_u64 v[6:7], v[4:5], 2, v[10:11]
	global_load_dword v5, v[6:7], off
	global_load_dword v12, v[10:11], off offset:252
	s_waitcnt vmcnt(1)
	global_store_dword v[10:11], v5, off offset:252
	s_waitcnt vmcnt(1)
	global_store_dword v[6:7], v12, off
.LBB126_1452:
	s_or_b64 exec, exec, s[14:15]
	v_mov_b32_e32 v15, v4
	v_mov_b32_e32 v14, v4
.LBB126_1453:
	s_or_b64 exec, exec, s[12:13]
	v_mov_b32_e32 v68, v15
.LBB126_1454:
	s_or_b64 exec, exec, s[0:1]
	v_cmp_lt_i32_e32 vcc, 63, v68
	s_barrier
	s_and_saveexec_b64 s[0:1], vcc
	s_cbranch_execz .LBB126_1456
; %bb.1455:
	scratch_load_dwordx4 v[4:7], off, off offset:1008
	s_waitcnt vmcnt(0)
	v_mul_f64 v[10:11], v[2:3], v[6:7]
	v_mul_f64 v[18:19], v[0:1], v[6:7]
	v_fma_f64 v[16:17], v[0:1], v[4:5], -v[10:11]
	v_fmac_f64_e32 v[18:19], v[2:3], v[4:5]
	scratch_store_dwordx4 off, v[16:19], off offset:1008
.LBB126_1456:
	s_or_b64 exec, exec, s[0:1]
	v_cmp_gt_i32_e32 vcc, 64, v68
	v_ashrrev_i32_e32 v69, 31, v68
	s_barrier
	s_and_saveexec_b64 s[0:1], vcc
	s_cbranch_execz .LBB126_1458
; %bb.1457:
	v_readlane_b32 s4, v128, 4
	v_readlane_b32 s5, v128, 5
	v_readlane_b32 s10, v128, 10
	v_readlane_b32 s11, v128, 11
	v_readlane_b32 s6, v128, 6
	v_readlane_b32 s7, v128, 7
	v_mul_lo_u32 v4, s11, v8
	v_mul_lo_u32 v5, s10, v9
	v_mad_u64_u32 v[2:3], s[4:5], s10, v8, 0
	v_mov_b32_e32 v0, s6
	v_mov_b32_e32 v1, s7
	v_add3_u32 v3, v3, v5, v4
	v_readlane_b32 s8, v128, 8
	v_readlane_b32 s9, v128, 9
	v_lshl_add_u64 v[0:1], v[2:3], 2, v[0:1]
	v_add3_u32 v2, v14, s17, 1
	v_lshl_add_u64 v[0:1], s[8:9], 2, v[0:1]
	v_lshl_add_u64 v[0:1], v[68:69], 2, v[0:1]
	global_store_dword v[0:1], v2, off
.LBB126_1458:
	s_or_b64 exec, exec, s[0:1]
	v_cmp_eq_u32_e32 vcc, 0, v68
	s_and_saveexec_b64 s[6:7], vcc
	s_cbranch_execz .LBB126_1461
; %bb.1459:
	v_readlane_b32 s0, v128, 15
	v_readlane_b32 s1, v128, 16
	s_nop 0
	v_mov_b32_e32 v0, s0
	v_mov_b32_e32 v1, s1
	v_lshl_add_u64 v[0:1], v[8:9], 2, v[0:1]
	global_load_dword v2, v[0:1], off
	v_cmp_ne_u32_e64 s[0:1], 0, v13
	s_waitcnt vmcnt(0)
	v_cmp_eq_u32_e32 vcc, 0, v2
	s_and_b64 s[0:1], vcc, s[0:1]
	s_and_b64 exec, exec, s[0:1]
	s_cbranch_execz .LBB126_1461
; %bb.1460:
	v_add_u32_e32 v2, s17, v13
	global_store_dword v[0:1], v2, off
.LBB126_1461:
	s_or_b64 exec, exec, s[6:7]
	scratch_load_dwordx4 v[28:31], off, off
	scratch_load_dwordx4 v[20:23], off, s3
	scratch_load_dwordx4 v[12:15], off, s18
	scratch_load_dwordx4 v[8:11], off, s19
	scratch_load_dwordx4 v[0:3], off, s93
	scratch_load_dwordx4 v[4:7], off, s92
	scratch_load_dwordx4 v[16:19], off, s91
	scratch_load_dwordx4 v[24:27], off, s90
	scratch_load_dwordx4 v[32:35], off, s89
	scratch_load_dwordx4 v[36:39], off, s88
	scratch_load_dwordx4 v[40:43], off, s49
	scratch_load_dwordx4 v[44:47], off, s84
	scratch_load_dwordx4 v[48:51], off, s83
	scratch_load_dwordx4 v[52:55], off, s82
	scratch_load_dwordx4 v[56:59], off, s81
	scratch_load_dwordx4 v[60:63], off, s80
	scratch_load_dwordx4 v[64:67], off, s79
	v_readlane_b32 s0, v128, 12
	v_lshl_add_u64 v[116:117], v[68:69], 4, v[112:113]
	s_nop 0
	v_add_u32_e32 v114, s0, v68
	scratch_load_dwordx4 v[68:71], off, s86
	scratch_load_dwordx4 v[72:75], off, s58
	;; [unrolled: 1-line block ×11, first 2 shown]
	v_readlane_b32 s0, v128, 13
	v_readlane_b32 s1, v128, 14
	v_ashrrev_i32_e32 v115, 31, v114
	v_add_u32_e32 v122, s0, v114
	v_ashrrev_i32_e32 v123, 31, v122
	v_lshl_add_u64 v[114:115], v[114:115], 4, v[112:113]
	s_waitcnt vmcnt(27)
	global_store_dwordx4 v[116:117], v[28:31], off
	v_lshl_add_u64 v[116:117], s[0:1], 4, v[116:117]
	scratch_load_dwordx4 v[28:31], off, s57
	scratch_load_dwordx4 v[118:121], off, s59
	s_waitcnt vmcnt(29)
	global_store_dwordx4 v[116:117], v[20:23], off
	s_waitcnt vmcnt(29)
	global_store_dwordx4 v[114:115], v[12:15], off
	v_add_u32_e32 v20, s0, v122
	v_add_u32_e32 v116, s0, v20
	v_lshl_add_u64 v[22:23], v[122:123], 4, v[112:113]
	v_add_u32_e32 v122, s0, v116
	v_add_u32_e32 v12, s0, v122
	v_ashrrev_i32_e32 v123, 31, v122
	v_add_u32_e32 v114, s0, v12
	v_lshl_add_u64 v[14:15], v[122:123], 4, v[112:113]
	v_add_u32_e32 v122, s0, v114
	s_waitcnt vmcnt(29)
	global_store_dwordx4 v[22:23], v[8:11], off
	v_ashrrev_i32_e32 v123, 31, v122
	v_ashrrev_i32_e32 v21, 31, v20
	v_add_u32_e32 v8, s0, v122
	v_add_u32_e32 v22, s0, v8
	v_ashrrev_i32_e32 v117, 31, v116
	v_lshl_add_u64 v[10:11], v[122:123], 4, v[112:113]
	v_add_u32_e32 v122, s0, v22
	v_lshl_add_u64 v[20:21], v[20:21], 4, v[112:113]
	v_lshl_add_u64 v[116:117], v[116:117], 4, v[112:113]
	v_ashrrev_i32_e32 v13, 31, v12
	v_ashrrev_i32_e32 v115, 31, v114
	;; [unrolled: 1-line block ×5, first 2 shown]
	v_lshl_add_u64 v[12:13], v[12:13], 4, v[112:113]
	v_lshl_add_u64 v[114:115], v[114:115], 4, v[112:113]
	;; [unrolled: 1-line block ×4, first 2 shown]
	s_waitcnt vmcnt(29)
	global_store_dwordx4 v[20:21], v[0:3], off
	v_add_u32_e32 v20, s0, v122
	v_ashrrev_i32_e32 v21, 31, v20
	v_lshl_add_u64 v[0:1], v[122:123], 4, v[112:113]
	s_waitcnt vmcnt(29)
	global_store_dwordx4 v[116:117], v[4:7], off
	s_waitcnt vmcnt(29)
	global_store_dwordx4 v[14:15], v[16:19], off
	;; [unrolled: 2-line block ×8, first 2 shown]
	scratch_load_dwordx4 v[0:3], off, s54
	v_add_u32_e32 v8, s0, v20
	scratch_load_dwordx4 v[4:7], off, s53
	v_add_u32_e32 v12, s0, v8
	v_ashrrev_i32_e32 v9, 31, v8
	v_ashrrev_i32_e32 v13, 31, v12
	v_lshl_add_u64 v[122:123], v[20:21], 4, v[112:113]
	v_lshl_add_u64 v[10:11], v[8:9], 4, v[112:113]
	;; [unrolled: 1-line block ×3, first 2 shown]
	v_add_u32_e32 v16, s0, v12
	s_waitcnt vmcnt(31)
	global_store_dwordx4 v[122:123], v[52:55], off
	s_waitcnt vmcnt(31)
	global_store_dwordx4 v[10:11], v[56:59], off
	;; [unrolled: 2-line block ×3, first 2 shown]
	scratch_load_dwordx4 v[8:11], off, s87
	v_ashrrev_i32_e32 v17, 31, v16
	v_lshl_add_u64 v[12:13], v[16:17], 4, v[112:113]
	v_add_u32_e32 v20, s0, v16
	s_waitcnt vmcnt(32)
	global_store_dwordx4 v[12:13], v[64:67], off
	scratch_load_dwordx4 v[12:15], off, s52
	v_ashrrev_i32_e32 v21, 31, v20
	v_lshl_add_u64 v[16:17], v[20:21], 4, v[112:113]
	s_waitcnt vmcnt(33)
	global_store_dwordx4 v[16:17], v[68:71], off
	scratch_load_dwordx4 v[16:19], off, s50
	v_add_u32_e32 v20, s0, v20
	v_ashrrev_i32_e32 v21, 31, v20
	v_lshl_add_u64 v[22:23], v[20:21], 4, v[112:113]
	v_add_u32_e32 v24, s0, v20
	s_waitcnt vmcnt(34)
	global_store_dwordx4 v[22:23], v[72:75], off
	scratch_load_dwordx4 v[20:23], off, s51
	v_ashrrev_i32_e32 v25, 31, v24
	v_lshl_add_u64 v[26:27], v[24:25], 4, v[112:113]
	v_add_u32_e32 v32, s0, v24
	s_waitcnt vmcnt(35)
	global_store_dwordx4 v[26:27], v[76:79], off
	scratch_load_dwordx4 v[24:27], off, s48
	v_ashrrev_i32_e32 v33, 31, v32
	v_lshl_add_u64 v[34:35], v[32:33], 4, v[112:113]
	s_waitcnt vmcnt(36)
	global_store_dwordx4 v[34:35], v[80:83], off
	v_add_u32_e32 v36, s0, v32
	scratch_load_dwordx4 v[32:35], off, s47
	v_ashrrev_i32_e32 v37, 31, v36
	v_lshl_add_u64 v[38:39], v[36:37], 4, v[112:113]
	v_add_u32_e32 v40, s0, v36
	s_waitcnt vmcnt(37)
	global_store_dwordx4 v[38:39], v[84:87], off
	v_ashrrev_i32_e32 v41, 31, v40
	scratch_load_dwordx4 v[36:39], off, s46
	v_lshl_add_u64 v[42:43], v[40:41], 4, v[112:113]
	v_add_u32_e32 v44, s0, v40
	s_waitcnt vmcnt(38)
	global_store_dwordx4 v[42:43], v[88:91], off
	v_ashrrev_i32_e32 v45, 31, v44
	scratch_load_dwordx4 v[40:43], off, s45
	v_lshl_add_u64 v[46:47], v[44:45], 4, v[112:113]
	s_waitcnt vmcnt(39)
	global_store_dwordx4 v[46:47], v[92:95], off
	v_add_u32_e32 v48, s0, v44
	scratch_load_dwordx4 v[44:47], off, s44
	v_ashrrev_i32_e32 v49, 31, v48
	v_lshl_add_u64 v[50:51], v[48:49], 4, v[112:113]
	v_add_u32_e32 v52, s0, v48
	s_waitcnt vmcnt(40)
	global_store_dwordx4 v[50:51], v[96:99], off
	v_ashrrev_i32_e32 v53, 31, v52
	scratch_load_dwordx4 v[48:51], off, s43
	v_lshl_add_u64 v[54:55], v[52:53], 4, v[112:113]
	s_waitcnt vmcnt(41)
	global_store_dwordx4 v[54:55], v[100:103], off
	v_add_u32_e32 v56, s0, v52
	scratch_load_dwordx4 v[52:55], off, s42
	v_ashrrev_i32_e32 v57, 31, v56
	v_lshl_add_u64 v[58:59], v[56:57], 4, v[112:113]
	s_waitcnt vmcnt(42)
	global_store_dwordx4 v[58:59], v[104:107], off
	v_add_u32_e32 v60, s0, v56
	scratch_load_dwordx4 v[56:59], off, s41
	v_ashrrev_i32_e32 v61, 31, v60
	v_lshl_add_u64 v[62:63], v[60:61], 4, v[112:113]
	s_waitcnt vmcnt(41)
	global_store_dwordx4 v[62:63], v[28:31], off
	scratch_load_dwordx4 v[28:31], off, s40
	v_add_u32_e32 v60, s0, v60
	v_ashrrev_i32_e32 v61, 31, v60
	v_add_u32_e32 v64, s0, v60
	v_lshl_add_u64 v[62:63], v[60:61], 4, v[112:113]
	v_ashrrev_i32_e32 v65, 31, v64
	s_waitcnt vmcnt(42)
	global_store_dwordx4 v[62:63], v[118:121], off
	scratch_load_dwordx4 v[60:63], off, s39
	v_lshl_add_u64 v[66:67], v[64:65], 4, v[112:113]
	s_waitcnt vmcnt(31)
	global_store_dwordx4 v[66:67], v[0:3], off
	scratch_load_dwordx4 v[0:3], off, s38
	v_add_u32_e32 v64, s0, v64
	v_ashrrev_i32_e32 v65, 31, v64
	v_lshl_add_u64 v[66:67], v[64:65], 4, v[112:113]
	s_waitcnt vmcnt(32)
	global_store_dwordx4 v[66:67], v[4:7], off
	scratch_load_dwordx4 v[4:7], off, s37
	v_add_u32_e32 v68, s0, v64
	v_ashrrev_i32_e32 v69, 31, v68
	scratch_load_dwordx4 v[64:67], off, s36
	v_lshl_add_u64 v[70:71], v[68:69], 4, v[112:113]
	v_add_u32_e32 v68, s0, v68
	s_waitcnt vmcnt(31)
	global_store_dwordx4 v[70:71], v[8:11], off
	v_ashrrev_i32_e32 v69, 31, v68
	scratch_load_dwordx4 v[8:11], off, s35
	v_lshl_add_u64 v[70:71], v[68:69], 4, v[112:113]
	v_add_u32_e32 v68, s0, v68
	s_waitcnt vmcnt(31)
	global_store_dwordx4 v[70:71], v[12:15], off
	scratch_load_dwordx4 v[12:15], off, s34
	v_ashrrev_i32_e32 v69, 31, v68
	v_lshl_add_u64 v[70:71], v[68:69], 4, v[112:113]
	s_waitcnt vmcnt(31)
	global_store_dwordx4 v[70:71], v[16:19], off
	scratch_load_dwordx4 v[16:19], off, s33
	v_add_u32_e32 v72, s0, v68
	v_ashrrev_i32_e32 v73, 31, v72
	scratch_load_dwordx4 v[68:71], off, s31
	v_lshl_add_u64 v[74:75], v[72:73], 4, v[112:113]
	v_add_u32_e32 v72, s0, v72
	s_waitcnt vmcnt(32)
	global_store_dwordx4 v[74:75], v[20:23], off
	v_ashrrev_i32_e32 v73, 31, v72
	scratch_load_dwordx4 v[20:23], off, s30
	v_lshl_add_u64 v[74:75], v[72:73], 4, v[112:113]
	v_add_u32_e32 v72, s0, v72
	s_waitcnt vmcnt(32)
	global_store_dwordx4 v[74:75], v[24:27], off
	scratch_load_dwordx4 v[24:27], off, s29
	;; [unrolled: 19-line block ×3, first 2 shown]
	v_ashrrev_i32_e32 v77, 31, v76
	v_lshl_add_u64 v[78:79], v[76:77], 4, v[112:113]
	s_waitcnt vmcnt(33)
	global_store_dwordx4 v[78:79], v[44:47], off
	scratch_load_dwordx4 v[44:47], off, s24
	v_add_u32_e32 v80, s0, v76
	v_ashrrev_i32_e32 v81, 31, v80
	scratch_load_dwordx4 v[76:79], off, s23
	v_lshl_add_u64 v[82:83], v[80:81], 4, v[112:113]
	v_add_u32_e32 v80, s0, v80
	s_waitcnt vmcnt(34)
	global_store_dwordx4 v[82:83], v[48:51], off
	v_ashrrev_i32_e32 v81, 31, v80
	scratch_load_dwordx4 v[48:51], off, s22
	v_lshl_add_u64 v[82:83], v[80:81], 4, v[112:113]
	s_waitcnt vmcnt(34)
	global_store_dwordx4 v[82:83], v[52:55], off
	v_add_u32_e32 v80, s0, v80
	scratch_load_dwordx4 v[52:55], off, s21
	v_ashrrev_i32_e32 v81, 31, v80
	v_lshl_add_u64 v[82:83], v[80:81], 4, v[112:113]
	s_waitcnt vmcnt(34)
	global_store_dwordx4 v[82:83], v[56:59], off
	scratch_load_dwordx4 v[56:59], off, s20
	v_add_u32_e32 v80, s0, v80
	v_ashrrev_i32_e32 v81, 31, v80
	v_lshl_add_u64 v[82:83], v[80:81], 4, v[112:113]
	s_waitcnt vmcnt(34)
	global_store_dwordx4 v[82:83], v[28:31], off
	s_nop 1
	v_add_u32_e32 v28, s0, v80
	v_ashrrev_i32_e32 v29, 31, v28
	v_lshl_add_u64 v[30:31], v[28:29], 4, v[112:113]
	v_add_u32_e32 v28, s0, v28
	v_ashrrev_i32_e32 v29, 31, v28
	s_waitcnt vmcnt(33)
	global_store_dwordx4 v[30:31], v[60:63], off
	v_lshl_add_u64 v[30:31], v[28:29], 4, v[112:113]
	s_waitcnt vmcnt(32)
	global_store_dwordx4 v[30:31], v[0:3], off
	s_nop 1
	v_add_u32_e32 v0, s0, v28
	v_ashrrev_i32_e32 v1, 31, v0
	v_lshl_add_u64 v[2:3], v[0:1], 4, v[112:113]
	v_add_u32_e32 v0, s0, v0
	v_ashrrev_i32_e32 v1, 31, v0
	s_waitcnt vmcnt(31)
	global_store_dwordx4 v[2:3], v[4:7], off
	v_lshl_add_u64 v[2:3], v[0:1], 4, v[112:113]
	v_add_u32_e32 v0, s0, v0
	v_ashrrev_i32_e32 v1, 31, v0
	s_waitcnt vmcnt(31)
	global_store_dwordx4 v[2:3], v[64:67], off
	v_lshl_add_u64 v[2:3], v[0:1], 4, v[112:113]
	v_add_u32_e32 v0, s0, v0
	v_ashrrev_i32_e32 v1, 31, v0
	s_waitcnt vmcnt(30)
	global_store_dwordx4 v[2:3], v[8:11], off
	v_lshl_add_u64 v[2:3], v[0:1], 4, v[112:113]
	v_add_u32_e32 v0, s0, v0
	v_ashrrev_i32_e32 v1, 31, v0
	s_waitcnt vmcnt(29)
	global_store_dwordx4 v[2:3], v[12:15], off
	v_lshl_add_u64 v[2:3], v[0:1], 4, v[112:113]
	v_add_u32_e32 v0, s0, v0
	v_ashrrev_i32_e32 v1, 31, v0
	s_waitcnt vmcnt(28)
	global_store_dwordx4 v[2:3], v[16:19], off
	v_lshl_add_u64 v[2:3], v[0:1], 4, v[112:113]
	v_add_u32_e32 v0, s0, v0
	v_ashrrev_i32_e32 v1, 31, v0
	s_waitcnt vmcnt(28)
	global_store_dwordx4 v[2:3], v[68:71], off
	v_lshl_add_u64 v[2:3], v[0:1], 4, v[112:113]
	v_add_u32_e32 v0, s0, v0
	v_ashrrev_i32_e32 v1, 31, v0
	s_waitcnt vmcnt(27)
	global_store_dwordx4 v[2:3], v[20:23], off
	v_lshl_add_u64 v[2:3], v[0:1], 4, v[112:113]
	v_add_u32_e32 v0, s0, v0
	v_ashrrev_i32_e32 v1, 31, v0
	s_waitcnt vmcnt(26)
	global_store_dwordx4 v[2:3], v[24:27], off
	v_lshl_add_u64 v[2:3], v[0:1], 4, v[112:113]
	v_add_u32_e32 v0, s0, v0
	v_ashrrev_i32_e32 v1, 31, v0
	s_waitcnt vmcnt(25)
	global_store_dwordx4 v[2:3], v[32:35], off
	v_lshl_add_u64 v[2:3], v[0:1], 4, v[112:113]
	v_add_u32_e32 v0, s0, v0
	v_ashrrev_i32_e32 v1, 31, v0
	s_waitcnt vmcnt(25)
	global_store_dwordx4 v[2:3], v[72:75], off
	v_lshl_add_u64 v[2:3], v[0:1], 4, v[112:113]
	v_add_u32_e32 v0, s0, v0
	v_ashrrev_i32_e32 v1, 31, v0
	s_waitcnt vmcnt(24)
	global_store_dwordx4 v[2:3], v[36:39], off
	v_lshl_add_u64 v[2:3], v[0:1], 4, v[112:113]
	v_add_u32_e32 v0, s0, v0
	v_ashrrev_i32_e32 v1, 31, v0
	s_waitcnt vmcnt(23)
	global_store_dwordx4 v[2:3], v[40:43], off
	v_lshl_add_u64 v[2:3], v[0:1], 4, v[112:113]
	v_add_u32_e32 v0, s0, v0
	v_ashrrev_i32_e32 v1, 31, v0
	s_waitcnt vmcnt(22)
	global_store_dwordx4 v[2:3], v[44:47], off
	v_lshl_add_u64 v[2:3], v[0:1], 4, v[112:113]
	v_add_u32_e32 v0, s0, v0
	v_ashrrev_i32_e32 v1, 31, v0
	s_waitcnt vmcnt(22)
	global_store_dwordx4 v[2:3], v[76:79], off
	v_lshl_add_u64 v[2:3], v[0:1], 4, v[112:113]
	v_add_u32_e32 v0, s0, v0
	v_ashrrev_i32_e32 v1, 31, v0
	s_waitcnt vmcnt(21)
	global_store_dwordx4 v[2:3], v[48:51], off
	v_lshl_add_u64 v[2:3], v[0:1], 4, v[112:113]
	v_add_u32_e32 v0, s0, v0
	v_ashrrev_i32_e32 v1, 31, v0
	s_waitcnt vmcnt(20)
	global_store_dwordx4 v[2:3], v[52:55], off
	v_lshl_add_u64 v[2:3], v[0:1], 4, v[112:113]
	v_add_u32_e32 v0, s0, v0
	v_ashrrev_i32_e32 v1, 31, v0
	v_lshl_add_u64 v[0:1], v[0:1], 4, v[112:113]
	s_waitcnt vmcnt(19)
	global_store_dwordx4 v[2:3], v[56:59], off
	global_store_dwordx4 v[0:1], v[108:111], off
.LBB126_1462:
	s_endpgm
	.section	.rodata,"a",@progbits
	.p2align	6, 0x0
	.amdhsa_kernel _ZN9rocsolver6v33100L18getf2_small_kernelILi64E19rocblas_complex_numIdEiiPS3_EEvT1_T3_lS5_lPS5_llPT2_S5_S5_S7_l
		.amdhsa_group_segment_fixed_size 0
		.amdhsa_private_segment_fixed_size 1040
		.amdhsa_kernarg_size 352
		.amdhsa_user_sgpr_count 2
		.amdhsa_user_sgpr_dispatch_ptr 0
		.amdhsa_user_sgpr_queue_ptr 0
		.amdhsa_user_sgpr_kernarg_segment_ptr 1
		.amdhsa_user_sgpr_dispatch_id 0
		.amdhsa_user_sgpr_kernarg_preload_length 0
		.amdhsa_user_sgpr_kernarg_preload_offset 0
		.amdhsa_user_sgpr_private_segment_size 0
		.amdhsa_uses_dynamic_stack 0
		.amdhsa_enable_private_segment 1
		.amdhsa_system_sgpr_workgroup_id_x 1
		.amdhsa_system_sgpr_workgroup_id_y 1
		.amdhsa_system_sgpr_workgroup_id_z 0
		.amdhsa_system_sgpr_workgroup_info 0
		.amdhsa_system_vgpr_workitem_id 1
		.amdhsa_next_free_vgpr 129
		.amdhsa_next_free_sgpr 100
		.amdhsa_accum_offset 132
		.amdhsa_reserve_vcc 1
		.amdhsa_float_round_mode_32 0
		.amdhsa_float_round_mode_16_64 0
		.amdhsa_float_denorm_mode_32 3
		.amdhsa_float_denorm_mode_16_64 3
		.amdhsa_dx10_clamp 1
		.amdhsa_ieee_mode 1
		.amdhsa_fp16_overflow 0
		.amdhsa_tg_split 0
		.amdhsa_exception_fp_ieee_invalid_op 0
		.amdhsa_exception_fp_denorm_src 0
		.amdhsa_exception_fp_ieee_div_zero 0
		.amdhsa_exception_fp_ieee_overflow 0
		.amdhsa_exception_fp_ieee_underflow 0
		.amdhsa_exception_fp_ieee_inexact 0
		.amdhsa_exception_int_div_zero 0
	.end_amdhsa_kernel
	.section	.text._ZN9rocsolver6v33100L18getf2_small_kernelILi64E19rocblas_complex_numIdEiiPS3_EEvT1_T3_lS5_lPS5_llPT2_S5_S5_S7_l,"axG",@progbits,_ZN9rocsolver6v33100L18getf2_small_kernelILi64E19rocblas_complex_numIdEiiPS3_EEvT1_T3_lS5_lPS5_llPT2_S5_S5_S7_l,comdat
.Lfunc_end126:
	.size	_ZN9rocsolver6v33100L18getf2_small_kernelILi64E19rocblas_complex_numIdEiiPS3_EEvT1_T3_lS5_lPS5_llPT2_S5_S5_S7_l, .Lfunc_end126-_ZN9rocsolver6v33100L18getf2_small_kernelILi64E19rocblas_complex_numIdEiiPS3_EEvT1_T3_lS5_lPS5_llPT2_S5_S5_S7_l
                                        ; -- End function
	.set _ZN9rocsolver6v33100L18getf2_small_kernelILi64E19rocblas_complex_numIdEiiPS3_EEvT1_T3_lS5_lPS5_llPT2_S5_S5_S7_l.num_vgpr, 129
	.set _ZN9rocsolver6v33100L18getf2_small_kernelILi64E19rocblas_complex_numIdEiiPS3_EEvT1_T3_lS5_lPS5_llPT2_S5_S5_S7_l.num_agpr, 0
	.set _ZN9rocsolver6v33100L18getf2_small_kernelILi64E19rocblas_complex_numIdEiiPS3_EEvT1_T3_lS5_lPS5_llPT2_S5_S5_S7_l.numbered_sgpr, 100
	.set _ZN9rocsolver6v33100L18getf2_small_kernelILi64E19rocblas_complex_numIdEiiPS3_EEvT1_T3_lS5_lPS5_llPT2_S5_S5_S7_l.num_named_barrier, 0
	.set _ZN9rocsolver6v33100L18getf2_small_kernelILi64E19rocblas_complex_numIdEiiPS3_EEvT1_T3_lS5_lPS5_llPT2_S5_S5_S7_l.private_seg_size, 1040
	.set _ZN9rocsolver6v33100L18getf2_small_kernelILi64E19rocblas_complex_numIdEiiPS3_EEvT1_T3_lS5_lPS5_llPT2_S5_S5_S7_l.uses_vcc, 1
	.set _ZN9rocsolver6v33100L18getf2_small_kernelILi64E19rocblas_complex_numIdEiiPS3_EEvT1_T3_lS5_lPS5_llPT2_S5_S5_S7_l.uses_flat_scratch, 0
	.set _ZN9rocsolver6v33100L18getf2_small_kernelILi64E19rocblas_complex_numIdEiiPS3_EEvT1_T3_lS5_lPS5_llPT2_S5_S5_S7_l.has_dyn_sized_stack, 0
	.set _ZN9rocsolver6v33100L18getf2_small_kernelILi64E19rocblas_complex_numIdEiiPS3_EEvT1_T3_lS5_lPS5_llPT2_S5_S5_S7_l.has_recursion, 0
	.set _ZN9rocsolver6v33100L18getf2_small_kernelILi64E19rocblas_complex_numIdEiiPS3_EEvT1_T3_lS5_lPS5_llPT2_S5_S5_S7_l.has_indirect_call, 0
	.section	.AMDGPU.csdata,"",@progbits
; Kernel info:
; codeLenInByte = 141660
; TotalNumSgprs: 106
; NumVgprs: 129
; NumAgprs: 0
; TotalNumVgprs: 129
; ScratchSize: 1040
; MemoryBound: 0
; FloatMode: 240
; IeeeMode: 1
; LDSByteSize: 0 bytes/workgroup (compile time only)
; SGPRBlocks: 13
; VGPRBlocks: 16
; NumSGPRsForWavesPerEU: 106
; NumVGPRsForWavesPerEU: 129
; AccumOffset: 132
; Occupancy: 3
; WaveLimiterHint : 1
; COMPUTE_PGM_RSRC2:SCRATCH_EN: 1
; COMPUTE_PGM_RSRC2:USER_SGPR: 2
; COMPUTE_PGM_RSRC2:TRAP_HANDLER: 0
; COMPUTE_PGM_RSRC2:TGID_X_EN: 1
; COMPUTE_PGM_RSRC2:TGID_Y_EN: 1
; COMPUTE_PGM_RSRC2:TGID_Z_EN: 0
; COMPUTE_PGM_RSRC2:TIDIG_COMP_CNT: 1
; COMPUTE_PGM_RSRC3_GFX90A:ACCUM_OFFSET: 32
; COMPUTE_PGM_RSRC3_GFX90A:TG_SPLIT: 0
	.section	.text._ZN9rocsolver6v33100L23getf2_npvt_small_kernelILi64E19rocblas_complex_numIdEiiPS3_EEvT1_T3_lS5_lPT2_S5_S5_,"axG",@progbits,_ZN9rocsolver6v33100L23getf2_npvt_small_kernelILi64E19rocblas_complex_numIdEiiPS3_EEvT1_T3_lS5_lPT2_S5_S5_,comdat
	.globl	_ZN9rocsolver6v33100L23getf2_npvt_small_kernelILi64E19rocblas_complex_numIdEiiPS3_EEvT1_T3_lS5_lPT2_S5_S5_ ; -- Begin function _ZN9rocsolver6v33100L23getf2_npvt_small_kernelILi64E19rocblas_complex_numIdEiiPS3_EEvT1_T3_lS5_lPT2_S5_S5_
	.p2align	8
	.type	_ZN9rocsolver6v33100L23getf2_npvt_small_kernelILi64E19rocblas_complex_numIdEiiPS3_EEvT1_T3_lS5_lPT2_S5_S5_,@function
_ZN9rocsolver6v33100L23getf2_npvt_small_kernelILi64E19rocblas_complex_numIdEiiPS3_EEvT1_T3_lS5_lPT2_S5_S5_: ; @_ZN9rocsolver6v33100L23getf2_npvt_small_kernelILi64E19rocblas_complex_numIdEiiPS3_EEvT1_T3_lS5_lPT2_S5_S5_
; %bb.0:
	s_load_dword s2, s[0:1], 0x44
	s_load_dwordx2 s[8:9], s[0:1], 0x30
	v_bfe_u32 v36, v0, 10, 10
	s_waitcnt lgkmcnt(0)
	s_lshr_b32 s10, s2, 16
	s_mul_i32 s3, s3, s10
	v_add_u32_e32 v32, s3, v36
	v_cmp_gt_i32_e32 vcc, s8, v32
	s_and_saveexec_b64 s[2:3], vcc
	s_cbranch_execz .LBB127_694
; %bb.1:
	s_load_dwordx4 s[12:15], s[0:1], 0x8
	s_load_dword s2, s[0:1], 0x18
	s_load_dwordx4 s[4:7], s[0:1], 0x20
	v_ashrrev_i32_e32 v33, 31, v32
	v_and_b32_e32 v254, 0x3ff, v0
	s_waitcnt lgkmcnt(0)
	v_mov_b32_e32 v2, s12
	v_mov_b32_e32 v3, s13
	v_mul_lo_u32 v4, s5, v32
	v_mul_lo_u32 v5, s4, v33
	v_mad_u64_u32 v[0:1], s[0:1], s4, v32, 0
	v_add3_u32 v1, v1, v5, v4
	v_lshl_add_u64 v[0:1], v[0:1], 4, v[2:3]
	v_lshl_add_u64 v[34:35], s[14:15], 4, v[0:1]
	v_lshlrev_b32_e32 v0, 4, v254
	v_mov_b32_e32 v1, 0
	s_add_i32 s0, s2, s2
	v_lshl_add_u64 v[252:253], v[34:35], 0, v[0:1]
	v_add_u32_e32 v0, s0, v254
	v_add_u32_e32 v16, s2, v0
	v_ashrrev_i32_e32 v17, 31, v16
	v_lshl_add_u64 v[4:5], v[16:17], 4, v[34:35]
	v_add_u32_e32 v16, s2, v16
	v_add_u32_e32 v24, s2, v16
	v_ashrrev_i32_e32 v25, 31, v24
	v_lshl_add_u64 v[20:21], v[24:25], 4, v[34:35]
	v_add_u32_e32 v24, s2, v24
	v_ashrrev_i32_e32 v25, 31, v24
	v_lshl_add_u64 v[26:27], v[24:25], 4, v[34:35]
	v_add_u32_e32 v24, s2, v24
	v_add_u32_e32 v38, s2, v24
	;; [unrolled: 1-line block ×4, first 2 shown]
	v_ashrrev_i32_e32 v1, 31, v0
	v_add_u32_e32 v48, s2, v46
	v_lshl_add_u64 v[2:3], v[0:1], 4, v[34:35]
	global_load_dwordx4 v[12:15], v[252:253], off
	v_add_u32_e32 v54, s2, v48
	s_ashr_i32 s3, s2, 31
	scratch_store_dwordx2 off, v[2:3], off offset:1024 ; 8-byte Folded Spill
	global_load_dwordx4 v[0:3], v[2:3], off
	v_ashrrev_i32_e32 v55, 31, v54
	scratch_store_dwordx2 off, v[4:5], off offset:1032 ; 8-byte Folded Spill
	global_load_dwordx4 v[4:7], v[4:5], off
	v_lshl_add_u64 v[8:9], s[2:3], 4, v[252:253]
	v_ashrrev_i32_e32 v17, 31, v16
	v_lshl_add_u64 v[56:57], v[54:55], 4, v[34:35]
	v_add_u32_e32 v54, s2, v54
	scratch_store_dwordx2 off, v[8:9], off offset:1040 ; 8-byte Folded Spill
	global_load_dwordx4 v[8:11], v[8:9], off
	v_lshl_add_u64 v[18:19], v[16:17], 4, v[34:35]
	v_add_u32_e32 v62, s2, v54
	scratch_store_dwordx2 off, v[18:19], off offset:1048 ; 8-byte Folded Spill
	global_load_dwordx4 v[16:19], v[18:19], off
	v_add_u32_e32 v64, s2, v62
	scratch_store_dwordx2 off, v[20:21], off offset:1056 ; 8-byte Folded Spill
	global_load_dwordx4 v[20:23], v[20:21], off
	v_ashrrev_i32_e32 v25, 31, v24
	v_add_u32_e32 v70, s2, v64
	v_lshl_add_u64 v[28:29], v[24:25], 4, v[34:35]
	v_ashrrev_i32_e32 v39, 31, v38
	scratch_store_dwordx2 off, v[26:27], off offset:1064 ; 8-byte Folded Spill
	global_load_dwordx4 v[24:27], v[26:27], off
	v_ashrrev_i32_e32 v71, 31, v70
	scratch_store_dwordx2 off, v[28:29], off offset:1072 ; 8-byte Folded Spill
	global_load_dwordx4 v[28:31], v[28:29], off
	v_lshl_add_u64 v[38:39], v[38:39], 4, v[34:35]
	v_ashrrev_i32_e32 v41, 31, v40
	v_lshl_add_u64 v[72:73], v[70:71], 4, v[34:35]
	v_add_u32_e32 v70, s2, v70
	v_lshl_add_u64 v[42:43], v[40:41], 4, v[34:35]
	v_ashrrev_i32_e32 v47, 31, v46
	scratch_store_dwordx2 off, v[38:39], off offset:1080 ; 8-byte Folded Spill
	global_load_dwordx4 v[38:41], v[38:39], off
	v_add_u32_e32 v78, s2, v70
	scratch_store_dwordx2 off, v[42:43], off offset:1088 ; 8-byte Folded Spill
	global_load_dwordx4 v[42:45], v[42:43], off
	v_lshl_add_u64 v[46:47], v[46:47], 4, v[34:35]
	v_ashrrev_i32_e32 v49, 31, v48
	v_add_u32_e32 v86, s2, v78
	v_lshl_add_u64 v[50:51], v[48:49], 4, v[34:35]
	scratch_store_dwordx2 off, v[46:47], off offset:1096 ; 8-byte Folded Spill
	global_load_dwordx4 v[46:49], v[46:47], off
	v_ashrrev_i32_e32 v87, 31, v86
	scratch_store_dwordx2 off, v[50:51], off offset:1104 ; 8-byte Folded Spill
	global_load_dwordx4 v[50:53], v[50:51], off
	v_ashrrev_i32_e32 v55, 31, v54
	v_lshl_add_u64 v[82:83], v[86:87], 4, v[34:35]
	v_add_u32_e32 v86, s2, v86
	v_lshl_add_u64 v[58:59], v[54:55], 4, v[34:35]
	v_ashrrev_i32_e32 v63, 31, v62
	scratch_store_dwordx2 off, v[56:57], off offset:1112 ; 8-byte Folded Spill
	global_load_dwordx4 v[54:57], v[56:57], off
	v_add_u32_e32 v94, s2, v86
	scratch_store_dwordx2 off, v[58:59], off offset:1120 ; 8-byte Folded Spill
	global_load_dwordx4 v[58:61], v[58:59], off
	v_lshl_add_u64 v[62:63], v[62:63], 4, v[34:35]
	v_ashrrev_i32_e32 v65, 31, v64
	v_ashrrev_i32_e32 v95, 31, v94
	v_lshl_add_u64 v[66:67], v[64:65], 4, v[34:35]
	scratch_store_dwordx2 off, v[62:63], off offset:1128 ; 8-byte Folded Spill
	global_load_dwordx4 v[62:65], v[62:63], off
	v_lshl_add_u64 v[90:91], v[94:95], 4, v[34:35]
	v_add_u32_e32 v94, s2, v94
	scratch_store_dwordx2 off, v[66:67], off offset:1136 ; 8-byte Folded Spill
	global_load_dwordx4 v[66:69], v[66:67], off
	v_ashrrev_i32_e32 v71, 31, v70
	v_add_u32_e32 v102, s2, v94
	v_lshl_add_u64 v[74:75], v[70:71], 4, v[34:35]
	scratch_store_dwordx2 off, v[72:73], off offset:1144 ; 8-byte Folded Spill
	global_load_dwordx4 v[70:73], v[72:73], off
	v_ashrrev_i32_e32 v79, 31, v78
	v_ashrrev_i32_e32 v103, 31, v102
	scratch_store_dwordx2 off, v[74:75], off offset:1152 ; 8-byte Folded Spill
	global_load_dwordx4 v[74:77], v[74:75], off
	v_lshl_add_u64 v[80:81], v[78:79], 4, v[34:35]
	v_lshl_add_u64 v[98:99], v[102:103], 4, v[34:35]
	v_add_u32_e32 v102, s2, v102
	scratch_store_dwordx2 off, v[80:81], off offset:1160 ; 8-byte Folded Spill
	global_load_dwordx4 v[78:81], v[80:81], off
	v_ashrrev_i32_e32 v87, 31, v86
	v_add_u32_e32 v110, s2, v102
	scratch_store_dwordx2 off, v[82:83], off offset:1168 ; 8-byte Folded Spill
	global_load_dwordx4 v[82:85], v[82:83], off
	v_lshl_add_u64 v[88:89], v[86:87], 4, v[34:35]
	v_ashrrev_i32_e32 v111, 31, v110
	scratch_store_dwordx2 off, v[88:89], off offset:1176 ; 8-byte Folded Spill
	global_load_dwordx4 v[86:89], v[88:89], off
	v_ashrrev_i32_e32 v95, 31, v94
	v_lshl_add_u64 v[106:107], v[110:111], 4, v[34:35]
	v_add_u32_e32 v110, s2, v110
	scratch_store_dwordx2 off, v[90:91], off offset:1184 ; 8-byte Folded Spill
	global_load_dwordx4 v[90:93], v[90:91], off
	v_lshl_add_u64 v[96:97], v[94:95], 4, v[34:35]
	v_add_u32_e32 v118, s2, v110
	scratch_store_dwordx2 off, v[96:97], off offset:1192 ; 8-byte Folded Spill
	global_load_dwordx4 v[94:97], v[96:97], off
	v_ashrrev_i32_e32 v103, 31, v102
	v_ashrrev_i32_e32 v119, 31, v118
	scratch_store_dwordx2 off, v[98:99], off offset:1200 ; 8-byte Folded Spill
	global_load_dwordx4 v[98:101], v[98:99], off
	v_lshl_add_u64 v[104:105], v[102:103], 4, v[34:35]
	v_lshl_add_u64 v[114:115], v[118:119], 4, v[34:35]
	v_add_u32_e32 v118, s2, v118
	scratch_store_dwordx2 off, v[104:105], off offset:1208 ; 8-byte Folded Spill
	global_load_dwordx4 v[102:105], v[104:105], off
	v_ashrrev_i32_e32 v111, 31, v110
	v_add_u32_e32 v126, s2, v118
	scratch_store_dwordx2 off, v[106:107], off offset:1216 ; 8-byte Folded Spill
	global_load_dwordx4 v[106:109], v[106:107], off
	v_lshl_add_u64 v[112:113], v[110:111], 4, v[34:35]
	v_ashrrev_i32_e32 v127, 31, v126
	scratch_store_dwordx2 off, v[112:113], off offset:1224 ; 8-byte Folded Spill
	global_load_dwordx4 v[110:113], v[112:113], off
	v_ashrrev_i32_e32 v119, 31, v118
	v_lshl_add_u64 v[122:123], v[126:127], 4, v[34:35]
	v_add_u32_e32 v126, s2, v126
	scratch_store_dwordx2 off, v[114:115], off offset:1232 ; 8-byte Folded Spill
	global_load_dwordx4 v[114:117], v[114:115], off
	v_lshl_add_u64 v[120:121], v[118:119], 4, v[34:35]
	v_add_u32_e32 v134, s2, v126
	scratch_store_dwordx2 off, v[120:121], off offset:1240 ; 8-byte Folded Spill
	global_load_dwordx4 v[118:121], v[120:121], off
	v_ashrrev_i32_e32 v127, 31, v126
	v_ashrrev_i32_e32 v135, 31, v134
	scratch_store_dwordx2 off, v[122:123], off offset:1248 ; 8-byte Folded Spill
	global_load_dwordx4 v[122:125], v[122:123], off
	v_lshl_add_u64 v[128:129], v[126:127], 4, v[34:35]
	v_lshl_add_u64 v[130:131], v[134:135], 4, v[34:35]
	v_add_u32_e32 v134, s2, v134
	scratch_store_dwordx2 off, v[128:129], off offset:1256 ; 8-byte Folded Spill
	global_load_dwordx4 v[126:129], v[128:129], off
	v_ashrrev_i32_e32 v135, 31, v134
	v_add_u32_e32 v142, s2, v134
	scratch_store_dwordx2 off, v[130:131], off offset:1264 ; 8-byte Folded Spill
	global_load_dwordx4 v[130:133], v[130:131], off
	v_lshl_add_u64 v[136:137], v[134:135], 4, v[34:35]
	v_ashrrev_i32_e32 v143, 31, v142
	v_lshl_add_u64 v[138:139], v[142:143], 4, v[34:35]
	scratch_store_dwordx2 off, v[136:137], off offset:1272 ; 8-byte Folded Spill
	global_load_dwordx4 v[134:137], v[136:137], off
	s_lshl_b32 s0, s10, 10
	scratch_store_dwordx2 off, v[138:139], off offset:1280 ; 8-byte Folded Spill
	global_load_dwordx4 v[138:141], v[138:139], off
	s_waitcnt vmcnt(62)
	scratch_store_dwordx4 off, v[12:15], off
	scratch_store_dwordx4 off, v[0:3], off offset:32
	scratch_store_dwordx4 off, v[4:7], off offset:48
	s_waitcnt vmcnt(62)
	scratch_store_dwordx4 off, v[8:11], off offset:16
	s_waitcnt vmcnt(62)
	;; [unrolled: 2-line block ×31, first 2 shown]
	scratch_store_dwordx4 off, v[138:141], off offset:528
	v_add_u32_e32 v0, s2, v142
	v_add_u32_e32 v8, s2, v0
	v_ashrrev_i32_e32 v9, 31, v8
	v_lshl_add_u64 v[4:5], v[8:9], 4, v[34:35]
	v_add_u32_e32 v8, s2, v8
	v_add_u32_e32 v16, s2, v8
	v_ashrrev_i32_e32 v17, 31, v16
	v_lshl_add_u64 v[12:13], v[16:17], 4, v[34:35]
	;; [unrolled: 4-line block ×5, first 2 shown]
	v_add_u32_e32 v46, s2, v46
	v_ashrrev_i32_e32 v1, 31, v0
	v_add_u32_e32 v54, s2, v46
	v_lshl_add_u64 v[2:3], v[0:1], 4, v[34:35]
	v_ashrrev_i32_e32 v55, 31, v54
	scratch_store_dwordx2 off, v[2:3], off offset:1288 ; 8-byte Folded Spill
	global_load_dwordx4 v[0:3], v[2:3], off
	v_ashrrev_i32_e32 v9, 31, v8
	v_lshl_add_u64 v[50:51], v[54:55], 4, v[34:35]
	v_add_u32_e32 v54, s2, v54
	scratch_store_dwordx2 off, v[4:5], off offset:1296 ; 8-byte Folded Spill
	global_load_dwordx4 v[4:7], v[4:5], off
	v_lshl_add_u64 v[10:11], v[8:9], 4, v[34:35]
	v_add_u32_e32 v62, s2, v54
	scratch_store_dwordx2 off, v[10:11], off offset:1304 ; 8-byte Folded Spill
	global_load_dwordx4 v[8:11], v[10:11], off
	v_ashrrev_i32_e32 v17, 31, v16
	v_ashrrev_i32_e32 v63, 31, v62
	scratch_store_dwordx2 off, v[12:13], off offset:1312 ; 8-byte Folded Spill
	global_load_dwordx4 v[12:15], v[12:13], off
	v_lshl_add_u64 v[18:19], v[16:17], 4, v[34:35]
	v_lshl_add_u64 v[58:59], v[62:63], 4, v[34:35]
	v_add_u32_e32 v62, s2, v62
	scratch_store_dwordx2 off, v[18:19], off offset:1320 ; 8-byte Folded Spill
	global_load_dwordx4 v[16:19], v[18:19], off
	v_ashrrev_i32_e32 v25, 31, v24
	v_add_u32_e32 v70, s2, v62
	scratch_store_dwordx2 off, v[20:21], off offset:1328 ; 8-byte Folded Spill
	global_load_dwordx4 v[20:23], v[20:21], off
	v_lshl_add_u64 v[26:27], v[24:25], 4, v[34:35]
	v_ashrrev_i32_e32 v71, 31, v70
	scratch_store_dwordx2 off, v[26:27], off offset:1336 ; 8-byte Folded Spill
	global_load_dwordx4 v[24:27], v[26:27], off
	v_ashrrev_i32_e32 v39, 31, v38
	v_lshl_add_u64 v[66:67], v[70:71], 4, v[34:35]
	v_add_u32_e32 v70, s2, v70
	scratch_store_dwordx2 off, v[28:29], off offset:1344 ; 8-byte Folded Spill
	global_load_dwordx4 v[28:31], v[28:29], off
	v_lshl_add_u64 v[40:41], v[38:39], 4, v[34:35]
	v_add_u32_e32 v78, s2, v70
	scratch_store_dwordx2 off, v[40:41], off offset:1352 ; 8-byte Folded Spill
	global_load_dwordx4 v[38:41], v[40:41], off
	v_ashrrev_i32_e32 v47, 31, v46
	v_ashrrev_i32_e32 v79, 31, v78
	scratch_store_dwordx2 off, v[42:43], off offset:1360 ; 8-byte Folded Spill
	global_load_dwordx4 v[42:45], v[42:43], off
	v_lshl_add_u64 v[48:49], v[46:47], 4, v[34:35]
	v_lshl_add_u64 v[74:75], v[78:79], 4, v[34:35]
	v_add_u32_e32 v78, s2, v78
	scratch_store_dwordx2 off, v[48:49], off offset:1368 ; 8-byte Folded Spill
	global_load_dwordx4 v[46:49], v[48:49], off
	v_ashrrev_i32_e32 v55, 31, v54
	v_add_u32_e32 v86, s2, v78
	scratch_store_dwordx2 off, v[50:51], off offset:1376 ; 8-byte Folded Spill
	global_load_dwordx4 v[50:53], v[50:51], off
	;; [unrolled: 26-line block ×4, first 2 shown]
	v_lshl_add_u64 v[104:105], v[102:103], 4, v[34:35]
	v_ashrrev_i32_e32 v119, 31, v118
	scratch_store_dwordx2 off, v[104:105], off offset:1480 ; 8-byte Folded Spill
	global_load_dwordx4 v[102:105], v[104:105], off
	v_ashrrev_i32_e32 v111, 31, v110
	v_lshl_add_u64 v[114:115], v[118:119], 4, v[34:35]
	v_add_u32_e32 v118, s2, v118
	scratch_store_dwordx2 off, v[106:107], off offset:1488 ; 8-byte Folded Spill
	global_load_dwordx4 v[106:109], v[106:107], off
	v_lshl_add_u64 v[112:113], v[110:111], 4, v[34:35]
	v_ashrrev_i32_e32 v119, 31, v118
	scratch_store_dwordx2 off, v[112:113], off offset:1496 ; 8-byte Folded Spill
	global_load_dwordx4 v[110:113], v[112:113], off
	v_lshl_add_u64 v[120:121], v[118:119], 4, v[34:35]
	v_add_u32_e32 v118, s2, v118
	scratch_store_dwordx2 off, v[114:115], off offset:1504 ; 8-byte Folded Spill
	global_load_dwordx4 v[114:117], v[114:115], off
	v_ashrrev_i32_e32 v119, 31, v118
	v_lshl_add_u64 v[34:35], v[118:119], 4, v[34:35]
	scratch_store_dwordx2 off, v[120:121], off offset:1512 ; 8-byte Folded Spill
	global_load_dwordx4 v[118:121], v[120:121], off
	s_add_i32 s0, s0, 0
	global_load_dwordx4 v[122:125], v[34:35], off
	s_movk_i32 s8, 0x50
	scratch_store_dwordx2 off, v[34:35], off offset:1520 ; 8-byte Folded Spill
	s_waitcnt vmcnt(58)
	scratch_store_dwordx4 off, v[0:3], off offset:544
	s_waitcnt vmcnt(57)
	scratch_store_dwordx4 off, v[4:7], off offset:560
	s_waitcnt vmcnt(56)
	scratch_store_dwordx4 off, v[8:11], off offset:576
	s_waitcnt vmcnt(55)
	scratch_store_dwordx4 off, v[12:15], off offset:592
	s_waitcnt vmcnt(54)
	scratch_store_dwordx4 off, v[16:19], off offset:608
	s_waitcnt vmcnt(53)
	scratch_store_dwordx4 off, v[20:23], off offset:624
	s_waitcnt vmcnt(52)
	scratch_store_dwordx4 off, v[24:27], off offset:640
	s_waitcnt vmcnt(51)
	scratch_store_dwordx4 off, v[28:31], off offset:656
	s_waitcnt vmcnt(50)
	scratch_store_dwordx4 off, v[38:41], off offset:672
	s_waitcnt vmcnt(49)
	scratch_store_dwordx4 off, v[42:45], off offset:688
	s_waitcnt vmcnt(48)
	scratch_store_dwordx4 off, v[46:49], off offset:704
	s_waitcnt vmcnt(47)
	scratch_store_dwordx4 off, v[50:53], off offset:720
	s_waitcnt vmcnt(46)
	scratch_store_dwordx4 off, v[54:57], off offset:736
	s_waitcnt vmcnt(45)
	scratch_store_dwordx4 off, v[58:61], off offset:752
	s_waitcnt vmcnt(44)
	scratch_store_dwordx4 off, v[62:65], off offset:768
	s_waitcnt vmcnt(43)
	scratch_store_dwordx4 off, v[66:69], off offset:784
	s_waitcnt vmcnt(42)
	scratch_store_dwordx4 off, v[70:73], off offset:800
	s_waitcnt vmcnt(41)
	scratch_store_dwordx4 off, v[74:77], off offset:816
	s_waitcnt vmcnt(40)
	scratch_store_dwordx4 off, v[78:81], off offset:832
	s_waitcnt vmcnt(39)
	scratch_store_dwordx4 off, v[82:85], off offset:848
	s_waitcnt vmcnt(38)
	scratch_store_dwordx4 off, v[86:89], off offset:864
	s_waitcnt vmcnt(37)
	scratch_store_dwordx4 off, v[90:93], off offset:880
	s_waitcnt vmcnt(36)
	scratch_store_dwordx4 off, v[94:97], off offset:896
	s_waitcnt vmcnt(35)
	scratch_store_dwordx4 off, v[98:101], off offset:912
	s_waitcnt vmcnt(34)
	scratch_store_dwordx4 off, v[102:105], off offset:928
	s_waitcnt vmcnt(33)
	scratch_store_dwordx4 off, v[106:109], off offset:944
	s_waitcnt vmcnt(32)
	scratch_store_dwordx4 off, v[110:113], off offset:960
	s_waitcnt vmcnt(31)
	scratch_store_dwordx4 off, v[114:117], off offset:976
	s_waitcnt vmcnt(30)
	scratch_store_dwordx4 off, v[118:121], off offset:992
	s_waitcnt vmcnt(30)
	scratch_store_dwordx4 off, v[122:125], off offset:1008
	v_lshlrev_b32_e32 v8, 10, v36
	s_movk_i32 s12, 0x60
	s_movk_i32 s13, 0x70
	;; [unrolled: 1-line block ×58, first 2 shown]
	v_lshl_add_u32 v10, v36, 4, s0
	v_cmp_ne_u32_e64 s[2:3], 0, v254
	v_add3_u32 v9, v8, 0, 16
	v_cmp_eq_u32_e64 s[4:5], 0, v254
	s_mov_b64 s[10:11], exec
                                        ; implicit-def: $vgpr255 : SGPR spill to VGPR lane
	s_nop 0
	v_writelane_b32 v255, s4, 0
	s_nop 1
	v_writelane_b32 v255, s5, 1
	s_and_b64 s[4:5], s[10:11], s[4:5]
	s_mov_b64 exec, s[4:5]
	s_cbranch_execz .LBB127_10
; %bb.2:
	global_load_dwordx4 v[0:3], v[252:253], off
	s_movk_i32 s4, 0xfc10
	s_waitcnt vmcnt(0)
	ds_write2_b64 v10, v[0:1], v[2:3] offset1:1
.LBB127_3:                              ; =>This Inner Loop Header: Depth=1
	s_add_i32 s42, s4, 0x400
	scratch_load_dwordx4 v[0:3], off, s42
	v_add_u32_e32 v4, s4, v9
	s_add_i32 s42, s4, 0x410
	s_add_i32 s5, s4, 0x480
	s_waitcnt vmcnt(0)
	ds_write2_b64 v4, v[0:1], v[2:3] offset0:126 offset1:127
	scratch_load_dwordx4 v[0:3], off, s42
	s_add_i32 s42, s4, 0x420
	s_waitcnt vmcnt(0)
	ds_write2_b64 v4, v[0:1], v[2:3] offset0:128 offset1:129
	scratch_load_dwordx4 v[0:3], off, s42
	;; [unrolled: 4-line block ×6, first 2 shown]
	s_add_i32 s42, s4, 0x470
	s_addk_i32 s4, 0x90
	s_cmp_eq_u32 s4, 0
	s_waitcnt vmcnt(0)
	ds_write2_b64 v4, v[0:1], v[2:3] offset0:138 offset1:139
	scratch_load_dwordx4 v[0:3], off, s42
	s_waitcnt vmcnt(0)
	ds_write2_b64 v4, v[0:1], v[2:3] offset0:140 offset1:141
	scratch_load_dwordx4 v[0:3], off, s5
	s_waitcnt vmcnt(0)
	ds_write2_b64 v4, v[0:1], v[2:3] offset0:142 offset1:143
	s_cbranch_scc0 .LBB127_3
; %bb.4:
	ds_read2_b64 v[0:3], v10 offset1:1
	s_waitcnt lgkmcnt(0)
	v_cmp_neq_f64_e32 vcc, 0, v[0:1]
	v_cmp_neq_f64_e64 s[4:5], 0, v[2:3]
	s_or_b64 s[4:5], vcc, s[4:5]
	s_and_b64 exec, exec, s[4:5]
	s_cbranch_execz .LBB127_10
; %bb.5:
	v_cmp_ngt_f64_e64 s[4:5], |v[0:1]|, |v[2:3]|
                                        ; implicit-def: $vgpr4_vgpr5
	s_and_saveexec_b64 s[42:43], s[4:5]
	s_xor_b64 s[4:5], exec, s[42:43]
                                        ; implicit-def: $vgpr6_vgpr7
	s_cbranch_execz .LBB127_7
; %bb.6:
	v_div_scale_f64 v[4:5], s[42:43], v[2:3], v[2:3], v[0:1]
	v_rcp_f64_e32 v[6:7], v[4:5]
	v_div_scale_f64 v[12:13], vcc, v[0:1], v[2:3], v[0:1]
	v_fma_f64 v[14:15], -v[4:5], v[6:7], 1.0
	v_fmac_f64_e32 v[6:7], v[6:7], v[14:15]
	v_fma_f64 v[14:15], -v[4:5], v[6:7], 1.0
	v_fmac_f64_e32 v[6:7], v[6:7], v[14:15]
	v_mul_f64 v[14:15], v[12:13], v[6:7]
	v_fma_f64 v[4:5], -v[4:5], v[14:15], v[12:13]
	v_div_fmas_f64 v[4:5], v[4:5], v[6:7], v[14:15]
	v_div_fixup_f64 v[4:5], v[4:5], v[2:3], v[0:1]
	v_fmac_f64_e32 v[2:3], v[0:1], v[4:5]
	v_div_scale_f64 v[0:1], s[42:43], v[2:3], v[2:3], 1.0
	v_rcp_f64_e32 v[6:7], v[0:1]
	s_nop 0
	v_fma_f64 v[12:13], -v[0:1], v[6:7], 1.0
	v_fmac_f64_e32 v[6:7], v[6:7], v[12:13]
	v_fma_f64 v[12:13], -v[0:1], v[6:7], 1.0
	v_fmac_f64_e32 v[6:7], v[6:7], v[12:13]
	v_div_scale_f64 v[12:13], vcc, 1.0, v[2:3], 1.0
	v_mul_f64 v[14:15], v[12:13], v[6:7]
	v_fma_f64 v[0:1], -v[0:1], v[14:15], v[12:13]
	s_nop 1
	v_div_fmas_f64 v[0:1], v[0:1], v[6:7], v[14:15]
	v_div_fixup_f64 v[6:7], v[0:1], v[2:3], 1.0
	v_mul_f64 v[4:5], v[4:5], v[6:7]
	v_xor_b32_e32 v7, 0x80000000, v7
                                        ; implicit-def: $vgpr0_vgpr1
.LBB127_7:
	s_andn2_saveexec_b64 s[4:5], s[4:5]
	s_cbranch_execz .LBB127_9
; %bb.8:
	v_div_scale_f64 v[4:5], s[42:43], v[0:1], v[0:1], v[2:3]
	v_rcp_f64_e32 v[6:7], v[4:5]
	v_div_scale_f64 v[12:13], vcc, v[2:3], v[0:1], v[2:3]
	v_fma_f64 v[14:15], -v[4:5], v[6:7], 1.0
	v_fmac_f64_e32 v[6:7], v[6:7], v[14:15]
	v_fma_f64 v[14:15], -v[4:5], v[6:7], 1.0
	v_fmac_f64_e32 v[6:7], v[6:7], v[14:15]
	v_mul_f64 v[14:15], v[12:13], v[6:7]
	v_fma_f64 v[4:5], -v[4:5], v[14:15], v[12:13]
	v_div_fmas_f64 v[4:5], v[4:5], v[6:7], v[14:15]
	v_div_fixup_f64 v[6:7], v[4:5], v[0:1], v[2:3]
	v_fmac_f64_e32 v[0:1], v[2:3], v[6:7]
	v_div_scale_f64 v[2:3], s[42:43], v[0:1], v[0:1], 1.0
	v_rcp_f64_e32 v[4:5], v[2:3]
	s_nop 0
	v_fma_f64 v[12:13], -v[2:3], v[4:5], 1.0
	v_fmac_f64_e32 v[4:5], v[4:5], v[12:13]
	v_fma_f64 v[12:13], -v[2:3], v[4:5], 1.0
	v_fmac_f64_e32 v[4:5], v[4:5], v[12:13]
	v_div_scale_f64 v[12:13], vcc, 1.0, v[0:1], 1.0
	v_mul_f64 v[14:15], v[12:13], v[4:5]
	v_fma_f64 v[2:3], -v[2:3], v[14:15], v[12:13]
	s_nop 1
	v_div_fmas_f64 v[2:3], v[2:3], v[4:5], v[14:15]
	v_div_fixup_f64 v[4:5], v[2:3], v[0:1], 1.0
	v_mul_f64 v[6:7], v[6:7], -v[4:5]
.LBB127_9:
	s_or_b64 exec, exec, s[4:5]
	ds_write2_b64 v10, v[4:5], v[6:7] offset1:1
.LBB127_10:
	s_or_b64 exec, exec, s[10:11]
	s_waitcnt lgkmcnt(0)
	s_barrier
	ds_read2_b64 v[120:123], v10 offset1:1
	s_mov_b32 s0, 16
	s_mov_b32 s74, 32
	;; [unrolled: 1-line block ×24, first 2 shown]
	s_mov_b32 vcc_hi, s31
	s_mov_b32 vcc_lo, s33
	s_mov_b32 s11, s34
	s_mov_b32 s47, s35
	;; [unrolled: 1-line block ×35, first 2 shown]
	s_and_saveexec_b64 s[4:5], s[2:3]
	s_cbranch_execz .LBB127_13
; %bb.11:
	scratch_load_dwordx4 v[4:7], off, off
	s_movk_i32 s2, 0xfc10
	s_waitcnt vmcnt(0) lgkmcnt(0)
	v_mul_f64 v[0:1], v[122:123], v[6:7]
	v_mul_f64 v[2:3], v[120:121], v[6:7]
	v_fma_f64 v[0:1], v[120:121], v[4:5], -v[0:1]
	v_fmac_f64_e32 v[2:3], v[122:123], v[4:5]
	scratch_store_dwordx4 off, v[0:3], off
.LBB127_12:                             ; =>This Inner Loop Header: Depth=1
	v_add_u32_e32 v11, s2, v9
	ds_read2_b64 v[4:7], v11 offset0:126 offset1:127
	s_add_i32 s10, s2, 0x400
	s_add_i32 s3, s2, 0x480
	s_waitcnt lgkmcnt(0)
	v_mul_f64 v[12:13], v[6:7], v[2:3]
	v_mul_f64 v[14:15], v[4:5], v[2:3]
	v_fma_f64 v[12:13], v[4:5], v[0:1], -v[12:13]
	v_fmac_f64_e32 v[14:15], v[6:7], v[0:1]
	scratch_load_dwordx4 v[4:7], off, s10
	s_waitcnt vmcnt(0)
	v_add_f64 v[4:5], v[4:5], -v[12:13]
	v_add_f64 v[6:7], v[6:7], -v[14:15]
	scratch_store_dwordx4 off, v[4:7], s10
	ds_read2_b64 v[4:7], v11 offset0:128 offset1:129
	s_add_i32 s10, s2, 0x410
	s_waitcnt lgkmcnt(0)
	v_mul_f64 v[12:13], v[6:7], v[2:3]
	v_mul_f64 v[14:15], v[4:5], v[2:3]
	v_fma_f64 v[12:13], v[4:5], v[0:1], -v[12:13]
	v_fmac_f64_e32 v[14:15], v[6:7], v[0:1]
	scratch_load_dwordx4 v[4:7], off, s10
	s_waitcnt vmcnt(0)
	v_add_f64 v[4:5], v[4:5], -v[12:13]
	v_add_f64 v[6:7], v[6:7], -v[14:15]
	scratch_store_dwordx4 off, v[4:7], s10
	ds_read2_b64 v[4:7], v11 offset0:130 offset1:131
	;; [unrolled: 12-line block ×7, first 2 shown]
	s_add_i32 s10, s2, 0x470
	s_addk_i32 s2, 0x90
	s_cmp_lg_u32 s2, 0
	s_waitcnt lgkmcnt(0)
	v_mul_f64 v[12:13], v[6:7], v[2:3]
	v_mul_f64 v[14:15], v[4:5], v[2:3]
	v_fma_f64 v[12:13], v[4:5], v[0:1], -v[12:13]
	v_fmac_f64_e32 v[14:15], v[6:7], v[0:1]
	scratch_load_dwordx4 v[4:7], off, s10
	s_waitcnt vmcnt(0)
	v_add_f64 v[4:5], v[4:5], -v[12:13]
	v_add_f64 v[6:7], v[6:7], -v[14:15]
	scratch_store_dwordx4 off, v[4:7], s10
	ds_read2_b64 v[4:7], v11 offset0:142 offset1:143
	s_waitcnt lgkmcnt(0)
	v_mul_f64 v[12:13], v[6:7], v[2:3]
	v_mul_f64 v[14:15], v[4:5], v[2:3]
	v_fma_f64 v[12:13], v[4:5], v[0:1], -v[12:13]
	v_fmac_f64_e32 v[14:15], v[6:7], v[0:1]
	scratch_load_dwordx4 v[4:7], off, s3
	s_waitcnt vmcnt(0)
	v_add_f64 v[4:5], v[4:5], -v[12:13]
	v_add_f64 v[6:7], v[6:7], -v[14:15]
	scratch_store_dwordx4 off, v[4:7], s3
	s_cbranch_scc1 .LBB127_12
.LBB127_13:
	s_or_b64 exec, exec, s[4:5]
	s_mov_b32 s85, s11
	s_mov_b32 s86, vcc_lo
	s_mov_b32 s87, vcc_hi
	s_mov_b32 s89, s0
	v_cmp_eq_u32_e32 vcc, 1, v254
	v_add3_u32 v9, v8, 0, 32
	s_waitcnt lgkmcnt(0)
	s_barrier
	s_and_saveexec_b64 s[4:5], vcc
	s_cbranch_execz .LBB127_22
; %bb.14:
	scratch_load_dwordx4 v[0:3], off, s89
	s_mov_b32 s2, 0
	s_waitcnt vmcnt(0)
	ds_write2_b64 v10, v[0:1], v[2:3] offset1:1
.LBB127_15:                             ; =>This Inner Loop Header: Depth=1
	s_add_i32 s10, s2, 32
	s_add_i32 s3, s2, 48
	scratch_load_dwordx4 v[0:3], off, s10
	scratch_load_dwordx4 v[4:7], off, s3
	v_add_u32_e32 v11, s2, v9
	s_add_i32 s2, s2, 32
	s_cmpk_lg_i32 s2, 0x3e0
	s_waitcnt vmcnt(1)
	ds_write2_b64 v11, v[0:1], v[2:3] offset1:1
	s_waitcnt vmcnt(0)
	ds_write2_b64 v11, v[4:5], v[6:7] offset0:2 offset1:3
	s_cbranch_scc1 .LBB127_15
; %bb.16:
	ds_read2_b64 v[0:3], v10 offset1:1
	s_waitcnt lgkmcnt(0)
	v_cmp_neq_f64_e32 vcc, 0, v[0:1]
	v_cmp_neq_f64_e64 s[2:3], 0, v[2:3]
	s_or_b64 s[2:3], vcc, s[2:3]
	s_and_b64 exec, exec, s[2:3]
	s_cbranch_execz .LBB127_22
; %bb.17:
	v_cmp_ngt_f64_e64 s[2:3], |v[0:1]|, |v[2:3]|
                                        ; implicit-def: $vgpr4_vgpr5
	s_and_saveexec_b64 s[10:11], s[2:3]
	s_xor_b64 s[2:3], exec, s[10:11]
                                        ; implicit-def: $vgpr6_vgpr7
	s_cbranch_execz .LBB127_19
; %bb.18:
	v_div_scale_f64 v[4:5], s[10:11], v[2:3], v[2:3], v[0:1]
	v_rcp_f64_e32 v[6:7], v[4:5]
	v_div_scale_f64 v[12:13], vcc, v[0:1], v[2:3], v[0:1]
	v_fma_f64 v[14:15], -v[4:5], v[6:7], 1.0
	v_fmac_f64_e32 v[6:7], v[6:7], v[14:15]
	v_fma_f64 v[14:15], -v[4:5], v[6:7], 1.0
	v_fmac_f64_e32 v[6:7], v[6:7], v[14:15]
	v_mul_f64 v[14:15], v[12:13], v[6:7]
	v_fma_f64 v[4:5], -v[4:5], v[14:15], v[12:13]
	v_div_fmas_f64 v[4:5], v[4:5], v[6:7], v[14:15]
	v_div_fixup_f64 v[4:5], v[4:5], v[2:3], v[0:1]
	v_fmac_f64_e32 v[2:3], v[0:1], v[4:5]
	v_div_scale_f64 v[0:1], s[10:11], v[2:3], v[2:3], 1.0
	v_rcp_f64_e32 v[6:7], v[0:1]
	s_nop 0
	v_fma_f64 v[12:13], -v[0:1], v[6:7], 1.0
	v_fmac_f64_e32 v[6:7], v[6:7], v[12:13]
	v_fma_f64 v[12:13], -v[0:1], v[6:7], 1.0
	v_fmac_f64_e32 v[6:7], v[6:7], v[12:13]
	v_div_scale_f64 v[12:13], vcc, 1.0, v[2:3], 1.0
	v_mul_f64 v[14:15], v[12:13], v[6:7]
	v_fma_f64 v[0:1], -v[0:1], v[14:15], v[12:13]
	s_nop 1
	v_div_fmas_f64 v[0:1], v[0:1], v[6:7], v[14:15]
	v_div_fixup_f64 v[6:7], v[0:1], v[2:3], 1.0
	v_mul_f64 v[4:5], v[4:5], v[6:7]
	v_xor_b32_e32 v7, 0x80000000, v7
                                        ; implicit-def: $vgpr0_vgpr1
.LBB127_19:
	s_andn2_saveexec_b64 s[2:3], s[2:3]
	s_cbranch_execz .LBB127_21
; %bb.20:
	v_div_scale_f64 v[4:5], s[10:11], v[0:1], v[0:1], v[2:3]
	v_rcp_f64_e32 v[6:7], v[4:5]
	v_div_scale_f64 v[12:13], vcc, v[2:3], v[0:1], v[2:3]
	v_fma_f64 v[14:15], -v[4:5], v[6:7], 1.0
	v_fmac_f64_e32 v[6:7], v[6:7], v[14:15]
	v_fma_f64 v[14:15], -v[4:5], v[6:7], 1.0
	v_fmac_f64_e32 v[6:7], v[6:7], v[14:15]
	v_mul_f64 v[14:15], v[12:13], v[6:7]
	v_fma_f64 v[4:5], -v[4:5], v[14:15], v[12:13]
	v_div_fmas_f64 v[4:5], v[4:5], v[6:7], v[14:15]
	v_div_fixup_f64 v[6:7], v[4:5], v[0:1], v[2:3]
	v_fmac_f64_e32 v[0:1], v[2:3], v[6:7]
	v_div_scale_f64 v[2:3], s[10:11], v[0:1], v[0:1], 1.0
	v_rcp_f64_e32 v[4:5], v[2:3]
	s_nop 0
	v_fma_f64 v[12:13], -v[2:3], v[4:5], 1.0
	v_fmac_f64_e32 v[4:5], v[4:5], v[12:13]
	v_fma_f64 v[12:13], -v[2:3], v[4:5], 1.0
	v_fmac_f64_e32 v[4:5], v[4:5], v[12:13]
	v_div_scale_f64 v[12:13], vcc, 1.0, v[0:1], 1.0
	v_mul_f64 v[14:15], v[12:13], v[4:5]
	v_fma_f64 v[2:3], -v[2:3], v[14:15], v[12:13]
	s_nop 1
	v_div_fmas_f64 v[2:3], v[2:3], v[4:5], v[14:15]
	v_div_fixup_f64 v[4:5], v[2:3], v[0:1], 1.0
	v_mul_f64 v[6:7], v[6:7], -v[4:5]
.LBB127_21:
	s_or_b64 exec, exec, s[2:3]
	ds_write2_b64 v10, v[4:5], v[6:7] offset1:1
.LBB127_22:
	s_or_b64 exec, exec, s[4:5]
	s_waitcnt lgkmcnt(0)
	s_barrier
	ds_read2_b64 v[124:127], v10 offset1:1
	v_cmp_lt_u32_e32 vcc, 1, v254
	s_and_saveexec_b64 s[2:3], vcc
	s_cbranch_execz .LBB127_25
; %bb.23:
	scratch_load_dwordx4 v[4:7], off, off offset:16
	s_mov_b32 s4, 0
	s_waitcnt vmcnt(0) lgkmcnt(0)
	v_mul_f64 v[0:1], v[126:127], v[6:7]
	v_mul_f64 v[2:3], v[124:125], v[6:7]
	v_fma_f64 v[0:1], v[124:125], v[4:5], -v[0:1]
	v_fmac_f64_e32 v[2:3], v[126:127], v[4:5]
	scratch_store_dwordx4 off, v[0:3], off offset:16
.LBB127_24:                             ; =>This Inner Loop Header: Depth=1
	v_add_u32_e32 v11, s4, v9
	ds_read2_b64 v[4:7], v11 offset1:1
	s_add_i32 s10, s4, 32
	s_add_i32 s5, s4, 48
	;; [unrolled: 1-line block ×3, first 2 shown]
	s_cmpk_lg_i32 s4, 0x3e0
	s_waitcnt lgkmcnt(0)
	v_mul_f64 v[12:13], v[6:7], v[2:3]
	v_mul_f64 v[14:15], v[4:5], v[2:3]
	v_fma_f64 v[12:13], v[4:5], v[0:1], -v[12:13]
	v_fmac_f64_e32 v[14:15], v[6:7], v[0:1]
	scratch_load_dwordx4 v[4:7], off, s10
	s_waitcnt vmcnt(0)
	v_add_f64 v[4:5], v[4:5], -v[12:13]
	v_add_f64 v[6:7], v[6:7], -v[14:15]
	scratch_store_dwordx4 off, v[4:7], s10
	ds_read2_b64 v[4:7], v11 offset0:2 offset1:3
	s_waitcnt lgkmcnt(0)
	v_mul_f64 v[12:13], v[6:7], v[2:3]
	v_mul_f64 v[14:15], v[4:5], v[2:3]
	v_fma_f64 v[12:13], v[4:5], v[0:1], -v[12:13]
	v_fmac_f64_e32 v[14:15], v[6:7], v[0:1]
	scratch_load_dwordx4 v[4:7], off, s5
	s_waitcnt vmcnt(0)
	v_add_f64 v[4:5], v[4:5], -v[12:13]
	v_add_f64 v[6:7], v[6:7], -v[14:15]
	scratch_store_dwordx4 off, v[4:7], s5
	s_cbranch_scc1 .LBB127_24
.LBB127_25:
	s_or_b64 exec, exec, s[2:3]
	v_cmp_eq_u32_e32 vcc, 2, v254
	v_add3_u32 v9, v8, 0, 48
	s_waitcnt lgkmcnt(0)
	s_barrier
	s_and_saveexec_b64 s[4:5], vcc
	s_cbranch_execz .LBB127_36
; %bb.26:
	scratch_load_dwordx4 v[0:3], off, s74
	s_mov_b32 s10, 0
	s_waitcnt vmcnt(0)
	ds_write2_b64 v10, v[0:1], v[2:3] offset1:1
	s_branch .LBB127_28
.LBB127_27:                             ;   in Loop: Header=BB127_28 Depth=1
	s_andn2_b64 vcc, exec, s[2:3]
	s_cbranch_vccz .LBB127_30
.LBB127_28:                             ; =>This Inner Loop Header: Depth=1
	s_add_i32 s2, s10, 48
	s_add_i32 s3, s10, 64
	scratch_load_dwordx4 v[2:5], off, s2
	scratch_load_dwordx4 v[12:15], off, s3
	s_add_i32 s2, s10, 0x50
	s_add_i32 s3, s10, 0x60
	scratch_load_dwordx4 v[16:19], off, s2
	scratch_load_dwordx4 v[20:23], off, s3
	s_add_i32 s2, s10, 0x70
	scratch_load_dwordx4 v[24:27], off, s2
	s_mov_b32 s11, s10
	v_add_u32_e32 v0, s10, v9
	s_cmpk_eq_i32 s10, 0x380
	s_mov_b64 s[2:3], -1
	s_waitcnt vmcnt(4)
	ds_write2_b64 v0, v[2:3], v[4:5] offset1:1
	s_waitcnt vmcnt(3)
	ds_write2_b64 v0, v[12:13], v[14:15] offset0:2 offset1:3
	s_waitcnt vmcnt(2)
	ds_write2_b64 v0, v[16:17], v[18:19] offset0:4 offset1:5
	;; [unrolled: 2-line block ×4, first 2 shown]
	s_cbranch_scc1 .LBB127_27
; %bb.29:                               ;   in Loop: Header=BB127_28 Depth=1
	s_add_i32 s2, s11, 0x80
	s_add_i32 s3, s11, 0x90
	scratch_load_dwordx4 v[2:5], off, s2
	scratch_load_dwordx4 v[12:15], off, s3
	s_addk_i32 s11, 0xa0
	scratch_load_dwordx4 v[16:19], off, s11
	s_addk_i32 s10, 0x80
	s_mov_b64 s[2:3], 0
	s_waitcnt vmcnt(2)
	ds_write2_b64 v0, v[2:3], v[4:5] offset0:10 offset1:11
	s_waitcnt vmcnt(1)
	ds_write2_b64 v0, v[12:13], v[14:15] offset0:12 offset1:13
	;; [unrolled: 2-line block ×3, first 2 shown]
	s_branch .LBB127_27
.LBB127_30:
	ds_read2_b64 v[0:3], v10 offset1:1
	s_waitcnt lgkmcnt(0)
	v_cmp_neq_f64_e32 vcc, 0, v[0:1]
	v_cmp_neq_f64_e64 s[2:3], 0, v[2:3]
	s_or_b64 s[2:3], vcc, s[2:3]
	s_and_b64 exec, exec, s[2:3]
	s_cbranch_execz .LBB127_36
; %bb.31:
	v_cmp_ngt_f64_e64 s[2:3], |v[0:1]|, |v[2:3]|
                                        ; implicit-def: $vgpr4_vgpr5
	s_and_saveexec_b64 s[10:11], s[2:3]
	s_xor_b64 s[2:3], exec, s[10:11]
                                        ; implicit-def: $vgpr6_vgpr7
	s_cbranch_execz .LBB127_33
; %bb.32:
	v_div_scale_f64 v[4:5], s[10:11], v[2:3], v[2:3], v[0:1]
	v_rcp_f64_e32 v[6:7], v[4:5]
	v_div_scale_f64 v[12:13], vcc, v[0:1], v[2:3], v[0:1]
	v_fma_f64 v[14:15], -v[4:5], v[6:7], 1.0
	v_fmac_f64_e32 v[6:7], v[6:7], v[14:15]
	v_fma_f64 v[14:15], -v[4:5], v[6:7], 1.0
	v_fmac_f64_e32 v[6:7], v[6:7], v[14:15]
	v_mul_f64 v[14:15], v[12:13], v[6:7]
	v_fma_f64 v[4:5], -v[4:5], v[14:15], v[12:13]
	v_div_fmas_f64 v[4:5], v[4:5], v[6:7], v[14:15]
	v_div_fixup_f64 v[4:5], v[4:5], v[2:3], v[0:1]
	v_fmac_f64_e32 v[2:3], v[0:1], v[4:5]
	v_div_scale_f64 v[0:1], s[10:11], v[2:3], v[2:3], 1.0
	v_rcp_f64_e32 v[6:7], v[0:1]
	s_nop 0
	v_fma_f64 v[12:13], -v[0:1], v[6:7], 1.0
	v_fmac_f64_e32 v[6:7], v[6:7], v[12:13]
	v_fma_f64 v[12:13], -v[0:1], v[6:7], 1.0
	v_fmac_f64_e32 v[6:7], v[6:7], v[12:13]
	v_div_scale_f64 v[12:13], vcc, 1.0, v[2:3], 1.0
	v_mul_f64 v[14:15], v[12:13], v[6:7]
	v_fma_f64 v[0:1], -v[0:1], v[14:15], v[12:13]
	s_nop 1
	v_div_fmas_f64 v[0:1], v[0:1], v[6:7], v[14:15]
	v_div_fixup_f64 v[6:7], v[0:1], v[2:3], 1.0
	v_mul_f64 v[4:5], v[4:5], v[6:7]
	v_xor_b32_e32 v7, 0x80000000, v7
                                        ; implicit-def: $vgpr0_vgpr1
.LBB127_33:
	s_andn2_saveexec_b64 s[2:3], s[2:3]
	s_cbranch_execz .LBB127_35
; %bb.34:
	v_div_scale_f64 v[4:5], s[10:11], v[0:1], v[0:1], v[2:3]
	v_rcp_f64_e32 v[6:7], v[4:5]
	v_div_scale_f64 v[12:13], vcc, v[2:3], v[0:1], v[2:3]
	v_fma_f64 v[14:15], -v[4:5], v[6:7], 1.0
	v_fmac_f64_e32 v[6:7], v[6:7], v[14:15]
	v_fma_f64 v[14:15], -v[4:5], v[6:7], 1.0
	v_fmac_f64_e32 v[6:7], v[6:7], v[14:15]
	v_mul_f64 v[14:15], v[12:13], v[6:7]
	v_fma_f64 v[4:5], -v[4:5], v[14:15], v[12:13]
	v_div_fmas_f64 v[4:5], v[4:5], v[6:7], v[14:15]
	v_div_fixup_f64 v[6:7], v[4:5], v[0:1], v[2:3]
	v_fmac_f64_e32 v[0:1], v[2:3], v[6:7]
	v_div_scale_f64 v[2:3], s[10:11], v[0:1], v[0:1], 1.0
	v_rcp_f64_e32 v[4:5], v[2:3]
	s_nop 0
	v_fma_f64 v[12:13], -v[2:3], v[4:5], 1.0
	v_fmac_f64_e32 v[4:5], v[4:5], v[12:13]
	v_fma_f64 v[12:13], -v[2:3], v[4:5], 1.0
	v_fmac_f64_e32 v[4:5], v[4:5], v[12:13]
	v_div_scale_f64 v[12:13], vcc, 1.0, v[0:1], 1.0
	v_mul_f64 v[14:15], v[12:13], v[4:5]
	v_fma_f64 v[2:3], -v[2:3], v[14:15], v[12:13]
	s_nop 1
	v_div_fmas_f64 v[2:3], v[2:3], v[4:5], v[14:15]
	v_div_fixup_f64 v[4:5], v[2:3], v[0:1], 1.0
	v_mul_f64 v[6:7], v[6:7], -v[4:5]
.LBB127_35:
	s_or_b64 exec, exec, s[2:3]
	ds_write2_b64 v10, v[4:5], v[6:7] offset1:1
.LBB127_36:
	s_or_b64 exec, exec, s[4:5]
	s_waitcnt lgkmcnt(0)
	s_barrier
	ds_read2_b64 v[0:3], v10 offset1:1
	v_cmp_lt_u32_e32 vcc, 2, v254
	s_waitcnt lgkmcnt(0)
	scratch_store_dwordx4 off, v[0:3], off offset:1528 ; 16-byte Folded Spill
	s_and_saveexec_b64 s[2:3], vcc
	s_cbranch_execz .LBB127_41
; %bb.37:
	scratch_load_dwordx4 v[4:7], off, off offset:32
	scratch_load_dwordx4 v[12:15], off, off offset:1528 ; 16-byte Folded Reload
	s_mov_b32 s10, 0
	s_waitcnt vmcnt(0)
	v_mul_f64 v[0:1], v[14:15], v[6:7]
	v_mul_f64 v[2:3], v[12:13], v[6:7]
	v_fma_f64 v[0:1], v[12:13], v[4:5], -v[0:1]
	v_fmac_f64_e32 v[2:3], v[14:15], v[4:5]
	scratch_store_dwordx4 off, v[0:3], off offset:32
	s_branch .LBB127_39
.LBB127_38:                             ;   in Loop: Header=BB127_39 Depth=1
	s_andn2_b64 vcc, exec, s[4:5]
	s_cbranch_vccz .LBB127_41
.LBB127_39:                             ; =>This Inner Loop Header: Depth=1
	v_add_u32_e32 v4, s10, v9
	ds_read2_b64 v[12:15], v4 offset1:1
	s_add_i32 s4, s10, 48
	s_mov_b32 s11, s10
	s_waitcnt lgkmcnt(0)
	v_mul_f64 v[6:7], v[14:15], v[2:3]
	v_mul_f64 v[16:17], v[12:13], v[2:3]
	v_fma_f64 v[6:7], v[12:13], v[0:1], -v[6:7]
	v_fmac_f64_e32 v[16:17], v[14:15], v[0:1]
	scratch_load_dwordx4 v[12:15], off, s4
	s_waitcnt vmcnt(0)
	v_add_f64 v[12:13], v[12:13], -v[6:7]
	v_add_f64 v[14:15], v[14:15], -v[16:17]
	scratch_store_dwordx4 off, v[12:15], s4
	ds_read2_b64 v[12:15], v4 offset0:2 offset1:3
	s_add_i32 s4, s10, 64
	s_waitcnt lgkmcnt(0)
	v_mul_f64 v[6:7], v[14:15], v[2:3]
	v_mul_f64 v[16:17], v[12:13], v[2:3]
	v_fma_f64 v[6:7], v[12:13], v[0:1], -v[6:7]
	v_fmac_f64_e32 v[16:17], v[14:15], v[0:1]
	scratch_load_dwordx4 v[12:15], off, s4
	s_waitcnt vmcnt(0)
	v_add_f64 v[12:13], v[12:13], -v[6:7]
	v_add_f64 v[14:15], v[14:15], -v[16:17]
	scratch_store_dwordx4 off, v[12:15], s4
	ds_read2_b64 v[12:15], v4 offset0:4 offset1:5
	s_add_i32 s4, s10, 0x50
	;; [unrolled: 12-line block ×4, first 2 shown]
	s_cmpk_eq_i32 s10, 0x380
	s_waitcnt lgkmcnt(0)
	v_mul_f64 v[6:7], v[14:15], v[2:3]
	v_mul_f64 v[16:17], v[12:13], v[2:3]
	v_fma_f64 v[6:7], v[12:13], v[0:1], -v[6:7]
	v_fmac_f64_e32 v[16:17], v[14:15], v[0:1]
	scratch_load_dwordx4 v[12:15], off, s4
	s_waitcnt vmcnt(0)
	v_add_f64 v[12:13], v[12:13], -v[6:7]
	v_add_f64 v[14:15], v[14:15], -v[16:17]
	scratch_store_dwordx4 off, v[12:15], s4
	s_mov_b64 s[4:5], -1
	s_cbranch_scc1 .LBB127_38
; %bb.40:                               ;   in Loop: Header=BB127_39 Depth=1
	ds_read2_b64 v[12:15], v4 offset0:10 offset1:11
	s_add_i32 s4, s11, 0x80
	s_addk_i32 s10, 0x80
	s_waitcnt lgkmcnt(0)
	v_mul_f64 v[6:7], v[14:15], v[2:3]
	v_mul_f64 v[16:17], v[12:13], v[2:3]
	v_fma_f64 v[6:7], v[12:13], v[0:1], -v[6:7]
	v_fmac_f64_e32 v[16:17], v[14:15], v[0:1]
	scratch_load_dwordx4 v[12:15], off, s4
	s_waitcnt vmcnt(0)
	v_add_f64 v[12:13], v[12:13], -v[6:7]
	v_add_f64 v[14:15], v[14:15], -v[16:17]
	scratch_store_dwordx4 off, v[12:15], s4
	ds_read2_b64 v[12:15], v4 offset0:12 offset1:13
	s_add_i32 s4, s11, 0x90
	s_addk_i32 s11, 0xa0
	s_waitcnt lgkmcnt(0)
	v_mul_f64 v[6:7], v[14:15], v[2:3]
	v_mul_f64 v[16:17], v[12:13], v[2:3]
	v_fma_f64 v[6:7], v[12:13], v[0:1], -v[6:7]
	v_fmac_f64_e32 v[16:17], v[14:15], v[0:1]
	scratch_load_dwordx4 v[12:15], off, s4
	s_waitcnt vmcnt(0)
	v_add_f64 v[12:13], v[12:13], -v[6:7]
	ds_read2_b64 v[4:7], v4 offset0:14 offset1:15
	v_add_f64 v[14:15], v[14:15], -v[16:17]
	scratch_store_dwordx4 off, v[12:15], s4
	s_mov_b64 s[4:5], 0
	s_waitcnt lgkmcnt(0)
	v_mul_f64 v[12:13], v[6:7], v[2:3]
	v_mul_f64 v[14:15], v[4:5], v[2:3]
	v_fma_f64 v[12:13], v[4:5], v[0:1], -v[12:13]
	v_fmac_f64_e32 v[14:15], v[6:7], v[0:1]
	scratch_load_dwordx4 v[4:7], off, s11
	s_waitcnt vmcnt(0)
	v_add_f64 v[4:5], v[4:5], -v[12:13]
	v_add_f64 v[6:7], v[6:7], -v[14:15]
	scratch_store_dwordx4 off, v[4:7], s11
	s_branch .LBB127_38
.LBB127_41:
	s_or_b64 exec, exec, s[2:3]
	v_cmp_eq_u32_e32 vcc, 3, v254
	v_add3_u32 v9, v8, 0, 64
	s_barrier
	s_and_saveexec_b64 s[4:5], vcc
	s_cbranch_execz .LBB127_50
; %bb.42:
	scratch_load_dwordx4 v[0:3], off, s73
	s_movk_i32 s2, 0xfc40
	s_waitcnt vmcnt(0)
	ds_write2_b64 v10, v[0:1], v[2:3] offset1:1
.LBB127_43:                             ; =>This Inner Loop Header: Depth=1
	s_add_i32 s10, s2, 0x400
	scratch_load_dwordx4 v[0:3], off, s10
	v_add_u32_e32 v4, s2, v9
	s_add_i32 s10, s2, 0x410
	s_add_i32 s3, s2, 0x4e0
	s_waitcnt vmcnt(0)
	ds_write2_b64 v4, v[0:1], v[2:3] offset0:120 offset1:121
	scratch_load_dwordx4 v[0:3], off, s10
	s_add_i32 s10, s2, 0x420
	s_waitcnt vmcnt(0)
	ds_write2_b64 v4, v[0:1], v[2:3] offset0:122 offset1:123
	scratch_load_dwordx4 v[0:3], off, s10
	;; [unrolled: 4-line block ×12, first 2 shown]
	s_add_i32 s10, s2, 0x4d0
	s_addk_i32 s2, 0xf0
	s_cmp_lg_u32 s2, 0
	s_waitcnt vmcnt(0)
	ds_write2_b64 v4, v[0:1], v[2:3] offset0:144 offset1:145
	scratch_load_dwordx4 v[0:3], off, s10
	s_waitcnt vmcnt(0)
	ds_write2_b64 v4, v[0:1], v[2:3] offset0:146 offset1:147
	scratch_load_dwordx4 v[0:3], off, s3
	s_waitcnt vmcnt(0)
	ds_write2_b64 v4, v[0:1], v[2:3] offset0:148 offset1:149
	s_cbranch_scc1 .LBB127_43
; %bb.44:
	ds_read2_b64 v[0:3], v10 offset1:1
	s_waitcnt lgkmcnt(0)
	v_cmp_neq_f64_e32 vcc, 0, v[0:1]
	v_cmp_neq_f64_e64 s[2:3], 0, v[2:3]
	s_or_b64 s[2:3], vcc, s[2:3]
	s_and_b64 exec, exec, s[2:3]
	s_cbranch_execz .LBB127_50
; %bb.45:
	v_cmp_ngt_f64_e64 s[2:3], |v[0:1]|, |v[2:3]|
                                        ; implicit-def: $vgpr4_vgpr5
	s_and_saveexec_b64 s[10:11], s[2:3]
	s_xor_b64 s[2:3], exec, s[10:11]
                                        ; implicit-def: $vgpr6_vgpr7
	s_cbranch_execz .LBB127_47
; %bb.46:
	v_div_scale_f64 v[4:5], s[10:11], v[2:3], v[2:3], v[0:1]
	v_rcp_f64_e32 v[6:7], v[4:5]
	v_div_scale_f64 v[12:13], vcc, v[0:1], v[2:3], v[0:1]
	v_fma_f64 v[14:15], -v[4:5], v[6:7], 1.0
	v_fmac_f64_e32 v[6:7], v[6:7], v[14:15]
	v_fma_f64 v[14:15], -v[4:5], v[6:7], 1.0
	v_fmac_f64_e32 v[6:7], v[6:7], v[14:15]
	v_mul_f64 v[14:15], v[12:13], v[6:7]
	v_fma_f64 v[4:5], -v[4:5], v[14:15], v[12:13]
	v_div_fmas_f64 v[4:5], v[4:5], v[6:7], v[14:15]
	v_div_fixup_f64 v[4:5], v[4:5], v[2:3], v[0:1]
	v_fmac_f64_e32 v[2:3], v[0:1], v[4:5]
	v_div_scale_f64 v[0:1], s[10:11], v[2:3], v[2:3], 1.0
	v_rcp_f64_e32 v[6:7], v[0:1]
	s_nop 0
	v_fma_f64 v[12:13], -v[0:1], v[6:7], 1.0
	v_fmac_f64_e32 v[6:7], v[6:7], v[12:13]
	v_fma_f64 v[12:13], -v[0:1], v[6:7], 1.0
	v_fmac_f64_e32 v[6:7], v[6:7], v[12:13]
	v_div_scale_f64 v[12:13], vcc, 1.0, v[2:3], 1.0
	v_mul_f64 v[14:15], v[12:13], v[6:7]
	v_fma_f64 v[0:1], -v[0:1], v[14:15], v[12:13]
	s_nop 1
	v_div_fmas_f64 v[0:1], v[0:1], v[6:7], v[14:15]
	v_div_fixup_f64 v[6:7], v[0:1], v[2:3], 1.0
	v_mul_f64 v[4:5], v[4:5], v[6:7]
	v_xor_b32_e32 v7, 0x80000000, v7
                                        ; implicit-def: $vgpr0_vgpr1
.LBB127_47:
	s_andn2_saveexec_b64 s[2:3], s[2:3]
	s_cbranch_execz .LBB127_49
; %bb.48:
	v_div_scale_f64 v[4:5], s[10:11], v[0:1], v[0:1], v[2:3]
	v_rcp_f64_e32 v[6:7], v[4:5]
	v_div_scale_f64 v[12:13], vcc, v[2:3], v[0:1], v[2:3]
	v_fma_f64 v[14:15], -v[4:5], v[6:7], 1.0
	v_fmac_f64_e32 v[6:7], v[6:7], v[14:15]
	v_fma_f64 v[14:15], -v[4:5], v[6:7], 1.0
	v_fmac_f64_e32 v[6:7], v[6:7], v[14:15]
	v_mul_f64 v[14:15], v[12:13], v[6:7]
	v_fma_f64 v[4:5], -v[4:5], v[14:15], v[12:13]
	v_div_fmas_f64 v[4:5], v[4:5], v[6:7], v[14:15]
	v_div_fixup_f64 v[6:7], v[4:5], v[0:1], v[2:3]
	v_fmac_f64_e32 v[0:1], v[2:3], v[6:7]
	v_div_scale_f64 v[2:3], s[10:11], v[0:1], v[0:1], 1.0
	v_rcp_f64_e32 v[4:5], v[2:3]
	s_nop 0
	v_fma_f64 v[12:13], -v[2:3], v[4:5], 1.0
	v_fmac_f64_e32 v[4:5], v[4:5], v[12:13]
	v_fma_f64 v[12:13], -v[2:3], v[4:5], 1.0
	v_fmac_f64_e32 v[4:5], v[4:5], v[12:13]
	v_div_scale_f64 v[12:13], vcc, 1.0, v[0:1], 1.0
	v_mul_f64 v[14:15], v[12:13], v[4:5]
	v_fma_f64 v[2:3], -v[2:3], v[14:15], v[12:13]
	s_nop 1
	v_div_fmas_f64 v[2:3], v[2:3], v[4:5], v[14:15]
	v_div_fixup_f64 v[4:5], v[2:3], v[0:1], 1.0
	v_mul_f64 v[6:7], v[6:7], -v[4:5]
.LBB127_49:
	s_or_b64 exec, exec, s[2:3]
	ds_write2_b64 v10, v[4:5], v[6:7] offset1:1
.LBB127_50:
	s_or_b64 exec, exec, s[4:5]
	s_waitcnt lgkmcnt(0)
	s_barrier
	ds_read2_b64 v[0:3], v10 offset1:1
	v_cmp_lt_u32_e32 vcc, 3, v254
	s_waitcnt lgkmcnt(0)
	scratch_store_dwordx4 off, v[0:3], off offset:1544 ; 16-byte Folded Spill
	s_and_saveexec_b64 s[2:3], vcc
	s_cbranch_execz .LBB127_53
; %bb.51:
	scratch_load_dwordx4 v[4:7], off, off offset:48
	scratch_load_dwordx4 v[12:15], off, off offset:1544 ; 16-byte Folded Reload
	s_movk_i32 s4, 0xfc40
	s_waitcnt vmcnt(0)
	v_mul_f64 v[0:1], v[14:15], v[6:7]
	v_mul_f64 v[2:3], v[12:13], v[6:7]
	v_fma_f64 v[0:1], v[12:13], v[4:5], -v[0:1]
	v_fmac_f64_e32 v[2:3], v[14:15], v[4:5]
	scratch_store_dwordx4 off, v[0:3], off offset:48
.LBB127_52:                             ; =>This Inner Loop Header: Depth=1
	v_add_u32_e32 v11, s4, v9
	ds_read2_b64 v[4:7], v11 offset0:120 offset1:121
	s_add_i32 s10, s4, 0x400
	s_add_i32 s5, s4, 0x450
	s_waitcnt lgkmcnt(0)
	v_mul_f64 v[12:13], v[6:7], v[2:3]
	v_fma_f64 v[12:13], v[4:5], v[0:1], -v[12:13]
	v_mul_f64 v[4:5], v[4:5], v[2:3]
	v_fmac_f64_e32 v[4:5], v[6:7], v[0:1]
	scratch_load_dwordx4 v[0:3], off, s10
	s_waitcnt vmcnt(0)
	v_add_f64 v[0:1], v[0:1], -v[12:13]
	v_add_f64 v[2:3], v[2:3], -v[4:5]
	scratch_store_dwordx4 off, v[0:3], s10
	scratch_load_dwordx4 v[4:7], off, off offset:48
	ds_read2_b64 v[0:3], v11 offset0:122 offset1:123
	s_add_i32 s10, s4, 0x410
	s_waitcnt vmcnt(0) lgkmcnt(0)
	v_mul_f64 v[12:13], v[2:3], v[6:7]
	v_mul_f64 v[6:7], v[0:1], v[6:7]
	v_fma_f64 v[12:13], v[0:1], v[4:5], -v[12:13]
	v_fmac_f64_e32 v[6:7], v[2:3], v[4:5]
	scratch_load_dwordx4 v[0:3], off, s10
	s_waitcnt vmcnt(0)
	v_add_f64 v[0:1], v[0:1], -v[12:13]
	v_add_f64 v[2:3], v[2:3], -v[6:7]
	scratch_store_dwordx4 off, v[0:3], s10
	scratch_load_dwordx4 v[0:3], off, off offset:48
	ds_read2_b64 v[4:7], v11 offset0:124 offset1:125
	s_add_i32 s10, s4, 0x420
	s_waitcnt vmcnt(0) lgkmcnt(0)
	v_mul_f64 v[12:13], v[6:7], v[2:3]
	v_mul_f64 v[14:15], v[4:5], v[2:3]
	v_fma_f64 v[12:13], v[4:5], v[0:1], -v[12:13]
	v_fmac_f64_e32 v[14:15], v[6:7], v[0:1]
	scratch_load_dwordx4 v[4:7], off, s10
	s_waitcnt vmcnt(0)
	v_add_f64 v[4:5], v[4:5], -v[12:13]
	v_add_f64 v[6:7], v[6:7], -v[14:15]
	scratch_store_dwordx4 off, v[4:7], s10
	ds_read2_b64 v[4:7], v11 offset0:126 offset1:127
	s_add_i32 s10, s4, 0x430
	s_waitcnt lgkmcnt(0)
	v_mul_f64 v[12:13], v[6:7], v[2:3]
	v_mul_f64 v[14:15], v[4:5], v[2:3]
	v_fma_f64 v[12:13], v[4:5], v[0:1], -v[12:13]
	v_fmac_f64_e32 v[14:15], v[6:7], v[0:1]
	scratch_load_dwordx4 v[4:7], off, s10
	s_waitcnt vmcnt(0)
	v_add_f64 v[4:5], v[4:5], -v[12:13]
	v_add_f64 v[6:7], v[6:7], -v[14:15]
	scratch_store_dwordx4 off, v[4:7], s10
	ds_read2_b64 v[4:7], v11 offset0:128 offset1:129
	s_add_i32 s10, s4, 0x440
	s_addk_i32 s4, 0x60
	s_cmp_lg_u32 s4, 0
	s_waitcnt lgkmcnt(0)
	v_mul_f64 v[12:13], v[6:7], v[2:3]
	v_mul_f64 v[14:15], v[4:5], v[2:3]
	v_fma_f64 v[12:13], v[4:5], v[0:1], -v[12:13]
	v_fmac_f64_e32 v[14:15], v[6:7], v[0:1]
	scratch_load_dwordx4 v[4:7], off, s10
	s_waitcnt vmcnt(0)
	v_add_f64 v[4:5], v[4:5], -v[12:13]
	v_add_f64 v[6:7], v[6:7], -v[14:15]
	scratch_store_dwordx4 off, v[4:7], s10
	ds_read2_b64 v[4:7], v11 offset0:130 offset1:131
	s_waitcnt lgkmcnt(0)
	v_mul_f64 v[12:13], v[6:7], v[2:3]
	v_mul_f64 v[14:15], v[4:5], v[2:3]
	v_fma_f64 v[12:13], v[4:5], v[0:1], -v[12:13]
	v_fmac_f64_e32 v[14:15], v[6:7], v[0:1]
	scratch_load_dwordx4 v[4:7], off, s5
	s_waitcnt vmcnt(0)
	v_add_f64 v[4:5], v[4:5], -v[12:13]
	v_add_f64 v[6:7], v[6:7], -v[14:15]
	scratch_store_dwordx4 off, v[4:7], s5
	s_cbranch_scc1 .LBB127_52
.LBB127_53:
	s_or_b64 exec, exec, s[2:3]
	v_cmp_eq_u32_e32 vcc, 4, v254
	v_add_u32_e32 v11, 0, v8
	s_barrier
	s_and_saveexec_b64 s[4:5], vcc
	s_cbranch_execz .LBB127_64
; %bb.54:
	scratch_load_dwordx4 v[2:5], off, s72
	v_add_u32_e32 v0, 0x50, v11
	s_movk_i32 s10, 0xfc80
	s_waitcnt vmcnt(0)
	ds_write2_b64 v10, v[2:3], v[4:5] offset1:1
	s_branch .LBB127_56
.LBB127_55:                             ;   in Loop: Header=BB127_56 Depth=1
	s_add_i32 s3, s2, 0x400
	scratch_load_dwordx4 v[2:5], off, s3
	s_add_i32 s3, s2, 0x410
	s_addk_i32 s10, 0x80
	s_waitcnt vmcnt(0)
	ds_write2_b64 v1, v[2:3], v[4:5] offset0:118 offset1:119
	scratch_load_dwordx4 v[2:5], off, s3
	s_add_i32 s3, s2, 0x420
	s_waitcnt vmcnt(0)
	ds_write2_b64 v1, v[2:3], v[4:5] offset0:120 offset1:121
	scratch_load_dwordx4 v[2:5], off, s3
	s_add_i32 s3, s2, 0x430
	s_addk_i32 s2, 0x440
	s_waitcnt vmcnt(0)
	ds_write2_b64 v1, v[2:3], v[4:5] offset0:122 offset1:123
	scratch_load_dwordx4 v[2:5], off, s3
	s_waitcnt vmcnt(0)
	ds_write2_b64 v1, v[2:3], v[4:5] offset0:124 offset1:125
	scratch_load_dwordx4 v[2:5], off, s2
	s_waitcnt vmcnt(0)
	ds_write2_b64 v1, v[2:3], v[4:5] offset0:126 offset1:127
	s_cbranch_execz .LBB127_58
.LBB127_56:                             ; =>This Inner Loop Header: Depth=1
	s_add_i32 s3, s10, 0x3d0
	s_add_i32 s11, s10, 0x3e0
	scratch_load_dwordx4 v[2:5], off, s3
	scratch_load_dwordx4 v[6:9], off, s11
	s_add_i32 s3, s10, 0x3f0
	scratch_load_dwordx4 v[16:19], off, s3
	s_mov_b32 s2, s10
	v_add_u32_e32 v1, s10, v0
	s_cmp_eq_u32 s10, 0
	s_waitcnt vmcnt(2)
	ds_write2_b64 v1, v[2:3], v[4:5] offset0:112 offset1:113
	s_waitcnt vmcnt(1)
	ds_write2_b64 v1, v[6:7], v[8:9] offset0:114 offset1:115
	;; [unrolled: 2-line block ×3, first 2 shown]
	s_cbranch_scc0 .LBB127_55
; %bb.57:
                                        ; implicit-def: $sgpr10
.LBB127_58:
	ds_read2_b64 v[0:3], v10 offset1:1
	s_waitcnt lgkmcnt(0)
	v_cmp_neq_f64_e32 vcc, 0, v[0:1]
	v_cmp_neq_f64_e64 s[2:3], 0, v[2:3]
	s_or_b64 s[2:3], vcc, s[2:3]
	s_and_b64 exec, exec, s[2:3]
	s_cbranch_execz .LBB127_64
; %bb.59:
	v_cmp_ngt_f64_e64 s[2:3], |v[0:1]|, |v[2:3]|
                                        ; implicit-def: $vgpr4_vgpr5
	s_and_saveexec_b64 s[10:11], s[2:3]
	s_xor_b64 s[2:3], exec, s[10:11]
                                        ; implicit-def: $vgpr6_vgpr7
	s_cbranch_execz .LBB127_61
; %bb.60:
	v_div_scale_f64 v[4:5], s[10:11], v[2:3], v[2:3], v[0:1]
	v_rcp_f64_e32 v[6:7], v[4:5]
	v_div_scale_f64 v[8:9], vcc, v[0:1], v[2:3], v[0:1]
	v_fma_f64 v[12:13], -v[4:5], v[6:7], 1.0
	v_fmac_f64_e32 v[6:7], v[6:7], v[12:13]
	v_fma_f64 v[12:13], -v[4:5], v[6:7], 1.0
	v_fmac_f64_e32 v[6:7], v[6:7], v[12:13]
	v_mul_f64 v[12:13], v[8:9], v[6:7]
	v_fma_f64 v[4:5], -v[4:5], v[12:13], v[8:9]
	v_div_fmas_f64 v[4:5], v[4:5], v[6:7], v[12:13]
	v_div_fixup_f64 v[4:5], v[4:5], v[2:3], v[0:1]
	v_fmac_f64_e32 v[2:3], v[0:1], v[4:5]
	v_div_scale_f64 v[0:1], s[10:11], v[2:3], v[2:3], 1.0
	v_rcp_f64_e32 v[6:7], v[0:1]
	s_nop 0
	v_fma_f64 v[8:9], -v[0:1], v[6:7], 1.0
	v_fmac_f64_e32 v[6:7], v[6:7], v[8:9]
	v_fma_f64 v[8:9], -v[0:1], v[6:7], 1.0
	v_fmac_f64_e32 v[6:7], v[6:7], v[8:9]
	v_div_scale_f64 v[8:9], vcc, 1.0, v[2:3], 1.0
	v_mul_f64 v[12:13], v[8:9], v[6:7]
	v_fma_f64 v[0:1], -v[0:1], v[12:13], v[8:9]
	s_nop 1
	v_div_fmas_f64 v[0:1], v[0:1], v[6:7], v[12:13]
	v_div_fixup_f64 v[6:7], v[0:1], v[2:3], 1.0
	v_mul_f64 v[4:5], v[4:5], v[6:7]
	v_xor_b32_e32 v7, 0x80000000, v7
                                        ; implicit-def: $vgpr0_vgpr1
.LBB127_61:
	s_andn2_saveexec_b64 s[2:3], s[2:3]
	s_cbranch_execz .LBB127_63
; %bb.62:
	v_div_scale_f64 v[4:5], s[10:11], v[0:1], v[0:1], v[2:3]
	v_rcp_f64_e32 v[6:7], v[4:5]
	v_div_scale_f64 v[8:9], vcc, v[2:3], v[0:1], v[2:3]
	v_fma_f64 v[12:13], -v[4:5], v[6:7], 1.0
	v_fmac_f64_e32 v[6:7], v[6:7], v[12:13]
	v_fma_f64 v[12:13], -v[4:5], v[6:7], 1.0
	v_fmac_f64_e32 v[6:7], v[6:7], v[12:13]
	v_mul_f64 v[12:13], v[8:9], v[6:7]
	v_fma_f64 v[4:5], -v[4:5], v[12:13], v[8:9]
	v_div_fmas_f64 v[4:5], v[4:5], v[6:7], v[12:13]
	v_div_fixup_f64 v[6:7], v[4:5], v[0:1], v[2:3]
	v_fmac_f64_e32 v[0:1], v[2:3], v[6:7]
	v_div_scale_f64 v[2:3], s[10:11], v[0:1], v[0:1], 1.0
	v_rcp_f64_e32 v[4:5], v[2:3]
	s_nop 0
	v_fma_f64 v[8:9], -v[2:3], v[4:5], 1.0
	v_fmac_f64_e32 v[4:5], v[4:5], v[8:9]
	v_fma_f64 v[8:9], -v[2:3], v[4:5], 1.0
	v_fmac_f64_e32 v[4:5], v[4:5], v[8:9]
	v_div_scale_f64 v[8:9], vcc, 1.0, v[0:1], 1.0
	v_mul_f64 v[12:13], v[8:9], v[4:5]
	v_fma_f64 v[2:3], -v[2:3], v[12:13], v[8:9]
	s_nop 1
	v_div_fmas_f64 v[2:3], v[2:3], v[4:5], v[12:13]
	v_div_fixup_f64 v[4:5], v[2:3], v[0:1], 1.0
	v_mul_f64 v[6:7], v[6:7], -v[4:5]
.LBB127_63:
	s_or_b64 exec, exec, s[2:3]
	ds_write2_b64 v10, v[4:5], v[6:7] offset1:1
.LBB127_64:
	s_or_b64 exec, exec, s[4:5]
	s_waitcnt lgkmcnt(0)
	s_barrier
	ds_read2_b64 v[16:19], v10 offset1:1
	v_cmp_lt_u32_e32 vcc, 4, v254
	s_and_saveexec_b64 s[2:3], vcc
	s_cbranch_execz .LBB127_69
; %bb.65:
	scratch_load_dwordx4 v[6:9], off, off offset:64
	v_add_u32_e32 v4, 0x50, v11
	s_movk_i32 s10, 0xfc80
	s_waitcnt vmcnt(0) lgkmcnt(0)
	v_mul_f64 v[0:1], v[18:19], v[8:9]
	v_mul_f64 v[2:3], v[16:17], v[8:9]
	v_fma_f64 v[0:1], v[16:17], v[6:7], -v[0:1]
	v_fmac_f64_e32 v[2:3], v[18:19], v[6:7]
	scratch_store_dwordx4 off, v[0:3], off offset:64
	s_branch .LBB127_67
.LBB127_66:                             ;   in Loop: Header=BB127_67 Depth=1
	scratch_load_dwordx4 v[0:3], off, off offset:64
	s_add_i32 s5, s4, 0x400
	scratch_load_dwordx4 v[6:9], off, s5
	s_add_i32 s11, s4, 0x410
	s_add_i32 s48, s4, 0x420
	;; [unrolled: 1-line block ×3, first 2 shown]
	s_addk_i32 s4, 0x440
	scratch_load_dwordx4 v[20:23], off, s11
	scratch_load_dwordx4 v[24:27], off, s48
	;; [unrolled: 1-line block ×4, first 2 shown]
	ds_read2_b64 v[38:41], v5 offset0:118 offset1:119
	ds_read2_b64 v[42:45], v5 offset0:120 offset1:121
	;; [unrolled: 1-line block ×5, first 2 shown]
	s_addk_i32 s10, 0x80
	s_waitcnt vmcnt(5) lgkmcnt(4)
	v_mul_f64 v[12:13], v[40:41], v[2:3]
	v_mul_f64 v[14:15], v[38:39], v[2:3]
	s_waitcnt lgkmcnt(3)
	v_mul_f64 v[58:59], v[44:45], v[2:3]
	v_mul_f64 v[60:61], v[42:43], v[2:3]
	s_waitcnt lgkmcnt(2)
	;; [unrolled: 3-line block ×4, first 2 shown]
	v_mul_f64 v[70:71], v[56:57], v[2:3]
	v_mul_f64 v[72:73], v[54:55], v[2:3]
	v_fma_f64 v[12:13], v[38:39], v[0:1], -v[12:13]
	v_fmac_f64_e32 v[14:15], v[40:41], v[0:1]
	v_fma_f64 v[38:39], v[42:43], v[0:1], -v[58:59]
	v_fmac_f64_e32 v[60:61], v[44:45], v[0:1]
	;; [unrolled: 2-line block ×5, first 2 shown]
	s_waitcnt vmcnt(4)
	v_add_f64 v[6:7], v[6:7], -v[12:13]
	v_add_f64 v[8:9], v[8:9], -v[14:15]
	s_waitcnt vmcnt(3)
	v_add_f64 v[20:21], v[20:21], -v[38:39]
	v_add_f64 v[22:23], v[22:23], -v[60:61]
	;; [unrolled: 3-line block ×5, first 2 shown]
	scratch_store_dwordx4 off, v[6:9], s5
	scratch_store_dwordx4 off, v[20:23], s11
	;; [unrolled: 1-line block ×5, first 2 shown]
	s_cbranch_execz .LBB127_69
.LBB127_67:                             ; =>This Inner Loop Header: Depth=1
	v_add_u32_e32 v5, s10, v4
	ds_read2_b64 v[6:9], v5 offset0:112 offset1:113
	s_add_i32 s5, s10, 0x3d0
	s_mov_b32 s4, s10
	s_waitcnt lgkmcnt(0)
	v_mul_f64 v[12:13], v[8:9], v[2:3]
	v_fma_f64 v[12:13], v[6:7], v[0:1], -v[12:13]
	v_mul_f64 v[6:7], v[6:7], v[2:3]
	v_fmac_f64_e32 v[6:7], v[8:9], v[0:1]
	scratch_load_dwordx4 v[0:3], off, s5
	s_waitcnt vmcnt(0)
	v_add_f64 v[0:1], v[0:1], -v[12:13]
	v_add_f64 v[2:3], v[2:3], -v[6:7]
	scratch_store_dwordx4 off, v[0:3], s5
	scratch_load_dwordx4 v[6:9], off, off offset:64
	ds_read2_b64 v[0:3], v5 offset0:114 offset1:115
	s_add_i32 s5, s10, 0x3e0
	s_waitcnt vmcnt(0) lgkmcnt(0)
	v_mul_f64 v[12:13], v[2:3], v[8:9]
	v_mul_f64 v[8:9], v[0:1], v[8:9]
	v_fma_f64 v[12:13], v[0:1], v[6:7], -v[12:13]
	v_fmac_f64_e32 v[8:9], v[2:3], v[6:7]
	scratch_load_dwordx4 v[0:3], off, s5
	s_waitcnt vmcnt(0)
	v_add_f64 v[0:1], v[0:1], -v[12:13]
	v_add_f64 v[2:3], v[2:3], -v[8:9]
	scratch_store_dwordx4 off, v[0:3], s5
	scratch_load_dwordx4 v[6:9], off, off offset:64
	ds_read2_b64 v[0:3], v5 offset0:116 offset1:117
	s_add_i32 s5, s10, 0x3f0
	s_cmp_eq_u32 s10, 0
	s_waitcnt vmcnt(0) lgkmcnt(0)
	v_mul_f64 v[12:13], v[2:3], v[8:9]
	v_mul_f64 v[8:9], v[0:1], v[8:9]
	v_fma_f64 v[12:13], v[0:1], v[6:7], -v[12:13]
	v_fmac_f64_e32 v[8:9], v[2:3], v[6:7]
	scratch_load_dwordx4 v[0:3], off, s5
	s_waitcnt vmcnt(0)
	v_add_f64 v[0:1], v[0:1], -v[12:13]
	v_add_f64 v[2:3], v[2:3], -v[8:9]
	scratch_store_dwordx4 off, v[0:3], s5
	s_cbranch_scc0 .LBB127_66
; %bb.68:
                                        ; implicit-def: $vgpr0_vgpr1
                                        ; implicit-def: $sgpr10
.LBB127_69:
	s_or_b64 exec, exec, s[2:3]
	v_cmp_eq_u32_e32 vcc, 5, v254
	s_waitcnt lgkmcnt(0)
	s_barrier
	s_and_saveexec_b64 s[4:5], vcc
	s_cbranch_execz .LBB127_78
; %bb.70:
	scratch_load_dwordx4 v[0:3], off, s71
	s_mov_b32 s2, 0
	s_waitcnt vmcnt(0)
	ds_write2_b64 v10, v[0:1], v[2:3] offset1:1
	v_add_u32_e32 v0, 0x60, v11
.LBB127_71:                             ; =>This Inner Loop Header: Depth=1
	s_add_i32 s10, s2, 0x60
	s_add_i32 s3, s2, 0x70
	scratch_load_dwordx4 v[2:5], off, s10
	scratch_load_dwordx4 v[6:9], off, s3
	v_add_u32_e32 v1, s2, v0
	s_add_i32 s2, s2, 32
	s_cmpk_lg_i32 s2, 0x3a0
	s_waitcnt vmcnt(1)
	ds_write2_b64 v1, v[2:3], v[4:5] offset1:1
	s_waitcnt vmcnt(0)
	ds_write2_b64 v1, v[6:7], v[8:9] offset0:2 offset1:3
	s_cbranch_scc1 .LBB127_71
; %bb.72:
	ds_read2_b64 v[0:3], v10 offset1:1
	s_waitcnt lgkmcnt(0)
	v_cmp_neq_f64_e32 vcc, 0, v[0:1]
	v_cmp_neq_f64_e64 s[2:3], 0, v[2:3]
	s_or_b64 s[2:3], vcc, s[2:3]
	s_and_b64 exec, exec, s[2:3]
	s_cbranch_execz .LBB127_78
; %bb.73:
	v_cmp_ngt_f64_e64 s[2:3], |v[0:1]|, |v[2:3]|
                                        ; implicit-def: $vgpr4_vgpr5
	s_and_saveexec_b64 s[10:11], s[2:3]
	s_xor_b64 s[2:3], exec, s[10:11]
                                        ; implicit-def: $vgpr6_vgpr7
	s_cbranch_execz .LBB127_75
; %bb.74:
	v_div_scale_f64 v[4:5], s[10:11], v[2:3], v[2:3], v[0:1]
	v_rcp_f64_e32 v[6:7], v[4:5]
	v_div_scale_f64 v[8:9], vcc, v[0:1], v[2:3], v[0:1]
	v_fma_f64 v[12:13], -v[4:5], v[6:7], 1.0
	v_fmac_f64_e32 v[6:7], v[6:7], v[12:13]
	v_fma_f64 v[12:13], -v[4:5], v[6:7], 1.0
	v_fmac_f64_e32 v[6:7], v[6:7], v[12:13]
	v_mul_f64 v[12:13], v[8:9], v[6:7]
	v_fma_f64 v[4:5], -v[4:5], v[12:13], v[8:9]
	v_div_fmas_f64 v[4:5], v[4:5], v[6:7], v[12:13]
	v_div_fixup_f64 v[4:5], v[4:5], v[2:3], v[0:1]
	v_fmac_f64_e32 v[2:3], v[0:1], v[4:5]
	v_div_scale_f64 v[0:1], s[10:11], v[2:3], v[2:3], 1.0
	v_rcp_f64_e32 v[6:7], v[0:1]
	s_nop 0
	v_fma_f64 v[8:9], -v[0:1], v[6:7], 1.0
	v_fmac_f64_e32 v[6:7], v[6:7], v[8:9]
	v_fma_f64 v[8:9], -v[0:1], v[6:7], 1.0
	v_fmac_f64_e32 v[6:7], v[6:7], v[8:9]
	v_div_scale_f64 v[8:9], vcc, 1.0, v[2:3], 1.0
	v_mul_f64 v[12:13], v[8:9], v[6:7]
	v_fma_f64 v[0:1], -v[0:1], v[12:13], v[8:9]
	s_nop 1
	v_div_fmas_f64 v[0:1], v[0:1], v[6:7], v[12:13]
	v_div_fixup_f64 v[6:7], v[0:1], v[2:3], 1.0
	v_mul_f64 v[4:5], v[4:5], v[6:7]
	v_xor_b32_e32 v7, 0x80000000, v7
                                        ; implicit-def: $vgpr0_vgpr1
.LBB127_75:
	s_andn2_saveexec_b64 s[2:3], s[2:3]
	s_cbranch_execz .LBB127_77
; %bb.76:
	v_div_scale_f64 v[4:5], s[10:11], v[0:1], v[0:1], v[2:3]
	v_rcp_f64_e32 v[6:7], v[4:5]
	v_div_scale_f64 v[8:9], vcc, v[2:3], v[0:1], v[2:3]
	v_fma_f64 v[12:13], -v[4:5], v[6:7], 1.0
	v_fmac_f64_e32 v[6:7], v[6:7], v[12:13]
	v_fma_f64 v[12:13], -v[4:5], v[6:7], 1.0
	v_fmac_f64_e32 v[6:7], v[6:7], v[12:13]
	v_mul_f64 v[12:13], v[8:9], v[6:7]
	v_fma_f64 v[4:5], -v[4:5], v[12:13], v[8:9]
	v_div_fmas_f64 v[4:5], v[4:5], v[6:7], v[12:13]
	v_div_fixup_f64 v[6:7], v[4:5], v[0:1], v[2:3]
	v_fmac_f64_e32 v[0:1], v[2:3], v[6:7]
	v_div_scale_f64 v[2:3], s[10:11], v[0:1], v[0:1], 1.0
	v_rcp_f64_e32 v[4:5], v[2:3]
	s_nop 0
	v_fma_f64 v[8:9], -v[2:3], v[4:5], 1.0
	v_fmac_f64_e32 v[4:5], v[4:5], v[8:9]
	v_fma_f64 v[8:9], -v[2:3], v[4:5], 1.0
	v_fmac_f64_e32 v[4:5], v[4:5], v[8:9]
	v_div_scale_f64 v[8:9], vcc, 1.0, v[0:1], 1.0
	v_mul_f64 v[12:13], v[8:9], v[4:5]
	v_fma_f64 v[2:3], -v[2:3], v[12:13], v[8:9]
	s_nop 1
	v_div_fmas_f64 v[2:3], v[2:3], v[4:5], v[12:13]
	v_div_fixup_f64 v[4:5], v[2:3], v[0:1], 1.0
	v_mul_f64 v[6:7], v[6:7], -v[4:5]
.LBB127_77:
	s_or_b64 exec, exec, s[2:3]
	ds_write2_b64 v10, v[4:5], v[6:7] offset1:1
.LBB127_78:
	s_or_b64 exec, exec, s[4:5]
	s_waitcnt lgkmcnt(0)
	s_barrier
	ds_read2_b64 v[20:23], v10 offset1:1
	v_cmp_lt_u32_e32 vcc, 5, v254
	s_and_saveexec_b64 s[2:3], vcc
	s_cbranch_execz .LBB127_81
; %bb.79:
	scratch_load_dwordx4 v[4:7], off, off offset:80
	s_mov_b32 s4, 0
	s_waitcnt vmcnt(0) lgkmcnt(0)
	v_mul_f64 v[0:1], v[22:23], v[6:7]
	v_mul_f64 v[2:3], v[20:21], v[6:7]
	v_fma_f64 v[0:1], v[20:21], v[4:5], -v[0:1]
	v_fmac_f64_e32 v[2:3], v[22:23], v[4:5]
	v_add_u32_e32 v4, 0x60, v11
	scratch_store_dwordx4 off, v[0:3], off offset:80
.LBB127_80:                             ; =>This Inner Loop Header: Depth=1
	s_add_i32 s10, s4, 0x60
	s_add_i32 s5, s4, 0x70
	scratch_load_dwordx4 v[6:9], off, s10
	scratch_load_dwordx4 v[24:27], off, s5
	v_add_u32_e32 v5, s4, v4
	ds_read2_b64 v[28:31], v5 offset1:1
	ds_read2_b64 v[34:37], v5 offset0:2 offset1:3
	s_add_i32 s4, s4, 32
	s_cmpk_lg_i32 s4, 0x3a0
	s_waitcnt lgkmcnt(1)
	v_mul_f64 v[12:13], v[30:31], v[2:3]
	v_mul_f64 v[14:15], v[28:29], v[2:3]
	s_waitcnt lgkmcnt(0)
	v_mul_f64 v[38:39], v[36:37], v[2:3]
	v_mul_f64 v[40:41], v[34:35], v[2:3]
	v_fma_f64 v[12:13], v[28:29], v[0:1], -v[12:13]
	v_fmac_f64_e32 v[14:15], v[30:31], v[0:1]
	v_fma_f64 v[28:29], v[34:35], v[0:1], -v[38:39]
	v_fmac_f64_e32 v[40:41], v[36:37], v[0:1]
	s_waitcnt vmcnt(1)
	v_add_f64 v[6:7], v[6:7], -v[12:13]
	v_add_f64 v[8:9], v[8:9], -v[14:15]
	s_waitcnt vmcnt(0)
	v_add_f64 v[24:25], v[24:25], -v[28:29]
	v_add_f64 v[26:27], v[26:27], -v[40:41]
	scratch_store_dwordx4 off, v[6:9], s10
	scratch_store_dwordx4 off, v[24:27], s5
	s_cbranch_scc1 .LBB127_80
.LBB127_81:
	s_or_b64 exec, exec, s[2:3]
	v_cmp_eq_u32_e32 vcc, 6, v254
	s_waitcnt lgkmcnt(0)
	s_barrier
	s_and_saveexec_b64 s[4:5], vcc
	s_cbranch_execz .LBB127_90
; %bb.82:
	scratch_load_dwordx4 v[0:3], off, s70
	s_mov_b32 s2, 0
	s_waitcnt vmcnt(0)
	ds_write2_b64 v10, v[0:1], v[2:3] offset1:1
	v_add_u32_e32 v0, 0x70, v11
.LBB127_83:                             ; =>This Inner Loop Header: Depth=1
	s_add_i32 s10, s2, 0x70
	s_add_i32 s11, s2, 0x80
	s_add_i32 s3, s2, 0x90
	scratch_load_dwordx4 v[2:5], off, s10
	scratch_load_dwordx4 v[6:9], off, s11
	;; [unrolled: 1-line block ×3, first 2 shown]
	v_add_u32_e32 v1, s2, v0
	s_add_i32 s2, s2, 48
	s_cmpk_lg_i32 s2, 0x390
	s_waitcnt vmcnt(2)
	ds_write2_b64 v1, v[2:3], v[4:5] offset1:1
	s_waitcnt vmcnt(1)
	ds_write2_b64 v1, v[6:7], v[8:9] offset0:2 offset1:3
	s_waitcnt vmcnt(0)
	ds_write2_b64 v1, v[24:25], v[26:27] offset0:4 offset1:5
	s_cbranch_scc1 .LBB127_83
; %bb.84:
	ds_read2_b64 v[0:3], v10 offset1:1
	s_waitcnt lgkmcnt(0)
	v_cmp_neq_f64_e32 vcc, 0, v[0:1]
	v_cmp_neq_f64_e64 s[2:3], 0, v[2:3]
	s_or_b64 s[2:3], vcc, s[2:3]
	s_and_b64 exec, exec, s[2:3]
	s_cbranch_execz .LBB127_90
; %bb.85:
	v_cmp_ngt_f64_e64 s[2:3], |v[0:1]|, |v[2:3]|
                                        ; implicit-def: $vgpr4_vgpr5
	s_and_saveexec_b64 s[10:11], s[2:3]
	s_xor_b64 s[2:3], exec, s[10:11]
                                        ; implicit-def: $vgpr6_vgpr7
	s_cbranch_execz .LBB127_87
; %bb.86:
	v_div_scale_f64 v[4:5], s[10:11], v[2:3], v[2:3], v[0:1]
	v_rcp_f64_e32 v[6:7], v[4:5]
	v_div_scale_f64 v[8:9], vcc, v[0:1], v[2:3], v[0:1]
	v_fma_f64 v[12:13], -v[4:5], v[6:7], 1.0
	v_fmac_f64_e32 v[6:7], v[6:7], v[12:13]
	v_fma_f64 v[12:13], -v[4:5], v[6:7], 1.0
	v_fmac_f64_e32 v[6:7], v[6:7], v[12:13]
	v_mul_f64 v[12:13], v[8:9], v[6:7]
	v_fma_f64 v[4:5], -v[4:5], v[12:13], v[8:9]
	v_div_fmas_f64 v[4:5], v[4:5], v[6:7], v[12:13]
	v_div_fixup_f64 v[4:5], v[4:5], v[2:3], v[0:1]
	v_fmac_f64_e32 v[2:3], v[0:1], v[4:5]
	v_div_scale_f64 v[0:1], s[10:11], v[2:3], v[2:3], 1.0
	v_rcp_f64_e32 v[6:7], v[0:1]
	s_nop 0
	v_fma_f64 v[8:9], -v[0:1], v[6:7], 1.0
	v_fmac_f64_e32 v[6:7], v[6:7], v[8:9]
	v_fma_f64 v[8:9], -v[0:1], v[6:7], 1.0
	v_fmac_f64_e32 v[6:7], v[6:7], v[8:9]
	v_div_scale_f64 v[8:9], vcc, 1.0, v[2:3], 1.0
	v_mul_f64 v[12:13], v[8:9], v[6:7]
	v_fma_f64 v[0:1], -v[0:1], v[12:13], v[8:9]
	s_nop 1
	v_div_fmas_f64 v[0:1], v[0:1], v[6:7], v[12:13]
	v_div_fixup_f64 v[6:7], v[0:1], v[2:3], 1.0
	v_mul_f64 v[4:5], v[4:5], v[6:7]
	v_xor_b32_e32 v7, 0x80000000, v7
                                        ; implicit-def: $vgpr0_vgpr1
.LBB127_87:
	s_andn2_saveexec_b64 s[2:3], s[2:3]
	s_cbranch_execz .LBB127_89
; %bb.88:
	v_div_scale_f64 v[4:5], s[10:11], v[0:1], v[0:1], v[2:3]
	v_rcp_f64_e32 v[6:7], v[4:5]
	v_div_scale_f64 v[8:9], vcc, v[2:3], v[0:1], v[2:3]
	v_fma_f64 v[12:13], -v[4:5], v[6:7], 1.0
	v_fmac_f64_e32 v[6:7], v[6:7], v[12:13]
	v_fma_f64 v[12:13], -v[4:5], v[6:7], 1.0
	v_fmac_f64_e32 v[6:7], v[6:7], v[12:13]
	v_mul_f64 v[12:13], v[8:9], v[6:7]
	v_fma_f64 v[4:5], -v[4:5], v[12:13], v[8:9]
	v_div_fmas_f64 v[4:5], v[4:5], v[6:7], v[12:13]
	v_div_fixup_f64 v[6:7], v[4:5], v[0:1], v[2:3]
	v_fmac_f64_e32 v[0:1], v[2:3], v[6:7]
	v_div_scale_f64 v[2:3], s[10:11], v[0:1], v[0:1], 1.0
	v_rcp_f64_e32 v[4:5], v[2:3]
	s_nop 0
	v_fma_f64 v[8:9], -v[2:3], v[4:5], 1.0
	v_fmac_f64_e32 v[4:5], v[4:5], v[8:9]
	v_fma_f64 v[8:9], -v[2:3], v[4:5], 1.0
	v_fmac_f64_e32 v[4:5], v[4:5], v[8:9]
	v_div_scale_f64 v[8:9], vcc, 1.0, v[0:1], 1.0
	v_mul_f64 v[12:13], v[8:9], v[4:5]
	v_fma_f64 v[2:3], -v[2:3], v[12:13], v[8:9]
	s_nop 1
	v_div_fmas_f64 v[2:3], v[2:3], v[4:5], v[12:13]
	v_div_fixup_f64 v[4:5], v[2:3], v[0:1], 1.0
	v_mul_f64 v[6:7], v[6:7], -v[4:5]
.LBB127_89:
	s_or_b64 exec, exec, s[2:3]
	ds_write2_b64 v10, v[4:5], v[6:7] offset1:1
.LBB127_90:
	s_or_b64 exec, exec, s[4:5]
	s_waitcnt lgkmcnt(0)
	s_barrier
	ds_read2_b64 v[24:27], v10 offset1:1
	v_cmp_lt_u32_e32 vcc, 6, v254
	s_and_saveexec_b64 s[2:3], vcc
	s_cbranch_execz .LBB127_93
; %bb.91:
	scratch_load_dwordx4 v[2:5], off, off offset:96
	v_add_u32_e32 v0, 0x70, v11
	s_movk_i32 s4, 0xfc70
	s_waitcnt vmcnt(0) lgkmcnt(0)
	v_mul_f64 v[8:9], v[26:27], v[4:5]
	v_mul_f64 v[6:7], v[24:25], v[4:5]
	v_fma_f64 v[4:5], v[24:25], v[2:3], -v[8:9]
	v_fmac_f64_e32 v[6:7], v[26:27], v[2:3]
	scratch_store_dwordx4 off, v[4:7], off offset:96
.LBB127_92:                             ; =>This Inner Loop Header: Depth=1
	scratch_load_dwordx4 v[2:5], off, off offset:96
	s_add_i32 s10, s4, 0x400
	scratch_load_dwordx4 v[6:9], off, s10
	v_add_u32_e32 v1, s4, v0
	ds_read2_b64 v[28:31], v1 offset0:114 offset1:115
	ds_read2_b64 v[34:37], v1 offset0:116 offset1:117
	s_add_i32 s11, s4, 0x410
	s_add_i32 s5, s4, 0x420
	scratch_load_dwordx4 v[38:41], off, s11
	scratch_load_dwordx4 v[42:45], off, s5
	s_add_i32 s4, s4, 48
	s_cmp_lg_u32 s4, 0
	s_waitcnt vmcnt(3) lgkmcnt(1)
	v_mul_f64 v[12:13], v[30:31], v[4:5]
	v_mul_f64 v[4:5], v[28:29], v[4:5]
	v_fma_f64 v[12:13], v[28:29], v[2:3], -v[12:13]
	v_fmac_f64_e32 v[4:5], v[30:31], v[2:3]
	s_waitcnt vmcnt(2)
	v_add_f64 v[2:3], v[6:7], -v[12:13]
	v_add_f64 v[4:5], v[8:9], -v[4:5]
	scratch_store_dwordx4 off, v[2:5], s10
	scratch_load_dwordx4 v[2:5], off, off offset:96
	s_waitcnt vmcnt(0) lgkmcnt(0)
	v_mul_f64 v[6:7], v[36:37], v[4:5]
	v_mul_f64 v[4:5], v[34:35], v[4:5]
	v_fma_f64 v[6:7], v[34:35], v[2:3], -v[6:7]
	v_fmac_f64_e32 v[4:5], v[36:37], v[2:3]
	v_add_f64 v[2:3], v[38:39], -v[6:7]
	v_add_f64 v[4:5], v[40:41], -v[4:5]
	scratch_store_dwordx4 off, v[2:5], s11
	scratch_load_dwordx4 v[2:5], off, off offset:96
	ds_read2_b64 v[6:9], v1 offset0:118 offset1:119
	s_waitcnt vmcnt(0) lgkmcnt(0)
	v_mul_f64 v[12:13], v[8:9], v[4:5]
	v_mul_f64 v[4:5], v[6:7], v[4:5]
	v_fma_f64 v[6:7], v[6:7], v[2:3], -v[12:13]
	v_fmac_f64_e32 v[4:5], v[8:9], v[2:3]
	v_add_f64 v[2:3], v[42:43], -v[6:7]
	v_add_f64 v[4:5], v[44:45], -v[4:5]
	scratch_store_dwordx4 off, v[2:5], s5
	s_cbranch_scc1 .LBB127_92
.LBB127_93:
	s_or_b64 exec, exec, s[2:3]
	v_cmp_eq_u32_e32 vcc, 7, v254
	s_waitcnt lgkmcnt(0)
	s_barrier
	s_and_saveexec_b64 s[4:5], vcc
	s_cbranch_execz .LBB127_102
; %bb.94:
	scratch_load_dwordx4 v[2:5], off, s69
	v_add_u32_e32 v0, 0x80, v11
	s_movk_i32 s2, 0xfc80
	s_waitcnt vmcnt(0)
	ds_write2_b64 v10, v[2:3], v[4:5] offset1:1
.LBB127_95:                             ; =>This Inner Loop Header: Depth=1
	s_add_i32 s10, s2, 0x400
	s_add_i32 s11, s2, 0x410
	;; [unrolled: 1-line block ×14, first 2 shown]
	scratch_load_dwordx4 v[2:5], off, s10
	scratch_load_dwordx4 v[6:9], off, s11
	;; [unrolled: 1-line block ×14, first 2 shown]
	v_add_u32_e32 v1, s2, v0
	s_addk_i32 s2, 0xe0
	s_cmp_lg_u32 s2, 0
	s_waitcnt vmcnt(13)
	ds_write2_b64 v1, v[2:3], v[4:5] offset0:112 offset1:113
	s_waitcnt vmcnt(12)
	ds_write2_b64 v1, v[6:7], v[8:9] offset0:114 offset1:115
	;; [unrolled: 2-line block ×14, first 2 shown]
	s_cbranch_scc1 .LBB127_95
; %bb.96:
	ds_read2_b64 v[0:3], v10 offset1:1
	s_waitcnt lgkmcnt(0)
	v_cmp_neq_f64_e32 vcc, 0, v[0:1]
	v_cmp_neq_f64_e64 s[2:3], 0, v[2:3]
	s_or_b64 s[2:3], vcc, s[2:3]
	s_and_b64 exec, exec, s[2:3]
	s_cbranch_execz .LBB127_102
; %bb.97:
	v_cmp_ngt_f64_e64 s[2:3], |v[0:1]|, |v[2:3]|
                                        ; implicit-def: $vgpr4_vgpr5
	s_and_saveexec_b64 s[10:11], s[2:3]
	s_xor_b64 s[2:3], exec, s[10:11]
                                        ; implicit-def: $vgpr6_vgpr7
	s_cbranch_execz .LBB127_99
; %bb.98:
	v_div_scale_f64 v[4:5], s[10:11], v[2:3], v[2:3], v[0:1]
	v_rcp_f64_e32 v[6:7], v[4:5]
	v_div_scale_f64 v[8:9], vcc, v[0:1], v[2:3], v[0:1]
	v_fma_f64 v[12:13], -v[4:5], v[6:7], 1.0
	v_fmac_f64_e32 v[6:7], v[6:7], v[12:13]
	v_fma_f64 v[12:13], -v[4:5], v[6:7], 1.0
	v_fmac_f64_e32 v[6:7], v[6:7], v[12:13]
	v_mul_f64 v[12:13], v[8:9], v[6:7]
	v_fma_f64 v[4:5], -v[4:5], v[12:13], v[8:9]
	v_div_fmas_f64 v[4:5], v[4:5], v[6:7], v[12:13]
	v_div_fixup_f64 v[4:5], v[4:5], v[2:3], v[0:1]
	v_fmac_f64_e32 v[2:3], v[0:1], v[4:5]
	v_div_scale_f64 v[0:1], s[10:11], v[2:3], v[2:3], 1.0
	v_rcp_f64_e32 v[6:7], v[0:1]
	s_nop 0
	v_fma_f64 v[8:9], -v[0:1], v[6:7], 1.0
	v_fmac_f64_e32 v[6:7], v[6:7], v[8:9]
	v_fma_f64 v[8:9], -v[0:1], v[6:7], 1.0
	v_fmac_f64_e32 v[6:7], v[6:7], v[8:9]
	v_div_scale_f64 v[8:9], vcc, 1.0, v[2:3], 1.0
	v_mul_f64 v[12:13], v[8:9], v[6:7]
	v_fma_f64 v[0:1], -v[0:1], v[12:13], v[8:9]
	s_nop 1
	v_div_fmas_f64 v[0:1], v[0:1], v[6:7], v[12:13]
	v_div_fixup_f64 v[6:7], v[0:1], v[2:3], 1.0
	v_mul_f64 v[4:5], v[4:5], v[6:7]
	v_xor_b32_e32 v7, 0x80000000, v7
                                        ; implicit-def: $vgpr0_vgpr1
.LBB127_99:
	s_andn2_saveexec_b64 s[2:3], s[2:3]
	s_cbranch_execz .LBB127_101
; %bb.100:
	v_div_scale_f64 v[4:5], s[10:11], v[0:1], v[0:1], v[2:3]
	v_rcp_f64_e32 v[6:7], v[4:5]
	v_div_scale_f64 v[8:9], vcc, v[2:3], v[0:1], v[2:3]
	v_fma_f64 v[12:13], -v[4:5], v[6:7], 1.0
	v_fmac_f64_e32 v[6:7], v[6:7], v[12:13]
	v_fma_f64 v[12:13], -v[4:5], v[6:7], 1.0
	v_fmac_f64_e32 v[6:7], v[6:7], v[12:13]
	v_mul_f64 v[12:13], v[8:9], v[6:7]
	v_fma_f64 v[4:5], -v[4:5], v[12:13], v[8:9]
	v_div_fmas_f64 v[4:5], v[4:5], v[6:7], v[12:13]
	v_div_fixup_f64 v[6:7], v[4:5], v[0:1], v[2:3]
	v_fmac_f64_e32 v[0:1], v[2:3], v[6:7]
	v_div_scale_f64 v[2:3], s[10:11], v[0:1], v[0:1], 1.0
	v_rcp_f64_e32 v[4:5], v[2:3]
	s_nop 0
	v_fma_f64 v[8:9], -v[2:3], v[4:5], 1.0
	v_fmac_f64_e32 v[4:5], v[4:5], v[8:9]
	v_fma_f64 v[8:9], -v[2:3], v[4:5], 1.0
	v_fmac_f64_e32 v[4:5], v[4:5], v[8:9]
	v_div_scale_f64 v[8:9], vcc, 1.0, v[0:1], 1.0
	v_mul_f64 v[12:13], v[8:9], v[4:5]
	v_fma_f64 v[2:3], -v[2:3], v[12:13], v[8:9]
	s_nop 1
	v_div_fmas_f64 v[2:3], v[2:3], v[4:5], v[12:13]
	v_div_fixup_f64 v[4:5], v[2:3], v[0:1], 1.0
	v_mul_f64 v[6:7], v[6:7], -v[4:5]
.LBB127_101:
	s_or_b64 exec, exec, s[2:3]
	ds_write2_b64 v10, v[4:5], v[6:7] offset1:1
.LBB127_102:
	s_or_b64 exec, exec, s[4:5]
	s_waitcnt lgkmcnt(0)
	s_barrier
	ds_read2_b64 v[28:31], v10 offset1:1
	v_cmp_lt_u32_e32 vcc, 7, v254
	s_and_saveexec_b64 s[2:3], vcc
	s_cbranch_execz .LBB127_105
; %bb.103:
	scratch_load_dwordx4 v[6:9], off, off offset:112
	v_add_u32_e32 v4, 0x80, v11
	s_movk_i32 s4, 0xfc80
	s_waitcnt vmcnt(0) lgkmcnt(0)
	v_mul_f64 v[0:1], v[30:31], v[8:9]
	v_mul_f64 v[2:3], v[28:29], v[8:9]
	v_fma_f64 v[0:1], v[28:29], v[6:7], -v[0:1]
	v_fmac_f64_e32 v[2:3], v[30:31], v[6:7]
	scratch_store_dwordx4 off, v[0:3], off offset:112
.LBB127_104:                            ; =>This Inner Loop Header: Depth=1
	s_add_i32 s10, s4, 0x400
	scratch_load_dwordx4 v[6:9], off, s10
	v_add_u32_e32 v5, s4, v4
	ds_read2_b64 v[34:37], v5 offset0:112 offset1:113
	ds_read2_b64 v[38:41], v5 offset0:114 offset1:115
	s_add_i32 s11, s4, 0x410
	scratch_load_dwordx4 v[42:45], off, s11
	s_add_i32 s5, s4, 0x470
	s_waitcnt lgkmcnt(1)
	v_mul_f64 v[12:13], v[36:37], v[2:3]
	v_mul_f64 v[2:3], v[34:35], v[2:3]
	v_fma_f64 v[12:13], v[34:35], v[0:1], -v[12:13]
	v_fmac_f64_e32 v[2:3], v[36:37], v[0:1]
	s_waitcnt vmcnt(1)
	v_add_f64 v[0:1], v[6:7], -v[12:13]
	v_add_f64 v[2:3], v[8:9], -v[2:3]
	scratch_store_dwordx4 off, v[0:3], s10
	scratch_load_dwordx4 v[0:3], off, off offset:112
	s_add_i32 s10, s4, 0x420
	s_waitcnt vmcnt(0) lgkmcnt(0)
	v_mul_f64 v[6:7], v[40:41], v[2:3]
	v_mul_f64 v[2:3], v[38:39], v[2:3]
	v_fma_f64 v[6:7], v[38:39], v[0:1], -v[6:7]
	v_fmac_f64_e32 v[2:3], v[40:41], v[0:1]
	v_add_f64 v[0:1], v[42:43], -v[6:7]
	v_add_f64 v[2:3], v[44:45], -v[2:3]
	scratch_store_dwordx4 off, v[0:3], s11
	scratch_load_dwordx4 v[0:3], off, off offset:112
	s_nop 0
	scratch_load_dwordx4 v[6:9], off, s10
	ds_read2_b64 v[34:37], v5 offset0:116 offset1:117
	ds_read2_b64 v[38:41], v5 offset0:118 offset1:119
	s_add_i32 s11, s4, 0x430
	scratch_load_dwordx4 v[42:45], off, s11
	s_waitcnt vmcnt(2) lgkmcnt(1)
	v_mul_f64 v[12:13], v[36:37], v[2:3]
	v_mul_f64 v[2:3], v[34:35], v[2:3]
	v_fma_f64 v[12:13], v[34:35], v[0:1], -v[12:13]
	v_fmac_f64_e32 v[2:3], v[36:37], v[0:1]
	s_waitcnt vmcnt(1)
	v_add_f64 v[0:1], v[6:7], -v[12:13]
	v_add_f64 v[2:3], v[8:9], -v[2:3]
	scratch_store_dwordx4 off, v[0:3], s10
	scratch_load_dwordx4 v[0:3], off, off offset:112
	s_add_i32 s10, s4, 0x440
	s_waitcnt vmcnt(0) lgkmcnt(0)
	v_mul_f64 v[6:7], v[40:41], v[2:3]
	v_mul_f64 v[2:3], v[38:39], v[2:3]
	v_fma_f64 v[6:7], v[38:39], v[0:1], -v[6:7]
	v_fmac_f64_e32 v[2:3], v[40:41], v[0:1]
	v_add_f64 v[0:1], v[42:43], -v[6:7]
	v_add_f64 v[2:3], v[44:45], -v[2:3]
	scratch_store_dwordx4 off, v[0:3], s11
	scratch_load_dwordx4 v[0:3], off, off offset:112
	s_nop 0
	scratch_load_dwordx4 v[6:9], off, s10
	ds_read2_b64 v[34:37], v5 offset0:120 offset1:121
	ds_read2_b64 v[38:41], v5 offset0:122 offset1:123
	s_add_i32 s11, s4, 0x450
	scratch_load_dwordx4 v[42:45], off, s11
	s_waitcnt vmcnt(2) lgkmcnt(1)
	v_mul_f64 v[12:13], v[36:37], v[2:3]
	v_mul_f64 v[2:3], v[34:35], v[2:3]
	v_fma_f64 v[12:13], v[34:35], v[0:1], -v[12:13]
	v_fmac_f64_e32 v[2:3], v[36:37], v[0:1]
	s_waitcnt vmcnt(1)
	v_add_f64 v[0:1], v[6:7], -v[12:13]
	v_add_f64 v[2:3], v[8:9], -v[2:3]
	scratch_store_dwordx4 off, v[0:3], s10
	scratch_load_dwordx4 v[0:3], off, off offset:112
	s_add_i32 s10, s4, 0x460
	scratch_load_dwordx4 v[6:9], off, s10
	s_addk_i32 s4, 0x80
	s_cmp_lg_u32 s4, 0
	s_waitcnt vmcnt(1) lgkmcnt(0)
	v_mul_f64 v[12:13], v[40:41], v[2:3]
	v_mul_f64 v[2:3], v[38:39], v[2:3]
	v_fma_f64 v[12:13], v[38:39], v[0:1], -v[12:13]
	v_fmac_f64_e32 v[2:3], v[40:41], v[0:1]
	v_add_f64 v[0:1], v[42:43], -v[12:13]
	v_add_f64 v[2:3], v[44:45], -v[2:3]
	scratch_store_dwordx4 off, v[0:3], s11
	scratch_load_dwordx4 v[0:3], off, off offset:112
	s_nop 0
	scratch_load_dwordx4 v[34:37], off, s5
	ds_read2_b64 v[38:41], v5 offset0:124 offset1:125
	ds_read2_b64 v[42:45], v5 offset0:126 offset1:127
	s_waitcnt vmcnt(1) lgkmcnt(1)
	v_mul_f64 v[12:13], v[40:41], v[2:3]
	v_mul_f64 v[14:15], v[38:39], v[2:3]
	s_waitcnt lgkmcnt(0)
	v_mul_f64 v[46:47], v[44:45], v[2:3]
	v_mul_f64 v[48:49], v[42:43], v[2:3]
	v_fma_f64 v[12:13], v[38:39], v[0:1], -v[12:13]
	v_fmac_f64_e32 v[14:15], v[40:41], v[0:1]
	v_fma_f64 v[38:39], v[42:43], v[0:1], -v[46:47]
	v_fmac_f64_e32 v[48:49], v[44:45], v[0:1]
	v_add_f64 v[6:7], v[6:7], -v[12:13]
	v_add_f64 v[8:9], v[8:9], -v[14:15]
	s_waitcnt vmcnt(0)
	v_add_f64 v[34:35], v[34:35], -v[38:39]
	v_add_f64 v[36:37], v[36:37], -v[48:49]
	scratch_store_dwordx4 off, v[6:9], s10
	scratch_store_dwordx4 off, v[34:37], s5
	s_cbranch_scc1 .LBB127_104
.LBB127_105:
	s_or_b64 exec, exec, s[2:3]
	v_cmp_eq_u32_e32 vcc, 8, v254
	s_waitcnt lgkmcnt(0)
	s_barrier
	s_and_saveexec_b64 s[4:5], vcc
	s_cbranch_execz .LBB127_114
; %bb.106:
	scratch_load_dwordx4 v[2:5], off, s68
	v_add_u32_e32 v0, 0x90, v11
	s_movk_i32 s2, 0xfc90
	s_waitcnt vmcnt(0)
	ds_write2_b64 v10, v[2:3], v[4:5] offset1:1
.LBB127_107:                            ; =>This Inner Loop Header: Depth=1
	s_add_i32 s10, s2, 0x400
	s_add_i32 s11, s2, 0x410
	s_add_i32 s48, s2, 0x420
	s_add_i32 s49, s2, 0x430
	s_add_i32 s50, s2, 0x440
	s_add_i32 s51, s2, 0x450
	s_add_i32 s52, s2, 0x460
	s_add_i32 s75, s2, 0x470
	s_add_i32 s76, s2, 0x480
	s_add_i32 s77, s2, 0x490
	s_add_i32 s3, s2, 0x4a0
	scratch_load_dwordx4 v[2:5], off, s10
	scratch_load_dwordx4 v[6:9], off, s11
	scratch_load_dwordx4 v[34:37], off, s48
	scratch_load_dwordx4 v[38:41], off, s49
	scratch_load_dwordx4 v[42:45], off, s50
	scratch_load_dwordx4 v[46:49], off, s51
	scratch_load_dwordx4 v[50:53], off, s52
	scratch_load_dwordx4 v[54:57], off, s75
	scratch_load_dwordx4 v[58:61], off, s76
	scratch_load_dwordx4 v[62:65], off, s77
	scratch_load_dwordx4 v[66:69], off, s3
	v_add_u32_e32 v1, s2, v0
	s_addk_i32 s2, 0xb0
	s_cmp_lg_u32 s2, 0
	s_waitcnt vmcnt(10)
	ds_write2_b64 v1, v[2:3], v[4:5] offset0:110 offset1:111
	s_waitcnt vmcnt(9)
	ds_write2_b64 v1, v[6:7], v[8:9] offset0:112 offset1:113
	;; [unrolled: 2-line block ×11, first 2 shown]
	s_cbranch_scc1 .LBB127_107
; %bb.108:
	ds_read2_b64 v[0:3], v10 offset1:1
	s_waitcnt lgkmcnt(0)
	v_cmp_neq_f64_e32 vcc, 0, v[0:1]
	v_cmp_neq_f64_e64 s[2:3], 0, v[2:3]
	s_or_b64 s[2:3], vcc, s[2:3]
	s_and_b64 exec, exec, s[2:3]
	s_cbranch_execz .LBB127_114
; %bb.109:
	v_cmp_ngt_f64_e64 s[2:3], |v[0:1]|, |v[2:3]|
                                        ; implicit-def: $vgpr4_vgpr5
	s_and_saveexec_b64 s[10:11], s[2:3]
	s_xor_b64 s[2:3], exec, s[10:11]
                                        ; implicit-def: $vgpr6_vgpr7
	s_cbranch_execz .LBB127_111
; %bb.110:
	v_div_scale_f64 v[4:5], s[10:11], v[2:3], v[2:3], v[0:1]
	v_rcp_f64_e32 v[6:7], v[4:5]
	v_div_scale_f64 v[8:9], vcc, v[0:1], v[2:3], v[0:1]
	v_fma_f64 v[12:13], -v[4:5], v[6:7], 1.0
	v_fmac_f64_e32 v[6:7], v[6:7], v[12:13]
	v_fma_f64 v[12:13], -v[4:5], v[6:7], 1.0
	v_fmac_f64_e32 v[6:7], v[6:7], v[12:13]
	v_mul_f64 v[12:13], v[8:9], v[6:7]
	v_fma_f64 v[4:5], -v[4:5], v[12:13], v[8:9]
	v_div_fmas_f64 v[4:5], v[4:5], v[6:7], v[12:13]
	v_div_fixup_f64 v[4:5], v[4:5], v[2:3], v[0:1]
	v_fmac_f64_e32 v[2:3], v[0:1], v[4:5]
	v_div_scale_f64 v[0:1], s[10:11], v[2:3], v[2:3], 1.0
	v_rcp_f64_e32 v[6:7], v[0:1]
	s_nop 0
	v_fma_f64 v[8:9], -v[0:1], v[6:7], 1.0
	v_fmac_f64_e32 v[6:7], v[6:7], v[8:9]
	v_fma_f64 v[8:9], -v[0:1], v[6:7], 1.0
	v_fmac_f64_e32 v[6:7], v[6:7], v[8:9]
	v_div_scale_f64 v[8:9], vcc, 1.0, v[2:3], 1.0
	v_mul_f64 v[12:13], v[8:9], v[6:7]
	v_fma_f64 v[0:1], -v[0:1], v[12:13], v[8:9]
	s_nop 1
	v_div_fmas_f64 v[0:1], v[0:1], v[6:7], v[12:13]
	v_div_fixup_f64 v[6:7], v[0:1], v[2:3], 1.0
	v_mul_f64 v[4:5], v[4:5], v[6:7]
	v_xor_b32_e32 v7, 0x80000000, v7
                                        ; implicit-def: $vgpr0_vgpr1
.LBB127_111:
	s_andn2_saveexec_b64 s[2:3], s[2:3]
	s_cbranch_execz .LBB127_113
; %bb.112:
	v_div_scale_f64 v[4:5], s[10:11], v[0:1], v[0:1], v[2:3]
	v_rcp_f64_e32 v[6:7], v[4:5]
	v_div_scale_f64 v[8:9], vcc, v[2:3], v[0:1], v[2:3]
	v_fma_f64 v[12:13], -v[4:5], v[6:7], 1.0
	v_fmac_f64_e32 v[6:7], v[6:7], v[12:13]
	v_fma_f64 v[12:13], -v[4:5], v[6:7], 1.0
	v_fmac_f64_e32 v[6:7], v[6:7], v[12:13]
	v_mul_f64 v[12:13], v[8:9], v[6:7]
	v_fma_f64 v[4:5], -v[4:5], v[12:13], v[8:9]
	v_div_fmas_f64 v[4:5], v[4:5], v[6:7], v[12:13]
	v_div_fixup_f64 v[6:7], v[4:5], v[0:1], v[2:3]
	v_fmac_f64_e32 v[0:1], v[2:3], v[6:7]
	v_div_scale_f64 v[2:3], s[10:11], v[0:1], v[0:1], 1.0
	v_rcp_f64_e32 v[4:5], v[2:3]
	s_nop 0
	v_fma_f64 v[8:9], -v[2:3], v[4:5], 1.0
	v_fmac_f64_e32 v[4:5], v[4:5], v[8:9]
	v_fma_f64 v[8:9], -v[2:3], v[4:5], 1.0
	v_fmac_f64_e32 v[4:5], v[4:5], v[8:9]
	v_div_scale_f64 v[8:9], vcc, 1.0, v[0:1], 1.0
	v_mul_f64 v[12:13], v[8:9], v[4:5]
	v_fma_f64 v[2:3], -v[2:3], v[12:13], v[8:9]
	s_nop 1
	v_div_fmas_f64 v[2:3], v[2:3], v[4:5], v[12:13]
	v_div_fixup_f64 v[4:5], v[2:3], v[0:1], 1.0
	v_mul_f64 v[6:7], v[6:7], -v[4:5]
.LBB127_113:
	s_or_b64 exec, exec, s[2:3]
	ds_write2_b64 v10, v[4:5], v[6:7] offset1:1
.LBB127_114:
	s_or_b64 exec, exec, s[4:5]
	s_waitcnt lgkmcnt(0)
	s_barrier
	ds_read2_b64 v[4:7], v10 offset1:1
	v_cmp_lt_u32_e32 vcc, 8, v254
	s_and_saveexec_b64 s[2:3], vcc
	s_cbranch_execz .LBB127_117
; %bb.115:
	scratch_load_dwordx4 v[34:37], off, off offset:128
	v_add_u32_e32 v0, 0x90, v11
	s_movk_i32 s4, 0xfc90
	s_waitcnt vmcnt(0) lgkmcnt(0)
	v_mul_f64 v[2:3], v[6:7], v[36:37]
	v_mul_f64 v[38:39], v[4:5], v[36:37]
	v_fma_f64 v[36:37], v[4:5], v[34:35], -v[2:3]
	v_fmac_f64_e32 v[38:39], v[6:7], v[34:35]
	scratch_store_dwordx4 off, v[36:39], off offset:128
.LBB127_116:                            ; =>This Inner Loop Header: Depth=1
	scratch_load_dwordx4 v[34:37], off, off offset:128
	s_add_i32 s10, s4, 0x400
	scratch_load_dwordx4 v[38:41], off, s10
	v_add_u32_e32 v1, s4, v0
	ds_read2_b64 v[42:45], v1 offset0:110 offset1:111
	ds_read2_b64 v[46:49], v1 offset0:112 offset1:113
	s_add_i32 s11, s4, 0x410
	s_add_i32 s48, s4, 0x440
	scratch_load_dwordx4 v[50:53], off, s11
	scratch_load_dwordx4 v[54:57], off, s48
	s_add_i32 s5, s4, 0x430
	s_waitcnt vmcnt(3) lgkmcnt(1)
	v_mul_f64 v[2:3], v[44:45], v[36:37]
	v_mul_f64 v[8:9], v[42:43], v[36:37]
	v_fma_f64 v[2:3], v[42:43], v[34:35], -v[2:3]
	v_fmac_f64_e32 v[8:9], v[44:45], v[34:35]
	s_waitcnt vmcnt(2)
	v_add_f64 v[34:35], v[38:39], -v[2:3]
	v_add_f64 v[36:37], v[40:41], -v[8:9]
	scratch_store_dwordx4 off, v[34:37], s10
	scratch_load_dwordx4 v[34:37], off, off offset:128
	s_add_i32 s10, s4, 0x420
	s_addk_i32 s4, 0x50
	s_cmp_lg_u32 s4, 0
	s_waitcnt vmcnt(0) lgkmcnt(0)
	v_mul_f64 v[2:3], v[48:49], v[36:37]
	v_mul_f64 v[8:9], v[46:47], v[36:37]
	v_fma_f64 v[2:3], v[46:47], v[34:35], -v[2:3]
	v_fmac_f64_e32 v[8:9], v[48:49], v[34:35]
	v_add_f64 v[34:35], v[50:51], -v[2:3]
	v_add_f64 v[36:37], v[52:53], -v[8:9]
	scratch_store_dwordx4 off, v[34:37], s11
	scratch_load_dwordx4 v[34:37], off, off offset:128
	s_nop 0
	scratch_load_dwordx4 v[38:41], off, s10
	ds_read2_b64 v[42:45], v1 offset0:114 offset1:115
	ds_read2_b64 v[46:49], v1 offset0:116 offset1:117
	scratch_load_dwordx4 v[50:53], off, s5
	s_waitcnt vmcnt(2) lgkmcnt(1)
	v_mul_f64 v[2:3], v[44:45], v[36:37]
	v_mul_f64 v[8:9], v[42:43], v[36:37]
	v_fma_f64 v[2:3], v[42:43], v[34:35], -v[2:3]
	v_fmac_f64_e32 v[8:9], v[44:45], v[34:35]
	s_waitcnt vmcnt(1)
	v_add_f64 v[34:35], v[38:39], -v[2:3]
	v_add_f64 v[36:37], v[40:41], -v[8:9]
	scratch_store_dwordx4 off, v[34:37], s10
	scratch_load_dwordx4 v[34:37], off, off offset:128
	ds_read2_b64 v[38:41], v1 offset0:118 offset1:119
	s_waitcnt vmcnt(0) lgkmcnt(1)
	v_mul_f64 v[2:3], v[48:49], v[36:37]
	v_mul_f64 v[8:9], v[46:47], v[36:37]
	v_fma_f64 v[2:3], v[46:47], v[34:35], -v[2:3]
	v_fmac_f64_e32 v[8:9], v[48:49], v[34:35]
	v_add_f64 v[34:35], v[50:51], -v[2:3]
	v_add_f64 v[36:37], v[52:53], -v[8:9]
	scratch_store_dwordx4 off, v[34:37], s5
	scratch_load_dwordx4 v[34:37], off, off offset:128
	s_waitcnt vmcnt(0) lgkmcnt(0)
	v_mul_f64 v[2:3], v[40:41], v[36:37]
	v_mul_f64 v[8:9], v[38:39], v[36:37]
	v_fma_f64 v[2:3], v[38:39], v[34:35], -v[2:3]
	v_fmac_f64_e32 v[8:9], v[40:41], v[34:35]
	v_add_f64 v[34:35], v[54:55], -v[2:3]
	v_add_f64 v[36:37], v[56:57], -v[8:9]
	scratch_store_dwordx4 off, v[34:37], s48
	s_cbranch_scc1 .LBB127_116
.LBB127_117:
	s_or_b64 exec, exec, s[2:3]
	v_cmp_eq_u32_e32 vcc, 9, v254
	s_waitcnt lgkmcnt(0)
	s_barrier
	s_and_saveexec_b64 s[4:5], vcc
	s_cbranch_execz .LBB127_126
; %bb.118:
	scratch_load_dwordx4 v[34:37], off, s67
	v_add_u32_e32 v0, 0xa0, v11
	s_movk_i32 s2, 0xfca0
	s_waitcnt vmcnt(0)
	ds_write2_b64 v10, v[34:35], v[36:37] offset1:1
.LBB127_119:                            ; =>This Inner Loop Header: Depth=1
	s_add_i32 s10, s2, 0x400
	s_add_i32 s11, s2, 0x410
	s_add_i32 s48, s2, 0x420
	s_add_i32 s49, s2, 0x430
	s_add_i32 s50, s2, 0x440
	s_add_i32 s51, s2, 0x450
	s_add_i32 s52, s2, 0x460
	s_add_i32 s75, s2, 0x470
	s_add_i32 s76, s2, 0x480
	s_add_i32 s77, s2, 0x490
	s_add_i32 s78, s2, 0x4a0
	s_add_i32 s79, s2, 0x4b0
	s_add_i32 s80, s2, 0x4c0
	s_add_i32 s81, s2, 0x4d0
	s_add_i32 s82, s2, 0x4e0
	s_add_i32 s83, s2, 0x4f0
	s_add_i32 s84, s2, 0x500
	s_add_i32 s3, s2, 0x510
	scratch_load_dwordx4 v[34:37], off, s10
	scratch_load_dwordx4 v[38:41], off, s11
	;; [unrolled: 1-line block ×18, first 2 shown]
	v_add_u32_e32 v1, s2, v0
	s_addk_i32 s2, 0x120
	s_cmp_lg_u32 s2, 0
	s_waitcnt vmcnt(17)
	ds_write2_b64 v1, v[34:35], v[36:37] offset0:108 offset1:109
	s_waitcnt vmcnt(16)
	ds_write2_b64 v1, v[38:39], v[40:41] offset0:110 offset1:111
	;; [unrolled: 2-line block ×18, first 2 shown]
	s_cbranch_scc1 .LBB127_119
; %bb.120:
	ds_read2_b64 v[0:3], v10 offset1:1
	s_waitcnt lgkmcnt(0)
	v_cmp_neq_f64_e32 vcc, 0, v[0:1]
	v_cmp_neq_f64_e64 s[2:3], 0, v[2:3]
	s_or_b64 s[2:3], vcc, s[2:3]
	s_and_b64 exec, exec, s[2:3]
	s_cbranch_execz .LBB127_126
; %bb.121:
	v_cmp_ngt_f64_e64 s[2:3], |v[0:1]|, |v[2:3]|
                                        ; implicit-def: $vgpr34_vgpr35
	s_and_saveexec_b64 s[10:11], s[2:3]
	s_xor_b64 s[2:3], exec, s[10:11]
                                        ; implicit-def: $vgpr8_vgpr9
	s_cbranch_execz .LBB127_123
; %bb.122:
	v_div_scale_f64 v[8:9], s[10:11], v[2:3], v[2:3], v[0:1]
	v_rcp_f64_e32 v[12:13], v[8:9]
	v_div_scale_f64 v[14:15], vcc, v[0:1], v[2:3], v[0:1]
	v_fma_f64 v[34:35], -v[8:9], v[12:13], 1.0
	v_fmac_f64_e32 v[12:13], v[12:13], v[34:35]
	v_fma_f64 v[34:35], -v[8:9], v[12:13], 1.0
	v_fmac_f64_e32 v[12:13], v[12:13], v[34:35]
	v_mul_f64 v[34:35], v[14:15], v[12:13]
	v_fma_f64 v[8:9], -v[8:9], v[34:35], v[14:15]
	v_div_fmas_f64 v[8:9], v[8:9], v[12:13], v[34:35]
	v_div_fixup_f64 v[12:13], v[8:9], v[2:3], v[0:1]
	v_fmac_f64_e32 v[2:3], v[0:1], v[12:13]
	v_div_scale_f64 v[0:1], s[10:11], v[2:3], v[2:3], 1.0
	v_rcp_f64_e32 v[8:9], v[0:1]
	s_nop 0
	v_fma_f64 v[14:15], -v[0:1], v[8:9], 1.0
	v_fmac_f64_e32 v[8:9], v[8:9], v[14:15]
	v_fma_f64 v[14:15], -v[0:1], v[8:9], 1.0
	v_fmac_f64_e32 v[8:9], v[8:9], v[14:15]
	v_div_scale_f64 v[14:15], vcc, 1.0, v[2:3], 1.0
	v_mul_f64 v[34:35], v[14:15], v[8:9]
	v_fma_f64 v[0:1], -v[0:1], v[34:35], v[14:15]
	s_nop 1
	v_div_fmas_f64 v[0:1], v[0:1], v[8:9], v[34:35]
	v_div_fixup_f64 v[8:9], v[0:1], v[2:3], 1.0
	v_mul_f64 v[34:35], v[12:13], v[8:9]
	v_xor_b32_e32 v9, 0x80000000, v9
                                        ; implicit-def: $vgpr0_vgpr1
.LBB127_123:
	s_andn2_saveexec_b64 s[2:3], s[2:3]
	s_cbranch_execz .LBB127_125
; %bb.124:
	v_div_scale_f64 v[8:9], s[10:11], v[0:1], v[0:1], v[2:3]
	v_rcp_f64_e32 v[12:13], v[8:9]
	v_div_scale_f64 v[14:15], vcc, v[2:3], v[0:1], v[2:3]
	v_fma_f64 v[34:35], -v[8:9], v[12:13], 1.0
	v_fmac_f64_e32 v[12:13], v[12:13], v[34:35]
	v_fma_f64 v[34:35], -v[8:9], v[12:13], 1.0
	v_fmac_f64_e32 v[12:13], v[12:13], v[34:35]
	v_mul_f64 v[34:35], v[14:15], v[12:13]
	v_fma_f64 v[8:9], -v[8:9], v[34:35], v[14:15]
	v_div_fmas_f64 v[8:9], v[8:9], v[12:13], v[34:35]
	v_div_fixup_f64 v[8:9], v[8:9], v[0:1], v[2:3]
	v_fmac_f64_e32 v[0:1], v[2:3], v[8:9]
	v_div_scale_f64 v[2:3], s[10:11], v[0:1], v[0:1], 1.0
	v_rcp_f64_e32 v[12:13], v[2:3]
	s_nop 0
	v_fma_f64 v[14:15], -v[2:3], v[12:13], 1.0
	v_fmac_f64_e32 v[12:13], v[12:13], v[14:15]
	v_fma_f64 v[14:15], -v[2:3], v[12:13], 1.0
	v_fmac_f64_e32 v[12:13], v[12:13], v[14:15]
	v_div_scale_f64 v[14:15], vcc, 1.0, v[0:1], 1.0
	v_mul_f64 v[34:35], v[14:15], v[12:13]
	v_fma_f64 v[2:3], -v[2:3], v[34:35], v[14:15]
	s_nop 1
	v_div_fmas_f64 v[2:3], v[2:3], v[12:13], v[34:35]
	v_div_fixup_f64 v[34:35], v[2:3], v[0:1], 1.0
	v_mul_f64 v[8:9], v[8:9], -v[34:35]
.LBB127_125:
	s_or_b64 exec, exec, s[2:3]
	ds_write2_b64 v10, v[34:35], v[8:9] offset1:1
.LBB127_126:
	s_or_b64 exec, exec, s[4:5]
	s_waitcnt lgkmcnt(0)
	s_barrier
	ds_read2_b64 v[36:39], v10 offset1:1
	v_cmp_lt_u32_e32 vcc, 9, v254
	s_and_saveexec_b64 s[2:3], vcc
	s_cbranch_execz .LBB127_129
; %bb.127:
	scratch_load_dwordx4 v[40:43], off, off offset:144
	v_add_u32_e32 v8, 0xa0, v11
	s_movk_i32 s4, 0xfca0
	s_waitcnt vmcnt(0) lgkmcnt(0)
	v_mul_f64 v[0:1], v[38:39], v[42:43]
	v_mul_f64 v[2:3], v[36:37], v[42:43]
	v_fma_f64 v[0:1], v[36:37], v[40:41], -v[0:1]
	v_fmac_f64_e32 v[2:3], v[38:39], v[40:41]
	scratch_store_dwordx4 off, v[0:3], off offset:144
.LBB127_128:                            ; =>This Inner Loop Header: Depth=1
	s_add_i32 s11, s4, 0x400
	scratch_load_dwordx4 v[40:43], off, s11
	v_add_u32_e32 v9, s4, v8
	ds_read2_b64 v[44:47], v9 offset0:108 offset1:109
	ds_read2_b64 v[48:51], v9 offset0:110 offset1:111
	s_add_i32 s10, s4, 0x410
	scratch_load_dwordx4 v[52:55], off, s10
	s_add_i32 s48, s4, 0x480
	s_waitcnt lgkmcnt(1)
	v_mul_f64 v[12:13], v[46:47], v[2:3]
	v_mul_f64 v[2:3], v[44:45], v[2:3]
	v_fma_f64 v[12:13], v[44:45], v[0:1], -v[12:13]
	v_fmac_f64_e32 v[2:3], v[46:47], v[0:1]
	s_add_i32 s5, s4, 0x470
	s_waitcnt vmcnt(1)
	v_add_f64 v[0:1], v[40:41], -v[12:13]
	v_add_f64 v[2:3], v[42:43], -v[2:3]
	scratch_store_dwordx4 off, v[0:3], s11
	scratch_load_dwordx4 v[0:3], off, off offset:144
	s_add_i32 s11, s4, 0x420
	scratch_load_dwordx4 v[40:43], off, s48
	s_waitcnt vmcnt(1) lgkmcnt(0)
	v_mul_f64 v[12:13], v[50:51], v[2:3]
	v_mul_f64 v[2:3], v[48:49], v[2:3]
	v_fma_f64 v[12:13], v[48:49], v[0:1], -v[12:13]
	v_fmac_f64_e32 v[2:3], v[50:51], v[0:1]
	v_add_f64 v[0:1], v[52:53], -v[12:13]
	v_add_f64 v[2:3], v[54:55], -v[2:3]
	scratch_store_dwordx4 off, v[0:3], s10
	scratch_load_dwordx4 v[0:3], off, off offset:144
	s_nop 0
	scratch_load_dwordx4 v[44:47], off, s11
	ds_read2_b64 v[48:51], v9 offset0:112 offset1:113
	ds_read2_b64 v[52:55], v9 offset0:114 offset1:115
	s_add_i32 s10, s4, 0x430
	scratch_load_dwordx4 v[56:59], off, s10
	s_waitcnt vmcnt(2) lgkmcnt(1)
	v_mul_f64 v[12:13], v[50:51], v[2:3]
	v_mul_f64 v[2:3], v[48:49], v[2:3]
	v_fma_f64 v[12:13], v[48:49], v[0:1], -v[12:13]
	v_fmac_f64_e32 v[2:3], v[50:51], v[0:1]
	s_waitcnt vmcnt(1)
	v_add_f64 v[0:1], v[44:45], -v[12:13]
	v_add_f64 v[2:3], v[46:47], -v[2:3]
	scratch_store_dwordx4 off, v[0:3], s11
	scratch_load_dwordx4 v[0:3], off, off offset:144
	s_add_i32 s11, s4, 0x440
	s_waitcnt vmcnt(0) lgkmcnt(0)
	v_mul_f64 v[12:13], v[54:55], v[2:3]
	v_mul_f64 v[2:3], v[52:53], v[2:3]
	v_fma_f64 v[12:13], v[52:53], v[0:1], -v[12:13]
	v_fmac_f64_e32 v[2:3], v[54:55], v[0:1]
	v_add_f64 v[0:1], v[56:57], -v[12:13]
	v_add_f64 v[2:3], v[58:59], -v[2:3]
	scratch_store_dwordx4 off, v[0:3], s10
	scratch_load_dwordx4 v[0:3], off, off offset:144
	s_nop 0
	scratch_load_dwordx4 v[44:47], off, s11
	ds_read2_b64 v[48:51], v9 offset0:116 offset1:117
	ds_read2_b64 v[52:55], v9 offset0:118 offset1:119
	s_add_i32 s10, s4, 0x450
	scratch_load_dwordx4 v[56:59], off, s10
	s_waitcnt vmcnt(2) lgkmcnt(1)
	v_mul_f64 v[12:13], v[50:51], v[2:3]
	v_mul_f64 v[2:3], v[48:49], v[2:3]
	v_fma_f64 v[12:13], v[48:49], v[0:1], -v[12:13]
	v_fmac_f64_e32 v[2:3], v[50:51], v[0:1]
	s_waitcnt vmcnt(1)
	v_add_f64 v[0:1], v[44:45], -v[12:13]
	v_add_f64 v[2:3], v[46:47], -v[2:3]
	scratch_store_dwordx4 off, v[0:3], s11
	scratch_load_dwordx4 v[0:3], off, off offset:144
	s_add_i32 s11, s4, 0x460
	s_addk_i32 s4, 0x90
	s_cmp_lg_u32 s4, 0
	s_waitcnt vmcnt(0) lgkmcnt(0)
	v_mul_f64 v[12:13], v[54:55], v[2:3]
	v_mul_f64 v[2:3], v[52:53], v[2:3]
	v_fma_f64 v[12:13], v[52:53], v[0:1], -v[12:13]
	v_fmac_f64_e32 v[2:3], v[54:55], v[0:1]
	v_add_f64 v[0:1], v[56:57], -v[12:13]
	v_add_f64 v[2:3], v[58:59], -v[2:3]
	scratch_store_dwordx4 off, v[0:3], s10
	scratch_load_dwordx4 v[0:3], off, off offset:144
	s_nop 0
	scratch_load_dwordx4 v[44:47], off, s11
	ds_read2_b64 v[48:51], v9 offset0:120 offset1:121
	ds_read2_b64 v[52:55], v9 offset0:122 offset1:123
	scratch_load_dwordx4 v[56:59], off, s5
	s_waitcnt vmcnt(2) lgkmcnt(1)
	v_mul_f64 v[12:13], v[50:51], v[2:3]
	v_mul_f64 v[2:3], v[48:49], v[2:3]
	v_fma_f64 v[12:13], v[48:49], v[0:1], -v[12:13]
	v_fmac_f64_e32 v[2:3], v[50:51], v[0:1]
	s_waitcnt vmcnt(1)
	v_add_f64 v[0:1], v[44:45], -v[12:13]
	v_add_f64 v[2:3], v[46:47], -v[2:3]
	scratch_store_dwordx4 off, v[0:3], s11
	scratch_load_dwordx4 v[0:3], off, off offset:144
	ds_read2_b64 v[44:47], v9 offset0:124 offset1:125
	s_waitcnt vmcnt(0) lgkmcnt(1)
	v_mul_f64 v[12:13], v[54:55], v[2:3]
	v_mul_f64 v[2:3], v[52:53], v[2:3]
	v_fma_f64 v[12:13], v[52:53], v[0:1], -v[12:13]
	v_fmac_f64_e32 v[2:3], v[54:55], v[0:1]
	v_add_f64 v[0:1], v[56:57], -v[12:13]
	v_add_f64 v[2:3], v[58:59], -v[2:3]
	scratch_store_dwordx4 off, v[0:3], s5
	scratch_load_dwordx4 v[0:3], off, off offset:144
	s_waitcnt vmcnt(0) lgkmcnt(0)
	v_mul_f64 v[12:13], v[46:47], v[2:3]
	v_mul_f64 v[14:15], v[44:45], v[2:3]
	v_fma_f64 v[12:13], v[44:45], v[0:1], -v[12:13]
	v_fmac_f64_e32 v[14:15], v[46:47], v[0:1]
	v_add_f64 v[40:41], v[40:41], -v[12:13]
	v_add_f64 v[42:43], v[42:43], -v[14:15]
	scratch_store_dwordx4 off, v[40:43], s48
	s_cbranch_scc1 .LBB127_128
.LBB127_129:
	s_or_b64 exec, exec, s[2:3]
	v_cmp_eq_u32_e32 vcc, 10, v254
	s_waitcnt lgkmcnt(0)
	s_barrier
	s_and_saveexec_b64 s[4:5], vcc
	s_cbranch_execz .LBB127_140
; %bb.130:
	scratch_load_dwordx4 v[0:3], off, s66
	s_mov_b32 s10, 0
	s_waitcnt vmcnt(0)
	ds_write2_b64 v10, v[0:1], v[2:3] offset1:1
	v_add_u32_e32 v0, 0xb0, v11
	s_branch .LBB127_132
.LBB127_131:                            ;   in Loop: Header=BB127_132 Depth=1
	s_andn2_b64 vcc, exec, s[2:3]
	s_cbranch_vccz .LBB127_134
.LBB127_132:                            ; =>This Inner Loop Header: Depth=1
	s_add_i32 s2, s10, 0xb0
	s_add_i32 s3, s10, 0xc0
	scratch_load_dwordx4 v[40:43], off, s2
	scratch_load_dwordx4 v[44:47], off, s3
	s_add_i32 s2, s10, 0xd0
	s_add_i32 s3, s10, 0xe0
	scratch_load_dwordx4 v[48:51], off, s2
	scratch_load_dwordx4 v[52:55], off, s3
	s_add_i32 s2, s10, 0xf0
	scratch_load_dwordx4 v[56:59], off, s2
	s_mov_b32 s11, s10
	v_add_u32_e32 v1, s10, v0
	s_cmpk_eq_i32 s10, 0x300
	s_mov_b64 s[2:3], -1
	s_waitcnt vmcnt(4)
	ds_write2_b64 v1, v[40:41], v[42:43] offset1:1
	s_waitcnt vmcnt(3)
	ds_write2_b64 v1, v[44:45], v[46:47] offset0:2 offset1:3
	s_waitcnt vmcnt(2)
	ds_write2_b64 v1, v[48:49], v[50:51] offset0:4 offset1:5
	;; [unrolled: 2-line block ×4, first 2 shown]
	s_cbranch_scc1 .LBB127_131
; %bb.133:                              ;   in Loop: Header=BB127_132 Depth=1
	s_add_i32 s2, s11, 0x100
	s_add_i32 s3, s11, 0x110
	scratch_load_dwordx4 v[40:43], off, s2
	scratch_load_dwordx4 v[44:47], off, s3
	s_addk_i32 s11, 0x120
	scratch_load_dwordx4 v[48:51], off, s11
	s_addk_i32 s10, 0x80
	s_mov_b64 s[2:3], 0
	s_waitcnt vmcnt(2)
	ds_write2_b64 v1, v[40:41], v[42:43] offset0:10 offset1:11
	s_waitcnt vmcnt(1)
	ds_write2_b64 v1, v[44:45], v[46:47] offset0:12 offset1:13
	;; [unrolled: 2-line block ×3, first 2 shown]
	s_branch .LBB127_131
.LBB127_134:
	ds_read2_b64 v[0:3], v10 offset1:1
	s_waitcnt lgkmcnt(0)
	v_cmp_neq_f64_e32 vcc, 0, v[0:1]
	v_cmp_neq_f64_e64 s[2:3], 0, v[2:3]
	s_or_b64 s[2:3], vcc, s[2:3]
	s_and_b64 exec, exec, s[2:3]
	s_cbranch_execz .LBB127_140
; %bb.135:
	v_cmp_ngt_f64_e64 s[2:3], |v[0:1]|, |v[2:3]|
                                        ; implicit-def: $vgpr34_vgpr35
	s_and_saveexec_b64 s[10:11], s[2:3]
	s_xor_b64 s[2:3], exec, s[10:11]
                                        ; implicit-def: $vgpr8_vgpr9
	s_cbranch_execz .LBB127_137
; %bb.136:
	v_div_scale_f64 v[8:9], s[10:11], v[2:3], v[2:3], v[0:1]
	v_rcp_f64_e32 v[12:13], v[8:9]
	v_div_scale_f64 v[14:15], vcc, v[0:1], v[2:3], v[0:1]
	v_fma_f64 v[34:35], -v[8:9], v[12:13], 1.0
	v_fmac_f64_e32 v[12:13], v[12:13], v[34:35]
	v_fma_f64 v[34:35], -v[8:9], v[12:13], 1.0
	v_fmac_f64_e32 v[12:13], v[12:13], v[34:35]
	v_mul_f64 v[34:35], v[14:15], v[12:13]
	v_fma_f64 v[8:9], -v[8:9], v[34:35], v[14:15]
	v_div_fmas_f64 v[8:9], v[8:9], v[12:13], v[34:35]
	v_div_fixup_f64 v[12:13], v[8:9], v[2:3], v[0:1]
	v_fmac_f64_e32 v[2:3], v[0:1], v[12:13]
	v_div_scale_f64 v[0:1], s[10:11], v[2:3], v[2:3], 1.0
	v_rcp_f64_e32 v[8:9], v[0:1]
	s_nop 0
	v_fma_f64 v[14:15], -v[0:1], v[8:9], 1.0
	v_fmac_f64_e32 v[8:9], v[8:9], v[14:15]
	v_fma_f64 v[14:15], -v[0:1], v[8:9], 1.0
	v_fmac_f64_e32 v[8:9], v[8:9], v[14:15]
	v_div_scale_f64 v[14:15], vcc, 1.0, v[2:3], 1.0
	v_mul_f64 v[34:35], v[14:15], v[8:9]
	v_fma_f64 v[0:1], -v[0:1], v[34:35], v[14:15]
	s_nop 1
	v_div_fmas_f64 v[0:1], v[0:1], v[8:9], v[34:35]
	v_div_fixup_f64 v[8:9], v[0:1], v[2:3], 1.0
	v_mul_f64 v[34:35], v[12:13], v[8:9]
	v_xor_b32_e32 v9, 0x80000000, v9
                                        ; implicit-def: $vgpr0_vgpr1
.LBB127_137:
	s_andn2_saveexec_b64 s[2:3], s[2:3]
	s_cbranch_execz .LBB127_139
; %bb.138:
	v_div_scale_f64 v[8:9], s[10:11], v[0:1], v[0:1], v[2:3]
	v_rcp_f64_e32 v[12:13], v[8:9]
	v_div_scale_f64 v[14:15], vcc, v[2:3], v[0:1], v[2:3]
	v_fma_f64 v[34:35], -v[8:9], v[12:13], 1.0
	v_fmac_f64_e32 v[12:13], v[12:13], v[34:35]
	v_fma_f64 v[34:35], -v[8:9], v[12:13], 1.0
	v_fmac_f64_e32 v[12:13], v[12:13], v[34:35]
	v_mul_f64 v[34:35], v[14:15], v[12:13]
	v_fma_f64 v[8:9], -v[8:9], v[34:35], v[14:15]
	v_div_fmas_f64 v[8:9], v[8:9], v[12:13], v[34:35]
	v_div_fixup_f64 v[8:9], v[8:9], v[0:1], v[2:3]
	v_fmac_f64_e32 v[0:1], v[2:3], v[8:9]
	v_div_scale_f64 v[2:3], s[10:11], v[0:1], v[0:1], 1.0
	v_rcp_f64_e32 v[12:13], v[2:3]
	s_nop 0
	v_fma_f64 v[14:15], -v[2:3], v[12:13], 1.0
	v_fmac_f64_e32 v[12:13], v[12:13], v[14:15]
	v_fma_f64 v[14:15], -v[2:3], v[12:13], 1.0
	v_fmac_f64_e32 v[12:13], v[12:13], v[14:15]
	v_div_scale_f64 v[14:15], vcc, 1.0, v[0:1], 1.0
	v_mul_f64 v[34:35], v[14:15], v[12:13]
	v_fma_f64 v[2:3], -v[2:3], v[34:35], v[14:15]
	s_nop 1
	v_div_fmas_f64 v[2:3], v[2:3], v[12:13], v[34:35]
	v_div_fixup_f64 v[34:35], v[2:3], v[0:1], 1.0
	v_mul_f64 v[8:9], v[8:9], -v[34:35]
.LBB127_139:
	s_or_b64 exec, exec, s[2:3]
	ds_write2_b64 v10, v[34:35], v[8:9] offset1:1
.LBB127_140:
	s_or_b64 exec, exec, s[4:5]
	s_waitcnt lgkmcnt(0)
	s_barrier
	ds_read2_b64 v[40:43], v10 offset1:1
	v_cmp_lt_u32_e32 vcc, 10, v254
	s_and_saveexec_b64 s[2:3], vcc
	s_cbranch_execz .LBB127_145
; %bb.141:
	scratch_load_dwordx4 v[44:47], off, off offset:160
	s_mov_b32 s10, 0
	v_add_u32_e32 v8, 0xb0, v11
	s_waitcnt vmcnt(0) lgkmcnt(0)
	v_mul_f64 v[0:1], v[42:43], v[46:47]
	v_mul_f64 v[2:3], v[40:41], v[46:47]
	v_fma_f64 v[0:1], v[40:41], v[44:45], -v[0:1]
	v_fmac_f64_e32 v[2:3], v[42:43], v[44:45]
	scratch_store_dwordx4 off, v[0:3], off offset:160
	s_branch .LBB127_143
.LBB127_142:                            ;   in Loop: Header=BB127_143 Depth=1
	s_andn2_b64 vcc, exec, s[4:5]
	s_cbranch_vccz .LBB127_145
.LBB127_143:                            ; =>This Inner Loop Header: Depth=1
	s_add_i32 s4, s10, 0xb0
	scratch_load_dwordx4 v[44:47], off, s4
	s_add_i32 s5, s10, 0xc0
	s_add_i32 s48, s10, 0xd0
	;; [unrolled: 1-line block ×4, first 2 shown]
	scratch_load_dwordx4 v[48:51], off, s5
	scratch_load_dwordx4 v[52:55], off, s48
	;; [unrolled: 1-line block ×4, first 2 shown]
	v_add_u32_e32 v9, s10, v8
	ds_read2_b64 v[64:67], v9 offset1:1
	ds_read2_b64 v[68:71], v9 offset0:2 offset1:3
	ds_read2_b64 v[72:75], v9 offset0:4 offset1:5
	ds_read2_b64 v[76:79], v9 offset0:6 offset1:7
	ds_read2_b64 v[80:83], v9 offset0:8 offset1:9
	s_waitcnt lgkmcnt(4)
	v_mul_f64 v[12:13], v[66:67], v[2:3]
	v_mul_f64 v[14:15], v[64:65], v[2:3]
	s_waitcnt lgkmcnt(3)
	v_mul_f64 v[34:35], v[70:71], v[2:3]
	v_mul_f64 v[84:85], v[68:69], v[2:3]
	;; [unrolled: 3-line block ×5, first 2 shown]
	v_fma_f64 v[12:13], v[64:65], v[0:1], -v[12:13]
	v_fmac_f64_e32 v[14:15], v[66:67], v[0:1]
	v_fma_f64 v[34:35], v[68:69], v[0:1], -v[34:35]
	v_fmac_f64_e32 v[84:85], v[70:71], v[0:1]
	;; [unrolled: 2-line block ×5, first 2 shown]
	s_mov_b32 s11, s10
	s_cmpk_eq_i32 s10, 0x300
	s_waitcnt vmcnt(4)
	v_add_f64 v[44:45], v[44:45], -v[12:13]
	v_add_f64 v[46:47], v[46:47], -v[14:15]
	s_waitcnt vmcnt(3)
	v_add_f64 v[48:49], v[48:49], -v[34:35]
	v_add_f64 v[50:51], v[50:51], -v[84:85]
	;; [unrolled: 3-line block ×5, first 2 shown]
	scratch_store_dwordx4 off, v[44:47], s4
	scratch_store_dwordx4 off, v[48:51], s5
	;; [unrolled: 1-line block ×5, first 2 shown]
	s_mov_b64 s[4:5], -1
	s_cbranch_scc1 .LBB127_142
; %bb.144:                              ;   in Loop: Header=BB127_143 Depth=1
	s_add_i32 s4, s11, 0x100
	scratch_load_dwordx4 v[44:47], off, s4
	s_add_i32 s5, s11, 0x110
	s_addk_i32 s11, 0x120
	scratch_load_dwordx4 v[48:51], off, s5
	scratch_load_dwordx4 v[52:55], off, s11
	ds_read2_b64 v[56:59], v9 offset0:10 offset1:11
	ds_read2_b64 v[60:63], v9 offset0:12 offset1:13
	;; [unrolled: 1-line block ×3, first 2 shown]
	s_addk_i32 s10, 0x80
	s_waitcnt lgkmcnt(2)
	v_mul_f64 v[12:13], v[58:59], v[2:3]
	v_mul_f64 v[14:15], v[56:57], v[2:3]
	s_waitcnt lgkmcnt(1)
	v_mul_f64 v[34:35], v[62:63], v[2:3]
	v_mul_f64 v[68:69], v[60:61], v[2:3]
	;; [unrolled: 3-line block ×3, first 2 shown]
	v_fma_f64 v[12:13], v[56:57], v[0:1], -v[12:13]
	v_fmac_f64_e32 v[14:15], v[58:59], v[0:1]
	v_fma_f64 v[34:35], v[60:61], v[0:1], -v[34:35]
	v_fmac_f64_e32 v[68:69], v[62:63], v[0:1]
	;; [unrolled: 2-line block ×3, first 2 shown]
	s_waitcnt vmcnt(2)
	v_add_f64 v[44:45], v[44:45], -v[12:13]
	v_add_f64 v[46:47], v[46:47], -v[14:15]
	s_waitcnt vmcnt(1)
	v_add_f64 v[48:49], v[48:49], -v[34:35]
	v_add_f64 v[50:51], v[50:51], -v[68:69]
	;; [unrolled: 3-line block ×3, first 2 shown]
	scratch_store_dwordx4 off, v[44:47], s4
	scratch_store_dwordx4 off, v[48:51], s5
	;; [unrolled: 1-line block ×3, first 2 shown]
	s_mov_b64 s[4:5], 0
	s_branch .LBB127_142
.LBB127_145:
	s_or_b64 exec, exec, s[2:3]
	v_cmp_eq_u32_e32 vcc, 11, v254
	s_waitcnt lgkmcnt(0)
	s_barrier
	s_and_saveexec_b64 s[4:5], vcc
	s_cbranch_execz .LBB127_154
; %bb.146:
	scratch_load_dwordx4 v[44:47], off, s65
	v_add_u32_e32 v0, 0xc0, v11
	s_movk_i32 s2, 0xfcc0
	s_waitcnt vmcnt(0)
	ds_write2_b64 v10, v[44:45], v[46:47] offset1:1
.LBB127_147:                            ; =>This Inner Loop Header: Depth=1
	s_add_i32 s10, s2, 0x400
	s_add_i32 s11, s2, 0x410
	;; [unrolled: 1-line block ×13, first 2 shown]
	scratch_load_dwordx4 v[44:47], off, s10
	scratch_load_dwordx4 v[48:51], off, s11
	;; [unrolled: 1-line block ×13, first 2 shown]
	v_add_u32_e32 v1, s2, v0
	s_addk_i32 s2, 0xd0
	s_cmp_lg_u32 s2, 0
	s_waitcnt vmcnt(12)
	ds_write2_b64 v1, v[44:45], v[46:47] offset0:104 offset1:105
	s_waitcnt vmcnt(11)
	ds_write2_b64 v1, v[48:49], v[50:51] offset0:106 offset1:107
	;; [unrolled: 2-line block ×13, first 2 shown]
	s_cbranch_scc1 .LBB127_147
; %bb.148:
	ds_read2_b64 v[0:3], v10 offset1:1
	s_waitcnt lgkmcnt(0)
	v_cmp_neq_f64_e32 vcc, 0, v[0:1]
	v_cmp_neq_f64_e64 s[2:3], 0, v[2:3]
	s_or_b64 s[2:3], vcc, s[2:3]
	s_and_b64 exec, exec, s[2:3]
	s_cbranch_execz .LBB127_154
; %bb.149:
	v_cmp_ngt_f64_e64 s[2:3], |v[0:1]|, |v[2:3]|
                                        ; implicit-def: $vgpr34_vgpr35
	s_and_saveexec_b64 s[10:11], s[2:3]
	s_xor_b64 s[2:3], exec, s[10:11]
                                        ; implicit-def: $vgpr8_vgpr9
	s_cbranch_execz .LBB127_151
; %bb.150:
	v_div_scale_f64 v[8:9], s[10:11], v[2:3], v[2:3], v[0:1]
	v_rcp_f64_e32 v[12:13], v[8:9]
	v_div_scale_f64 v[14:15], vcc, v[0:1], v[2:3], v[0:1]
	v_fma_f64 v[34:35], -v[8:9], v[12:13], 1.0
	v_fmac_f64_e32 v[12:13], v[12:13], v[34:35]
	v_fma_f64 v[34:35], -v[8:9], v[12:13], 1.0
	v_fmac_f64_e32 v[12:13], v[12:13], v[34:35]
	v_mul_f64 v[34:35], v[14:15], v[12:13]
	v_fma_f64 v[8:9], -v[8:9], v[34:35], v[14:15]
	v_div_fmas_f64 v[8:9], v[8:9], v[12:13], v[34:35]
	v_div_fixup_f64 v[12:13], v[8:9], v[2:3], v[0:1]
	v_fmac_f64_e32 v[2:3], v[0:1], v[12:13]
	v_div_scale_f64 v[0:1], s[10:11], v[2:3], v[2:3], 1.0
	v_rcp_f64_e32 v[8:9], v[0:1]
	s_nop 0
	v_fma_f64 v[14:15], -v[0:1], v[8:9], 1.0
	v_fmac_f64_e32 v[8:9], v[8:9], v[14:15]
	v_fma_f64 v[14:15], -v[0:1], v[8:9], 1.0
	v_fmac_f64_e32 v[8:9], v[8:9], v[14:15]
	v_div_scale_f64 v[14:15], vcc, 1.0, v[2:3], 1.0
	v_mul_f64 v[34:35], v[14:15], v[8:9]
	v_fma_f64 v[0:1], -v[0:1], v[34:35], v[14:15]
	s_nop 1
	v_div_fmas_f64 v[0:1], v[0:1], v[8:9], v[34:35]
	v_div_fixup_f64 v[8:9], v[0:1], v[2:3], 1.0
	v_mul_f64 v[34:35], v[12:13], v[8:9]
	v_xor_b32_e32 v9, 0x80000000, v9
                                        ; implicit-def: $vgpr0_vgpr1
.LBB127_151:
	s_andn2_saveexec_b64 s[2:3], s[2:3]
	s_cbranch_execz .LBB127_153
; %bb.152:
	v_div_scale_f64 v[8:9], s[10:11], v[0:1], v[0:1], v[2:3]
	v_rcp_f64_e32 v[12:13], v[8:9]
	v_div_scale_f64 v[14:15], vcc, v[2:3], v[0:1], v[2:3]
	v_fma_f64 v[34:35], -v[8:9], v[12:13], 1.0
	v_fmac_f64_e32 v[12:13], v[12:13], v[34:35]
	v_fma_f64 v[34:35], -v[8:9], v[12:13], 1.0
	v_fmac_f64_e32 v[12:13], v[12:13], v[34:35]
	v_mul_f64 v[34:35], v[14:15], v[12:13]
	v_fma_f64 v[8:9], -v[8:9], v[34:35], v[14:15]
	v_div_fmas_f64 v[8:9], v[8:9], v[12:13], v[34:35]
	v_div_fixup_f64 v[8:9], v[8:9], v[0:1], v[2:3]
	v_fmac_f64_e32 v[0:1], v[2:3], v[8:9]
	v_div_scale_f64 v[2:3], s[10:11], v[0:1], v[0:1], 1.0
	v_rcp_f64_e32 v[12:13], v[2:3]
	s_nop 0
	v_fma_f64 v[14:15], -v[2:3], v[12:13], 1.0
	v_fmac_f64_e32 v[12:13], v[12:13], v[14:15]
	v_fma_f64 v[14:15], -v[2:3], v[12:13], 1.0
	v_fmac_f64_e32 v[12:13], v[12:13], v[14:15]
	v_div_scale_f64 v[14:15], vcc, 1.0, v[0:1], 1.0
	v_mul_f64 v[34:35], v[14:15], v[12:13]
	v_fma_f64 v[2:3], -v[2:3], v[34:35], v[14:15]
	s_nop 1
	v_div_fmas_f64 v[2:3], v[2:3], v[12:13], v[34:35]
	v_div_fixup_f64 v[34:35], v[2:3], v[0:1], 1.0
	v_mul_f64 v[8:9], v[8:9], -v[34:35]
.LBB127_153:
	s_or_b64 exec, exec, s[2:3]
	ds_write2_b64 v10, v[34:35], v[8:9] offset1:1
.LBB127_154:
	s_or_b64 exec, exec, s[4:5]
	s_waitcnt lgkmcnt(0)
	s_barrier
	ds_read2_b64 v[44:47], v10 offset1:1
	v_cmp_lt_u32_e32 vcc, 11, v254
	s_and_saveexec_b64 s[2:3], vcc
	s_cbranch_execz .LBB127_157
; %bb.155:
	scratch_load_dwordx4 v[48:51], off, off offset:176
	v_add_u32_e32 v0, 0xc0, v11
	s_movk_i32 s4, 0xfcc0
	s_waitcnt vmcnt(0) lgkmcnt(0)
	v_mul_f64 v[2:3], v[46:47], v[50:51]
	v_mul_f64 v[52:53], v[44:45], v[50:51]
	v_fma_f64 v[50:51], v[44:45], v[48:49], -v[2:3]
	v_fmac_f64_e32 v[52:53], v[46:47], v[48:49]
	scratch_store_dwordx4 off, v[50:53], off offset:176
.LBB127_156:                            ; =>This Inner Loop Header: Depth=1
	scratch_load_dwordx4 v[48:51], off, off offset:176
	s_add_i32 s10, s4, 0x400
	scratch_load_dwordx4 v[52:55], off, s10
	v_add_u32_e32 v1, s4, v0
	ds_read2_b64 v[56:59], v1 offset0:104 offset1:105
	ds_read2_b64 v[60:63], v1 offset0:106 offset1:107
	s_add_i32 s11, s4, 0x410
	scratch_load_dwordx4 v[64:67], off, s11
	s_add_i32 s5, s4, 0x430
	s_waitcnt vmcnt(2) lgkmcnt(1)
	v_mul_f64 v[2:3], v[58:59], v[50:51]
	v_mul_f64 v[8:9], v[56:57], v[50:51]
	v_fma_f64 v[2:3], v[56:57], v[48:49], -v[2:3]
	v_fmac_f64_e32 v[8:9], v[58:59], v[48:49]
	s_waitcnt vmcnt(1)
	v_add_f64 v[48:49], v[52:53], -v[2:3]
	v_add_f64 v[50:51], v[54:55], -v[8:9]
	scratch_store_dwordx4 off, v[48:51], s10
	scratch_load_dwordx4 v[48:51], off, off offset:176
	s_add_i32 s10, s4, 0x420
	s_add_i32 s4, s4, 64
	s_cmp_lg_u32 s4, 0
	s_waitcnt vmcnt(0) lgkmcnt(0)
	v_mul_f64 v[2:3], v[62:63], v[50:51]
	v_mul_f64 v[8:9], v[60:61], v[50:51]
	v_fma_f64 v[2:3], v[60:61], v[48:49], -v[2:3]
	v_fmac_f64_e32 v[8:9], v[62:63], v[48:49]
	v_add_f64 v[48:49], v[64:65], -v[2:3]
	v_add_f64 v[50:51], v[66:67], -v[8:9]
	scratch_store_dwordx4 off, v[48:51], s11
	scratch_load_dwordx4 v[48:51], off, off offset:176
	s_nop 0
	scratch_load_dwordx4 v[52:55], off, s10
	ds_read2_b64 v[56:59], v1 offset0:108 offset1:109
	ds_read2_b64 v[60:63], v1 offset0:110 offset1:111
	scratch_load_dwordx4 v[64:67], off, s5
	s_waitcnt vmcnt(2) lgkmcnt(1)
	v_mul_f64 v[2:3], v[58:59], v[50:51]
	v_mul_f64 v[8:9], v[56:57], v[50:51]
	v_fma_f64 v[2:3], v[56:57], v[48:49], -v[2:3]
	v_fmac_f64_e32 v[8:9], v[58:59], v[48:49]
	s_waitcnt vmcnt(1)
	v_add_f64 v[48:49], v[52:53], -v[2:3]
	v_add_f64 v[50:51], v[54:55], -v[8:9]
	scratch_store_dwordx4 off, v[48:51], s10
	scratch_load_dwordx4 v[48:51], off, off offset:176
	s_waitcnt vmcnt(0) lgkmcnt(0)
	v_mul_f64 v[2:3], v[62:63], v[50:51]
	v_mul_f64 v[8:9], v[60:61], v[50:51]
	v_fma_f64 v[2:3], v[60:61], v[48:49], -v[2:3]
	v_fmac_f64_e32 v[8:9], v[62:63], v[48:49]
	v_add_f64 v[48:49], v[64:65], -v[2:3]
	v_add_f64 v[50:51], v[66:67], -v[8:9]
	scratch_store_dwordx4 off, v[48:51], s5
	s_cbranch_scc1 .LBB127_156
.LBB127_157:
	s_or_b64 exec, exec, s[2:3]
	v_cmp_eq_u32_e32 vcc, 12, v254
	s_waitcnt lgkmcnt(0)
	s_barrier
	s_and_saveexec_b64 s[4:5], vcc
	s_cbranch_execz .LBB127_166
; %bb.158:
	scratch_load_dwordx4 v[48:51], off, s64
	v_add_u32_e32 v0, 0xd0, v11
	s_movk_i32 s2, 0xfcd0
	s_waitcnt vmcnt(0)
	ds_write2_b64 v10, v[48:49], v[50:51] offset1:1
.LBB127_159:                            ; =>This Inner Loop Header: Depth=1
	s_add_i32 s10, s2, 0x400
	s_add_i32 s11, s2, 0x410
	;; [unrolled: 1-line block ×17, first 2 shown]
	scratch_load_dwordx4 v[48:51], off, s10
	scratch_load_dwordx4 v[52:55], off, s11
	;; [unrolled: 1-line block ×17, first 2 shown]
	v_add_u32_e32 v1, s2, v0
	s_addk_i32 s2, 0x110
	s_cmp_lg_u32 s2, 0
	s_waitcnt vmcnt(16)
	ds_write2_b64 v1, v[48:49], v[50:51] offset0:102 offset1:103
	s_waitcnt vmcnt(15)
	ds_write2_b64 v1, v[52:53], v[54:55] offset0:104 offset1:105
	;; [unrolled: 2-line block ×17, first 2 shown]
	s_cbranch_scc1 .LBB127_159
; %bb.160:
	ds_read2_b64 v[0:3], v10 offset1:1
	s_waitcnt lgkmcnt(0)
	v_cmp_neq_f64_e32 vcc, 0, v[0:1]
	v_cmp_neq_f64_e64 s[2:3], 0, v[2:3]
	s_or_b64 s[2:3], vcc, s[2:3]
	s_and_b64 exec, exec, s[2:3]
	s_cbranch_execz .LBB127_166
; %bb.161:
	v_cmp_ngt_f64_e64 s[2:3], |v[0:1]|, |v[2:3]|
                                        ; implicit-def: $vgpr34_vgpr35
	s_and_saveexec_b64 s[10:11], s[2:3]
	s_xor_b64 s[2:3], exec, s[10:11]
                                        ; implicit-def: $vgpr8_vgpr9
	s_cbranch_execz .LBB127_163
; %bb.162:
	v_div_scale_f64 v[8:9], s[10:11], v[2:3], v[2:3], v[0:1]
	v_rcp_f64_e32 v[12:13], v[8:9]
	v_div_scale_f64 v[14:15], vcc, v[0:1], v[2:3], v[0:1]
	v_fma_f64 v[34:35], -v[8:9], v[12:13], 1.0
	v_fmac_f64_e32 v[12:13], v[12:13], v[34:35]
	v_fma_f64 v[34:35], -v[8:9], v[12:13], 1.0
	v_fmac_f64_e32 v[12:13], v[12:13], v[34:35]
	v_mul_f64 v[34:35], v[14:15], v[12:13]
	v_fma_f64 v[8:9], -v[8:9], v[34:35], v[14:15]
	v_div_fmas_f64 v[8:9], v[8:9], v[12:13], v[34:35]
	v_div_fixup_f64 v[12:13], v[8:9], v[2:3], v[0:1]
	v_fmac_f64_e32 v[2:3], v[0:1], v[12:13]
	v_div_scale_f64 v[0:1], s[10:11], v[2:3], v[2:3], 1.0
	v_rcp_f64_e32 v[8:9], v[0:1]
	s_nop 0
	v_fma_f64 v[14:15], -v[0:1], v[8:9], 1.0
	v_fmac_f64_e32 v[8:9], v[8:9], v[14:15]
	v_fma_f64 v[14:15], -v[0:1], v[8:9], 1.0
	v_fmac_f64_e32 v[8:9], v[8:9], v[14:15]
	v_div_scale_f64 v[14:15], vcc, 1.0, v[2:3], 1.0
	v_mul_f64 v[34:35], v[14:15], v[8:9]
	v_fma_f64 v[0:1], -v[0:1], v[34:35], v[14:15]
	s_nop 1
	v_div_fmas_f64 v[0:1], v[0:1], v[8:9], v[34:35]
	v_div_fixup_f64 v[8:9], v[0:1], v[2:3], 1.0
	v_mul_f64 v[34:35], v[12:13], v[8:9]
	v_xor_b32_e32 v9, 0x80000000, v9
                                        ; implicit-def: $vgpr0_vgpr1
.LBB127_163:
	s_andn2_saveexec_b64 s[2:3], s[2:3]
	s_cbranch_execz .LBB127_165
; %bb.164:
	v_div_scale_f64 v[8:9], s[10:11], v[0:1], v[0:1], v[2:3]
	v_rcp_f64_e32 v[12:13], v[8:9]
	v_div_scale_f64 v[14:15], vcc, v[2:3], v[0:1], v[2:3]
	v_fma_f64 v[34:35], -v[8:9], v[12:13], 1.0
	v_fmac_f64_e32 v[12:13], v[12:13], v[34:35]
	v_fma_f64 v[34:35], -v[8:9], v[12:13], 1.0
	v_fmac_f64_e32 v[12:13], v[12:13], v[34:35]
	v_mul_f64 v[34:35], v[14:15], v[12:13]
	v_fma_f64 v[8:9], -v[8:9], v[34:35], v[14:15]
	v_div_fmas_f64 v[8:9], v[8:9], v[12:13], v[34:35]
	v_div_fixup_f64 v[8:9], v[8:9], v[0:1], v[2:3]
	v_fmac_f64_e32 v[0:1], v[2:3], v[8:9]
	v_div_scale_f64 v[2:3], s[10:11], v[0:1], v[0:1], 1.0
	v_rcp_f64_e32 v[12:13], v[2:3]
	s_nop 0
	v_fma_f64 v[14:15], -v[2:3], v[12:13], 1.0
	v_fmac_f64_e32 v[12:13], v[12:13], v[14:15]
	v_fma_f64 v[14:15], -v[2:3], v[12:13], 1.0
	v_fmac_f64_e32 v[12:13], v[12:13], v[14:15]
	v_div_scale_f64 v[14:15], vcc, 1.0, v[0:1], 1.0
	v_mul_f64 v[34:35], v[14:15], v[12:13]
	v_fma_f64 v[2:3], -v[2:3], v[34:35], v[14:15]
	s_nop 1
	v_div_fmas_f64 v[2:3], v[2:3], v[12:13], v[34:35]
	v_div_fixup_f64 v[34:35], v[2:3], v[0:1], 1.0
	v_mul_f64 v[8:9], v[8:9], -v[34:35]
.LBB127_165:
	s_or_b64 exec, exec, s[2:3]
	ds_write2_b64 v10, v[34:35], v[8:9] offset1:1
.LBB127_166:
	s_or_b64 exec, exec, s[4:5]
	s_waitcnt lgkmcnt(0)
	s_barrier
	ds_read2_b64 v[48:51], v10 offset1:1
	v_cmp_lt_u32_e32 vcc, 12, v254
	s_and_saveexec_b64 s[2:3], vcc
	s_cbranch_execz .LBB127_169
; %bb.167:
	scratch_load_dwordx4 v[52:55], off, off offset:192
	v_add_u32_e32 v0, 0xd0, v11
	s_movk_i32 s4, 0xfcd0
	s_waitcnt vmcnt(0) lgkmcnt(0)
	v_mul_f64 v[2:3], v[50:51], v[54:55]
	v_mul_f64 v[56:57], v[48:49], v[54:55]
	v_fma_f64 v[54:55], v[48:49], v[52:53], -v[2:3]
	v_fmac_f64_e32 v[56:57], v[50:51], v[52:53]
	scratch_store_dwordx4 off, v[54:57], off offset:192
.LBB127_168:                            ; =>This Inner Loop Header: Depth=1
	scratch_load_dwordx4 v[52:55], off, off offset:192
	s_add_i32 s10, s4, 0x400
	scratch_load_dwordx4 v[56:59], off, s10
	v_add_u32_e32 v1, s4, v0
	ds_read2_b64 v[60:63], v1 offset0:102 offset1:103
	ds_read2_b64 v[64:67], v1 offset0:104 offset1:105
	s_add_i32 s11, s4, 0x410
	s_add_i32 s5, s4, 0x420
	scratch_load_dwordx4 v[68:71], off, s11
	scratch_load_dwordx4 v[72:75], off, s5
	s_add_i32 s4, s4, 48
	s_cmp_lg_u32 s4, 0
	s_waitcnt vmcnt(3) lgkmcnt(1)
	v_mul_f64 v[2:3], v[62:63], v[54:55]
	v_mul_f64 v[8:9], v[60:61], v[54:55]
	v_fma_f64 v[2:3], v[60:61], v[52:53], -v[2:3]
	v_fmac_f64_e32 v[8:9], v[62:63], v[52:53]
	s_waitcnt vmcnt(2)
	v_add_f64 v[52:53], v[56:57], -v[2:3]
	v_add_f64 v[54:55], v[58:59], -v[8:9]
	scratch_store_dwordx4 off, v[52:55], s10
	scratch_load_dwordx4 v[52:55], off, off offset:192
	ds_read2_b64 v[56:59], v1 offset0:106 offset1:107
	s_waitcnt vmcnt(0) lgkmcnt(1)
	v_mul_f64 v[2:3], v[66:67], v[54:55]
	v_mul_f64 v[8:9], v[64:65], v[54:55]
	v_fma_f64 v[2:3], v[64:65], v[52:53], -v[2:3]
	v_fmac_f64_e32 v[8:9], v[66:67], v[52:53]
	v_add_f64 v[52:53], v[68:69], -v[2:3]
	v_add_f64 v[54:55], v[70:71], -v[8:9]
	scratch_store_dwordx4 off, v[52:55], s11
	scratch_load_dwordx4 v[52:55], off, off offset:192
	s_waitcnt vmcnt(0) lgkmcnt(0)
	v_mul_f64 v[2:3], v[58:59], v[54:55]
	v_mul_f64 v[8:9], v[56:57], v[54:55]
	v_fma_f64 v[2:3], v[56:57], v[52:53], -v[2:3]
	v_fmac_f64_e32 v[8:9], v[58:59], v[52:53]
	v_add_f64 v[52:53], v[72:73], -v[2:3]
	v_add_f64 v[54:55], v[74:75], -v[8:9]
	scratch_store_dwordx4 off, v[52:55], s5
	s_cbranch_scc1 .LBB127_168
.LBB127_169:
	s_or_b64 exec, exec, s[2:3]
	v_cmp_eq_u32_e32 vcc, 13, v254
	s_waitcnt lgkmcnt(0)
	s_barrier
	s_and_saveexec_b64 s[4:5], vcc
	s_cbranch_execz .LBB127_178
; %bb.170:
	scratch_load_dwordx4 v[52:55], off, s63
	v_add_u32_e32 v0, 0xe0, v11
	s_movk_i32 s2, 0xfce0
	s_waitcnt vmcnt(0)
	ds_write2_b64 v10, v[52:53], v[54:55] offset1:1
.LBB127_171:                            ; =>This Inner Loop Header: Depth=1
	s_add_i32 s10, s2, 0x400
	s_add_i32 s11, s2, 0x410
	;; [unrolled: 1-line block ×10, first 2 shown]
	scratch_load_dwordx4 v[52:55], off, s10
	scratch_load_dwordx4 v[56:59], off, s11
	;; [unrolled: 1-line block ×10, first 2 shown]
	v_add_u32_e32 v1, s2, v0
	s_addk_i32 s2, 0xa0
	s_cmp_lg_u32 s2, 0
	s_waitcnt vmcnt(9)
	ds_write2_b64 v1, v[52:53], v[54:55] offset0:100 offset1:101
	s_waitcnt vmcnt(8)
	ds_write2_b64 v1, v[56:57], v[58:59] offset0:102 offset1:103
	s_waitcnt vmcnt(7)
	ds_write2_b64 v1, v[60:61], v[62:63] offset0:104 offset1:105
	s_waitcnt vmcnt(6)
	ds_write2_b64 v1, v[64:65], v[66:67] offset0:106 offset1:107
	s_waitcnt vmcnt(5)
	ds_write2_b64 v1, v[68:69], v[70:71] offset0:108 offset1:109
	s_waitcnt vmcnt(4)
	ds_write2_b64 v1, v[72:73], v[74:75] offset0:110 offset1:111
	s_waitcnt vmcnt(3)
	ds_write2_b64 v1, v[76:77], v[78:79] offset0:112 offset1:113
	s_waitcnt vmcnt(2)
	ds_write2_b64 v1, v[80:81], v[82:83] offset0:114 offset1:115
	s_waitcnt vmcnt(1)
	ds_write2_b64 v1, v[84:85], v[86:87] offset0:116 offset1:117
	s_waitcnt vmcnt(0)
	ds_write2_b64 v1, v[88:89], v[90:91] offset0:118 offset1:119
	s_cbranch_scc1 .LBB127_171
; %bb.172:
	ds_read2_b64 v[0:3], v10 offset1:1
	s_waitcnt lgkmcnt(0)
	v_cmp_neq_f64_e32 vcc, 0, v[0:1]
	v_cmp_neq_f64_e64 s[2:3], 0, v[2:3]
	s_or_b64 s[2:3], vcc, s[2:3]
	s_and_b64 exec, exec, s[2:3]
	s_cbranch_execz .LBB127_178
; %bb.173:
	v_cmp_ngt_f64_e64 s[2:3], |v[0:1]|, |v[2:3]|
                                        ; implicit-def: $vgpr34_vgpr35
	s_and_saveexec_b64 s[10:11], s[2:3]
	s_xor_b64 s[2:3], exec, s[10:11]
                                        ; implicit-def: $vgpr8_vgpr9
	s_cbranch_execz .LBB127_175
; %bb.174:
	v_div_scale_f64 v[8:9], s[10:11], v[2:3], v[2:3], v[0:1]
	v_rcp_f64_e32 v[12:13], v[8:9]
	v_div_scale_f64 v[14:15], vcc, v[0:1], v[2:3], v[0:1]
	v_fma_f64 v[34:35], -v[8:9], v[12:13], 1.0
	v_fmac_f64_e32 v[12:13], v[12:13], v[34:35]
	v_fma_f64 v[34:35], -v[8:9], v[12:13], 1.0
	v_fmac_f64_e32 v[12:13], v[12:13], v[34:35]
	v_mul_f64 v[34:35], v[14:15], v[12:13]
	v_fma_f64 v[8:9], -v[8:9], v[34:35], v[14:15]
	v_div_fmas_f64 v[8:9], v[8:9], v[12:13], v[34:35]
	v_div_fixup_f64 v[12:13], v[8:9], v[2:3], v[0:1]
	v_fmac_f64_e32 v[2:3], v[0:1], v[12:13]
	v_div_scale_f64 v[0:1], s[10:11], v[2:3], v[2:3], 1.0
	v_rcp_f64_e32 v[8:9], v[0:1]
	s_nop 0
	v_fma_f64 v[14:15], -v[0:1], v[8:9], 1.0
	v_fmac_f64_e32 v[8:9], v[8:9], v[14:15]
	v_fma_f64 v[14:15], -v[0:1], v[8:9], 1.0
	v_fmac_f64_e32 v[8:9], v[8:9], v[14:15]
	v_div_scale_f64 v[14:15], vcc, 1.0, v[2:3], 1.0
	v_mul_f64 v[34:35], v[14:15], v[8:9]
	v_fma_f64 v[0:1], -v[0:1], v[34:35], v[14:15]
	s_nop 1
	v_div_fmas_f64 v[0:1], v[0:1], v[8:9], v[34:35]
	v_div_fixup_f64 v[8:9], v[0:1], v[2:3], 1.0
	v_mul_f64 v[34:35], v[12:13], v[8:9]
	v_xor_b32_e32 v9, 0x80000000, v9
                                        ; implicit-def: $vgpr0_vgpr1
.LBB127_175:
	s_andn2_saveexec_b64 s[2:3], s[2:3]
	s_cbranch_execz .LBB127_177
; %bb.176:
	v_div_scale_f64 v[8:9], s[10:11], v[0:1], v[0:1], v[2:3]
	v_rcp_f64_e32 v[12:13], v[8:9]
	v_div_scale_f64 v[14:15], vcc, v[2:3], v[0:1], v[2:3]
	v_fma_f64 v[34:35], -v[8:9], v[12:13], 1.0
	v_fmac_f64_e32 v[12:13], v[12:13], v[34:35]
	v_fma_f64 v[34:35], -v[8:9], v[12:13], 1.0
	v_fmac_f64_e32 v[12:13], v[12:13], v[34:35]
	v_mul_f64 v[34:35], v[14:15], v[12:13]
	v_fma_f64 v[8:9], -v[8:9], v[34:35], v[14:15]
	v_div_fmas_f64 v[8:9], v[8:9], v[12:13], v[34:35]
	v_div_fixup_f64 v[8:9], v[8:9], v[0:1], v[2:3]
	v_fmac_f64_e32 v[0:1], v[2:3], v[8:9]
	v_div_scale_f64 v[2:3], s[10:11], v[0:1], v[0:1], 1.0
	v_rcp_f64_e32 v[12:13], v[2:3]
	s_nop 0
	v_fma_f64 v[14:15], -v[2:3], v[12:13], 1.0
	v_fmac_f64_e32 v[12:13], v[12:13], v[14:15]
	v_fma_f64 v[14:15], -v[2:3], v[12:13], 1.0
	v_fmac_f64_e32 v[12:13], v[12:13], v[14:15]
	v_div_scale_f64 v[14:15], vcc, 1.0, v[0:1], 1.0
	v_mul_f64 v[34:35], v[14:15], v[12:13]
	v_fma_f64 v[2:3], -v[2:3], v[34:35], v[14:15]
	s_nop 1
	v_div_fmas_f64 v[2:3], v[2:3], v[12:13], v[34:35]
	v_div_fixup_f64 v[34:35], v[2:3], v[0:1], 1.0
	v_mul_f64 v[8:9], v[8:9], -v[34:35]
.LBB127_177:
	s_or_b64 exec, exec, s[2:3]
	ds_write2_b64 v10, v[34:35], v[8:9] offset1:1
.LBB127_178:
	s_or_b64 exec, exec, s[4:5]
	s_waitcnt lgkmcnt(0)
	s_barrier
	ds_read2_b64 v[52:55], v10 offset1:1
	v_cmp_lt_u32_e32 vcc, 13, v254
	s_and_saveexec_b64 s[2:3], vcc
	s_cbranch_execz .LBB127_181
; %bb.179:
	scratch_load_dwordx4 v[56:59], off, off offset:208
	v_add_u32_e32 v0, 0xe0, v11
	s_movk_i32 s4, 0xfce0
	s_waitcnt vmcnt(0) lgkmcnt(0)
	v_mul_f64 v[2:3], v[54:55], v[58:59]
	v_mul_f64 v[60:61], v[52:53], v[58:59]
	v_fma_f64 v[58:59], v[52:53], v[56:57], -v[2:3]
	v_fmac_f64_e32 v[60:61], v[54:55], v[56:57]
	scratch_store_dwordx4 off, v[58:61], off offset:208
.LBB127_180:                            ; =>This Inner Loop Header: Depth=1
	scratch_load_dwordx4 v[56:59], off, off offset:208
	s_add_i32 s10, s4, 0x400
	scratch_load_dwordx4 v[60:63], off, s10
	v_add_u32_e32 v1, s4, v0
	ds_read2_b64 v[64:67], v1 offset0:100 offset1:101
	ds_read2_b64 v[68:71], v1 offset0:102 offset1:103
	s_add_i32 s11, s4, 0x410
	s_add_i32 s48, s4, 0x440
	scratch_load_dwordx4 v[72:75], off, s11
	scratch_load_dwordx4 v[76:79], off, s48
	s_add_i32 s5, s4, 0x430
	s_waitcnt vmcnt(3) lgkmcnt(1)
	v_mul_f64 v[2:3], v[66:67], v[58:59]
	v_mul_f64 v[8:9], v[64:65], v[58:59]
	v_fma_f64 v[2:3], v[64:65], v[56:57], -v[2:3]
	v_fmac_f64_e32 v[8:9], v[66:67], v[56:57]
	s_waitcnt vmcnt(2)
	v_add_f64 v[56:57], v[60:61], -v[2:3]
	v_add_f64 v[58:59], v[62:63], -v[8:9]
	scratch_store_dwordx4 off, v[56:59], s10
	scratch_load_dwordx4 v[56:59], off, off offset:208
	s_add_i32 s10, s4, 0x420
	s_addk_i32 s4, 0x50
	s_cmp_lg_u32 s4, 0
	s_waitcnt vmcnt(0) lgkmcnt(0)
	v_mul_f64 v[2:3], v[70:71], v[58:59]
	v_mul_f64 v[8:9], v[68:69], v[58:59]
	v_fma_f64 v[2:3], v[68:69], v[56:57], -v[2:3]
	v_fmac_f64_e32 v[8:9], v[70:71], v[56:57]
	v_add_f64 v[56:57], v[72:73], -v[2:3]
	v_add_f64 v[58:59], v[74:75], -v[8:9]
	scratch_store_dwordx4 off, v[56:59], s11
	scratch_load_dwordx4 v[56:59], off, off offset:208
	s_nop 0
	scratch_load_dwordx4 v[60:63], off, s10
	ds_read2_b64 v[64:67], v1 offset0:104 offset1:105
	ds_read2_b64 v[68:71], v1 offset0:106 offset1:107
	scratch_load_dwordx4 v[72:75], off, s5
	s_waitcnt vmcnt(2) lgkmcnt(1)
	v_mul_f64 v[2:3], v[66:67], v[58:59]
	v_mul_f64 v[8:9], v[64:65], v[58:59]
	v_fma_f64 v[2:3], v[64:65], v[56:57], -v[2:3]
	v_fmac_f64_e32 v[8:9], v[66:67], v[56:57]
	s_waitcnt vmcnt(1)
	v_add_f64 v[56:57], v[60:61], -v[2:3]
	v_add_f64 v[58:59], v[62:63], -v[8:9]
	scratch_store_dwordx4 off, v[56:59], s10
	scratch_load_dwordx4 v[56:59], off, off offset:208
	ds_read2_b64 v[60:63], v1 offset0:108 offset1:109
	s_waitcnt vmcnt(0) lgkmcnt(1)
	v_mul_f64 v[2:3], v[70:71], v[58:59]
	v_mul_f64 v[8:9], v[68:69], v[58:59]
	v_fma_f64 v[2:3], v[68:69], v[56:57], -v[2:3]
	v_fmac_f64_e32 v[8:9], v[70:71], v[56:57]
	v_add_f64 v[56:57], v[72:73], -v[2:3]
	v_add_f64 v[58:59], v[74:75], -v[8:9]
	scratch_store_dwordx4 off, v[56:59], s5
	scratch_load_dwordx4 v[56:59], off, off offset:208
	s_waitcnt vmcnt(0) lgkmcnt(0)
	v_mul_f64 v[2:3], v[62:63], v[58:59]
	v_mul_f64 v[8:9], v[60:61], v[58:59]
	v_fma_f64 v[2:3], v[60:61], v[56:57], -v[2:3]
	v_fmac_f64_e32 v[8:9], v[62:63], v[56:57]
	v_add_f64 v[56:57], v[76:77], -v[2:3]
	v_add_f64 v[58:59], v[78:79], -v[8:9]
	scratch_store_dwordx4 off, v[56:59], s48
	s_cbranch_scc1 .LBB127_180
.LBB127_181:
	s_or_b64 exec, exec, s[2:3]
	v_cmp_eq_u32_e32 vcc, 14, v254
	s_waitcnt lgkmcnt(0)
	s_barrier
	s_and_saveexec_b64 s[4:5], vcc
	s_cbranch_execz .LBB127_190
; %bb.182:
	scratch_load_dwordx4 v[56:59], off, s62
	v_add_u32_e32 v0, 0xf0, v11
	s_movk_i32 s2, 0xfcf0
	s_waitcnt vmcnt(0)
	ds_write2_b64 v10, v[56:57], v[58:59] offset1:1
.LBB127_183:                            ; =>This Inner Loop Header: Depth=1
	s_add_i32 s10, s2, 0x400
	s_add_i32 s11, s2, 0x410
	;; [unrolled: 1-line block ×7, first 2 shown]
	scratch_load_dwordx4 v[56:59], off, s10
	scratch_load_dwordx4 v[60:63], off, s11
	;; [unrolled: 1-line block ×7, first 2 shown]
	v_add_u32_e32 v1, s2, v0
	s_addk_i32 s2, 0x70
	s_cmp_lg_u32 s2, 0
	s_waitcnt vmcnt(6)
	ds_write2_b64 v1, v[56:57], v[58:59] offset0:98 offset1:99
	s_waitcnt vmcnt(5)
	ds_write2_b64 v1, v[60:61], v[62:63] offset0:100 offset1:101
	;; [unrolled: 2-line block ×7, first 2 shown]
	s_cbranch_scc1 .LBB127_183
; %bb.184:
	ds_read2_b64 v[0:3], v10 offset1:1
	s_waitcnt lgkmcnt(0)
	v_cmp_neq_f64_e32 vcc, 0, v[0:1]
	v_cmp_neq_f64_e64 s[2:3], 0, v[2:3]
	s_or_b64 s[2:3], vcc, s[2:3]
	s_and_b64 exec, exec, s[2:3]
	s_cbranch_execz .LBB127_190
; %bb.185:
	v_cmp_ngt_f64_e64 s[2:3], |v[0:1]|, |v[2:3]|
                                        ; implicit-def: $vgpr34_vgpr35
	s_and_saveexec_b64 s[10:11], s[2:3]
	s_xor_b64 s[2:3], exec, s[10:11]
                                        ; implicit-def: $vgpr8_vgpr9
	s_cbranch_execz .LBB127_187
; %bb.186:
	v_div_scale_f64 v[8:9], s[10:11], v[2:3], v[2:3], v[0:1]
	v_rcp_f64_e32 v[12:13], v[8:9]
	v_div_scale_f64 v[14:15], vcc, v[0:1], v[2:3], v[0:1]
	v_fma_f64 v[34:35], -v[8:9], v[12:13], 1.0
	v_fmac_f64_e32 v[12:13], v[12:13], v[34:35]
	v_fma_f64 v[34:35], -v[8:9], v[12:13], 1.0
	v_fmac_f64_e32 v[12:13], v[12:13], v[34:35]
	v_mul_f64 v[34:35], v[14:15], v[12:13]
	v_fma_f64 v[8:9], -v[8:9], v[34:35], v[14:15]
	v_div_fmas_f64 v[8:9], v[8:9], v[12:13], v[34:35]
	v_div_fixup_f64 v[12:13], v[8:9], v[2:3], v[0:1]
	v_fmac_f64_e32 v[2:3], v[0:1], v[12:13]
	v_div_scale_f64 v[0:1], s[10:11], v[2:3], v[2:3], 1.0
	v_rcp_f64_e32 v[8:9], v[0:1]
	s_nop 0
	v_fma_f64 v[14:15], -v[0:1], v[8:9], 1.0
	v_fmac_f64_e32 v[8:9], v[8:9], v[14:15]
	v_fma_f64 v[14:15], -v[0:1], v[8:9], 1.0
	v_fmac_f64_e32 v[8:9], v[8:9], v[14:15]
	v_div_scale_f64 v[14:15], vcc, 1.0, v[2:3], 1.0
	v_mul_f64 v[34:35], v[14:15], v[8:9]
	v_fma_f64 v[0:1], -v[0:1], v[34:35], v[14:15]
	s_nop 1
	v_div_fmas_f64 v[0:1], v[0:1], v[8:9], v[34:35]
	v_div_fixup_f64 v[8:9], v[0:1], v[2:3], 1.0
	v_mul_f64 v[34:35], v[12:13], v[8:9]
	v_xor_b32_e32 v9, 0x80000000, v9
                                        ; implicit-def: $vgpr0_vgpr1
.LBB127_187:
	s_andn2_saveexec_b64 s[2:3], s[2:3]
	s_cbranch_execz .LBB127_189
; %bb.188:
	v_div_scale_f64 v[8:9], s[10:11], v[0:1], v[0:1], v[2:3]
	v_rcp_f64_e32 v[12:13], v[8:9]
	v_div_scale_f64 v[14:15], vcc, v[2:3], v[0:1], v[2:3]
	v_fma_f64 v[34:35], -v[8:9], v[12:13], 1.0
	v_fmac_f64_e32 v[12:13], v[12:13], v[34:35]
	v_fma_f64 v[34:35], -v[8:9], v[12:13], 1.0
	v_fmac_f64_e32 v[12:13], v[12:13], v[34:35]
	v_mul_f64 v[34:35], v[14:15], v[12:13]
	v_fma_f64 v[8:9], -v[8:9], v[34:35], v[14:15]
	v_div_fmas_f64 v[8:9], v[8:9], v[12:13], v[34:35]
	v_div_fixup_f64 v[8:9], v[8:9], v[0:1], v[2:3]
	v_fmac_f64_e32 v[0:1], v[2:3], v[8:9]
	v_div_scale_f64 v[2:3], s[10:11], v[0:1], v[0:1], 1.0
	v_rcp_f64_e32 v[12:13], v[2:3]
	s_nop 0
	v_fma_f64 v[14:15], -v[2:3], v[12:13], 1.0
	v_fmac_f64_e32 v[12:13], v[12:13], v[14:15]
	v_fma_f64 v[14:15], -v[2:3], v[12:13], 1.0
	v_fmac_f64_e32 v[12:13], v[12:13], v[14:15]
	v_div_scale_f64 v[14:15], vcc, 1.0, v[0:1], 1.0
	v_mul_f64 v[34:35], v[14:15], v[12:13]
	v_fma_f64 v[2:3], -v[2:3], v[34:35], v[14:15]
	s_nop 1
	v_div_fmas_f64 v[2:3], v[2:3], v[12:13], v[34:35]
	v_div_fixup_f64 v[34:35], v[2:3], v[0:1], 1.0
	v_mul_f64 v[8:9], v[8:9], -v[34:35]
.LBB127_189:
	s_or_b64 exec, exec, s[2:3]
	ds_write2_b64 v10, v[34:35], v[8:9] offset1:1
.LBB127_190:
	s_or_b64 exec, exec, s[4:5]
	s_waitcnt lgkmcnt(0)
	s_barrier
	ds_read2_b64 v[56:59], v10 offset1:1
	v_cmp_lt_u32_e32 vcc, 14, v254
	s_and_saveexec_b64 s[2:3], vcc
	s_cbranch_execz .LBB127_193
; %bb.191:
	scratch_load_dwordx4 v[60:63], off, off offset:224
	v_add_u32_e32 v0, 0xf0, v11
	s_movk_i32 s4, 0xfcf0
	s_waitcnt vmcnt(0) lgkmcnt(0)
	v_mul_f64 v[2:3], v[58:59], v[62:63]
	v_mul_f64 v[64:65], v[56:57], v[62:63]
	v_fma_f64 v[62:63], v[56:57], v[60:61], -v[2:3]
	v_fmac_f64_e32 v[64:65], v[58:59], v[60:61]
	scratch_store_dwordx4 off, v[62:65], off offset:224
.LBB127_192:                            ; =>This Inner Loop Header: Depth=1
	scratch_load_dwordx4 v[60:63], off, off offset:224
	s_add_i32 s10, s4, 0x400
	scratch_load_dwordx4 v[64:67], off, s10
	v_add_u32_e32 v1, s4, v0
	ds_read2_b64 v[68:71], v1 offset0:98 offset1:99
	ds_read2_b64 v[72:75], v1 offset0:100 offset1:101
	s_add_i32 s11, s4, 0x410
	s_add_i32 s48, s4, 0x460
	scratch_load_dwordx4 v[76:79], off, s11
	scratch_load_dwordx4 v[80:83], off, s48
	s_add_i32 s5, s4, 0x450
	s_waitcnt vmcnt(3) lgkmcnt(1)
	v_mul_f64 v[2:3], v[70:71], v[62:63]
	v_mul_f64 v[8:9], v[68:69], v[62:63]
	v_fma_f64 v[2:3], v[68:69], v[60:61], -v[2:3]
	v_fmac_f64_e32 v[8:9], v[70:71], v[60:61]
	s_waitcnt vmcnt(2)
	v_add_f64 v[60:61], v[64:65], -v[2:3]
	v_add_f64 v[62:63], v[66:67], -v[8:9]
	scratch_store_dwordx4 off, v[60:63], s10
	scratch_load_dwordx4 v[60:63], off, off offset:224
	s_add_i32 s10, s4, 0x420
	s_waitcnt vmcnt(0) lgkmcnt(0)
	v_mul_f64 v[2:3], v[74:75], v[62:63]
	v_mul_f64 v[8:9], v[72:73], v[62:63]
	v_fma_f64 v[2:3], v[72:73], v[60:61], -v[2:3]
	v_fmac_f64_e32 v[8:9], v[74:75], v[60:61]
	v_add_f64 v[60:61], v[76:77], -v[2:3]
	v_add_f64 v[62:63], v[78:79], -v[8:9]
	scratch_store_dwordx4 off, v[60:63], s11
	scratch_load_dwordx4 v[60:63], off, off offset:224
	s_nop 0
	scratch_load_dwordx4 v[64:67], off, s10
	ds_read2_b64 v[68:71], v1 offset0:102 offset1:103
	ds_read2_b64 v[72:75], v1 offset0:104 offset1:105
	s_add_i32 s11, s4, 0x430
	scratch_load_dwordx4 v[76:79], off, s11
	s_waitcnt vmcnt(2) lgkmcnt(1)
	v_mul_f64 v[2:3], v[70:71], v[62:63]
	v_mul_f64 v[8:9], v[68:69], v[62:63]
	v_fma_f64 v[2:3], v[68:69], v[60:61], -v[2:3]
	v_fmac_f64_e32 v[8:9], v[70:71], v[60:61]
	s_waitcnt vmcnt(1)
	v_add_f64 v[60:61], v[64:65], -v[2:3]
	v_add_f64 v[62:63], v[66:67], -v[8:9]
	scratch_store_dwordx4 off, v[60:63], s10
	scratch_load_dwordx4 v[60:63], off, off offset:224
	s_add_i32 s10, s4, 0x440
	s_addk_i32 s4, 0x70
	s_cmp_lg_u32 s4, 0
	s_waitcnt vmcnt(0) lgkmcnt(0)
	v_mul_f64 v[2:3], v[74:75], v[62:63]
	v_mul_f64 v[8:9], v[72:73], v[62:63]
	v_fma_f64 v[2:3], v[72:73], v[60:61], -v[2:3]
	v_fmac_f64_e32 v[8:9], v[74:75], v[60:61]
	v_add_f64 v[60:61], v[76:77], -v[2:3]
	v_add_f64 v[62:63], v[78:79], -v[8:9]
	scratch_store_dwordx4 off, v[60:63], s11
	scratch_load_dwordx4 v[60:63], off, off offset:224
	s_nop 0
	scratch_load_dwordx4 v[64:67], off, s10
	ds_read2_b64 v[68:71], v1 offset0:106 offset1:107
	ds_read2_b64 v[72:75], v1 offset0:108 offset1:109
	scratch_load_dwordx4 v[76:79], off, s5
	s_waitcnt vmcnt(2) lgkmcnt(1)
	v_mul_f64 v[2:3], v[70:71], v[62:63]
	v_mul_f64 v[8:9], v[68:69], v[62:63]
	v_fma_f64 v[2:3], v[68:69], v[60:61], -v[2:3]
	v_fmac_f64_e32 v[8:9], v[70:71], v[60:61]
	s_waitcnt vmcnt(1)
	v_add_f64 v[60:61], v[64:65], -v[2:3]
	v_add_f64 v[62:63], v[66:67], -v[8:9]
	scratch_store_dwordx4 off, v[60:63], s10
	scratch_load_dwordx4 v[60:63], off, off offset:224
	ds_read2_b64 v[64:67], v1 offset0:110 offset1:111
	s_waitcnt vmcnt(0) lgkmcnt(1)
	v_mul_f64 v[2:3], v[74:75], v[62:63]
	v_mul_f64 v[8:9], v[72:73], v[62:63]
	v_fma_f64 v[2:3], v[72:73], v[60:61], -v[2:3]
	v_fmac_f64_e32 v[8:9], v[74:75], v[60:61]
	v_add_f64 v[60:61], v[76:77], -v[2:3]
	v_add_f64 v[62:63], v[78:79], -v[8:9]
	scratch_store_dwordx4 off, v[60:63], s5
	scratch_load_dwordx4 v[60:63], off, off offset:224
	s_waitcnt vmcnt(0) lgkmcnt(0)
	v_mul_f64 v[2:3], v[66:67], v[62:63]
	v_mul_f64 v[8:9], v[64:65], v[62:63]
	v_fma_f64 v[2:3], v[64:65], v[60:61], -v[2:3]
	v_fmac_f64_e32 v[8:9], v[66:67], v[60:61]
	v_add_f64 v[60:61], v[80:81], -v[2:3]
	v_add_f64 v[62:63], v[82:83], -v[8:9]
	scratch_store_dwordx4 off, v[60:63], s48
	s_cbranch_scc1 .LBB127_192
.LBB127_193:
	s_or_b64 exec, exec, s[2:3]
	v_cmp_eq_u32_e32 vcc, 15, v254
	s_waitcnt lgkmcnt(0)
	s_barrier
	s_and_saveexec_b64 s[4:5], vcc
	s_cbranch_execz .LBB127_202
; %bb.194:
	scratch_load_dwordx4 v[60:63], off, s61
	v_add_u32_e32 v0, 0x100, v11
	s_movk_i32 s2, 0xfd00
	s_waitcnt vmcnt(0)
	ds_write2_b64 v10, v[60:61], v[62:63] offset1:1
.LBB127_195:                            ; =>This Inner Loop Header: Depth=1
	s_add_i32 s10, s2, 0x400
	scratch_load_dwordx4 v[60:63], off, s10
	v_add_u32_e32 v1, s2, v0
	s_add_i32 s10, s2, 0x410
	s_add_i32 s3, s2, 0x4f0
	s_waitcnt vmcnt(0)
	ds_write2_b64 v1, v[60:61], v[62:63] offset0:96 offset1:97
	scratch_load_dwordx4 v[60:63], off, s10
	s_add_i32 s10, s2, 0x420
	s_waitcnt vmcnt(0)
	ds_write2_b64 v1, v[60:61], v[62:63] offset0:98 offset1:99
	scratch_load_dwordx4 v[60:63], off, s10
	s_add_i32 s10, s2, 0x430
	s_waitcnt vmcnt(0)
	ds_write2_b64 v1, v[60:61], v[62:63] offset0:100 offset1:101
	scratch_load_dwordx4 v[60:63], off, s10
	s_add_i32 s10, s2, 0x440
	s_waitcnt vmcnt(0)
	ds_write2_b64 v1, v[60:61], v[62:63] offset0:102 offset1:103
	scratch_load_dwordx4 v[60:63], off, s10
	s_add_i32 s10, s2, 0x450
	s_waitcnt vmcnt(0)
	ds_write2_b64 v1, v[60:61], v[62:63] offset0:104 offset1:105
	scratch_load_dwordx4 v[60:63], off, s10
	s_add_i32 s10, s2, 0x460
	s_waitcnt vmcnt(0)
	ds_write2_b64 v1, v[60:61], v[62:63] offset0:106 offset1:107
	scratch_load_dwordx4 v[60:63], off, s10
	s_add_i32 s10, s2, 0x470
	s_waitcnt vmcnt(0)
	ds_write2_b64 v1, v[60:61], v[62:63] offset0:108 offset1:109
	scratch_load_dwordx4 v[60:63], off, s10
	s_add_i32 s10, s2, 0x480
	s_waitcnt vmcnt(0)
	ds_write2_b64 v1, v[60:61], v[62:63] offset0:110 offset1:111
	scratch_load_dwordx4 v[60:63], off, s10
	s_add_i32 s10, s2, 0x490
	s_waitcnt vmcnt(0)
	ds_write2_b64 v1, v[60:61], v[62:63] offset0:112 offset1:113
	scratch_load_dwordx4 v[60:63], off, s10
	s_add_i32 s10, s2, 0x4a0
	s_waitcnt vmcnt(0)
	ds_write2_b64 v1, v[60:61], v[62:63] offset0:114 offset1:115
	scratch_load_dwordx4 v[60:63], off, s10
	s_add_i32 s10, s2, 0x4b0
	s_waitcnt vmcnt(0)
	ds_write2_b64 v1, v[60:61], v[62:63] offset0:116 offset1:117
	scratch_load_dwordx4 v[60:63], off, s10
	s_add_i32 s10, s2, 0x4c0
	s_waitcnt vmcnt(0)
	ds_write2_b64 v1, v[60:61], v[62:63] offset0:118 offset1:119
	scratch_load_dwordx4 v[60:63], off, s10
	s_add_i32 s10, s2, 0x4d0
	s_waitcnt vmcnt(0)
	ds_write2_b64 v1, v[60:61], v[62:63] offset0:120 offset1:121
	scratch_load_dwordx4 v[60:63], off, s10
	s_add_i32 s10, s2, 0x4e0
	s_addk_i32 s2, 0x100
	s_cmp_lg_u32 s2, 0
	s_waitcnt vmcnt(0)
	ds_write2_b64 v1, v[60:61], v[62:63] offset0:122 offset1:123
	scratch_load_dwordx4 v[60:63], off, s10
	s_waitcnt vmcnt(0)
	ds_write2_b64 v1, v[60:61], v[62:63] offset0:124 offset1:125
	scratch_load_dwordx4 v[60:63], off, s3
	s_waitcnt vmcnt(0)
	ds_write2_b64 v1, v[60:61], v[62:63] offset0:126 offset1:127
	s_cbranch_scc1 .LBB127_195
; %bb.196:
	ds_read2_b64 v[0:3], v10 offset1:1
	s_waitcnt lgkmcnt(0)
	v_cmp_neq_f64_e32 vcc, 0, v[0:1]
	v_cmp_neq_f64_e64 s[2:3], 0, v[2:3]
	s_or_b64 s[2:3], vcc, s[2:3]
	s_and_b64 exec, exec, s[2:3]
	s_cbranch_execz .LBB127_202
; %bb.197:
	v_cmp_ngt_f64_e64 s[2:3], |v[0:1]|, |v[2:3]|
                                        ; implicit-def: $vgpr34_vgpr35
	s_and_saveexec_b64 s[10:11], s[2:3]
	s_xor_b64 s[2:3], exec, s[10:11]
                                        ; implicit-def: $vgpr8_vgpr9
	s_cbranch_execz .LBB127_199
; %bb.198:
	v_div_scale_f64 v[8:9], s[10:11], v[2:3], v[2:3], v[0:1]
	v_rcp_f64_e32 v[12:13], v[8:9]
	v_div_scale_f64 v[14:15], vcc, v[0:1], v[2:3], v[0:1]
	v_fma_f64 v[34:35], -v[8:9], v[12:13], 1.0
	v_fmac_f64_e32 v[12:13], v[12:13], v[34:35]
	v_fma_f64 v[34:35], -v[8:9], v[12:13], 1.0
	v_fmac_f64_e32 v[12:13], v[12:13], v[34:35]
	v_mul_f64 v[34:35], v[14:15], v[12:13]
	v_fma_f64 v[8:9], -v[8:9], v[34:35], v[14:15]
	v_div_fmas_f64 v[8:9], v[8:9], v[12:13], v[34:35]
	v_div_fixup_f64 v[12:13], v[8:9], v[2:3], v[0:1]
	v_fmac_f64_e32 v[2:3], v[0:1], v[12:13]
	v_div_scale_f64 v[0:1], s[10:11], v[2:3], v[2:3], 1.0
	v_rcp_f64_e32 v[8:9], v[0:1]
	s_nop 0
	v_fma_f64 v[14:15], -v[0:1], v[8:9], 1.0
	v_fmac_f64_e32 v[8:9], v[8:9], v[14:15]
	v_fma_f64 v[14:15], -v[0:1], v[8:9], 1.0
	v_fmac_f64_e32 v[8:9], v[8:9], v[14:15]
	v_div_scale_f64 v[14:15], vcc, 1.0, v[2:3], 1.0
	v_mul_f64 v[34:35], v[14:15], v[8:9]
	v_fma_f64 v[0:1], -v[0:1], v[34:35], v[14:15]
	s_nop 1
	v_div_fmas_f64 v[0:1], v[0:1], v[8:9], v[34:35]
	v_div_fixup_f64 v[8:9], v[0:1], v[2:3], 1.0
	v_mul_f64 v[34:35], v[12:13], v[8:9]
	v_xor_b32_e32 v9, 0x80000000, v9
                                        ; implicit-def: $vgpr0_vgpr1
.LBB127_199:
	s_andn2_saveexec_b64 s[2:3], s[2:3]
	s_cbranch_execz .LBB127_201
; %bb.200:
	v_div_scale_f64 v[8:9], s[10:11], v[0:1], v[0:1], v[2:3]
	v_rcp_f64_e32 v[12:13], v[8:9]
	v_div_scale_f64 v[14:15], vcc, v[2:3], v[0:1], v[2:3]
	v_fma_f64 v[34:35], -v[8:9], v[12:13], 1.0
	v_fmac_f64_e32 v[12:13], v[12:13], v[34:35]
	v_fma_f64 v[34:35], -v[8:9], v[12:13], 1.0
	v_fmac_f64_e32 v[12:13], v[12:13], v[34:35]
	v_mul_f64 v[34:35], v[14:15], v[12:13]
	v_fma_f64 v[8:9], -v[8:9], v[34:35], v[14:15]
	v_div_fmas_f64 v[8:9], v[8:9], v[12:13], v[34:35]
	v_div_fixup_f64 v[8:9], v[8:9], v[0:1], v[2:3]
	v_fmac_f64_e32 v[0:1], v[2:3], v[8:9]
	v_div_scale_f64 v[2:3], s[10:11], v[0:1], v[0:1], 1.0
	v_rcp_f64_e32 v[12:13], v[2:3]
	s_nop 0
	v_fma_f64 v[14:15], -v[2:3], v[12:13], 1.0
	v_fmac_f64_e32 v[12:13], v[12:13], v[14:15]
	v_fma_f64 v[14:15], -v[2:3], v[12:13], 1.0
	v_fmac_f64_e32 v[12:13], v[12:13], v[14:15]
	v_div_scale_f64 v[14:15], vcc, 1.0, v[0:1], 1.0
	v_mul_f64 v[34:35], v[14:15], v[12:13]
	v_fma_f64 v[2:3], -v[2:3], v[34:35], v[14:15]
	s_nop 1
	v_div_fmas_f64 v[2:3], v[2:3], v[12:13], v[34:35]
	v_div_fixup_f64 v[34:35], v[2:3], v[0:1], 1.0
	v_mul_f64 v[8:9], v[8:9], -v[34:35]
.LBB127_201:
	s_or_b64 exec, exec, s[2:3]
	ds_write2_b64 v10, v[34:35], v[8:9] offset1:1
.LBB127_202:
	s_or_b64 exec, exec, s[4:5]
	s_waitcnt lgkmcnt(0)
	s_barrier
	ds_read2_b64 v[60:63], v10 offset1:1
	v_cmp_lt_u32_e32 vcc, 15, v254
	s_and_saveexec_b64 s[2:3], vcc
	s_cbranch_execz .LBB127_205
; %bb.203:
	scratch_load_dwordx4 v[64:67], off, off offset:240
	v_add_u32_e32 v0, 0x100, v11
	s_movk_i32 s4, 0xfd00
	s_waitcnt vmcnt(0) lgkmcnt(0)
	v_mul_f64 v[2:3], v[62:63], v[66:67]
	v_mul_f64 v[68:69], v[60:61], v[66:67]
	v_fma_f64 v[66:67], v[60:61], v[64:65], -v[2:3]
	v_fmac_f64_e32 v[68:69], v[62:63], v[64:65]
	scratch_store_dwordx4 off, v[66:69], off offset:240
.LBB127_204:                            ; =>This Inner Loop Header: Depth=1
	scratch_load_dwordx4 v[64:67], off, off offset:240
	s_add_i32 s10, s4, 0x400
	scratch_load_dwordx4 v[68:71], off, s10
	v_add_u32_e32 v1, s4, v0
	ds_read2_b64 v[72:75], v1 offset0:96 offset1:97
	ds_read2_b64 v[76:79], v1 offset0:98 offset1:99
	s_add_i32 s11, s4, 0x410
	scratch_load_dwordx4 v[80:83], off, s11
	s_add_i32 s5, s4, 0x470
	s_waitcnt vmcnt(2) lgkmcnt(1)
	v_mul_f64 v[2:3], v[74:75], v[66:67]
	v_mul_f64 v[8:9], v[72:73], v[66:67]
	v_fma_f64 v[2:3], v[72:73], v[64:65], -v[2:3]
	v_fmac_f64_e32 v[8:9], v[74:75], v[64:65]
	s_waitcnt vmcnt(1)
	v_add_f64 v[64:65], v[68:69], -v[2:3]
	v_add_f64 v[66:67], v[70:71], -v[8:9]
	scratch_store_dwordx4 off, v[64:67], s10
	scratch_load_dwordx4 v[64:67], off, off offset:240
	s_add_i32 s10, s4, 0x420
	s_waitcnt vmcnt(0) lgkmcnt(0)
	v_mul_f64 v[2:3], v[78:79], v[66:67]
	v_mul_f64 v[8:9], v[76:77], v[66:67]
	v_fma_f64 v[2:3], v[76:77], v[64:65], -v[2:3]
	v_fmac_f64_e32 v[8:9], v[78:79], v[64:65]
	v_add_f64 v[64:65], v[80:81], -v[2:3]
	v_add_f64 v[66:67], v[82:83], -v[8:9]
	scratch_store_dwordx4 off, v[64:67], s11
	scratch_load_dwordx4 v[64:67], off, off offset:240
	s_nop 0
	scratch_load_dwordx4 v[68:71], off, s10
	ds_read2_b64 v[72:75], v1 offset0:100 offset1:101
	ds_read2_b64 v[76:79], v1 offset0:102 offset1:103
	s_add_i32 s11, s4, 0x430
	scratch_load_dwordx4 v[80:83], off, s11
	s_waitcnt vmcnt(2) lgkmcnt(1)
	v_mul_f64 v[2:3], v[74:75], v[66:67]
	v_mul_f64 v[8:9], v[72:73], v[66:67]
	v_fma_f64 v[2:3], v[72:73], v[64:65], -v[2:3]
	v_fmac_f64_e32 v[8:9], v[74:75], v[64:65]
	s_waitcnt vmcnt(1)
	v_add_f64 v[64:65], v[68:69], -v[2:3]
	v_add_f64 v[66:67], v[70:71], -v[8:9]
	scratch_store_dwordx4 off, v[64:67], s10
	scratch_load_dwordx4 v[64:67], off, off offset:240
	s_add_i32 s10, s4, 0x440
	s_waitcnt vmcnt(0) lgkmcnt(0)
	v_mul_f64 v[2:3], v[78:79], v[66:67]
	v_mul_f64 v[8:9], v[76:77], v[66:67]
	v_fma_f64 v[2:3], v[76:77], v[64:65], -v[2:3]
	v_fmac_f64_e32 v[8:9], v[78:79], v[64:65]
	v_add_f64 v[64:65], v[80:81], -v[2:3]
	v_add_f64 v[66:67], v[82:83], -v[8:9]
	scratch_store_dwordx4 off, v[64:67], s11
	scratch_load_dwordx4 v[64:67], off, off offset:240
	s_nop 0
	scratch_load_dwordx4 v[68:71], off, s10
	ds_read2_b64 v[72:75], v1 offset0:104 offset1:105
	ds_read2_b64 v[76:79], v1 offset0:106 offset1:107
	s_add_i32 s11, s4, 0x450
	scratch_load_dwordx4 v[80:83], off, s11
	s_waitcnt vmcnt(2) lgkmcnt(1)
	v_mul_f64 v[2:3], v[74:75], v[66:67]
	v_mul_f64 v[8:9], v[72:73], v[66:67]
	v_fma_f64 v[2:3], v[72:73], v[64:65], -v[2:3]
	v_fmac_f64_e32 v[8:9], v[74:75], v[64:65]
	s_waitcnt vmcnt(1)
	v_add_f64 v[64:65], v[68:69], -v[2:3]
	v_add_f64 v[66:67], v[70:71], -v[8:9]
	scratch_store_dwordx4 off, v[64:67], s10
	scratch_load_dwordx4 v[64:67], off, off offset:240
	s_add_i32 s10, s4, 0x460
	s_addk_i32 s4, 0x80
	s_cmp_lg_u32 s4, 0
	s_waitcnt vmcnt(0) lgkmcnt(0)
	v_mul_f64 v[2:3], v[78:79], v[66:67]
	v_mul_f64 v[8:9], v[76:77], v[66:67]
	v_fma_f64 v[2:3], v[76:77], v[64:65], -v[2:3]
	v_fmac_f64_e32 v[8:9], v[78:79], v[64:65]
	v_add_f64 v[64:65], v[80:81], -v[2:3]
	v_add_f64 v[66:67], v[82:83], -v[8:9]
	scratch_store_dwordx4 off, v[64:67], s11
	scratch_load_dwordx4 v[64:67], off, off offset:240
	s_nop 0
	scratch_load_dwordx4 v[68:71], off, s10
	ds_read2_b64 v[72:75], v1 offset0:108 offset1:109
	ds_read2_b64 v[76:79], v1 offset0:110 offset1:111
	scratch_load_dwordx4 v[80:83], off, s5
	s_waitcnt vmcnt(2) lgkmcnt(1)
	v_mul_f64 v[2:3], v[74:75], v[66:67]
	v_mul_f64 v[8:9], v[72:73], v[66:67]
	v_fma_f64 v[2:3], v[72:73], v[64:65], -v[2:3]
	v_fmac_f64_e32 v[8:9], v[74:75], v[64:65]
	s_waitcnt vmcnt(1)
	v_add_f64 v[64:65], v[68:69], -v[2:3]
	v_add_f64 v[66:67], v[70:71], -v[8:9]
	scratch_store_dwordx4 off, v[64:67], s10
	scratch_load_dwordx4 v[64:67], off, off offset:240
	s_waitcnt vmcnt(0) lgkmcnt(0)
	v_mul_f64 v[2:3], v[78:79], v[66:67]
	v_mul_f64 v[8:9], v[76:77], v[66:67]
	v_fma_f64 v[2:3], v[76:77], v[64:65], -v[2:3]
	v_fmac_f64_e32 v[8:9], v[78:79], v[64:65]
	v_add_f64 v[64:65], v[80:81], -v[2:3]
	v_add_f64 v[66:67], v[82:83], -v[8:9]
	scratch_store_dwordx4 off, v[64:67], s5
	s_cbranch_scc1 .LBB127_204
.LBB127_205:
	s_or_b64 exec, exec, s[2:3]
	v_cmp_eq_u32_e32 vcc, 16, v254
	s_waitcnt lgkmcnt(0)
	s_barrier
	s_and_saveexec_b64 s[4:5], vcc
	s_cbranch_execz .LBB127_216
; %bb.206:
	scratch_load_dwordx4 v[64:67], off, s60
	v_add_u32_e32 v0, 0x110, v11
	s_movk_i32 s10, 0xfd80
	s_waitcnt vmcnt(0)
	ds_write2_b64 v10, v[64:65], v[66:67] offset1:1
	s_branch .LBB127_208
.LBB127_207:                            ;   in Loop: Header=BB127_208 Depth=1
	s_addk_i32 s2, 0x400
	scratch_load_dwordx4 v[64:67], off, s2
	s_addk_i32 s10, 0x80
	s_waitcnt vmcnt(0)
	ds_write2_b64 v1, v[64:65], v[66:67] offset0:94 offset1:95
	s_cbranch_execz .LBB127_210
.LBB127_208:                            ; =>This Inner Loop Header: Depth=1
	s_add_i32 s3, s10, 0x390
	s_add_i32 s11, s10, 0x3a0
	scratch_load_dwordx4 v[64:67], off, s3
	scratch_load_dwordx4 v[68:71], off, s11
	s_add_i32 s3, s10, 0x3b0
	s_add_i32 s11, s10, 0x3c0
	scratch_load_dwordx4 v[72:75], off, s3
	scratch_load_dwordx4 v[76:79], off, s11
	;; [unrolled: 4-line block ×3, first 2 shown]
	s_add_i32 s3, s10, 0x3f0
	scratch_load_dwordx4 v[88:91], off, s3
	s_mov_b32 s2, s10
	v_add_u32_e32 v1, s10, v0
	s_cmp_eq_u32 s10, 0
	s_waitcnt vmcnt(6)
	ds_write2_b64 v1, v[64:65], v[66:67] offset0:80 offset1:81
	s_waitcnt vmcnt(5)
	ds_write2_b64 v1, v[68:69], v[70:71] offset0:82 offset1:83
	s_waitcnt vmcnt(4)
	ds_write2_b64 v1, v[72:73], v[74:75] offset0:84 offset1:85
	s_waitcnt vmcnt(3)
	ds_write2_b64 v1, v[76:77], v[78:79] offset0:86 offset1:87
	s_waitcnt vmcnt(2)
	ds_write2_b64 v1, v[80:81], v[82:83] offset0:88 offset1:89
	s_waitcnt vmcnt(1)
	ds_write2_b64 v1, v[84:85], v[86:87] offset0:90 offset1:91
	s_waitcnt vmcnt(0)
	ds_write2_b64 v1, v[88:89], v[90:91] offset0:92 offset1:93
	s_cbranch_scc0 .LBB127_207
; %bb.209:
                                        ; implicit-def: $sgpr10
.LBB127_210:
	ds_read2_b64 v[0:3], v10 offset1:1
	s_waitcnt lgkmcnt(0)
	v_cmp_neq_f64_e32 vcc, 0, v[0:1]
	v_cmp_neq_f64_e64 s[2:3], 0, v[2:3]
	s_or_b64 s[2:3], vcc, s[2:3]
	s_and_b64 exec, exec, s[2:3]
	s_cbranch_execz .LBB127_216
; %bb.211:
	v_cmp_ngt_f64_e64 s[2:3], |v[0:1]|, |v[2:3]|
                                        ; implicit-def: $vgpr34_vgpr35
	s_and_saveexec_b64 s[10:11], s[2:3]
	s_xor_b64 s[2:3], exec, s[10:11]
                                        ; implicit-def: $vgpr8_vgpr9
	s_cbranch_execz .LBB127_213
; %bb.212:
	v_div_scale_f64 v[8:9], s[10:11], v[2:3], v[2:3], v[0:1]
	v_rcp_f64_e32 v[12:13], v[8:9]
	v_div_scale_f64 v[14:15], vcc, v[0:1], v[2:3], v[0:1]
	v_fma_f64 v[34:35], -v[8:9], v[12:13], 1.0
	v_fmac_f64_e32 v[12:13], v[12:13], v[34:35]
	v_fma_f64 v[34:35], -v[8:9], v[12:13], 1.0
	v_fmac_f64_e32 v[12:13], v[12:13], v[34:35]
	v_mul_f64 v[34:35], v[14:15], v[12:13]
	v_fma_f64 v[8:9], -v[8:9], v[34:35], v[14:15]
	v_div_fmas_f64 v[8:9], v[8:9], v[12:13], v[34:35]
	v_div_fixup_f64 v[12:13], v[8:9], v[2:3], v[0:1]
	v_fmac_f64_e32 v[2:3], v[0:1], v[12:13]
	v_div_scale_f64 v[0:1], s[10:11], v[2:3], v[2:3], 1.0
	v_rcp_f64_e32 v[8:9], v[0:1]
	s_nop 0
	v_fma_f64 v[14:15], -v[0:1], v[8:9], 1.0
	v_fmac_f64_e32 v[8:9], v[8:9], v[14:15]
	v_fma_f64 v[14:15], -v[0:1], v[8:9], 1.0
	v_fmac_f64_e32 v[8:9], v[8:9], v[14:15]
	v_div_scale_f64 v[14:15], vcc, 1.0, v[2:3], 1.0
	v_mul_f64 v[34:35], v[14:15], v[8:9]
	v_fma_f64 v[0:1], -v[0:1], v[34:35], v[14:15]
	s_nop 1
	v_div_fmas_f64 v[0:1], v[0:1], v[8:9], v[34:35]
	v_div_fixup_f64 v[8:9], v[0:1], v[2:3], 1.0
	v_mul_f64 v[34:35], v[12:13], v[8:9]
	v_xor_b32_e32 v9, 0x80000000, v9
                                        ; implicit-def: $vgpr0_vgpr1
.LBB127_213:
	s_andn2_saveexec_b64 s[2:3], s[2:3]
	s_cbranch_execz .LBB127_215
; %bb.214:
	v_div_scale_f64 v[8:9], s[10:11], v[0:1], v[0:1], v[2:3]
	v_rcp_f64_e32 v[12:13], v[8:9]
	v_div_scale_f64 v[14:15], vcc, v[2:3], v[0:1], v[2:3]
	v_fma_f64 v[34:35], -v[8:9], v[12:13], 1.0
	v_fmac_f64_e32 v[12:13], v[12:13], v[34:35]
	v_fma_f64 v[34:35], -v[8:9], v[12:13], 1.0
	v_fmac_f64_e32 v[12:13], v[12:13], v[34:35]
	v_mul_f64 v[34:35], v[14:15], v[12:13]
	v_fma_f64 v[8:9], -v[8:9], v[34:35], v[14:15]
	v_div_fmas_f64 v[8:9], v[8:9], v[12:13], v[34:35]
	v_div_fixup_f64 v[8:9], v[8:9], v[0:1], v[2:3]
	v_fmac_f64_e32 v[0:1], v[2:3], v[8:9]
	v_div_scale_f64 v[2:3], s[10:11], v[0:1], v[0:1], 1.0
	v_rcp_f64_e32 v[12:13], v[2:3]
	s_nop 0
	v_fma_f64 v[14:15], -v[2:3], v[12:13], 1.0
	v_fmac_f64_e32 v[12:13], v[12:13], v[14:15]
	v_fma_f64 v[14:15], -v[2:3], v[12:13], 1.0
	v_fmac_f64_e32 v[12:13], v[12:13], v[14:15]
	v_div_scale_f64 v[14:15], vcc, 1.0, v[0:1], 1.0
	v_mul_f64 v[34:35], v[14:15], v[12:13]
	v_fma_f64 v[2:3], -v[2:3], v[34:35], v[14:15]
	s_nop 1
	v_div_fmas_f64 v[2:3], v[2:3], v[12:13], v[34:35]
	v_div_fixup_f64 v[34:35], v[2:3], v[0:1], 1.0
	v_mul_f64 v[8:9], v[8:9], -v[34:35]
.LBB127_215:
	s_or_b64 exec, exec, s[2:3]
	ds_write2_b64 v10, v[34:35], v[8:9] offset1:1
.LBB127_216:
	s_or_b64 exec, exec, s[4:5]
	s_waitcnt lgkmcnt(0)
	s_barrier
	ds_read2_b64 v[64:67], v10 offset1:1
	v_cmp_lt_u32_e32 vcc, 16, v254
	s_and_saveexec_b64 s[2:3], vcc
	s_cbranch_execz .LBB127_221
; %bb.217:
	scratch_load_dwordx4 v[68:71], off, off offset:256
	v_add_u32_e32 v8, 0x110, v11
	s_movk_i32 s10, 0xfd80
	s_waitcnt vmcnt(0) lgkmcnt(0)
	v_mul_f64 v[0:1], v[66:67], v[70:71]
	v_mul_f64 v[2:3], v[64:65], v[70:71]
	v_fma_f64 v[0:1], v[64:65], v[68:69], -v[0:1]
	v_fmac_f64_e32 v[2:3], v[66:67], v[68:69]
	scratch_store_dwordx4 off, v[0:3], off offset:256
	s_branch .LBB127_219
.LBB127_218:                            ;   in Loop: Header=BB127_219 Depth=1
	scratch_load_dwordx4 v[0:3], off, off offset:256
	s_addk_i32 s4, 0x400
	scratch_load_dwordx4 v[68:71], off, s4
	ds_read2_b64 v[72:75], v9 offset0:94 offset1:95
	s_addk_i32 s10, 0x80
	s_waitcnt vmcnt(1) lgkmcnt(0)
	v_mul_f64 v[12:13], v[74:75], v[2:3]
	v_mul_f64 v[2:3], v[72:73], v[2:3]
	v_fma_f64 v[12:13], v[72:73], v[0:1], -v[12:13]
	v_fmac_f64_e32 v[2:3], v[74:75], v[0:1]
	s_waitcnt vmcnt(0)
	v_add_f64 v[0:1], v[68:69], -v[12:13]
	v_add_f64 v[2:3], v[70:71], -v[2:3]
	scratch_store_dwordx4 off, v[0:3], s4
	scratch_load_dwordx4 v[0:3], off, off offset:256
	s_cbranch_execz .LBB127_221
.LBB127_219:                            ; =>This Inner Loop Header: Depth=1
	s_add_i32 s5, s10, 0x390
	scratch_load_dwordx4 v[68:71], off, s5
	v_add_u32_e32 v9, s10, v8
	ds_read2_b64 v[72:75], v9 offset0:80 offset1:81
	ds_read2_b64 v[76:79], v9 offset0:82 offset1:83
	s_add_i32 s11, s10, 0x3a0
	scratch_load_dwordx4 v[80:83], off, s11
	s_add_i32 s48, s10, 0x3c0
	s_waitcnt vmcnt(2) lgkmcnt(1)
	v_mul_f64 v[12:13], v[74:75], v[2:3]
	v_mul_f64 v[2:3], v[72:73], v[2:3]
	v_fma_f64 v[12:13], v[72:73], v[0:1], -v[12:13]
	v_fmac_f64_e32 v[2:3], v[74:75], v[0:1]
	s_mov_b32 s4, s10
	s_waitcnt vmcnt(1)
	v_add_f64 v[0:1], v[68:69], -v[12:13]
	v_add_f64 v[2:3], v[70:71], -v[2:3]
	scratch_store_dwordx4 off, v[0:3], s5
	scratch_load_dwordx4 v[0:3], off, off offset:256
	s_add_i32 s5, s10, 0x3f0
	scratch_load_dwordx4 v[68:71], off, s5
	s_waitcnt vmcnt(1) lgkmcnt(0)
	v_mul_f64 v[12:13], v[78:79], v[2:3]
	v_mul_f64 v[2:3], v[76:77], v[2:3]
	v_fma_f64 v[12:13], v[76:77], v[0:1], -v[12:13]
	v_fmac_f64_e32 v[2:3], v[78:79], v[0:1]
	v_add_f64 v[0:1], v[80:81], -v[12:13]
	v_add_f64 v[2:3], v[82:83], -v[2:3]
	scratch_store_dwordx4 off, v[0:3], s11
	scratch_load_dwordx4 v[0:3], off, off offset:256
	s_add_i32 s11, s10, 0x3b0
	scratch_load_dwordx4 v[72:75], off, s11
	ds_read2_b64 v[76:79], v9 offset0:84 offset1:85
	ds_read2_b64 v[80:83], v9 offset0:86 offset1:87
	scratch_load_dwordx4 v[84:87], off, s48
	s_waitcnt vmcnt(2) lgkmcnt(1)
	v_mul_f64 v[12:13], v[78:79], v[2:3]
	v_mul_f64 v[2:3], v[76:77], v[2:3]
	v_fma_f64 v[12:13], v[76:77], v[0:1], -v[12:13]
	v_fmac_f64_e32 v[2:3], v[78:79], v[0:1]
	s_waitcnt vmcnt(1)
	v_add_f64 v[0:1], v[72:73], -v[12:13]
	v_add_f64 v[2:3], v[74:75], -v[2:3]
	scratch_store_dwordx4 off, v[0:3], s11
	scratch_load_dwordx4 v[0:3], off, off offset:256
	s_add_i32 s11, s10, 0x3d0
	scratch_load_dwordx4 v[72:75], off, s11
	s_waitcnt vmcnt(1) lgkmcnt(0)
	v_mul_f64 v[12:13], v[82:83], v[2:3]
	v_mul_f64 v[2:3], v[80:81], v[2:3]
	v_fma_f64 v[12:13], v[80:81], v[0:1], -v[12:13]
	v_fmac_f64_e32 v[2:3], v[82:83], v[0:1]
	v_add_f64 v[0:1], v[84:85], -v[12:13]
	v_add_f64 v[2:3], v[86:87], -v[2:3]
	scratch_store_dwordx4 off, v[0:3], s48
	scratch_load_dwordx4 v[0:3], off, off offset:256
	ds_read2_b64 v[76:79], v9 offset0:88 offset1:89
	ds_read2_b64 v[80:83], v9 offset0:90 offset1:91
	s_add_i32 s48, s10, 0x3e0
	scratch_load_dwordx4 v[84:87], off, s48
	s_cmp_eq_u32 s10, 0
	s_waitcnt vmcnt(1) lgkmcnt(1)
	v_mul_f64 v[12:13], v[78:79], v[2:3]
	v_mul_f64 v[2:3], v[76:77], v[2:3]
	v_fma_f64 v[12:13], v[76:77], v[0:1], -v[12:13]
	v_fmac_f64_e32 v[2:3], v[78:79], v[0:1]
	v_add_f64 v[0:1], v[72:73], -v[12:13]
	v_add_f64 v[2:3], v[74:75], -v[2:3]
	scratch_store_dwordx4 off, v[0:3], s11
	scratch_load_dwordx4 v[0:3], off, off offset:256
	ds_read2_b64 v[72:75], v9 offset0:92 offset1:93
	s_waitcnt vmcnt(0) lgkmcnt(1)
	v_mul_f64 v[12:13], v[82:83], v[2:3]
	v_mul_f64 v[2:3], v[80:81], v[2:3]
	v_fma_f64 v[12:13], v[80:81], v[0:1], -v[12:13]
	v_fmac_f64_e32 v[2:3], v[82:83], v[0:1]
	v_add_f64 v[0:1], v[84:85], -v[12:13]
	v_add_f64 v[2:3], v[86:87], -v[2:3]
	scratch_store_dwordx4 off, v[0:3], s48
	scratch_load_dwordx4 v[0:3], off, off offset:256
	s_waitcnt vmcnt(0) lgkmcnt(0)
	v_mul_f64 v[12:13], v[74:75], v[2:3]
	v_mul_f64 v[2:3], v[72:73], v[2:3]
	v_fma_f64 v[12:13], v[72:73], v[0:1], -v[12:13]
	v_fmac_f64_e32 v[2:3], v[74:75], v[0:1]
	v_add_f64 v[0:1], v[68:69], -v[12:13]
	v_add_f64 v[2:3], v[70:71], -v[2:3]
	scratch_store_dwordx4 off, v[0:3], s5
	s_cbranch_scc0 .LBB127_218
; %bb.220:
                                        ; implicit-def: $vgpr0_vgpr1
                                        ; implicit-def: $sgpr10
.LBB127_221:
	s_or_b64 exec, exec, s[2:3]
	v_cmp_eq_u32_e32 vcc, 17, v254
	s_waitcnt lgkmcnt(0)
	s_barrier
	s_and_saveexec_b64 s[4:5], vcc
	s_cbranch_execz .LBB127_230
; %bb.222:
	scratch_load_dwordx4 v[0:3], off, s59
	s_mov_b32 s2, 0
	s_waitcnt vmcnt(0)
	ds_write2_b64 v10, v[0:1], v[2:3] offset1:1
	v_add_u32_e32 v0, 0x120, v11
.LBB127_223:                            ; =>This Inner Loop Header: Depth=1
	s_add_i32 s10, s2, 0x120
	s_add_i32 s3, s2, 0x130
	scratch_load_dwordx4 v[68:71], off, s10
	scratch_load_dwordx4 v[72:75], off, s3
	v_add_u32_e32 v1, s2, v0
	s_add_i32 s2, s2, 32
	s_cmpk_lg_i32 s2, 0x2e0
	s_waitcnt vmcnt(1)
	ds_write2_b64 v1, v[68:69], v[70:71] offset1:1
	s_waitcnt vmcnt(0)
	ds_write2_b64 v1, v[72:73], v[74:75] offset0:2 offset1:3
	s_cbranch_scc1 .LBB127_223
; %bb.224:
	ds_read2_b64 v[0:3], v10 offset1:1
	s_waitcnt lgkmcnt(0)
	v_cmp_neq_f64_e32 vcc, 0, v[0:1]
	v_cmp_neq_f64_e64 s[2:3], 0, v[2:3]
	s_or_b64 s[2:3], vcc, s[2:3]
	s_and_b64 exec, exec, s[2:3]
	s_cbranch_execz .LBB127_230
; %bb.225:
	v_cmp_ngt_f64_e64 s[2:3], |v[0:1]|, |v[2:3]|
                                        ; implicit-def: $vgpr34_vgpr35
	s_and_saveexec_b64 s[10:11], s[2:3]
	s_xor_b64 s[2:3], exec, s[10:11]
                                        ; implicit-def: $vgpr8_vgpr9
	s_cbranch_execz .LBB127_227
; %bb.226:
	v_div_scale_f64 v[8:9], s[10:11], v[2:3], v[2:3], v[0:1]
	v_rcp_f64_e32 v[12:13], v[8:9]
	v_div_scale_f64 v[14:15], vcc, v[0:1], v[2:3], v[0:1]
	v_fma_f64 v[34:35], -v[8:9], v[12:13], 1.0
	v_fmac_f64_e32 v[12:13], v[12:13], v[34:35]
	v_fma_f64 v[34:35], -v[8:9], v[12:13], 1.0
	v_fmac_f64_e32 v[12:13], v[12:13], v[34:35]
	v_mul_f64 v[34:35], v[14:15], v[12:13]
	v_fma_f64 v[8:9], -v[8:9], v[34:35], v[14:15]
	v_div_fmas_f64 v[8:9], v[8:9], v[12:13], v[34:35]
	v_div_fixup_f64 v[12:13], v[8:9], v[2:3], v[0:1]
	v_fmac_f64_e32 v[2:3], v[0:1], v[12:13]
	v_div_scale_f64 v[0:1], s[10:11], v[2:3], v[2:3], 1.0
	v_rcp_f64_e32 v[8:9], v[0:1]
	s_nop 0
	v_fma_f64 v[14:15], -v[0:1], v[8:9], 1.0
	v_fmac_f64_e32 v[8:9], v[8:9], v[14:15]
	v_fma_f64 v[14:15], -v[0:1], v[8:9], 1.0
	v_fmac_f64_e32 v[8:9], v[8:9], v[14:15]
	v_div_scale_f64 v[14:15], vcc, 1.0, v[2:3], 1.0
	v_mul_f64 v[34:35], v[14:15], v[8:9]
	v_fma_f64 v[0:1], -v[0:1], v[34:35], v[14:15]
	s_nop 1
	v_div_fmas_f64 v[0:1], v[0:1], v[8:9], v[34:35]
	v_div_fixup_f64 v[8:9], v[0:1], v[2:3], 1.0
	v_mul_f64 v[34:35], v[12:13], v[8:9]
	v_xor_b32_e32 v9, 0x80000000, v9
                                        ; implicit-def: $vgpr0_vgpr1
.LBB127_227:
	s_andn2_saveexec_b64 s[2:3], s[2:3]
	s_cbranch_execz .LBB127_229
; %bb.228:
	v_div_scale_f64 v[8:9], s[10:11], v[0:1], v[0:1], v[2:3]
	v_rcp_f64_e32 v[12:13], v[8:9]
	v_div_scale_f64 v[14:15], vcc, v[2:3], v[0:1], v[2:3]
	v_fma_f64 v[34:35], -v[8:9], v[12:13], 1.0
	v_fmac_f64_e32 v[12:13], v[12:13], v[34:35]
	v_fma_f64 v[34:35], -v[8:9], v[12:13], 1.0
	v_fmac_f64_e32 v[12:13], v[12:13], v[34:35]
	v_mul_f64 v[34:35], v[14:15], v[12:13]
	v_fma_f64 v[8:9], -v[8:9], v[34:35], v[14:15]
	v_div_fmas_f64 v[8:9], v[8:9], v[12:13], v[34:35]
	v_div_fixup_f64 v[8:9], v[8:9], v[0:1], v[2:3]
	v_fmac_f64_e32 v[0:1], v[2:3], v[8:9]
	v_div_scale_f64 v[2:3], s[10:11], v[0:1], v[0:1], 1.0
	v_rcp_f64_e32 v[12:13], v[2:3]
	s_nop 0
	v_fma_f64 v[14:15], -v[2:3], v[12:13], 1.0
	v_fmac_f64_e32 v[12:13], v[12:13], v[14:15]
	v_fma_f64 v[14:15], -v[2:3], v[12:13], 1.0
	v_fmac_f64_e32 v[12:13], v[12:13], v[14:15]
	v_div_scale_f64 v[14:15], vcc, 1.0, v[0:1], 1.0
	v_mul_f64 v[34:35], v[14:15], v[12:13]
	v_fma_f64 v[2:3], -v[2:3], v[34:35], v[14:15]
	s_nop 1
	v_div_fmas_f64 v[2:3], v[2:3], v[12:13], v[34:35]
	v_div_fixup_f64 v[34:35], v[2:3], v[0:1], 1.0
	v_mul_f64 v[8:9], v[8:9], -v[34:35]
.LBB127_229:
	s_or_b64 exec, exec, s[2:3]
	ds_write2_b64 v10, v[34:35], v[8:9] offset1:1
.LBB127_230:
	s_or_b64 exec, exec, s[4:5]
	s_waitcnt lgkmcnt(0)
	s_barrier
	ds_read2_b64 v[68:71], v10 offset1:1
	v_cmp_lt_u32_e32 vcc, 17, v254
	s_and_saveexec_b64 s[2:3], vcc
	s_cbranch_execz .LBB127_233
; %bb.231:
	scratch_load_dwordx4 v[72:75], off, off offset:272
	s_mov_b32 s4, 0
	v_add_u32_e32 v8, 0x120, v11
	s_waitcnt vmcnt(0) lgkmcnt(0)
	v_mul_f64 v[0:1], v[70:71], v[74:75]
	v_mul_f64 v[2:3], v[68:69], v[74:75]
	v_fma_f64 v[0:1], v[68:69], v[72:73], -v[0:1]
	v_fmac_f64_e32 v[2:3], v[70:71], v[72:73]
	scratch_store_dwordx4 off, v[0:3], off offset:272
.LBB127_232:                            ; =>This Inner Loop Header: Depth=1
	s_add_i32 s10, s4, 0x120
	s_add_i32 s5, s4, 0x130
	scratch_load_dwordx4 v[72:75], off, s10
	scratch_load_dwordx4 v[76:79], off, s5
	v_add_u32_e32 v9, s4, v8
	ds_read2_b64 v[80:83], v9 offset1:1
	ds_read2_b64 v[84:87], v9 offset0:2 offset1:3
	s_add_i32 s4, s4, 32
	s_cmpk_lg_i32 s4, 0x2e0
	s_waitcnt lgkmcnt(1)
	v_mul_f64 v[12:13], v[82:83], v[2:3]
	v_mul_f64 v[14:15], v[80:81], v[2:3]
	s_waitcnt lgkmcnt(0)
	v_mul_f64 v[34:35], v[86:87], v[2:3]
	v_mul_f64 v[88:89], v[84:85], v[2:3]
	v_fma_f64 v[12:13], v[80:81], v[0:1], -v[12:13]
	v_fmac_f64_e32 v[14:15], v[82:83], v[0:1]
	v_fma_f64 v[34:35], v[84:85], v[0:1], -v[34:35]
	v_fmac_f64_e32 v[88:89], v[86:87], v[0:1]
	s_waitcnt vmcnt(1)
	v_add_f64 v[72:73], v[72:73], -v[12:13]
	v_add_f64 v[74:75], v[74:75], -v[14:15]
	s_waitcnt vmcnt(0)
	v_add_f64 v[76:77], v[76:77], -v[34:35]
	v_add_f64 v[78:79], v[78:79], -v[88:89]
	scratch_store_dwordx4 off, v[72:75], s10
	scratch_store_dwordx4 off, v[76:79], s5
	s_cbranch_scc1 .LBB127_232
.LBB127_233:
	s_or_b64 exec, exec, s[2:3]
	v_cmp_eq_u32_e32 vcc, 18, v254
	s_waitcnt lgkmcnt(0)
	s_barrier
	s_and_saveexec_b64 s[4:5], vcc
	s_cbranch_execz .LBB127_242
; %bb.234:
	scratch_load_dwordx4 v[72:75], off, s58
	s_waitcnt vmcnt(1)
	v_add_u32_e32 v0, 0x130, v11
	s_movk_i32 s2, 0xfd30
	s_waitcnt vmcnt(0)
	ds_write2_b64 v10, v[72:73], v[74:75] offset1:1
.LBB127_235:                            ; =>This Inner Loop Header: Depth=1
	s_add_i32 s10, s2, 0x400
	scratch_load_dwordx4 v[72:75], off, s10
	v_add_u32_e32 v1, s2, v0
	s_add_i32 s10, s2, 0x410
	s_add_i32 s3, s2, 0x4e0
	s_waitcnt vmcnt(0)
	ds_write2_b64 v1, v[72:73], v[74:75] offset0:90 offset1:91
	scratch_load_dwordx4 v[72:75], off, s10
	s_add_i32 s10, s2, 0x420
	s_waitcnt vmcnt(0)
	ds_write2_b64 v1, v[72:73], v[74:75] offset0:92 offset1:93
	scratch_load_dwordx4 v[72:75], off, s10
	;; [unrolled: 4-line block ×12, first 2 shown]
	s_add_i32 s10, s2, 0x4d0
	s_addk_i32 s2, 0xf0
	s_cmp_lg_u32 s2, 0
	s_waitcnt vmcnt(0)
	ds_write2_b64 v1, v[72:73], v[74:75] offset0:114 offset1:115
	scratch_load_dwordx4 v[72:75], off, s10
	s_waitcnt vmcnt(0)
	ds_write2_b64 v1, v[72:73], v[74:75] offset0:116 offset1:117
	scratch_load_dwordx4 v[72:75], off, s3
	s_waitcnt vmcnt(0)
	ds_write2_b64 v1, v[72:73], v[74:75] offset0:118 offset1:119
	s_cbranch_scc1 .LBB127_235
; %bb.236:
	ds_read2_b64 v[0:3], v10 offset1:1
	s_waitcnt lgkmcnt(0)
	v_cmp_neq_f64_e32 vcc, 0, v[0:1]
	v_cmp_neq_f64_e64 s[2:3], 0, v[2:3]
	s_or_b64 s[2:3], vcc, s[2:3]
	s_and_b64 exec, exec, s[2:3]
	s_cbranch_execz .LBB127_242
; %bb.237:
	v_cmp_ngt_f64_e64 s[2:3], |v[0:1]|, |v[2:3]|
                                        ; implicit-def: $vgpr34_vgpr35
	s_and_saveexec_b64 s[10:11], s[2:3]
	s_xor_b64 s[2:3], exec, s[10:11]
                                        ; implicit-def: $vgpr8_vgpr9
	s_cbranch_execz .LBB127_239
; %bb.238:
	v_div_scale_f64 v[8:9], s[10:11], v[2:3], v[2:3], v[0:1]
	v_rcp_f64_e32 v[12:13], v[8:9]
	v_div_scale_f64 v[14:15], vcc, v[0:1], v[2:3], v[0:1]
	v_fma_f64 v[34:35], -v[8:9], v[12:13], 1.0
	v_fmac_f64_e32 v[12:13], v[12:13], v[34:35]
	v_fma_f64 v[34:35], -v[8:9], v[12:13], 1.0
	v_fmac_f64_e32 v[12:13], v[12:13], v[34:35]
	v_mul_f64 v[34:35], v[14:15], v[12:13]
	v_fma_f64 v[8:9], -v[8:9], v[34:35], v[14:15]
	v_div_fmas_f64 v[8:9], v[8:9], v[12:13], v[34:35]
	v_div_fixup_f64 v[12:13], v[8:9], v[2:3], v[0:1]
	v_fmac_f64_e32 v[2:3], v[0:1], v[12:13]
	v_div_scale_f64 v[0:1], s[10:11], v[2:3], v[2:3], 1.0
	v_rcp_f64_e32 v[8:9], v[0:1]
	s_nop 0
	v_fma_f64 v[14:15], -v[0:1], v[8:9], 1.0
	v_fmac_f64_e32 v[8:9], v[8:9], v[14:15]
	v_fma_f64 v[14:15], -v[0:1], v[8:9], 1.0
	v_fmac_f64_e32 v[8:9], v[8:9], v[14:15]
	v_div_scale_f64 v[14:15], vcc, 1.0, v[2:3], 1.0
	v_mul_f64 v[34:35], v[14:15], v[8:9]
	v_fma_f64 v[0:1], -v[0:1], v[34:35], v[14:15]
	s_nop 1
	v_div_fmas_f64 v[0:1], v[0:1], v[8:9], v[34:35]
	v_div_fixup_f64 v[8:9], v[0:1], v[2:3], 1.0
	v_mul_f64 v[34:35], v[12:13], v[8:9]
	v_xor_b32_e32 v9, 0x80000000, v9
                                        ; implicit-def: $vgpr0_vgpr1
.LBB127_239:
	s_andn2_saveexec_b64 s[2:3], s[2:3]
	s_cbranch_execz .LBB127_241
; %bb.240:
	v_div_scale_f64 v[8:9], s[10:11], v[0:1], v[0:1], v[2:3]
	v_rcp_f64_e32 v[12:13], v[8:9]
	v_div_scale_f64 v[14:15], vcc, v[2:3], v[0:1], v[2:3]
	v_fma_f64 v[34:35], -v[8:9], v[12:13], 1.0
	v_fmac_f64_e32 v[12:13], v[12:13], v[34:35]
	v_fma_f64 v[34:35], -v[8:9], v[12:13], 1.0
	v_fmac_f64_e32 v[12:13], v[12:13], v[34:35]
	v_mul_f64 v[34:35], v[14:15], v[12:13]
	v_fma_f64 v[8:9], -v[8:9], v[34:35], v[14:15]
	v_div_fmas_f64 v[8:9], v[8:9], v[12:13], v[34:35]
	v_div_fixup_f64 v[8:9], v[8:9], v[0:1], v[2:3]
	v_fmac_f64_e32 v[0:1], v[2:3], v[8:9]
	v_div_scale_f64 v[2:3], s[10:11], v[0:1], v[0:1], 1.0
	v_rcp_f64_e32 v[12:13], v[2:3]
	s_nop 0
	v_fma_f64 v[14:15], -v[2:3], v[12:13], 1.0
	v_fmac_f64_e32 v[12:13], v[12:13], v[14:15]
	v_fma_f64 v[14:15], -v[2:3], v[12:13], 1.0
	v_fmac_f64_e32 v[12:13], v[12:13], v[14:15]
	v_div_scale_f64 v[14:15], vcc, 1.0, v[0:1], 1.0
	v_mul_f64 v[34:35], v[14:15], v[12:13]
	v_fma_f64 v[2:3], -v[2:3], v[34:35], v[14:15]
	s_nop 1
	v_div_fmas_f64 v[2:3], v[2:3], v[12:13], v[34:35]
	v_div_fixup_f64 v[34:35], v[2:3], v[0:1], 1.0
	v_mul_f64 v[8:9], v[8:9], -v[34:35]
.LBB127_241:
	s_or_b64 exec, exec, s[2:3]
	ds_write2_b64 v10, v[34:35], v[8:9] offset1:1
.LBB127_242:
	s_or_b64 exec, exec, s[4:5]
	s_waitcnt lgkmcnt(0)
	s_barrier
	ds_read2_b64 v[72:75], v10 offset1:1
	v_cmp_lt_u32_e32 vcc, 18, v254
	s_and_saveexec_b64 s[2:3], vcc
	s_cbranch_execz .LBB127_245
; %bb.243:
	scratch_load_dwordx4 v[76:79], off, off offset:288
	s_waitcnt vmcnt(1)
	v_add_u32_e32 v0, 0x130, v11
	s_movk_i32 s4, 0xfd30
	s_waitcnt vmcnt(0) lgkmcnt(0)
	v_mul_f64 v[2:3], v[74:75], v[78:79]
	v_mul_f64 v[80:81], v[72:73], v[78:79]
	v_fma_f64 v[78:79], v[72:73], v[76:77], -v[2:3]
	v_fmac_f64_e32 v[80:81], v[74:75], v[76:77]
	scratch_store_dwordx4 off, v[78:81], off offset:288
.LBB127_244:                            ; =>This Inner Loop Header: Depth=1
	scratch_load_dwordx4 v[76:79], off, off offset:288
	s_add_i32 s10, s4, 0x400
	scratch_load_dwordx4 v[80:83], off, s10
	v_add_u32_e32 v1, s4, v0
	ds_read2_b64 v[84:87], v1 offset0:90 offset1:91
	ds_read2_b64 v[88:91], v1 offset0:92 offset1:93
	s_add_i32 s11, s4, 0x410
	s_add_i32 s48, s4, 0x480
	scratch_load_dwordx4 v[92:95], off, s11
	scratch_load_dwordx4 v[96:99], off, s48
	s_add_i32 s5, s4, 0x470
	s_waitcnt vmcnt(3) lgkmcnt(1)
	v_mul_f64 v[2:3], v[86:87], v[78:79]
	v_mul_f64 v[8:9], v[84:85], v[78:79]
	v_fma_f64 v[2:3], v[84:85], v[76:77], -v[2:3]
	v_fmac_f64_e32 v[8:9], v[86:87], v[76:77]
	s_waitcnt vmcnt(2)
	v_add_f64 v[76:77], v[80:81], -v[2:3]
	v_add_f64 v[78:79], v[82:83], -v[8:9]
	scratch_store_dwordx4 off, v[76:79], s10
	scratch_load_dwordx4 v[76:79], off, off offset:288
	s_add_i32 s10, s4, 0x420
	s_waitcnt vmcnt(0) lgkmcnt(0)
	v_mul_f64 v[2:3], v[90:91], v[78:79]
	v_mul_f64 v[8:9], v[88:89], v[78:79]
	v_fma_f64 v[2:3], v[88:89], v[76:77], -v[2:3]
	v_fmac_f64_e32 v[8:9], v[90:91], v[76:77]
	v_add_f64 v[76:77], v[92:93], -v[2:3]
	v_add_f64 v[78:79], v[94:95], -v[8:9]
	scratch_store_dwordx4 off, v[76:79], s11
	scratch_load_dwordx4 v[76:79], off, off offset:288
	s_nop 0
	scratch_load_dwordx4 v[80:83], off, s10
	ds_read2_b64 v[84:87], v1 offset0:94 offset1:95
	ds_read2_b64 v[88:91], v1 offset0:96 offset1:97
	s_add_i32 s11, s4, 0x430
	scratch_load_dwordx4 v[92:95], off, s11
	s_waitcnt vmcnt(2) lgkmcnt(1)
	v_mul_f64 v[2:3], v[86:87], v[78:79]
	v_mul_f64 v[8:9], v[84:85], v[78:79]
	v_fma_f64 v[2:3], v[84:85], v[76:77], -v[2:3]
	v_fmac_f64_e32 v[8:9], v[86:87], v[76:77]
	s_waitcnt vmcnt(1)
	v_add_f64 v[76:77], v[80:81], -v[2:3]
	v_add_f64 v[78:79], v[82:83], -v[8:9]
	scratch_store_dwordx4 off, v[76:79], s10
	scratch_load_dwordx4 v[76:79], off, off offset:288
	s_add_i32 s10, s4, 0x440
	s_waitcnt vmcnt(0) lgkmcnt(0)
	v_mul_f64 v[2:3], v[90:91], v[78:79]
	v_mul_f64 v[8:9], v[88:89], v[78:79]
	v_fma_f64 v[2:3], v[88:89], v[76:77], -v[2:3]
	v_fmac_f64_e32 v[8:9], v[90:91], v[76:77]
	v_add_f64 v[76:77], v[92:93], -v[2:3]
	v_add_f64 v[78:79], v[94:95], -v[8:9]
	scratch_store_dwordx4 off, v[76:79], s11
	scratch_load_dwordx4 v[76:79], off, off offset:288
	s_nop 0
	scratch_load_dwordx4 v[80:83], off, s10
	ds_read2_b64 v[84:87], v1 offset0:98 offset1:99
	ds_read2_b64 v[88:91], v1 offset0:100 offset1:101
	s_add_i32 s11, s4, 0x450
	scratch_load_dwordx4 v[92:95], off, s11
	s_waitcnt vmcnt(2) lgkmcnt(1)
	v_mul_f64 v[2:3], v[86:87], v[78:79]
	v_mul_f64 v[8:9], v[84:85], v[78:79]
	v_fma_f64 v[2:3], v[84:85], v[76:77], -v[2:3]
	v_fmac_f64_e32 v[8:9], v[86:87], v[76:77]
	s_waitcnt vmcnt(1)
	v_add_f64 v[76:77], v[80:81], -v[2:3]
	v_add_f64 v[78:79], v[82:83], -v[8:9]
	scratch_store_dwordx4 off, v[76:79], s10
	scratch_load_dwordx4 v[76:79], off, off offset:288
	s_add_i32 s10, s4, 0x460
	s_addk_i32 s4, 0x90
	s_cmp_lg_u32 s4, 0
	s_waitcnt vmcnt(0) lgkmcnt(0)
	v_mul_f64 v[2:3], v[90:91], v[78:79]
	v_mul_f64 v[8:9], v[88:89], v[78:79]
	v_fma_f64 v[2:3], v[88:89], v[76:77], -v[2:3]
	v_fmac_f64_e32 v[8:9], v[90:91], v[76:77]
	v_add_f64 v[76:77], v[92:93], -v[2:3]
	v_add_f64 v[78:79], v[94:95], -v[8:9]
	scratch_store_dwordx4 off, v[76:79], s11
	scratch_load_dwordx4 v[76:79], off, off offset:288
	s_nop 0
	scratch_load_dwordx4 v[80:83], off, s10
	ds_read2_b64 v[84:87], v1 offset0:102 offset1:103
	ds_read2_b64 v[88:91], v1 offset0:104 offset1:105
	scratch_load_dwordx4 v[92:95], off, s5
	s_waitcnt vmcnt(2) lgkmcnt(1)
	v_mul_f64 v[2:3], v[86:87], v[78:79]
	v_mul_f64 v[8:9], v[84:85], v[78:79]
	v_fma_f64 v[2:3], v[84:85], v[76:77], -v[2:3]
	v_fmac_f64_e32 v[8:9], v[86:87], v[76:77]
	s_waitcnt vmcnt(1)
	v_add_f64 v[76:77], v[80:81], -v[2:3]
	v_add_f64 v[78:79], v[82:83], -v[8:9]
	scratch_store_dwordx4 off, v[76:79], s10
	scratch_load_dwordx4 v[76:79], off, off offset:288
	ds_read2_b64 v[80:83], v1 offset0:106 offset1:107
	s_waitcnt vmcnt(0) lgkmcnt(1)
	v_mul_f64 v[2:3], v[90:91], v[78:79]
	v_mul_f64 v[8:9], v[88:89], v[78:79]
	v_fma_f64 v[2:3], v[88:89], v[76:77], -v[2:3]
	v_fmac_f64_e32 v[8:9], v[90:91], v[76:77]
	v_add_f64 v[76:77], v[92:93], -v[2:3]
	v_add_f64 v[78:79], v[94:95], -v[8:9]
	scratch_store_dwordx4 off, v[76:79], s5
	scratch_load_dwordx4 v[76:79], off, off offset:288
	s_waitcnt vmcnt(0) lgkmcnt(0)
	v_mul_f64 v[2:3], v[82:83], v[78:79]
	v_mul_f64 v[8:9], v[80:81], v[78:79]
	v_fma_f64 v[2:3], v[80:81], v[76:77], -v[2:3]
	v_fmac_f64_e32 v[8:9], v[82:83], v[76:77]
	v_add_f64 v[76:77], v[96:97], -v[2:3]
	v_add_f64 v[78:79], v[98:99], -v[8:9]
	scratch_store_dwordx4 off, v[76:79], s48
	s_cbranch_scc1 .LBB127_244
.LBB127_245:
	s_or_b64 exec, exec, s[2:3]
	v_cmp_eq_u32_e32 vcc, 19, v254
	s_waitcnt lgkmcnt(0)
	s_barrier
	s_and_saveexec_b64 s[4:5], vcc
	s_cbranch_execz .LBB127_254
; %bb.246:
	scratch_load_dwordx4 v[76:79], off, s57
	s_waitcnt vmcnt(1)
	v_add_u32_e32 v0, 0x140, v11
	s_movk_i32 s2, 0xfd40
	s_waitcnt vmcnt(0)
	ds_write2_b64 v10, v[76:77], v[78:79] offset1:1
.LBB127_247:                            ; =>This Inner Loop Header: Depth=1
	s_add_i32 s10, s2, 0x400
	s_add_i32 s11, s2, 0x410
	;; [unrolled: 1-line block ×11, first 2 shown]
	scratch_load_dwordx4 v[76:79], off, s10
	scratch_load_dwordx4 v[80:83], off, s11
	;; [unrolled: 1-line block ×11, first 2 shown]
	v_add_u32_e32 v1, s2, v0
	s_addk_i32 s2, 0xb0
	s_cmp_lg_u32 s2, 0
	s_waitcnt vmcnt(10)
	ds_write2_b64 v1, v[76:77], v[78:79] offset0:88 offset1:89
	s_waitcnt vmcnt(9)
	ds_write2_b64 v1, v[80:81], v[82:83] offset0:90 offset1:91
	;; [unrolled: 2-line block ×11, first 2 shown]
	s_cbranch_scc1 .LBB127_247
; %bb.248:
	ds_read2_b64 v[0:3], v10 offset1:1
	s_waitcnt lgkmcnt(0)
	v_cmp_neq_f64_e32 vcc, 0, v[0:1]
	v_cmp_neq_f64_e64 s[2:3], 0, v[2:3]
	s_or_b64 s[2:3], vcc, s[2:3]
	s_and_b64 exec, exec, s[2:3]
	s_cbranch_execz .LBB127_254
; %bb.249:
	v_cmp_ngt_f64_e64 s[2:3], |v[0:1]|, |v[2:3]|
                                        ; implicit-def: $vgpr34_vgpr35
	s_and_saveexec_b64 s[10:11], s[2:3]
	s_xor_b64 s[2:3], exec, s[10:11]
                                        ; implicit-def: $vgpr8_vgpr9
	s_cbranch_execz .LBB127_251
; %bb.250:
	v_div_scale_f64 v[8:9], s[10:11], v[2:3], v[2:3], v[0:1]
	v_rcp_f64_e32 v[12:13], v[8:9]
	v_div_scale_f64 v[14:15], vcc, v[0:1], v[2:3], v[0:1]
	v_fma_f64 v[34:35], -v[8:9], v[12:13], 1.0
	v_fmac_f64_e32 v[12:13], v[12:13], v[34:35]
	v_fma_f64 v[34:35], -v[8:9], v[12:13], 1.0
	v_fmac_f64_e32 v[12:13], v[12:13], v[34:35]
	v_mul_f64 v[34:35], v[14:15], v[12:13]
	v_fma_f64 v[8:9], -v[8:9], v[34:35], v[14:15]
	v_div_fmas_f64 v[8:9], v[8:9], v[12:13], v[34:35]
	v_div_fixup_f64 v[12:13], v[8:9], v[2:3], v[0:1]
	v_fmac_f64_e32 v[2:3], v[0:1], v[12:13]
	v_div_scale_f64 v[0:1], s[10:11], v[2:3], v[2:3], 1.0
	v_rcp_f64_e32 v[8:9], v[0:1]
	s_nop 0
	v_fma_f64 v[14:15], -v[0:1], v[8:9], 1.0
	v_fmac_f64_e32 v[8:9], v[8:9], v[14:15]
	v_fma_f64 v[14:15], -v[0:1], v[8:9], 1.0
	v_fmac_f64_e32 v[8:9], v[8:9], v[14:15]
	v_div_scale_f64 v[14:15], vcc, 1.0, v[2:3], 1.0
	v_mul_f64 v[34:35], v[14:15], v[8:9]
	v_fma_f64 v[0:1], -v[0:1], v[34:35], v[14:15]
	s_nop 1
	v_div_fmas_f64 v[0:1], v[0:1], v[8:9], v[34:35]
	v_div_fixup_f64 v[8:9], v[0:1], v[2:3], 1.0
	v_mul_f64 v[34:35], v[12:13], v[8:9]
	v_xor_b32_e32 v9, 0x80000000, v9
                                        ; implicit-def: $vgpr0_vgpr1
.LBB127_251:
	s_andn2_saveexec_b64 s[2:3], s[2:3]
	s_cbranch_execz .LBB127_253
; %bb.252:
	v_div_scale_f64 v[8:9], s[10:11], v[0:1], v[0:1], v[2:3]
	v_rcp_f64_e32 v[12:13], v[8:9]
	v_div_scale_f64 v[14:15], vcc, v[2:3], v[0:1], v[2:3]
	v_fma_f64 v[34:35], -v[8:9], v[12:13], 1.0
	v_fmac_f64_e32 v[12:13], v[12:13], v[34:35]
	v_fma_f64 v[34:35], -v[8:9], v[12:13], 1.0
	v_fmac_f64_e32 v[12:13], v[12:13], v[34:35]
	v_mul_f64 v[34:35], v[14:15], v[12:13]
	v_fma_f64 v[8:9], -v[8:9], v[34:35], v[14:15]
	v_div_fmas_f64 v[8:9], v[8:9], v[12:13], v[34:35]
	v_div_fixup_f64 v[8:9], v[8:9], v[0:1], v[2:3]
	v_fmac_f64_e32 v[0:1], v[2:3], v[8:9]
	v_div_scale_f64 v[2:3], s[10:11], v[0:1], v[0:1], 1.0
	v_rcp_f64_e32 v[12:13], v[2:3]
	s_nop 0
	v_fma_f64 v[14:15], -v[2:3], v[12:13], 1.0
	v_fmac_f64_e32 v[12:13], v[12:13], v[14:15]
	v_fma_f64 v[14:15], -v[2:3], v[12:13], 1.0
	v_fmac_f64_e32 v[12:13], v[12:13], v[14:15]
	v_div_scale_f64 v[14:15], vcc, 1.0, v[0:1], 1.0
	v_mul_f64 v[34:35], v[14:15], v[12:13]
	v_fma_f64 v[2:3], -v[2:3], v[34:35], v[14:15]
	s_nop 1
	v_div_fmas_f64 v[2:3], v[2:3], v[12:13], v[34:35]
	v_div_fixup_f64 v[34:35], v[2:3], v[0:1], 1.0
	v_mul_f64 v[8:9], v[8:9], -v[34:35]
.LBB127_253:
	s_or_b64 exec, exec, s[2:3]
	ds_write2_b64 v10, v[34:35], v[8:9] offset1:1
.LBB127_254:
	s_or_b64 exec, exec, s[4:5]
	s_waitcnt lgkmcnt(0)
	s_barrier
	ds_read2_b64 v[76:79], v10 offset1:1
	v_cmp_lt_u32_e32 vcc, 19, v254
	s_and_saveexec_b64 s[2:3], vcc
	s_cbranch_execz .LBB127_257
; %bb.255:
	scratch_load_dwordx4 v[80:83], off, off offset:304
	s_waitcnt vmcnt(1)
	v_add_u32_e32 v0, 0x140, v11
	s_movk_i32 s4, 0xfd40
	s_waitcnt vmcnt(0) lgkmcnt(0)
	v_mul_f64 v[2:3], v[78:79], v[82:83]
	v_mul_f64 v[84:85], v[76:77], v[82:83]
	v_fma_f64 v[82:83], v[76:77], v[80:81], -v[2:3]
	v_fmac_f64_e32 v[84:85], v[78:79], v[80:81]
	scratch_store_dwordx4 off, v[82:85], off offset:304
.LBB127_256:                            ; =>This Inner Loop Header: Depth=1
	scratch_load_dwordx4 v[80:83], off, off offset:304
	s_add_i32 s10, s4, 0x400
	scratch_load_dwordx4 v[84:87], off, s10
	v_add_u32_e32 v1, s4, v0
	ds_read2_b64 v[88:91], v1 offset0:88 offset1:89
	ds_read2_b64 v[92:95], v1 offset0:90 offset1:91
	s_add_i32 s11, s4, 0x410
	scratch_load_dwordx4 v[96:99], off, s11
	s_add_i32 s5, s4, 0x430
	s_waitcnt vmcnt(2) lgkmcnt(1)
	v_mul_f64 v[2:3], v[90:91], v[82:83]
	v_mul_f64 v[8:9], v[88:89], v[82:83]
	v_fma_f64 v[2:3], v[88:89], v[80:81], -v[2:3]
	v_fmac_f64_e32 v[8:9], v[90:91], v[80:81]
	s_waitcnt vmcnt(1)
	v_add_f64 v[80:81], v[84:85], -v[2:3]
	v_add_f64 v[82:83], v[86:87], -v[8:9]
	scratch_store_dwordx4 off, v[80:83], s10
	scratch_load_dwordx4 v[80:83], off, off offset:304
	s_add_i32 s10, s4, 0x420
	s_add_i32 s4, s4, 64
	s_cmp_lg_u32 s4, 0
	s_waitcnt vmcnt(0) lgkmcnt(0)
	v_mul_f64 v[2:3], v[94:95], v[82:83]
	v_mul_f64 v[8:9], v[92:93], v[82:83]
	v_fma_f64 v[2:3], v[92:93], v[80:81], -v[2:3]
	v_fmac_f64_e32 v[8:9], v[94:95], v[80:81]
	v_add_f64 v[80:81], v[96:97], -v[2:3]
	v_add_f64 v[82:83], v[98:99], -v[8:9]
	scratch_store_dwordx4 off, v[80:83], s11
	scratch_load_dwordx4 v[80:83], off, off offset:304
	s_nop 0
	scratch_load_dwordx4 v[84:87], off, s10
	ds_read2_b64 v[88:91], v1 offset0:92 offset1:93
	ds_read2_b64 v[92:95], v1 offset0:94 offset1:95
	scratch_load_dwordx4 v[96:99], off, s5
	s_waitcnt vmcnt(2) lgkmcnt(1)
	v_mul_f64 v[2:3], v[90:91], v[82:83]
	v_mul_f64 v[8:9], v[88:89], v[82:83]
	v_fma_f64 v[2:3], v[88:89], v[80:81], -v[2:3]
	v_fmac_f64_e32 v[8:9], v[90:91], v[80:81]
	s_waitcnt vmcnt(1)
	v_add_f64 v[80:81], v[84:85], -v[2:3]
	v_add_f64 v[82:83], v[86:87], -v[8:9]
	scratch_store_dwordx4 off, v[80:83], s10
	scratch_load_dwordx4 v[80:83], off, off offset:304
	s_waitcnt vmcnt(0) lgkmcnt(0)
	v_mul_f64 v[2:3], v[94:95], v[82:83]
	v_mul_f64 v[8:9], v[92:93], v[82:83]
	v_fma_f64 v[2:3], v[92:93], v[80:81], -v[2:3]
	v_fmac_f64_e32 v[8:9], v[94:95], v[80:81]
	v_add_f64 v[80:81], v[96:97], -v[2:3]
	v_add_f64 v[82:83], v[98:99], -v[8:9]
	scratch_store_dwordx4 off, v[80:83], s5
	s_cbranch_scc1 .LBB127_256
.LBB127_257:
	s_or_b64 exec, exec, s[2:3]
	v_cmp_eq_u32_e32 vcc, 20, v254
	s_waitcnt lgkmcnt(0)
	s_barrier
	s_and_saveexec_b64 s[4:5], vcc
	s_cbranch_execz .LBB127_268
; %bb.258:
	scratch_load_dwordx4 v[80:83], off, s56
	s_waitcnt vmcnt(1)
	v_add_u32_e32 v0, 0x150, v11
	s_movk_i32 s10, 0xfd80
	s_waitcnt vmcnt(0)
	ds_write2_b64 v10, v[80:81], v[82:83] offset1:1
	s_branch .LBB127_260
.LBB127_259:                            ;   in Loop: Header=BB127_260 Depth=1
	s_add_i32 s3, s2, 0x400
	s_add_i32 s11, s2, 0x410
	scratch_load_dwordx4 v[80:83], off, s3
	scratch_load_dwordx4 v[84:87], off, s11
	s_add_i32 s3, s2, 0x420
	s_add_i32 s11, s2, 0x430
	scratch_load_dwordx4 v[88:91], off, s3
	scratch_load_dwordx4 v[92:95], off, s11
	s_addk_i32 s2, 0x440
	scratch_load_dwordx4 v[96:99], off, s2
	s_addk_i32 s10, 0x80
	s_waitcnt vmcnt(4)
	ds_write2_b64 v1, v[80:81], v[82:83] offset0:86 offset1:87
	s_waitcnt vmcnt(3)
	ds_write2_b64 v1, v[84:85], v[86:87] offset0:88 offset1:89
	;; [unrolled: 2-line block ×5, first 2 shown]
	s_cbranch_execz .LBB127_262
.LBB127_260:                            ; =>This Inner Loop Header: Depth=1
	s_add_i32 s3, s10, 0x3d0
	s_add_i32 s11, s10, 0x3e0
	scratch_load_dwordx4 v[80:83], off, s3
	scratch_load_dwordx4 v[84:87], off, s11
	s_add_i32 s3, s10, 0x3f0
	scratch_load_dwordx4 v[88:91], off, s3
	s_mov_b32 s2, s10
	v_add_u32_e32 v1, s10, v0
	s_cmp_eq_u32 s10, 0
	s_waitcnt vmcnt(2)
	ds_write2_b64 v1, v[80:81], v[82:83] offset0:80 offset1:81
	s_waitcnt vmcnt(1)
	ds_write2_b64 v1, v[84:85], v[86:87] offset0:82 offset1:83
	s_waitcnt vmcnt(0)
	ds_write2_b64 v1, v[88:89], v[90:91] offset0:84 offset1:85
	s_cbranch_scc0 .LBB127_259
; %bb.261:
                                        ; implicit-def: $sgpr10
.LBB127_262:
	ds_read2_b64 v[0:3], v10 offset1:1
	s_waitcnt lgkmcnt(0)
	v_cmp_neq_f64_e32 vcc, 0, v[0:1]
	v_cmp_neq_f64_e64 s[2:3], 0, v[2:3]
	s_or_b64 s[2:3], vcc, s[2:3]
	s_and_b64 exec, exec, s[2:3]
	s_cbranch_execz .LBB127_268
; %bb.263:
	v_cmp_ngt_f64_e64 s[2:3], |v[0:1]|, |v[2:3]|
                                        ; implicit-def: $vgpr34_vgpr35
	s_and_saveexec_b64 s[10:11], s[2:3]
	s_xor_b64 s[2:3], exec, s[10:11]
                                        ; implicit-def: $vgpr8_vgpr9
	s_cbranch_execz .LBB127_265
; %bb.264:
	v_div_scale_f64 v[8:9], s[10:11], v[2:3], v[2:3], v[0:1]
	v_rcp_f64_e32 v[12:13], v[8:9]
	v_div_scale_f64 v[14:15], vcc, v[0:1], v[2:3], v[0:1]
	v_fma_f64 v[34:35], -v[8:9], v[12:13], 1.0
	v_fmac_f64_e32 v[12:13], v[12:13], v[34:35]
	v_fma_f64 v[34:35], -v[8:9], v[12:13], 1.0
	v_fmac_f64_e32 v[12:13], v[12:13], v[34:35]
	v_mul_f64 v[34:35], v[14:15], v[12:13]
	v_fma_f64 v[8:9], -v[8:9], v[34:35], v[14:15]
	v_div_fmas_f64 v[8:9], v[8:9], v[12:13], v[34:35]
	v_div_fixup_f64 v[12:13], v[8:9], v[2:3], v[0:1]
	v_fmac_f64_e32 v[2:3], v[0:1], v[12:13]
	v_div_scale_f64 v[0:1], s[10:11], v[2:3], v[2:3], 1.0
	v_rcp_f64_e32 v[8:9], v[0:1]
	s_nop 0
	v_fma_f64 v[14:15], -v[0:1], v[8:9], 1.0
	v_fmac_f64_e32 v[8:9], v[8:9], v[14:15]
	v_fma_f64 v[14:15], -v[0:1], v[8:9], 1.0
	v_fmac_f64_e32 v[8:9], v[8:9], v[14:15]
	v_div_scale_f64 v[14:15], vcc, 1.0, v[2:3], 1.0
	v_mul_f64 v[34:35], v[14:15], v[8:9]
	v_fma_f64 v[0:1], -v[0:1], v[34:35], v[14:15]
	s_nop 1
	v_div_fmas_f64 v[0:1], v[0:1], v[8:9], v[34:35]
	v_div_fixup_f64 v[8:9], v[0:1], v[2:3], 1.0
	v_mul_f64 v[34:35], v[12:13], v[8:9]
	v_xor_b32_e32 v9, 0x80000000, v9
                                        ; implicit-def: $vgpr0_vgpr1
.LBB127_265:
	s_andn2_saveexec_b64 s[2:3], s[2:3]
	s_cbranch_execz .LBB127_267
; %bb.266:
	v_div_scale_f64 v[8:9], s[10:11], v[0:1], v[0:1], v[2:3]
	v_rcp_f64_e32 v[12:13], v[8:9]
	v_div_scale_f64 v[14:15], vcc, v[2:3], v[0:1], v[2:3]
	v_fma_f64 v[34:35], -v[8:9], v[12:13], 1.0
	v_fmac_f64_e32 v[12:13], v[12:13], v[34:35]
	v_fma_f64 v[34:35], -v[8:9], v[12:13], 1.0
	v_fmac_f64_e32 v[12:13], v[12:13], v[34:35]
	v_mul_f64 v[34:35], v[14:15], v[12:13]
	v_fma_f64 v[8:9], -v[8:9], v[34:35], v[14:15]
	v_div_fmas_f64 v[8:9], v[8:9], v[12:13], v[34:35]
	v_div_fixup_f64 v[8:9], v[8:9], v[0:1], v[2:3]
	v_fmac_f64_e32 v[0:1], v[2:3], v[8:9]
	v_div_scale_f64 v[2:3], s[10:11], v[0:1], v[0:1], 1.0
	v_rcp_f64_e32 v[12:13], v[2:3]
	s_nop 0
	v_fma_f64 v[14:15], -v[2:3], v[12:13], 1.0
	v_fmac_f64_e32 v[12:13], v[12:13], v[14:15]
	v_fma_f64 v[14:15], -v[2:3], v[12:13], 1.0
	v_fmac_f64_e32 v[12:13], v[12:13], v[14:15]
	v_div_scale_f64 v[14:15], vcc, 1.0, v[0:1], 1.0
	v_mul_f64 v[34:35], v[14:15], v[12:13]
	v_fma_f64 v[2:3], -v[2:3], v[34:35], v[14:15]
	s_nop 1
	v_div_fmas_f64 v[2:3], v[2:3], v[12:13], v[34:35]
	v_div_fixup_f64 v[34:35], v[2:3], v[0:1], 1.0
	v_mul_f64 v[8:9], v[8:9], -v[34:35]
.LBB127_267:
	s_or_b64 exec, exec, s[2:3]
	ds_write2_b64 v10, v[34:35], v[8:9] offset1:1
.LBB127_268:
	s_or_b64 exec, exec, s[4:5]
	s_waitcnt lgkmcnt(0)
	s_barrier
	ds_read2_b64 v[80:83], v10 offset1:1
	v_cmp_lt_u32_e32 vcc, 20, v254
	s_and_saveexec_b64 s[2:3], vcc
	s_cbranch_execz .LBB127_273
; %bb.269:
	scratch_load_dwordx4 v[84:87], off, off offset:320
	v_add_u32_e32 v8, 0x150, v11
	s_movk_i32 s10, 0xfd80
	s_waitcnt vmcnt(0) lgkmcnt(0)
	v_mul_f64 v[0:1], v[82:83], v[86:87]
	v_mul_f64 v[2:3], v[80:81], v[86:87]
	v_fma_f64 v[0:1], v[80:81], v[84:85], -v[0:1]
	v_fmac_f64_e32 v[2:3], v[82:83], v[84:85]
	scratch_store_dwordx4 off, v[0:3], off offset:320
	s_branch .LBB127_271
.LBB127_270:                            ;   in Loop: Header=BB127_271 Depth=1
	scratch_load_dwordx4 v[0:3], off, off offset:320
	s_add_i32 s5, s4, 0x400
	scratch_load_dwordx4 v[84:87], off, s5
	ds_read2_b64 v[88:91], v9 offset0:86 offset1:87
	ds_read2_b64 v[92:95], v9 offset0:88 offset1:89
	s_add_i32 s11, s4, 0x410
	s_add_i32 s48, s4, 0x440
	scratch_load_dwordx4 v[96:99], off, s11
	scratch_load_dwordx4 v[100:103], off, s48
	s_addk_i32 s10, 0x80
	s_waitcnt vmcnt(3) lgkmcnt(1)
	v_mul_f64 v[12:13], v[90:91], v[2:3]
	v_mul_f64 v[2:3], v[88:89], v[2:3]
	v_fma_f64 v[12:13], v[88:89], v[0:1], -v[12:13]
	v_fmac_f64_e32 v[2:3], v[90:91], v[0:1]
	s_waitcnt vmcnt(2)
	v_add_f64 v[0:1], v[84:85], -v[12:13]
	v_add_f64 v[2:3], v[86:87], -v[2:3]
	scratch_store_dwordx4 off, v[0:3], s5
	scratch_load_dwordx4 v[0:3], off, off offset:320
	s_add_i32 s5, s4, 0x420
	scratch_load_dwordx4 v[84:87], off, s5
	s_addk_i32 s4, 0x430
	s_waitcnt vmcnt(1) lgkmcnt(0)
	v_mul_f64 v[12:13], v[94:95], v[2:3]
	v_mul_f64 v[2:3], v[92:93], v[2:3]
	v_fma_f64 v[12:13], v[92:93], v[0:1], -v[12:13]
	v_fmac_f64_e32 v[2:3], v[94:95], v[0:1]
	v_add_f64 v[0:1], v[96:97], -v[12:13]
	v_add_f64 v[2:3], v[98:99], -v[2:3]
	scratch_store_dwordx4 off, v[0:3], s11
	scratch_load_dwordx4 v[0:3], off, off offset:320
	ds_read2_b64 v[88:91], v9 offset0:90 offset1:91
	ds_read2_b64 v[92:95], v9 offset0:92 offset1:93
	scratch_load_dwordx4 v[96:99], off, s4
	s_waitcnt vmcnt(1) lgkmcnt(1)
	v_mul_f64 v[12:13], v[90:91], v[2:3]
	v_mul_f64 v[2:3], v[88:89], v[2:3]
	v_fma_f64 v[12:13], v[88:89], v[0:1], -v[12:13]
	v_fmac_f64_e32 v[2:3], v[90:91], v[0:1]
	v_add_f64 v[0:1], v[84:85], -v[12:13]
	v_add_f64 v[2:3], v[86:87], -v[2:3]
	scratch_store_dwordx4 off, v[0:3], s5
	scratch_load_dwordx4 v[0:3], off, off offset:320
	ds_read2_b64 v[84:87], v9 offset0:94 offset1:95
	s_waitcnt vmcnt(0) lgkmcnt(1)
	v_mul_f64 v[12:13], v[94:95], v[2:3]
	v_mul_f64 v[2:3], v[92:93], v[2:3]
	v_fma_f64 v[12:13], v[92:93], v[0:1], -v[12:13]
	v_fmac_f64_e32 v[2:3], v[94:95], v[0:1]
	v_add_f64 v[0:1], v[96:97], -v[12:13]
	v_add_f64 v[2:3], v[98:99], -v[2:3]
	scratch_store_dwordx4 off, v[0:3], s4
	scratch_load_dwordx4 v[0:3], off, off offset:320
	s_waitcnt vmcnt(0) lgkmcnt(0)
	v_mul_f64 v[12:13], v[86:87], v[2:3]
	v_mul_f64 v[2:3], v[84:85], v[2:3]
	v_fma_f64 v[12:13], v[84:85], v[0:1], -v[12:13]
	v_fmac_f64_e32 v[2:3], v[86:87], v[0:1]
	v_add_f64 v[0:1], v[100:101], -v[12:13]
	v_add_f64 v[2:3], v[102:103], -v[2:3]
	scratch_store_dwordx4 off, v[0:3], s48
	scratch_load_dwordx4 v[0:3], off, off offset:320
	s_cbranch_execz .LBB127_273
.LBB127_271:                            ; =>This Inner Loop Header: Depth=1
	s_add_i32 s5, s10, 0x3d0
	scratch_load_dwordx4 v[84:87], off, s5
	v_add_u32_e32 v9, s10, v8
	ds_read2_b64 v[88:91], v9 offset0:80 offset1:81
	ds_read2_b64 v[92:95], v9 offset0:82 offset1:83
	s_add_i32 s11, s10, 0x3e0
	scratch_load_dwordx4 v[96:99], off, s11
	s_mov_b32 s4, s10
	s_waitcnt vmcnt(2) lgkmcnt(1)
	v_mul_f64 v[12:13], v[90:91], v[2:3]
	v_mul_f64 v[2:3], v[88:89], v[2:3]
	v_fma_f64 v[12:13], v[88:89], v[0:1], -v[12:13]
	v_fmac_f64_e32 v[2:3], v[90:91], v[0:1]
	ds_read2_b64 v[88:91], v9 offset0:84 offset1:85
	s_waitcnt vmcnt(1)
	v_add_f64 v[0:1], v[84:85], -v[12:13]
	v_add_f64 v[2:3], v[86:87], -v[2:3]
	scratch_store_dwordx4 off, v[0:3], s5
	scratch_load_dwordx4 v[0:3], off, off offset:320
	s_add_i32 s5, s10, 0x3f0
	scratch_load_dwordx4 v[84:87], off, s5
	s_cmp_eq_u32 s10, 0
	s_waitcnt vmcnt(1) lgkmcnt(1)
	v_mul_f64 v[12:13], v[94:95], v[2:3]
	v_mul_f64 v[2:3], v[92:93], v[2:3]
	v_fma_f64 v[12:13], v[92:93], v[0:1], -v[12:13]
	v_fmac_f64_e32 v[2:3], v[94:95], v[0:1]
	v_add_f64 v[0:1], v[96:97], -v[12:13]
	v_add_f64 v[2:3], v[98:99], -v[2:3]
	scratch_store_dwordx4 off, v[0:3], s11
	scratch_load_dwordx4 v[0:3], off, off offset:320
	s_waitcnt vmcnt(0) lgkmcnt(0)
	v_mul_f64 v[12:13], v[90:91], v[2:3]
	v_mul_f64 v[2:3], v[88:89], v[2:3]
	v_fma_f64 v[12:13], v[88:89], v[0:1], -v[12:13]
	v_fmac_f64_e32 v[2:3], v[90:91], v[0:1]
	v_add_f64 v[0:1], v[84:85], -v[12:13]
	v_add_f64 v[2:3], v[86:87], -v[2:3]
	scratch_store_dwordx4 off, v[0:3], s5
	s_cbranch_scc0 .LBB127_270
; %bb.272:
                                        ; implicit-def: $vgpr0_vgpr1
                                        ; implicit-def: $sgpr10
.LBB127_273:
	s_or_b64 exec, exec, s[2:3]
	v_cmp_eq_u32_e32 vcc, 21, v254
	s_waitcnt lgkmcnt(0)
	s_barrier
	s_and_saveexec_b64 s[4:5], vcc
	s_cbranch_execz .LBB127_282
; %bb.274:
	scratch_load_dwordx4 v[84:87], off, s55
	s_waitcnt vmcnt(1)
	v_add_u32_e32 v0, 0x160, v11
	s_movk_i32 s2, 0xfd60
	s_waitcnt vmcnt(0)
	ds_write2_b64 v10, v[84:85], v[86:87] offset1:1
.LBB127_275:                            ; =>This Inner Loop Header: Depth=1
	s_add_i32 s10, s2, 0x400
	scratch_load_dwordx4 v[84:87], off, s10
	v_add_u32_e32 v1, s2, v0
	s_add_i32 s10, s2, 0x410
	s_add_i32 s3, s2, 0x4d0
	s_waitcnt vmcnt(0)
	ds_write2_b64 v1, v[84:85], v[86:87] offset0:84 offset1:85
	scratch_load_dwordx4 v[84:87], off, s10
	s_add_i32 s10, s2, 0x420
	s_waitcnt vmcnt(0)
	ds_write2_b64 v1, v[84:85], v[86:87] offset0:86 offset1:87
	scratch_load_dwordx4 v[84:87], off, s10
	;; [unrolled: 4-line block ×11, first 2 shown]
	s_add_i32 s10, s2, 0x4c0
	s_addk_i32 s2, 0xe0
	s_cmp_lg_u32 s2, 0
	s_waitcnt vmcnt(0)
	ds_write2_b64 v1, v[84:85], v[86:87] offset0:106 offset1:107
	scratch_load_dwordx4 v[84:87], off, s10
	s_waitcnt vmcnt(0)
	ds_write2_b64 v1, v[84:85], v[86:87] offset0:108 offset1:109
	scratch_load_dwordx4 v[84:87], off, s3
	s_waitcnt vmcnt(0)
	ds_write2_b64 v1, v[84:85], v[86:87] offset0:110 offset1:111
	s_cbranch_scc1 .LBB127_275
; %bb.276:
	ds_read2_b64 v[0:3], v10 offset1:1
	s_waitcnt lgkmcnt(0)
	v_cmp_neq_f64_e32 vcc, 0, v[0:1]
	v_cmp_neq_f64_e64 s[2:3], 0, v[2:3]
	s_or_b64 s[2:3], vcc, s[2:3]
	s_and_b64 exec, exec, s[2:3]
	s_cbranch_execz .LBB127_282
; %bb.277:
	v_cmp_ngt_f64_e64 s[2:3], |v[0:1]|, |v[2:3]|
                                        ; implicit-def: $vgpr34_vgpr35
	s_and_saveexec_b64 s[10:11], s[2:3]
	s_xor_b64 s[2:3], exec, s[10:11]
                                        ; implicit-def: $vgpr8_vgpr9
	s_cbranch_execz .LBB127_279
; %bb.278:
	v_div_scale_f64 v[8:9], s[10:11], v[2:3], v[2:3], v[0:1]
	v_rcp_f64_e32 v[12:13], v[8:9]
	v_div_scale_f64 v[14:15], vcc, v[0:1], v[2:3], v[0:1]
	v_fma_f64 v[34:35], -v[8:9], v[12:13], 1.0
	v_fmac_f64_e32 v[12:13], v[12:13], v[34:35]
	v_fma_f64 v[34:35], -v[8:9], v[12:13], 1.0
	v_fmac_f64_e32 v[12:13], v[12:13], v[34:35]
	v_mul_f64 v[34:35], v[14:15], v[12:13]
	v_fma_f64 v[8:9], -v[8:9], v[34:35], v[14:15]
	v_div_fmas_f64 v[8:9], v[8:9], v[12:13], v[34:35]
	v_div_fixup_f64 v[12:13], v[8:9], v[2:3], v[0:1]
	v_fmac_f64_e32 v[2:3], v[0:1], v[12:13]
	v_div_scale_f64 v[0:1], s[10:11], v[2:3], v[2:3], 1.0
	v_rcp_f64_e32 v[8:9], v[0:1]
	s_nop 0
	v_fma_f64 v[14:15], -v[0:1], v[8:9], 1.0
	v_fmac_f64_e32 v[8:9], v[8:9], v[14:15]
	v_fma_f64 v[14:15], -v[0:1], v[8:9], 1.0
	v_fmac_f64_e32 v[8:9], v[8:9], v[14:15]
	v_div_scale_f64 v[14:15], vcc, 1.0, v[2:3], 1.0
	v_mul_f64 v[34:35], v[14:15], v[8:9]
	v_fma_f64 v[0:1], -v[0:1], v[34:35], v[14:15]
	s_nop 1
	v_div_fmas_f64 v[0:1], v[0:1], v[8:9], v[34:35]
	v_div_fixup_f64 v[8:9], v[0:1], v[2:3], 1.0
	v_mul_f64 v[34:35], v[12:13], v[8:9]
	v_xor_b32_e32 v9, 0x80000000, v9
                                        ; implicit-def: $vgpr0_vgpr1
.LBB127_279:
	s_andn2_saveexec_b64 s[2:3], s[2:3]
	s_cbranch_execz .LBB127_281
; %bb.280:
	v_div_scale_f64 v[8:9], s[10:11], v[0:1], v[0:1], v[2:3]
	v_rcp_f64_e32 v[12:13], v[8:9]
	v_div_scale_f64 v[14:15], vcc, v[2:3], v[0:1], v[2:3]
	v_fma_f64 v[34:35], -v[8:9], v[12:13], 1.0
	v_fmac_f64_e32 v[12:13], v[12:13], v[34:35]
	v_fma_f64 v[34:35], -v[8:9], v[12:13], 1.0
	v_fmac_f64_e32 v[12:13], v[12:13], v[34:35]
	v_mul_f64 v[34:35], v[14:15], v[12:13]
	v_fma_f64 v[8:9], -v[8:9], v[34:35], v[14:15]
	v_div_fmas_f64 v[8:9], v[8:9], v[12:13], v[34:35]
	v_div_fixup_f64 v[8:9], v[8:9], v[0:1], v[2:3]
	v_fmac_f64_e32 v[0:1], v[2:3], v[8:9]
	v_div_scale_f64 v[2:3], s[10:11], v[0:1], v[0:1], 1.0
	v_rcp_f64_e32 v[12:13], v[2:3]
	s_nop 0
	v_fma_f64 v[14:15], -v[2:3], v[12:13], 1.0
	v_fmac_f64_e32 v[12:13], v[12:13], v[14:15]
	v_fma_f64 v[14:15], -v[2:3], v[12:13], 1.0
	v_fmac_f64_e32 v[12:13], v[12:13], v[14:15]
	v_div_scale_f64 v[14:15], vcc, 1.0, v[0:1], 1.0
	v_mul_f64 v[34:35], v[14:15], v[12:13]
	v_fma_f64 v[2:3], -v[2:3], v[34:35], v[14:15]
	s_nop 1
	v_div_fmas_f64 v[2:3], v[2:3], v[12:13], v[34:35]
	v_div_fixup_f64 v[34:35], v[2:3], v[0:1], 1.0
	v_mul_f64 v[8:9], v[8:9], -v[34:35]
.LBB127_281:
	s_or_b64 exec, exec, s[2:3]
	ds_write2_b64 v10, v[34:35], v[8:9] offset1:1
.LBB127_282:
	s_or_b64 exec, exec, s[4:5]
	s_waitcnt lgkmcnt(0)
	s_barrier
	ds_read2_b64 v[84:87], v10 offset1:1
	v_cmp_lt_u32_e32 vcc, 21, v254
	s_and_saveexec_b64 s[2:3], vcc
	s_cbranch_execz .LBB127_285
; %bb.283:
	scratch_load_dwordx4 v[88:91], off, off offset:336
	s_waitcnt vmcnt(1)
	v_add_u32_e32 v0, 0x160, v11
	s_movk_i32 s4, 0xfd60
	s_waitcnt vmcnt(0) lgkmcnt(0)
	v_mul_f64 v[2:3], v[86:87], v[90:91]
	v_mul_f64 v[92:93], v[84:85], v[90:91]
	v_fma_f64 v[90:91], v[84:85], v[88:89], -v[2:3]
	v_fmac_f64_e32 v[92:93], v[86:87], v[88:89]
	scratch_store_dwordx4 off, v[90:93], off offset:336
.LBB127_284:                            ; =>This Inner Loop Header: Depth=1
	scratch_load_dwordx4 v[88:91], off, off offset:336
	s_add_i32 s10, s4, 0x400
	scratch_load_dwordx4 v[92:95], off, s10
	v_add_u32_e32 v1, s4, v0
	ds_read2_b64 v[96:99], v1 offset0:84 offset1:85
	ds_read2_b64 v[100:103], v1 offset0:86 offset1:87
	s_add_i32 s11, s4, 0x410
	s_add_i32 s48, s4, 0x460
	scratch_load_dwordx4 v[104:107], off, s11
	scratch_load_dwordx4 v[108:111], off, s48
	s_add_i32 s5, s4, 0x450
	s_waitcnt vmcnt(3) lgkmcnt(1)
	v_mul_f64 v[2:3], v[98:99], v[90:91]
	v_mul_f64 v[8:9], v[96:97], v[90:91]
	v_fma_f64 v[2:3], v[96:97], v[88:89], -v[2:3]
	v_fmac_f64_e32 v[8:9], v[98:99], v[88:89]
	s_waitcnt vmcnt(2)
	v_add_f64 v[88:89], v[92:93], -v[2:3]
	v_add_f64 v[90:91], v[94:95], -v[8:9]
	scratch_store_dwordx4 off, v[88:91], s10
	scratch_load_dwordx4 v[88:91], off, off offset:336
	s_add_i32 s10, s4, 0x420
	s_waitcnt vmcnt(0) lgkmcnt(0)
	v_mul_f64 v[2:3], v[102:103], v[90:91]
	v_mul_f64 v[8:9], v[100:101], v[90:91]
	v_fma_f64 v[2:3], v[100:101], v[88:89], -v[2:3]
	v_fmac_f64_e32 v[8:9], v[102:103], v[88:89]
	v_add_f64 v[88:89], v[104:105], -v[2:3]
	v_add_f64 v[90:91], v[106:107], -v[8:9]
	scratch_store_dwordx4 off, v[88:91], s11
	scratch_load_dwordx4 v[88:91], off, off offset:336
	s_nop 0
	scratch_load_dwordx4 v[92:95], off, s10
	ds_read2_b64 v[96:99], v1 offset0:88 offset1:89
	ds_read2_b64 v[100:103], v1 offset0:90 offset1:91
	s_add_i32 s11, s4, 0x430
	scratch_load_dwordx4 v[104:107], off, s11
	s_waitcnt vmcnt(2) lgkmcnt(1)
	v_mul_f64 v[2:3], v[98:99], v[90:91]
	v_mul_f64 v[8:9], v[96:97], v[90:91]
	v_fma_f64 v[2:3], v[96:97], v[88:89], -v[2:3]
	v_fmac_f64_e32 v[8:9], v[98:99], v[88:89]
	s_waitcnt vmcnt(1)
	v_add_f64 v[88:89], v[92:93], -v[2:3]
	v_add_f64 v[90:91], v[94:95], -v[8:9]
	scratch_store_dwordx4 off, v[88:91], s10
	scratch_load_dwordx4 v[88:91], off, off offset:336
	s_add_i32 s10, s4, 0x440
	s_addk_i32 s4, 0x70
	s_cmp_lg_u32 s4, 0
	s_waitcnt vmcnt(0) lgkmcnt(0)
	v_mul_f64 v[2:3], v[102:103], v[90:91]
	v_mul_f64 v[8:9], v[100:101], v[90:91]
	v_fma_f64 v[2:3], v[100:101], v[88:89], -v[2:3]
	v_fmac_f64_e32 v[8:9], v[102:103], v[88:89]
	v_add_f64 v[88:89], v[104:105], -v[2:3]
	v_add_f64 v[90:91], v[106:107], -v[8:9]
	scratch_store_dwordx4 off, v[88:91], s11
	scratch_load_dwordx4 v[88:91], off, off offset:336
	s_nop 0
	scratch_load_dwordx4 v[92:95], off, s10
	ds_read2_b64 v[96:99], v1 offset0:92 offset1:93
	ds_read2_b64 v[100:103], v1 offset0:94 offset1:95
	scratch_load_dwordx4 v[104:107], off, s5
	s_waitcnt vmcnt(2) lgkmcnt(1)
	v_mul_f64 v[2:3], v[98:99], v[90:91]
	v_mul_f64 v[8:9], v[96:97], v[90:91]
	v_fma_f64 v[2:3], v[96:97], v[88:89], -v[2:3]
	v_fmac_f64_e32 v[8:9], v[98:99], v[88:89]
	s_waitcnt vmcnt(1)
	v_add_f64 v[88:89], v[92:93], -v[2:3]
	v_add_f64 v[90:91], v[94:95], -v[8:9]
	scratch_store_dwordx4 off, v[88:91], s10
	scratch_load_dwordx4 v[88:91], off, off offset:336
	ds_read2_b64 v[92:95], v1 offset0:96 offset1:97
	s_waitcnt vmcnt(0) lgkmcnt(1)
	v_mul_f64 v[2:3], v[102:103], v[90:91]
	v_mul_f64 v[8:9], v[100:101], v[90:91]
	v_fma_f64 v[2:3], v[100:101], v[88:89], -v[2:3]
	v_fmac_f64_e32 v[8:9], v[102:103], v[88:89]
	v_add_f64 v[88:89], v[104:105], -v[2:3]
	v_add_f64 v[90:91], v[106:107], -v[8:9]
	scratch_store_dwordx4 off, v[88:91], s5
	scratch_load_dwordx4 v[88:91], off, off offset:336
	s_waitcnt vmcnt(0) lgkmcnt(0)
	v_mul_f64 v[2:3], v[94:95], v[90:91]
	v_mul_f64 v[8:9], v[92:93], v[90:91]
	v_fma_f64 v[2:3], v[92:93], v[88:89], -v[2:3]
	v_fmac_f64_e32 v[8:9], v[94:95], v[88:89]
	v_add_f64 v[88:89], v[108:109], -v[2:3]
	v_add_f64 v[90:91], v[110:111], -v[8:9]
	scratch_store_dwordx4 off, v[88:91], s48
	s_cbranch_scc1 .LBB127_284
.LBB127_285:
	s_or_b64 exec, exec, s[2:3]
	v_cmp_eq_u32_e32 vcc, 22, v254
	s_waitcnt lgkmcnt(0)
	s_barrier
	s_and_saveexec_b64 s[4:5], vcc
	s_cbranch_execz .LBB127_296
; %bb.286:
	scratch_load_dwordx4 v[88:91], off, s54
	s_waitcnt vmcnt(1)
	v_add_u32_e32 v0, 0x170, v11
	s_movk_i32 s10, 0xfd80
	s_waitcnt vmcnt(0)
	ds_write2_b64 v10, v[88:89], v[90:91] offset1:1
	s_branch .LBB127_288
.LBB127_287:                            ;   in Loop: Header=BB127_288 Depth=1
	s_add_i32 s3, s2, 0x400
	s_add_i32 s11, s2, 0x410
	scratch_load_dwordx4 v[88:91], off, s3
	scratch_load_dwordx4 v[92:95], off, s11
	s_add_i32 s3, s2, 0x420
	s_add_i32 s11, s2, 0x430
	scratch_load_dwordx4 v[96:99], off, s3
	scratch_load_dwordx4 v[100:103], off, s11
	;; [unrolled: 4-line block ×3, first 2 shown]
	s_addk_i32 s2, 0x460
	scratch_load_dwordx4 v[112:115], off, s2
	s_addk_i32 s10, 0x80
	s_waitcnt vmcnt(6)
	ds_write2_b64 v1, v[88:89], v[90:91] offset0:82 offset1:83
	s_waitcnt vmcnt(5)
	ds_write2_b64 v1, v[92:93], v[94:95] offset0:84 offset1:85
	;; [unrolled: 2-line block ×7, first 2 shown]
	s_cbranch_execz .LBB127_290
.LBB127_288:                            ; =>This Inner Loop Header: Depth=1
	s_add_i32 s3, s10, 0x3f0
	scratch_load_dwordx4 v[88:91], off, s3
	s_mov_b32 s2, s10
	v_add_u32_e32 v1, s10, v0
	s_cmp_eq_u32 s10, 0
	s_waitcnt vmcnt(0)
	ds_write2_b64 v1, v[88:89], v[90:91] offset0:80 offset1:81
	s_cbranch_scc0 .LBB127_287
; %bb.289:
                                        ; implicit-def: $sgpr10
.LBB127_290:
	ds_read2_b64 v[0:3], v10 offset1:1
	s_waitcnt lgkmcnt(0)
	v_cmp_neq_f64_e32 vcc, 0, v[0:1]
	v_cmp_neq_f64_e64 s[2:3], 0, v[2:3]
	s_or_b64 s[2:3], vcc, s[2:3]
	s_and_b64 exec, exec, s[2:3]
	s_cbranch_execz .LBB127_296
; %bb.291:
	v_cmp_ngt_f64_e64 s[2:3], |v[0:1]|, |v[2:3]|
                                        ; implicit-def: $vgpr34_vgpr35
	s_and_saveexec_b64 s[10:11], s[2:3]
	s_xor_b64 s[2:3], exec, s[10:11]
                                        ; implicit-def: $vgpr8_vgpr9
	s_cbranch_execz .LBB127_293
; %bb.292:
	v_div_scale_f64 v[8:9], s[10:11], v[2:3], v[2:3], v[0:1]
	v_rcp_f64_e32 v[12:13], v[8:9]
	v_div_scale_f64 v[14:15], vcc, v[0:1], v[2:3], v[0:1]
	v_fma_f64 v[34:35], -v[8:9], v[12:13], 1.0
	v_fmac_f64_e32 v[12:13], v[12:13], v[34:35]
	v_fma_f64 v[34:35], -v[8:9], v[12:13], 1.0
	v_fmac_f64_e32 v[12:13], v[12:13], v[34:35]
	v_mul_f64 v[34:35], v[14:15], v[12:13]
	v_fma_f64 v[8:9], -v[8:9], v[34:35], v[14:15]
	v_div_fmas_f64 v[8:9], v[8:9], v[12:13], v[34:35]
	v_div_fixup_f64 v[12:13], v[8:9], v[2:3], v[0:1]
	v_fmac_f64_e32 v[2:3], v[0:1], v[12:13]
	v_div_scale_f64 v[0:1], s[10:11], v[2:3], v[2:3], 1.0
	v_rcp_f64_e32 v[8:9], v[0:1]
	s_nop 0
	v_fma_f64 v[14:15], -v[0:1], v[8:9], 1.0
	v_fmac_f64_e32 v[8:9], v[8:9], v[14:15]
	v_fma_f64 v[14:15], -v[0:1], v[8:9], 1.0
	v_fmac_f64_e32 v[8:9], v[8:9], v[14:15]
	v_div_scale_f64 v[14:15], vcc, 1.0, v[2:3], 1.0
	v_mul_f64 v[34:35], v[14:15], v[8:9]
	v_fma_f64 v[0:1], -v[0:1], v[34:35], v[14:15]
	s_nop 1
	v_div_fmas_f64 v[0:1], v[0:1], v[8:9], v[34:35]
	v_div_fixup_f64 v[8:9], v[0:1], v[2:3], 1.0
	v_mul_f64 v[34:35], v[12:13], v[8:9]
	v_xor_b32_e32 v9, 0x80000000, v9
                                        ; implicit-def: $vgpr0_vgpr1
.LBB127_293:
	s_andn2_saveexec_b64 s[2:3], s[2:3]
	s_cbranch_execz .LBB127_295
; %bb.294:
	v_div_scale_f64 v[8:9], s[10:11], v[0:1], v[0:1], v[2:3]
	v_rcp_f64_e32 v[12:13], v[8:9]
	v_div_scale_f64 v[14:15], vcc, v[2:3], v[0:1], v[2:3]
	v_fma_f64 v[34:35], -v[8:9], v[12:13], 1.0
	v_fmac_f64_e32 v[12:13], v[12:13], v[34:35]
	v_fma_f64 v[34:35], -v[8:9], v[12:13], 1.0
	v_fmac_f64_e32 v[12:13], v[12:13], v[34:35]
	v_mul_f64 v[34:35], v[14:15], v[12:13]
	v_fma_f64 v[8:9], -v[8:9], v[34:35], v[14:15]
	v_div_fmas_f64 v[8:9], v[8:9], v[12:13], v[34:35]
	v_div_fixup_f64 v[8:9], v[8:9], v[0:1], v[2:3]
	v_fmac_f64_e32 v[0:1], v[2:3], v[8:9]
	v_div_scale_f64 v[2:3], s[10:11], v[0:1], v[0:1], 1.0
	v_rcp_f64_e32 v[12:13], v[2:3]
	s_nop 0
	v_fma_f64 v[14:15], -v[2:3], v[12:13], 1.0
	v_fmac_f64_e32 v[12:13], v[12:13], v[14:15]
	v_fma_f64 v[14:15], -v[2:3], v[12:13], 1.0
	v_fmac_f64_e32 v[12:13], v[12:13], v[14:15]
	v_div_scale_f64 v[14:15], vcc, 1.0, v[0:1], 1.0
	v_mul_f64 v[34:35], v[14:15], v[12:13]
	v_fma_f64 v[2:3], -v[2:3], v[34:35], v[14:15]
	s_nop 1
	v_div_fmas_f64 v[2:3], v[2:3], v[12:13], v[34:35]
	v_div_fixup_f64 v[34:35], v[2:3], v[0:1], 1.0
	v_mul_f64 v[8:9], v[8:9], -v[34:35]
.LBB127_295:
	s_or_b64 exec, exec, s[2:3]
	ds_write2_b64 v10, v[34:35], v[8:9] offset1:1
.LBB127_296:
	s_or_b64 exec, exec, s[4:5]
	s_waitcnt lgkmcnt(0)
	s_barrier
	ds_read2_b64 v[88:91], v10 offset1:1
	v_cmp_lt_u32_e32 vcc, 22, v254
	s_and_saveexec_b64 s[2:3], vcc
	s_cbranch_execz .LBB127_301
; %bb.297:
	scratch_load_dwordx4 v[92:95], off, off offset:352
	v_add_u32_e32 v8, 0x170, v11
	s_movk_i32 s10, 0xfd80
	s_waitcnt vmcnt(0) lgkmcnt(0)
	v_mul_f64 v[0:1], v[90:91], v[94:95]
	v_mul_f64 v[2:3], v[88:89], v[94:95]
	v_fma_f64 v[0:1], v[88:89], v[92:93], -v[0:1]
	v_fmac_f64_e32 v[2:3], v[90:91], v[92:93]
	scratch_store_dwordx4 off, v[0:3], off offset:352
	s_branch .LBB127_299
.LBB127_298:                            ;   in Loop: Header=BB127_299 Depth=1
	scratch_load_dwordx4 v[0:3], off, off offset:352
	s_add_i32 s5, s4, 0x400
	scratch_load_dwordx4 v[92:95], off, s5
	ds_read2_b64 v[96:99], v9 offset0:82 offset1:83
	ds_read2_b64 v[100:103], v9 offset0:84 offset1:85
	s_add_i32 s11, s4, 0x410
	s_add_i32 s48, s4, 0x460
	scratch_load_dwordx4 v[104:107], off, s11
	scratch_load_dwordx4 v[108:111], off, s48
	s_addk_i32 s10, 0x80
	s_waitcnt vmcnt(3) lgkmcnt(1)
	v_mul_f64 v[12:13], v[98:99], v[2:3]
	v_mul_f64 v[2:3], v[96:97], v[2:3]
	v_fma_f64 v[12:13], v[96:97], v[0:1], -v[12:13]
	v_fmac_f64_e32 v[2:3], v[98:99], v[0:1]
	s_waitcnt vmcnt(2)
	v_add_f64 v[0:1], v[92:93], -v[12:13]
	v_add_f64 v[2:3], v[94:95], -v[2:3]
	scratch_store_dwordx4 off, v[0:3], s5
	scratch_load_dwordx4 v[0:3], off, off offset:352
	s_add_i32 s5, s4, 0x420
	scratch_load_dwordx4 v[92:95], off, s5
	s_waitcnt vmcnt(1) lgkmcnt(0)
	v_mul_f64 v[12:13], v[102:103], v[2:3]
	v_mul_f64 v[2:3], v[100:101], v[2:3]
	v_fma_f64 v[12:13], v[100:101], v[0:1], -v[12:13]
	v_fmac_f64_e32 v[2:3], v[102:103], v[0:1]
	v_add_f64 v[0:1], v[104:105], -v[12:13]
	v_add_f64 v[2:3], v[106:107], -v[2:3]
	scratch_store_dwordx4 off, v[0:3], s11
	scratch_load_dwordx4 v[0:3], off, off offset:352
	ds_read2_b64 v[96:99], v9 offset0:86 offset1:87
	ds_read2_b64 v[100:103], v9 offset0:88 offset1:89
	s_add_i32 s11, s4, 0x430
	scratch_load_dwordx4 v[104:107], off, s11
	s_waitcnt vmcnt(1) lgkmcnt(1)
	v_mul_f64 v[12:13], v[98:99], v[2:3]
	v_mul_f64 v[2:3], v[96:97], v[2:3]
	v_fma_f64 v[12:13], v[96:97], v[0:1], -v[12:13]
	v_fmac_f64_e32 v[2:3], v[98:99], v[0:1]
	v_add_f64 v[0:1], v[92:93], -v[12:13]
	v_add_f64 v[2:3], v[94:95], -v[2:3]
	scratch_store_dwordx4 off, v[0:3], s5
	scratch_load_dwordx4 v[0:3], off, off offset:352
	s_add_i32 s5, s4, 0x440
	scratch_load_dwordx4 v[92:95], off, s5
	s_addk_i32 s4, 0x450
	s_waitcnt vmcnt(1) lgkmcnt(0)
	v_mul_f64 v[12:13], v[102:103], v[2:3]
	v_mul_f64 v[2:3], v[100:101], v[2:3]
	v_fma_f64 v[12:13], v[100:101], v[0:1], -v[12:13]
	v_fmac_f64_e32 v[2:3], v[102:103], v[0:1]
	v_add_f64 v[0:1], v[104:105], -v[12:13]
	v_add_f64 v[2:3], v[106:107], -v[2:3]
	scratch_store_dwordx4 off, v[0:3], s11
	scratch_load_dwordx4 v[0:3], off, off offset:352
	ds_read2_b64 v[96:99], v9 offset0:90 offset1:91
	ds_read2_b64 v[100:103], v9 offset0:92 offset1:93
	scratch_load_dwordx4 v[104:107], off, s4
	s_waitcnt vmcnt(1) lgkmcnt(1)
	v_mul_f64 v[12:13], v[98:99], v[2:3]
	v_mul_f64 v[2:3], v[96:97], v[2:3]
	v_fma_f64 v[12:13], v[96:97], v[0:1], -v[12:13]
	v_fmac_f64_e32 v[2:3], v[98:99], v[0:1]
	v_add_f64 v[0:1], v[92:93], -v[12:13]
	v_add_f64 v[2:3], v[94:95], -v[2:3]
	scratch_store_dwordx4 off, v[0:3], s5
	scratch_load_dwordx4 v[0:3], off, off offset:352
	ds_read2_b64 v[92:95], v9 offset0:94 offset1:95
	s_waitcnt vmcnt(0) lgkmcnt(1)
	v_mul_f64 v[12:13], v[102:103], v[2:3]
	v_mul_f64 v[2:3], v[100:101], v[2:3]
	v_fma_f64 v[12:13], v[100:101], v[0:1], -v[12:13]
	v_fmac_f64_e32 v[2:3], v[102:103], v[0:1]
	v_add_f64 v[0:1], v[104:105], -v[12:13]
	v_add_f64 v[2:3], v[106:107], -v[2:3]
	scratch_store_dwordx4 off, v[0:3], s4
	scratch_load_dwordx4 v[0:3], off, off offset:352
	s_waitcnt vmcnt(0) lgkmcnt(0)
	v_mul_f64 v[12:13], v[94:95], v[2:3]
	v_mul_f64 v[2:3], v[92:93], v[2:3]
	v_fma_f64 v[12:13], v[92:93], v[0:1], -v[12:13]
	v_fmac_f64_e32 v[2:3], v[94:95], v[0:1]
	v_add_f64 v[0:1], v[108:109], -v[12:13]
	v_add_f64 v[2:3], v[110:111], -v[2:3]
	scratch_store_dwordx4 off, v[0:3], s48
	scratch_load_dwordx4 v[0:3], off, off offset:352
	s_cbranch_execz .LBB127_301
.LBB127_299:                            ; =>This Inner Loop Header: Depth=1
	s_add_i32 s5, s10, 0x3f0
	scratch_load_dwordx4 v[92:95], off, s5
	v_add_u32_e32 v9, s10, v8
	ds_read2_b64 v[96:99], v9 offset0:80 offset1:81
	s_mov_b32 s4, s10
	s_cmp_eq_u32 s10, 0
	s_waitcnt vmcnt(1) lgkmcnt(0)
	v_mul_f64 v[12:13], v[98:99], v[2:3]
	v_mul_f64 v[2:3], v[96:97], v[2:3]
	v_fma_f64 v[12:13], v[96:97], v[0:1], -v[12:13]
	v_fmac_f64_e32 v[2:3], v[98:99], v[0:1]
	s_waitcnt vmcnt(0)
	v_add_f64 v[0:1], v[92:93], -v[12:13]
	v_add_f64 v[2:3], v[94:95], -v[2:3]
	scratch_store_dwordx4 off, v[0:3], s5
	s_cbranch_scc0 .LBB127_298
; %bb.300:
                                        ; implicit-def: $vgpr0_vgpr1
                                        ; implicit-def: $sgpr10
.LBB127_301:
	s_or_b64 exec, exec, s[2:3]
	v_cmp_eq_u32_e32 vcc, 23, v254
	s_waitcnt lgkmcnt(0)
	s_barrier
	s_and_saveexec_b64 s[4:5], vcc
	s_cbranch_execz .LBB127_310
; %bb.302:
	scratch_load_dwordx4 v[92:95], off, s53
	s_waitcnt vmcnt(1)
	v_add_u32_e32 v0, 0x180, v11
	s_movk_i32 s2, 0xfd80
	s_waitcnt vmcnt(0)
	ds_write2_b64 v10, v[92:93], v[94:95] offset1:1
.LBB127_303:                            ; =>This Inner Loop Header: Depth=1
	s_add_i32 s10, s2, 0x400
	scratch_load_dwordx4 v[92:95], off, s10
	v_add_u32_e32 v1, s2, v0
	s_add_i32 s10, s2, 0x410
	s_add_i32 s3, s2, 0x490
	s_waitcnt vmcnt(0)
	ds_write2_b64 v1, v[92:93], v[94:95] offset0:80 offset1:81
	scratch_load_dwordx4 v[92:95], off, s10
	s_add_i32 s10, s2, 0x420
	s_waitcnt vmcnt(0)
	ds_write2_b64 v1, v[92:93], v[94:95] offset0:82 offset1:83
	scratch_load_dwordx4 v[92:95], off, s10
	;; [unrolled: 4-line block ×7, first 2 shown]
	s_add_i32 s10, s2, 0x480
	s_addk_i32 s2, 0xa0
	s_cmp_lg_u32 s2, 0
	s_waitcnt vmcnt(0)
	ds_write2_b64 v1, v[92:93], v[94:95] offset0:94 offset1:95
	scratch_load_dwordx4 v[92:95], off, s10
	s_waitcnt vmcnt(0)
	ds_write2_b64 v1, v[92:93], v[94:95] offset0:96 offset1:97
	scratch_load_dwordx4 v[92:95], off, s3
	s_waitcnt vmcnt(0)
	ds_write2_b64 v1, v[92:93], v[94:95] offset0:98 offset1:99
	s_cbranch_scc1 .LBB127_303
; %bb.304:
	ds_read2_b64 v[0:3], v10 offset1:1
	s_waitcnt lgkmcnt(0)
	v_cmp_neq_f64_e32 vcc, 0, v[0:1]
	v_cmp_neq_f64_e64 s[2:3], 0, v[2:3]
	s_or_b64 s[2:3], vcc, s[2:3]
	s_and_b64 exec, exec, s[2:3]
	s_cbranch_execz .LBB127_310
; %bb.305:
	v_cmp_ngt_f64_e64 s[2:3], |v[0:1]|, |v[2:3]|
                                        ; implicit-def: $vgpr34_vgpr35
	s_and_saveexec_b64 s[10:11], s[2:3]
	s_xor_b64 s[2:3], exec, s[10:11]
                                        ; implicit-def: $vgpr8_vgpr9
	s_cbranch_execz .LBB127_307
; %bb.306:
	v_div_scale_f64 v[8:9], s[10:11], v[2:3], v[2:3], v[0:1]
	v_rcp_f64_e32 v[12:13], v[8:9]
	v_div_scale_f64 v[14:15], vcc, v[0:1], v[2:3], v[0:1]
	v_fma_f64 v[34:35], -v[8:9], v[12:13], 1.0
	v_fmac_f64_e32 v[12:13], v[12:13], v[34:35]
	v_fma_f64 v[34:35], -v[8:9], v[12:13], 1.0
	v_fmac_f64_e32 v[12:13], v[12:13], v[34:35]
	v_mul_f64 v[34:35], v[14:15], v[12:13]
	v_fma_f64 v[8:9], -v[8:9], v[34:35], v[14:15]
	v_div_fmas_f64 v[8:9], v[8:9], v[12:13], v[34:35]
	v_div_fixup_f64 v[12:13], v[8:9], v[2:3], v[0:1]
	v_fmac_f64_e32 v[2:3], v[0:1], v[12:13]
	v_div_scale_f64 v[0:1], s[10:11], v[2:3], v[2:3], 1.0
	v_rcp_f64_e32 v[8:9], v[0:1]
	s_nop 0
	v_fma_f64 v[14:15], -v[0:1], v[8:9], 1.0
	v_fmac_f64_e32 v[8:9], v[8:9], v[14:15]
	v_fma_f64 v[14:15], -v[0:1], v[8:9], 1.0
	v_fmac_f64_e32 v[8:9], v[8:9], v[14:15]
	v_div_scale_f64 v[14:15], vcc, 1.0, v[2:3], 1.0
	v_mul_f64 v[34:35], v[14:15], v[8:9]
	v_fma_f64 v[0:1], -v[0:1], v[34:35], v[14:15]
	s_nop 1
	v_div_fmas_f64 v[0:1], v[0:1], v[8:9], v[34:35]
	v_div_fixup_f64 v[8:9], v[0:1], v[2:3], 1.0
	v_mul_f64 v[34:35], v[12:13], v[8:9]
	v_xor_b32_e32 v9, 0x80000000, v9
                                        ; implicit-def: $vgpr0_vgpr1
.LBB127_307:
	s_andn2_saveexec_b64 s[2:3], s[2:3]
	s_cbranch_execz .LBB127_309
; %bb.308:
	v_div_scale_f64 v[8:9], s[10:11], v[0:1], v[0:1], v[2:3]
	v_rcp_f64_e32 v[12:13], v[8:9]
	v_div_scale_f64 v[14:15], vcc, v[2:3], v[0:1], v[2:3]
	v_fma_f64 v[34:35], -v[8:9], v[12:13], 1.0
	v_fmac_f64_e32 v[12:13], v[12:13], v[34:35]
	v_fma_f64 v[34:35], -v[8:9], v[12:13], 1.0
	v_fmac_f64_e32 v[12:13], v[12:13], v[34:35]
	v_mul_f64 v[34:35], v[14:15], v[12:13]
	v_fma_f64 v[8:9], -v[8:9], v[34:35], v[14:15]
	v_div_fmas_f64 v[8:9], v[8:9], v[12:13], v[34:35]
	v_div_fixup_f64 v[8:9], v[8:9], v[0:1], v[2:3]
	v_fmac_f64_e32 v[0:1], v[2:3], v[8:9]
	v_div_scale_f64 v[2:3], s[10:11], v[0:1], v[0:1], 1.0
	v_rcp_f64_e32 v[12:13], v[2:3]
	s_nop 0
	v_fma_f64 v[14:15], -v[2:3], v[12:13], 1.0
	v_fmac_f64_e32 v[12:13], v[12:13], v[14:15]
	v_fma_f64 v[14:15], -v[2:3], v[12:13], 1.0
	v_fmac_f64_e32 v[12:13], v[12:13], v[14:15]
	v_div_scale_f64 v[14:15], vcc, 1.0, v[0:1], 1.0
	v_mul_f64 v[34:35], v[14:15], v[12:13]
	v_fma_f64 v[2:3], -v[2:3], v[34:35], v[14:15]
	s_nop 1
	v_div_fmas_f64 v[2:3], v[2:3], v[12:13], v[34:35]
	v_div_fixup_f64 v[34:35], v[2:3], v[0:1], 1.0
	v_mul_f64 v[8:9], v[8:9], -v[34:35]
.LBB127_309:
	s_or_b64 exec, exec, s[2:3]
	ds_write2_b64 v10, v[34:35], v[8:9] offset1:1
.LBB127_310:
	s_or_b64 exec, exec, s[4:5]
	s_waitcnt lgkmcnt(0)
	s_barrier
	ds_read2_b64 v[92:95], v10 offset1:1
	v_cmp_lt_u32_e32 vcc, 23, v254
	s_and_saveexec_b64 s[2:3], vcc
	s_cbranch_execz .LBB127_313
; %bb.311:
	scratch_load_dwordx4 v[96:99], off, off offset:368
	s_waitcnt vmcnt(1)
	v_add_u32_e32 v0, 0x180, v11
	s_movk_i32 s4, 0xfd80
	s_waitcnt vmcnt(0) lgkmcnt(0)
	v_mul_f64 v[2:3], v[94:95], v[98:99]
	v_mul_f64 v[100:101], v[92:93], v[98:99]
	v_fma_f64 v[98:99], v[92:93], v[96:97], -v[2:3]
	v_fmac_f64_e32 v[100:101], v[94:95], v[96:97]
	scratch_store_dwordx4 off, v[98:101], off offset:368
.LBB127_312:                            ; =>This Inner Loop Header: Depth=1
	scratch_load_dwordx4 v[96:99], off, off offset:368
	s_add_i32 s10, s4, 0x400
	scratch_load_dwordx4 v[100:103], off, s10
	v_add_u32_e32 v1, s4, v0
	ds_read2_b64 v[104:107], v1 offset0:80 offset1:81
	ds_read2_b64 v[108:111], v1 offset0:82 offset1:83
	s_add_i32 s11, s4, 0x410
	scratch_load_dwordx4 v[112:115], off, s11
	s_add_i32 s5, s4, 0x470
	s_waitcnt vmcnt(2) lgkmcnt(1)
	v_mul_f64 v[2:3], v[106:107], v[98:99]
	v_mul_f64 v[8:9], v[104:105], v[98:99]
	v_fma_f64 v[2:3], v[104:105], v[96:97], -v[2:3]
	v_fmac_f64_e32 v[8:9], v[106:107], v[96:97]
	s_waitcnt vmcnt(1)
	v_add_f64 v[96:97], v[100:101], -v[2:3]
	v_add_f64 v[98:99], v[102:103], -v[8:9]
	scratch_store_dwordx4 off, v[96:99], s10
	scratch_load_dwordx4 v[96:99], off, off offset:368
	s_add_i32 s10, s4, 0x420
	s_waitcnt vmcnt(0) lgkmcnt(0)
	v_mul_f64 v[2:3], v[110:111], v[98:99]
	v_mul_f64 v[8:9], v[108:109], v[98:99]
	v_fma_f64 v[2:3], v[108:109], v[96:97], -v[2:3]
	v_fmac_f64_e32 v[8:9], v[110:111], v[96:97]
	v_add_f64 v[96:97], v[112:113], -v[2:3]
	v_add_f64 v[98:99], v[114:115], -v[8:9]
	scratch_store_dwordx4 off, v[96:99], s11
	scratch_load_dwordx4 v[96:99], off, off offset:368
	s_nop 0
	scratch_load_dwordx4 v[100:103], off, s10
	ds_read2_b64 v[104:107], v1 offset0:84 offset1:85
	ds_read2_b64 v[108:111], v1 offset0:86 offset1:87
	s_add_i32 s11, s4, 0x430
	scratch_load_dwordx4 v[112:115], off, s11
	s_waitcnt vmcnt(2) lgkmcnt(1)
	v_mul_f64 v[2:3], v[106:107], v[98:99]
	v_mul_f64 v[8:9], v[104:105], v[98:99]
	v_fma_f64 v[2:3], v[104:105], v[96:97], -v[2:3]
	v_fmac_f64_e32 v[8:9], v[106:107], v[96:97]
	s_waitcnt vmcnt(1)
	v_add_f64 v[96:97], v[100:101], -v[2:3]
	v_add_f64 v[98:99], v[102:103], -v[8:9]
	scratch_store_dwordx4 off, v[96:99], s10
	scratch_load_dwordx4 v[96:99], off, off offset:368
	s_add_i32 s10, s4, 0x440
	s_waitcnt vmcnt(0) lgkmcnt(0)
	v_mul_f64 v[2:3], v[110:111], v[98:99]
	v_mul_f64 v[8:9], v[108:109], v[98:99]
	v_fma_f64 v[2:3], v[108:109], v[96:97], -v[2:3]
	v_fmac_f64_e32 v[8:9], v[110:111], v[96:97]
	v_add_f64 v[96:97], v[112:113], -v[2:3]
	v_add_f64 v[98:99], v[114:115], -v[8:9]
	scratch_store_dwordx4 off, v[96:99], s11
	scratch_load_dwordx4 v[96:99], off, off offset:368
	s_nop 0
	scratch_load_dwordx4 v[100:103], off, s10
	ds_read2_b64 v[104:107], v1 offset0:88 offset1:89
	ds_read2_b64 v[108:111], v1 offset0:90 offset1:91
	s_add_i32 s11, s4, 0x450
	scratch_load_dwordx4 v[112:115], off, s11
	s_waitcnt vmcnt(2) lgkmcnt(1)
	v_mul_f64 v[2:3], v[106:107], v[98:99]
	v_mul_f64 v[8:9], v[104:105], v[98:99]
	v_fma_f64 v[2:3], v[104:105], v[96:97], -v[2:3]
	v_fmac_f64_e32 v[8:9], v[106:107], v[96:97]
	s_waitcnt vmcnt(1)
	v_add_f64 v[96:97], v[100:101], -v[2:3]
	v_add_f64 v[98:99], v[102:103], -v[8:9]
	scratch_store_dwordx4 off, v[96:99], s10
	scratch_load_dwordx4 v[96:99], off, off offset:368
	s_add_i32 s10, s4, 0x460
	s_addk_i32 s4, 0x80
	s_cmp_lg_u32 s4, 0
	s_waitcnt vmcnt(0) lgkmcnt(0)
	v_mul_f64 v[2:3], v[110:111], v[98:99]
	v_mul_f64 v[8:9], v[108:109], v[98:99]
	v_fma_f64 v[2:3], v[108:109], v[96:97], -v[2:3]
	v_fmac_f64_e32 v[8:9], v[110:111], v[96:97]
	v_add_f64 v[96:97], v[112:113], -v[2:3]
	v_add_f64 v[98:99], v[114:115], -v[8:9]
	scratch_store_dwordx4 off, v[96:99], s11
	scratch_load_dwordx4 v[96:99], off, off offset:368
	s_nop 0
	scratch_load_dwordx4 v[100:103], off, s10
	ds_read2_b64 v[104:107], v1 offset0:92 offset1:93
	ds_read2_b64 v[108:111], v1 offset0:94 offset1:95
	scratch_load_dwordx4 v[112:115], off, s5
	s_waitcnt vmcnt(2) lgkmcnt(1)
	v_mul_f64 v[2:3], v[106:107], v[98:99]
	v_mul_f64 v[8:9], v[104:105], v[98:99]
	v_fma_f64 v[2:3], v[104:105], v[96:97], -v[2:3]
	v_fmac_f64_e32 v[8:9], v[106:107], v[96:97]
	s_waitcnt vmcnt(1)
	v_add_f64 v[96:97], v[100:101], -v[2:3]
	v_add_f64 v[98:99], v[102:103], -v[8:9]
	scratch_store_dwordx4 off, v[96:99], s10
	scratch_load_dwordx4 v[96:99], off, off offset:368
	s_waitcnt vmcnt(0) lgkmcnt(0)
	v_mul_f64 v[2:3], v[110:111], v[98:99]
	v_mul_f64 v[8:9], v[108:109], v[98:99]
	v_fma_f64 v[2:3], v[108:109], v[96:97], -v[2:3]
	v_fmac_f64_e32 v[8:9], v[110:111], v[96:97]
	v_add_f64 v[96:97], v[112:113], -v[2:3]
	v_add_f64 v[98:99], v[114:115], -v[8:9]
	scratch_store_dwordx4 off, v[96:99], s5
	s_cbranch_scc1 .LBB127_312
.LBB127_313:
	s_or_b64 exec, exec, s[2:3]
	v_cmp_eq_u32_e32 vcc, 24, v254
	s_waitcnt lgkmcnt(0)
	s_barrier
	s_and_saveexec_b64 s[4:5], vcc
	s_cbranch_execz .LBB127_322
; %bb.314:
	scratch_load_dwordx4 v[96:99], off, s88
	s_waitcnt vmcnt(1)
	v_add_u32_e32 v0, 0x190, v11
	s_movk_i32 s2, 0xfd90
	s_waitcnt vmcnt(0)
	ds_write2_b64 v10, v[96:97], v[98:99] offset1:1
.LBB127_315:                            ; =>This Inner Loop Header: Depth=1
	s_add_i32 s10, s2, 0x400
	scratch_load_dwordx4 v[96:99], off, s10
	v_add_u32_e32 v1, s2, v0
	s_add_i32 s10, s2, 0x410
	s_add_i32 s3, s2, 0x4c0
	s_waitcnt vmcnt(0)
	ds_write2_b64 v1, v[96:97], v[98:99] offset0:78 offset1:79
	scratch_load_dwordx4 v[96:99], off, s10
	s_add_i32 s10, s2, 0x420
	s_waitcnt vmcnt(0)
	ds_write2_b64 v1, v[96:97], v[98:99] offset0:80 offset1:81
	scratch_load_dwordx4 v[96:99], off, s10
	;; [unrolled: 4-line block ×10, first 2 shown]
	s_add_i32 s10, s2, 0x4b0
	s_addk_i32 s2, 0xd0
	s_cmp_lg_u32 s2, 0
	s_waitcnt vmcnt(0)
	ds_write2_b64 v1, v[96:97], v[98:99] offset0:98 offset1:99
	scratch_load_dwordx4 v[96:99], off, s10
	s_waitcnt vmcnt(0)
	ds_write2_b64 v1, v[96:97], v[98:99] offset0:100 offset1:101
	scratch_load_dwordx4 v[96:99], off, s3
	s_waitcnt vmcnt(0)
	ds_write2_b64 v1, v[96:97], v[98:99] offset0:102 offset1:103
	s_cbranch_scc1 .LBB127_315
; %bb.316:
	ds_read2_b64 v[0:3], v10 offset1:1
	s_waitcnt lgkmcnt(0)
	v_cmp_neq_f64_e32 vcc, 0, v[0:1]
	v_cmp_neq_f64_e64 s[2:3], 0, v[2:3]
	s_or_b64 s[2:3], vcc, s[2:3]
	s_and_b64 exec, exec, s[2:3]
	s_cbranch_execz .LBB127_322
; %bb.317:
	v_cmp_ngt_f64_e64 s[2:3], |v[0:1]|, |v[2:3]|
                                        ; implicit-def: $vgpr34_vgpr35
	s_and_saveexec_b64 s[10:11], s[2:3]
	s_xor_b64 s[2:3], exec, s[10:11]
                                        ; implicit-def: $vgpr8_vgpr9
	s_cbranch_execz .LBB127_319
; %bb.318:
	v_div_scale_f64 v[8:9], s[10:11], v[2:3], v[2:3], v[0:1]
	v_rcp_f64_e32 v[12:13], v[8:9]
	v_div_scale_f64 v[14:15], vcc, v[0:1], v[2:3], v[0:1]
	v_fma_f64 v[34:35], -v[8:9], v[12:13], 1.0
	v_fmac_f64_e32 v[12:13], v[12:13], v[34:35]
	v_fma_f64 v[34:35], -v[8:9], v[12:13], 1.0
	v_fmac_f64_e32 v[12:13], v[12:13], v[34:35]
	v_mul_f64 v[34:35], v[14:15], v[12:13]
	v_fma_f64 v[8:9], -v[8:9], v[34:35], v[14:15]
	v_div_fmas_f64 v[8:9], v[8:9], v[12:13], v[34:35]
	v_div_fixup_f64 v[12:13], v[8:9], v[2:3], v[0:1]
	v_fmac_f64_e32 v[2:3], v[0:1], v[12:13]
	v_div_scale_f64 v[0:1], s[10:11], v[2:3], v[2:3], 1.0
	v_rcp_f64_e32 v[8:9], v[0:1]
	s_nop 0
	v_fma_f64 v[14:15], -v[0:1], v[8:9], 1.0
	v_fmac_f64_e32 v[8:9], v[8:9], v[14:15]
	v_fma_f64 v[14:15], -v[0:1], v[8:9], 1.0
	v_fmac_f64_e32 v[8:9], v[8:9], v[14:15]
	v_div_scale_f64 v[14:15], vcc, 1.0, v[2:3], 1.0
	v_mul_f64 v[34:35], v[14:15], v[8:9]
	v_fma_f64 v[0:1], -v[0:1], v[34:35], v[14:15]
	s_nop 1
	v_div_fmas_f64 v[0:1], v[0:1], v[8:9], v[34:35]
	v_div_fixup_f64 v[8:9], v[0:1], v[2:3], 1.0
	v_mul_f64 v[34:35], v[12:13], v[8:9]
	v_xor_b32_e32 v9, 0x80000000, v9
                                        ; implicit-def: $vgpr0_vgpr1
.LBB127_319:
	s_andn2_saveexec_b64 s[2:3], s[2:3]
	s_cbranch_execz .LBB127_321
; %bb.320:
	v_div_scale_f64 v[8:9], s[10:11], v[0:1], v[0:1], v[2:3]
	v_rcp_f64_e32 v[12:13], v[8:9]
	v_div_scale_f64 v[14:15], vcc, v[2:3], v[0:1], v[2:3]
	v_fma_f64 v[34:35], -v[8:9], v[12:13], 1.0
	v_fmac_f64_e32 v[12:13], v[12:13], v[34:35]
	v_fma_f64 v[34:35], -v[8:9], v[12:13], 1.0
	v_fmac_f64_e32 v[12:13], v[12:13], v[34:35]
	v_mul_f64 v[34:35], v[14:15], v[12:13]
	v_fma_f64 v[8:9], -v[8:9], v[34:35], v[14:15]
	v_div_fmas_f64 v[8:9], v[8:9], v[12:13], v[34:35]
	v_div_fixup_f64 v[8:9], v[8:9], v[0:1], v[2:3]
	v_fmac_f64_e32 v[0:1], v[2:3], v[8:9]
	v_div_scale_f64 v[2:3], s[10:11], v[0:1], v[0:1], 1.0
	v_rcp_f64_e32 v[12:13], v[2:3]
	s_nop 0
	v_fma_f64 v[14:15], -v[2:3], v[12:13], 1.0
	v_fmac_f64_e32 v[12:13], v[12:13], v[14:15]
	v_fma_f64 v[14:15], -v[2:3], v[12:13], 1.0
	v_fmac_f64_e32 v[12:13], v[12:13], v[14:15]
	v_div_scale_f64 v[14:15], vcc, 1.0, v[0:1], 1.0
	v_mul_f64 v[34:35], v[14:15], v[12:13]
	v_fma_f64 v[2:3], -v[2:3], v[34:35], v[14:15]
	s_nop 1
	v_div_fmas_f64 v[2:3], v[2:3], v[12:13], v[34:35]
	v_div_fixup_f64 v[34:35], v[2:3], v[0:1], 1.0
	v_mul_f64 v[8:9], v[8:9], -v[34:35]
.LBB127_321:
	s_or_b64 exec, exec, s[2:3]
	ds_write2_b64 v10, v[34:35], v[8:9] offset1:1
.LBB127_322:
	s_or_b64 exec, exec, s[4:5]
	s_waitcnt lgkmcnt(0)
	s_barrier
	ds_read2_b64 v[96:99], v10 offset1:1
	v_cmp_lt_u32_e32 vcc, 24, v254
	s_and_saveexec_b64 s[2:3], vcc
	s_cbranch_execz .LBB127_325
; %bb.323:
	scratch_load_dwordx4 v[100:103], off, off offset:384
	s_waitcnt vmcnt(1)
	v_add_u32_e32 v0, 0x190, v11
	s_movk_i32 s4, 0xfd90
	s_waitcnt vmcnt(0) lgkmcnt(0)
	v_mul_f64 v[2:3], v[98:99], v[102:103]
	v_mul_f64 v[104:105], v[96:97], v[102:103]
	v_fma_f64 v[102:103], v[96:97], v[100:101], -v[2:3]
	v_fmac_f64_e32 v[104:105], v[98:99], v[100:101]
	scratch_store_dwordx4 off, v[102:105], off offset:384
.LBB127_324:                            ; =>This Inner Loop Header: Depth=1
	scratch_load_dwordx4 v[104:107], off, off offset:384
	v_add_u32_e32 v1, s4, v0
	ds_read2_b64 v[100:103], v1 offset0:78 offset1:79
	s_add_i32 s10, s4, 0x400
	s_add_i32 s5, s4, 0x420
	s_waitcnt vmcnt(0) lgkmcnt(0)
	v_mul_f64 v[2:3], v[102:103], v[106:107]
	v_mul_f64 v[8:9], v[100:101], v[106:107]
	v_fma_f64 v[2:3], v[100:101], v[104:105], -v[2:3]
	v_fmac_f64_e32 v[8:9], v[102:103], v[104:105]
	scratch_load_dwordx4 v[100:103], off, s10
	s_waitcnt vmcnt(0)
	v_add_f64 v[100:101], v[100:101], -v[2:3]
	v_add_f64 v[102:103], v[102:103], -v[8:9]
	scratch_store_dwordx4 off, v[100:103], s10
	scratch_load_dwordx4 v[104:107], off, off offset:384
	ds_read2_b64 v[100:103], v1 offset0:80 offset1:81
	s_add_i32 s10, s4, 0x410
	s_add_i32 s4, s4, 48
	s_cmp_lg_u32 s4, 0
	s_waitcnt vmcnt(0) lgkmcnt(0)
	v_mul_f64 v[2:3], v[102:103], v[106:107]
	v_mul_f64 v[8:9], v[100:101], v[106:107]
	v_fma_f64 v[2:3], v[100:101], v[104:105], -v[2:3]
	v_fmac_f64_e32 v[8:9], v[102:103], v[104:105]
	scratch_load_dwordx4 v[100:103], off, s10
	s_waitcnt vmcnt(0)
	v_add_f64 v[100:101], v[100:101], -v[2:3]
	v_add_f64 v[102:103], v[102:103], -v[8:9]
	scratch_store_dwordx4 off, v[100:103], s10
	scratch_load_dwordx4 v[104:107], off, off offset:384
	ds_read2_b64 v[100:103], v1 offset0:82 offset1:83
	s_waitcnt vmcnt(0) lgkmcnt(0)
	v_mul_f64 v[2:3], v[102:103], v[106:107]
	v_mul_f64 v[8:9], v[100:101], v[106:107]
	v_fma_f64 v[2:3], v[100:101], v[104:105], -v[2:3]
	v_fmac_f64_e32 v[8:9], v[102:103], v[104:105]
	scratch_load_dwordx4 v[100:103], off, s5
	s_waitcnt vmcnt(0)
	v_add_f64 v[100:101], v[100:101], -v[2:3]
	v_add_f64 v[102:103], v[102:103], -v[8:9]
	scratch_store_dwordx4 off, v[100:103], s5
	s_cbranch_scc1 .LBB127_324
.LBB127_325:
	s_or_b64 exec, exec, s[2:3]
	v_cmp_eq_u32_e32 vcc, 25, v254
	s_waitcnt lgkmcnt(0)
	s_barrier
	s_and_saveexec_b64 s[4:5], vcc
	s_cbranch_execz .LBB127_334
; %bb.326:
	scratch_load_dwordx4 v[0:3], off, s87
	s_mov_b32 s2, 0
	s_waitcnt vmcnt(0)
	ds_write2_b64 v10, v[0:1], v[2:3] offset1:1
	v_add_u32_e32 v0, 0x1a0, v11
.LBB127_327:                            ; =>This Inner Loop Header: Depth=1
	s_add_i32 s10, s2, 0x1a0
	s_add_i32 s3, s2, 0x1b0
	scratch_load_dwordx4 v[100:103], off, s10
	scratch_load_dwordx4 v[104:107], off, s3
	v_add_u32_e32 v1, s2, v0
	s_add_i32 s2, s2, 32
	s_cmpk_lg_i32 s2, 0x260
	s_waitcnt vmcnt(1)
	ds_write2_b64 v1, v[100:101], v[102:103] offset1:1
	s_waitcnt vmcnt(0)
	ds_write2_b64 v1, v[104:105], v[106:107] offset0:2 offset1:3
	s_cbranch_scc1 .LBB127_327
; %bb.328:
	ds_read2_b64 v[0:3], v10 offset1:1
	s_waitcnt lgkmcnt(0)
	v_cmp_neq_f64_e32 vcc, 0, v[0:1]
	v_cmp_neq_f64_e64 s[2:3], 0, v[2:3]
	s_or_b64 s[2:3], vcc, s[2:3]
	s_and_b64 exec, exec, s[2:3]
	s_cbranch_execz .LBB127_334
; %bb.329:
	v_cmp_ngt_f64_e64 s[2:3], |v[0:1]|, |v[2:3]|
                                        ; implicit-def: $vgpr34_vgpr35
	s_and_saveexec_b64 s[10:11], s[2:3]
	s_xor_b64 s[2:3], exec, s[10:11]
                                        ; implicit-def: $vgpr8_vgpr9
	s_cbranch_execz .LBB127_331
; %bb.330:
	v_div_scale_f64 v[8:9], s[10:11], v[2:3], v[2:3], v[0:1]
	v_rcp_f64_e32 v[12:13], v[8:9]
	v_div_scale_f64 v[14:15], vcc, v[0:1], v[2:3], v[0:1]
	v_fma_f64 v[34:35], -v[8:9], v[12:13], 1.0
	v_fmac_f64_e32 v[12:13], v[12:13], v[34:35]
	v_fma_f64 v[34:35], -v[8:9], v[12:13], 1.0
	v_fmac_f64_e32 v[12:13], v[12:13], v[34:35]
	v_mul_f64 v[34:35], v[14:15], v[12:13]
	v_fma_f64 v[8:9], -v[8:9], v[34:35], v[14:15]
	v_div_fmas_f64 v[8:9], v[8:9], v[12:13], v[34:35]
	v_div_fixup_f64 v[12:13], v[8:9], v[2:3], v[0:1]
	v_fmac_f64_e32 v[2:3], v[0:1], v[12:13]
	v_div_scale_f64 v[0:1], s[10:11], v[2:3], v[2:3], 1.0
	v_rcp_f64_e32 v[8:9], v[0:1]
	s_nop 0
	v_fma_f64 v[14:15], -v[0:1], v[8:9], 1.0
	v_fmac_f64_e32 v[8:9], v[8:9], v[14:15]
	v_fma_f64 v[14:15], -v[0:1], v[8:9], 1.0
	v_fmac_f64_e32 v[8:9], v[8:9], v[14:15]
	v_div_scale_f64 v[14:15], vcc, 1.0, v[2:3], 1.0
	v_mul_f64 v[34:35], v[14:15], v[8:9]
	v_fma_f64 v[0:1], -v[0:1], v[34:35], v[14:15]
	s_nop 1
	v_div_fmas_f64 v[0:1], v[0:1], v[8:9], v[34:35]
	v_div_fixup_f64 v[8:9], v[0:1], v[2:3], 1.0
	v_mul_f64 v[34:35], v[12:13], v[8:9]
	v_xor_b32_e32 v9, 0x80000000, v9
                                        ; implicit-def: $vgpr0_vgpr1
.LBB127_331:
	s_andn2_saveexec_b64 s[2:3], s[2:3]
	s_cbranch_execz .LBB127_333
; %bb.332:
	v_div_scale_f64 v[8:9], s[10:11], v[0:1], v[0:1], v[2:3]
	v_rcp_f64_e32 v[12:13], v[8:9]
	v_div_scale_f64 v[14:15], vcc, v[2:3], v[0:1], v[2:3]
	v_fma_f64 v[34:35], -v[8:9], v[12:13], 1.0
	v_fmac_f64_e32 v[12:13], v[12:13], v[34:35]
	v_fma_f64 v[34:35], -v[8:9], v[12:13], 1.0
	v_fmac_f64_e32 v[12:13], v[12:13], v[34:35]
	v_mul_f64 v[34:35], v[14:15], v[12:13]
	v_fma_f64 v[8:9], -v[8:9], v[34:35], v[14:15]
	v_div_fmas_f64 v[8:9], v[8:9], v[12:13], v[34:35]
	v_div_fixup_f64 v[8:9], v[8:9], v[0:1], v[2:3]
	v_fmac_f64_e32 v[0:1], v[2:3], v[8:9]
	v_div_scale_f64 v[2:3], s[10:11], v[0:1], v[0:1], 1.0
	v_rcp_f64_e32 v[12:13], v[2:3]
	s_nop 0
	v_fma_f64 v[14:15], -v[2:3], v[12:13], 1.0
	v_fmac_f64_e32 v[12:13], v[12:13], v[14:15]
	v_fma_f64 v[14:15], -v[2:3], v[12:13], 1.0
	v_fmac_f64_e32 v[12:13], v[12:13], v[14:15]
	v_div_scale_f64 v[14:15], vcc, 1.0, v[0:1], 1.0
	v_mul_f64 v[34:35], v[14:15], v[12:13]
	v_fma_f64 v[2:3], -v[2:3], v[34:35], v[14:15]
	s_nop 1
	v_div_fmas_f64 v[2:3], v[2:3], v[12:13], v[34:35]
	v_div_fixup_f64 v[34:35], v[2:3], v[0:1], 1.0
	v_mul_f64 v[8:9], v[8:9], -v[34:35]
.LBB127_333:
	s_or_b64 exec, exec, s[2:3]
	ds_write2_b64 v10, v[34:35], v[8:9] offset1:1
.LBB127_334:
	s_or_b64 exec, exec, s[4:5]
	s_waitcnt lgkmcnt(0)
	s_barrier
	ds_read2_b64 v[100:103], v10 offset1:1
	v_cmp_lt_u32_e32 vcc, 25, v254
	s_and_saveexec_b64 s[2:3], vcc
	s_cbranch_execz .LBB127_337
; %bb.335:
	scratch_load_dwordx4 v[104:107], off, off offset:400
	s_mov_b32 s4, 0
	v_add_u32_e32 v8, 0x1a0, v11
	s_waitcnt vmcnt(0) lgkmcnt(0)
	v_mul_f64 v[0:1], v[102:103], v[106:107]
	v_mul_f64 v[2:3], v[100:101], v[106:107]
	v_fma_f64 v[0:1], v[100:101], v[104:105], -v[0:1]
	v_fmac_f64_e32 v[2:3], v[102:103], v[104:105]
	scratch_store_dwordx4 off, v[0:3], off offset:400
.LBB127_336:                            ; =>This Inner Loop Header: Depth=1
	v_add_u32_e32 v9, s4, v8
	ds_read2_b64 v[104:107], v9 offset1:1
	s_add_i32 s10, s4, 0x1a0
	s_add_i32 s5, s4, 0x1b0
	s_add_i32 s4, s4, 32
	s_cmpk_lg_i32 s4, 0x260
	s_waitcnt lgkmcnt(0)
	v_mul_f64 v[12:13], v[106:107], v[2:3]
	v_mul_f64 v[14:15], v[104:105], v[2:3]
	v_fma_f64 v[12:13], v[104:105], v[0:1], -v[12:13]
	v_fmac_f64_e32 v[14:15], v[106:107], v[0:1]
	scratch_load_dwordx4 v[104:107], off, s10
	s_waitcnt vmcnt(0)
	v_add_f64 v[104:105], v[104:105], -v[12:13]
	v_add_f64 v[106:107], v[106:107], -v[14:15]
	scratch_store_dwordx4 off, v[104:107], s10
	ds_read2_b64 v[104:107], v9 offset0:2 offset1:3
	s_waitcnt lgkmcnt(0)
	v_mul_f64 v[12:13], v[106:107], v[2:3]
	v_mul_f64 v[14:15], v[104:105], v[2:3]
	v_fma_f64 v[12:13], v[104:105], v[0:1], -v[12:13]
	v_fmac_f64_e32 v[14:15], v[106:107], v[0:1]
	scratch_load_dwordx4 v[104:107], off, s5
	s_waitcnt vmcnt(0)
	v_add_f64 v[104:105], v[104:105], -v[12:13]
	v_add_f64 v[106:107], v[106:107], -v[14:15]
	scratch_store_dwordx4 off, v[104:107], s5
	s_cbranch_scc1 .LBB127_336
.LBB127_337:
	s_or_b64 exec, exec, s[2:3]
	v_cmp_eq_u32_e32 vcc, 26, v254
	s_waitcnt lgkmcnt(0)
	s_barrier
	s_and_saveexec_b64 s[4:5], vcc
	s_cbranch_execz .LBB127_348
; %bb.338:
	scratch_load_dwordx4 v[0:3], off, s86
	s_mov_b32 s10, 0
	s_waitcnt vmcnt(0)
	ds_write2_b64 v10, v[0:1], v[2:3] offset1:1
	v_add_u32_e32 v0, 0x1b0, v11
	s_branch .LBB127_340
.LBB127_339:                            ;   in Loop: Header=BB127_340 Depth=1
	s_andn2_b64 vcc, exec, s[2:3]
	s_cbranch_vccz .LBB127_342
.LBB127_340:                            ; =>This Inner Loop Header: Depth=1
	s_add_i32 s2, s10, 0x1b0
	scratch_load_dwordx4 v[104:107], off, s2
	v_add_u32_e32 v1, s10, v0
	s_add_i32 s2, s10, 0x1c0
	s_mov_b32 s11, s10
	s_waitcnt vmcnt(0)
	ds_write2_b64 v1, v[104:105], v[106:107] offset1:1
	scratch_load_dwordx4 v[104:107], off, s2
	s_add_i32 s2, s10, 0x1d0
	s_waitcnt vmcnt(0)
	ds_write2_b64 v1, v[104:105], v[106:107] offset0:2 offset1:3
	scratch_load_dwordx4 v[104:107], off, s2
	s_add_i32 s2, s10, 0x1e0
	s_waitcnt vmcnt(0)
	ds_write2_b64 v1, v[104:105], v[106:107] offset0:4 offset1:5
	scratch_load_dwordx4 v[104:107], off, s2
	s_add_i32 s2, s10, 0x1f0
	s_cmpk_eq_i32 s10, 0x200
	s_waitcnt vmcnt(0)
	ds_write2_b64 v1, v[104:105], v[106:107] offset0:6 offset1:7
	scratch_load_dwordx4 v[104:107], off, s2
	s_mov_b64 s[2:3], -1
	s_waitcnt vmcnt(0)
	ds_write2_b64 v1, v[104:105], v[106:107] offset0:8 offset1:9
	s_cbranch_scc1 .LBB127_339
; %bb.341:                              ;   in Loop: Header=BB127_340 Depth=1
	s_add_i32 s2, s11, 0x200
	s_add_i32 s3, s11, 0x210
	scratch_load_dwordx4 v[104:107], off, s2
	scratch_load_dwordx4 v[108:111], off, s3
	s_addk_i32 s11, 0x220
	scratch_load_dwordx4 v[112:115], off, s11
	s_addk_i32 s10, 0x80
	s_mov_b64 s[2:3], 0
	s_waitcnt vmcnt(2)
	ds_write2_b64 v1, v[104:105], v[106:107] offset0:10 offset1:11
	s_waitcnt vmcnt(1)
	ds_write2_b64 v1, v[108:109], v[110:111] offset0:12 offset1:13
	;; [unrolled: 2-line block ×3, first 2 shown]
	s_branch .LBB127_339
.LBB127_342:
	ds_read2_b64 v[0:3], v10 offset1:1
	s_waitcnt lgkmcnt(0)
	v_cmp_neq_f64_e32 vcc, 0, v[0:1]
	v_cmp_neq_f64_e64 s[2:3], 0, v[2:3]
	s_or_b64 s[2:3], vcc, s[2:3]
	s_and_b64 exec, exec, s[2:3]
	s_cbranch_execz .LBB127_348
; %bb.343:
	v_cmp_ngt_f64_e64 s[2:3], |v[0:1]|, |v[2:3]|
                                        ; implicit-def: $vgpr34_vgpr35
	s_and_saveexec_b64 s[10:11], s[2:3]
	s_xor_b64 s[2:3], exec, s[10:11]
                                        ; implicit-def: $vgpr8_vgpr9
	s_cbranch_execz .LBB127_345
; %bb.344:
	v_div_scale_f64 v[8:9], s[10:11], v[2:3], v[2:3], v[0:1]
	v_rcp_f64_e32 v[12:13], v[8:9]
	v_div_scale_f64 v[14:15], vcc, v[0:1], v[2:3], v[0:1]
	v_fma_f64 v[34:35], -v[8:9], v[12:13], 1.0
	v_fmac_f64_e32 v[12:13], v[12:13], v[34:35]
	v_fma_f64 v[34:35], -v[8:9], v[12:13], 1.0
	v_fmac_f64_e32 v[12:13], v[12:13], v[34:35]
	v_mul_f64 v[34:35], v[14:15], v[12:13]
	v_fma_f64 v[8:9], -v[8:9], v[34:35], v[14:15]
	v_div_fmas_f64 v[8:9], v[8:9], v[12:13], v[34:35]
	v_div_fixup_f64 v[12:13], v[8:9], v[2:3], v[0:1]
	v_fmac_f64_e32 v[2:3], v[0:1], v[12:13]
	v_div_scale_f64 v[0:1], s[10:11], v[2:3], v[2:3], 1.0
	v_rcp_f64_e32 v[8:9], v[0:1]
	s_nop 0
	v_fma_f64 v[14:15], -v[0:1], v[8:9], 1.0
	v_fmac_f64_e32 v[8:9], v[8:9], v[14:15]
	v_fma_f64 v[14:15], -v[0:1], v[8:9], 1.0
	v_fmac_f64_e32 v[8:9], v[8:9], v[14:15]
	v_div_scale_f64 v[14:15], vcc, 1.0, v[2:3], 1.0
	v_mul_f64 v[34:35], v[14:15], v[8:9]
	v_fma_f64 v[0:1], -v[0:1], v[34:35], v[14:15]
	s_nop 1
	v_div_fmas_f64 v[0:1], v[0:1], v[8:9], v[34:35]
	v_div_fixup_f64 v[8:9], v[0:1], v[2:3], 1.0
	v_mul_f64 v[34:35], v[12:13], v[8:9]
	v_xor_b32_e32 v9, 0x80000000, v9
                                        ; implicit-def: $vgpr0_vgpr1
.LBB127_345:
	s_andn2_saveexec_b64 s[2:3], s[2:3]
	s_cbranch_execz .LBB127_347
; %bb.346:
	v_div_scale_f64 v[8:9], s[10:11], v[0:1], v[0:1], v[2:3]
	v_rcp_f64_e32 v[12:13], v[8:9]
	v_div_scale_f64 v[14:15], vcc, v[2:3], v[0:1], v[2:3]
	v_fma_f64 v[34:35], -v[8:9], v[12:13], 1.0
	v_fmac_f64_e32 v[12:13], v[12:13], v[34:35]
	v_fma_f64 v[34:35], -v[8:9], v[12:13], 1.0
	v_fmac_f64_e32 v[12:13], v[12:13], v[34:35]
	v_mul_f64 v[34:35], v[14:15], v[12:13]
	v_fma_f64 v[8:9], -v[8:9], v[34:35], v[14:15]
	v_div_fmas_f64 v[8:9], v[8:9], v[12:13], v[34:35]
	v_div_fixup_f64 v[8:9], v[8:9], v[0:1], v[2:3]
	v_fmac_f64_e32 v[0:1], v[2:3], v[8:9]
	v_div_scale_f64 v[2:3], s[10:11], v[0:1], v[0:1], 1.0
	v_rcp_f64_e32 v[12:13], v[2:3]
	s_nop 0
	v_fma_f64 v[14:15], -v[2:3], v[12:13], 1.0
	v_fmac_f64_e32 v[12:13], v[12:13], v[14:15]
	v_fma_f64 v[14:15], -v[2:3], v[12:13], 1.0
	v_fmac_f64_e32 v[12:13], v[12:13], v[14:15]
	v_div_scale_f64 v[14:15], vcc, 1.0, v[0:1], 1.0
	v_mul_f64 v[34:35], v[14:15], v[12:13]
	v_fma_f64 v[2:3], -v[2:3], v[34:35], v[14:15]
	s_nop 1
	v_div_fmas_f64 v[2:3], v[2:3], v[12:13], v[34:35]
	v_div_fixup_f64 v[34:35], v[2:3], v[0:1], 1.0
	v_mul_f64 v[8:9], v[8:9], -v[34:35]
.LBB127_347:
	s_or_b64 exec, exec, s[2:3]
	ds_write2_b64 v10, v[34:35], v[8:9] offset1:1
.LBB127_348:
	s_or_b64 exec, exec, s[4:5]
	s_waitcnt lgkmcnt(0)
	s_barrier
	ds_read2_b64 v[104:107], v10 offset1:1
	v_cmp_lt_u32_e32 vcc, 26, v254
	s_and_saveexec_b64 s[2:3], vcc
	s_cbranch_execz .LBB127_353
; %bb.349:
	scratch_load_dwordx4 v[0:3], off, off offset:416
	s_mov_b32 s10, 0
	s_waitcnt vmcnt(0) lgkmcnt(0)
	v_mul_f64 v[8:9], v[106:107], v[2:3]
	v_mul_f64 v[110:111], v[104:105], v[2:3]
	v_fma_f64 v[108:109], v[104:105], v[0:1], -v[8:9]
	v_fmac_f64_e32 v[110:111], v[106:107], v[0:1]
	scratch_store_dwordx4 off, v[108:111], off offset:416
	s_branch .LBB127_351
.LBB127_350:                            ;   in Loop: Header=BB127_351 Depth=1
	s_andn2_b64 vcc, exec, s[4:5]
	s_cbranch_vccz .LBB127_353
.LBB127_351:                            ; =>This Inner Loop Header: Depth=1
	v_add_u32_e32 v0, 0x1b0, v11
	v_add_u32_e32 v0, s10, v0
	ds_read2_b64 v[112:115], v0 offset1:1
	s_add_i32 s4, s10, 0x1b0
	s_mov_b32 s11, s10
	s_waitcnt lgkmcnt(0)
	v_mul_f64 v[2:3], v[114:115], v[110:111]
	v_mul_f64 v[8:9], v[112:113], v[110:111]
	v_fma_f64 v[2:3], v[112:113], v[108:109], -v[2:3]
	v_fmac_f64_e32 v[8:9], v[114:115], v[108:109]
	scratch_load_dwordx4 v[112:115], off, s4
	s_waitcnt vmcnt(0)
	v_add_f64 v[112:113], v[112:113], -v[2:3]
	v_add_f64 v[114:115], v[114:115], -v[8:9]
	scratch_store_dwordx4 off, v[112:115], s4
	ds_read2_b64 v[112:115], v0 offset0:2 offset1:3
	s_add_i32 s4, s10, 0x1c0
	s_waitcnt lgkmcnt(0)
	v_mul_f64 v[2:3], v[114:115], v[110:111]
	v_mul_f64 v[8:9], v[112:113], v[110:111]
	v_fma_f64 v[2:3], v[112:113], v[108:109], -v[2:3]
	v_fmac_f64_e32 v[8:9], v[114:115], v[108:109]
	scratch_load_dwordx4 v[112:115], off, s4
	s_waitcnt vmcnt(0)
	v_add_f64 v[112:113], v[112:113], -v[2:3]
	v_add_f64 v[114:115], v[114:115], -v[8:9]
	scratch_store_dwordx4 off, v[112:115], s4
	ds_read2_b64 v[112:115], v0 offset0:4 offset1:5
	s_add_i32 s4, s10, 0x1d0
	;; [unrolled: 12-line block ×4, first 2 shown]
	s_cmpk_eq_i32 s10, 0x200
	s_waitcnt lgkmcnt(0)
	v_mul_f64 v[2:3], v[114:115], v[110:111]
	v_mul_f64 v[8:9], v[112:113], v[110:111]
	v_fma_f64 v[2:3], v[112:113], v[108:109], -v[2:3]
	v_fmac_f64_e32 v[8:9], v[114:115], v[108:109]
	scratch_load_dwordx4 v[112:115], off, s4
	s_waitcnt vmcnt(0)
	v_add_f64 v[112:113], v[112:113], -v[2:3]
	v_add_f64 v[114:115], v[114:115], -v[8:9]
	scratch_store_dwordx4 off, v[112:115], s4
	s_mov_b64 s[4:5], -1
	s_cbranch_scc1 .LBB127_350
; %bb.352:                              ;   in Loop: Header=BB127_351 Depth=1
	ds_read2_b64 v[112:115], v0 offset0:10 offset1:11
	s_add_i32 s4, s11, 0x200
	s_addk_i32 s10, 0x80
	s_waitcnt lgkmcnt(0)
	v_mul_f64 v[2:3], v[114:115], v[110:111]
	v_mul_f64 v[8:9], v[112:113], v[110:111]
	v_fma_f64 v[2:3], v[112:113], v[108:109], -v[2:3]
	v_fmac_f64_e32 v[8:9], v[114:115], v[108:109]
	scratch_load_dwordx4 v[112:115], off, s4
	s_waitcnt vmcnt(0)
	v_add_f64 v[112:113], v[112:113], -v[2:3]
	v_add_f64 v[114:115], v[114:115], -v[8:9]
	scratch_store_dwordx4 off, v[112:115], s4
	ds_read2_b64 v[112:115], v0 offset0:12 offset1:13
	s_add_i32 s4, s11, 0x210
	s_addk_i32 s11, 0x220
	s_waitcnt lgkmcnt(0)
	v_mul_f64 v[2:3], v[114:115], v[110:111]
	v_mul_f64 v[8:9], v[112:113], v[110:111]
	v_fma_f64 v[2:3], v[112:113], v[108:109], -v[2:3]
	v_fmac_f64_e32 v[8:9], v[114:115], v[108:109]
	scratch_load_dwordx4 v[112:115], off, s4
	s_waitcnt vmcnt(0)
	v_add_f64 v[112:113], v[112:113], -v[2:3]
	ds_read2_b64 v[0:3], v0 offset0:14 offset1:15
	v_add_f64 v[114:115], v[114:115], -v[8:9]
	scratch_store_dwordx4 off, v[112:115], s4
	s_mov_b64 s[4:5], 0
	s_waitcnt lgkmcnt(0)
	v_mul_f64 v[8:9], v[2:3], v[110:111]
	v_mul_f64 v[12:13], v[0:1], v[110:111]
	v_fma_f64 v[8:9], v[0:1], v[108:109], -v[8:9]
	v_fmac_f64_e32 v[12:13], v[2:3], v[108:109]
	scratch_load_dwordx4 v[0:3], off, s11
	s_waitcnt vmcnt(0)
	v_add_f64 v[0:1], v[0:1], -v[8:9]
	v_add_f64 v[2:3], v[2:3], -v[12:13]
	scratch_store_dwordx4 off, v[0:3], s11
	s_branch .LBB127_350
.LBB127_353:
	s_or_b64 exec, exec, s[2:3]
	v_cmp_eq_u32_e32 vcc, 27, v254
	s_waitcnt lgkmcnt(0)
	s_barrier
	s_and_saveexec_b64 s[4:5], vcc
	s_cbranch_execz .LBB127_360
; %bb.354:
	scratch_load_dwordx4 v[0:3], off, s85
	s_waitcnt vmcnt(0)
	ds_write2_b64 v10, v[0:1], v[2:3] offset1:1
	scratch_load_dwordx4 v[0:3], off, s47
	s_waitcnt vmcnt(0)
	ds_write2_b64 v11, v[0:1], v[2:3] offset0:56 offset1:57
	scratch_load_dwordx4 v[0:3], off, s44
	s_waitcnt vmcnt(0)
	ds_write2_b64 v11, v[0:1], v[2:3] offset0:58 offset1:59
	;; [unrolled: 3-line block ×36, first 2 shown]
	ds_read2_b64 v[0:3], v10 offset1:1
	s_waitcnt lgkmcnt(0)
	v_cmp_neq_f64_e32 vcc, 0, v[0:1]
	v_cmp_neq_f64_e64 s[2:3], 0, v[2:3]
	s_or_b64 s[2:3], vcc, s[2:3]
	s_and_b64 exec, exec, s[2:3]
	s_cbranch_execz .LBB127_360
; %bb.355:
	v_cmp_ngt_f64_e64 s[2:3], |v[0:1]|, |v[2:3]|
                                        ; implicit-def: $vgpr34_vgpr35
	s_and_saveexec_b64 s[10:11], s[2:3]
	s_xor_b64 s[2:3], exec, s[10:11]
                                        ; implicit-def: $vgpr8_vgpr9
	s_cbranch_execz .LBB127_357
; %bb.356:
	v_div_scale_f64 v[8:9], s[10:11], v[2:3], v[2:3], v[0:1]
	v_rcp_f64_e32 v[12:13], v[8:9]
	v_div_scale_f64 v[14:15], vcc, v[0:1], v[2:3], v[0:1]
	v_fma_f64 v[34:35], -v[8:9], v[12:13], 1.0
	v_fmac_f64_e32 v[12:13], v[12:13], v[34:35]
	v_fma_f64 v[34:35], -v[8:9], v[12:13], 1.0
	v_fmac_f64_e32 v[12:13], v[12:13], v[34:35]
	v_mul_f64 v[34:35], v[14:15], v[12:13]
	v_fma_f64 v[8:9], -v[8:9], v[34:35], v[14:15]
	v_div_fmas_f64 v[8:9], v[8:9], v[12:13], v[34:35]
	v_div_fixup_f64 v[12:13], v[8:9], v[2:3], v[0:1]
	v_fmac_f64_e32 v[2:3], v[0:1], v[12:13]
	v_div_scale_f64 v[0:1], s[10:11], v[2:3], v[2:3], 1.0
	v_rcp_f64_e32 v[8:9], v[0:1]
	s_nop 0
	v_fma_f64 v[14:15], -v[0:1], v[8:9], 1.0
	v_fmac_f64_e32 v[8:9], v[8:9], v[14:15]
	v_fma_f64 v[14:15], -v[0:1], v[8:9], 1.0
	v_fmac_f64_e32 v[8:9], v[8:9], v[14:15]
	v_div_scale_f64 v[14:15], vcc, 1.0, v[2:3], 1.0
	v_mul_f64 v[34:35], v[14:15], v[8:9]
	v_fma_f64 v[0:1], -v[0:1], v[34:35], v[14:15]
	s_nop 1
	v_div_fmas_f64 v[0:1], v[0:1], v[8:9], v[34:35]
	v_div_fixup_f64 v[8:9], v[0:1], v[2:3], 1.0
	v_mul_f64 v[34:35], v[12:13], v[8:9]
	v_xor_b32_e32 v9, 0x80000000, v9
                                        ; implicit-def: $vgpr0_vgpr1
.LBB127_357:
	s_andn2_saveexec_b64 s[2:3], s[2:3]
	s_cbranch_execz .LBB127_359
; %bb.358:
	v_div_scale_f64 v[8:9], s[10:11], v[0:1], v[0:1], v[2:3]
	v_rcp_f64_e32 v[12:13], v[8:9]
	v_div_scale_f64 v[14:15], vcc, v[2:3], v[0:1], v[2:3]
	v_fma_f64 v[34:35], -v[8:9], v[12:13], 1.0
	v_fmac_f64_e32 v[12:13], v[12:13], v[34:35]
	v_fma_f64 v[34:35], -v[8:9], v[12:13], 1.0
	v_fmac_f64_e32 v[12:13], v[12:13], v[34:35]
	v_mul_f64 v[34:35], v[14:15], v[12:13]
	v_fma_f64 v[8:9], -v[8:9], v[34:35], v[14:15]
	v_div_fmas_f64 v[8:9], v[8:9], v[12:13], v[34:35]
	v_div_fixup_f64 v[8:9], v[8:9], v[0:1], v[2:3]
	v_fmac_f64_e32 v[0:1], v[2:3], v[8:9]
	v_div_scale_f64 v[2:3], s[10:11], v[0:1], v[0:1], 1.0
	v_rcp_f64_e32 v[12:13], v[2:3]
	s_nop 0
	v_fma_f64 v[14:15], -v[2:3], v[12:13], 1.0
	v_fmac_f64_e32 v[12:13], v[12:13], v[14:15]
	v_fma_f64 v[14:15], -v[2:3], v[12:13], 1.0
	v_fmac_f64_e32 v[12:13], v[12:13], v[14:15]
	v_div_scale_f64 v[14:15], vcc, 1.0, v[0:1], 1.0
	v_mul_f64 v[34:35], v[14:15], v[12:13]
	v_fma_f64 v[2:3], -v[2:3], v[34:35], v[14:15]
	s_nop 1
	v_div_fmas_f64 v[2:3], v[2:3], v[12:13], v[34:35]
	v_div_fixup_f64 v[34:35], v[2:3], v[0:1], 1.0
	v_mul_f64 v[8:9], v[8:9], -v[34:35]
.LBB127_359:
	s_or_b64 exec, exec, s[2:3]
	ds_write2_b64 v10, v[34:35], v[8:9] offset1:1
.LBB127_360:
	s_or_b64 exec, exec, s[4:5]
	s_waitcnt lgkmcnt(0)
	s_barrier
	ds_read2_b64 v[108:111], v10 offset1:1
	v_cmp_lt_u32_e32 vcc, 27, v254
	s_and_saveexec_b64 s[2:3], vcc
	s_cbranch_execz .LBB127_363
; %bb.361:
	scratch_load_dwordx4 v[0:3], off, off offset:432
	s_movk_i32 s4, 0xfdc0
	s_waitcnt vmcnt(0) lgkmcnt(0)
	v_mul_f64 v[8:9], v[110:111], v[2:3]
	v_mul_f64 v[114:115], v[108:109], v[2:3]
	v_fma_f64 v[112:113], v[108:109], v[0:1], -v[8:9]
	v_fmac_f64_e32 v[114:115], v[110:111], v[0:1]
	scratch_store_dwordx4 off, v[112:115], off offset:432
.LBB127_362:                            ; =>This Inner Loop Header: Depth=1
	scratch_load_dwordx4 v[112:115], off, off offset:432
	v_add_u32_e32 v0, 0x1c0, v11
	v_add_u32_e32 v14, s4, v0
	ds_read2_b64 v[0:3], v14 offset0:72 offset1:73
	s_add_i32 s10, s4, 0x400
	s_add_i32 s5, s4, 0x480
	s_waitcnt vmcnt(0) lgkmcnt(0)
	v_mul_f64 v[8:9], v[2:3], v[114:115]
	v_mul_f64 v[12:13], v[0:1], v[114:115]
	v_fma_f64 v[8:9], v[0:1], v[112:113], -v[8:9]
	v_fmac_f64_e32 v[12:13], v[2:3], v[112:113]
	scratch_load_dwordx4 v[0:3], off, s10
	s_waitcnt vmcnt(0)
	v_add_f64 v[0:1], v[0:1], -v[8:9]
	v_add_f64 v[2:3], v[2:3], -v[12:13]
	scratch_store_dwordx4 off, v[0:3], s10
	scratch_load_dwordx4 v[112:115], off, off offset:432
	ds_read2_b64 v[0:3], v14 offset0:74 offset1:75
	s_add_i32 s10, s4, 0x410
	s_waitcnt vmcnt(0) lgkmcnt(0)
	v_mul_f64 v[8:9], v[2:3], v[114:115]
	v_mul_f64 v[12:13], v[0:1], v[114:115]
	v_fma_f64 v[8:9], v[0:1], v[112:113], -v[8:9]
	v_fmac_f64_e32 v[12:13], v[2:3], v[112:113]
	scratch_load_dwordx4 v[0:3], off, s10
	s_waitcnt vmcnt(0)
	v_add_f64 v[0:1], v[0:1], -v[8:9]
	v_add_f64 v[2:3], v[2:3], -v[12:13]
	scratch_store_dwordx4 off, v[0:3], s10
	scratch_load_dwordx4 v[112:115], off, off offset:432
	ds_read2_b64 v[0:3], v14 offset0:76 offset1:77
	;; [unrolled: 13-line block ×7, first 2 shown]
	s_add_i32 s10, s4, 0x470
	s_addk_i32 s4, 0x90
	s_cmp_lg_u32 s4, 0
	s_waitcnt vmcnt(0) lgkmcnt(0)
	v_mul_f64 v[8:9], v[2:3], v[114:115]
	v_mul_f64 v[12:13], v[0:1], v[114:115]
	v_fma_f64 v[8:9], v[0:1], v[112:113], -v[8:9]
	v_fmac_f64_e32 v[12:13], v[2:3], v[112:113]
	scratch_load_dwordx4 v[0:3], off, s10
	ds_read2_b64 v[112:115], v14 offset0:88 offset1:89
	s_waitcnt vmcnt(0)
	v_add_f64 v[0:1], v[0:1], -v[8:9]
	v_add_f64 v[2:3], v[2:3], -v[12:13]
	scratch_store_dwordx4 off, v[0:3], s10
	scratch_load_dwordx4 v[116:119], off, off offset:432
	s_waitcnt vmcnt(0) lgkmcnt(0)
	v_mul_f64 v[0:1], v[114:115], v[118:119]
	v_mul_f64 v[2:3], v[112:113], v[118:119]
	v_fma_f64 v[0:1], v[112:113], v[116:117], -v[0:1]
	v_fmac_f64_e32 v[2:3], v[114:115], v[116:117]
	scratch_load_dwordx4 v[112:115], off, s5
	s_waitcnt vmcnt(0)
	v_add_f64 v[0:1], v[112:113], -v[0:1]
	v_add_f64 v[2:3], v[114:115], -v[2:3]
	scratch_store_dwordx4 off, v[0:3], s5
	s_cbranch_scc1 .LBB127_362
.LBB127_363:
	s_or_b64 exec, exec, s[2:3]
	v_cmp_eq_u32_e32 vcc, 28, v254
	s_waitcnt lgkmcnt(0)
	s_barrier
	s_and_saveexec_b64 s[4:5], vcc
	s_cbranch_execz .LBB127_370
; %bb.364:
	scratch_load_dwordx4 v[0:3], off, s47
	s_waitcnt vmcnt(0)
	ds_write2_b64 v10, v[0:1], v[2:3] offset1:1
	scratch_load_dwordx4 v[0:3], off, s44
	s_waitcnt vmcnt(0)
	ds_write2_b64 v11, v[0:1], v[2:3] offset0:58 offset1:59
	scratch_load_dwordx4 v[0:3], off, s45
	s_waitcnt vmcnt(0)
	ds_write2_b64 v11, v[0:1], v[2:3] offset0:60 offset1:61
	scratch_load_dwordx4 v[0:3], off, s42
	s_waitcnt vmcnt(0)
	ds_write2_b64 v11, v[0:1], v[2:3] offset0:62 offset1:63
	scratch_load_dwordx4 v[0:3], off, s43
	s_waitcnt vmcnt(0)
	ds_write2_b64 v11, v[0:1], v[2:3] offset0:64 offset1:65
	scratch_load_dwordx4 v[0:3], off, s40
	s_waitcnt vmcnt(0)
	ds_write2_b64 v11, v[0:1], v[2:3] offset0:66 offset1:67
	scratch_load_dwordx4 v[0:3], off, s41
	s_waitcnt vmcnt(0)
	ds_write2_b64 v11, v[0:1], v[2:3] offset0:68 offset1:69
	scratch_load_dwordx4 v[0:3], off, s38
	s_waitcnt vmcnt(0)
	ds_write2_b64 v11, v[0:1], v[2:3] offset0:70 offset1:71
	scratch_load_dwordx4 v[0:3], off, s39
	s_waitcnt vmcnt(0)
	ds_write2_b64 v11, v[0:1], v[2:3] offset0:72 offset1:73
	scratch_load_dwordx4 v[0:3], off, s36
	s_waitcnt vmcnt(0)
	ds_write2_b64 v11, v[0:1], v[2:3] offset0:74 offset1:75
	scratch_load_dwordx4 v[0:3], off, s37
	s_waitcnt vmcnt(0)
	ds_write2_b64 v11, v[0:1], v[2:3] offset0:76 offset1:77
	scratch_load_dwordx4 v[0:3], off, s34
	s_waitcnt vmcnt(0)
	ds_write2_b64 v11, v[0:1], v[2:3] offset0:78 offset1:79
	scratch_load_dwordx4 v[0:3], off, s35
	s_waitcnt vmcnt(0)
	ds_write2_b64 v11, v[0:1], v[2:3] offset0:80 offset1:81
	scratch_load_dwordx4 v[0:3], off, s31
	s_waitcnt vmcnt(0)
	ds_write2_b64 v11, v[0:1], v[2:3] offset0:82 offset1:83
	scratch_load_dwordx4 v[0:3], off, s33
	s_waitcnt vmcnt(0)
	ds_write2_b64 v11, v[0:1], v[2:3] offset0:84 offset1:85
	scratch_load_dwordx4 v[0:3], off, s29
	s_waitcnt vmcnt(0)
	ds_write2_b64 v11, v[0:1], v[2:3] offset0:86 offset1:87
	scratch_load_dwordx4 v[0:3], off, s30
	s_waitcnt vmcnt(0)
	ds_write2_b64 v11, v[0:1], v[2:3] offset0:88 offset1:89
	scratch_load_dwordx4 v[0:3], off, s27
	s_waitcnt vmcnt(0)
	ds_write2_b64 v11, v[0:1], v[2:3] offset0:90 offset1:91
	scratch_load_dwordx4 v[0:3], off, s28
	s_waitcnt vmcnt(0)
	ds_write2_b64 v11, v[0:1], v[2:3] offset0:92 offset1:93
	scratch_load_dwordx4 v[0:3], off, s25
	s_waitcnt vmcnt(0)
	ds_write2_b64 v11, v[0:1], v[2:3] offset0:94 offset1:95
	scratch_load_dwordx4 v[0:3], off, s26
	s_waitcnt vmcnt(0)
	ds_write2_b64 v11, v[0:1], v[2:3] offset0:96 offset1:97
	scratch_load_dwordx4 v[0:3], off, s23
	s_waitcnt vmcnt(0)
	ds_write2_b64 v11, v[0:1], v[2:3] offset0:98 offset1:99
	scratch_load_dwordx4 v[0:3], off, s24
	s_waitcnt vmcnt(0)
	ds_write2_b64 v11, v[0:1], v[2:3] offset0:100 offset1:101
	scratch_load_dwordx4 v[0:3], off, s21
	s_waitcnt vmcnt(0)
	ds_write2_b64 v11, v[0:1], v[2:3] offset0:102 offset1:103
	scratch_load_dwordx4 v[0:3], off, s22
	s_waitcnt vmcnt(0)
	ds_write2_b64 v11, v[0:1], v[2:3] offset0:104 offset1:105
	scratch_load_dwordx4 v[0:3], off, s19
	s_waitcnt vmcnt(0)
	ds_write2_b64 v11, v[0:1], v[2:3] offset0:106 offset1:107
	scratch_load_dwordx4 v[0:3], off, s20
	s_waitcnt vmcnt(0)
	ds_write2_b64 v11, v[0:1], v[2:3] offset0:108 offset1:109
	scratch_load_dwordx4 v[0:3], off, s17
	s_waitcnt vmcnt(0)
	ds_write2_b64 v11, v[0:1], v[2:3] offset0:110 offset1:111
	scratch_load_dwordx4 v[0:3], off, s18
	s_waitcnt vmcnt(0)
	ds_write2_b64 v11, v[0:1], v[2:3] offset0:112 offset1:113
	scratch_load_dwordx4 v[0:3], off, s8
	s_waitcnt vmcnt(0)
	ds_write2_b64 v11, v[0:1], v[2:3] offset0:114 offset1:115
	scratch_load_dwordx4 v[0:3], off, s12
	s_waitcnt vmcnt(0)
	ds_write2_b64 v11, v[0:1], v[2:3] offset0:116 offset1:117
	scratch_load_dwordx4 v[0:3], off, s13
	s_waitcnt vmcnt(0)
	ds_write2_b64 v11, v[0:1], v[2:3] offset0:118 offset1:119
	scratch_load_dwordx4 v[0:3], off, s14
	s_waitcnt vmcnt(0)
	ds_write2_b64 v11, v[0:1], v[2:3] offset0:120 offset1:121
	scratch_load_dwordx4 v[0:3], off, s15
	s_waitcnt vmcnt(0)
	ds_write2_b64 v11, v[0:1], v[2:3] offset0:122 offset1:123
	scratch_load_dwordx4 v[0:3], off, s16
	s_waitcnt vmcnt(0)
	ds_write2_b64 v11, v[0:1], v[2:3] offset0:124 offset1:125
	scratch_load_dwordx4 v[0:3], off, s46
	s_waitcnt vmcnt(0)
	ds_write2_b64 v11, v[0:1], v[2:3] offset0:126 offset1:127
	ds_read2_b64 v[0:3], v10 offset1:1
	s_waitcnt lgkmcnt(0)
	v_cmp_neq_f64_e32 vcc, 0, v[0:1]
	v_cmp_neq_f64_e64 s[2:3], 0, v[2:3]
	s_or_b64 s[2:3], vcc, s[2:3]
	s_and_b64 exec, exec, s[2:3]
	s_cbranch_execz .LBB127_370
; %bb.365:
	v_cmp_ngt_f64_e64 s[2:3], |v[0:1]|, |v[2:3]|
                                        ; implicit-def: $vgpr34_vgpr35
	s_and_saveexec_b64 s[10:11], s[2:3]
	s_xor_b64 s[2:3], exec, s[10:11]
                                        ; implicit-def: $vgpr8_vgpr9
	s_cbranch_execz .LBB127_367
; %bb.366:
	v_div_scale_f64 v[8:9], s[10:11], v[2:3], v[2:3], v[0:1]
	v_rcp_f64_e32 v[12:13], v[8:9]
	v_div_scale_f64 v[14:15], vcc, v[0:1], v[2:3], v[0:1]
	v_fma_f64 v[34:35], -v[8:9], v[12:13], 1.0
	v_fmac_f64_e32 v[12:13], v[12:13], v[34:35]
	v_fma_f64 v[34:35], -v[8:9], v[12:13], 1.0
	v_fmac_f64_e32 v[12:13], v[12:13], v[34:35]
	v_mul_f64 v[34:35], v[14:15], v[12:13]
	v_fma_f64 v[8:9], -v[8:9], v[34:35], v[14:15]
	v_div_fmas_f64 v[8:9], v[8:9], v[12:13], v[34:35]
	v_div_fixup_f64 v[12:13], v[8:9], v[2:3], v[0:1]
	v_fmac_f64_e32 v[2:3], v[0:1], v[12:13]
	v_div_scale_f64 v[0:1], s[10:11], v[2:3], v[2:3], 1.0
	v_rcp_f64_e32 v[8:9], v[0:1]
	s_nop 0
	v_fma_f64 v[14:15], -v[0:1], v[8:9], 1.0
	v_fmac_f64_e32 v[8:9], v[8:9], v[14:15]
	v_fma_f64 v[14:15], -v[0:1], v[8:9], 1.0
	v_fmac_f64_e32 v[8:9], v[8:9], v[14:15]
	v_div_scale_f64 v[14:15], vcc, 1.0, v[2:3], 1.0
	v_mul_f64 v[34:35], v[14:15], v[8:9]
	v_fma_f64 v[0:1], -v[0:1], v[34:35], v[14:15]
	s_nop 1
	v_div_fmas_f64 v[0:1], v[0:1], v[8:9], v[34:35]
	v_div_fixup_f64 v[8:9], v[0:1], v[2:3], 1.0
	v_mul_f64 v[34:35], v[12:13], v[8:9]
	v_xor_b32_e32 v9, 0x80000000, v9
                                        ; implicit-def: $vgpr0_vgpr1
.LBB127_367:
	s_andn2_saveexec_b64 s[2:3], s[2:3]
	s_cbranch_execz .LBB127_369
; %bb.368:
	v_div_scale_f64 v[8:9], s[10:11], v[0:1], v[0:1], v[2:3]
	v_rcp_f64_e32 v[12:13], v[8:9]
	v_div_scale_f64 v[14:15], vcc, v[2:3], v[0:1], v[2:3]
	v_fma_f64 v[34:35], -v[8:9], v[12:13], 1.0
	v_fmac_f64_e32 v[12:13], v[12:13], v[34:35]
	v_fma_f64 v[34:35], -v[8:9], v[12:13], 1.0
	v_fmac_f64_e32 v[12:13], v[12:13], v[34:35]
	v_mul_f64 v[34:35], v[14:15], v[12:13]
	v_fma_f64 v[8:9], -v[8:9], v[34:35], v[14:15]
	v_div_fmas_f64 v[8:9], v[8:9], v[12:13], v[34:35]
	v_div_fixup_f64 v[8:9], v[8:9], v[0:1], v[2:3]
	v_fmac_f64_e32 v[0:1], v[2:3], v[8:9]
	v_div_scale_f64 v[2:3], s[10:11], v[0:1], v[0:1], 1.0
	v_rcp_f64_e32 v[12:13], v[2:3]
	s_nop 0
	v_fma_f64 v[14:15], -v[2:3], v[12:13], 1.0
	v_fmac_f64_e32 v[12:13], v[12:13], v[14:15]
	v_fma_f64 v[14:15], -v[2:3], v[12:13], 1.0
	v_fmac_f64_e32 v[12:13], v[12:13], v[14:15]
	v_div_scale_f64 v[14:15], vcc, 1.0, v[0:1], 1.0
	v_mul_f64 v[34:35], v[14:15], v[12:13]
	v_fma_f64 v[2:3], -v[2:3], v[34:35], v[14:15]
	s_nop 1
	v_div_fmas_f64 v[2:3], v[2:3], v[12:13], v[34:35]
	v_div_fixup_f64 v[34:35], v[2:3], v[0:1], 1.0
	v_mul_f64 v[8:9], v[8:9], -v[34:35]
.LBB127_369:
	s_or_b64 exec, exec, s[2:3]
	ds_write2_b64 v10, v[34:35], v[8:9] offset1:1
.LBB127_370:
	s_or_b64 exec, exec, s[4:5]
	scratch_store_dwordx4 off, v[120:123], off offset:1560 ; 16-byte Folded Spill
	s_waitcnt lgkmcnt(0)
	s_barrier
	ds_read2_b64 v[112:115], v10 offset1:1
	v_cmp_lt_u32_e32 vcc, 28, v254
	s_and_saveexec_b64 s[2:3], vcc
	s_cbranch_execz .LBB127_373
; %bb.371:
	scratch_load_dwordx4 v[0:3], off, off offset:448
	s_movk_i32 s4, 0xfdd0
	s_waitcnt vmcnt(0) lgkmcnt(0)
	v_mul_f64 v[8:9], v[114:115], v[2:3]
	v_mul_f64 v[118:119], v[112:113], v[2:3]
	v_fma_f64 v[116:117], v[112:113], v[0:1], -v[8:9]
	v_fmac_f64_e32 v[118:119], v[114:115], v[0:1]
	scratch_store_dwordx4 off, v[116:119], off offset:448
.LBB127_372:                            ; =>This Inner Loop Header: Depth=1
	scratch_load_dwordx4 v[116:119], off, off offset:448
	v_add_u32_e32 v0, 0x1d0, v11
	v_add_u32_e32 v14, s4, v0
	ds_read2_b64 v[0:3], v14 offset0:70 offset1:71
	s_add_i32 s10, s4, 0x400
	s_add_i32 s5, s4, 0x460
	s_waitcnt vmcnt(0) lgkmcnt(0)
	v_mul_f64 v[8:9], v[2:3], v[118:119]
	v_mul_f64 v[12:13], v[0:1], v[118:119]
	v_fma_f64 v[8:9], v[0:1], v[116:117], -v[8:9]
	v_fmac_f64_e32 v[12:13], v[2:3], v[116:117]
	scratch_load_dwordx4 v[0:3], off, s10
	s_waitcnt vmcnt(0)
	v_add_f64 v[0:1], v[0:1], -v[8:9]
	v_add_f64 v[2:3], v[2:3], -v[12:13]
	scratch_store_dwordx4 off, v[0:3], s10
	scratch_load_dwordx4 v[116:119], off, off offset:448
	ds_read2_b64 v[0:3], v14 offset0:72 offset1:73
	s_add_i32 s10, s4, 0x410
	s_waitcnt vmcnt(0) lgkmcnt(0)
	v_mul_f64 v[8:9], v[2:3], v[118:119]
	v_mul_f64 v[12:13], v[0:1], v[118:119]
	v_fma_f64 v[8:9], v[0:1], v[116:117], -v[8:9]
	v_fmac_f64_e32 v[12:13], v[2:3], v[116:117]
	scratch_load_dwordx4 v[0:3], off, s10
	s_waitcnt vmcnt(0)
	v_add_f64 v[0:1], v[0:1], -v[8:9]
	v_add_f64 v[2:3], v[2:3], -v[12:13]
	scratch_store_dwordx4 off, v[0:3], s10
	scratch_load_dwordx4 v[116:119], off, off offset:448
	ds_read2_b64 v[0:3], v14 offset0:74 offset1:75
	;; [unrolled: 13-line block ×5, first 2 shown]
	s_add_i32 s10, s4, 0x450
	s_addk_i32 s4, 0x70
	s_cmp_lg_u32 s4, 0
	s_waitcnt vmcnt(0) lgkmcnt(0)
	v_mul_f64 v[8:9], v[2:3], v[118:119]
	v_mul_f64 v[12:13], v[0:1], v[118:119]
	v_fma_f64 v[8:9], v[0:1], v[116:117], -v[8:9]
	v_fmac_f64_e32 v[12:13], v[2:3], v[116:117]
	scratch_load_dwordx4 v[0:3], off, s10
	ds_read2_b64 v[116:119], v14 offset0:82 offset1:83
	s_waitcnt vmcnt(0)
	v_add_f64 v[0:1], v[0:1], -v[8:9]
	v_add_f64 v[2:3], v[2:3], -v[12:13]
	scratch_store_dwordx4 off, v[0:3], s10
	scratch_load_dwordx4 v[120:123], off, off offset:448
	s_waitcnt vmcnt(0) lgkmcnt(0)
	v_mul_f64 v[0:1], v[118:119], v[122:123]
	v_mul_f64 v[2:3], v[116:117], v[122:123]
	v_fma_f64 v[0:1], v[116:117], v[120:121], -v[0:1]
	v_fmac_f64_e32 v[2:3], v[118:119], v[120:121]
	scratch_load_dwordx4 v[116:119], off, s5
	s_waitcnt vmcnt(0)
	v_add_f64 v[0:1], v[116:117], -v[0:1]
	v_add_f64 v[2:3], v[118:119], -v[2:3]
	scratch_store_dwordx4 off, v[0:3], s5
	s_cbranch_scc1 .LBB127_372
.LBB127_373:
	s_or_b64 exec, exec, s[2:3]
	v_cmp_eq_u32_e32 vcc, 29, v254
	s_waitcnt lgkmcnt(0)
	s_barrier
	s_and_saveexec_b64 s[4:5], vcc
	s_cbranch_execz .LBB127_380
; %bb.374:
	scratch_load_dwordx4 v[0:3], off, s44
	s_waitcnt vmcnt(0)
	ds_write2_b64 v10, v[0:1], v[2:3] offset1:1
	scratch_load_dwordx4 v[0:3], off, s45
	s_waitcnt vmcnt(0)
	ds_write2_b64 v11, v[0:1], v[2:3] offset0:60 offset1:61
	scratch_load_dwordx4 v[0:3], off, s42
	s_waitcnt vmcnt(0)
	ds_write2_b64 v11, v[0:1], v[2:3] offset0:62 offset1:63
	;; [unrolled: 3-line block ×34, first 2 shown]
	ds_read2_b64 v[0:3], v10 offset1:1
	s_waitcnt lgkmcnt(0)
	v_cmp_neq_f64_e32 vcc, 0, v[0:1]
	v_cmp_neq_f64_e64 s[2:3], 0, v[2:3]
	s_or_b64 s[2:3], vcc, s[2:3]
	s_and_b64 exec, exec, s[2:3]
	s_cbranch_execz .LBB127_380
; %bb.375:
	v_cmp_ngt_f64_e64 s[2:3], |v[0:1]|, |v[2:3]|
                                        ; implicit-def: $vgpr34_vgpr35
	s_and_saveexec_b64 s[10:11], s[2:3]
	s_xor_b64 s[2:3], exec, s[10:11]
                                        ; implicit-def: $vgpr8_vgpr9
	s_cbranch_execz .LBB127_377
; %bb.376:
	v_div_scale_f64 v[8:9], s[10:11], v[2:3], v[2:3], v[0:1]
	v_rcp_f64_e32 v[12:13], v[8:9]
	v_div_scale_f64 v[14:15], vcc, v[0:1], v[2:3], v[0:1]
	v_fma_f64 v[34:35], -v[8:9], v[12:13], 1.0
	v_fmac_f64_e32 v[12:13], v[12:13], v[34:35]
	v_fma_f64 v[34:35], -v[8:9], v[12:13], 1.0
	v_fmac_f64_e32 v[12:13], v[12:13], v[34:35]
	v_mul_f64 v[34:35], v[14:15], v[12:13]
	v_fma_f64 v[8:9], -v[8:9], v[34:35], v[14:15]
	v_div_fmas_f64 v[8:9], v[8:9], v[12:13], v[34:35]
	v_div_fixup_f64 v[12:13], v[8:9], v[2:3], v[0:1]
	v_fmac_f64_e32 v[2:3], v[0:1], v[12:13]
	v_div_scale_f64 v[0:1], s[10:11], v[2:3], v[2:3], 1.0
	v_rcp_f64_e32 v[8:9], v[0:1]
	s_nop 0
	v_fma_f64 v[14:15], -v[0:1], v[8:9], 1.0
	v_fmac_f64_e32 v[8:9], v[8:9], v[14:15]
	v_fma_f64 v[14:15], -v[0:1], v[8:9], 1.0
	v_fmac_f64_e32 v[8:9], v[8:9], v[14:15]
	v_div_scale_f64 v[14:15], vcc, 1.0, v[2:3], 1.0
	v_mul_f64 v[34:35], v[14:15], v[8:9]
	v_fma_f64 v[0:1], -v[0:1], v[34:35], v[14:15]
	s_nop 1
	v_div_fmas_f64 v[0:1], v[0:1], v[8:9], v[34:35]
	v_div_fixup_f64 v[8:9], v[0:1], v[2:3], 1.0
	v_mul_f64 v[34:35], v[12:13], v[8:9]
	v_xor_b32_e32 v9, 0x80000000, v9
                                        ; implicit-def: $vgpr0_vgpr1
.LBB127_377:
	s_andn2_saveexec_b64 s[2:3], s[2:3]
	s_cbranch_execz .LBB127_379
; %bb.378:
	v_div_scale_f64 v[8:9], s[10:11], v[0:1], v[0:1], v[2:3]
	v_rcp_f64_e32 v[12:13], v[8:9]
	v_div_scale_f64 v[14:15], vcc, v[2:3], v[0:1], v[2:3]
	v_fma_f64 v[34:35], -v[8:9], v[12:13], 1.0
	v_fmac_f64_e32 v[12:13], v[12:13], v[34:35]
	v_fma_f64 v[34:35], -v[8:9], v[12:13], 1.0
	v_fmac_f64_e32 v[12:13], v[12:13], v[34:35]
	v_mul_f64 v[34:35], v[14:15], v[12:13]
	v_fma_f64 v[8:9], -v[8:9], v[34:35], v[14:15]
	v_div_fmas_f64 v[8:9], v[8:9], v[12:13], v[34:35]
	v_div_fixup_f64 v[8:9], v[8:9], v[0:1], v[2:3]
	v_fmac_f64_e32 v[0:1], v[2:3], v[8:9]
	v_div_scale_f64 v[2:3], s[10:11], v[0:1], v[0:1], 1.0
	v_rcp_f64_e32 v[12:13], v[2:3]
	s_nop 0
	v_fma_f64 v[14:15], -v[2:3], v[12:13], 1.0
	v_fmac_f64_e32 v[12:13], v[12:13], v[14:15]
	v_fma_f64 v[14:15], -v[2:3], v[12:13], 1.0
	v_fmac_f64_e32 v[12:13], v[12:13], v[14:15]
	v_div_scale_f64 v[14:15], vcc, 1.0, v[0:1], 1.0
	v_mul_f64 v[34:35], v[14:15], v[12:13]
	v_fma_f64 v[2:3], -v[2:3], v[34:35], v[14:15]
	s_nop 1
	v_div_fmas_f64 v[2:3], v[2:3], v[12:13], v[34:35]
	v_div_fixup_f64 v[34:35], v[2:3], v[0:1], 1.0
	v_mul_f64 v[8:9], v[8:9], -v[34:35]
.LBB127_379:
	s_or_b64 exec, exec, s[2:3]
	ds_write2_b64 v10, v[34:35], v[8:9] offset1:1
.LBB127_380:
	s_or_b64 exec, exec, s[4:5]
	s_waitcnt lgkmcnt(0)
	s_barrier
	ds_read2_b64 v[116:119], v10 offset1:1
	v_cmp_lt_u32_e32 vcc, 29, v254
	s_and_saveexec_b64 s[2:3], vcc
	s_cbranch_execz .LBB127_383
; %bb.381:
	scratch_load_dwordx4 v[120:123], off, off offset:464
	s_mov_b32 s4, 0
	s_waitcnt vmcnt(0) lgkmcnt(0)
	v_mul_f64 v[0:1], v[118:119], v[122:123]
	v_mul_f64 v[2:3], v[116:117], v[122:123]
	v_fma_f64 v[0:1], v[116:117], v[120:121], -v[0:1]
	v_fmac_f64_e32 v[2:3], v[118:119], v[120:121]
	scratch_store_dwordx4 off, v[0:3], off offset:464
.LBB127_382:                            ; =>This Inner Loop Header: Depth=1
	v_add_u32_e32 v8, 0x1e0, v11
	v_add_u32_e32 v14, s4, v8
	ds_read2_b64 v[120:123], v14 offset1:1
	s_add_i32 s10, s4, 0x1e0
	s_add_i32 s5, s4, 0x1f0
	;; [unrolled: 1-line block ×3, first 2 shown]
	s_cmpk_lg_i32 s4, 0x220
	s_waitcnt lgkmcnt(0)
	v_mul_f64 v[8:9], v[122:123], v[2:3]
	v_mul_f64 v[12:13], v[120:121], v[2:3]
	v_fma_f64 v[8:9], v[120:121], v[0:1], -v[8:9]
	v_fmac_f64_e32 v[12:13], v[122:123], v[0:1]
	scratch_load_dwordx4 v[120:123], off, s10
	s_waitcnt vmcnt(0)
	v_add_f64 v[120:121], v[120:121], -v[8:9]
	v_add_f64 v[122:123], v[122:123], -v[12:13]
	scratch_store_dwordx4 off, v[120:123], s10
	ds_read2_b64 v[120:123], v14 offset0:2 offset1:3
	s_waitcnt lgkmcnt(0)
	v_mul_f64 v[8:9], v[122:123], v[2:3]
	v_mul_f64 v[12:13], v[120:121], v[2:3]
	v_fma_f64 v[8:9], v[120:121], v[0:1], -v[8:9]
	v_fmac_f64_e32 v[12:13], v[122:123], v[0:1]
	scratch_load_dwordx4 v[120:123], off, s5
	s_waitcnt vmcnt(0)
	v_add_f64 v[120:121], v[120:121], -v[8:9]
	v_add_f64 v[122:123], v[122:123], -v[12:13]
	scratch_store_dwordx4 off, v[120:123], s5
	s_cbranch_scc1 .LBB127_382
.LBB127_383:
	s_or_b64 exec, exec, s[2:3]
	v_cmp_eq_u32_e32 vcc, 30, v254
	s_waitcnt lgkmcnt(0)
	s_barrier
	s_and_saveexec_b64 s[4:5], vcc
	s_cbranch_execz .LBB127_390
; %bb.384:
	scratch_load_dwordx4 v[0:3], off, s45
	s_waitcnt vmcnt(0)
	ds_write2_b64 v10, v[0:1], v[2:3] offset1:1
	scratch_load_dwordx4 v[0:3], off, s42
	s_waitcnt vmcnt(0)
	ds_write2_b64 v11, v[0:1], v[2:3] offset0:62 offset1:63
	scratch_load_dwordx4 v[0:3], off, s43
	s_waitcnt vmcnt(0)
	ds_write2_b64 v11, v[0:1], v[2:3] offset0:64 offset1:65
	;; [unrolled: 3-line block ×33, first 2 shown]
	ds_read2_b64 v[0:3], v10 offset1:1
	s_waitcnt lgkmcnt(0)
	v_cmp_neq_f64_e32 vcc, 0, v[0:1]
	v_cmp_neq_f64_e64 s[2:3], 0, v[2:3]
	s_or_b64 s[2:3], vcc, s[2:3]
	s_and_b64 exec, exec, s[2:3]
	s_cbranch_execz .LBB127_390
; %bb.385:
	v_cmp_ngt_f64_e64 s[2:3], |v[0:1]|, |v[2:3]|
                                        ; implicit-def: $vgpr34_vgpr35
	s_and_saveexec_b64 s[10:11], s[2:3]
	s_xor_b64 s[2:3], exec, s[10:11]
                                        ; implicit-def: $vgpr8_vgpr9
	s_cbranch_execz .LBB127_387
; %bb.386:
	v_div_scale_f64 v[8:9], s[10:11], v[2:3], v[2:3], v[0:1]
	v_rcp_f64_e32 v[12:13], v[8:9]
	v_div_scale_f64 v[14:15], vcc, v[0:1], v[2:3], v[0:1]
	v_fma_f64 v[34:35], -v[8:9], v[12:13], 1.0
	v_fmac_f64_e32 v[12:13], v[12:13], v[34:35]
	v_fma_f64 v[34:35], -v[8:9], v[12:13], 1.0
	v_fmac_f64_e32 v[12:13], v[12:13], v[34:35]
	v_mul_f64 v[34:35], v[14:15], v[12:13]
	v_fma_f64 v[8:9], -v[8:9], v[34:35], v[14:15]
	v_div_fmas_f64 v[8:9], v[8:9], v[12:13], v[34:35]
	v_div_fixup_f64 v[12:13], v[8:9], v[2:3], v[0:1]
	v_fmac_f64_e32 v[2:3], v[0:1], v[12:13]
	v_div_scale_f64 v[0:1], s[10:11], v[2:3], v[2:3], 1.0
	v_rcp_f64_e32 v[8:9], v[0:1]
	s_nop 0
	v_fma_f64 v[14:15], -v[0:1], v[8:9], 1.0
	v_fmac_f64_e32 v[8:9], v[8:9], v[14:15]
	v_fma_f64 v[14:15], -v[0:1], v[8:9], 1.0
	v_fmac_f64_e32 v[8:9], v[8:9], v[14:15]
	v_div_scale_f64 v[14:15], vcc, 1.0, v[2:3], 1.0
	v_mul_f64 v[34:35], v[14:15], v[8:9]
	v_fma_f64 v[0:1], -v[0:1], v[34:35], v[14:15]
	s_nop 1
	v_div_fmas_f64 v[0:1], v[0:1], v[8:9], v[34:35]
	v_div_fixup_f64 v[8:9], v[0:1], v[2:3], 1.0
	v_mul_f64 v[34:35], v[12:13], v[8:9]
	v_xor_b32_e32 v9, 0x80000000, v9
                                        ; implicit-def: $vgpr0_vgpr1
.LBB127_387:
	s_andn2_saveexec_b64 s[2:3], s[2:3]
	s_cbranch_execz .LBB127_389
; %bb.388:
	v_div_scale_f64 v[8:9], s[10:11], v[0:1], v[0:1], v[2:3]
	v_rcp_f64_e32 v[12:13], v[8:9]
	v_div_scale_f64 v[14:15], vcc, v[2:3], v[0:1], v[2:3]
	v_fma_f64 v[34:35], -v[8:9], v[12:13], 1.0
	v_fmac_f64_e32 v[12:13], v[12:13], v[34:35]
	v_fma_f64 v[34:35], -v[8:9], v[12:13], 1.0
	v_fmac_f64_e32 v[12:13], v[12:13], v[34:35]
	v_mul_f64 v[34:35], v[14:15], v[12:13]
	v_fma_f64 v[8:9], -v[8:9], v[34:35], v[14:15]
	v_div_fmas_f64 v[8:9], v[8:9], v[12:13], v[34:35]
	v_div_fixup_f64 v[8:9], v[8:9], v[0:1], v[2:3]
	v_fmac_f64_e32 v[0:1], v[2:3], v[8:9]
	v_div_scale_f64 v[2:3], s[10:11], v[0:1], v[0:1], 1.0
	v_rcp_f64_e32 v[12:13], v[2:3]
	s_nop 0
	v_fma_f64 v[14:15], -v[2:3], v[12:13], 1.0
	v_fmac_f64_e32 v[12:13], v[12:13], v[14:15]
	v_fma_f64 v[14:15], -v[2:3], v[12:13], 1.0
	v_fmac_f64_e32 v[12:13], v[12:13], v[14:15]
	v_div_scale_f64 v[14:15], vcc, 1.0, v[0:1], 1.0
	v_mul_f64 v[34:35], v[14:15], v[12:13]
	v_fma_f64 v[2:3], -v[2:3], v[34:35], v[14:15]
	s_nop 1
	v_div_fmas_f64 v[2:3], v[2:3], v[12:13], v[34:35]
	v_div_fixup_f64 v[34:35], v[2:3], v[0:1], 1.0
	v_mul_f64 v[8:9], v[8:9], -v[34:35]
.LBB127_389:
	s_or_b64 exec, exec, s[2:3]
	ds_write2_b64 v10, v[34:35], v[8:9] offset1:1
.LBB127_390:
	s_or_b64 exec, exec, s[4:5]
	scratch_store_dwordx4 off, v[124:127], off offset:1576 ; 16-byte Folded Spill
	s_waitcnt lgkmcnt(0)
	s_barrier
	ds_read2_b64 v[120:123], v10 offset1:1
	v_cmp_lt_u32_e32 vcc, 30, v254
	s_and_saveexec_b64 s[2:3], vcc
	s_cbranch_execz .LBB127_393
; %bb.391:
	scratch_load_dwordx4 v[0:3], off, off offset:480
	s_movk_i32 s4, 0xfdf0
	s_waitcnt vmcnt(0) lgkmcnt(0)
	v_mul_f64 v[8:9], v[122:123], v[2:3]
	v_mul_f64 v[126:127], v[120:121], v[2:3]
	v_fma_f64 v[124:125], v[120:121], v[0:1], -v[8:9]
	v_fmac_f64_e32 v[126:127], v[122:123], v[0:1]
	scratch_store_dwordx4 off, v[124:127], off offset:480
.LBB127_392:                            ; =>This Inner Loop Header: Depth=1
	scratch_load_dwordx4 v[124:127], off, off offset:480
	v_add_u32_e32 v0, 0x1f0, v11
	v_add_u32_e32 v14, s4, v0
	ds_read2_b64 v[0:3], v14 offset0:66 offset1:67
	s_add_i32 s10, s4, 0x400
	s_add_i32 s5, s4, 0x420
	s_waitcnt vmcnt(0) lgkmcnt(0)
	v_mul_f64 v[8:9], v[2:3], v[126:127]
	v_mul_f64 v[12:13], v[0:1], v[126:127]
	v_fma_f64 v[8:9], v[0:1], v[124:125], -v[8:9]
	v_fmac_f64_e32 v[12:13], v[2:3], v[124:125]
	scratch_load_dwordx4 v[0:3], off, s10
	s_waitcnt vmcnt(0)
	v_add_f64 v[0:1], v[0:1], -v[8:9]
	v_add_f64 v[2:3], v[2:3], -v[12:13]
	scratch_store_dwordx4 off, v[0:3], s10
	scratch_load_dwordx4 v[124:127], off, off offset:480
	ds_read2_b64 v[0:3], v14 offset0:68 offset1:69
	s_add_i32 s10, s4, 0x410
	s_add_i32 s4, s4, 48
	s_cmp_lg_u32 s4, 0
	s_waitcnt vmcnt(0) lgkmcnt(0)
	v_mul_f64 v[8:9], v[2:3], v[126:127]
	v_mul_f64 v[12:13], v[0:1], v[126:127]
	v_fma_f64 v[8:9], v[0:1], v[124:125], -v[8:9]
	v_fmac_f64_e32 v[12:13], v[2:3], v[124:125]
	scratch_load_dwordx4 v[0:3], off, s10
	s_waitcnt vmcnt(0)
	v_add_f64 v[0:1], v[0:1], -v[8:9]
	v_add_f64 v[2:3], v[2:3], -v[12:13]
	scratch_store_dwordx4 off, v[0:3], s10
	scratch_load_dwordx4 v[124:127], off, off offset:480
	ds_read2_b64 v[0:3], v14 offset0:70 offset1:71
	s_waitcnt vmcnt(0) lgkmcnt(0)
	v_mul_f64 v[8:9], v[2:3], v[126:127]
	v_mul_f64 v[12:13], v[0:1], v[126:127]
	v_fma_f64 v[8:9], v[0:1], v[124:125], -v[8:9]
	v_fmac_f64_e32 v[12:13], v[2:3], v[124:125]
	scratch_load_dwordx4 v[0:3], off, s5
	s_waitcnt vmcnt(0)
	v_add_f64 v[0:1], v[0:1], -v[8:9]
	v_add_f64 v[2:3], v[2:3], -v[12:13]
	scratch_store_dwordx4 off, v[0:3], s5
	s_cbranch_scc1 .LBB127_392
.LBB127_393:
	s_or_b64 exec, exec, s[2:3]
	v_cmp_eq_u32_e32 vcc, 31, v254
	s_waitcnt lgkmcnt(0)
	s_barrier
	s_and_saveexec_b64 s[4:5], vcc
	s_cbranch_execz .LBB127_400
; %bb.394:
	scratch_load_dwordx4 v[0:3], off, s42
	s_waitcnt vmcnt(0)
	ds_write2_b64 v10, v[0:1], v[2:3] offset1:1
	scratch_load_dwordx4 v[0:3], off, s43
	s_waitcnt vmcnt(0)
	ds_write2_b64 v11, v[0:1], v[2:3] offset0:64 offset1:65
	scratch_load_dwordx4 v[0:3], off, s40
	s_waitcnt vmcnt(0)
	ds_write2_b64 v11, v[0:1], v[2:3] offset0:66 offset1:67
	scratch_load_dwordx4 v[0:3], off, s41
	s_waitcnt vmcnt(0)
	ds_write2_b64 v11, v[0:1], v[2:3] offset0:68 offset1:69
	scratch_load_dwordx4 v[0:3], off, s38
	s_waitcnt vmcnt(0)
	ds_write2_b64 v11, v[0:1], v[2:3] offset0:70 offset1:71
	scratch_load_dwordx4 v[0:3], off, s39
	s_waitcnt vmcnt(0)
	ds_write2_b64 v11, v[0:1], v[2:3] offset0:72 offset1:73
	scratch_load_dwordx4 v[0:3], off, s36
	s_waitcnt vmcnt(0)
	ds_write2_b64 v11, v[0:1], v[2:3] offset0:74 offset1:75
	scratch_load_dwordx4 v[0:3], off, s37
	s_waitcnt vmcnt(0)
	ds_write2_b64 v11, v[0:1], v[2:3] offset0:76 offset1:77
	scratch_load_dwordx4 v[0:3], off, s34
	s_waitcnt vmcnt(0)
	ds_write2_b64 v11, v[0:1], v[2:3] offset0:78 offset1:79
	scratch_load_dwordx4 v[0:3], off, s35
	s_waitcnt vmcnt(0)
	ds_write2_b64 v11, v[0:1], v[2:3] offset0:80 offset1:81
	scratch_load_dwordx4 v[0:3], off, s31
	s_waitcnt vmcnt(0)
	ds_write2_b64 v11, v[0:1], v[2:3] offset0:82 offset1:83
	scratch_load_dwordx4 v[0:3], off, s33
	s_waitcnt vmcnt(0)
	ds_write2_b64 v11, v[0:1], v[2:3] offset0:84 offset1:85
	scratch_load_dwordx4 v[0:3], off, s29
	s_waitcnt vmcnt(0)
	ds_write2_b64 v11, v[0:1], v[2:3] offset0:86 offset1:87
	scratch_load_dwordx4 v[0:3], off, s30
	s_waitcnt vmcnt(0)
	ds_write2_b64 v11, v[0:1], v[2:3] offset0:88 offset1:89
	scratch_load_dwordx4 v[0:3], off, s27
	s_waitcnt vmcnt(0)
	ds_write2_b64 v11, v[0:1], v[2:3] offset0:90 offset1:91
	scratch_load_dwordx4 v[0:3], off, s28
	s_waitcnt vmcnt(0)
	ds_write2_b64 v11, v[0:1], v[2:3] offset0:92 offset1:93
	scratch_load_dwordx4 v[0:3], off, s25
	s_waitcnt vmcnt(0)
	ds_write2_b64 v11, v[0:1], v[2:3] offset0:94 offset1:95
	scratch_load_dwordx4 v[0:3], off, s26
	s_waitcnt vmcnt(0)
	ds_write2_b64 v11, v[0:1], v[2:3] offset0:96 offset1:97
	scratch_load_dwordx4 v[0:3], off, s23
	s_waitcnt vmcnt(0)
	ds_write2_b64 v11, v[0:1], v[2:3] offset0:98 offset1:99
	scratch_load_dwordx4 v[0:3], off, s24
	s_waitcnt vmcnt(0)
	ds_write2_b64 v11, v[0:1], v[2:3] offset0:100 offset1:101
	scratch_load_dwordx4 v[0:3], off, s21
	s_waitcnt vmcnt(0)
	ds_write2_b64 v11, v[0:1], v[2:3] offset0:102 offset1:103
	scratch_load_dwordx4 v[0:3], off, s22
	s_waitcnt vmcnt(0)
	ds_write2_b64 v11, v[0:1], v[2:3] offset0:104 offset1:105
	scratch_load_dwordx4 v[0:3], off, s19
	s_waitcnt vmcnt(0)
	ds_write2_b64 v11, v[0:1], v[2:3] offset0:106 offset1:107
	scratch_load_dwordx4 v[0:3], off, s20
	s_waitcnt vmcnt(0)
	ds_write2_b64 v11, v[0:1], v[2:3] offset0:108 offset1:109
	scratch_load_dwordx4 v[0:3], off, s17
	s_waitcnt vmcnt(0)
	ds_write2_b64 v11, v[0:1], v[2:3] offset0:110 offset1:111
	scratch_load_dwordx4 v[0:3], off, s18
	s_waitcnt vmcnt(0)
	ds_write2_b64 v11, v[0:1], v[2:3] offset0:112 offset1:113
	scratch_load_dwordx4 v[0:3], off, s8
	s_waitcnt vmcnt(0)
	ds_write2_b64 v11, v[0:1], v[2:3] offset0:114 offset1:115
	scratch_load_dwordx4 v[0:3], off, s12
	s_waitcnt vmcnt(0)
	ds_write2_b64 v11, v[0:1], v[2:3] offset0:116 offset1:117
	scratch_load_dwordx4 v[0:3], off, s13
	s_waitcnt vmcnt(0)
	ds_write2_b64 v11, v[0:1], v[2:3] offset0:118 offset1:119
	scratch_load_dwordx4 v[0:3], off, s14
	s_waitcnt vmcnt(0)
	ds_write2_b64 v11, v[0:1], v[2:3] offset0:120 offset1:121
	scratch_load_dwordx4 v[0:3], off, s15
	s_waitcnt vmcnt(0)
	ds_write2_b64 v11, v[0:1], v[2:3] offset0:122 offset1:123
	scratch_load_dwordx4 v[0:3], off, s16
	s_waitcnt vmcnt(0)
	ds_write2_b64 v11, v[0:1], v[2:3] offset0:124 offset1:125
	scratch_load_dwordx4 v[0:3], off, s46
	s_waitcnt vmcnt(0)
	ds_write2_b64 v11, v[0:1], v[2:3] offset0:126 offset1:127
	ds_read2_b64 v[0:3], v10 offset1:1
	s_waitcnt lgkmcnt(0)
	v_cmp_neq_f64_e32 vcc, 0, v[0:1]
	v_cmp_neq_f64_e64 s[2:3], 0, v[2:3]
	s_or_b64 s[2:3], vcc, s[2:3]
	s_and_b64 exec, exec, s[2:3]
	s_cbranch_execz .LBB127_400
; %bb.395:
	v_cmp_ngt_f64_e64 s[2:3], |v[0:1]|, |v[2:3]|
                                        ; implicit-def: $vgpr34_vgpr35
	s_and_saveexec_b64 s[10:11], s[2:3]
	s_xor_b64 s[2:3], exec, s[10:11]
                                        ; implicit-def: $vgpr8_vgpr9
	s_cbranch_execz .LBB127_397
; %bb.396:
	v_div_scale_f64 v[8:9], s[10:11], v[2:3], v[2:3], v[0:1]
	v_rcp_f64_e32 v[12:13], v[8:9]
	v_div_scale_f64 v[14:15], vcc, v[0:1], v[2:3], v[0:1]
	v_fma_f64 v[34:35], -v[8:9], v[12:13], 1.0
	v_fmac_f64_e32 v[12:13], v[12:13], v[34:35]
	v_fma_f64 v[34:35], -v[8:9], v[12:13], 1.0
	v_fmac_f64_e32 v[12:13], v[12:13], v[34:35]
	v_mul_f64 v[34:35], v[14:15], v[12:13]
	v_fma_f64 v[8:9], -v[8:9], v[34:35], v[14:15]
	v_div_fmas_f64 v[8:9], v[8:9], v[12:13], v[34:35]
	v_div_fixup_f64 v[12:13], v[8:9], v[2:3], v[0:1]
	v_fmac_f64_e32 v[2:3], v[0:1], v[12:13]
	v_div_scale_f64 v[0:1], s[10:11], v[2:3], v[2:3], 1.0
	v_rcp_f64_e32 v[8:9], v[0:1]
	s_nop 0
	v_fma_f64 v[14:15], -v[0:1], v[8:9], 1.0
	v_fmac_f64_e32 v[8:9], v[8:9], v[14:15]
	v_fma_f64 v[14:15], -v[0:1], v[8:9], 1.0
	v_fmac_f64_e32 v[8:9], v[8:9], v[14:15]
	v_div_scale_f64 v[14:15], vcc, 1.0, v[2:3], 1.0
	v_mul_f64 v[34:35], v[14:15], v[8:9]
	v_fma_f64 v[0:1], -v[0:1], v[34:35], v[14:15]
	s_nop 1
	v_div_fmas_f64 v[0:1], v[0:1], v[8:9], v[34:35]
	v_div_fixup_f64 v[8:9], v[0:1], v[2:3], 1.0
	v_mul_f64 v[34:35], v[12:13], v[8:9]
	v_xor_b32_e32 v9, 0x80000000, v9
                                        ; implicit-def: $vgpr0_vgpr1
.LBB127_397:
	s_andn2_saveexec_b64 s[2:3], s[2:3]
	s_cbranch_execz .LBB127_399
; %bb.398:
	v_div_scale_f64 v[8:9], s[10:11], v[0:1], v[0:1], v[2:3]
	v_rcp_f64_e32 v[12:13], v[8:9]
	v_div_scale_f64 v[14:15], vcc, v[2:3], v[0:1], v[2:3]
	v_fma_f64 v[34:35], -v[8:9], v[12:13], 1.0
	v_fmac_f64_e32 v[12:13], v[12:13], v[34:35]
	v_fma_f64 v[34:35], -v[8:9], v[12:13], 1.0
	v_fmac_f64_e32 v[12:13], v[12:13], v[34:35]
	v_mul_f64 v[34:35], v[14:15], v[12:13]
	v_fma_f64 v[8:9], -v[8:9], v[34:35], v[14:15]
	v_div_fmas_f64 v[8:9], v[8:9], v[12:13], v[34:35]
	v_div_fixup_f64 v[8:9], v[8:9], v[0:1], v[2:3]
	v_fmac_f64_e32 v[0:1], v[2:3], v[8:9]
	v_div_scale_f64 v[2:3], s[10:11], v[0:1], v[0:1], 1.0
	v_rcp_f64_e32 v[12:13], v[2:3]
	s_nop 0
	v_fma_f64 v[14:15], -v[2:3], v[12:13], 1.0
	v_fmac_f64_e32 v[12:13], v[12:13], v[14:15]
	v_fma_f64 v[14:15], -v[2:3], v[12:13], 1.0
	v_fmac_f64_e32 v[12:13], v[12:13], v[14:15]
	v_div_scale_f64 v[14:15], vcc, 1.0, v[0:1], 1.0
	v_mul_f64 v[34:35], v[14:15], v[12:13]
	v_fma_f64 v[2:3], -v[2:3], v[34:35], v[14:15]
	s_nop 1
	v_div_fmas_f64 v[2:3], v[2:3], v[12:13], v[34:35]
	v_div_fixup_f64 v[34:35], v[2:3], v[0:1], 1.0
	v_mul_f64 v[8:9], v[8:9], -v[34:35]
.LBB127_399:
	s_or_b64 exec, exec, s[2:3]
	ds_write2_b64 v10, v[34:35], v[8:9] offset1:1
.LBB127_400:
	s_or_b64 exec, exec, s[4:5]
	s_waitcnt lgkmcnt(0)
	s_barrier
	ds_read2_b64 v[124:127], v10 offset1:1
	v_cmp_lt_u32_e32 vcc, 31, v254
	s_and_saveexec_b64 s[2:3], vcc
	s_cbranch_execz .LBB127_402
; %bb.401:
	scratch_load_dwordx4 v[0:3], off, off offset:496
	s_waitcnt vmcnt(0) lgkmcnt(0)
	v_mul_f64 v[8:9], v[126:127], v[2:3]
	v_mul_f64 v[130:131], v[124:125], v[2:3]
	v_fma_f64 v[128:129], v[124:125], v[0:1], -v[8:9]
	v_fmac_f64_e32 v[130:131], v[126:127], v[0:1]
	ds_read2_b64 v[0:3], v11 offset0:64 offset1:65
	scratch_store_dwordx4 off, v[128:131], off offset:496
	s_waitcnt lgkmcnt(0)
	v_mul_f64 v[8:9], v[2:3], v[130:131]
	v_mul_f64 v[12:13], v[0:1], v[130:131]
	v_fma_f64 v[8:9], v[0:1], v[128:129], -v[8:9]
	v_fmac_f64_e32 v[12:13], v[2:3], v[128:129]
	scratch_load_dwordx4 v[0:3], off, off offset:512
	s_waitcnt vmcnt(0)
	v_add_f64 v[0:1], v[0:1], -v[8:9]
	v_add_f64 v[2:3], v[2:3], -v[12:13]
	scratch_store_dwordx4 off, v[0:3], off offset:512
	ds_read2_b64 v[0:3], v11 offset0:66 offset1:67
	s_waitcnt lgkmcnt(0)
	v_mul_f64 v[8:9], v[2:3], v[130:131]
	v_mul_f64 v[12:13], v[0:1], v[130:131]
	v_fma_f64 v[8:9], v[0:1], v[128:129], -v[8:9]
	v_fmac_f64_e32 v[12:13], v[2:3], v[128:129]
	scratch_load_dwordx4 v[0:3], off, off offset:528
	s_waitcnt vmcnt(0)
	v_add_f64 v[0:1], v[0:1], -v[8:9]
	v_add_f64 v[2:3], v[2:3], -v[12:13]
	scratch_store_dwordx4 off, v[0:3], off offset:528
	ds_read2_b64 v[0:3], v11 offset0:68 offset1:69
	;; [unrolled: 11-line block ×6, first 2 shown]
	scratch_load_dwordx2 v[8:9], off, off offset:496
	scratch_load_dwordx4 v[128:131], off, off offset:496
	s_waitcnt vmcnt(0) lgkmcnt(0)
	v_mul_f64 v[12:13], v[2:3], v[130:131]
	v_mul_f64 v[14:15], v[0:1], v[130:131]
	v_fma_f64 v[12:13], v[0:1], v[8:9], -v[12:13]
	v_fmac_f64_e32 v[14:15], v[2:3], v[8:9]
	scratch_load_dwordx4 v[0:3], off, off offset:608
	s_waitcnt vmcnt(0)
	v_add_f64 v[0:1], v[0:1], -v[12:13]
	v_add_f64 v[2:3], v[2:3], -v[14:15]
	scratch_store_dwordx4 off, v[0:3], off offset:608
	ds_read2_b64 v[0:3], v11 offset0:78 offset1:79
	s_waitcnt lgkmcnt(0)
	v_mul_f64 v[12:13], v[2:3], v[130:131]
	v_mul_f64 v[14:15], v[0:1], v[130:131]
	v_fma_f64 v[12:13], v[0:1], v[8:9], -v[12:13]
	v_fmac_f64_e32 v[14:15], v[2:3], v[8:9]
	scratch_load_dwordx4 v[0:3], off, off offset:624
	s_waitcnt vmcnt(0)
	v_add_f64 v[0:1], v[0:1], -v[12:13]
	v_add_f64 v[2:3], v[2:3], -v[14:15]
	scratch_store_dwordx4 off, v[0:3], off offset:624
	ds_read2_b64 v[0:3], v11 offset0:80 offset1:81
	s_waitcnt lgkmcnt(0)
	;; [unrolled: 11-line block ×5, first 2 shown]
	v_mul_f64 v[12:13], v[2:3], v[130:131]
	v_mul_f64 v[14:15], v[0:1], v[130:131]
	v_fma_f64 v[12:13], v[0:1], v[8:9], -v[12:13]
	v_fmac_f64_e32 v[14:15], v[2:3], v[8:9]
	scratch_load_dwordx4 v[0:3], off, off offset:688
	ds_read2_b64 v[130:133], v11 offset0:88 offset1:89
	s_waitcnt vmcnt(0)
	v_add_f64 v[0:1], v[0:1], -v[12:13]
	v_add_f64 v[2:3], v[2:3], -v[14:15]
	scratch_store_dwordx4 off, v[0:3], off offset:688
	scratch_load_dwordx2 v[0:1], off, off offset:496
	s_nop 0
	scratch_load_dwordx2 v[2:3], off, off offset:504
	s_waitcnt vmcnt(0) lgkmcnt(0)
	v_mul_f64 v[8:9], v[132:133], v[2:3]
	v_mul_f64 v[12:13], v[130:131], v[2:3]
	v_fma_f64 v[8:9], v[130:131], v[0:1], -v[8:9]
	v_fmac_f64_e32 v[12:13], v[132:133], v[0:1]
	scratch_load_dwordx4 v[130:133], off, off offset:704
	s_waitcnt vmcnt(0)
	v_add_f64 v[130:131], v[130:131], -v[8:9]
	v_add_f64 v[132:133], v[132:133], -v[12:13]
	scratch_store_dwordx4 off, v[130:133], off offset:704
	ds_read2_b64 v[130:133], v11 offset0:90 offset1:91
	s_waitcnt lgkmcnt(0)
	v_mul_f64 v[8:9], v[132:133], v[2:3]
	v_mul_f64 v[12:13], v[130:131], v[2:3]
	v_fma_f64 v[8:9], v[130:131], v[0:1], -v[8:9]
	v_fmac_f64_e32 v[12:13], v[132:133], v[0:1]
	scratch_load_dwordx4 v[130:133], off, off offset:720
	s_waitcnt vmcnt(0)
	v_add_f64 v[130:131], v[130:131], -v[8:9]
	v_add_f64 v[132:133], v[132:133], -v[12:13]
	scratch_store_dwordx4 off, v[130:133], off offset:720
	ds_read2_b64 v[130:133], v11 offset0:92 offset1:93
	s_waitcnt lgkmcnt(0)
	v_mul_f64 v[8:9], v[132:133], v[2:3]
	v_mul_f64 v[12:13], v[130:131], v[2:3]
	v_fma_f64 v[8:9], v[130:131], v[0:1], -v[8:9]
	v_fmac_f64_e32 v[12:13], v[132:133], v[0:1]
	scratch_load_dwordx4 v[130:133], off, off offset:736
	s_waitcnt vmcnt(0)
	v_add_f64 v[130:131], v[130:131], -v[8:9]
	v_add_f64 v[132:133], v[132:133], -v[12:13]
	scratch_store_dwordx4 off, v[130:133], off offset:736
	ds_read2_b64 v[130:133], v11 offset0:94 offset1:95
	s_waitcnt lgkmcnt(0)
	v_mul_f64 v[8:9], v[132:133], v[2:3]
	v_mul_f64 v[12:13], v[130:131], v[2:3]
	v_fma_f64 v[8:9], v[130:131], v[0:1], -v[8:9]
	v_fmac_f64_e32 v[12:13], v[132:133], v[0:1]
	scratch_load_dwordx4 v[130:133], off, off offset:752
	s_waitcnt vmcnt(0)
	v_add_f64 v[130:131], v[130:131], -v[8:9]
	v_add_f64 v[132:133], v[132:133], -v[12:13]
	scratch_store_dwordx4 off, v[130:133], off offset:752
	ds_read2_b64 v[130:133], v11 offset0:96 offset1:97
	s_waitcnt lgkmcnt(0)
	v_mul_f64 v[8:9], v[132:133], v[2:3]
	v_mul_f64 v[12:13], v[130:131], v[2:3]
	v_fma_f64 v[8:9], v[130:131], v[0:1], -v[8:9]
	v_fmac_f64_e32 v[12:13], v[132:133], v[0:1]
	scratch_load_dwordx4 v[130:133], off, off offset:768
	s_waitcnt vmcnt(0)
	v_add_f64 v[130:131], v[130:131], -v[8:9]
	v_add_f64 v[132:133], v[132:133], -v[12:13]
	scratch_store_dwordx4 off, v[130:133], off offset:768
	ds_read2_b64 v[130:133], v11 offset0:98 offset1:99
	s_waitcnt lgkmcnt(0)
	v_mul_f64 v[8:9], v[132:133], v[2:3]
	v_mul_f64 v[12:13], v[130:131], v[2:3]
	v_fma_f64 v[8:9], v[130:131], v[0:1], -v[8:9]
	v_fmac_f64_e32 v[12:13], v[132:133], v[0:1]
	scratch_load_dwordx4 v[0:3], off, off offset:784
	s_waitcnt vmcnt(0)
	v_add_f64 v[0:1], v[0:1], -v[8:9]
	v_add_f64 v[2:3], v[2:3], -v[12:13]
	scratch_store_dwordx4 off, v[0:3], off offset:784
	ds_read2_b64 v[0:3], v11 offset0:100 offset1:101
	scratch_load_dwordx2 v[8:9], off, off offset:496
	scratch_load_dwordx2 v[12:13], off, off offset:504
	ds_read2_b64 v[130:133], v11 offset0:112 offset1:113
	s_waitcnt vmcnt(0) lgkmcnt(1)
	v_mul_f64 v[14:15], v[2:3], v[12:13]
	v_mul_f64 v[34:35], v[0:1], v[12:13]
	v_fma_f64 v[14:15], v[0:1], v[8:9], -v[14:15]
	v_fmac_f64_e32 v[34:35], v[2:3], v[8:9]
	scratch_load_dwordx4 v[0:3], off, off offset:800
	s_waitcnt vmcnt(0)
	v_add_f64 v[0:1], v[0:1], -v[14:15]
	v_add_f64 v[2:3], v[2:3], -v[34:35]
	scratch_store_dwordx4 off, v[0:3], off offset:800
	ds_read2_b64 v[0:3], v11 offset0:102 offset1:103
	s_waitcnt lgkmcnt(0)
	v_mul_f64 v[14:15], v[2:3], v[12:13]
	v_mul_f64 v[34:35], v[0:1], v[12:13]
	v_fma_f64 v[14:15], v[0:1], v[8:9], -v[14:15]
	v_fmac_f64_e32 v[34:35], v[2:3], v[8:9]
	scratch_load_dwordx4 v[0:3], off, off offset:816
	s_waitcnt vmcnt(0)
	v_add_f64 v[0:1], v[0:1], -v[14:15]
	v_add_f64 v[2:3], v[2:3], -v[34:35]
	scratch_store_dwordx4 off, v[0:3], off offset:816
	ds_read2_b64 v[0:3], v11 offset0:104 offset1:105
	s_waitcnt lgkmcnt(0)
	;; [unrolled: 11-line block ×5, first 2 shown]
	v_mul_f64 v[14:15], v[2:3], v[12:13]
	v_mul_f64 v[12:13], v[0:1], v[12:13]
	v_fma_f64 v[14:15], v[0:1], v[8:9], -v[14:15]
	v_fmac_f64_e32 v[12:13], v[2:3], v[8:9]
	scratch_load_dwordx4 v[0:3], off, off offset:880
	s_waitcnt vmcnt(0)
	v_add_f64 v[0:1], v[0:1], -v[14:15]
	v_add_f64 v[2:3], v[2:3], -v[12:13]
	scratch_store_dwordx4 off, v[0:3], off offset:880
	scratch_load_dwordx2 v[0:1], off, off offset:496
	s_nop 0
	scratch_load_dwordx2 v[2:3], off, off offset:504
	s_waitcnt vmcnt(0)
	v_mul_f64 v[8:9], v[132:133], v[2:3]
	v_mul_f64 v[12:13], v[130:131], v[2:3]
	v_fma_f64 v[8:9], v[130:131], v[0:1], -v[8:9]
	v_fmac_f64_e32 v[12:13], v[132:133], v[0:1]
	scratch_load_dwordx4 v[130:133], off, off offset:896
	s_waitcnt vmcnt(0)
	v_add_f64 v[130:131], v[130:131], -v[8:9]
	v_add_f64 v[132:133], v[132:133], -v[12:13]
	scratch_store_dwordx4 off, v[130:133], off offset:896
	ds_read2_b64 v[130:133], v11 offset0:114 offset1:115
	s_waitcnt lgkmcnt(0)
	v_mul_f64 v[8:9], v[132:133], v[2:3]
	v_fma_f64 v[34:35], v[130:131], v[0:1], -v[8:9]
	v_mul_f64 v[130:131], v[130:131], v[2:3]
	v_fmac_f64_e32 v[130:131], v[132:133], v[0:1]
	scratch_load_dwordx4 v[132:135], off, off offset:912
	s_waitcnt vmcnt(0)
	v_add_f64 v[132:133], v[132:133], -v[34:35]
	v_add_f64 v[134:135], v[134:135], -v[130:131]
	scratch_store_dwordx4 off, v[132:135], off offset:912
	ds_read2_b64 v[130:133], v11 offset0:116 offset1:117
	s_waitcnt lgkmcnt(0)
	v_mul_f64 v[8:9], v[132:133], v[2:3]
	v_mul_f64 v[12:13], v[130:131], v[2:3]
	v_fma_f64 v[8:9], v[130:131], v[0:1], -v[8:9]
	v_fmac_f64_e32 v[12:13], v[132:133], v[0:1]
	scratch_load_dwordx4 v[130:133], off, off offset:928
	s_waitcnt vmcnt(0)
	v_add_f64 v[130:131], v[130:131], -v[8:9]
	v_add_f64 v[132:133], v[132:133], -v[12:13]
	scratch_store_dwordx4 off, v[130:133], off offset:928
	ds_read2_b64 v[130:133], v11 offset0:118 offset1:119
	s_waitcnt lgkmcnt(0)
	v_mul_f64 v[8:9], v[132:133], v[2:3]
	v_mul_f64 v[12:13], v[130:131], v[2:3]
	v_fma_f64 v[8:9], v[130:131], v[0:1], -v[8:9]
	;; [unrolled: 11-line block ×4, first 2 shown]
	v_fmac_f64_e32 v[12:13], v[132:133], v[0:1]
	scratch_load_dwordx4 v[0:3], off, off offset:976
	ds_read2_b64 v[130:133], v11 offset0:126 offset1:127
	s_waitcnt vmcnt(0)
	v_add_f64 v[0:1], v[0:1], -v[8:9]
	scratch_load_dwordx2 v[8:9], off, off offset:504
	v_add_f64 v[2:3], v[2:3], -v[12:13]
	scratch_store_dwordx4 off, v[0:3], off offset:976
	ds_read2_b64 v[0:3], v11 offset0:124 offset1:125
	s_waitcnt vmcnt(1) lgkmcnt(0)
	v_mul_f64 v[12:13], v[2:3], v[8:9]
	v_mul_f64 v[14:15], v[0:1], v[8:9]
	v_fma_f64 v[12:13], v[0:1], v[128:129], -v[12:13]
	v_fmac_f64_e32 v[14:15], v[2:3], v[128:129]
	scratch_load_dwordx4 v[0:3], off, off offset:992
	s_waitcnt vmcnt(0)
	v_add_f64 v[0:1], v[0:1], -v[12:13]
	v_add_f64 v[2:3], v[2:3], -v[14:15]
	scratch_store_dwordx4 off, v[0:3], off offset:992
	s_nop 1
	v_mul_f64 v[0:1], v[132:133], v[8:9]
	v_mul_f64 v[2:3], v[130:131], v[8:9]
	v_fma_f64 v[0:1], v[130:131], v[128:129], -v[0:1]
	v_fmac_f64_e32 v[2:3], v[132:133], v[128:129]
	scratch_load_dwordx4 v[128:131], off, off offset:1008
	s_waitcnt vmcnt(0)
	v_add_f64 v[0:1], v[128:129], -v[0:1]
	v_add_f64 v[2:3], v[130:131], -v[2:3]
	scratch_store_dwordx4 off, v[0:3], off offset:1008
.LBB127_402:
	s_or_b64 exec, exec, s[2:3]
	v_cmp_eq_u32_e32 vcc, 32, v254
	s_waitcnt lgkmcnt(0)
	s_barrier
	s_and_saveexec_b64 s[4:5], vcc
	s_cbranch_execz .LBB127_409
; %bb.403:
	scratch_load_dwordx4 v[0:3], off, s43
	s_waitcnt vmcnt(0)
	ds_write2_b64 v10, v[0:1], v[2:3] offset1:1
	scratch_load_dwordx4 v[0:3], off, s40
	s_waitcnt vmcnt(0)
	ds_write2_b64 v11, v[0:1], v[2:3] offset0:66 offset1:67
	scratch_load_dwordx4 v[0:3], off, s41
	s_waitcnt vmcnt(0)
	ds_write2_b64 v11, v[0:1], v[2:3] offset0:68 offset1:69
	;; [unrolled: 3-line block ×31, first 2 shown]
	ds_read2_b64 v[0:3], v10 offset1:1
	s_waitcnt lgkmcnt(0)
	v_cmp_neq_f64_e32 vcc, 0, v[0:1]
	v_cmp_neq_f64_e64 s[2:3], 0, v[2:3]
	s_or_b64 s[2:3], vcc, s[2:3]
	s_and_b64 exec, exec, s[2:3]
	s_cbranch_execz .LBB127_409
; %bb.404:
	v_cmp_ngt_f64_e64 s[2:3], |v[0:1]|, |v[2:3]|
                                        ; implicit-def: $vgpr34_vgpr35
	s_and_saveexec_b64 s[10:11], s[2:3]
	s_xor_b64 s[2:3], exec, s[10:11]
                                        ; implicit-def: $vgpr8_vgpr9
	s_cbranch_execz .LBB127_406
; %bb.405:
	v_div_scale_f64 v[8:9], s[10:11], v[2:3], v[2:3], v[0:1]
	v_rcp_f64_e32 v[12:13], v[8:9]
	v_div_scale_f64 v[14:15], vcc, v[0:1], v[2:3], v[0:1]
	v_fma_f64 v[34:35], -v[8:9], v[12:13], 1.0
	v_fmac_f64_e32 v[12:13], v[12:13], v[34:35]
	v_fma_f64 v[34:35], -v[8:9], v[12:13], 1.0
	v_fmac_f64_e32 v[12:13], v[12:13], v[34:35]
	v_mul_f64 v[34:35], v[14:15], v[12:13]
	v_fma_f64 v[8:9], -v[8:9], v[34:35], v[14:15]
	v_div_fmas_f64 v[8:9], v[8:9], v[12:13], v[34:35]
	v_div_fixup_f64 v[12:13], v[8:9], v[2:3], v[0:1]
	v_fmac_f64_e32 v[2:3], v[0:1], v[12:13]
	v_div_scale_f64 v[0:1], s[10:11], v[2:3], v[2:3], 1.0
	v_rcp_f64_e32 v[8:9], v[0:1]
	s_nop 0
	v_fma_f64 v[14:15], -v[0:1], v[8:9], 1.0
	v_fmac_f64_e32 v[8:9], v[8:9], v[14:15]
	v_fma_f64 v[14:15], -v[0:1], v[8:9], 1.0
	v_fmac_f64_e32 v[8:9], v[8:9], v[14:15]
	v_div_scale_f64 v[14:15], vcc, 1.0, v[2:3], 1.0
	v_mul_f64 v[34:35], v[14:15], v[8:9]
	v_fma_f64 v[0:1], -v[0:1], v[34:35], v[14:15]
	s_nop 1
	v_div_fmas_f64 v[0:1], v[0:1], v[8:9], v[34:35]
	v_div_fixup_f64 v[8:9], v[0:1], v[2:3], 1.0
	v_mul_f64 v[34:35], v[12:13], v[8:9]
	v_xor_b32_e32 v9, 0x80000000, v9
                                        ; implicit-def: $vgpr0_vgpr1
.LBB127_406:
	s_andn2_saveexec_b64 s[2:3], s[2:3]
	s_cbranch_execz .LBB127_408
; %bb.407:
	v_div_scale_f64 v[8:9], s[10:11], v[0:1], v[0:1], v[2:3]
	v_rcp_f64_e32 v[12:13], v[8:9]
	v_div_scale_f64 v[14:15], vcc, v[2:3], v[0:1], v[2:3]
	v_fma_f64 v[34:35], -v[8:9], v[12:13], 1.0
	v_fmac_f64_e32 v[12:13], v[12:13], v[34:35]
	v_fma_f64 v[34:35], -v[8:9], v[12:13], 1.0
	v_fmac_f64_e32 v[12:13], v[12:13], v[34:35]
	v_mul_f64 v[34:35], v[14:15], v[12:13]
	v_fma_f64 v[8:9], -v[8:9], v[34:35], v[14:15]
	v_div_fmas_f64 v[8:9], v[8:9], v[12:13], v[34:35]
	v_div_fixup_f64 v[8:9], v[8:9], v[0:1], v[2:3]
	v_fmac_f64_e32 v[0:1], v[2:3], v[8:9]
	v_div_scale_f64 v[2:3], s[10:11], v[0:1], v[0:1], 1.0
	v_rcp_f64_e32 v[12:13], v[2:3]
	s_nop 0
	v_fma_f64 v[14:15], -v[2:3], v[12:13], 1.0
	v_fmac_f64_e32 v[12:13], v[12:13], v[14:15]
	v_fma_f64 v[14:15], -v[2:3], v[12:13], 1.0
	v_fmac_f64_e32 v[12:13], v[12:13], v[14:15]
	v_div_scale_f64 v[14:15], vcc, 1.0, v[0:1], 1.0
	v_mul_f64 v[34:35], v[14:15], v[12:13]
	v_fma_f64 v[2:3], -v[2:3], v[34:35], v[14:15]
	s_nop 1
	v_div_fmas_f64 v[2:3], v[2:3], v[12:13], v[34:35]
	v_div_fixup_f64 v[34:35], v[2:3], v[0:1], 1.0
	v_mul_f64 v[8:9], v[8:9], -v[34:35]
.LBB127_408:
	s_or_b64 exec, exec, s[2:3]
	ds_write2_b64 v10, v[34:35], v[8:9] offset1:1
.LBB127_409:
	s_or_b64 exec, exec, s[4:5]
	s_waitcnt lgkmcnt(0)
	s_barrier
	ds_read2_b64 v[128:131], v10 offset1:1
	v_cmp_lt_u32_e32 vcc, 32, v254
	s_and_saveexec_b64 s[2:3], vcc
	s_cbranch_execz .LBB127_411
; %bb.410:
	scratch_load_dwordx4 v[0:3], off, off offset:512
	s_waitcnt vmcnt(0) lgkmcnt(0)
	v_mul_f64 v[8:9], v[130:131], v[2:3]
	v_mul_f64 v[134:135], v[128:129], v[2:3]
	v_fma_f64 v[132:133], v[128:129], v[0:1], -v[8:9]
	v_fmac_f64_e32 v[134:135], v[130:131], v[0:1]
	ds_read2_b64 v[0:3], v11 offset0:66 offset1:67
	scratch_store_dwordx4 off, v[132:135], off offset:512
	s_waitcnt lgkmcnt(0)
	v_mul_f64 v[8:9], v[2:3], v[134:135]
	v_mul_f64 v[12:13], v[0:1], v[134:135]
	v_fma_f64 v[8:9], v[0:1], v[132:133], -v[8:9]
	v_fmac_f64_e32 v[12:13], v[2:3], v[132:133]
	scratch_load_dwordx4 v[0:3], off, off offset:528
	s_waitcnt vmcnt(0)
	v_add_f64 v[0:1], v[0:1], -v[8:9]
	v_add_f64 v[2:3], v[2:3], -v[12:13]
	scratch_store_dwordx4 off, v[0:3], off offset:528
	ds_read2_b64 v[0:3], v11 offset0:68 offset1:69
	s_waitcnt lgkmcnt(0)
	v_mul_f64 v[8:9], v[2:3], v[134:135]
	v_mul_f64 v[12:13], v[0:1], v[134:135]
	v_fma_f64 v[8:9], v[0:1], v[132:133], -v[8:9]
	v_fmac_f64_e32 v[12:13], v[2:3], v[132:133]
	scratch_load_dwordx4 v[0:3], off, off offset:544
	s_waitcnt vmcnt(0)
	v_add_f64 v[0:1], v[0:1], -v[8:9]
	v_add_f64 v[2:3], v[2:3], -v[12:13]
	scratch_store_dwordx4 off, v[0:3], off offset:544
	ds_read2_b64 v[0:3], v11 offset0:70 offset1:71
	;; [unrolled: 11-line block ×6, first 2 shown]
	scratch_load_dwordx2 v[8:9], off, off offset:512
	scratch_load_dwordx4 v[132:135], off, off offset:512
	s_waitcnt vmcnt(0) lgkmcnt(0)
	v_mul_f64 v[12:13], v[2:3], v[134:135]
	v_mul_f64 v[14:15], v[0:1], v[134:135]
	v_fma_f64 v[12:13], v[0:1], v[8:9], -v[12:13]
	v_fmac_f64_e32 v[14:15], v[2:3], v[8:9]
	scratch_load_dwordx4 v[0:3], off, off offset:624
	s_waitcnt vmcnt(0)
	v_add_f64 v[0:1], v[0:1], -v[12:13]
	v_add_f64 v[2:3], v[2:3], -v[14:15]
	scratch_store_dwordx4 off, v[0:3], off offset:624
	ds_read2_b64 v[0:3], v11 offset0:80 offset1:81
	s_waitcnt lgkmcnt(0)
	v_mul_f64 v[12:13], v[2:3], v[134:135]
	v_mul_f64 v[14:15], v[0:1], v[134:135]
	v_fma_f64 v[12:13], v[0:1], v[8:9], -v[12:13]
	v_fmac_f64_e32 v[14:15], v[2:3], v[8:9]
	scratch_load_dwordx4 v[0:3], off, off offset:640
	s_waitcnt vmcnt(0)
	v_add_f64 v[0:1], v[0:1], -v[12:13]
	v_add_f64 v[2:3], v[2:3], -v[14:15]
	scratch_store_dwordx4 off, v[0:3], off offset:640
	ds_read2_b64 v[0:3], v11 offset0:82 offset1:83
	s_waitcnt lgkmcnt(0)
	;; [unrolled: 11-line block ×5, first 2 shown]
	v_mul_f64 v[12:13], v[2:3], v[134:135]
	v_mul_f64 v[14:15], v[0:1], v[134:135]
	v_fma_f64 v[12:13], v[0:1], v[8:9], -v[12:13]
	v_fmac_f64_e32 v[14:15], v[2:3], v[8:9]
	scratch_load_dwordx4 v[0:3], off, off offset:704
	ds_read2_b64 v[134:137], v11 offset0:90 offset1:91
	s_waitcnt vmcnt(0)
	v_add_f64 v[0:1], v[0:1], -v[12:13]
	v_add_f64 v[2:3], v[2:3], -v[14:15]
	scratch_store_dwordx4 off, v[0:3], off offset:704
	scratch_load_dwordx2 v[0:1], off, off offset:512
	s_nop 0
	scratch_load_dwordx2 v[2:3], off, off offset:520
	s_waitcnt vmcnt(0) lgkmcnt(0)
	v_mul_f64 v[8:9], v[136:137], v[2:3]
	v_mul_f64 v[12:13], v[134:135], v[2:3]
	v_fma_f64 v[8:9], v[134:135], v[0:1], -v[8:9]
	v_fmac_f64_e32 v[12:13], v[136:137], v[0:1]
	scratch_load_dwordx4 v[134:137], off, off offset:720
	s_waitcnt vmcnt(0)
	v_add_f64 v[134:135], v[134:135], -v[8:9]
	v_add_f64 v[136:137], v[136:137], -v[12:13]
	scratch_store_dwordx4 off, v[134:137], off offset:720
	ds_read2_b64 v[134:137], v11 offset0:92 offset1:93
	s_waitcnt lgkmcnt(0)
	v_mul_f64 v[8:9], v[136:137], v[2:3]
	v_mul_f64 v[12:13], v[134:135], v[2:3]
	v_fma_f64 v[8:9], v[134:135], v[0:1], -v[8:9]
	v_fmac_f64_e32 v[12:13], v[136:137], v[0:1]
	scratch_load_dwordx4 v[134:137], off, off offset:736
	s_waitcnt vmcnt(0)
	v_add_f64 v[134:135], v[134:135], -v[8:9]
	v_add_f64 v[136:137], v[136:137], -v[12:13]
	scratch_store_dwordx4 off, v[134:137], off offset:736
	ds_read2_b64 v[134:137], v11 offset0:94 offset1:95
	s_waitcnt lgkmcnt(0)
	;; [unrolled: 11-line block ×5, first 2 shown]
	v_mul_f64 v[8:9], v[136:137], v[2:3]
	v_mul_f64 v[12:13], v[134:135], v[2:3]
	v_fma_f64 v[8:9], v[134:135], v[0:1], -v[8:9]
	v_fmac_f64_e32 v[12:13], v[136:137], v[0:1]
	scratch_load_dwordx4 v[0:3], off, off offset:800
	s_waitcnt vmcnt(0)
	v_add_f64 v[0:1], v[0:1], -v[8:9]
	v_add_f64 v[2:3], v[2:3], -v[12:13]
	scratch_store_dwordx4 off, v[0:3], off offset:800
	ds_read2_b64 v[0:3], v11 offset0:102 offset1:103
	scratch_load_dwordx2 v[8:9], off, off offset:512
	scratch_load_dwordx2 v[12:13], off, off offset:520
	ds_read2_b64 v[134:137], v11 offset0:114 offset1:115
	s_waitcnt vmcnt(0) lgkmcnt(1)
	v_mul_f64 v[14:15], v[2:3], v[12:13]
	v_mul_f64 v[34:35], v[0:1], v[12:13]
	v_fma_f64 v[14:15], v[0:1], v[8:9], -v[14:15]
	v_fmac_f64_e32 v[34:35], v[2:3], v[8:9]
	scratch_load_dwordx4 v[0:3], off, off offset:816
	s_waitcnt vmcnt(0)
	v_add_f64 v[0:1], v[0:1], -v[14:15]
	v_add_f64 v[2:3], v[2:3], -v[34:35]
	scratch_store_dwordx4 off, v[0:3], off offset:816
	ds_read2_b64 v[0:3], v11 offset0:104 offset1:105
	s_waitcnt lgkmcnt(0)
	v_mul_f64 v[14:15], v[2:3], v[12:13]
	v_mul_f64 v[34:35], v[0:1], v[12:13]
	v_fma_f64 v[14:15], v[0:1], v[8:9], -v[14:15]
	v_fmac_f64_e32 v[34:35], v[2:3], v[8:9]
	scratch_load_dwordx4 v[0:3], off, off offset:832
	s_waitcnt vmcnt(0)
	v_add_f64 v[0:1], v[0:1], -v[14:15]
	v_add_f64 v[2:3], v[2:3], -v[34:35]
	scratch_store_dwordx4 off, v[0:3], off offset:832
	ds_read2_b64 v[0:3], v11 offset0:106 offset1:107
	s_waitcnt lgkmcnt(0)
	;; [unrolled: 11-line block ×5, first 2 shown]
	v_mul_f64 v[14:15], v[2:3], v[12:13]
	v_mul_f64 v[12:13], v[0:1], v[12:13]
	v_fma_f64 v[14:15], v[0:1], v[8:9], -v[14:15]
	v_fmac_f64_e32 v[12:13], v[2:3], v[8:9]
	scratch_load_dwordx4 v[0:3], off, off offset:896
	s_waitcnt vmcnt(0)
	v_add_f64 v[0:1], v[0:1], -v[14:15]
	v_add_f64 v[2:3], v[2:3], -v[12:13]
	scratch_store_dwordx4 off, v[0:3], off offset:896
	scratch_load_dwordx2 v[0:1], off, off offset:512
	s_nop 0
	scratch_load_dwordx2 v[2:3], off, off offset:520
	s_waitcnt vmcnt(0)
	v_mul_f64 v[8:9], v[136:137], v[2:3]
	v_mul_f64 v[12:13], v[134:135], v[2:3]
	v_fma_f64 v[8:9], v[134:135], v[0:1], -v[8:9]
	v_fmac_f64_e32 v[12:13], v[136:137], v[0:1]
	scratch_load_dwordx4 v[134:137], off, off offset:912
	s_waitcnt vmcnt(0)
	v_add_f64 v[134:135], v[134:135], -v[8:9]
	v_add_f64 v[136:137], v[136:137], -v[12:13]
	scratch_store_dwordx4 off, v[134:137], off offset:912
	ds_read2_b64 v[134:137], v11 offset0:116 offset1:117
	s_waitcnt lgkmcnt(0)
	v_mul_f64 v[8:9], v[136:137], v[2:3]
	v_fma_f64 v[34:35], v[134:135], v[0:1], -v[8:9]
	v_mul_f64 v[134:135], v[134:135], v[2:3]
	v_fmac_f64_e32 v[134:135], v[136:137], v[0:1]
	scratch_load_dwordx4 v[136:139], off, off offset:928
	s_waitcnt vmcnt(0)
	v_add_f64 v[136:137], v[136:137], -v[34:35]
	v_add_f64 v[138:139], v[138:139], -v[134:135]
	scratch_store_dwordx4 off, v[136:139], off offset:928
	ds_read2_b64 v[134:137], v11 offset0:118 offset1:119
	s_waitcnt lgkmcnt(0)
	v_mul_f64 v[8:9], v[136:137], v[2:3]
	v_mul_f64 v[12:13], v[134:135], v[2:3]
	v_fma_f64 v[8:9], v[134:135], v[0:1], -v[8:9]
	v_fmac_f64_e32 v[12:13], v[136:137], v[0:1]
	scratch_load_dwordx4 v[134:137], off, off offset:944
	s_waitcnt vmcnt(0)
	v_add_f64 v[134:135], v[134:135], -v[8:9]
	v_add_f64 v[136:137], v[136:137], -v[12:13]
	scratch_store_dwordx4 off, v[134:137], off offset:944
	ds_read2_b64 v[134:137], v11 offset0:120 offset1:121
	s_waitcnt lgkmcnt(0)
	v_mul_f64 v[8:9], v[136:137], v[2:3]
	v_mul_f64 v[12:13], v[134:135], v[2:3]
	v_fma_f64 v[8:9], v[134:135], v[0:1], -v[8:9]
	;; [unrolled: 11-line block ×4, first 2 shown]
	v_fmac_f64_e32 v[12:13], v[136:137], v[0:1]
	scratch_load_dwordx4 v[0:3], off, off offset:992
	ds_read2_b64 v[134:137], v11 offset0:126 offset1:127
	s_waitcnt vmcnt(0)
	v_add_f64 v[0:1], v[0:1], -v[8:9]
	v_add_f64 v[2:3], v[2:3], -v[12:13]
	scratch_store_dwordx4 off, v[0:3], off offset:992
	scratch_load_dwordx2 v[2:3], off, off offset:520
	s_waitcnt vmcnt(0) lgkmcnt(0)
	v_mul_f64 v[0:1], v[136:137], v[2:3]
	v_mul_f64 v[2:3], v[134:135], v[2:3]
	v_fma_f64 v[0:1], v[134:135], v[132:133], -v[0:1]
	v_fmac_f64_e32 v[2:3], v[136:137], v[132:133]
	scratch_load_dwordx4 v[132:135], off, off offset:1008
	s_waitcnt vmcnt(0)
	v_add_f64 v[0:1], v[132:133], -v[0:1]
	v_add_f64 v[2:3], v[134:135], -v[2:3]
	scratch_store_dwordx4 off, v[0:3], off offset:1008
.LBB127_411:
	s_or_b64 exec, exec, s[2:3]
	v_cmp_eq_u32_e32 vcc, 33, v254
	s_waitcnt lgkmcnt(0)
	s_barrier
	s_and_saveexec_b64 s[4:5], vcc
	s_cbranch_execz .LBB127_418
; %bb.412:
	scratch_load_dwordx4 v[0:3], off, s40
	s_waitcnt vmcnt(0)
	ds_write2_b64 v10, v[0:1], v[2:3] offset1:1
	scratch_load_dwordx4 v[0:3], off, s41
	s_waitcnt vmcnt(0)
	ds_write2_b64 v11, v[0:1], v[2:3] offset0:68 offset1:69
	scratch_load_dwordx4 v[0:3], off, s38
	s_waitcnt vmcnt(0)
	ds_write2_b64 v11, v[0:1], v[2:3] offset0:70 offset1:71
	;; [unrolled: 3-line block ×30, first 2 shown]
	ds_read2_b64 v[0:3], v10 offset1:1
	s_waitcnt lgkmcnt(0)
	v_cmp_neq_f64_e32 vcc, 0, v[0:1]
	v_cmp_neq_f64_e64 s[2:3], 0, v[2:3]
	s_or_b64 s[2:3], vcc, s[2:3]
	s_and_b64 exec, exec, s[2:3]
	s_cbranch_execz .LBB127_418
; %bb.413:
	v_cmp_ngt_f64_e64 s[2:3], |v[0:1]|, |v[2:3]|
                                        ; implicit-def: $vgpr34_vgpr35
	s_and_saveexec_b64 s[10:11], s[2:3]
	s_xor_b64 s[2:3], exec, s[10:11]
                                        ; implicit-def: $vgpr8_vgpr9
	s_cbranch_execz .LBB127_415
; %bb.414:
	v_div_scale_f64 v[8:9], s[10:11], v[2:3], v[2:3], v[0:1]
	v_rcp_f64_e32 v[12:13], v[8:9]
	v_div_scale_f64 v[14:15], vcc, v[0:1], v[2:3], v[0:1]
	v_fma_f64 v[34:35], -v[8:9], v[12:13], 1.0
	v_fmac_f64_e32 v[12:13], v[12:13], v[34:35]
	v_fma_f64 v[34:35], -v[8:9], v[12:13], 1.0
	v_fmac_f64_e32 v[12:13], v[12:13], v[34:35]
	v_mul_f64 v[34:35], v[14:15], v[12:13]
	v_fma_f64 v[8:9], -v[8:9], v[34:35], v[14:15]
	v_div_fmas_f64 v[8:9], v[8:9], v[12:13], v[34:35]
	v_div_fixup_f64 v[12:13], v[8:9], v[2:3], v[0:1]
	v_fmac_f64_e32 v[2:3], v[0:1], v[12:13]
	v_div_scale_f64 v[0:1], s[10:11], v[2:3], v[2:3], 1.0
	v_rcp_f64_e32 v[8:9], v[0:1]
	s_nop 0
	v_fma_f64 v[14:15], -v[0:1], v[8:9], 1.0
	v_fmac_f64_e32 v[8:9], v[8:9], v[14:15]
	v_fma_f64 v[14:15], -v[0:1], v[8:9], 1.0
	v_fmac_f64_e32 v[8:9], v[8:9], v[14:15]
	v_div_scale_f64 v[14:15], vcc, 1.0, v[2:3], 1.0
	v_mul_f64 v[34:35], v[14:15], v[8:9]
	v_fma_f64 v[0:1], -v[0:1], v[34:35], v[14:15]
	s_nop 1
	v_div_fmas_f64 v[0:1], v[0:1], v[8:9], v[34:35]
	v_div_fixup_f64 v[8:9], v[0:1], v[2:3], 1.0
	v_mul_f64 v[34:35], v[12:13], v[8:9]
	v_xor_b32_e32 v9, 0x80000000, v9
                                        ; implicit-def: $vgpr0_vgpr1
.LBB127_415:
	s_andn2_saveexec_b64 s[2:3], s[2:3]
	s_cbranch_execz .LBB127_417
; %bb.416:
	v_div_scale_f64 v[8:9], s[10:11], v[0:1], v[0:1], v[2:3]
	v_rcp_f64_e32 v[12:13], v[8:9]
	v_div_scale_f64 v[14:15], vcc, v[2:3], v[0:1], v[2:3]
	v_fma_f64 v[34:35], -v[8:9], v[12:13], 1.0
	v_fmac_f64_e32 v[12:13], v[12:13], v[34:35]
	v_fma_f64 v[34:35], -v[8:9], v[12:13], 1.0
	v_fmac_f64_e32 v[12:13], v[12:13], v[34:35]
	v_mul_f64 v[34:35], v[14:15], v[12:13]
	v_fma_f64 v[8:9], -v[8:9], v[34:35], v[14:15]
	v_div_fmas_f64 v[8:9], v[8:9], v[12:13], v[34:35]
	v_div_fixup_f64 v[8:9], v[8:9], v[0:1], v[2:3]
	v_fmac_f64_e32 v[0:1], v[2:3], v[8:9]
	v_div_scale_f64 v[2:3], s[10:11], v[0:1], v[0:1], 1.0
	v_rcp_f64_e32 v[12:13], v[2:3]
	s_nop 0
	v_fma_f64 v[14:15], -v[2:3], v[12:13], 1.0
	v_fmac_f64_e32 v[12:13], v[12:13], v[14:15]
	v_fma_f64 v[14:15], -v[2:3], v[12:13], 1.0
	v_fmac_f64_e32 v[12:13], v[12:13], v[14:15]
	v_div_scale_f64 v[14:15], vcc, 1.0, v[0:1], 1.0
	v_mul_f64 v[34:35], v[14:15], v[12:13]
	v_fma_f64 v[2:3], -v[2:3], v[34:35], v[14:15]
	s_nop 1
	v_div_fmas_f64 v[2:3], v[2:3], v[12:13], v[34:35]
	v_div_fixup_f64 v[34:35], v[2:3], v[0:1], 1.0
	v_mul_f64 v[8:9], v[8:9], -v[34:35]
.LBB127_417:
	s_or_b64 exec, exec, s[2:3]
	ds_write2_b64 v10, v[34:35], v[8:9] offset1:1
.LBB127_418:
	s_or_b64 exec, exec, s[4:5]
	s_waitcnt lgkmcnt(0)
	s_barrier
	ds_read2_b64 v[132:135], v10 offset1:1
	v_cmp_lt_u32_e32 vcc, 33, v254
	s_and_saveexec_b64 s[2:3], vcc
	s_cbranch_execz .LBB127_420
; %bb.419:
	scratch_load_dwordx4 v[0:3], off, off offset:528
	s_waitcnt vmcnt(0) lgkmcnt(0)
	v_mul_f64 v[8:9], v[134:135], v[2:3]
	v_mul_f64 v[138:139], v[132:133], v[2:3]
	v_fma_f64 v[136:137], v[132:133], v[0:1], -v[8:9]
	v_fmac_f64_e32 v[138:139], v[134:135], v[0:1]
	ds_read2_b64 v[0:3], v11 offset0:68 offset1:69
	scratch_store_dwordx4 off, v[136:139], off offset:528
	s_waitcnt lgkmcnt(0)
	v_mul_f64 v[8:9], v[2:3], v[138:139]
	v_mul_f64 v[12:13], v[0:1], v[138:139]
	v_fma_f64 v[8:9], v[0:1], v[136:137], -v[8:9]
	v_fmac_f64_e32 v[12:13], v[2:3], v[136:137]
	scratch_load_dwordx4 v[0:3], off, off offset:544
	s_waitcnt vmcnt(0)
	v_add_f64 v[0:1], v[0:1], -v[8:9]
	v_add_f64 v[2:3], v[2:3], -v[12:13]
	scratch_store_dwordx4 off, v[0:3], off offset:544
	ds_read2_b64 v[0:3], v11 offset0:70 offset1:71
	s_waitcnt lgkmcnt(0)
	v_mul_f64 v[8:9], v[2:3], v[138:139]
	v_mul_f64 v[12:13], v[0:1], v[138:139]
	v_fma_f64 v[8:9], v[0:1], v[136:137], -v[8:9]
	v_fmac_f64_e32 v[12:13], v[2:3], v[136:137]
	scratch_load_dwordx4 v[0:3], off, off offset:560
	s_waitcnt vmcnt(0)
	v_add_f64 v[0:1], v[0:1], -v[8:9]
	v_add_f64 v[2:3], v[2:3], -v[12:13]
	scratch_store_dwordx4 off, v[0:3], off offset:560
	ds_read2_b64 v[0:3], v11 offset0:72 offset1:73
	;; [unrolled: 11-line block ×6, first 2 shown]
	scratch_load_dwordx2 v[8:9], off, off offset:528
	scratch_load_dwordx4 v[136:139], off, off offset:528
	s_waitcnt vmcnt(0) lgkmcnt(0)
	v_mul_f64 v[12:13], v[2:3], v[138:139]
	v_mul_f64 v[14:15], v[0:1], v[138:139]
	v_fma_f64 v[12:13], v[0:1], v[8:9], -v[12:13]
	v_fmac_f64_e32 v[14:15], v[2:3], v[8:9]
	scratch_load_dwordx4 v[0:3], off, off offset:640
	s_waitcnt vmcnt(0)
	v_add_f64 v[0:1], v[0:1], -v[12:13]
	v_add_f64 v[2:3], v[2:3], -v[14:15]
	scratch_store_dwordx4 off, v[0:3], off offset:640
	ds_read2_b64 v[0:3], v11 offset0:82 offset1:83
	s_waitcnt lgkmcnt(0)
	v_mul_f64 v[12:13], v[2:3], v[138:139]
	v_mul_f64 v[14:15], v[0:1], v[138:139]
	v_fma_f64 v[12:13], v[0:1], v[8:9], -v[12:13]
	v_fmac_f64_e32 v[14:15], v[2:3], v[8:9]
	scratch_load_dwordx4 v[0:3], off, off offset:656
	s_waitcnt vmcnt(0)
	v_add_f64 v[0:1], v[0:1], -v[12:13]
	v_add_f64 v[2:3], v[2:3], -v[14:15]
	scratch_store_dwordx4 off, v[0:3], off offset:656
	ds_read2_b64 v[0:3], v11 offset0:84 offset1:85
	s_waitcnt lgkmcnt(0)
	;; [unrolled: 11-line block ×5, first 2 shown]
	v_mul_f64 v[12:13], v[2:3], v[138:139]
	v_mul_f64 v[14:15], v[0:1], v[138:139]
	v_fma_f64 v[12:13], v[0:1], v[8:9], -v[12:13]
	v_fmac_f64_e32 v[14:15], v[2:3], v[8:9]
	scratch_load_dwordx4 v[0:3], off, off offset:720
	ds_read2_b64 v[138:141], v11 offset0:92 offset1:93
	s_waitcnt vmcnt(0)
	v_add_f64 v[0:1], v[0:1], -v[12:13]
	v_add_f64 v[2:3], v[2:3], -v[14:15]
	scratch_store_dwordx4 off, v[0:3], off offset:720
	scratch_load_dwordx2 v[0:1], off, off offset:528
	s_nop 0
	scratch_load_dwordx2 v[2:3], off, off offset:536
	s_waitcnt vmcnt(0) lgkmcnt(0)
	v_mul_f64 v[8:9], v[140:141], v[2:3]
	v_mul_f64 v[12:13], v[138:139], v[2:3]
	v_fma_f64 v[8:9], v[138:139], v[0:1], -v[8:9]
	v_fmac_f64_e32 v[12:13], v[140:141], v[0:1]
	scratch_load_dwordx4 v[138:141], off, off offset:736
	s_waitcnt vmcnt(0)
	v_add_f64 v[138:139], v[138:139], -v[8:9]
	v_add_f64 v[140:141], v[140:141], -v[12:13]
	scratch_store_dwordx4 off, v[138:141], off offset:736
	ds_read2_b64 v[138:141], v11 offset0:94 offset1:95
	s_waitcnt lgkmcnt(0)
	v_mul_f64 v[8:9], v[140:141], v[2:3]
	v_mul_f64 v[12:13], v[138:139], v[2:3]
	v_fma_f64 v[8:9], v[138:139], v[0:1], -v[8:9]
	v_fmac_f64_e32 v[12:13], v[140:141], v[0:1]
	scratch_load_dwordx4 v[138:141], off, off offset:752
	s_waitcnt vmcnt(0)
	v_add_f64 v[138:139], v[138:139], -v[8:9]
	v_add_f64 v[140:141], v[140:141], -v[12:13]
	scratch_store_dwordx4 off, v[138:141], off offset:752
	ds_read2_b64 v[138:141], v11 offset0:96 offset1:97
	s_waitcnt lgkmcnt(0)
	;; [unrolled: 11-line block ×5, first 2 shown]
	v_mul_f64 v[8:9], v[140:141], v[2:3]
	v_mul_f64 v[12:13], v[138:139], v[2:3]
	v_fma_f64 v[8:9], v[138:139], v[0:1], -v[8:9]
	v_fmac_f64_e32 v[12:13], v[140:141], v[0:1]
	scratch_load_dwordx4 v[0:3], off, off offset:816
	s_waitcnt vmcnt(0)
	v_add_f64 v[0:1], v[0:1], -v[8:9]
	v_add_f64 v[2:3], v[2:3], -v[12:13]
	scratch_store_dwordx4 off, v[0:3], off offset:816
	ds_read2_b64 v[0:3], v11 offset0:104 offset1:105
	scratch_load_dwordx2 v[8:9], off, off offset:528
	scratch_load_dwordx2 v[12:13], off, off offset:536
	ds_read2_b64 v[138:141], v11 offset0:116 offset1:117
	s_waitcnt vmcnt(0) lgkmcnt(1)
	v_mul_f64 v[14:15], v[2:3], v[12:13]
	v_mul_f64 v[34:35], v[0:1], v[12:13]
	v_fma_f64 v[14:15], v[0:1], v[8:9], -v[14:15]
	v_fmac_f64_e32 v[34:35], v[2:3], v[8:9]
	scratch_load_dwordx4 v[0:3], off, off offset:832
	s_waitcnt vmcnt(0)
	v_add_f64 v[0:1], v[0:1], -v[14:15]
	v_add_f64 v[2:3], v[2:3], -v[34:35]
	scratch_store_dwordx4 off, v[0:3], off offset:832
	ds_read2_b64 v[0:3], v11 offset0:106 offset1:107
	s_waitcnt lgkmcnt(0)
	v_mul_f64 v[14:15], v[2:3], v[12:13]
	v_mul_f64 v[34:35], v[0:1], v[12:13]
	v_fma_f64 v[14:15], v[0:1], v[8:9], -v[14:15]
	v_fmac_f64_e32 v[34:35], v[2:3], v[8:9]
	scratch_load_dwordx4 v[0:3], off, off offset:848
	s_waitcnt vmcnt(0)
	v_add_f64 v[0:1], v[0:1], -v[14:15]
	v_add_f64 v[2:3], v[2:3], -v[34:35]
	scratch_store_dwordx4 off, v[0:3], off offset:848
	ds_read2_b64 v[0:3], v11 offset0:108 offset1:109
	s_waitcnt lgkmcnt(0)
	;; [unrolled: 11-line block ×5, first 2 shown]
	v_mul_f64 v[14:15], v[2:3], v[12:13]
	v_mul_f64 v[12:13], v[0:1], v[12:13]
	v_fma_f64 v[14:15], v[0:1], v[8:9], -v[14:15]
	v_fmac_f64_e32 v[12:13], v[2:3], v[8:9]
	scratch_load_dwordx4 v[0:3], off, off offset:912
	s_waitcnt vmcnt(0)
	v_add_f64 v[0:1], v[0:1], -v[14:15]
	v_add_f64 v[2:3], v[2:3], -v[12:13]
	scratch_store_dwordx4 off, v[0:3], off offset:912
	scratch_load_dwordx2 v[0:1], off, off offset:536
	s_waitcnt vmcnt(0)
	v_mul_f64 v[8:9], v[138:139], v[0:1]
	v_mul_f64 v[2:3], v[140:141], v[0:1]
	v_fma_f64 v[2:3], v[138:139], v[136:137], -v[2:3]
	v_fmac_f64_e32 v[8:9], v[140:141], v[136:137]
	scratch_load_dwordx4 v[138:141], off, off offset:928
	s_waitcnt vmcnt(0)
	v_add_f64 v[138:139], v[138:139], -v[2:3]
	v_add_f64 v[140:141], v[140:141], -v[8:9]
	scratch_store_dwordx4 off, v[138:141], off offset:928
	ds_read2_b64 v[138:141], v11 offset0:118 offset1:119
	s_waitcnt lgkmcnt(0)
	v_mul_f64 v[2:3], v[140:141], v[0:1]
	v_mul_f64 v[34:35], v[138:139], v[0:1]
	v_fma_f64 v[2:3], v[138:139], v[136:137], -v[2:3]
	v_fmac_f64_e32 v[34:35], v[140:141], v[136:137]
	scratch_load_dwordx4 v[138:141], off, off offset:944
	s_waitcnt vmcnt(0)
	v_add_f64 v[138:139], v[138:139], -v[2:3]
	v_add_f64 v[140:141], v[140:141], -v[34:35]
	scratch_store_dwordx4 off, v[138:141], off offset:944
	ds_read2_b64 v[138:141], v11 offset0:120 offset1:121
	s_waitcnt lgkmcnt(0)
	;; [unrolled: 11-line block ×5, first 2 shown]
	v_mul_f64 v[2:3], v[140:141], v[0:1]
	v_mul_f64 v[0:1], v[138:139], v[0:1]
	v_fma_f64 v[2:3], v[138:139], v[136:137], -v[2:3]
	v_fmac_f64_e32 v[0:1], v[140:141], v[136:137]
	scratch_load_dwordx4 v[136:139], off, off offset:1008
	s_waitcnt vmcnt(0)
	v_add_f64 v[136:137], v[136:137], -v[2:3]
	v_add_f64 v[138:139], v[138:139], -v[0:1]
	scratch_store_dwordx4 off, v[136:139], off offset:1008
.LBB127_420:
	s_or_b64 exec, exec, s[2:3]
	v_cmp_eq_u32_e32 vcc, 34, v254
	s_waitcnt lgkmcnt(0)
	s_barrier
	s_and_saveexec_b64 s[4:5], vcc
	s_cbranch_execz .LBB127_427
; %bb.421:
	scratch_load_dwordx4 v[0:3], off, s41
	s_waitcnt vmcnt(0)
	ds_write2_b64 v10, v[0:1], v[2:3] offset1:1
	scratch_load_dwordx4 v[0:3], off, s38
	s_waitcnt vmcnt(0)
	ds_write2_b64 v11, v[0:1], v[2:3] offset0:70 offset1:71
	scratch_load_dwordx4 v[0:3], off, s39
	s_waitcnt vmcnt(0)
	ds_write2_b64 v11, v[0:1], v[2:3] offset0:72 offset1:73
	;; [unrolled: 3-line block ×29, first 2 shown]
	ds_read2_b64 v[0:3], v10 offset1:1
	s_waitcnt lgkmcnt(0)
	v_cmp_neq_f64_e32 vcc, 0, v[0:1]
	v_cmp_neq_f64_e64 s[2:3], 0, v[2:3]
	s_or_b64 s[2:3], vcc, s[2:3]
	s_and_b64 exec, exec, s[2:3]
	s_cbranch_execz .LBB127_427
; %bb.422:
	v_cmp_ngt_f64_e64 s[2:3], |v[0:1]|, |v[2:3]|
                                        ; implicit-def: $vgpr34_vgpr35
	s_and_saveexec_b64 s[10:11], s[2:3]
	s_xor_b64 s[2:3], exec, s[10:11]
                                        ; implicit-def: $vgpr8_vgpr9
	s_cbranch_execz .LBB127_424
; %bb.423:
	v_div_scale_f64 v[8:9], s[10:11], v[2:3], v[2:3], v[0:1]
	v_rcp_f64_e32 v[12:13], v[8:9]
	v_div_scale_f64 v[14:15], vcc, v[0:1], v[2:3], v[0:1]
	v_fma_f64 v[34:35], -v[8:9], v[12:13], 1.0
	v_fmac_f64_e32 v[12:13], v[12:13], v[34:35]
	v_fma_f64 v[34:35], -v[8:9], v[12:13], 1.0
	v_fmac_f64_e32 v[12:13], v[12:13], v[34:35]
	v_mul_f64 v[34:35], v[14:15], v[12:13]
	v_fma_f64 v[8:9], -v[8:9], v[34:35], v[14:15]
	v_div_fmas_f64 v[8:9], v[8:9], v[12:13], v[34:35]
	v_div_fixup_f64 v[12:13], v[8:9], v[2:3], v[0:1]
	v_fmac_f64_e32 v[2:3], v[0:1], v[12:13]
	v_div_scale_f64 v[0:1], s[10:11], v[2:3], v[2:3], 1.0
	v_rcp_f64_e32 v[8:9], v[0:1]
	s_nop 0
	v_fma_f64 v[14:15], -v[0:1], v[8:9], 1.0
	v_fmac_f64_e32 v[8:9], v[8:9], v[14:15]
	v_fma_f64 v[14:15], -v[0:1], v[8:9], 1.0
	v_fmac_f64_e32 v[8:9], v[8:9], v[14:15]
	v_div_scale_f64 v[14:15], vcc, 1.0, v[2:3], 1.0
	v_mul_f64 v[34:35], v[14:15], v[8:9]
	v_fma_f64 v[0:1], -v[0:1], v[34:35], v[14:15]
	s_nop 1
	v_div_fmas_f64 v[0:1], v[0:1], v[8:9], v[34:35]
	v_div_fixup_f64 v[8:9], v[0:1], v[2:3], 1.0
	v_mul_f64 v[34:35], v[12:13], v[8:9]
	v_xor_b32_e32 v9, 0x80000000, v9
                                        ; implicit-def: $vgpr0_vgpr1
.LBB127_424:
	s_andn2_saveexec_b64 s[2:3], s[2:3]
	s_cbranch_execz .LBB127_426
; %bb.425:
	v_div_scale_f64 v[8:9], s[10:11], v[0:1], v[0:1], v[2:3]
	v_rcp_f64_e32 v[12:13], v[8:9]
	v_div_scale_f64 v[14:15], vcc, v[2:3], v[0:1], v[2:3]
	v_fma_f64 v[34:35], -v[8:9], v[12:13], 1.0
	v_fmac_f64_e32 v[12:13], v[12:13], v[34:35]
	v_fma_f64 v[34:35], -v[8:9], v[12:13], 1.0
	v_fmac_f64_e32 v[12:13], v[12:13], v[34:35]
	v_mul_f64 v[34:35], v[14:15], v[12:13]
	v_fma_f64 v[8:9], -v[8:9], v[34:35], v[14:15]
	v_div_fmas_f64 v[8:9], v[8:9], v[12:13], v[34:35]
	v_div_fixup_f64 v[8:9], v[8:9], v[0:1], v[2:3]
	v_fmac_f64_e32 v[0:1], v[2:3], v[8:9]
	v_div_scale_f64 v[2:3], s[10:11], v[0:1], v[0:1], 1.0
	v_rcp_f64_e32 v[12:13], v[2:3]
	s_nop 0
	v_fma_f64 v[14:15], -v[2:3], v[12:13], 1.0
	v_fmac_f64_e32 v[12:13], v[12:13], v[14:15]
	v_fma_f64 v[14:15], -v[2:3], v[12:13], 1.0
	v_fmac_f64_e32 v[12:13], v[12:13], v[14:15]
	v_div_scale_f64 v[14:15], vcc, 1.0, v[0:1], 1.0
	v_mul_f64 v[34:35], v[14:15], v[12:13]
	v_fma_f64 v[2:3], -v[2:3], v[34:35], v[14:15]
	s_nop 1
	v_div_fmas_f64 v[2:3], v[2:3], v[12:13], v[34:35]
	v_div_fixup_f64 v[34:35], v[2:3], v[0:1], 1.0
	v_mul_f64 v[8:9], v[8:9], -v[34:35]
.LBB127_426:
	s_or_b64 exec, exec, s[2:3]
	ds_write2_b64 v10, v[34:35], v[8:9] offset1:1
.LBB127_427:
	s_or_b64 exec, exec, s[4:5]
	s_waitcnt lgkmcnt(0)
	s_barrier
	ds_read2_b64 v[136:139], v10 offset1:1
	v_cmp_lt_u32_e32 vcc, 34, v254
	s_and_saveexec_b64 s[2:3], vcc
	s_cbranch_execz .LBB127_429
; %bb.428:
	scratch_load_dwordx4 v[0:3], off, off offset:544
	s_waitcnt vmcnt(0) lgkmcnt(0)
	v_mul_f64 v[8:9], v[138:139], v[2:3]
	v_mul_f64 v[142:143], v[136:137], v[2:3]
	v_fma_f64 v[140:141], v[136:137], v[0:1], -v[8:9]
	v_fmac_f64_e32 v[142:143], v[138:139], v[0:1]
	ds_read2_b64 v[0:3], v11 offset0:70 offset1:71
	scratch_store_dwordx4 off, v[140:143], off offset:544
	s_waitcnt lgkmcnt(0)
	v_mul_f64 v[8:9], v[2:3], v[142:143]
	v_mul_f64 v[12:13], v[0:1], v[142:143]
	v_fma_f64 v[8:9], v[0:1], v[140:141], -v[8:9]
	v_fmac_f64_e32 v[12:13], v[2:3], v[140:141]
	scratch_load_dwordx4 v[0:3], off, off offset:560
	s_waitcnt vmcnt(0)
	v_add_f64 v[0:1], v[0:1], -v[8:9]
	v_add_f64 v[2:3], v[2:3], -v[12:13]
	scratch_store_dwordx4 off, v[0:3], off offset:560
	ds_read2_b64 v[0:3], v11 offset0:72 offset1:73
	s_waitcnt lgkmcnt(0)
	v_mul_f64 v[8:9], v[2:3], v[142:143]
	v_mul_f64 v[12:13], v[0:1], v[142:143]
	v_fma_f64 v[8:9], v[0:1], v[140:141], -v[8:9]
	v_fmac_f64_e32 v[12:13], v[2:3], v[140:141]
	scratch_load_dwordx4 v[0:3], off, off offset:576
	s_waitcnt vmcnt(0)
	v_add_f64 v[0:1], v[0:1], -v[8:9]
	v_add_f64 v[2:3], v[2:3], -v[12:13]
	scratch_store_dwordx4 off, v[0:3], off offset:576
	ds_read2_b64 v[0:3], v11 offset0:74 offset1:75
	;; [unrolled: 11-line block ×6, first 2 shown]
	scratch_load_dwordx2 v[8:9], off, off offset:544
	scratch_load_dwordx4 v[140:143], off, off offset:544
	s_waitcnt vmcnt(0) lgkmcnt(0)
	v_mul_f64 v[12:13], v[2:3], v[142:143]
	v_mul_f64 v[14:15], v[0:1], v[142:143]
	v_fma_f64 v[12:13], v[0:1], v[8:9], -v[12:13]
	v_fmac_f64_e32 v[14:15], v[2:3], v[8:9]
	scratch_load_dwordx4 v[0:3], off, off offset:656
	s_waitcnt vmcnt(0)
	v_add_f64 v[0:1], v[0:1], -v[12:13]
	v_add_f64 v[2:3], v[2:3], -v[14:15]
	scratch_store_dwordx4 off, v[0:3], off offset:656
	ds_read2_b64 v[0:3], v11 offset0:84 offset1:85
	s_waitcnt lgkmcnt(0)
	v_mul_f64 v[12:13], v[2:3], v[142:143]
	v_mul_f64 v[14:15], v[0:1], v[142:143]
	v_fma_f64 v[12:13], v[0:1], v[8:9], -v[12:13]
	v_fmac_f64_e32 v[14:15], v[2:3], v[8:9]
	scratch_load_dwordx4 v[0:3], off, off offset:672
	s_waitcnt vmcnt(0)
	v_add_f64 v[0:1], v[0:1], -v[12:13]
	v_add_f64 v[2:3], v[2:3], -v[14:15]
	scratch_store_dwordx4 off, v[0:3], off offset:672
	ds_read2_b64 v[0:3], v11 offset0:86 offset1:87
	s_waitcnt lgkmcnt(0)
	;; [unrolled: 11-line block ×5, first 2 shown]
	v_mul_f64 v[12:13], v[2:3], v[142:143]
	v_mul_f64 v[14:15], v[0:1], v[142:143]
	v_fma_f64 v[12:13], v[0:1], v[8:9], -v[12:13]
	v_fmac_f64_e32 v[14:15], v[2:3], v[8:9]
	scratch_load_dwordx4 v[0:3], off, off offset:736
	ds_read2_b64 v[142:145], v11 offset0:94 offset1:95
	s_waitcnt vmcnt(0)
	v_add_f64 v[0:1], v[0:1], -v[12:13]
	v_add_f64 v[2:3], v[2:3], -v[14:15]
	scratch_store_dwordx4 off, v[0:3], off offset:736
	scratch_load_dwordx2 v[0:1], off, off offset:544
	s_nop 0
	scratch_load_dwordx2 v[2:3], off, off offset:552
	s_waitcnt vmcnt(0) lgkmcnt(0)
	v_mul_f64 v[8:9], v[144:145], v[2:3]
	v_mul_f64 v[12:13], v[142:143], v[2:3]
	v_fma_f64 v[8:9], v[142:143], v[0:1], -v[8:9]
	v_fmac_f64_e32 v[12:13], v[144:145], v[0:1]
	scratch_load_dwordx4 v[142:145], off, off offset:752
	s_waitcnt vmcnt(0)
	v_add_f64 v[142:143], v[142:143], -v[8:9]
	v_add_f64 v[144:145], v[144:145], -v[12:13]
	scratch_store_dwordx4 off, v[142:145], off offset:752
	ds_read2_b64 v[142:145], v11 offset0:96 offset1:97
	s_waitcnt lgkmcnt(0)
	v_mul_f64 v[8:9], v[144:145], v[2:3]
	v_mul_f64 v[12:13], v[142:143], v[2:3]
	v_fma_f64 v[8:9], v[142:143], v[0:1], -v[8:9]
	v_fmac_f64_e32 v[12:13], v[144:145], v[0:1]
	scratch_load_dwordx4 v[142:145], off, off offset:768
	s_waitcnt vmcnt(0)
	v_add_f64 v[142:143], v[142:143], -v[8:9]
	v_add_f64 v[144:145], v[144:145], -v[12:13]
	scratch_store_dwordx4 off, v[142:145], off offset:768
	ds_read2_b64 v[142:145], v11 offset0:98 offset1:99
	s_waitcnt lgkmcnt(0)
	;; [unrolled: 11-line block ×5, first 2 shown]
	v_mul_f64 v[8:9], v[144:145], v[2:3]
	v_mul_f64 v[12:13], v[142:143], v[2:3]
	v_fma_f64 v[8:9], v[142:143], v[0:1], -v[8:9]
	v_fmac_f64_e32 v[12:13], v[144:145], v[0:1]
	scratch_load_dwordx4 v[0:3], off, off offset:832
	s_waitcnt vmcnt(0)
	v_add_f64 v[0:1], v[0:1], -v[8:9]
	v_add_f64 v[2:3], v[2:3], -v[12:13]
	scratch_store_dwordx4 off, v[0:3], off offset:832
	ds_read2_b64 v[0:3], v11 offset0:106 offset1:107
	scratch_load_dwordx2 v[8:9], off, off offset:544
	scratch_load_dwordx2 v[12:13], off, off offset:552
	ds_read2_b64 v[142:145], v11 offset0:118 offset1:119
	s_waitcnt vmcnt(0) lgkmcnt(1)
	v_mul_f64 v[14:15], v[2:3], v[12:13]
	v_mul_f64 v[34:35], v[0:1], v[12:13]
	v_fma_f64 v[14:15], v[0:1], v[8:9], -v[14:15]
	v_fmac_f64_e32 v[34:35], v[2:3], v[8:9]
	scratch_load_dwordx4 v[0:3], off, off offset:848
	s_waitcnt vmcnt(0)
	v_add_f64 v[0:1], v[0:1], -v[14:15]
	v_add_f64 v[2:3], v[2:3], -v[34:35]
	scratch_store_dwordx4 off, v[0:3], off offset:848
	ds_read2_b64 v[0:3], v11 offset0:108 offset1:109
	s_waitcnt lgkmcnt(0)
	v_mul_f64 v[14:15], v[2:3], v[12:13]
	v_mul_f64 v[34:35], v[0:1], v[12:13]
	v_fma_f64 v[14:15], v[0:1], v[8:9], -v[14:15]
	v_fmac_f64_e32 v[34:35], v[2:3], v[8:9]
	scratch_load_dwordx4 v[0:3], off, off offset:864
	s_waitcnt vmcnt(0)
	v_add_f64 v[0:1], v[0:1], -v[14:15]
	v_add_f64 v[2:3], v[2:3], -v[34:35]
	scratch_store_dwordx4 off, v[0:3], off offset:864
	ds_read2_b64 v[0:3], v11 offset0:110 offset1:111
	s_waitcnt lgkmcnt(0)
	;; [unrolled: 11-line block ×5, first 2 shown]
	v_mul_f64 v[14:15], v[2:3], v[12:13]
	v_mul_f64 v[12:13], v[0:1], v[12:13]
	v_fma_f64 v[14:15], v[0:1], v[8:9], -v[14:15]
	v_fmac_f64_e32 v[12:13], v[2:3], v[8:9]
	scratch_load_dwordx4 v[0:3], off, off offset:928
	s_waitcnt vmcnt(0)
	v_add_f64 v[0:1], v[0:1], -v[14:15]
	v_add_f64 v[2:3], v[2:3], -v[12:13]
	scratch_store_dwordx4 off, v[0:3], off offset:928
	scratch_load_dwordx2 v[0:1], off, off offset:552
	s_waitcnt vmcnt(0)
	v_mul_f64 v[8:9], v[142:143], v[0:1]
	v_mul_f64 v[2:3], v[144:145], v[0:1]
	v_fma_f64 v[2:3], v[142:143], v[140:141], -v[2:3]
	v_fmac_f64_e32 v[8:9], v[144:145], v[140:141]
	scratch_load_dwordx4 v[142:145], off, off offset:944
	s_waitcnt vmcnt(0)
	v_add_f64 v[142:143], v[142:143], -v[2:3]
	v_add_f64 v[144:145], v[144:145], -v[8:9]
	scratch_store_dwordx4 off, v[142:145], off offset:944
	ds_read2_b64 v[142:145], v11 offset0:120 offset1:121
	s_waitcnt lgkmcnt(0)
	v_mul_f64 v[2:3], v[144:145], v[0:1]
	v_mul_f64 v[34:35], v[142:143], v[0:1]
	v_fma_f64 v[2:3], v[142:143], v[140:141], -v[2:3]
	v_fmac_f64_e32 v[34:35], v[144:145], v[140:141]
	scratch_load_dwordx4 v[142:145], off, off offset:960
	s_waitcnt vmcnt(0)
	v_add_f64 v[142:143], v[142:143], -v[2:3]
	v_add_f64 v[144:145], v[144:145], -v[34:35]
	scratch_store_dwordx4 off, v[142:145], off offset:960
	ds_read2_b64 v[142:145], v11 offset0:122 offset1:123
	s_waitcnt lgkmcnt(0)
	;; [unrolled: 11-line block ×4, first 2 shown]
	v_mul_f64 v[2:3], v[144:145], v[0:1]
	v_mul_f64 v[0:1], v[142:143], v[0:1]
	v_fma_f64 v[2:3], v[142:143], v[140:141], -v[2:3]
	v_fmac_f64_e32 v[0:1], v[144:145], v[140:141]
	scratch_load_dwordx4 v[140:143], off, off offset:1008
	s_waitcnt vmcnt(0)
	v_add_f64 v[140:141], v[140:141], -v[2:3]
	v_add_f64 v[142:143], v[142:143], -v[0:1]
	scratch_store_dwordx4 off, v[140:143], off offset:1008
.LBB127_429:
	s_or_b64 exec, exec, s[2:3]
	v_cmp_eq_u32_e32 vcc, 35, v254
	s_waitcnt lgkmcnt(0)
	s_barrier
	s_and_saveexec_b64 s[4:5], vcc
	s_cbranch_execz .LBB127_436
; %bb.430:
	scratch_load_dwordx4 v[0:3], off, s38
	s_waitcnt vmcnt(0)
	ds_write2_b64 v10, v[0:1], v[2:3] offset1:1
	scratch_load_dwordx4 v[0:3], off, s39
	s_waitcnt vmcnt(0)
	ds_write2_b64 v11, v[0:1], v[2:3] offset0:72 offset1:73
	scratch_load_dwordx4 v[0:3], off, s36
	s_waitcnt vmcnt(0)
	ds_write2_b64 v11, v[0:1], v[2:3] offset0:74 offset1:75
	;; [unrolled: 3-line block ×28, first 2 shown]
	ds_read2_b64 v[0:3], v10 offset1:1
	s_waitcnt lgkmcnt(0)
	v_cmp_neq_f64_e32 vcc, 0, v[0:1]
	v_cmp_neq_f64_e64 s[2:3], 0, v[2:3]
	s_or_b64 s[2:3], vcc, s[2:3]
	s_and_b64 exec, exec, s[2:3]
	s_cbranch_execz .LBB127_436
; %bb.431:
	v_cmp_ngt_f64_e64 s[2:3], |v[0:1]|, |v[2:3]|
                                        ; implicit-def: $vgpr34_vgpr35
	s_and_saveexec_b64 s[10:11], s[2:3]
	s_xor_b64 s[2:3], exec, s[10:11]
                                        ; implicit-def: $vgpr8_vgpr9
	s_cbranch_execz .LBB127_433
; %bb.432:
	v_div_scale_f64 v[8:9], s[10:11], v[2:3], v[2:3], v[0:1]
	v_rcp_f64_e32 v[12:13], v[8:9]
	v_div_scale_f64 v[14:15], vcc, v[0:1], v[2:3], v[0:1]
	v_fma_f64 v[34:35], -v[8:9], v[12:13], 1.0
	v_fmac_f64_e32 v[12:13], v[12:13], v[34:35]
	v_fma_f64 v[34:35], -v[8:9], v[12:13], 1.0
	v_fmac_f64_e32 v[12:13], v[12:13], v[34:35]
	v_mul_f64 v[34:35], v[14:15], v[12:13]
	v_fma_f64 v[8:9], -v[8:9], v[34:35], v[14:15]
	v_div_fmas_f64 v[8:9], v[8:9], v[12:13], v[34:35]
	v_div_fixup_f64 v[12:13], v[8:9], v[2:3], v[0:1]
	v_fmac_f64_e32 v[2:3], v[0:1], v[12:13]
	v_div_scale_f64 v[0:1], s[10:11], v[2:3], v[2:3], 1.0
	v_rcp_f64_e32 v[8:9], v[0:1]
	s_nop 0
	v_fma_f64 v[14:15], -v[0:1], v[8:9], 1.0
	v_fmac_f64_e32 v[8:9], v[8:9], v[14:15]
	v_fma_f64 v[14:15], -v[0:1], v[8:9], 1.0
	v_fmac_f64_e32 v[8:9], v[8:9], v[14:15]
	v_div_scale_f64 v[14:15], vcc, 1.0, v[2:3], 1.0
	v_mul_f64 v[34:35], v[14:15], v[8:9]
	v_fma_f64 v[0:1], -v[0:1], v[34:35], v[14:15]
	s_nop 1
	v_div_fmas_f64 v[0:1], v[0:1], v[8:9], v[34:35]
	v_div_fixup_f64 v[8:9], v[0:1], v[2:3], 1.0
	v_mul_f64 v[34:35], v[12:13], v[8:9]
	v_xor_b32_e32 v9, 0x80000000, v9
                                        ; implicit-def: $vgpr0_vgpr1
.LBB127_433:
	s_andn2_saveexec_b64 s[2:3], s[2:3]
	s_cbranch_execz .LBB127_435
; %bb.434:
	v_div_scale_f64 v[8:9], s[10:11], v[0:1], v[0:1], v[2:3]
	v_rcp_f64_e32 v[12:13], v[8:9]
	v_div_scale_f64 v[14:15], vcc, v[2:3], v[0:1], v[2:3]
	v_fma_f64 v[34:35], -v[8:9], v[12:13], 1.0
	v_fmac_f64_e32 v[12:13], v[12:13], v[34:35]
	v_fma_f64 v[34:35], -v[8:9], v[12:13], 1.0
	v_fmac_f64_e32 v[12:13], v[12:13], v[34:35]
	v_mul_f64 v[34:35], v[14:15], v[12:13]
	v_fma_f64 v[8:9], -v[8:9], v[34:35], v[14:15]
	v_div_fmas_f64 v[8:9], v[8:9], v[12:13], v[34:35]
	v_div_fixup_f64 v[8:9], v[8:9], v[0:1], v[2:3]
	v_fmac_f64_e32 v[0:1], v[2:3], v[8:9]
	v_div_scale_f64 v[2:3], s[10:11], v[0:1], v[0:1], 1.0
	v_rcp_f64_e32 v[12:13], v[2:3]
	s_nop 0
	v_fma_f64 v[14:15], -v[2:3], v[12:13], 1.0
	v_fmac_f64_e32 v[12:13], v[12:13], v[14:15]
	v_fma_f64 v[14:15], -v[2:3], v[12:13], 1.0
	v_fmac_f64_e32 v[12:13], v[12:13], v[14:15]
	v_div_scale_f64 v[14:15], vcc, 1.0, v[0:1], 1.0
	v_mul_f64 v[34:35], v[14:15], v[12:13]
	v_fma_f64 v[2:3], -v[2:3], v[34:35], v[14:15]
	s_nop 1
	v_div_fmas_f64 v[2:3], v[2:3], v[12:13], v[34:35]
	v_div_fixup_f64 v[34:35], v[2:3], v[0:1], 1.0
	v_mul_f64 v[8:9], v[8:9], -v[34:35]
.LBB127_435:
	s_or_b64 exec, exec, s[2:3]
	ds_write2_b64 v10, v[34:35], v[8:9] offset1:1
.LBB127_436:
	s_or_b64 exec, exec, s[4:5]
	s_waitcnt lgkmcnt(0)
	s_barrier
	ds_read2_b64 v[140:143], v10 offset1:1
	v_cmp_lt_u32_e32 vcc, 35, v254
	s_and_saveexec_b64 s[2:3], vcc
	s_cbranch_execz .LBB127_438
; %bb.437:
	scratch_load_dwordx4 v[0:3], off, off offset:560
	s_waitcnt vmcnt(0) lgkmcnt(0)
	v_mul_f64 v[8:9], v[142:143], v[2:3]
	v_mul_f64 v[146:147], v[140:141], v[2:3]
	v_fma_f64 v[144:145], v[140:141], v[0:1], -v[8:9]
	v_fmac_f64_e32 v[146:147], v[142:143], v[0:1]
	ds_read2_b64 v[0:3], v11 offset0:72 offset1:73
	scratch_store_dwordx4 off, v[144:147], off offset:560
	s_waitcnt lgkmcnt(0)
	v_mul_f64 v[8:9], v[2:3], v[146:147]
	v_mul_f64 v[12:13], v[0:1], v[146:147]
	v_fma_f64 v[8:9], v[0:1], v[144:145], -v[8:9]
	v_fmac_f64_e32 v[12:13], v[2:3], v[144:145]
	scratch_load_dwordx4 v[0:3], off, off offset:576
	s_waitcnt vmcnt(0)
	v_add_f64 v[0:1], v[0:1], -v[8:9]
	v_add_f64 v[2:3], v[2:3], -v[12:13]
	scratch_store_dwordx4 off, v[0:3], off offset:576
	ds_read2_b64 v[0:3], v11 offset0:74 offset1:75
	s_waitcnt lgkmcnt(0)
	v_mul_f64 v[8:9], v[2:3], v[146:147]
	v_mul_f64 v[12:13], v[0:1], v[146:147]
	v_fma_f64 v[8:9], v[0:1], v[144:145], -v[8:9]
	v_fmac_f64_e32 v[12:13], v[2:3], v[144:145]
	scratch_load_dwordx4 v[0:3], off, off offset:592
	s_waitcnt vmcnt(0)
	v_add_f64 v[0:1], v[0:1], -v[8:9]
	v_add_f64 v[2:3], v[2:3], -v[12:13]
	scratch_store_dwordx4 off, v[0:3], off offset:592
	ds_read2_b64 v[0:3], v11 offset0:76 offset1:77
	;; [unrolled: 11-line block ×6, first 2 shown]
	scratch_load_dwordx2 v[8:9], off, off offset:560
	scratch_load_dwordx4 v[144:147], off, off offset:560
	s_waitcnt vmcnt(0) lgkmcnt(0)
	v_mul_f64 v[12:13], v[2:3], v[146:147]
	v_mul_f64 v[14:15], v[0:1], v[146:147]
	v_fma_f64 v[12:13], v[0:1], v[8:9], -v[12:13]
	v_fmac_f64_e32 v[14:15], v[2:3], v[8:9]
	scratch_load_dwordx4 v[0:3], off, off offset:672
	s_waitcnt vmcnt(0)
	v_add_f64 v[0:1], v[0:1], -v[12:13]
	v_add_f64 v[2:3], v[2:3], -v[14:15]
	scratch_store_dwordx4 off, v[0:3], off offset:672
	ds_read2_b64 v[0:3], v11 offset0:86 offset1:87
	s_waitcnt lgkmcnt(0)
	v_mul_f64 v[12:13], v[2:3], v[146:147]
	v_mul_f64 v[14:15], v[0:1], v[146:147]
	v_fma_f64 v[12:13], v[0:1], v[8:9], -v[12:13]
	v_fmac_f64_e32 v[14:15], v[2:3], v[8:9]
	scratch_load_dwordx4 v[0:3], off, off offset:688
	s_waitcnt vmcnt(0)
	v_add_f64 v[0:1], v[0:1], -v[12:13]
	v_add_f64 v[2:3], v[2:3], -v[14:15]
	scratch_store_dwordx4 off, v[0:3], off offset:688
	ds_read2_b64 v[0:3], v11 offset0:88 offset1:89
	s_waitcnt lgkmcnt(0)
	;; [unrolled: 11-line block ×5, first 2 shown]
	v_mul_f64 v[12:13], v[2:3], v[146:147]
	v_mul_f64 v[14:15], v[0:1], v[146:147]
	v_fma_f64 v[12:13], v[0:1], v[8:9], -v[12:13]
	v_fmac_f64_e32 v[14:15], v[2:3], v[8:9]
	scratch_load_dwordx4 v[0:3], off, off offset:752
	ds_read2_b64 v[146:149], v11 offset0:96 offset1:97
	s_waitcnt vmcnt(0)
	v_add_f64 v[0:1], v[0:1], -v[12:13]
	v_add_f64 v[2:3], v[2:3], -v[14:15]
	scratch_store_dwordx4 off, v[0:3], off offset:752
	scratch_load_dwordx2 v[0:1], off, off offset:560
	s_nop 0
	scratch_load_dwordx2 v[2:3], off, off offset:568
	s_waitcnt vmcnt(0) lgkmcnt(0)
	v_mul_f64 v[8:9], v[148:149], v[2:3]
	v_mul_f64 v[12:13], v[146:147], v[2:3]
	v_fma_f64 v[8:9], v[146:147], v[0:1], -v[8:9]
	v_fmac_f64_e32 v[12:13], v[148:149], v[0:1]
	scratch_load_dwordx4 v[146:149], off, off offset:768
	s_waitcnt vmcnt(0)
	v_add_f64 v[146:147], v[146:147], -v[8:9]
	v_add_f64 v[148:149], v[148:149], -v[12:13]
	scratch_store_dwordx4 off, v[146:149], off offset:768
	ds_read2_b64 v[146:149], v11 offset0:98 offset1:99
	s_waitcnt lgkmcnt(0)
	v_mul_f64 v[8:9], v[148:149], v[2:3]
	v_mul_f64 v[12:13], v[146:147], v[2:3]
	v_fma_f64 v[8:9], v[146:147], v[0:1], -v[8:9]
	v_fmac_f64_e32 v[12:13], v[148:149], v[0:1]
	scratch_load_dwordx4 v[146:149], off, off offset:784
	s_waitcnt vmcnt(0)
	v_add_f64 v[146:147], v[146:147], -v[8:9]
	v_add_f64 v[148:149], v[148:149], -v[12:13]
	scratch_store_dwordx4 off, v[146:149], off offset:784
	ds_read2_b64 v[146:149], v11 offset0:100 offset1:101
	s_waitcnt lgkmcnt(0)
	;; [unrolled: 11-line block ×5, first 2 shown]
	v_mul_f64 v[8:9], v[148:149], v[2:3]
	v_mul_f64 v[12:13], v[146:147], v[2:3]
	v_fma_f64 v[8:9], v[146:147], v[0:1], -v[8:9]
	v_fmac_f64_e32 v[12:13], v[148:149], v[0:1]
	scratch_load_dwordx4 v[0:3], off, off offset:848
	s_waitcnt vmcnt(0)
	v_add_f64 v[0:1], v[0:1], -v[8:9]
	v_add_f64 v[2:3], v[2:3], -v[12:13]
	scratch_store_dwordx4 off, v[0:3], off offset:848
	ds_read2_b64 v[0:3], v11 offset0:108 offset1:109
	scratch_load_dwordx2 v[8:9], off, off offset:560
	scratch_load_dwordx2 v[12:13], off, off offset:568
	ds_read2_b64 v[146:149], v11 offset0:120 offset1:121
	s_waitcnt vmcnt(0) lgkmcnt(1)
	v_mul_f64 v[14:15], v[2:3], v[12:13]
	v_mul_f64 v[34:35], v[0:1], v[12:13]
	v_fma_f64 v[14:15], v[0:1], v[8:9], -v[14:15]
	v_fmac_f64_e32 v[34:35], v[2:3], v[8:9]
	scratch_load_dwordx4 v[0:3], off, off offset:864
	s_waitcnt vmcnt(0)
	v_add_f64 v[0:1], v[0:1], -v[14:15]
	v_add_f64 v[2:3], v[2:3], -v[34:35]
	scratch_store_dwordx4 off, v[0:3], off offset:864
	ds_read2_b64 v[0:3], v11 offset0:110 offset1:111
	s_waitcnt lgkmcnt(0)
	v_mul_f64 v[14:15], v[2:3], v[12:13]
	v_mul_f64 v[34:35], v[0:1], v[12:13]
	v_fma_f64 v[14:15], v[0:1], v[8:9], -v[14:15]
	v_fmac_f64_e32 v[34:35], v[2:3], v[8:9]
	scratch_load_dwordx4 v[0:3], off, off offset:880
	s_waitcnt vmcnt(0)
	v_add_f64 v[0:1], v[0:1], -v[14:15]
	v_add_f64 v[2:3], v[2:3], -v[34:35]
	scratch_store_dwordx4 off, v[0:3], off offset:880
	ds_read2_b64 v[0:3], v11 offset0:112 offset1:113
	s_waitcnt lgkmcnt(0)
	;; [unrolled: 11-line block ×5, first 2 shown]
	v_mul_f64 v[14:15], v[2:3], v[12:13]
	v_mul_f64 v[12:13], v[0:1], v[12:13]
	v_fma_f64 v[14:15], v[0:1], v[8:9], -v[14:15]
	v_fmac_f64_e32 v[12:13], v[2:3], v[8:9]
	scratch_load_dwordx4 v[0:3], off, off offset:944
	s_waitcnt vmcnt(0)
	v_add_f64 v[0:1], v[0:1], -v[14:15]
	v_add_f64 v[2:3], v[2:3], -v[12:13]
	scratch_store_dwordx4 off, v[0:3], off offset:944
	scratch_load_dwordx2 v[0:1], off, off offset:568
	s_waitcnt vmcnt(0)
	v_mul_f64 v[8:9], v[146:147], v[0:1]
	v_mul_f64 v[2:3], v[148:149], v[0:1]
	v_fma_f64 v[2:3], v[146:147], v[144:145], -v[2:3]
	v_fmac_f64_e32 v[8:9], v[148:149], v[144:145]
	scratch_load_dwordx4 v[146:149], off, off offset:960
	s_waitcnt vmcnt(0)
	v_add_f64 v[146:147], v[146:147], -v[2:3]
	v_add_f64 v[148:149], v[148:149], -v[8:9]
	scratch_store_dwordx4 off, v[146:149], off offset:960
	ds_read2_b64 v[146:149], v11 offset0:122 offset1:123
	s_waitcnt lgkmcnt(0)
	v_mul_f64 v[2:3], v[148:149], v[0:1]
	v_mul_f64 v[34:35], v[146:147], v[0:1]
	v_fma_f64 v[2:3], v[146:147], v[144:145], -v[2:3]
	v_fmac_f64_e32 v[34:35], v[148:149], v[144:145]
	scratch_load_dwordx4 v[146:149], off, off offset:976
	s_waitcnt vmcnt(0)
	v_add_f64 v[146:147], v[146:147], -v[2:3]
	v_add_f64 v[148:149], v[148:149], -v[34:35]
	scratch_store_dwordx4 off, v[146:149], off offset:976
	ds_read2_b64 v[146:149], v11 offset0:124 offset1:125
	s_waitcnt lgkmcnt(0)
	;; [unrolled: 11-line block ×3, first 2 shown]
	v_mul_f64 v[2:3], v[148:149], v[0:1]
	v_mul_f64 v[0:1], v[146:147], v[0:1]
	v_fma_f64 v[2:3], v[146:147], v[144:145], -v[2:3]
	v_fmac_f64_e32 v[0:1], v[148:149], v[144:145]
	scratch_load_dwordx4 v[144:147], off, off offset:1008
	s_waitcnt vmcnt(0)
	v_add_f64 v[144:145], v[144:145], -v[2:3]
	v_add_f64 v[146:147], v[146:147], -v[0:1]
	scratch_store_dwordx4 off, v[144:147], off offset:1008
.LBB127_438:
	s_or_b64 exec, exec, s[2:3]
	v_cmp_eq_u32_e32 vcc, 36, v254
	s_waitcnt lgkmcnt(0)
	s_barrier
	s_and_saveexec_b64 s[4:5], vcc
	s_cbranch_execz .LBB127_445
; %bb.439:
	scratch_load_dwordx4 v[0:3], off, s39
	s_waitcnt vmcnt(0)
	ds_write2_b64 v10, v[0:1], v[2:3] offset1:1
	scratch_load_dwordx4 v[0:3], off, s36
	s_waitcnt vmcnt(0)
	ds_write2_b64 v11, v[0:1], v[2:3] offset0:74 offset1:75
	scratch_load_dwordx4 v[0:3], off, s37
	s_waitcnt vmcnt(0)
	ds_write2_b64 v11, v[0:1], v[2:3] offset0:76 offset1:77
	;; [unrolled: 3-line block ×27, first 2 shown]
	ds_read2_b64 v[0:3], v10 offset1:1
	s_waitcnt lgkmcnt(0)
	v_cmp_neq_f64_e32 vcc, 0, v[0:1]
	v_cmp_neq_f64_e64 s[2:3], 0, v[2:3]
	s_or_b64 s[2:3], vcc, s[2:3]
	s_and_b64 exec, exec, s[2:3]
	s_cbranch_execz .LBB127_445
; %bb.440:
	v_cmp_ngt_f64_e64 s[2:3], |v[0:1]|, |v[2:3]|
                                        ; implicit-def: $vgpr34_vgpr35
	s_and_saveexec_b64 s[10:11], s[2:3]
	s_xor_b64 s[2:3], exec, s[10:11]
                                        ; implicit-def: $vgpr8_vgpr9
	s_cbranch_execz .LBB127_442
; %bb.441:
	v_div_scale_f64 v[8:9], s[10:11], v[2:3], v[2:3], v[0:1]
	v_rcp_f64_e32 v[12:13], v[8:9]
	v_div_scale_f64 v[14:15], vcc, v[0:1], v[2:3], v[0:1]
	v_fma_f64 v[34:35], -v[8:9], v[12:13], 1.0
	v_fmac_f64_e32 v[12:13], v[12:13], v[34:35]
	v_fma_f64 v[34:35], -v[8:9], v[12:13], 1.0
	v_fmac_f64_e32 v[12:13], v[12:13], v[34:35]
	v_mul_f64 v[34:35], v[14:15], v[12:13]
	v_fma_f64 v[8:9], -v[8:9], v[34:35], v[14:15]
	v_div_fmas_f64 v[8:9], v[8:9], v[12:13], v[34:35]
	v_div_fixup_f64 v[12:13], v[8:9], v[2:3], v[0:1]
	v_fmac_f64_e32 v[2:3], v[0:1], v[12:13]
	v_div_scale_f64 v[0:1], s[10:11], v[2:3], v[2:3], 1.0
	v_rcp_f64_e32 v[8:9], v[0:1]
	s_nop 0
	v_fma_f64 v[14:15], -v[0:1], v[8:9], 1.0
	v_fmac_f64_e32 v[8:9], v[8:9], v[14:15]
	v_fma_f64 v[14:15], -v[0:1], v[8:9], 1.0
	v_fmac_f64_e32 v[8:9], v[8:9], v[14:15]
	v_div_scale_f64 v[14:15], vcc, 1.0, v[2:3], 1.0
	v_mul_f64 v[34:35], v[14:15], v[8:9]
	v_fma_f64 v[0:1], -v[0:1], v[34:35], v[14:15]
	s_nop 1
	v_div_fmas_f64 v[0:1], v[0:1], v[8:9], v[34:35]
	v_div_fixup_f64 v[8:9], v[0:1], v[2:3], 1.0
	v_mul_f64 v[34:35], v[12:13], v[8:9]
	v_xor_b32_e32 v9, 0x80000000, v9
                                        ; implicit-def: $vgpr0_vgpr1
.LBB127_442:
	s_andn2_saveexec_b64 s[2:3], s[2:3]
	s_cbranch_execz .LBB127_444
; %bb.443:
	v_div_scale_f64 v[8:9], s[10:11], v[0:1], v[0:1], v[2:3]
	v_rcp_f64_e32 v[12:13], v[8:9]
	v_div_scale_f64 v[14:15], vcc, v[2:3], v[0:1], v[2:3]
	v_fma_f64 v[34:35], -v[8:9], v[12:13], 1.0
	v_fmac_f64_e32 v[12:13], v[12:13], v[34:35]
	v_fma_f64 v[34:35], -v[8:9], v[12:13], 1.0
	v_fmac_f64_e32 v[12:13], v[12:13], v[34:35]
	v_mul_f64 v[34:35], v[14:15], v[12:13]
	v_fma_f64 v[8:9], -v[8:9], v[34:35], v[14:15]
	v_div_fmas_f64 v[8:9], v[8:9], v[12:13], v[34:35]
	v_div_fixup_f64 v[8:9], v[8:9], v[0:1], v[2:3]
	v_fmac_f64_e32 v[0:1], v[2:3], v[8:9]
	v_div_scale_f64 v[2:3], s[10:11], v[0:1], v[0:1], 1.0
	v_rcp_f64_e32 v[12:13], v[2:3]
	s_nop 0
	v_fma_f64 v[14:15], -v[2:3], v[12:13], 1.0
	v_fmac_f64_e32 v[12:13], v[12:13], v[14:15]
	v_fma_f64 v[14:15], -v[2:3], v[12:13], 1.0
	v_fmac_f64_e32 v[12:13], v[12:13], v[14:15]
	v_div_scale_f64 v[14:15], vcc, 1.0, v[0:1], 1.0
	v_mul_f64 v[34:35], v[14:15], v[12:13]
	v_fma_f64 v[2:3], -v[2:3], v[34:35], v[14:15]
	s_nop 1
	v_div_fmas_f64 v[2:3], v[2:3], v[12:13], v[34:35]
	v_div_fixup_f64 v[34:35], v[2:3], v[0:1], 1.0
	v_mul_f64 v[8:9], v[8:9], -v[34:35]
.LBB127_444:
	s_or_b64 exec, exec, s[2:3]
	ds_write2_b64 v10, v[34:35], v[8:9] offset1:1
.LBB127_445:
	s_or_b64 exec, exec, s[4:5]
	s_waitcnt lgkmcnt(0)
	s_barrier
	ds_read2_b64 v[144:147], v10 offset1:1
	v_cmp_lt_u32_e32 vcc, 36, v254
	s_and_saveexec_b64 s[2:3], vcc
	s_cbranch_execz .LBB127_447
; %bb.446:
	scratch_load_dwordx4 v[0:3], off, off offset:576
	ds_read2_b64 v[152:155], v11 offset0:86 offset1:87
	s_waitcnt vmcnt(0) lgkmcnt(1)
	v_mul_f64 v[8:9], v[146:147], v[2:3]
	v_mul_f64 v[150:151], v[144:145], v[2:3]
	v_fma_f64 v[148:149], v[144:145], v[0:1], -v[8:9]
	v_fmac_f64_e32 v[150:151], v[146:147], v[0:1]
	ds_read2_b64 v[0:3], v11 offset0:74 offset1:75
	scratch_store_dwordx4 off, v[148:151], off offset:576
	s_waitcnt lgkmcnt(0)
	v_mul_f64 v[8:9], v[2:3], v[150:151]
	v_mul_f64 v[12:13], v[0:1], v[150:151]
	v_fma_f64 v[8:9], v[0:1], v[148:149], -v[8:9]
	v_fmac_f64_e32 v[12:13], v[2:3], v[148:149]
	scratch_load_dwordx4 v[0:3], off, off offset:592
	s_waitcnt vmcnt(0)
	v_add_f64 v[0:1], v[0:1], -v[8:9]
	v_add_f64 v[2:3], v[2:3], -v[12:13]
	scratch_store_dwordx4 off, v[0:3], off offset:592
	ds_read2_b64 v[0:3], v11 offset0:76 offset1:77
	s_waitcnt lgkmcnt(0)
	v_mul_f64 v[8:9], v[2:3], v[150:151]
	v_mul_f64 v[12:13], v[0:1], v[150:151]
	v_fma_f64 v[8:9], v[0:1], v[148:149], -v[8:9]
	v_fmac_f64_e32 v[12:13], v[2:3], v[148:149]
	scratch_load_dwordx4 v[0:3], off, off offset:608
	s_waitcnt vmcnt(0)
	v_add_f64 v[0:1], v[0:1], -v[8:9]
	v_add_f64 v[2:3], v[2:3], -v[12:13]
	scratch_store_dwordx4 off, v[0:3], off offset:608
	ds_read2_b64 v[0:3], v11 offset0:78 offset1:79
	;; [unrolled: 11-line block ×5, first 2 shown]
	s_waitcnt lgkmcnt(0)
	v_mul_f64 v[8:9], v[2:3], v[150:151]
	v_mul_f64 v[12:13], v[0:1], v[150:151]
	v_fma_f64 v[8:9], v[0:1], v[148:149], -v[8:9]
	v_fmac_f64_e32 v[12:13], v[2:3], v[148:149]
	scratch_load_dwordx4 v[0:3], off, off offset:672
	s_waitcnt vmcnt(0)
	v_add_f64 v[0:1], v[0:1], -v[8:9]
	v_add_f64 v[2:3], v[2:3], -v[12:13]
	scratch_store_dwordx4 off, v[0:3], off offset:672
	scratch_load_dwordx2 v[0:1], off, off offset:576
	s_nop 0
	scratch_load_dwordx4 v[148:151], off, off offset:576
	s_waitcnt vmcnt(0)
	v_mul_f64 v[2:3], v[154:155], v[150:151]
	v_mul_f64 v[8:9], v[152:153], v[150:151]
	v_fma_f64 v[2:3], v[152:153], v[0:1], -v[2:3]
	v_fmac_f64_e32 v[8:9], v[154:155], v[0:1]
	scratch_load_dwordx4 v[152:155], off, off offset:688
	s_waitcnt vmcnt(0)
	v_add_f64 v[152:153], v[152:153], -v[2:3]
	v_add_f64 v[154:155], v[154:155], -v[8:9]
	scratch_store_dwordx4 off, v[152:155], off offset:688
	ds_read2_b64 v[152:155], v11 offset0:88 offset1:89
	s_waitcnt lgkmcnt(0)
	v_mul_f64 v[2:3], v[154:155], v[150:151]
	v_mul_f64 v[8:9], v[152:153], v[150:151]
	v_fma_f64 v[2:3], v[152:153], v[0:1], -v[2:3]
	v_fmac_f64_e32 v[8:9], v[154:155], v[0:1]
	scratch_load_dwordx4 v[152:155], off, off offset:704
	s_waitcnt vmcnt(0)
	v_add_f64 v[152:153], v[152:153], -v[2:3]
	v_add_f64 v[154:155], v[154:155], -v[8:9]
	scratch_store_dwordx4 off, v[152:155], off offset:704
	ds_read2_b64 v[152:155], v11 offset0:90 offset1:91
	s_waitcnt lgkmcnt(0)
	;; [unrolled: 11-line block ×5, first 2 shown]
	v_mul_f64 v[2:3], v[154:155], v[150:151]
	v_mul_f64 v[12:13], v[152:153], v[150:151]
	v_fma_f64 v[8:9], v[152:153], v[0:1], -v[2:3]
	v_fmac_f64_e32 v[12:13], v[154:155], v[0:1]
	scratch_load_dwordx4 v[0:3], off, off offset:768
	ds_read2_b64 v[150:153], v11 offset0:98 offset1:99
	s_waitcnt vmcnt(0)
	v_add_f64 v[0:1], v[0:1], -v[8:9]
	v_add_f64 v[2:3], v[2:3], -v[12:13]
	scratch_store_dwordx4 off, v[0:3], off offset:768
	scratch_load_dwordx2 v[0:1], off, off offset:576
	s_nop 0
	scratch_load_dwordx2 v[2:3], off, off offset:584
	s_waitcnt vmcnt(0) lgkmcnt(0)
	v_mul_f64 v[8:9], v[152:153], v[2:3]
	v_mul_f64 v[12:13], v[150:151], v[2:3]
	v_fma_f64 v[8:9], v[150:151], v[0:1], -v[8:9]
	v_fmac_f64_e32 v[12:13], v[152:153], v[0:1]
	scratch_load_dwordx4 v[150:153], off, off offset:784
	s_waitcnt vmcnt(0)
	v_add_f64 v[150:151], v[150:151], -v[8:9]
	v_add_f64 v[152:153], v[152:153], -v[12:13]
	scratch_store_dwordx4 off, v[150:153], off offset:784
	ds_read2_b64 v[150:153], v11 offset0:100 offset1:101
	s_waitcnt lgkmcnt(0)
	v_mul_f64 v[8:9], v[152:153], v[2:3]
	v_mul_f64 v[12:13], v[150:151], v[2:3]
	v_fma_f64 v[8:9], v[150:151], v[0:1], -v[8:9]
	v_fmac_f64_e32 v[12:13], v[152:153], v[0:1]
	scratch_load_dwordx4 v[150:153], off, off offset:800
	s_waitcnt vmcnt(0)
	v_add_f64 v[150:151], v[150:151], -v[8:9]
	v_add_f64 v[152:153], v[152:153], -v[12:13]
	scratch_store_dwordx4 off, v[150:153], off offset:800
	ds_read2_b64 v[150:153], v11 offset0:102 offset1:103
	s_waitcnt lgkmcnt(0)
	;; [unrolled: 11-line block ×5, first 2 shown]
	v_mul_f64 v[8:9], v[152:153], v[2:3]
	v_mul_f64 v[12:13], v[150:151], v[2:3]
	v_fma_f64 v[8:9], v[150:151], v[0:1], -v[8:9]
	v_fmac_f64_e32 v[12:13], v[152:153], v[0:1]
	scratch_load_dwordx4 v[0:3], off, off offset:864
	s_waitcnt vmcnt(0)
	v_add_f64 v[0:1], v[0:1], -v[8:9]
	v_add_f64 v[2:3], v[2:3], -v[12:13]
	scratch_store_dwordx4 off, v[0:3], off offset:864
	ds_read2_b64 v[0:3], v11 offset0:110 offset1:111
	scratch_load_dwordx2 v[8:9], off, off offset:576
	scratch_load_dwordx2 v[12:13], off, off offset:584
	ds_read2_b64 v[150:153], v11 offset0:126 offset1:127
	s_waitcnt vmcnt(0) lgkmcnt(1)
	v_mul_f64 v[14:15], v[2:3], v[12:13]
	v_mul_f64 v[34:35], v[0:1], v[12:13]
	v_fma_f64 v[14:15], v[0:1], v[8:9], -v[14:15]
	v_fmac_f64_e32 v[34:35], v[2:3], v[8:9]
	scratch_load_dwordx4 v[0:3], off, off offset:880
	s_waitcnt vmcnt(0)
	v_add_f64 v[0:1], v[0:1], -v[14:15]
	v_add_f64 v[2:3], v[2:3], -v[34:35]
	scratch_store_dwordx4 off, v[0:3], off offset:880
	ds_read2_b64 v[0:3], v11 offset0:112 offset1:113
	s_waitcnt lgkmcnt(0)
	v_mul_f64 v[14:15], v[2:3], v[12:13]
	v_mul_f64 v[34:35], v[0:1], v[12:13]
	v_fma_f64 v[14:15], v[0:1], v[8:9], -v[14:15]
	v_fmac_f64_e32 v[34:35], v[2:3], v[8:9]
	scratch_load_dwordx4 v[0:3], off, off offset:896
	s_waitcnt vmcnt(0)
	v_add_f64 v[0:1], v[0:1], -v[14:15]
	v_add_f64 v[2:3], v[2:3], -v[34:35]
	scratch_store_dwordx4 off, v[0:3], off offset:896
	ds_read2_b64 v[0:3], v11 offset0:114 offset1:115
	s_waitcnt lgkmcnt(0)
	;; [unrolled: 11-line block ×5, first 2 shown]
	v_mul_f64 v[14:15], v[2:3], v[12:13]
	v_mul_f64 v[12:13], v[0:1], v[12:13]
	v_fma_f64 v[14:15], v[0:1], v[8:9], -v[14:15]
	v_fmac_f64_e32 v[12:13], v[2:3], v[8:9]
	scratch_load_dwordx4 v[0:3], off, off offset:960
	scratch_load_dwordx2 v[8:9], off, off offset:584
	s_waitcnt vmcnt(1)
	v_add_f64 v[0:1], v[0:1], -v[14:15]
	v_add_f64 v[2:3], v[2:3], -v[12:13]
	scratch_store_dwordx4 off, v[0:3], off offset:960
	ds_read2_b64 v[0:3], v11 offset0:122 offset1:123
	s_waitcnt vmcnt(1) lgkmcnt(0)
	v_mul_f64 v[12:13], v[2:3], v[8:9]
	v_mul_f64 v[14:15], v[0:1], v[8:9]
	v_fma_f64 v[12:13], v[0:1], v[148:149], -v[12:13]
	v_fmac_f64_e32 v[14:15], v[2:3], v[148:149]
	scratch_load_dwordx4 v[0:3], off, off offset:976
	s_waitcnt vmcnt(0)
	v_add_f64 v[0:1], v[0:1], -v[12:13]
	v_add_f64 v[2:3], v[2:3], -v[14:15]
	scratch_store_dwordx4 off, v[0:3], off offset:976
	ds_read2_b64 v[0:3], v11 offset0:124 offset1:125
	s_waitcnt lgkmcnt(0)
	v_mul_f64 v[12:13], v[2:3], v[8:9]
	v_mul_f64 v[14:15], v[0:1], v[8:9]
	v_fma_f64 v[12:13], v[0:1], v[148:149], -v[12:13]
	v_fmac_f64_e32 v[14:15], v[2:3], v[148:149]
	scratch_load_dwordx4 v[0:3], off, off offset:992
	s_waitcnt vmcnt(0)
	v_add_f64 v[0:1], v[0:1], -v[12:13]
	v_add_f64 v[2:3], v[2:3], -v[14:15]
	scratch_store_dwordx4 off, v[0:3], off offset:992
	s_nop 1
	v_mul_f64 v[0:1], v[152:153], v[8:9]
	v_mul_f64 v[2:3], v[150:151], v[8:9]
	v_fma_f64 v[0:1], v[150:151], v[148:149], -v[0:1]
	v_fmac_f64_e32 v[2:3], v[152:153], v[148:149]
	scratch_load_dwordx4 v[148:151], off, off offset:1008
	s_waitcnt vmcnt(0)
	v_add_f64 v[0:1], v[148:149], -v[0:1]
	v_add_f64 v[2:3], v[150:151], -v[2:3]
	scratch_store_dwordx4 off, v[0:3], off offset:1008
.LBB127_447:
	s_or_b64 exec, exec, s[2:3]
	v_cmp_eq_u32_e32 vcc, 37, v254
	s_waitcnt lgkmcnt(0)
	s_barrier
	s_and_saveexec_b64 s[4:5], vcc
	s_cbranch_execz .LBB127_454
; %bb.448:
	scratch_load_dwordx4 v[0:3], off, s36
	s_waitcnt vmcnt(0)
	ds_write2_b64 v10, v[0:1], v[2:3] offset1:1
	scratch_load_dwordx4 v[0:3], off, s37
	s_waitcnt vmcnt(0)
	ds_write2_b64 v11, v[0:1], v[2:3] offset0:76 offset1:77
	scratch_load_dwordx4 v[0:3], off, s34
	s_waitcnt vmcnt(0)
	ds_write2_b64 v11, v[0:1], v[2:3] offset0:78 offset1:79
	;; [unrolled: 3-line block ×26, first 2 shown]
	ds_read2_b64 v[0:3], v10 offset1:1
	s_waitcnt lgkmcnt(0)
	v_cmp_neq_f64_e32 vcc, 0, v[0:1]
	v_cmp_neq_f64_e64 s[2:3], 0, v[2:3]
	s_or_b64 s[2:3], vcc, s[2:3]
	s_and_b64 exec, exec, s[2:3]
	s_cbranch_execz .LBB127_454
; %bb.449:
	v_cmp_ngt_f64_e64 s[2:3], |v[0:1]|, |v[2:3]|
                                        ; implicit-def: $vgpr34_vgpr35
	s_and_saveexec_b64 s[10:11], s[2:3]
	s_xor_b64 s[2:3], exec, s[10:11]
                                        ; implicit-def: $vgpr8_vgpr9
	s_cbranch_execz .LBB127_451
; %bb.450:
	v_div_scale_f64 v[8:9], s[10:11], v[2:3], v[2:3], v[0:1]
	v_rcp_f64_e32 v[12:13], v[8:9]
	v_div_scale_f64 v[14:15], vcc, v[0:1], v[2:3], v[0:1]
	v_fma_f64 v[34:35], -v[8:9], v[12:13], 1.0
	v_fmac_f64_e32 v[12:13], v[12:13], v[34:35]
	v_fma_f64 v[34:35], -v[8:9], v[12:13], 1.0
	v_fmac_f64_e32 v[12:13], v[12:13], v[34:35]
	v_mul_f64 v[34:35], v[14:15], v[12:13]
	v_fma_f64 v[8:9], -v[8:9], v[34:35], v[14:15]
	v_div_fmas_f64 v[8:9], v[8:9], v[12:13], v[34:35]
	v_div_fixup_f64 v[12:13], v[8:9], v[2:3], v[0:1]
	v_fmac_f64_e32 v[2:3], v[0:1], v[12:13]
	v_div_scale_f64 v[0:1], s[10:11], v[2:3], v[2:3], 1.0
	v_rcp_f64_e32 v[8:9], v[0:1]
	s_nop 0
	v_fma_f64 v[14:15], -v[0:1], v[8:9], 1.0
	v_fmac_f64_e32 v[8:9], v[8:9], v[14:15]
	v_fma_f64 v[14:15], -v[0:1], v[8:9], 1.0
	v_fmac_f64_e32 v[8:9], v[8:9], v[14:15]
	v_div_scale_f64 v[14:15], vcc, 1.0, v[2:3], 1.0
	v_mul_f64 v[34:35], v[14:15], v[8:9]
	v_fma_f64 v[0:1], -v[0:1], v[34:35], v[14:15]
	s_nop 1
	v_div_fmas_f64 v[0:1], v[0:1], v[8:9], v[34:35]
	v_div_fixup_f64 v[8:9], v[0:1], v[2:3], 1.0
	v_mul_f64 v[34:35], v[12:13], v[8:9]
	v_xor_b32_e32 v9, 0x80000000, v9
                                        ; implicit-def: $vgpr0_vgpr1
.LBB127_451:
	s_andn2_saveexec_b64 s[2:3], s[2:3]
	s_cbranch_execz .LBB127_453
; %bb.452:
	v_div_scale_f64 v[8:9], s[10:11], v[0:1], v[0:1], v[2:3]
	v_rcp_f64_e32 v[12:13], v[8:9]
	v_div_scale_f64 v[14:15], vcc, v[2:3], v[0:1], v[2:3]
	v_fma_f64 v[34:35], -v[8:9], v[12:13], 1.0
	v_fmac_f64_e32 v[12:13], v[12:13], v[34:35]
	v_fma_f64 v[34:35], -v[8:9], v[12:13], 1.0
	v_fmac_f64_e32 v[12:13], v[12:13], v[34:35]
	v_mul_f64 v[34:35], v[14:15], v[12:13]
	v_fma_f64 v[8:9], -v[8:9], v[34:35], v[14:15]
	v_div_fmas_f64 v[8:9], v[8:9], v[12:13], v[34:35]
	v_div_fixup_f64 v[8:9], v[8:9], v[0:1], v[2:3]
	v_fmac_f64_e32 v[0:1], v[2:3], v[8:9]
	v_div_scale_f64 v[2:3], s[10:11], v[0:1], v[0:1], 1.0
	v_rcp_f64_e32 v[12:13], v[2:3]
	s_nop 0
	v_fma_f64 v[14:15], -v[2:3], v[12:13], 1.0
	v_fmac_f64_e32 v[12:13], v[12:13], v[14:15]
	v_fma_f64 v[14:15], -v[2:3], v[12:13], 1.0
	v_fmac_f64_e32 v[12:13], v[12:13], v[14:15]
	v_div_scale_f64 v[14:15], vcc, 1.0, v[0:1], 1.0
	v_mul_f64 v[34:35], v[14:15], v[12:13]
	v_fma_f64 v[2:3], -v[2:3], v[34:35], v[14:15]
	s_nop 1
	v_div_fmas_f64 v[2:3], v[2:3], v[12:13], v[34:35]
	v_div_fixup_f64 v[34:35], v[2:3], v[0:1], 1.0
	v_mul_f64 v[8:9], v[8:9], -v[34:35]
.LBB127_453:
	s_or_b64 exec, exec, s[2:3]
	ds_write2_b64 v10, v[34:35], v[8:9] offset1:1
.LBB127_454:
	s_or_b64 exec, exec, s[4:5]
	s_waitcnt lgkmcnt(0)
	s_barrier
	ds_read2_b64 v[148:151], v10 offset1:1
	v_cmp_lt_u32_e32 vcc, 37, v254
	s_and_saveexec_b64 s[2:3], vcc
	s_cbranch_execz .LBB127_456
; %bb.455:
	scratch_load_dwordx4 v[0:3], off, off offset:592
	ds_read2_b64 v[156:159], v11 offset0:88 offset1:89
	s_waitcnt vmcnt(0) lgkmcnt(1)
	v_mul_f64 v[8:9], v[150:151], v[2:3]
	v_mul_f64 v[154:155], v[148:149], v[2:3]
	v_fma_f64 v[152:153], v[148:149], v[0:1], -v[8:9]
	v_fmac_f64_e32 v[154:155], v[150:151], v[0:1]
	ds_read2_b64 v[0:3], v11 offset0:76 offset1:77
	scratch_store_dwordx4 off, v[152:155], off offset:592
	s_waitcnt lgkmcnt(0)
	v_mul_f64 v[8:9], v[2:3], v[154:155]
	v_mul_f64 v[12:13], v[0:1], v[154:155]
	v_fma_f64 v[8:9], v[0:1], v[152:153], -v[8:9]
	v_fmac_f64_e32 v[12:13], v[2:3], v[152:153]
	scratch_load_dwordx4 v[0:3], off, off offset:608
	s_waitcnt vmcnt(0)
	v_add_f64 v[0:1], v[0:1], -v[8:9]
	v_add_f64 v[2:3], v[2:3], -v[12:13]
	scratch_store_dwordx4 off, v[0:3], off offset:608
	ds_read2_b64 v[0:3], v11 offset0:78 offset1:79
	s_waitcnt lgkmcnt(0)
	v_mul_f64 v[8:9], v[2:3], v[154:155]
	v_mul_f64 v[12:13], v[0:1], v[154:155]
	v_fma_f64 v[8:9], v[0:1], v[152:153], -v[8:9]
	v_fmac_f64_e32 v[12:13], v[2:3], v[152:153]
	scratch_load_dwordx4 v[0:3], off, off offset:624
	s_waitcnt vmcnt(0)
	v_add_f64 v[0:1], v[0:1], -v[8:9]
	v_add_f64 v[2:3], v[2:3], -v[12:13]
	scratch_store_dwordx4 off, v[0:3], off offset:624
	ds_read2_b64 v[0:3], v11 offset0:80 offset1:81
	;; [unrolled: 11-line block ×5, first 2 shown]
	s_waitcnt lgkmcnt(0)
	v_mul_f64 v[8:9], v[2:3], v[154:155]
	v_mul_f64 v[12:13], v[0:1], v[154:155]
	v_fma_f64 v[8:9], v[0:1], v[152:153], -v[8:9]
	v_fmac_f64_e32 v[12:13], v[2:3], v[152:153]
	scratch_load_dwordx4 v[0:3], off, off offset:688
	s_waitcnt vmcnt(0)
	v_add_f64 v[0:1], v[0:1], -v[8:9]
	v_add_f64 v[2:3], v[2:3], -v[12:13]
	scratch_store_dwordx4 off, v[0:3], off offset:688
	scratch_load_dwordx2 v[0:1], off, off offset:592
	s_nop 0
	scratch_load_dwordx4 v[152:155], off, off offset:592
	s_waitcnt vmcnt(0)
	v_mul_f64 v[2:3], v[158:159], v[154:155]
	v_mul_f64 v[8:9], v[156:157], v[154:155]
	v_fma_f64 v[2:3], v[156:157], v[0:1], -v[2:3]
	v_fmac_f64_e32 v[8:9], v[158:159], v[0:1]
	scratch_load_dwordx4 v[156:159], off, off offset:704
	s_waitcnt vmcnt(0)
	v_add_f64 v[156:157], v[156:157], -v[2:3]
	v_add_f64 v[158:159], v[158:159], -v[8:9]
	scratch_store_dwordx4 off, v[156:159], off offset:704
	ds_read2_b64 v[156:159], v11 offset0:90 offset1:91
	s_waitcnt lgkmcnt(0)
	v_mul_f64 v[2:3], v[158:159], v[154:155]
	v_mul_f64 v[8:9], v[156:157], v[154:155]
	v_fma_f64 v[2:3], v[156:157], v[0:1], -v[2:3]
	v_fmac_f64_e32 v[8:9], v[158:159], v[0:1]
	scratch_load_dwordx4 v[156:159], off, off offset:720
	s_waitcnt vmcnt(0)
	v_add_f64 v[156:157], v[156:157], -v[2:3]
	v_add_f64 v[158:159], v[158:159], -v[8:9]
	scratch_store_dwordx4 off, v[156:159], off offset:720
	ds_read2_b64 v[156:159], v11 offset0:92 offset1:93
	s_waitcnt lgkmcnt(0)
	;; [unrolled: 11-line block ×5, first 2 shown]
	v_mul_f64 v[2:3], v[158:159], v[154:155]
	v_mul_f64 v[12:13], v[156:157], v[154:155]
	v_fma_f64 v[8:9], v[156:157], v[0:1], -v[2:3]
	v_fmac_f64_e32 v[12:13], v[158:159], v[0:1]
	scratch_load_dwordx4 v[0:3], off, off offset:784
	ds_read2_b64 v[154:157], v11 offset0:100 offset1:101
	s_waitcnt vmcnt(0)
	v_add_f64 v[0:1], v[0:1], -v[8:9]
	v_add_f64 v[2:3], v[2:3], -v[12:13]
	scratch_store_dwordx4 off, v[0:3], off offset:784
	scratch_load_dwordx2 v[0:1], off, off offset:592
	s_nop 0
	scratch_load_dwordx2 v[2:3], off, off offset:600
	s_waitcnt vmcnt(0) lgkmcnt(0)
	v_mul_f64 v[8:9], v[156:157], v[2:3]
	v_mul_f64 v[12:13], v[154:155], v[2:3]
	v_fma_f64 v[8:9], v[154:155], v[0:1], -v[8:9]
	v_fmac_f64_e32 v[12:13], v[156:157], v[0:1]
	scratch_load_dwordx4 v[154:157], off, off offset:800
	s_waitcnt vmcnt(0)
	v_add_f64 v[154:155], v[154:155], -v[8:9]
	v_add_f64 v[156:157], v[156:157], -v[12:13]
	scratch_store_dwordx4 off, v[154:157], off offset:800
	ds_read2_b64 v[154:157], v11 offset0:102 offset1:103
	s_waitcnt lgkmcnt(0)
	v_mul_f64 v[8:9], v[156:157], v[2:3]
	v_mul_f64 v[12:13], v[154:155], v[2:3]
	v_fma_f64 v[8:9], v[154:155], v[0:1], -v[8:9]
	v_fmac_f64_e32 v[12:13], v[156:157], v[0:1]
	scratch_load_dwordx4 v[154:157], off, off offset:816
	s_waitcnt vmcnt(0)
	v_add_f64 v[154:155], v[154:155], -v[8:9]
	v_add_f64 v[156:157], v[156:157], -v[12:13]
	scratch_store_dwordx4 off, v[154:157], off offset:816
	ds_read2_b64 v[154:157], v11 offset0:104 offset1:105
	s_waitcnt lgkmcnt(0)
	;; [unrolled: 11-line block ×5, first 2 shown]
	v_mul_f64 v[8:9], v[156:157], v[2:3]
	v_mul_f64 v[12:13], v[154:155], v[2:3]
	v_fma_f64 v[8:9], v[154:155], v[0:1], -v[8:9]
	v_fmac_f64_e32 v[12:13], v[156:157], v[0:1]
	scratch_load_dwordx4 v[0:3], off, off offset:880
	s_waitcnt vmcnt(0)
	v_add_f64 v[0:1], v[0:1], -v[8:9]
	v_add_f64 v[2:3], v[2:3], -v[12:13]
	scratch_store_dwordx4 off, v[0:3], off offset:880
	ds_read2_b64 v[0:3], v11 offset0:112 offset1:113
	scratch_load_dwordx2 v[8:9], off, off offset:592
	scratch_load_dwordx2 v[12:13], off, off offset:600
	ds_read2_b64 v[154:157], v11 offset0:126 offset1:127
	s_waitcnt vmcnt(0) lgkmcnt(1)
	v_mul_f64 v[14:15], v[2:3], v[12:13]
	v_mul_f64 v[34:35], v[0:1], v[12:13]
	v_fma_f64 v[14:15], v[0:1], v[8:9], -v[14:15]
	v_fmac_f64_e32 v[34:35], v[2:3], v[8:9]
	scratch_load_dwordx4 v[0:3], off, off offset:896
	s_waitcnt vmcnt(0)
	v_add_f64 v[0:1], v[0:1], -v[14:15]
	v_add_f64 v[2:3], v[2:3], -v[34:35]
	scratch_store_dwordx4 off, v[0:3], off offset:896
	ds_read2_b64 v[0:3], v11 offset0:114 offset1:115
	s_waitcnt lgkmcnt(0)
	v_mul_f64 v[14:15], v[2:3], v[12:13]
	v_mul_f64 v[34:35], v[0:1], v[12:13]
	v_fma_f64 v[14:15], v[0:1], v[8:9], -v[14:15]
	v_fmac_f64_e32 v[34:35], v[2:3], v[8:9]
	scratch_load_dwordx4 v[0:3], off, off offset:912
	s_waitcnt vmcnt(0)
	v_add_f64 v[0:1], v[0:1], -v[14:15]
	v_add_f64 v[2:3], v[2:3], -v[34:35]
	scratch_store_dwordx4 off, v[0:3], off offset:912
	ds_read2_b64 v[0:3], v11 offset0:116 offset1:117
	s_waitcnt lgkmcnt(0)
	;; [unrolled: 11-line block ×5, first 2 shown]
	v_mul_f64 v[14:15], v[2:3], v[12:13]
	v_mul_f64 v[12:13], v[0:1], v[12:13]
	v_fma_f64 v[14:15], v[0:1], v[8:9], -v[14:15]
	v_fmac_f64_e32 v[12:13], v[2:3], v[8:9]
	scratch_load_dwordx4 v[0:3], off, off offset:976
	scratch_load_dwordx2 v[8:9], off, off offset:600
	s_waitcnt vmcnt(1)
	v_add_f64 v[0:1], v[0:1], -v[14:15]
	v_add_f64 v[2:3], v[2:3], -v[12:13]
	scratch_store_dwordx4 off, v[0:3], off offset:976
	ds_read2_b64 v[0:3], v11 offset0:124 offset1:125
	s_waitcnt vmcnt(1) lgkmcnt(0)
	v_mul_f64 v[12:13], v[2:3], v[8:9]
	v_mul_f64 v[14:15], v[0:1], v[8:9]
	v_fma_f64 v[12:13], v[0:1], v[152:153], -v[12:13]
	v_fmac_f64_e32 v[14:15], v[2:3], v[152:153]
	scratch_load_dwordx4 v[0:3], off, off offset:992
	s_waitcnt vmcnt(0)
	v_add_f64 v[0:1], v[0:1], -v[12:13]
	v_add_f64 v[2:3], v[2:3], -v[14:15]
	scratch_store_dwordx4 off, v[0:3], off offset:992
	s_nop 1
	v_mul_f64 v[0:1], v[156:157], v[8:9]
	v_mul_f64 v[2:3], v[154:155], v[8:9]
	v_fma_f64 v[0:1], v[154:155], v[152:153], -v[0:1]
	v_fmac_f64_e32 v[2:3], v[156:157], v[152:153]
	scratch_load_dwordx4 v[152:155], off, off offset:1008
	s_waitcnt vmcnt(0)
	v_add_f64 v[0:1], v[152:153], -v[0:1]
	v_add_f64 v[2:3], v[154:155], -v[2:3]
	scratch_store_dwordx4 off, v[0:3], off offset:1008
.LBB127_456:
	s_or_b64 exec, exec, s[2:3]
	v_cmp_eq_u32_e32 vcc, 38, v254
	s_waitcnt lgkmcnt(0)
	s_barrier
	s_and_saveexec_b64 s[4:5], vcc
	s_cbranch_execz .LBB127_463
; %bb.457:
	scratch_load_dwordx4 v[0:3], off, s37
	s_waitcnt vmcnt(0)
	ds_write2_b64 v10, v[0:1], v[2:3] offset1:1
	scratch_load_dwordx4 v[0:3], off, s34
	s_waitcnt vmcnt(0)
	ds_write2_b64 v11, v[0:1], v[2:3] offset0:78 offset1:79
	scratch_load_dwordx4 v[0:3], off, s35
	s_waitcnt vmcnt(0)
	ds_write2_b64 v11, v[0:1], v[2:3] offset0:80 offset1:81
	;; [unrolled: 3-line block ×25, first 2 shown]
	ds_read2_b64 v[0:3], v10 offset1:1
	s_waitcnt lgkmcnt(0)
	v_cmp_neq_f64_e32 vcc, 0, v[0:1]
	v_cmp_neq_f64_e64 s[2:3], 0, v[2:3]
	s_or_b64 s[2:3], vcc, s[2:3]
	s_and_b64 exec, exec, s[2:3]
	s_cbranch_execz .LBB127_463
; %bb.458:
	v_cmp_ngt_f64_e64 s[2:3], |v[0:1]|, |v[2:3]|
                                        ; implicit-def: $vgpr34_vgpr35
	s_and_saveexec_b64 s[10:11], s[2:3]
	s_xor_b64 s[2:3], exec, s[10:11]
                                        ; implicit-def: $vgpr8_vgpr9
	s_cbranch_execz .LBB127_460
; %bb.459:
	v_div_scale_f64 v[8:9], s[10:11], v[2:3], v[2:3], v[0:1]
	v_rcp_f64_e32 v[12:13], v[8:9]
	v_div_scale_f64 v[14:15], vcc, v[0:1], v[2:3], v[0:1]
	v_fma_f64 v[34:35], -v[8:9], v[12:13], 1.0
	v_fmac_f64_e32 v[12:13], v[12:13], v[34:35]
	v_fma_f64 v[34:35], -v[8:9], v[12:13], 1.0
	v_fmac_f64_e32 v[12:13], v[12:13], v[34:35]
	v_mul_f64 v[34:35], v[14:15], v[12:13]
	v_fma_f64 v[8:9], -v[8:9], v[34:35], v[14:15]
	v_div_fmas_f64 v[8:9], v[8:9], v[12:13], v[34:35]
	v_div_fixup_f64 v[12:13], v[8:9], v[2:3], v[0:1]
	v_fmac_f64_e32 v[2:3], v[0:1], v[12:13]
	v_div_scale_f64 v[0:1], s[10:11], v[2:3], v[2:3], 1.0
	v_rcp_f64_e32 v[8:9], v[0:1]
	s_nop 0
	v_fma_f64 v[14:15], -v[0:1], v[8:9], 1.0
	v_fmac_f64_e32 v[8:9], v[8:9], v[14:15]
	v_fma_f64 v[14:15], -v[0:1], v[8:9], 1.0
	v_fmac_f64_e32 v[8:9], v[8:9], v[14:15]
	v_div_scale_f64 v[14:15], vcc, 1.0, v[2:3], 1.0
	v_mul_f64 v[34:35], v[14:15], v[8:9]
	v_fma_f64 v[0:1], -v[0:1], v[34:35], v[14:15]
	s_nop 1
	v_div_fmas_f64 v[0:1], v[0:1], v[8:9], v[34:35]
	v_div_fixup_f64 v[8:9], v[0:1], v[2:3], 1.0
	v_mul_f64 v[34:35], v[12:13], v[8:9]
	v_xor_b32_e32 v9, 0x80000000, v9
                                        ; implicit-def: $vgpr0_vgpr1
.LBB127_460:
	s_andn2_saveexec_b64 s[2:3], s[2:3]
	s_cbranch_execz .LBB127_462
; %bb.461:
	v_div_scale_f64 v[8:9], s[10:11], v[0:1], v[0:1], v[2:3]
	v_rcp_f64_e32 v[12:13], v[8:9]
	v_div_scale_f64 v[14:15], vcc, v[2:3], v[0:1], v[2:3]
	v_fma_f64 v[34:35], -v[8:9], v[12:13], 1.0
	v_fmac_f64_e32 v[12:13], v[12:13], v[34:35]
	v_fma_f64 v[34:35], -v[8:9], v[12:13], 1.0
	v_fmac_f64_e32 v[12:13], v[12:13], v[34:35]
	v_mul_f64 v[34:35], v[14:15], v[12:13]
	v_fma_f64 v[8:9], -v[8:9], v[34:35], v[14:15]
	v_div_fmas_f64 v[8:9], v[8:9], v[12:13], v[34:35]
	v_div_fixup_f64 v[8:9], v[8:9], v[0:1], v[2:3]
	v_fmac_f64_e32 v[0:1], v[2:3], v[8:9]
	v_div_scale_f64 v[2:3], s[10:11], v[0:1], v[0:1], 1.0
	v_rcp_f64_e32 v[12:13], v[2:3]
	s_nop 0
	v_fma_f64 v[14:15], -v[2:3], v[12:13], 1.0
	v_fmac_f64_e32 v[12:13], v[12:13], v[14:15]
	v_fma_f64 v[14:15], -v[2:3], v[12:13], 1.0
	v_fmac_f64_e32 v[12:13], v[12:13], v[14:15]
	v_div_scale_f64 v[14:15], vcc, 1.0, v[0:1], 1.0
	v_mul_f64 v[34:35], v[14:15], v[12:13]
	v_fma_f64 v[2:3], -v[2:3], v[34:35], v[14:15]
	s_nop 1
	v_div_fmas_f64 v[2:3], v[2:3], v[12:13], v[34:35]
	v_div_fixup_f64 v[34:35], v[2:3], v[0:1], 1.0
	v_mul_f64 v[8:9], v[8:9], -v[34:35]
.LBB127_462:
	s_or_b64 exec, exec, s[2:3]
	ds_write2_b64 v10, v[34:35], v[8:9] offset1:1
.LBB127_463:
	s_or_b64 exec, exec, s[4:5]
	s_waitcnt lgkmcnt(0)
	s_barrier
	ds_read2_b64 v[152:155], v10 offset1:1
	v_cmp_lt_u32_e32 vcc, 38, v254
	s_and_saveexec_b64 s[2:3], vcc
	s_cbranch_execz .LBB127_465
; %bb.464:
	scratch_load_dwordx4 v[0:3], off, off offset:608
	s_waitcnt vmcnt(0) lgkmcnt(0)
	v_mul_f64 v[8:9], v[154:155], v[2:3]
	v_mul_f64 v[158:159], v[152:153], v[2:3]
	v_fma_f64 v[156:157], v[152:153], v[0:1], -v[8:9]
	v_fmac_f64_e32 v[158:159], v[154:155], v[0:1]
	ds_read2_b64 v[0:3], v11 offset0:78 offset1:79
	scratch_store_dwordx4 off, v[156:159], off offset:608
	s_waitcnt lgkmcnt(0)
	v_mul_f64 v[8:9], v[2:3], v[158:159]
	v_mul_f64 v[12:13], v[0:1], v[158:159]
	v_fma_f64 v[8:9], v[0:1], v[156:157], -v[8:9]
	v_fmac_f64_e32 v[12:13], v[2:3], v[156:157]
	scratch_load_dwordx4 v[0:3], off, off offset:624
	s_waitcnt vmcnt(0)
	v_add_f64 v[0:1], v[0:1], -v[8:9]
	v_add_f64 v[2:3], v[2:3], -v[12:13]
	scratch_store_dwordx4 off, v[0:3], off offset:624
	ds_read2_b64 v[0:3], v11 offset0:80 offset1:81
	s_waitcnt lgkmcnt(0)
	v_mul_f64 v[8:9], v[2:3], v[158:159]
	v_mul_f64 v[12:13], v[0:1], v[158:159]
	v_fma_f64 v[8:9], v[0:1], v[156:157], -v[8:9]
	v_fmac_f64_e32 v[12:13], v[2:3], v[156:157]
	scratch_load_dwordx4 v[0:3], off, off offset:640
	s_waitcnt vmcnt(0)
	v_add_f64 v[0:1], v[0:1], -v[8:9]
	v_add_f64 v[2:3], v[2:3], -v[12:13]
	scratch_store_dwordx4 off, v[0:3], off offset:640
	ds_read2_b64 v[0:3], v11 offset0:82 offset1:83
	;; [unrolled: 11-line block ×6, first 2 shown]
	scratch_load_dwordx2 v[8:9], off, off offset:608
	scratch_load_dwordx4 v[156:159], off, off offset:608
	s_waitcnt vmcnt(0) lgkmcnt(0)
	v_mul_f64 v[12:13], v[2:3], v[158:159]
	v_mul_f64 v[14:15], v[0:1], v[158:159]
	v_fma_f64 v[12:13], v[0:1], v[8:9], -v[12:13]
	v_fmac_f64_e32 v[14:15], v[2:3], v[8:9]
	scratch_load_dwordx4 v[0:3], off, off offset:720
	s_waitcnt vmcnt(0)
	v_add_f64 v[0:1], v[0:1], -v[12:13]
	v_add_f64 v[2:3], v[2:3], -v[14:15]
	scratch_store_dwordx4 off, v[0:3], off offset:720
	ds_read2_b64 v[0:3], v11 offset0:92 offset1:93
	s_waitcnt lgkmcnt(0)
	v_mul_f64 v[12:13], v[2:3], v[158:159]
	v_mul_f64 v[14:15], v[0:1], v[158:159]
	v_fma_f64 v[12:13], v[0:1], v[8:9], -v[12:13]
	v_fmac_f64_e32 v[14:15], v[2:3], v[8:9]
	scratch_load_dwordx4 v[0:3], off, off offset:736
	s_waitcnt vmcnt(0)
	v_add_f64 v[0:1], v[0:1], -v[12:13]
	v_add_f64 v[2:3], v[2:3], -v[14:15]
	scratch_store_dwordx4 off, v[0:3], off offset:736
	ds_read2_b64 v[0:3], v11 offset0:94 offset1:95
	s_waitcnt lgkmcnt(0)
	;; [unrolled: 11-line block ×5, first 2 shown]
	v_mul_f64 v[12:13], v[2:3], v[158:159]
	v_mul_f64 v[14:15], v[0:1], v[158:159]
	v_fma_f64 v[12:13], v[0:1], v[8:9], -v[12:13]
	v_fmac_f64_e32 v[14:15], v[2:3], v[8:9]
	scratch_load_dwordx4 v[0:3], off, off offset:800
	ds_read2_b64 v[158:161], v11 offset0:102 offset1:103
	s_waitcnt vmcnt(0)
	v_add_f64 v[0:1], v[0:1], -v[12:13]
	v_add_f64 v[2:3], v[2:3], -v[14:15]
	scratch_store_dwordx4 off, v[0:3], off offset:800
	scratch_load_dwordx2 v[0:1], off, off offset:608
	s_nop 0
	scratch_load_dwordx2 v[2:3], off, off offset:616
	s_waitcnt vmcnt(0) lgkmcnt(0)
	v_mul_f64 v[8:9], v[160:161], v[2:3]
	v_mul_f64 v[12:13], v[158:159], v[2:3]
	v_fma_f64 v[8:9], v[158:159], v[0:1], -v[8:9]
	v_fmac_f64_e32 v[12:13], v[160:161], v[0:1]
	scratch_load_dwordx4 v[158:161], off, off offset:816
	s_waitcnt vmcnt(0)
	v_add_f64 v[158:159], v[158:159], -v[8:9]
	v_add_f64 v[160:161], v[160:161], -v[12:13]
	scratch_store_dwordx4 off, v[158:161], off offset:816
	ds_read2_b64 v[158:161], v11 offset0:104 offset1:105
	s_waitcnt lgkmcnt(0)
	v_mul_f64 v[8:9], v[160:161], v[2:3]
	v_mul_f64 v[12:13], v[158:159], v[2:3]
	v_fma_f64 v[8:9], v[158:159], v[0:1], -v[8:9]
	v_fmac_f64_e32 v[12:13], v[160:161], v[0:1]
	scratch_load_dwordx4 v[158:161], off, off offset:832
	s_waitcnt vmcnt(0)
	v_add_f64 v[158:159], v[158:159], -v[8:9]
	v_add_f64 v[160:161], v[160:161], -v[12:13]
	scratch_store_dwordx4 off, v[158:161], off offset:832
	ds_read2_b64 v[158:161], v11 offset0:106 offset1:107
	s_waitcnt lgkmcnt(0)
	;; [unrolled: 11-line block ×5, first 2 shown]
	v_mul_f64 v[8:9], v[160:161], v[2:3]
	v_mul_f64 v[12:13], v[158:159], v[2:3]
	v_fma_f64 v[8:9], v[158:159], v[0:1], -v[8:9]
	v_fmac_f64_e32 v[12:13], v[160:161], v[0:1]
	scratch_load_dwordx4 v[0:3], off, off offset:896
	s_waitcnt vmcnt(0)
	v_add_f64 v[0:1], v[0:1], -v[8:9]
	v_add_f64 v[2:3], v[2:3], -v[12:13]
	scratch_store_dwordx4 off, v[0:3], off offset:896
	ds_read2_b64 v[0:3], v11 offset0:114 offset1:115
	scratch_load_dwordx2 v[8:9], off, off offset:608
	scratch_load_dwordx2 v[12:13], off, off offset:616
	ds_read2_b64 v[158:161], v11 offset0:126 offset1:127
	s_waitcnt vmcnt(0) lgkmcnt(1)
	v_mul_f64 v[14:15], v[2:3], v[12:13]
	v_mul_f64 v[34:35], v[0:1], v[12:13]
	v_fma_f64 v[14:15], v[0:1], v[8:9], -v[14:15]
	v_fmac_f64_e32 v[34:35], v[2:3], v[8:9]
	scratch_load_dwordx4 v[0:3], off, off offset:912
	s_waitcnt vmcnt(0)
	v_add_f64 v[0:1], v[0:1], -v[14:15]
	v_add_f64 v[2:3], v[2:3], -v[34:35]
	scratch_store_dwordx4 off, v[0:3], off offset:912
	ds_read2_b64 v[0:3], v11 offset0:116 offset1:117
	s_waitcnt lgkmcnt(0)
	v_mul_f64 v[14:15], v[2:3], v[12:13]
	v_mul_f64 v[34:35], v[0:1], v[12:13]
	v_fma_f64 v[14:15], v[0:1], v[8:9], -v[14:15]
	v_fmac_f64_e32 v[34:35], v[2:3], v[8:9]
	scratch_load_dwordx4 v[0:3], off, off offset:928
	s_waitcnt vmcnt(0)
	v_add_f64 v[0:1], v[0:1], -v[14:15]
	v_add_f64 v[2:3], v[2:3], -v[34:35]
	scratch_store_dwordx4 off, v[0:3], off offset:928
	ds_read2_b64 v[0:3], v11 offset0:118 offset1:119
	s_waitcnt lgkmcnt(0)
	;; [unrolled: 11-line block ×5, first 2 shown]
	v_mul_f64 v[14:15], v[2:3], v[12:13]
	v_mul_f64 v[12:13], v[0:1], v[12:13]
	v_fma_f64 v[14:15], v[0:1], v[8:9], -v[14:15]
	v_fmac_f64_e32 v[12:13], v[2:3], v[8:9]
	scratch_load_dwordx4 v[0:3], off, off offset:992
	s_waitcnt vmcnt(0)
	v_add_f64 v[0:1], v[0:1], -v[14:15]
	v_add_f64 v[2:3], v[2:3], -v[12:13]
	scratch_store_dwordx4 off, v[0:3], off offset:992
	scratch_load_dwordx2 v[2:3], off, off offset:616
	s_waitcnt vmcnt(0)
	v_mul_f64 v[0:1], v[160:161], v[2:3]
	v_mul_f64 v[2:3], v[158:159], v[2:3]
	v_fma_f64 v[0:1], v[158:159], v[156:157], -v[0:1]
	v_fmac_f64_e32 v[2:3], v[160:161], v[156:157]
	scratch_load_dwordx4 v[156:159], off, off offset:1008
	s_waitcnt vmcnt(0)
	v_add_f64 v[0:1], v[156:157], -v[0:1]
	v_add_f64 v[2:3], v[158:159], -v[2:3]
	scratch_store_dwordx4 off, v[0:3], off offset:1008
.LBB127_465:
	s_or_b64 exec, exec, s[2:3]
	v_cmp_eq_u32_e32 vcc, 39, v254
	s_waitcnt lgkmcnt(0)
	s_barrier
	s_and_saveexec_b64 s[4:5], vcc
	s_cbranch_execz .LBB127_472
; %bb.466:
	scratch_load_dwordx4 v[0:3], off, s34
	s_waitcnt vmcnt(0)
	ds_write2_b64 v10, v[0:1], v[2:3] offset1:1
	scratch_load_dwordx4 v[0:3], off, s35
	s_waitcnt vmcnt(0)
	ds_write2_b64 v11, v[0:1], v[2:3] offset0:80 offset1:81
	scratch_load_dwordx4 v[0:3], off, s31
	s_waitcnt vmcnt(0)
	ds_write2_b64 v11, v[0:1], v[2:3] offset0:82 offset1:83
	;; [unrolled: 3-line block ×24, first 2 shown]
	ds_read2_b64 v[0:3], v10 offset1:1
	s_waitcnt lgkmcnt(0)
	v_cmp_neq_f64_e32 vcc, 0, v[0:1]
	v_cmp_neq_f64_e64 s[2:3], 0, v[2:3]
	s_or_b64 s[2:3], vcc, s[2:3]
	s_and_b64 exec, exec, s[2:3]
	s_cbranch_execz .LBB127_472
; %bb.467:
	v_cmp_ngt_f64_e64 s[2:3], |v[0:1]|, |v[2:3]|
                                        ; implicit-def: $vgpr34_vgpr35
	s_and_saveexec_b64 s[10:11], s[2:3]
	s_xor_b64 s[2:3], exec, s[10:11]
                                        ; implicit-def: $vgpr8_vgpr9
	s_cbranch_execz .LBB127_469
; %bb.468:
	v_div_scale_f64 v[8:9], s[10:11], v[2:3], v[2:3], v[0:1]
	v_rcp_f64_e32 v[12:13], v[8:9]
	v_div_scale_f64 v[14:15], vcc, v[0:1], v[2:3], v[0:1]
	v_fma_f64 v[34:35], -v[8:9], v[12:13], 1.0
	v_fmac_f64_e32 v[12:13], v[12:13], v[34:35]
	v_fma_f64 v[34:35], -v[8:9], v[12:13], 1.0
	v_fmac_f64_e32 v[12:13], v[12:13], v[34:35]
	v_mul_f64 v[34:35], v[14:15], v[12:13]
	v_fma_f64 v[8:9], -v[8:9], v[34:35], v[14:15]
	v_div_fmas_f64 v[8:9], v[8:9], v[12:13], v[34:35]
	v_div_fixup_f64 v[12:13], v[8:9], v[2:3], v[0:1]
	v_fmac_f64_e32 v[2:3], v[0:1], v[12:13]
	v_div_scale_f64 v[0:1], s[10:11], v[2:3], v[2:3], 1.0
	v_rcp_f64_e32 v[8:9], v[0:1]
	s_nop 0
	v_fma_f64 v[14:15], -v[0:1], v[8:9], 1.0
	v_fmac_f64_e32 v[8:9], v[8:9], v[14:15]
	v_fma_f64 v[14:15], -v[0:1], v[8:9], 1.0
	v_fmac_f64_e32 v[8:9], v[8:9], v[14:15]
	v_div_scale_f64 v[14:15], vcc, 1.0, v[2:3], 1.0
	v_mul_f64 v[34:35], v[14:15], v[8:9]
	v_fma_f64 v[0:1], -v[0:1], v[34:35], v[14:15]
	s_nop 1
	v_div_fmas_f64 v[0:1], v[0:1], v[8:9], v[34:35]
	v_div_fixup_f64 v[8:9], v[0:1], v[2:3], 1.0
	v_mul_f64 v[34:35], v[12:13], v[8:9]
	v_xor_b32_e32 v9, 0x80000000, v9
                                        ; implicit-def: $vgpr0_vgpr1
.LBB127_469:
	s_andn2_saveexec_b64 s[2:3], s[2:3]
	s_cbranch_execz .LBB127_471
; %bb.470:
	v_div_scale_f64 v[8:9], s[10:11], v[0:1], v[0:1], v[2:3]
	v_rcp_f64_e32 v[12:13], v[8:9]
	v_div_scale_f64 v[14:15], vcc, v[2:3], v[0:1], v[2:3]
	v_fma_f64 v[34:35], -v[8:9], v[12:13], 1.0
	v_fmac_f64_e32 v[12:13], v[12:13], v[34:35]
	v_fma_f64 v[34:35], -v[8:9], v[12:13], 1.0
	v_fmac_f64_e32 v[12:13], v[12:13], v[34:35]
	v_mul_f64 v[34:35], v[14:15], v[12:13]
	v_fma_f64 v[8:9], -v[8:9], v[34:35], v[14:15]
	v_div_fmas_f64 v[8:9], v[8:9], v[12:13], v[34:35]
	v_div_fixup_f64 v[8:9], v[8:9], v[0:1], v[2:3]
	v_fmac_f64_e32 v[0:1], v[2:3], v[8:9]
	v_div_scale_f64 v[2:3], s[10:11], v[0:1], v[0:1], 1.0
	v_rcp_f64_e32 v[12:13], v[2:3]
	s_nop 0
	v_fma_f64 v[14:15], -v[2:3], v[12:13], 1.0
	v_fmac_f64_e32 v[12:13], v[12:13], v[14:15]
	v_fma_f64 v[14:15], -v[2:3], v[12:13], 1.0
	v_fmac_f64_e32 v[12:13], v[12:13], v[14:15]
	v_div_scale_f64 v[14:15], vcc, 1.0, v[0:1], 1.0
	v_mul_f64 v[34:35], v[14:15], v[12:13]
	v_fma_f64 v[2:3], -v[2:3], v[34:35], v[14:15]
	s_nop 1
	v_div_fmas_f64 v[2:3], v[2:3], v[12:13], v[34:35]
	v_div_fixup_f64 v[34:35], v[2:3], v[0:1], 1.0
	v_mul_f64 v[8:9], v[8:9], -v[34:35]
.LBB127_471:
	s_or_b64 exec, exec, s[2:3]
	ds_write2_b64 v10, v[34:35], v[8:9] offset1:1
.LBB127_472:
	s_or_b64 exec, exec, s[4:5]
	s_waitcnt lgkmcnt(0)
	s_barrier
	ds_read2_b64 v[156:159], v10 offset1:1
	v_cmp_lt_u32_e32 vcc, 39, v254
	s_and_saveexec_b64 s[2:3], vcc
	s_cbranch_execz .LBB127_474
; %bb.473:
	scratch_load_dwordx4 v[0:3], off, off offset:624
	s_waitcnt vmcnt(0) lgkmcnt(0)
	v_mul_f64 v[8:9], v[158:159], v[2:3]
	v_mul_f64 v[162:163], v[156:157], v[2:3]
	v_fma_f64 v[160:161], v[156:157], v[0:1], -v[8:9]
	v_fmac_f64_e32 v[162:163], v[158:159], v[0:1]
	ds_read2_b64 v[0:3], v11 offset0:80 offset1:81
	scratch_store_dwordx4 off, v[160:163], off offset:624
	s_waitcnt lgkmcnt(0)
	v_mul_f64 v[8:9], v[2:3], v[162:163]
	v_mul_f64 v[12:13], v[0:1], v[162:163]
	v_fma_f64 v[8:9], v[0:1], v[160:161], -v[8:9]
	v_fmac_f64_e32 v[12:13], v[2:3], v[160:161]
	scratch_load_dwordx4 v[0:3], off, off offset:640
	s_waitcnt vmcnt(0)
	v_add_f64 v[0:1], v[0:1], -v[8:9]
	v_add_f64 v[2:3], v[2:3], -v[12:13]
	scratch_store_dwordx4 off, v[0:3], off offset:640
	ds_read2_b64 v[0:3], v11 offset0:82 offset1:83
	s_waitcnt lgkmcnt(0)
	v_mul_f64 v[8:9], v[2:3], v[162:163]
	v_mul_f64 v[12:13], v[0:1], v[162:163]
	v_fma_f64 v[8:9], v[0:1], v[160:161], -v[8:9]
	v_fmac_f64_e32 v[12:13], v[2:3], v[160:161]
	scratch_load_dwordx4 v[0:3], off, off offset:656
	s_waitcnt vmcnt(0)
	v_add_f64 v[0:1], v[0:1], -v[8:9]
	v_add_f64 v[2:3], v[2:3], -v[12:13]
	scratch_store_dwordx4 off, v[0:3], off offset:656
	ds_read2_b64 v[0:3], v11 offset0:84 offset1:85
	;; [unrolled: 11-line block ×6, first 2 shown]
	scratch_load_dwordx2 v[8:9], off, off offset:624
	scratch_load_dwordx4 v[160:163], off, off offset:624
	s_waitcnt vmcnt(0) lgkmcnt(0)
	v_mul_f64 v[12:13], v[2:3], v[162:163]
	v_mul_f64 v[14:15], v[0:1], v[162:163]
	v_fma_f64 v[12:13], v[0:1], v[8:9], -v[12:13]
	v_fmac_f64_e32 v[14:15], v[2:3], v[8:9]
	scratch_load_dwordx4 v[0:3], off, off offset:736
	s_waitcnt vmcnt(0)
	v_add_f64 v[0:1], v[0:1], -v[12:13]
	v_add_f64 v[2:3], v[2:3], -v[14:15]
	scratch_store_dwordx4 off, v[0:3], off offset:736
	ds_read2_b64 v[0:3], v11 offset0:94 offset1:95
	s_waitcnt lgkmcnt(0)
	v_mul_f64 v[12:13], v[2:3], v[162:163]
	v_mul_f64 v[14:15], v[0:1], v[162:163]
	v_fma_f64 v[12:13], v[0:1], v[8:9], -v[12:13]
	v_fmac_f64_e32 v[14:15], v[2:3], v[8:9]
	scratch_load_dwordx4 v[0:3], off, off offset:752
	s_waitcnt vmcnt(0)
	v_add_f64 v[0:1], v[0:1], -v[12:13]
	v_add_f64 v[2:3], v[2:3], -v[14:15]
	scratch_store_dwordx4 off, v[0:3], off offset:752
	ds_read2_b64 v[0:3], v11 offset0:96 offset1:97
	s_waitcnt lgkmcnt(0)
	;; [unrolled: 11-line block ×5, first 2 shown]
	v_mul_f64 v[12:13], v[2:3], v[162:163]
	v_mul_f64 v[14:15], v[0:1], v[162:163]
	v_fma_f64 v[12:13], v[0:1], v[8:9], -v[12:13]
	v_fmac_f64_e32 v[14:15], v[2:3], v[8:9]
	scratch_load_dwordx4 v[0:3], off, off offset:816
	ds_read2_b64 v[162:165], v11 offset0:104 offset1:105
	s_waitcnt vmcnt(0)
	v_add_f64 v[0:1], v[0:1], -v[12:13]
	v_add_f64 v[2:3], v[2:3], -v[14:15]
	scratch_store_dwordx4 off, v[0:3], off offset:816
	scratch_load_dwordx2 v[0:1], off, off offset:624
	s_nop 0
	scratch_load_dwordx2 v[2:3], off, off offset:632
	s_waitcnt vmcnt(0) lgkmcnt(0)
	v_mul_f64 v[8:9], v[164:165], v[2:3]
	v_mul_f64 v[12:13], v[162:163], v[2:3]
	v_fma_f64 v[8:9], v[162:163], v[0:1], -v[8:9]
	v_fmac_f64_e32 v[12:13], v[164:165], v[0:1]
	scratch_load_dwordx4 v[162:165], off, off offset:832
	s_waitcnt vmcnt(0)
	v_add_f64 v[162:163], v[162:163], -v[8:9]
	v_add_f64 v[164:165], v[164:165], -v[12:13]
	scratch_store_dwordx4 off, v[162:165], off offset:832
	ds_read2_b64 v[162:165], v11 offset0:106 offset1:107
	s_waitcnt lgkmcnt(0)
	v_mul_f64 v[8:9], v[164:165], v[2:3]
	v_mul_f64 v[12:13], v[162:163], v[2:3]
	v_fma_f64 v[8:9], v[162:163], v[0:1], -v[8:9]
	v_fmac_f64_e32 v[12:13], v[164:165], v[0:1]
	scratch_load_dwordx4 v[162:165], off, off offset:848
	s_waitcnt vmcnt(0)
	v_add_f64 v[162:163], v[162:163], -v[8:9]
	v_add_f64 v[164:165], v[164:165], -v[12:13]
	scratch_store_dwordx4 off, v[162:165], off offset:848
	ds_read2_b64 v[162:165], v11 offset0:108 offset1:109
	s_waitcnt lgkmcnt(0)
	;; [unrolled: 11-line block ×5, first 2 shown]
	v_mul_f64 v[8:9], v[164:165], v[2:3]
	v_mul_f64 v[12:13], v[162:163], v[2:3]
	v_fma_f64 v[8:9], v[162:163], v[0:1], -v[8:9]
	v_fmac_f64_e32 v[12:13], v[164:165], v[0:1]
	scratch_load_dwordx4 v[0:3], off, off offset:912
	s_waitcnt vmcnt(0)
	v_add_f64 v[0:1], v[0:1], -v[8:9]
	scratch_load_dwordx2 v[8:9], off, off offset:632
	v_add_f64 v[2:3], v[2:3], -v[12:13]
	scratch_store_dwordx4 off, v[0:3], off offset:912
	ds_read2_b64 v[0:3], v11 offset0:116 offset1:117
	s_waitcnt vmcnt(1) lgkmcnt(0)
	v_mul_f64 v[12:13], v[2:3], v[8:9]
	v_mul_f64 v[14:15], v[0:1], v[8:9]
	v_fma_f64 v[12:13], v[0:1], v[160:161], -v[12:13]
	v_fmac_f64_e32 v[14:15], v[2:3], v[160:161]
	scratch_load_dwordx4 v[0:3], off, off offset:928
	s_waitcnt vmcnt(0)
	v_add_f64 v[0:1], v[0:1], -v[12:13]
	v_add_f64 v[2:3], v[2:3], -v[14:15]
	scratch_store_dwordx4 off, v[0:3], off offset:928
	ds_read2_b64 v[0:3], v11 offset0:118 offset1:119
	s_waitcnt lgkmcnt(0)
	v_mul_f64 v[12:13], v[2:3], v[8:9]
	v_mul_f64 v[14:15], v[0:1], v[8:9]
	v_fma_f64 v[12:13], v[0:1], v[160:161], -v[12:13]
	v_fmac_f64_e32 v[14:15], v[2:3], v[160:161]
	scratch_load_dwordx4 v[0:3], off, off offset:944
	s_waitcnt vmcnt(0)
	v_add_f64 v[0:1], v[0:1], -v[12:13]
	v_add_f64 v[2:3], v[2:3], -v[14:15]
	scratch_store_dwordx4 off, v[0:3], off offset:944
	ds_read2_b64 v[0:3], v11 offset0:120 offset1:121
	s_waitcnt lgkmcnt(0)
	;; [unrolled: 11-line block ×5, first 2 shown]
	v_mul_f64 v[12:13], v[2:3], v[8:9]
	v_mul_f64 v[162:163], v[0:1], v[8:9]
	v_fma_f64 v[34:35], v[0:1], v[160:161], -v[12:13]
	v_fmac_f64_e32 v[162:163], v[2:3], v[160:161]
	scratch_load_dwordx4 v[0:3], off, off offset:1008
	s_waitcnt vmcnt(0)
	v_add_f64 v[0:1], v[0:1], -v[34:35]
	v_add_f64 v[2:3], v[2:3], -v[162:163]
	scratch_store_dwordx4 off, v[0:3], off offset:1008
.LBB127_474:
	s_or_b64 exec, exec, s[2:3]
	v_cmp_eq_u32_e32 vcc, 40, v254
	s_waitcnt lgkmcnt(0)
	s_barrier
	s_and_saveexec_b64 s[4:5], vcc
	s_cbranch_execz .LBB127_481
; %bb.475:
	scratch_load_dwordx4 v[0:3], off, s35
	s_waitcnt vmcnt(0)
	ds_write2_b64 v10, v[0:1], v[2:3] offset1:1
	scratch_load_dwordx4 v[0:3], off, s31
	s_waitcnt vmcnt(0)
	ds_write2_b64 v11, v[0:1], v[2:3] offset0:82 offset1:83
	scratch_load_dwordx4 v[0:3], off, s33
	s_waitcnt vmcnt(0)
	ds_write2_b64 v11, v[0:1], v[2:3] offset0:84 offset1:85
	;; [unrolled: 3-line block ×23, first 2 shown]
	ds_read2_b64 v[0:3], v10 offset1:1
	s_waitcnt lgkmcnt(0)
	v_cmp_neq_f64_e32 vcc, 0, v[0:1]
	v_cmp_neq_f64_e64 s[2:3], 0, v[2:3]
	s_or_b64 s[2:3], vcc, s[2:3]
	s_and_b64 exec, exec, s[2:3]
	s_cbranch_execz .LBB127_481
; %bb.476:
	v_cmp_ngt_f64_e64 s[2:3], |v[0:1]|, |v[2:3]|
                                        ; implicit-def: $vgpr34_vgpr35
	s_and_saveexec_b64 s[10:11], s[2:3]
	s_xor_b64 s[2:3], exec, s[10:11]
                                        ; implicit-def: $vgpr8_vgpr9
	s_cbranch_execz .LBB127_478
; %bb.477:
	v_div_scale_f64 v[8:9], s[10:11], v[2:3], v[2:3], v[0:1]
	v_rcp_f64_e32 v[12:13], v[8:9]
	v_div_scale_f64 v[14:15], vcc, v[0:1], v[2:3], v[0:1]
	v_fma_f64 v[34:35], -v[8:9], v[12:13], 1.0
	v_fmac_f64_e32 v[12:13], v[12:13], v[34:35]
	v_fma_f64 v[34:35], -v[8:9], v[12:13], 1.0
	v_fmac_f64_e32 v[12:13], v[12:13], v[34:35]
	v_mul_f64 v[34:35], v[14:15], v[12:13]
	v_fma_f64 v[8:9], -v[8:9], v[34:35], v[14:15]
	v_div_fmas_f64 v[8:9], v[8:9], v[12:13], v[34:35]
	v_div_fixup_f64 v[12:13], v[8:9], v[2:3], v[0:1]
	v_fmac_f64_e32 v[2:3], v[0:1], v[12:13]
	v_div_scale_f64 v[0:1], s[10:11], v[2:3], v[2:3], 1.0
	v_rcp_f64_e32 v[8:9], v[0:1]
	s_nop 0
	v_fma_f64 v[14:15], -v[0:1], v[8:9], 1.0
	v_fmac_f64_e32 v[8:9], v[8:9], v[14:15]
	v_fma_f64 v[14:15], -v[0:1], v[8:9], 1.0
	v_fmac_f64_e32 v[8:9], v[8:9], v[14:15]
	v_div_scale_f64 v[14:15], vcc, 1.0, v[2:3], 1.0
	v_mul_f64 v[34:35], v[14:15], v[8:9]
	v_fma_f64 v[0:1], -v[0:1], v[34:35], v[14:15]
	s_nop 1
	v_div_fmas_f64 v[0:1], v[0:1], v[8:9], v[34:35]
	v_div_fixup_f64 v[8:9], v[0:1], v[2:3], 1.0
	v_mul_f64 v[34:35], v[12:13], v[8:9]
	v_xor_b32_e32 v9, 0x80000000, v9
                                        ; implicit-def: $vgpr0_vgpr1
.LBB127_478:
	s_andn2_saveexec_b64 s[2:3], s[2:3]
	s_cbranch_execz .LBB127_480
; %bb.479:
	v_div_scale_f64 v[8:9], s[10:11], v[0:1], v[0:1], v[2:3]
	v_rcp_f64_e32 v[12:13], v[8:9]
	v_div_scale_f64 v[14:15], vcc, v[2:3], v[0:1], v[2:3]
	v_fma_f64 v[34:35], -v[8:9], v[12:13], 1.0
	v_fmac_f64_e32 v[12:13], v[12:13], v[34:35]
	v_fma_f64 v[34:35], -v[8:9], v[12:13], 1.0
	v_fmac_f64_e32 v[12:13], v[12:13], v[34:35]
	v_mul_f64 v[34:35], v[14:15], v[12:13]
	v_fma_f64 v[8:9], -v[8:9], v[34:35], v[14:15]
	v_div_fmas_f64 v[8:9], v[8:9], v[12:13], v[34:35]
	v_div_fixup_f64 v[8:9], v[8:9], v[0:1], v[2:3]
	v_fmac_f64_e32 v[0:1], v[2:3], v[8:9]
	v_div_scale_f64 v[2:3], s[10:11], v[0:1], v[0:1], 1.0
	v_rcp_f64_e32 v[12:13], v[2:3]
	s_nop 0
	v_fma_f64 v[14:15], -v[2:3], v[12:13], 1.0
	v_fmac_f64_e32 v[12:13], v[12:13], v[14:15]
	v_fma_f64 v[14:15], -v[2:3], v[12:13], 1.0
	v_fmac_f64_e32 v[12:13], v[12:13], v[14:15]
	v_div_scale_f64 v[14:15], vcc, 1.0, v[0:1], 1.0
	v_mul_f64 v[34:35], v[14:15], v[12:13]
	v_fma_f64 v[2:3], -v[2:3], v[34:35], v[14:15]
	s_nop 1
	v_div_fmas_f64 v[2:3], v[2:3], v[12:13], v[34:35]
	v_div_fixup_f64 v[34:35], v[2:3], v[0:1], 1.0
	v_mul_f64 v[8:9], v[8:9], -v[34:35]
.LBB127_480:
	s_or_b64 exec, exec, s[2:3]
	ds_write2_b64 v10, v[34:35], v[8:9] offset1:1
.LBB127_481:
	s_or_b64 exec, exec, s[4:5]
	s_waitcnt lgkmcnt(0)
	s_barrier
	ds_read2_b64 v[160:163], v10 offset1:1
	v_cmp_lt_u32_e32 vcc, 40, v254
	s_and_saveexec_b64 s[2:3], vcc
	s_cbranch_execz .LBB127_483
; %bb.482:
	scratch_load_dwordx4 v[0:3], off, off offset:640
	s_waitcnt vmcnt(0) lgkmcnt(0)
	v_mul_f64 v[8:9], v[162:163], v[2:3]
	v_mul_f64 v[166:167], v[160:161], v[2:3]
	v_fma_f64 v[164:165], v[160:161], v[0:1], -v[8:9]
	v_fmac_f64_e32 v[166:167], v[162:163], v[0:1]
	ds_read2_b64 v[0:3], v11 offset0:82 offset1:83
	scratch_store_dwordx4 off, v[164:167], off offset:640
	s_waitcnt lgkmcnt(0)
	v_mul_f64 v[8:9], v[2:3], v[166:167]
	v_mul_f64 v[12:13], v[0:1], v[166:167]
	v_fma_f64 v[8:9], v[0:1], v[164:165], -v[8:9]
	v_fmac_f64_e32 v[12:13], v[2:3], v[164:165]
	scratch_load_dwordx4 v[0:3], off, off offset:656
	s_waitcnt vmcnt(0)
	v_add_f64 v[0:1], v[0:1], -v[8:9]
	v_add_f64 v[2:3], v[2:3], -v[12:13]
	scratch_store_dwordx4 off, v[0:3], off offset:656
	ds_read2_b64 v[0:3], v11 offset0:84 offset1:85
	s_waitcnt lgkmcnt(0)
	v_mul_f64 v[8:9], v[2:3], v[166:167]
	v_mul_f64 v[12:13], v[0:1], v[166:167]
	v_fma_f64 v[8:9], v[0:1], v[164:165], -v[8:9]
	v_fmac_f64_e32 v[12:13], v[2:3], v[164:165]
	scratch_load_dwordx4 v[0:3], off, off offset:672
	s_waitcnt vmcnt(0)
	v_add_f64 v[0:1], v[0:1], -v[8:9]
	v_add_f64 v[2:3], v[2:3], -v[12:13]
	scratch_store_dwordx4 off, v[0:3], off offset:672
	ds_read2_b64 v[0:3], v11 offset0:86 offset1:87
	;; [unrolled: 11-line block ×6, first 2 shown]
	scratch_load_dwordx2 v[8:9], off, off offset:640
	scratch_load_dwordx4 v[164:167], off, off offset:640
	s_waitcnt vmcnt(0) lgkmcnt(0)
	v_mul_f64 v[12:13], v[2:3], v[166:167]
	v_mul_f64 v[14:15], v[0:1], v[166:167]
	v_fma_f64 v[12:13], v[0:1], v[8:9], -v[12:13]
	v_fmac_f64_e32 v[14:15], v[2:3], v[8:9]
	scratch_load_dwordx4 v[0:3], off, off offset:752
	s_waitcnt vmcnt(0)
	v_add_f64 v[0:1], v[0:1], -v[12:13]
	v_add_f64 v[2:3], v[2:3], -v[14:15]
	scratch_store_dwordx4 off, v[0:3], off offset:752
	ds_read2_b64 v[0:3], v11 offset0:96 offset1:97
	s_waitcnt lgkmcnt(0)
	v_mul_f64 v[12:13], v[2:3], v[166:167]
	v_mul_f64 v[14:15], v[0:1], v[166:167]
	v_fma_f64 v[12:13], v[0:1], v[8:9], -v[12:13]
	v_fmac_f64_e32 v[14:15], v[2:3], v[8:9]
	scratch_load_dwordx4 v[0:3], off, off offset:768
	s_waitcnt vmcnt(0)
	v_add_f64 v[0:1], v[0:1], -v[12:13]
	v_add_f64 v[2:3], v[2:3], -v[14:15]
	scratch_store_dwordx4 off, v[0:3], off offset:768
	ds_read2_b64 v[0:3], v11 offset0:98 offset1:99
	s_waitcnt lgkmcnt(0)
	;; [unrolled: 11-line block ×5, first 2 shown]
	v_mul_f64 v[12:13], v[2:3], v[166:167]
	v_mul_f64 v[14:15], v[0:1], v[166:167]
	v_fma_f64 v[12:13], v[0:1], v[8:9], -v[12:13]
	v_fmac_f64_e32 v[14:15], v[2:3], v[8:9]
	scratch_load_dwordx4 v[0:3], off, off offset:832
	ds_read2_b64 v[166:169], v11 offset0:106 offset1:107
	s_waitcnt vmcnt(0)
	v_add_f64 v[0:1], v[0:1], -v[12:13]
	v_add_f64 v[2:3], v[2:3], -v[14:15]
	scratch_store_dwordx4 off, v[0:3], off offset:832
	scratch_load_dwordx2 v[0:1], off, off offset:640
	s_nop 0
	scratch_load_dwordx2 v[2:3], off, off offset:648
	s_waitcnt vmcnt(0) lgkmcnt(0)
	v_mul_f64 v[8:9], v[168:169], v[2:3]
	v_mul_f64 v[12:13], v[166:167], v[2:3]
	v_fma_f64 v[8:9], v[166:167], v[0:1], -v[8:9]
	v_fmac_f64_e32 v[12:13], v[168:169], v[0:1]
	scratch_load_dwordx4 v[166:169], off, off offset:848
	s_waitcnt vmcnt(0)
	v_add_f64 v[166:167], v[166:167], -v[8:9]
	v_add_f64 v[168:169], v[168:169], -v[12:13]
	scratch_store_dwordx4 off, v[166:169], off offset:848
	ds_read2_b64 v[166:169], v11 offset0:108 offset1:109
	s_waitcnt lgkmcnt(0)
	v_mul_f64 v[8:9], v[168:169], v[2:3]
	v_mul_f64 v[12:13], v[166:167], v[2:3]
	v_fma_f64 v[8:9], v[166:167], v[0:1], -v[8:9]
	v_fmac_f64_e32 v[12:13], v[168:169], v[0:1]
	scratch_load_dwordx4 v[166:169], off, off offset:864
	s_waitcnt vmcnt(0)
	v_add_f64 v[166:167], v[166:167], -v[8:9]
	v_add_f64 v[168:169], v[168:169], -v[12:13]
	scratch_store_dwordx4 off, v[166:169], off offset:864
	ds_read2_b64 v[166:169], v11 offset0:110 offset1:111
	s_waitcnt lgkmcnt(0)
	;; [unrolled: 11-line block ×5, first 2 shown]
	v_mul_f64 v[8:9], v[168:169], v[2:3]
	v_mul_f64 v[12:13], v[166:167], v[2:3]
	v_fma_f64 v[8:9], v[166:167], v[0:1], -v[8:9]
	v_fmac_f64_e32 v[12:13], v[168:169], v[0:1]
	scratch_load_dwordx4 v[0:3], off, off offset:928
	s_waitcnt vmcnt(0)
	v_add_f64 v[0:1], v[0:1], -v[8:9]
	scratch_load_dwordx2 v[8:9], off, off offset:648
	v_add_f64 v[2:3], v[2:3], -v[12:13]
	scratch_store_dwordx4 off, v[0:3], off offset:928
	ds_read2_b64 v[0:3], v11 offset0:118 offset1:119
	s_waitcnt vmcnt(1) lgkmcnt(0)
	v_mul_f64 v[12:13], v[2:3], v[8:9]
	v_mul_f64 v[14:15], v[0:1], v[8:9]
	v_fma_f64 v[12:13], v[0:1], v[164:165], -v[12:13]
	v_fmac_f64_e32 v[14:15], v[2:3], v[164:165]
	scratch_load_dwordx4 v[0:3], off, off offset:944
	s_waitcnt vmcnt(0)
	v_add_f64 v[0:1], v[0:1], -v[12:13]
	v_add_f64 v[2:3], v[2:3], -v[14:15]
	scratch_store_dwordx4 off, v[0:3], off offset:944
	ds_read2_b64 v[0:3], v11 offset0:120 offset1:121
	s_waitcnt lgkmcnt(0)
	v_mul_f64 v[12:13], v[2:3], v[8:9]
	v_mul_f64 v[14:15], v[0:1], v[8:9]
	v_fma_f64 v[12:13], v[0:1], v[164:165], -v[12:13]
	v_fmac_f64_e32 v[14:15], v[2:3], v[164:165]
	scratch_load_dwordx4 v[0:3], off, off offset:960
	s_waitcnt vmcnt(0)
	v_add_f64 v[0:1], v[0:1], -v[12:13]
	v_add_f64 v[2:3], v[2:3], -v[14:15]
	scratch_store_dwordx4 off, v[0:3], off offset:960
	ds_read2_b64 v[0:3], v11 offset0:122 offset1:123
	s_waitcnt lgkmcnt(0)
	;; [unrolled: 11-line block ×4, first 2 shown]
	v_mul_f64 v[12:13], v[2:3], v[8:9]
	v_mul_f64 v[166:167], v[0:1], v[8:9]
	v_fma_f64 v[34:35], v[0:1], v[164:165], -v[12:13]
	v_fmac_f64_e32 v[166:167], v[2:3], v[164:165]
	scratch_load_dwordx4 v[0:3], off, off offset:1008
	s_waitcnt vmcnt(0)
	v_add_f64 v[0:1], v[0:1], -v[34:35]
	v_add_f64 v[2:3], v[2:3], -v[166:167]
	scratch_store_dwordx4 off, v[0:3], off offset:1008
.LBB127_483:
	s_or_b64 exec, exec, s[2:3]
	v_cmp_eq_u32_e32 vcc, 41, v254
	s_waitcnt lgkmcnt(0)
	s_barrier
	s_and_saveexec_b64 s[4:5], vcc
	s_cbranch_execz .LBB127_490
; %bb.484:
	scratch_load_dwordx4 v[0:3], off, s31
	s_waitcnt vmcnt(0)
	ds_write2_b64 v10, v[0:1], v[2:3] offset1:1
	scratch_load_dwordx4 v[0:3], off, s33
	s_waitcnt vmcnt(0)
	ds_write2_b64 v11, v[0:1], v[2:3] offset0:84 offset1:85
	scratch_load_dwordx4 v[0:3], off, s29
	s_waitcnt vmcnt(0)
	ds_write2_b64 v11, v[0:1], v[2:3] offset0:86 offset1:87
	;; [unrolled: 3-line block ×22, first 2 shown]
	ds_read2_b64 v[0:3], v10 offset1:1
	s_waitcnt lgkmcnt(0)
	v_cmp_neq_f64_e32 vcc, 0, v[0:1]
	v_cmp_neq_f64_e64 s[2:3], 0, v[2:3]
	s_or_b64 s[2:3], vcc, s[2:3]
	s_and_b64 exec, exec, s[2:3]
	s_cbranch_execz .LBB127_490
; %bb.485:
	v_cmp_ngt_f64_e64 s[2:3], |v[0:1]|, |v[2:3]|
                                        ; implicit-def: $vgpr34_vgpr35
	s_and_saveexec_b64 s[10:11], s[2:3]
	s_xor_b64 s[2:3], exec, s[10:11]
                                        ; implicit-def: $vgpr8_vgpr9
	s_cbranch_execz .LBB127_487
; %bb.486:
	v_div_scale_f64 v[8:9], s[10:11], v[2:3], v[2:3], v[0:1]
	v_rcp_f64_e32 v[12:13], v[8:9]
	v_div_scale_f64 v[14:15], vcc, v[0:1], v[2:3], v[0:1]
	v_fma_f64 v[34:35], -v[8:9], v[12:13], 1.0
	v_fmac_f64_e32 v[12:13], v[12:13], v[34:35]
	v_fma_f64 v[34:35], -v[8:9], v[12:13], 1.0
	v_fmac_f64_e32 v[12:13], v[12:13], v[34:35]
	v_mul_f64 v[34:35], v[14:15], v[12:13]
	v_fma_f64 v[8:9], -v[8:9], v[34:35], v[14:15]
	v_div_fmas_f64 v[8:9], v[8:9], v[12:13], v[34:35]
	v_div_fixup_f64 v[12:13], v[8:9], v[2:3], v[0:1]
	v_fmac_f64_e32 v[2:3], v[0:1], v[12:13]
	v_div_scale_f64 v[0:1], s[10:11], v[2:3], v[2:3], 1.0
	v_rcp_f64_e32 v[8:9], v[0:1]
	s_nop 0
	v_fma_f64 v[14:15], -v[0:1], v[8:9], 1.0
	v_fmac_f64_e32 v[8:9], v[8:9], v[14:15]
	v_fma_f64 v[14:15], -v[0:1], v[8:9], 1.0
	v_fmac_f64_e32 v[8:9], v[8:9], v[14:15]
	v_div_scale_f64 v[14:15], vcc, 1.0, v[2:3], 1.0
	v_mul_f64 v[34:35], v[14:15], v[8:9]
	v_fma_f64 v[0:1], -v[0:1], v[34:35], v[14:15]
	s_nop 1
	v_div_fmas_f64 v[0:1], v[0:1], v[8:9], v[34:35]
	v_div_fixup_f64 v[8:9], v[0:1], v[2:3], 1.0
	v_mul_f64 v[34:35], v[12:13], v[8:9]
	v_xor_b32_e32 v9, 0x80000000, v9
                                        ; implicit-def: $vgpr0_vgpr1
.LBB127_487:
	s_andn2_saveexec_b64 s[2:3], s[2:3]
	s_cbranch_execz .LBB127_489
; %bb.488:
	v_div_scale_f64 v[8:9], s[10:11], v[0:1], v[0:1], v[2:3]
	v_rcp_f64_e32 v[12:13], v[8:9]
	v_div_scale_f64 v[14:15], vcc, v[2:3], v[0:1], v[2:3]
	v_fma_f64 v[34:35], -v[8:9], v[12:13], 1.0
	v_fmac_f64_e32 v[12:13], v[12:13], v[34:35]
	v_fma_f64 v[34:35], -v[8:9], v[12:13], 1.0
	v_fmac_f64_e32 v[12:13], v[12:13], v[34:35]
	v_mul_f64 v[34:35], v[14:15], v[12:13]
	v_fma_f64 v[8:9], -v[8:9], v[34:35], v[14:15]
	v_div_fmas_f64 v[8:9], v[8:9], v[12:13], v[34:35]
	v_div_fixup_f64 v[8:9], v[8:9], v[0:1], v[2:3]
	v_fmac_f64_e32 v[0:1], v[2:3], v[8:9]
	v_div_scale_f64 v[2:3], s[10:11], v[0:1], v[0:1], 1.0
	v_rcp_f64_e32 v[12:13], v[2:3]
	s_nop 0
	v_fma_f64 v[14:15], -v[2:3], v[12:13], 1.0
	v_fmac_f64_e32 v[12:13], v[12:13], v[14:15]
	v_fma_f64 v[14:15], -v[2:3], v[12:13], 1.0
	v_fmac_f64_e32 v[12:13], v[12:13], v[14:15]
	v_div_scale_f64 v[14:15], vcc, 1.0, v[0:1], 1.0
	v_mul_f64 v[34:35], v[14:15], v[12:13]
	v_fma_f64 v[2:3], -v[2:3], v[34:35], v[14:15]
	s_nop 1
	v_div_fmas_f64 v[2:3], v[2:3], v[12:13], v[34:35]
	v_div_fixup_f64 v[34:35], v[2:3], v[0:1], 1.0
	v_mul_f64 v[8:9], v[8:9], -v[34:35]
.LBB127_489:
	s_or_b64 exec, exec, s[2:3]
	ds_write2_b64 v10, v[34:35], v[8:9] offset1:1
.LBB127_490:
	s_or_b64 exec, exec, s[4:5]
	s_waitcnt lgkmcnt(0)
	s_barrier
	ds_read2_b64 v[164:167], v10 offset1:1
	v_cmp_lt_u32_e32 vcc, 41, v254
	s_and_saveexec_b64 s[2:3], vcc
	s_cbranch_execz .LBB127_492
; %bb.491:
	scratch_load_dwordx4 v[0:3], off, off offset:656
	s_waitcnt vmcnt(0) lgkmcnt(0)
	v_mul_f64 v[8:9], v[166:167], v[2:3]
	v_mul_f64 v[170:171], v[164:165], v[2:3]
	v_fma_f64 v[168:169], v[164:165], v[0:1], -v[8:9]
	v_fmac_f64_e32 v[170:171], v[166:167], v[0:1]
	ds_read2_b64 v[0:3], v11 offset0:84 offset1:85
	scratch_store_dwordx4 off, v[168:171], off offset:656
	s_waitcnt lgkmcnt(0)
	v_mul_f64 v[8:9], v[2:3], v[170:171]
	v_mul_f64 v[12:13], v[0:1], v[170:171]
	v_fma_f64 v[8:9], v[0:1], v[168:169], -v[8:9]
	v_fmac_f64_e32 v[12:13], v[2:3], v[168:169]
	scratch_load_dwordx4 v[0:3], off, off offset:672
	s_waitcnt vmcnt(0)
	v_add_f64 v[0:1], v[0:1], -v[8:9]
	v_add_f64 v[2:3], v[2:3], -v[12:13]
	scratch_store_dwordx4 off, v[0:3], off offset:672
	ds_read2_b64 v[0:3], v11 offset0:86 offset1:87
	s_waitcnt lgkmcnt(0)
	v_mul_f64 v[8:9], v[2:3], v[170:171]
	v_mul_f64 v[12:13], v[0:1], v[170:171]
	v_fma_f64 v[8:9], v[0:1], v[168:169], -v[8:9]
	v_fmac_f64_e32 v[12:13], v[2:3], v[168:169]
	scratch_load_dwordx4 v[0:3], off, off offset:688
	s_waitcnt vmcnt(0)
	v_add_f64 v[0:1], v[0:1], -v[8:9]
	v_add_f64 v[2:3], v[2:3], -v[12:13]
	scratch_store_dwordx4 off, v[0:3], off offset:688
	ds_read2_b64 v[0:3], v11 offset0:88 offset1:89
	;; [unrolled: 11-line block ×6, first 2 shown]
	scratch_load_dwordx2 v[8:9], off, off offset:656
	scratch_load_dwordx4 v[168:171], off, off offset:656
	s_waitcnt vmcnt(0) lgkmcnt(0)
	v_mul_f64 v[12:13], v[2:3], v[170:171]
	v_mul_f64 v[14:15], v[0:1], v[170:171]
	v_fma_f64 v[12:13], v[0:1], v[8:9], -v[12:13]
	v_fmac_f64_e32 v[14:15], v[2:3], v[8:9]
	scratch_load_dwordx4 v[0:3], off, off offset:768
	s_waitcnt vmcnt(0)
	v_add_f64 v[0:1], v[0:1], -v[12:13]
	v_add_f64 v[2:3], v[2:3], -v[14:15]
	scratch_store_dwordx4 off, v[0:3], off offset:768
	ds_read2_b64 v[0:3], v11 offset0:98 offset1:99
	s_waitcnt lgkmcnt(0)
	v_mul_f64 v[12:13], v[2:3], v[170:171]
	v_mul_f64 v[14:15], v[0:1], v[170:171]
	v_fma_f64 v[12:13], v[0:1], v[8:9], -v[12:13]
	v_fmac_f64_e32 v[14:15], v[2:3], v[8:9]
	scratch_load_dwordx4 v[0:3], off, off offset:784
	s_waitcnt vmcnt(0)
	v_add_f64 v[0:1], v[0:1], -v[12:13]
	v_add_f64 v[2:3], v[2:3], -v[14:15]
	scratch_store_dwordx4 off, v[0:3], off offset:784
	ds_read2_b64 v[0:3], v11 offset0:100 offset1:101
	s_waitcnt lgkmcnt(0)
	;; [unrolled: 11-line block ×5, first 2 shown]
	v_mul_f64 v[12:13], v[2:3], v[170:171]
	v_mul_f64 v[14:15], v[0:1], v[170:171]
	v_fma_f64 v[12:13], v[0:1], v[8:9], -v[12:13]
	v_fmac_f64_e32 v[14:15], v[2:3], v[8:9]
	scratch_load_dwordx4 v[0:3], off, off offset:848
	ds_read2_b64 v[170:173], v11 offset0:108 offset1:109
	s_waitcnt vmcnt(0)
	v_add_f64 v[0:1], v[0:1], -v[12:13]
	v_add_f64 v[2:3], v[2:3], -v[14:15]
	scratch_store_dwordx4 off, v[0:3], off offset:848
	scratch_load_dwordx2 v[0:1], off, off offset:656
	s_nop 0
	scratch_load_dwordx2 v[2:3], off, off offset:664
	s_waitcnt vmcnt(0) lgkmcnt(0)
	v_mul_f64 v[8:9], v[172:173], v[2:3]
	v_mul_f64 v[12:13], v[170:171], v[2:3]
	v_fma_f64 v[8:9], v[170:171], v[0:1], -v[8:9]
	v_fmac_f64_e32 v[12:13], v[172:173], v[0:1]
	scratch_load_dwordx4 v[170:173], off, off offset:864
	s_waitcnt vmcnt(0)
	v_add_f64 v[170:171], v[170:171], -v[8:9]
	v_add_f64 v[172:173], v[172:173], -v[12:13]
	scratch_store_dwordx4 off, v[170:173], off offset:864
	ds_read2_b64 v[170:173], v11 offset0:110 offset1:111
	s_waitcnt lgkmcnt(0)
	v_mul_f64 v[8:9], v[172:173], v[2:3]
	v_mul_f64 v[12:13], v[170:171], v[2:3]
	v_fma_f64 v[8:9], v[170:171], v[0:1], -v[8:9]
	v_fmac_f64_e32 v[12:13], v[172:173], v[0:1]
	scratch_load_dwordx4 v[170:173], off, off offset:880
	s_waitcnt vmcnt(0)
	v_add_f64 v[170:171], v[170:171], -v[8:9]
	v_add_f64 v[172:173], v[172:173], -v[12:13]
	scratch_store_dwordx4 off, v[170:173], off offset:880
	ds_read2_b64 v[170:173], v11 offset0:112 offset1:113
	s_waitcnt lgkmcnt(0)
	;; [unrolled: 11-line block ×5, first 2 shown]
	v_mul_f64 v[8:9], v[172:173], v[2:3]
	v_mul_f64 v[12:13], v[170:171], v[2:3]
	v_fma_f64 v[8:9], v[170:171], v[0:1], -v[8:9]
	v_fmac_f64_e32 v[12:13], v[172:173], v[0:1]
	scratch_load_dwordx4 v[0:3], off, off offset:944
	s_waitcnt vmcnt(0)
	v_add_f64 v[0:1], v[0:1], -v[8:9]
	scratch_load_dwordx2 v[8:9], off, off offset:664
	v_add_f64 v[2:3], v[2:3], -v[12:13]
	scratch_store_dwordx4 off, v[0:3], off offset:944
	ds_read2_b64 v[0:3], v11 offset0:120 offset1:121
	s_waitcnt vmcnt(1) lgkmcnt(0)
	v_mul_f64 v[12:13], v[2:3], v[8:9]
	v_mul_f64 v[14:15], v[0:1], v[8:9]
	v_fma_f64 v[12:13], v[0:1], v[168:169], -v[12:13]
	v_fmac_f64_e32 v[14:15], v[2:3], v[168:169]
	scratch_load_dwordx4 v[0:3], off, off offset:960
	s_waitcnt vmcnt(0)
	v_add_f64 v[0:1], v[0:1], -v[12:13]
	v_add_f64 v[2:3], v[2:3], -v[14:15]
	scratch_store_dwordx4 off, v[0:3], off offset:960
	ds_read2_b64 v[0:3], v11 offset0:122 offset1:123
	s_waitcnt lgkmcnt(0)
	v_mul_f64 v[12:13], v[2:3], v[8:9]
	v_mul_f64 v[14:15], v[0:1], v[8:9]
	v_fma_f64 v[12:13], v[0:1], v[168:169], -v[12:13]
	v_fmac_f64_e32 v[14:15], v[2:3], v[168:169]
	scratch_load_dwordx4 v[0:3], off, off offset:976
	s_waitcnt vmcnt(0)
	v_add_f64 v[0:1], v[0:1], -v[12:13]
	v_add_f64 v[2:3], v[2:3], -v[14:15]
	scratch_store_dwordx4 off, v[0:3], off offset:976
	ds_read2_b64 v[0:3], v11 offset0:124 offset1:125
	s_waitcnt lgkmcnt(0)
	;; [unrolled: 11-line block ×3, first 2 shown]
	v_mul_f64 v[12:13], v[2:3], v[8:9]
	v_mul_f64 v[170:171], v[0:1], v[8:9]
	v_fma_f64 v[34:35], v[0:1], v[168:169], -v[12:13]
	v_fmac_f64_e32 v[170:171], v[2:3], v[168:169]
	scratch_load_dwordx4 v[0:3], off, off offset:1008
	s_waitcnt vmcnt(0)
	v_add_f64 v[0:1], v[0:1], -v[34:35]
	v_add_f64 v[2:3], v[2:3], -v[170:171]
	scratch_store_dwordx4 off, v[0:3], off offset:1008
.LBB127_492:
	s_or_b64 exec, exec, s[2:3]
	v_cmp_eq_u32_e32 vcc, 42, v254
	s_waitcnt lgkmcnt(0)
	s_barrier
	s_and_saveexec_b64 s[4:5], vcc
	s_cbranch_execz .LBB127_499
; %bb.493:
	scratch_load_dwordx4 v[0:3], off, s33
	s_waitcnt vmcnt(0)
	ds_write2_b64 v10, v[0:1], v[2:3] offset1:1
	scratch_load_dwordx4 v[0:3], off, s29
	s_waitcnt vmcnt(0)
	ds_write2_b64 v11, v[0:1], v[2:3] offset0:86 offset1:87
	scratch_load_dwordx4 v[0:3], off, s30
	s_waitcnt vmcnt(0)
	ds_write2_b64 v11, v[0:1], v[2:3] offset0:88 offset1:89
	;; [unrolled: 3-line block ×21, first 2 shown]
	ds_read2_b64 v[0:3], v10 offset1:1
	s_waitcnt lgkmcnt(0)
	v_cmp_neq_f64_e32 vcc, 0, v[0:1]
	v_cmp_neq_f64_e64 s[2:3], 0, v[2:3]
	s_or_b64 s[2:3], vcc, s[2:3]
	s_and_b64 exec, exec, s[2:3]
	s_cbranch_execz .LBB127_499
; %bb.494:
	v_cmp_ngt_f64_e64 s[2:3], |v[0:1]|, |v[2:3]|
                                        ; implicit-def: $vgpr34_vgpr35
	s_and_saveexec_b64 s[10:11], s[2:3]
	s_xor_b64 s[2:3], exec, s[10:11]
                                        ; implicit-def: $vgpr8_vgpr9
	s_cbranch_execz .LBB127_496
; %bb.495:
	v_div_scale_f64 v[8:9], s[10:11], v[2:3], v[2:3], v[0:1]
	v_rcp_f64_e32 v[12:13], v[8:9]
	v_div_scale_f64 v[14:15], vcc, v[0:1], v[2:3], v[0:1]
	v_fma_f64 v[34:35], -v[8:9], v[12:13], 1.0
	v_fmac_f64_e32 v[12:13], v[12:13], v[34:35]
	v_fma_f64 v[34:35], -v[8:9], v[12:13], 1.0
	v_fmac_f64_e32 v[12:13], v[12:13], v[34:35]
	v_mul_f64 v[34:35], v[14:15], v[12:13]
	v_fma_f64 v[8:9], -v[8:9], v[34:35], v[14:15]
	v_div_fmas_f64 v[8:9], v[8:9], v[12:13], v[34:35]
	v_div_fixup_f64 v[12:13], v[8:9], v[2:3], v[0:1]
	v_fmac_f64_e32 v[2:3], v[0:1], v[12:13]
	v_div_scale_f64 v[0:1], s[10:11], v[2:3], v[2:3], 1.0
	v_rcp_f64_e32 v[8:9], v[0:1]
	s_nop 0
	v_fma_f64 v[14:15], -v[0:1], v[8:9], 1.0
	v_fmac_f64_e32 v[8:9], v[8:9], v[14:15]
	v_fma_f64 v[14:15], -v[0:1], v[8:9], 1.0
	v_fmac_f64_e32 v[8:9], v[8:9], v[14:15]
	v_div_scale_f64 v[14:15], vcc, 1.0, v[2:3], 1.0
	v_mul_f64 v[34:35], v[14:15], v[8:9]
	v_fma_f64 v[0:1], -v[0:1], v[34:35], v[14:15]
	s_nop 1
	v_div_fmas_f64 v[0:1], v[0:1], v[8:9], v[34:35]
	v_div_fixup_f64 v[8:9], v[0:1], v[2:3], 1.0
	v_mul_f64 v[34:35], v[12:13], v[8:9]
	v_xor_b32_e32 v9, 0x80000000, v9
                                        ; implicit-def: $vgpr0_vgpr1
.LBB127_496:
	s_andn2_saveexec_b64 s[2:3], s[2:3]
	s_cbranch_execz .LBB127_498
; %bb.497:
	v_div_scale_f64 v[8:9], s[10:11], v[0:1], v[0:1], v[2:3]
	v_rcp_f64_e32 v[12:13], v[8:9]
	v_div_scale_f64 v[14:15], vcc, v[2:3], v[0:1], v[2:3]
	v_fma_f64 v[34:35], -v[8:9], v[12:13], 1.0
	v_fmac_f64_e32 v[12:13], v[12:13], v[34:35]
	v_fma_f64 v[34:35], -v[8:9], v[12:13], 1.0
	v_fmac_f64_e32 v[12:13], v[12:13], v[34:35]
	v_mul_f64 v[34:35], v[14:15], v[12:13]
	v_fma_f64 v[8:9], -v[8:9], v[34:35], v[14:15]
	v_div_fmas_f64 v[8:9], v[8:9], v[12:13], v[34:35]
	v_div_fixup_f64 v[8:9], v[8:9], v[0:1], v[2:3]
	v_fmac_f64_e32 v[0:1], v[2:3], v[8:9]
	v_div_scale_f64 v[2:3], s[10:11], v[0:1], v[0:1], 1.0
	v_rcp_f64_e32 v[12:13], v[2:3]
	s_nop 0
	v_fma_f64 v[14:15], -v[2:3], v[12:13], 1.0
	v_fmac_f64_e32 v[12:13], v[12:13], v[14:15]
	v_fma_f64 v[14:15], -v[2:3], v[12:13], 1.0
	v_fmac_f64_e32 v[12:13], v[12:13], v[14:15]
	v_div_scale_f64 v[14:15], vcc, 1.0, v[0:1], 1.0
	v_mul_f64 v[34:35], v[14:15], v[12:13]
	v_fma_f64 v[2:3], -v[2:3], v[34:35], v[14:15]
	s_nop 1
	v_div_fmas_f64 v[2:3], v[2:3], v[12:13], v[34:35]
	v_div_fixup_f64 v[34:35], v[2:3], v[0:1], 1.0
	v_mul_f64 v[8:9], v[8:9], -v[34:35]
.LBB127_498:
	s_or_b64 exec, exec, s[2:3]
	ds_write2_b64 v10, v[34:35], v[8:9] offset1:1
.LBB127_499:
	s_or_b64 exec, exec, s[4:5]
	s_waitcnt lgkmcnt(0)
	s_barrier
	ds_read2_b64 v[168:171], v10 offset1:1
	v_cmp_lt_u32_e32 vcc, 42, v254
	s_and_saveexec_b64 s[2:3], vcc
	s_cbranch_execz .LBB127_501
; %bb.500:
	scratch_load_dwordx4 v[0:3], off, off offset:672
	s_waitcnt vmcnt(0) lgkmcnt(0)
	v_mul_f64 v[8:9], v[170:171], v[2:3]
	v_mul_f64 v[174:175], v[168:169], v[2:3]
	v_fma_f64 v[172:173], v[168:169], v[0:1], -v[8:9]
	v_fmac_f64_e32 v[174:175], v[170:171], v[0:1]
	ds_read2_b64 v[0:3], v11 offset0:86 offset1:87
	scratch_store_dwordx4 off, v[172:175], off offset:672
	s_waitcnt lgkmcnt(0)
	v_mul_f64 v[8:9], v[2:3], v[174:175]
	v_mul_f64 v[12:13], v[0:1], v[174:175]
	v_fma_f64 v[8:9], v[0:1], v[172:173], -v[8:9]
	v_fmac_f64_e32 v[12:13], v[2:3], v[172:173]
	scratch_load_dwordx4 v[0:3], off, off offset:688
	s_waitcnt vmcnt(0)
	v_add_f64 v[0:1], v[0:1], -v[8:9]
	v_add_f64 v[2:3], v[2:3], -v[12:13]
	scratch_store_dwordx4 off, v[0:3], off offset:688
	ds_read2_b64 v[0:3], v11 offset0:88 offset1:89
	s_waitcnt lgkmcnt(0)
	v_mul_f64 v[8:9], v[2:3], v[174:175]
	v_mul_f64 v[12:13], v[0:1], v[174:175]
	v_fma_f64 v[8:9], v[0:1], v[172:173], -v[8:9]
	v_fmac_f64_e32 v[12:13], v[2:3], v[172:173]
	scratch_load_dwordx4 v[0:3], off, off offset:704
	s_waitcnt vmcnt(0)
	v_add_f64 v[0:1], v[0:1], -v[8:9]
	v_add_f64 v[2:3], v[2:3], -v[12:13]
	scratch_store_dwordx4 off, v[0:3], off offset:704
	ds_read2_b64 v[0:3], v11 offset0:90 offset1:91
	;; [unrolled: 11-line block ×6, first 2 shown]
	scratch_load_dwordx2 v[8:9], off, off offset:672
	scratch_load_dwordx4 v[172:175], off, off offset:672
	s_waitcnt vmcnt(0) lgkmcnt(0)
	v_mul_f64 v[12:13], v[2:3], v[174:175]
	v_mul_f64 v[14:15], v[0:1], v[174:175]
	v_fma_f64 v[12:13], v[0:1], v[8:9], -v[12:13]
	v_fmac_f64_e32 v[14:15], v[2:3], v[8:9]
	scratch_load_dwordx4 v[0:3], off, off offset:784
	s_waitcnt vmcnt(0)
	v_add_f64 v[0:1], v[0:1], -v[12:13]
	v_add_f64 v[2:3], v[2:3], -v[14:15]
	scratch_store_dwordx4 off, v[0:3], off offset:784
	ds_read2_b64 v[0:3], v11 offset0:100 offset1:101
	s_waitcnt lgkmcnt(0)
	v_mul_f64 v[12:13], v[2:3], v[174:175]
	v_mul_f64 v[14:15], v[0:1], v[174:175]
	v_fma_f64 v[12:13], v[0:1], v[8:9], -v[12:13]
	v_fmac_f64_e32 v[14:15], v[2:3], v[8:9]
	scratch_load_dwordx4 v[0:3], off, off offset:800
	s_waitcnt vmcnt(0)
	v_add_f64 v[0:1], v[0:1], -v[12:13]
	v_add_f64 v[2:3], v[2:3], -v[14:15]
	scratch_store_dwordx4 off, v[0:3], off offset:800
	ds_read2_b64 v[0:3], v11 offset0:102 offset1:103
	s_waitcnt lgkmcnt(0)
	;; [unrolled: 11-line block ×5, first 2 shown]
	v_mul_f64 v[12:13], v[2:3], v[174:175]
	v_mul_f64 v[14:15], v[0:1], v[174:175]
	v_fma_f64 v[12:13], v[0:1], v[8:9], -v[12:13]
	v_fmac_f64_e32 v[14:15], v[2:3], v[8:9]
	scratch_load_dwordx4 v[0:3], off, off offset:864
	ds_read2_b64 v[174:177], v11 offset0:110 offset1:111
	s_waitcnt vmcnt(0)
	v_add_f64 v[0:1], v[0:1], -v[12:13]
	v_add_f64 v[2:3], v[2:3], -v[14:15]
	scratch_store_dwordx4 off, v[0:3], off offset:864
	scratch_load_dwordx2 v[0:1], off, off offset:672
	s_nop 0
	scratch_load_dwordx2 v[2:3], off, off offset:680
	s_waitcnt vmcnt(0) lgkmcnt(0)
	v_mul_f64 v[8:9], v[176:177], v[2:3]
	v_mul_f64 v[12:13], v[174:175], v[2:3]
	v_fma_f64 v[8:9], v[174:175], v[0:1], -v[8:9]
	v_fmac_f64_e32 v[12:13], v[176:177], v[0:1]
	scratch_load_dwordx4 v[174:177], off, off offset:880
	s_waitcnt vmcnt(0)
	v_add_f64 v[174:175], v[174:175], -v[8:9]
	v_add_f64 v[176:177], v[176:177], -v[12:13]
	scratch_store_dwordx4 off, v[174:177], off offset:880
	ds_read2_b64 v[174:177], v11 offset0:112 offset1:113
	s_waitcnt lgkmcnt(0)
	v_mul_f64 v[8:9], v[176:177], v[2:3]
	v_mul_f64 v[12:13], v[174:175], v[2:3]
	v_fma_f64 v[8:9], v[174:175], v[0:1], -v[8:9]
	v_fmac_f64_e32 v[12:13], v[176:177], v[0:1]
	scratch_load_dwordx4 v[174:177], off, off offset:896
	s_waitcnt vmcnt(0)
	v_add_f64 v[174:175], v[174:175], -v[8:9]
	v_add_f64 v[176:177], v[176:177], -v[12:13]
	scratch_store_dwordx4 off, v[174:177], off offset:896
	ds_read2_b64 v[174:177], v11 offset0:114 offset1:115
	s_waitcnt lgkmcnt(0)
	;; [unrolled: 11-line block ×5, first 2 shown]
	v_mul_f64 v[8:9], v[176:177], v[2:3]
	v_mul_f64 v[12:13], v[174:175], v[2:3]
	v_fma_f64 v[8:9], v[174:175], v[0:1], -v[8:9]
	v_fmac_f64_e32 v[12:13], v[176:177], v[0:1]
	scratch_load_dwordx4 v[0:3], off, off offset:960
	s_waitcnt vmcnt(0)
	v_add_f64 v[0:1], v[0:1], -v[8:9]
	scratch_load_dwordx2 v[8:9], off, off offset:680
	v_add_f64 v[2:3], v[2:3], -v[12:13]
	scratch_store_dwordx4 off, v[0:3], off offset:960
	ds_read2_b64 v[0:3], v11 offset0:122 offset1:123
	s_waitcnt vmcnt(1) lgkmcnt(0)
	v_mul_f64 v[12:13], v[2:3], v[8:9]
	v_mul_f64 v[14:15], v[0:1], v[8:9]
	v_fma_f64 v[12:13], v[0:1], v[172:173], -v[12:13]
	v_fmac_f64_e32 v[14:15], v[2:3], v[172:173]
	scratch_load_dwordx4 v[0:3], off, off offset:976
	s_waitcnt vmcnt(0)
	v_add_f64 v[0:1], v[0:1], -v[12:13]
	v_add_f64 v[2:3], v[2:3], -v[14:15]
	scratch_store_dwordx4 off, v[0:3], off offset:976
	ds_read2_b64 v[0:3], v11 offset0:124 offset1:125
	s_waitcnt lgkmcnt(0)
	v_mul_f64 v[12:13], v[2:3], v[8:9]
	v_mul_f64 v[14:15], v[0:1], v[8:9]
	v_fma_f64 v[12:13], v[0:1], v[172:173], -v[12:13]
	v_fmac_f64_e32 v[14:15], v[2:3], v[172:173]
	scratch_load_dwordx4 v[0:3], off, off offset:992
	s_waitcnt vmcnt(0)
	v_add_f64 v[0:1], v[0:1], -v[12:13]
	v_add_f64 v[2:3], v[2:3], -v[14:15]
	scratch_store_dwordx4 off, v[0:3], off offset:992
	ds_read2_b64 v[0:3], v11 offset0:126 offset1:127
	s_waitcnt lgkmcnt(0)
	v_mul_f64 v[12:13], v[2:3], v[8:9]
	v_mul_f64 v[174:175], v[0:1], v[8:9]
	v_fma_f64 v[34:35], v[0:1], v[172:173], -v[12:13]
	v_fmac_f64_e32 v[174:175], v[2:3], v[172:173]
	scratch_load_dwordx4 v[0:3], off, off offset:1008
	s_waitcnt vmcnt(0)
	v_add_f64 v[0:1], v[0:1], -v[34:35]
	v_add_f64 v[2:3], v[2:3], -v[174:175]
	scratch_store_dwordx4 off, v[0:3], off offset:1008
.LBB127_501:
	s_or_b64 exec, exec, s[2:3]
	v_cmp_eq_u32_e32 vcc, 43, v254
	s_waitcnt lgkmcnt(0)
	s_barrier
	s_and_saveexec_b64 s[4:5], vcc
	s_cbranch_execz .LBB127_508
; %bb.502:
	scratch_load_dwordx4 v[0:3], off, s29
	s_waitcnt vmcnt(0)
	ds_write2_b64 v10, v[0:1], v[2:3] offset1:1
	scratch_load_dwordx4 v[0:3], off, s30
	s_waitcnt vmcnt(0)
	ds_write2_b64 v11, v[0:1], v[2:3] offset0:88 offset1:89
	scratch_load_dwordx4 v[0:3], off, s27
	s_waitcnt vmcnt(0)
	ds_write2_b64 v11, v[0:1], v[2:3] offset0:90 offset1:91
	;; [unrolled: 3-line block ×20, first 2 shown]
	ds_read2_b64 v[0:3], v10 offset1:1
	s_waitcnt lgkmcnt(0)
	v_cmp_neq_f64_e32 vcc, 0, v[0:1]
	v_cmp_neq_f64_e64 s[2:3], 0, v[2:3]
	s_or_b64 s[2:3], vcc, s[2:3]
	s_and_b64 exec, exec, s[2:3]
	s_cbranch_execz .LBB127_508
; %bb.503:
	v_cmp_ngt_f64_e64 s[2:3], |v[0:1]|, |v[2:3]|
                                        ; implicit-def: $vgpr34_vgpr35
	s_and_saveexec_b64 s[10:11], s[2:3]
	s_xor_b64 s[2:3], exec, s[10:11]
                                        ; implicit-def: $vgpr8_vgpr9
	s_cbranch_execz .LBB127_505
; %bb.504:
	v_div_scale_f64 v[8:9], s[10:11], v[2:3], v[2:3], v[0:1]
	v_rcp_f64_e32 v[12:13], v[8:9]
	v_div_scale_f64 v[14:15], vcc, v[0:1], v[2:3], v[0:1]
	v_fma_f64 v[34:35], -v[8:9], v[12:13], 1.0
	v_fmac_f64_e32 v[12:13], v[12:13], v[34:35]
	v_fma_f64 v[34:35], -v[8:9], v[12:13], 1.0
	v_fmac_f64_e32 v[12:13], v[12:13], v[34:35]
	v_mul_f64 v[34:35], v[14:15], v[12:13]
	v_fma_f64 v[8:9], -v[8:9], v[34:35], v[14:15]
	v_div_fmas_f64 v[8:9], v[8:9], v[12:13], v[34:35]
	v_div_fixup_f64 v[12:13], v[8:9], v[2:3], v[0:1]
	v_fmac_f64_e32 v[2:3], v[0:1], v[12:13]
	v_div_scale_f64 v[0:1], s[10:11], v[2:3], v[2:3], 1.0
	v_rcp_f64_e32 v[8:9], v[0:1]
	s_nop 0
	v_fma_f64 v[14:15], -v[0:1], v[8:9], 1.0
	v_fmac_f64_e32 v[8:9], v[8:9], v[14:15]
	v_fma_f64 v[14:15], -v[0:1], v[8:9], 1.0
	v_fmac_f64_e32 v[8:9], v[8:9], v[14:15]
	v_div_scale_f64 v[14:15], vcc, 1.0, v[2:3], 1.0
	v_mul_f64 v[34:35], v[14:15], v[8:9]
	v_fma_f64 v[0:1], -v[0:1], v[34:35], v[14:15]
	s_nop 1
	v_div_fmas_f64 v[0:1], v[0:1], v[8:9], v[34:35]
	v_div_fixup_f64 v[8:9], v[0:1], v[2:3], 1.0
	v_mul_f64 v[34:35], v[12:13], v[8:9]
	v_xor_b32_e32 v9, 0x80000000, v9
                                        ; implicit-def: $vgpr0_vgpr1
.LBB127_505:
	s_andn2_saveexec_b64 s[2:3], s[2:3]
	s_cbranch_execz .LBB127_507
; %bb.506:
	v_div_scale_f64 v[8:9], s[10:11], v[0:1], v[0:1], v[2:3]
	v_rcp_f64_e32 v[12:13], v[8:9]
	v_div_scale_f64 v[14:15], vcc, v[2:3], v[0:1], v[2:3]
	v_fma_f64 v[34:35], -v[8:9], v[12:13], 1.0
	v_fmac_f64_e32 v[12:13], v[12:13], v[34:35]
	v_fma_f64 v[34:35], -v[8:9], v[12:13], 1.0
	v_fmac_f64_e32 v[12:13], v[12:13], v[34:35]
	v_mul_f64 v[34:35], v[14:15], v[12:13]
	v_fma_f64 v[8:9], -v[8:9], v[34:35], v[14:15]
	v_div_fmas_f64 v[8:9], v[8:9], v[12:13], v[34:35]
	v_div_fixup_f64 v[8:9], v[8:9], v[0:1], v[2:3]
	v_fmac_f64_e32 v[0:1], v[2:3], v[8:9]
	v_div_scale_f64 v[2:3], s[10:11], v[0:1], v[0:1], 1.0
	v_rcp_f64_e32 v[12:13], v[2:3]
	s_nop 0
	v_fma_f64 v[14:15], -v[2:3], v[12:13], 1.0
	v_fmac_f64_e32 v[12:13], v[12:13], v[14:15]
	v_fma_f64 v[14:15], -v[2:3], v[12:13], 1.0
	v_fmac_f64_e32 v[12:13], v[12:13], v[14:15]
	v_div_scale_f64 v[14:15], vcc, 1.0, v[0:1], 1.0
	v_mul_f64 v[34:35], v[14:15], v[12:13]
	v_fma_f64 v[2:3], -v[2:3], v[34:35], v[14:15]
	s_nop 1
	v_div_fmas_f64 v[2:3], v[2:3], v[12:13], v[34:35]
	v_div_fixup_f64 v[34:35], v[2:3], v[0:1], 1.0
	v_mul_f64 v[8:9], v[8:9], -v[34:35]
.LBB127_507:
	s_or_b64 exec, exec, s[2:3]
	ds_write2_b64 v10, v[34:35], v[8:9] offset1:1
.LBB127_508:
	s_or_b64 exec, exec, s[4:5]
	s_waitcnt lgkmcnt(0)
	s_barrier
	ds_read2_b64 v[172:175], v10 offset1:1
	v_cmp_lt_u32_e32 vcc, 43, v254
	s_and_saveexec_b64 s[2:3], vcc
	s_cbranch_execz .LBB127_510
; %bb.509:
	scratch_load_dwordx4 v[0:3], off, off offset:688
	s_waitcnt vmcnt(0) lgkmcnt(0)
	v_mul_f64 v[8:9], v[174:175], v[2:3]
	v_mul_f64 v[178:179], v[172:173], v[2:3]
	v_fma_f64 v[176:177], v[172:173], v[0:1], -v[8:9]
	v_fmac_f64_e32 v[178:179], v[174:175], v[0:1]
	ds_read2_b64 v[0:3], v11 offset0:88 offset1:89
	scratch_store_dwordx4 off, v[176:179], off offset:688
	s_waitcnt lgkmcnt(0)
	v_mul_f64 v[8:9], v[2:3], v[178:179]
	v_mul_f64 v[12:13], v[0:1], v[178:179]
	v_fma_f64 v[8:9], v[0:1], v[176:177], -v[8:9]
	v_fmac_f64_e32 v[12:13], v[2:3], v[176:177]
	scratch_load_dwordx4 v[0:3], off, off offset:704
	s_waitcnt vmcnt(0)
	v_add_f64 v[0:1], v[0:1], -v[8:9]
	v_add_f64 v[2:3], v[2:3], -v[12:13]
	scratch_store_dwordx4 off, v[0:3], off offset:704
	ds_read2_b64 v[0:3], v11 offset0:90 offset1:91
	s_waitcnt lgkmcnt(0)
	v_mul_f64 v[8:9], v[2:3], v[178:179]
	v_mul_f64 v[12:13], v[0:1], v[178:179]
	v_fma_f64 v[8:9], v[0:1], v[176:177], -v[8:9]
	v_fmac_f64_e32 v[12:13], v[2:3], v[176:177]
	scratch_load_dwordx4 v[0:3], off, off offset:720
	s_waitcnt vmcnt(0)
	v_add_f64 v[0:1], v[0:1], -v[8:9]
	v_add_f64 v[2:3], v[2:3], -v[12:13]
	scratch_store_dwordx4 off, v[0:3], off offset:720
	ds_read2_b64 v[0:3], v11 offset0:92 offset1:93
	;; [unrolled: 11-line block ×6, first 2 shown]
	scratch_load_dwordx2 v[8:9], off, off offset:688
	scratch_load_dwordx4 v[176:179], off, off offset:688
	s_waitcnt vmcnt(0) lgkmcnt(0)
	v_mul_f64 v[12:13], v[2:3], v[178:179]
	v_mul_f64 v[14:15], v[0:1], v[178:179]
	v_fma_f64 v[12:13], v[0:1], v[8:9], -v[12:13]
	v_fmac_f64_e32 v[14:15], v[2:3], v[8:9]
	scratch_load_dwordx4 v[0:3], off, off offset:800
	s_waitcnt vmcnt(0)
	v_add_f64 v[0:1], v[0:1], -v[12:13]
	v_add_f64 v[2:3], v[2:3], -v[14:15]
	scratch_store_dwordx4 off, v[0:3], off offset:800
	ds_read2_b64 v[0:3], v11 offset0:102 offset1:103
	s_waitcnt lgkmcnt(0)
	v_mul_f64 v[12:13], v[2:3], v[178:179]
	v_mul_f64 v[14:15], v[0:1], v[178:179]
	v_fma_f64 v[12:13], v[0:1], v[8:9], -v[12:13]
	v_fmac_f64_e32 v[14:15], v[2:3], v[8:9]
	scratch_load_dwordx4 v[0:3], off, off offset:816
	s_waitcnt vmcnt(0)
	v_add_f64 v[0:1], v[0:1], -v[12:13]
	v_add_f64 v[2:3], v[2:3], -v[14:15]
	scratch_store_dwordx4 off, v[0:3], off offset:816
	ds_read2_b64 v[0:3], v11 offset0:104 offset1:105
	s_waitcnt lgkmcnt(0)
	;; [unrolled: 11-line block ×5, first 2 shown]
	v_mul_f64 v[12:13], v[2:3], v[178:179]
	v_mul_f64 v[14:15], v[0:1], v[178:179]
	v_fma_f64 v[12:13], v[0:1], v[8:9], -v[12:13]
	v_fmac_f64_e32 v[14:15], v[2:3], v[8:9]
	scratch_load_dwordx4 v[0:3], off, off offset:880
	ds_read2_b64 v[178:181], v11 offset0:112 offset1:113
	s_waitcnt vmcnt(0)
	v_add_f64 v[0:1], v[0:1], -v[12:13]
	v_add_f64 v[2:3], v[2:3], -v[14:15]
	scratch_store_dwordx4 off, v[0:3], off offset:880
	scratch_load_dwordx2 v[0:1], off, off offset:688
	s_nop 0
	scratch_load_dwordx2 v[2:3], off, off offset:696
	s_waitcnt vmcnt(0) lgkmcnt(0)
	v_mul_f64 v[8:9], v[180:181], v[2:3]
	v_mul_f64 v[12:13], v[178:179], v[2:3]
	v_fma_f64 v[8:9], v[178:179], v[0:1], -v[8:9]
	v_fmac_f64_e32 v[12:13], v[180:181], v[0:1]
	scratch_load_dwordx4 v[178:181], off, off offset:896
	s_waitcnt vmcnt(0)
	v_add_f64 v[178:179], v[178:179], -v[8:9]
	v_add_f64 v[180:181], v[180:181], -v[12:13]
	scratch_store_dwordx4 off, v[178:181], off offset:896
	ds_read2_b64 v[178:181], v11 offset0:114 offset1:115
	s_waitcnt lgkmcnt(0)
	v_mul_f64 v[8:9], v[180:181], v[2:3]
	v_mul_f64 v[12:13], v[178:179], v[2:3]
	v_fma_f64 v[8:9], v[178:179], v[0:1], -v[8:9]
	v_fmac_f64_e32 v[12:13], v[180:181], v[0:1]
	scratch_load_dwordx4 v[178:181], off, off offset:912
	s_waitcnt vmcnt(0)
	v_add_f64 v[178:179], v[178:179], -v[8:9]
	v_add_f64 v[180:181], v[180:181], -v[12:13]
	scratch_store_dwordx4 off, v[178:181], off offset:912
	ds_read2_b64 v[178:181], v11 offset0:116 offset1:117
	s_waitcnt lgkmcnt(0)
	;; [unrolled: 11-line block ×5, first 2 shown]
	v_mul_f64 v[8:9], v[180:181], v[2:3]
	v_mul_f64 v[12:13], v[178:179], v[2:3]
	v_fma_f64 v[8:9], v[178:179], v[0:1], -v[8:9]
	v_fmac_f64_e32 v[12:13], v[180:181], v[0:1]
	scratch_load_dwordx4 v[0:3], off, off offset:976
	s_waitcnt vmcnt(0)
	v_add_f64 v[0:1], v[0:1], -v[8:9]
	scratch_load_dwordx2 v[8:9], off, off offset:696
	v_add_f64 v[2:3], v[2:3], -v[12:13]
	scratch_store_dwordx4 off, v[0:3], off offset:976
	ds_read2_b64 v[0:3], v11 offset0:124 offset1:125
	s_waitcnt vmcnt(1) lgkmcnt(0)
	v_mul_f64 v[12:13], v[2:3], v[8:9]
	v_mul_f64 v[14:15], v[0:1], v[8:9]
	v_fma_f64 v[12:13], v[0:1], v[176:177], -v[12:13]
	v_fmac_f64_e32 v[14:15], v[2:3], v[176:177]
	scratch_load_dwordx4 v[0:3], off, off offset:992
	s_waitcnt vmcnt(0)
	v_add_f64 v[0:1], v[0:1], -v[12:13]
	v_add_f64 v[2:3], v[2:3], -v[14:15]
	scratch_store_dwordx4 off, v[0:3], off offset:992
	ds_read2_b64 v[0:3], v11 offset0:126 offset1:127
	s_waitcnt lgkmcnt(0)
	v_mul_f64 v[12:13], v[2:3], v[8:9]
	v_mul_f64 v[178:179], v[0:1], v[8:9]
	v_fma_f64 v[34:35], v[0:1], v[176:177], -v[12:13]
	v_fmac_f64_e32 v[178:179], v[2:3], v[176:177]
	scratch_load_dwordx4 v[0:3], off, off offset:1008
	s_waitcnt vmcnt(0)
	v_add_f64 v[0:1], v[0:1], -v[34:35]
	v_add_f64 v[2:3], v[2:3], -v[178:179]
	scratch_store_dwordx4 off, v[0:3], off offset:1008
.LBB127_510:
	s_or_b64 exec, exec, s[2:3]
	v_cmp_eq_u32_e32 vcc, 44, v254
	s_waitcnt lgkmcnt(0)
	s_barrier
	s_and_saveexec_b64 s[4:5], vcc
	s_cbranch_execz .LBB127_517
; %bb.511:
	scratch_load_dwordx4 v[0:3], off, s30
	s_waitcnt vmcnt(0)
	ds_write2_b64 v10, v[0:1], v[2:3] offset1:1
	scratch_load_dwordx4 v[0:3], off, s27
	s_waitcnt vmcnt(0)
	ds_write2_b64 v11, v[0:1], v[2:3] offset0:90 offset1:91
	scratch_load_dwordx4 v[0:3], off, s28
	s_waitcnt vmcnt(0)
	ds_write2_b64 v11, v[0:1], v[2:3] offset0:92 offset1:93
	;; [unrolled: 3-line block ×19, first 2 shown]
	ds_read2_b64 v[0:3], v10 offset1:1
	s_waitcnt lgkmcnt(0)
	v_cmp_neq_f64_e32 vcc, 0, v[0:1]
	v_cmp_neq_f64_e64 s[2:3], 0, v[2:3]
	s_or_b64 s[2:3], vcc, s[2:3]
	s_and_b64 exec, exec, s[2:3]
	s_cbranch_execz .LBB127_517
; %bb.512:
	v_cmp_ngt_f64_e64 s[2:3], |v[0:1]|, |v[2:3]|
                                        ; implicit-def: $vgpr34_vgpr35
	s_and_saveexec_b64 s[10:11], s[2:3]
	s_xor_b64 s[2:3], exec, s[10:11]
                                        ; implicit-def: $vgpr8_vgpr9
	s_cbranch_execz .LBB127_514
; %bb.513:
	v_div_scale_f64 v[8:9], s[10:11], v[2:3], v[2:3], v[0:1]
	v_rcp_f64_e32 v[12:13], v[8:9]
	v_div_scale_f64 v[14:15], vcc, v[0:1], v[2:3], v[0:1]
	v_fma_f64 v[34:35], -v[8:9], v[12:13], 1.0
	v_fmac_f64_e32 v[12:13], v[12:13], v[34:35]
	v_fma_f64 v[34:35], -v[8:9], v[12:13], 1.0
	v_fmac_f64_e32 v[12:13], v[12:13], v[34:35]
	v_mul_f64 v[34:35], v[14:15], v[12:13]
	v_fma_f64 v[8:9], -v[8:9], v[34:35], v[14:15]
	v_div_fmas_f64 v[8:9], v[8:9], v[12:13], v[34:35]
	v_div_fixup_f64 v[12:13], v[8:9], v[2:3], v[0:1]
	v_fmac_f64_e32 v[2:3], v[0:1], v[12:13]
	v_div_scale_f64 v[0:1], s[10:11], v[2:3], v[2:3], 1.0
	v_rcp_f64_e32 v[8:9], v[0:1]
	s_nop 0
	v_fma_f64 v[14:15], -v[0:1], v[8:9], 1.0
	v_fmac_f64_e32 v[8:9], v[8:9], v[14:15]
	v_fma_f64 v[14:15], -v[0:1], v[8:9], 1.0
	v_fmac_f64_e32 v[8:9], v[8:9], v[14:15]
	v_div_scale_f64 v[14:15], vcc, 1.0, v[2:3], 1.0
	v_mul_f64 v[34:35], v[14:15], v[8:9]
	v_fma_f64 v[0:1], -v[0:1], v[34:35], v[14:15]
	s_nop 1
	v_div_fmas_f64 v[0:1], v[0:1], v[8:9], v[34:35]
	v_div_fixup_f64 v[8:9], v[0:1], v[2:3], 1.0
	v_mul_f64 v[34:35], v[12:13], v[8:9]
	v_xor_b32_e32 v9, 0x80000000, v9
                                        ; implicit-def: $vgpr0_vgpr1
.LBB127_514:
	s_andn2_saveexec_b64 s[2:3], s[2:3]
	s_cbranch_execz .LBB127_516
; %bb.515:
	v_div_scale_f64 v[8:9], s[10:11], v[0:1], v[0:1], v[2:3]
	v_rcp_f64_e32 v[12:13], v[8:9]
	v_div_scale_f64 v[14:15], vcc, v[2:3], v[0:1], v[2:3]
	v_fma_f64 v[34:35], -v[8:9], v[12:13], 1.0
	v_fmac_f64_e32 v[12:13], v[12:13], v[34:35]
	v_fma_f64 v[34:35], -v[8:9], v[12:13], 1.0
	v_fmac_f64_e32 v[12:13], v[12:13], v[34:35]
	v_mul_f64 v[34:35], v[14:15], v[12:13]
	v_fma_f64 v[8:9], -v[8:9], v[34:35], v[14:15]
	v_div_fmas_f64 v[8:9], v[8:9], v[12:13], v[34:35]
	v_div_fixup_f64 v[8:9], v[8:9], v[0:1], v[2:3]
	v_fmac_f64_e32 v[0:1], v[2:3], v[8:9]
	v_div_scale_f64 v[2:3], s[10:11], v[0:1], v[0:1], 1.0
	v_rcp_f64_e32 v[12:13], v[2:3]
	s_nop 0
	v_fma_f64 v[14:15], -v[2:3], v[12:13], 1.0
	v_fmac_f64_e32 v[12:13], v[12:13], v[14:15]
	v_fma_f64 v[14:15], -v[2:3], v[12:13], 1.0
	v_fmac_f64_e32 v[12:13], v[12:13], v[14:15]
	v_div_scale_f64 v[14:15], vcc, 1.0, v[0:1], 1.0
	v_mul_f64 v[34:35], v[14:15], v[12:13]
	v_fma_f64 v[2:3], -v[2:3], v[34:35], v[14:15]
	s_nop 1
	v_div_fmas_f64 v[2:3], v[2:3], v[12:13], v[34:35]
	v_div_fixup_f64 v[34:35], v[2:3], v[0:1], 1.0
	v_mul_f64 v[8:9], v[8:9], -v[34:35]
.LBB127_516:
	s_or_b64 exec, exec, s[2:3]
	ds_write2_b64 v10, v[34:35], v[8:9] offset1:1
.LBB127_517:
	s_or_b64 exec, exec, s[4:5]
	s_waitcnt lgkmcnt(0)
	s_barrier
	ds_read2_b64 v[176:179], v10 offset1:1
	v_cmp_lt_u32_e32 vcc, 44, v254
	s_and_saveexec_b64 s[2:3], vcc
	s_cbranch_execz .LBB127_519
; %bb.518:
	scratch_load_dwordx4 v[0:3], off, off offset:704
	s_waitcnt vmcnt(0) lgkmcnt(0)
	v_mul_f64 v[8:9], v[178:179], v[2:3]
	v_mul_f64 v[182:183], v[176:177], v[2:3]
	v_fma_f64 v[180:181], v[176:177], v[0:1], -v[8:9]
	v_fmac_f64_e32 v[182:183], v[178:179], v[0:1]
	ds_read2_b64 v[0:3], v11 offset0:90 offset1:91
	scratch_store_dwordx4 off, v[180:183], off offset:704
	s_waitcnt lgkmcnt(0)
	v_mul_f64 v[8:9], v[2:3], v[182:183]
	v_mul_f64 v[12:13], v[0:1], v[182:183]
	v_fma_f64 v[8:9], v[0:1], v[180:181], -v[8:9]
	v_fmac_f64_e32 v[12:13], v[2:3], v[180:181]
	scratch_load_dwordx4 v[0:3], off, off offset:720
	s_waitcnt vmcnt(0)
	v_add_f64 v[0:1], v[0:1], -v[8:9]
	v_add_f64 v[2:3], v[2:3], -v[12:13]
	scratch_store_dwordx4 off, v[0:3], off offset:720
	ds_read2_b64 v[0:3], v11 offset0:92 offset1:93
	s_waitcnt lgkmcnt(0)
	v_mul_f64 v[8:9], v[2:3], v[182:183]
	v_mul_f64 v[12:13], v[0:1], v[182:183]
	v_fma_f64 v[8:9], v[0:1], v[180:181], -v[8:9]
	v_fmac_f64_e32 v[12:13], v[2:3], v[180:181]
	scratch_load_dwordx4 v[0:3], off, off offset:736
	s_waitcnt vmcnt(0)
	v_add_f64 v[0:1], v[0:1], -v[8:9]
	v_add_f64 v[2:3], v[2:3], -v[12:13]
	scratch_store_dwordx4 off, v[0:3], off offset:736
	ds_read2_b64 v[0:3], v11 offset0:94 offset1:95
	;; [unrolled: 11-line block ×6, first 2 shown]
	scratch_load_dwordx2 v[8:9], off, off offset:704
	scratch_load_dwordx4 v[180:183], off, off offset:704
	s_waitcnt vmcnt(0) lgkmcnt(0)
	v_mul_f64 v[12:13], v[2:3], v[182:183]
	v_mul_f64 v[14:15], v[0:1], v[182:183]
	v_fma_f64 v[12:13], v[0:1], v[8:9], -v[12:13]
	v_fmac_f64_e32 v[14:15], v[2:3], v[8:9]
	scratch_load_dwordx4 v[0:3], off, off offset:816
	s_waitcnt vmcnt(0)
	v_add_f64 v[0:1], v[0:1], -v[12:13]
	v_add_f64 v[2:3], v[2:3], -v[14:15]
	scratch_store_dwordx4 off, v[0:3], off offset:816
	ds_read2_b64 v[0:3], v11 offset0:104 offset1:105
	s_waitcnt lgkmcnt(0)
	v_mul_f64 v[12:13], v[2:3], v[182:183]
	v_mul_f64 v[14:15], v[0:1], v[182:183]
	v_fma_f64 v[12:13], v[0:1], v[8:9], -v[12:13]
	v_fmac_f64_e32 v[14:15], v[2:3], v[8:9]
	scratch_load_dwordx4 v[0:3], off, off offset:832
	s_waitcnt vmcnt(0)
	v_add_f64 v[0:1], v[0:1], -v[12:13]
	v_add_f64 v[2:3], v[2:3], -v[14:15]
	scratch_store_dwordx4 off, v[0:3], off offset:832
	ds_read2_b64 v[0:3], v11 offset0:106 offset1:107
	s_waitcnt lgkmcnt(0)
	;; [unrolled: 11-line block ×5, first 2 shown]
	v_mul_f64 v[12:13], v[2:3], v[182:183]
	v_mul_f64 v[14:15], v[0:1], v[182:183]
	v_fma_f64 v[12:13], v[0:1], v[8:9], -v[12:13]
	v_fmac_f64_e32 v[14:15], v[2:3], v[8:9]
	scratch_load_dwordx4 v[0:3], off, off offset:896
	ds_read2_b64 v[182:185], v11 offset0:114 offset1:115
	s_waitcnt vmcnt(0)
	v_add_f64 v[0:1], v[0:1], -v[12:13]
	v_add_f64 v[2:3], v[2:3], -v[14:15]
	scratch_store_dwordx4 off, v[0:3], off offset:896
	scratch_load_dwordx2 v[0:1], off, off offset:704
	s_nop 0
	scratch_load_dwordx2 v[2:3], off, off offset:712
	s_waitcnt vmcnt(0) lgkmcnt(0)
	v_mul_f64 v[8:9], v[184:185], v[2:3]
	v_mul_f64 v[12:13], v[182:183], v[2:3]
	v_fma_f64 v[8:9], v[182:183], v[0:1], -v[8:9]
	v_fmac_f64_e32 v[12:13], v[184:185], v[0:1]
	scratch_load_dwordx4 v[182:185], off, off offset:912
	s_waitcnt vmcnt(0)
	v_add_f64 v[182:183], v[182:183], -v[8:9]
	v_add_f64 v[184:185], v[184:185], -v[12:13]
	scratch_store_dwordx4 off, v[182:185], off offset:912
	ds_read2_b64 v[182:185], v11 offset0:116 offset1:117
	s_waitcnt lgkmcnt(0)
	v_mul_f64 v[8:9], v[184:185], v[2:3]
	v_mul_f64 v[12:13], v[182:183], v[2:3]
	v_fma_f64 v[8:9], v[182:183], v[0:1], -v[8:9]
	v_fmac_f64_e32 v[12:13], v[184:185], v[0:1]
	scratch_load_dwordx4 v[182:185], off, off offset:928
	s_waitcnt vmcnt(0)
	v_add_f64 v[182:183], v[182:183], -v[8:9]
	v_add_f64 v[184:185], v[184:185], -v[12:13]
	scratch_store_dwordx4 off, v[182:185], off offset:928
	ds_read2_b64 v[182:185], v11 offset0:118 offset1:119
	s_waitcnt lgkmcnt(0)
	;; [unrolled: 11-line block ×5, first 2 shown]
	v_mul_f64 v[8:9], v[184:185], v[2:3]
	v_mul_f64 v[12:13], v[182:183], v[2:3]
	v_fma_f64 v[8:9], v[182:183], v[0:1], -v[8:9]
	v_fmac_f64_e32 v[12:13], v[184:185], v[0:1]
	scratch_load_dwordx4 v[0:3], off, off offset:992
	s_waitcnt vmcnt(0)
	v_add_f64 v[0:1], v[0:1], -v[8:9]
	scratch_load_dwordx2 v[8:9], off, off offset:712
	v_add_f64 v[2:3], v[2:3], -v[12:13]
	scratch_store_dwordx4 off, v[0:3], off offset:992
	ds_read2_b64 v[0:3], v11 offset0:126 offset1:127
	s_waitcnt vmcnt(1) lgkmcnt(0)
	v_mul_f64 v[12:13], v[2:3], v[8:9]
	v_mul_f64 v[182:183], v[0:1], v[8:9]
	v_fma_f64 v[34:35], v[0:1], v[180:181], -v[12:13]
	v_fmac_f64_e32 v[182:183], v[2:3], v[180:181]
	scratch_load_dwordx4 v[0:3], off, off offset:1008
	s_waitcnt vmcnt(0)
	v_add_f64 v[0:1], v[0:1], -v[34:35]
	v_add_f64 v[2:3], v[2:3], -v[182:183]
	scratch_store_dwordx4 off, v[0:3], off offset:1008
.LBB127_519:
	s_or_b64 exec, exec, s[2:3]
	v_cmp_eq_u32_e32 vcc, 45, v254
	s_waitcnt lgkmcnt(0)
	s_barrier
	s_and_saveexec_b64 s[4:5], vcc
	s_cbranch_execz .LBB127_526
; %bb.520:
	scratch_load_dwordx4 v[0:3], off, s27
	s_waitcnt vmcnt(0)
	ds_write2_b64 v10, v[0:1], v[2:3] offset1:1
	scratch_load_dwordx4 v[0:3], off, s28
	s_waitcnt vmcnt(0)
	ds_write2_b64 v11, v[0:1], v[2:3] offset0:92 offset1:93
	scratch_load_dwordx4 v[0:3], off, s25
	s_waitcnt vmcnt(0)
	ds_write2_b64 v11, v[0:1], v[2:3] offset0:94 offset1:95
	;; [unrolled: 3-line block ×18, first 2 shown]
	ds_read2_b64 v[0:3], v10 offset1:1
	s_waitcnt lgkmcnt(0)
	v_cmp_neq_f64_e32 vcc, 0, v[0:1]
	v_cmp_neq_f64_e64 s[2:3], 0, v[2:3]
	s_or_b64 s[2:3], vcc, s[2:3]
	s_and_b64 exec, exec, s[2:3]
	s_cbranch_execz .LBB127_526
; %bb.521:
	v_cmp_ngt_f64_e64 s[2:3], |v[0:1]|, |v[2:3]|
                                        ; implicit-def: $vgpr34_vgpr35
	s_and_saveexec_b64 s[10:11], s[2:3]
	s_xor_b64 s[2:3], exec, s[10:11]
                                        ; implicit-def: $vgpr8_vgpr9
	s_cbranch_execz .LBB127_523
; %bb.522:
	v_div_scale_f64 v[8:9], s[10:11], v[2:3], v[2:3], v[0:1]
	v_rcp_f64_e32 v[12:13], v[8:9]
	v_div_scale_f64 v[14:15], vcc, v[0:1], v[2:3], v[0:1]
	v_fma_f64 v[34:35], -v[8:9], v[12:13], 1.0
	v_fmac_f64_e32 v[12:13], v[12:13], v[34:35]
	v_fma_f64 v[34:35], -v[8:9], v[12:13], 1.0
	v_fmac_f64_e32 v[12:13], v[12:13], v[34:35]
	v_mul_f64 v[34:35], v[14:15], v[12:13]
	v_fma_f64 v[8:9], -v[8:9], v[34:35], v[14:15]
	v_div_fmas_f64 v[8:9], v[8:9], v[12:13], v[34:35]
	v_div_fixup_f64 v[12:13], v[8:9], v[2:3], v[0:1]
	v_fmac_f64_e32 v[2:3], v[0:1], v[12:13]
	v_div_scale_f64 v[0:1], s[10:11], v[2:3], v[2:3], 1.0
	v_rcp_f64_e32 v[8:9], v[0:1]
	s_nop 0
	v_fma_f64 v[14:15], -v[0:1], v[8:9], 1.0
	v_fmac_f64_e32 v[8:9], v[8:9], v[14:15]
	v_fma_f64 v[14:15], -v[0:1], v[8:9], 1.0
	v_fmac_f64_e32 v[8:9], v[8:9], v[14:15]
	v_div_scale_f64 v[14:15], vcc, 1.0, v[2:3], 1.0
	v_mul_f64 v[34:35], v[14:15], v[8:9]
	v_fma_f64 v[0:1], -v[0:1], v[34:35], v[14:15]
	s_nop 1
	v_div_fmas_f64 v[0:1], v[0:1], v[8:9], v[34:35]
	v_div_fixup_f64 v[8:9], v[0:1], v[2:3], 1.0
	v_mul_f64 v[34:35], v[12:13], v[8:9]
	v_xor_b32_e32 v9, 0x80000000, v9
                                        ; implicit-def: $vgpr0_vgpr1
.LBB127_523:
	s_andn2_saveexec_b64 s[2:3], s[2:3]
	s_cbranch_execz .LBB127_525
; %bb.524:
	v_div_scale_f64 v[8:9], s[10:11], v[0:1], v[0:1], v[2:3]
	v_rcp_f64_e32 v[12:13], v[8:9]
	v_div_scale_f64 v[14:15], vcc, v[2:3], v[0:1], v[2:3]
	v_fma_f64 v[34:35], -v[8:9], v[12:13], 1.0
	v_fmac_f64_e32 v[12:13], v[12:13], v[34:35]
	v_fma_f64 v[34:35], -v[8:9], v[12:13], 1.0
	v_fmac_f64_e32 v[12:13], v[12:13], v[34:35]
	v_mul_f64 v[34:35], v[14:15], v[12:13]
	v_fma_f64 v[8:9], -v[8:9], v[34:35], v[14:15]
	v_div_fmas_f64 v[8:9], v[8:9], v[12:13], v[34:35]
	v_div_fixup_f64 v[8:9], v[8:9], v[0:1], v[2:3]
	v_fmac_f64_e32 v[0:1], v[2:3], v[8:9]
	v_div_scale_f64 v[2:3], s[10:11], v[0:1], v[0:1], 1.0
	v_rcp_f64_e32 v[12:13], v[2:3]
	s_nop 0
	v_fma_f64 v[14:15], -v[2:3], v[12:13], 1.0
	v_fmac_f64_e32 v[12:13], v[12:13], v[14:15]
	v_fma_f64 v[14:15], -v[2:3], v[12:13], 1.0
	v_fmac_f64_e32 v[12:13], v[12:13], v[14:15]
	v_div_scale_f64 v[14:15], vcc, 1.0, v[0:1], 1.0
	v_mul_f64 v[34:35], v[14:15], v[12:13]
	v_fma_f64 v[2:3], -v[2:3], v[34:35], v[14:15]
	s_nop 1
	v_div_fmas_f64 v[2:3], v[2:3], v[12:13], v[34:35]
	v_div_fixup_f64 v[34:35], v[2:3], v[0:1], 1.0
	v_mul_f64 v[8:9], v[8:9], -v[34:35]
.LBB127_525:
	s_or_b64 exec, exec, s[2:3]
	ds_write2_b64 v10, v[34:35], v[8:9] offset1:1
.LBB127_526:
	s_or_b64 exec, exec, s[4:5]
	s_waitcnt lgkmcnt(0)
	s_barrier
	ds_read2_b64 v[180:183], v10 offset1:1
	v_cmp_lt_u32_e32 vcc, 45, v254
	s_and_saveexec_b64 s[2:3], vcc
	s_cbranch_execz .LBB127_528
; %bb.527:
	scratch_load_dwordx4 v[0:3], off, off offset:720
	s_waitcnt vmcnt(0) lgkmcnt(0)
	v_mul_f64 v[8:9], v[182:183], v[2:3]
	v_mul_f64 v[186:187], v[180:181], v[2:3]
	v_fma_f64 v[184:185], v[180:181], v[0:1], -v[8:9]
	v_fmac_f64_e32 v[186:187], v[182:183], v[0:1]
	ds_read2_b64 v[0:3], v11 offset0:92 offset1:93
	scratch_store_dwordx4 off, v[184:187], off offset:720
	s_waitcnt lgkmcnt(0)
	v_mul_f64 v[8:9], v[2:3], v[186:187]
	v_mul_f64 v[12:13], v[0:1], v[186:187]
	v_fma_f64 v[8:9], v[0:1], v[184:185], -v[8:9]
	v_fmac_f64_e32 v[12:13], v[2:3], v[184:185]
	scratch_load_dwordx4 v[0:3], off, off offset:736
	s_waitcnt vmcnt(0)
	v_add_f64 v[0:1], v[0:1], -v[8:9]
	v_add_f64 v[2:3], v[2:3], -v[12:13]
	scratch_store_dwordx4 off, v[0:3], off offset:736
	ds_read2_b64 v[0:3], v11 offset0:94 offset1:95
	s_waitcnt lgkmcnt(0)
	v_mul_f64 v[8:9], v[2:3], v[186:187]
	v_mul_f64 v[12:13], v[0:1], v[186:187]
	v_fma_f64 v[8:9], v[0:1], v[184:185], -v[8:9]
	v_fmac_f64_e32 v[12:13], v[2:3], v[184:185]
	scratch_load_dwordx4 v[0:3], off, off offset:752
	s_waitcnt vmcnt(0)
	v_add_f64 v[0:1], v[0:1], -v[8:9]
	v_add_f64 v[2:3], v[2:3], -v[12:13]
	scratch_store_dwordx4 off, v[0:3], off offset:752
	ds_read2_b64 v[0:3], v11 offset0:96 offset1:97
	;; [unrolled: 11-line block ×6, first 2 shown]
	scratch_load_dwordx2 v[8:9], off, off offset:720
	scratch_load_dwordx4 v[184:187], off, off offset:720
	s_waitcnt vmcnt(0) lgkmcnt(0)
	v_mul_f64 v[12:13], v[2:3], v[186:187]
	v_mul_f64 v[14:15], v[0:1], v[186:187]
	v_fma_f64 v[12:13], v[0:1], v[8:9], -v[12:13]
	v_fmac_f64_e32 v[14:15], v[2:3], v[8:9]
	scratch_load_dwordx4 v[0:3], off, off offset:832
	s_waitcnt vmcnt(0)
	v_add_f64 v[0:1], v[0:1], -v[12:13]
	v_add_f64 v[2:3], v[2:3], -v[14:15]
	scratch_store_dwordx4 off, v[0:3], off offset:832
	ds_read2_b64 v[0:3], v11 offset0:106 offset1:107
	s_waitcnt lgkmcnt(0)
	v_mul_f64 v[12:13], v[2:3], v[186:187]
	v_mul_f64 v[14:15], v[0:1], v[186:187]
	v_fma_f64 v[12:13], v[0:1], v[8:9], -v[12:13]
	v_fmac_f64_e32 v[14:15], v[2:3], v[8:9]
	scratch_load_dwordx4 v[0:3], off, off offset:848
	s_waitcnt vmcnt(0)
	v_add_f64 v[0:1], v[0:1], -v[12:13]
	v_add_f64 v[2:3], v[2:3], -v[14:15]
	scratch_store_dwordx4 off, v[0:3], off offset:848
	ds_read2_b64 v[0:3], v11 offset0:108 offset1:109
	s_waitcnt lgkmcnt(0)
	;; [unrolled: 11-line block ×5, first 2 shown]
	v_mul_f64 v[12:13], v[2:3], v[186:187]
	v_mul_f64 v[14:15], v[0:1], v[186:187]
	v_fma_f64 v[12:13], v[0:1], v[8:9], -v[12:13]
	v_fmac_f64_e32 v[14:15], v[2:3], v[8:9]
	scratch_load_dwordx4 v[0:3], off, off offset:912
	scratch_load_dwordx2 v[186:187], off, off offset:728
	s_waitcnt vmcnt(1)
	v_add_f64 v[0:1], v[0:1], -v[12:13]
	v_add_f64 v[2:3], v[2:3], -v[14:15]
	scratch_store_dwordx4 off, v[0:3], off offset:912
	ds_read2_b64 v[0:3], v11 offset0:116 offset1:117
	s_waitcnt vmcnt(1) lgkmcnt(0)
	v_mul_f64 v[8:9], v[2:3], v[186:187]
	v_mul_f64 v[12:13], v[0:1], v[186:187]
	v_fma_f64 v[8:9], v[0:1], v[184:185], -v[8:9]
	v_fmac_f64_e32 v[12:13], v[2:3], v[184:185]
	scratch_load_dwordx4 v[0:3], off, off offset:928
	s_waitcnt vmcnt(0)
	v_add_f64 v[0:1], v[0:1], -v[8:9]
	v_add_f64 v[2:3], v[2:3], -v[12:13]
	scratch_store_dwordx4 off, v[0:3], off offset:928
	ds_read2_b64 v[0:3], v11 offset0:118 offset1:119
	s_waitcnt lgkmcnt(0)
	v_mul_f64 v[8:9], v[2:3], v[186:187]
	v_mul_f64 v[12:13], v[0:1], v[186:187]
	v_fma_f64 v[8:9], v[0:1], v[184:185], -v[8:9]
	v_fmac_f64_e32 v[12:13], v[2:3], v[184:185]
	scratch_load_dwordx4 v[0:3], off, off offset:944
	s_waitcnt vmcnt(0)
	v_add_f64 v[0:1], v[0:1], -v[8:9]
	v_add_f64 v[2:3], v[2:3], -v[12:13]
	scratch_store_dwordx4 off, v[0:3], off offset:944
	ds_read2_b64 v[0:3], v11 offset0:120 offset1:121
	s_waitcnt lgkmcnt(0)
	;; [unrolled: 11-line block ×5, first 2 shown]
	v_mul_f64 v[8:9], v[2:3], v[186:187]
	v_mul_f64 v[186:187], v[0:1], v[186:187]
	v_fma_f64 v[34:35], v[0:1], v[184:185], -v[8:9]
	v_fmac_f64_e32 v[186:187], v[2:3], v[184:185]
	scratch_load_dwordx4 v[0:3], off, off offset:1008
	s_waitcnt vmcnt(0)
	v_add_f64 v[0:1], v[0:1], -v[34:35]
	v_add_f64 v[2:3], v[2:3], -v[186:187]
	scratch_store_dwordx4 off, v[0:3], off offset:1008
.LBB127_528:
	s_or_b64 exec, exec, s[2:3]
	v_cmp_eq_u32_e32 vcc, 46, v254
	s_waitcnt lgkmcnt(0)
	s_barrier
	s_and_saveexec_b64 s[4:5], vcc
	s_cbranch_execz .LBB127_535
; %bb.529:
	scratch_load_dwordx4 v[0:3], off, s28
	s_waitcnt vmcnt(0)
	ds_write2_b64 v10, v[0:1], v[2:3] offset1:1
	scratch_load_dwordx4 v[0:3], off, s25
	s_waitcnt vmcnt(0)
	ds_write2_b64 v11, v[0:1], v[2:3] offset0:94 offset1:95
	scratch_load_dwordx4 v[0:3], off, s26
	s_waitcnt vmcnt(0)
	ds_write2_b64 v11, v[0:1], v[2:3] offset0:96 offset1:97
	;; [unrolled: 3-line block ×17, first 2 shown]
	ds_read2_b64 v[0:3], v10 offset1:1
	s_waitcnt lgkmcnt(0)
	v_cmp_neq_f64_e32 vcc, 0, v[0:1]
	v_cmp_neq_f64_e64 s[2:3], 0, v[2:3]
	s_or_b64 s[2:3], vcc, s[2:3]
	s_and_b64 exec, exec, s[2:3]
	s_cbranch_execz .LBB127_535
; %bb.530:
	v_cmp_ngt_f64_e64 s[2:3], |v[0:1]|, |v[2:3]|
                                        ; implicit-def: $vgpr34_vgpr35
	s_and_saveexec_b64 s[10:11], s[2:3]
	s_xor_b64 s[2:3], exec, s[10:11]
                                        ; implicit-def: $vgpr8_vgpr9
	s_cbranch_execz .LBB127_532
; %bb.531:
	v_div_scale_f64 v[8:9], s[10:11], v[2:3], v[2:3], v[0:1]
	v_rcp_f64_e32 v[12:13], v[8:9]
	v_div_scale_f64 v[14:15], vcc, v[0:1], v[2:3], v[0:1]
	v_fma_f64 v[34:35], -v[8:9], v[12:13], 1.0
	v_fmac_f64_e32 v[12:13], v[12:13], v[34:35]
	v_fma_f64 v[34:35], -v[8:9], v[12:13], 1.0
	v_fmac_f64_e32 v[12:13], v[12:13], v[34:35]
	v_mul_f64 v[34:35], v[14:15], v[12:13]
	v_fma_f64 v[8:9], -v[8:9], v[34:35], v[14:15]
	v_div_fmas_f64 v[8:9], v[8:9], v[12:13], v[34:35]
	v_div_fixup_f64 v[12:13], v[8:9], v[2:3], v[0:1]
	v_fmac_f64_e32 v[2:3], v[0:1], v[12:13]
	v_div_scale_f64 v[0:1], s[10:11], v[2:3], v[2:3], 1.0
	v_rcp_f64_e32 v[8:9], v[0:1]
	s_nop 0
	v_fma_f64 v[14:15], -v[0:1], v[8:9], 1.0
	v_fmac_f64_e32 v[8:9], v[8:9], v[14:15]
	v_fma_f64 v[14:15], -v[0:1], v[8:9], 1.0
	v_fmac_f64_e32 v[8:9], v[8:9], v[14:15]
	v_div_scale_f64 v[14:15], vcc, 1.0, v[2:3], 1.0
	v_mul_f64 v[34:35], v[14:15], v[8:9]
	v_fma_f64 v[0:1], -v[0:1], v[34:35], v[14:15]
	s_nop 1
	v_div_fmas_f64 v[0:1], v[0:1], v[8:9], v[34:35]
	v_div_fixup_f64 v[8:9], v[0:1], v[2:3], 1.0
	v_mul_f64 v[34:35], v[12:13], v[8:9]
	v_xor_b32_e32 v9, 0x80000000, v9
                                        ; implicit-def: $vgpr0_vgpr1
.LBB127_532:
	s_andn2_saveexec_b64 s[2:3], s[2:3]
	s_cbranch_execz .LBB127_534
; %bb.533:
	v_div_scale_f64 v[8:9], s[10:11], v[0:1], v[0:1], v[2:3]
	v_rcp_f64_e32 v[12:13], v[8:9]
	v_div_scale_f64 v[14:15], vcc, v[2:3], v[0:1], v[2:3]
	v_fma_f64 v[34:35], -v[8:9], v[12:13], 1.0
	v_fmac_f64_e32 v[12:13], v[12:13], v[34:35]
	v_fma_f64 v[34:35], -v[8:9], v[12:13], 1.0
	v_fmac_f64_e32 v[12:13], v[12:13], v[34:35]
	v_mul_f64 v[34:35], v[14:15], v[12:13]
	v_fma_f64 v[8:9], -v[8:9], v[34:35], v[14:15]
	v_div_fmas_f64 v[8:9], v[8:9], v[12:13], v[34:35]
	v_div_fixup_f64 v[8:9], v[8:9], v[0:1], v[2:3]
	v_fmac_f64_e32 v[0:1], v[2:3], v[8:9]
	v_div_scale_f64 v[2:3], s[10:11], v[0:1], v[0:1], 1.0
	v_rcp_f64_e32 v[12:13], v[2:3]
	s_nop 0
	v_fma_f64 v[14:15], -v[2:3], v[12:13], 1.0
	v_fmac_f64_e32 v[12:13], v[12:13], v[14:15]
	v_fma_f64 v[14:15], -v[2:3], v[12:13], 1.0
	v_fmac_f64_e32 v[12:13], v[12:13], v[14:15]
	v_div_scale_f64 v[14:15], vcc, 1.0, v[0:1], 1.0
	v_mul_f64 v[34:35], v[14:15], v[12:13]
	v_fma_f64 v[2:3], -v[2:3], v[34:35], v[14:15]
	s_nop 1
	v_div_fmas_f64 v[2:3], v[2:3], v[12:13], v[34:35]
	v_div_fixup_f64 v[34:35], v[2:3], v[0:1], 1.0
	v_mul_f64 v[8:9], v[8:9], -v[34:35]
.LBB127_534:
	s_or_b64 exec, exec, s[2:3]
	ds_write2_b64 v10, v[34:35], v[8:9] offset1:1
.LBB127_535:
	s_or_b64 exec, exec, s[4:5]
	s_waitcnt lgkmcnt(0)
	s_barrier
	ds_read2_b64 v[184:187], v10 offset1:1
	v_cmp_lt_u32_e32 vcc, 46, v254
	s_and_saveexec_b64 s[2:3], vcc
	s_cbranch_execz .LBB127_537
; %bb.536:
	scratch_load_dwordx4 v[0:3], off, off offset:736
	s_waitcnt vmcnt(0) lgkmcnt(0)
	v_mul_f64 v[8:9], v[186:187], v[2:3]
	v_mul_f64 v[190:191], v[184:185], v[2:3]
	v_fma_f64 v[188:189], v[184:185], v[0:1], -v[8:9]
	v_fmac_f64_e32 v[190:191], v[186:187], v[0:1]
	ds_read2_b64 v[0:3], v11 offset0:94 offset1:95
	scratch_store_dwordx4 off, v[188:191], off offset:736
	s_waitcnt lgkmcnt(0)
	v_mul_f64 v[8:9], v[2:3], v[190:191]
	v_mul_f64 v[12:13], v[0:1], v[190:191]
	v_fma_f64 v[8:9], v[0:1], v[188:189], -v[8:9]
	v_fmac_f64_e32 v[12:13], v[2:3], v[188:189]
	scratch_load_dwordx4 v[0:3], off, off offset:752
	s_waitcnt vmcnt(0)
	v_add_f64 v[0:1], v[0:1], -v[8:9]
	v_add_f64 v[2:3], v[2:3], -v[12:13]
	scratch_store_dwordx4 off, v[0:3], off offset:752
	ds_read2_b64 v[0:3], v11 offset0:96 offset1:97
	s_waitcnt lgkmcnt(0)
	v_mul_f64 v[8:9], v[2:3], v[190:191]
	v_mul_f64 v[12:13], v[0:1], v[190:191]
	v_fma_f64 v[8:9], v[0:1], v[188:189], -v[8:9]
	v_fmac_f64_e32 v[12:13], v[2:3], v[188:189]
	scratch_load_dwordx4 v[0:3], off, off offset:768
	s_waitcnt vmcnt(0)
	v_add_f64 v[0:1], v[0:1], -v[8:9]
	v_add_f64 v[2:3], v[2:3], -v[12:13]
	scratch_store_dwordx4 off, v[0:3], off offset:768
	ds_read2_b64 v[0:3], v11 offset0:98 offset1:99
	;; [unrolled: 11-line block ×6, first 2 shown]
	scratch_load_dwordx2 v[8:9], off, off offset:736
	scratch_load_dwordx4 v[188:191], off, off offset:736
	s_waitcnt vmcnt(0) lgkmcnt(0)
	v_mul_f64 v[12:13], v[2:3], v[190:191]
	v_mul_f64 v[14:15], v[0:1], v[190:191]
	v_fma_f64 v[12:13], v[0:1], v[8:9], -v[12:13]
	v_fmac_f64_e32 v[14:15], v[2:3], v[8:9]
	scratch_load_dwordx4 v[0:3], off, off offset:848
	s_waitcnt vmcnt(0)
	v_add_f64 v[0:1], v[0:1], -v[12:13]
	v_add_f64 v[2:3], v[2:3], -v[14:15]
	scratch_store_dwordx4 off, v[0:3], off offset:848
	ds_read2_b64 v[0:3], v11 offset0:108 offset1:109
	s_waitcnt lgkmcnt(0)
	v_mul_f64 v[12:13], v[2:3], v[190:191]
	v_mul_f64 v[14:15], v[0:1], v[190:191]
	v_fma_f64 v[12:13], v[0:1], v[8:9], -v[12:13]
	v_fmac_f64_e32 v[14:15], v[2:3], v[8:9]
	scratch_load_dwordx4 v[0:3], off, off offset:864
	s_waitcnt vmcnt(0)
	v_add_f64 v[0:1], v[0:1], -v[12:13]
	v_add_f64 v[2:3], v[2:3], -v[14:15]
	scratch_store_dwordx4 off, v[0:3], off offset:864
	ds_read2_b64 v[0:3], v11 offset0:110 offset1:111
	s_waitcnt lgkmcnt(0)
	;; [unrolled: 11-line block ×5, first 2 shown]
	v_mul_f64 v[12:13], v[2:3], v[190:191]
	v_mul_f64 v[14:15], v[0:1], v[190:191]
	v_fma_f64 v[12:13], v[0:1], v[8:9], -v[12:13]
	v_fmac_f64_e32 v[14:15], v[2:3], v[8:9]
	scratch_load_dwordx4 v[0:3], off, off offset:928
	scratch_load_dwordx2 v[8:9], off, off offset:744
	s_waitcnt vmcnt(1)
	v_add_f64 v[0:1], v[0:1], -v[12:13]
	v_add_f64 v[2:3], v[2:3], -v[14:15]
	scratch_store_dwordx4 off, v[0:3], off offset:928
	ds_read2_b64 v[0:3], v11 offset0:118 offset1:119
	s_waitcnt vmcnt(1) lgkmcnt(0)
	v_mul_f64 v[12:13], v[2:3], v[8:9]
	v_mul_f64 v[14:15], v[0:1], v[8:9]
	v_fma_f64 v[12:13], v[0:1], v[188:189], -v[12:13]
	v_fmac_f64_e32 v[14:15], v[2:3], v[188:189]
	scratch_load_dwordx4 v[0:3], off, off offset:944
	s_waitcnt vmcnt(0)
	v_add_f64 v[0:1], v[0:1], -v[12:13]
	v_add_f64 v[2:3], v[2:3], -v[14:15]
	scratch_store_dwordx4 off, v[0:3], off offset:944
	ds_read2_b64 v[0:3], v11 offset0:120 offset1:121
	s_waitcnt lgkmcnt(0)
	v_mul_f64 v[12:13], v[2:3], v[8:9]
	v_mul_f64 v[14:15], v[0:1], v[8:9]
	v_fma_f64 v[12:13], v[0:1], v[188:189], -v[12:13]
	v_fmac_f64_e32 v[14:15], v[2:3], v[188:189]
	scratch_load_dwordx4 v[0:3], off, off offset:960
	s_waitcnt vmcnt(0)
	v_add_f64 v[0:1], v[0:1], -v[12:13]
	v_add_f64 v[2:3], v[2:3], -v[14:15]
	scratch_store_dwordx4 off, v[0:3], off offset:960
	ds_read2_b64 v[0:3], v11 offset0:122 offset1:123
	s_waitcnt lgkmcnt(0)
	;; [unrolled: 11-line block ×4, first 2 shown]
	v_mul_f64 v[12:13], v[2:3], v[8:9]
	v_mul_f64 v[190:191], v[0:1], v[8:9]
	v_fma_f64 v[34:35], v[0:1], v[188:189], -v[12:13]
	v_fmac_f64_e32 v[190:191], v[2:3], v[188:189]
	scratch_load_dwordx4 v[0:3], off, off offset:1008
	s_waitcnt vmcnt(0)
	v_add_f64 v[0:1], v[0:1], -v[34:35]
	v_add_f64 v[2:3], v[2:3], -v[190:191]
	scratch_store_dwordx4 off, v[0:3], off offset:1008
.LBB127_537:
	s_or_b64 exec, exec, s[2:3]
	v_cmp_eq_u32_e32 vcc, 47, v254
	s_waitcnt lgkmcnt(0)
	s_barrier
	s_and_saveexec_b64 s[4:5], vcc
	s_cbranch_execz .LBB127_544
; %bb.538:
	scratch_load_dwordx4 v[0:3], off, s25
	s_waitcnt vmcnt(0)
	ds_write2_b64 v10, v[0:1], v[2:3] offset1:1
	scratch_load_dwordx4 v[0:3], off, s26
	s_waitcnt vmcnt(0)
	ds_write2_b64 v11, v[0:1], v[2:3] offset0:96 offset1:97
	scratch_load_dwordx4 v[0:3], off, s23
	s_waitcnt vmcnt(0)
	ds_write2_b64 v11, v[0:1], v[2:3] offset0:98 offset1:99
	;; [unrolled: 3-line block ×16, first 2 shown]
	ds_read2_b64 v[0:3], v10 offset1:1
	s_waitcnt lgkmcnt(0)
	v_cmp_neq_f64_e32 vcc, 0, v[0:1]
	v_cmp_neq_f64_e64 s[2:3], 0, v[2:3]
	s_or_b64 s[2:3], vcc, s[2:3]
	s_and_b64 exec, exec, s[2:3]
	s_cbranch_execz .LBB127_544
; %bb.539:
	v_cmp_ngt_f64_e64 s[2:3], |v[0:1]|, |v[2:3]|
                                        ; implicit-def: $vgpr34_vgpr35
	s_and_saveexec_b64 s[10:11], s[2:3]
	s_xor_b64 s[2:3], exec, s[10:11]
                                        ; implicit-def: $vgpr8_vgpr9
	s_cbranch_execz .LBB127_541
; %bb.540:
	v_div_scale_f64 v[8:9], s[10:11], v[2:3], v[2:3], v[0:1]
	v_rcp_f64_e32 v[12:13], v[8:9]
	v_div_scale_f64 v[14:15], vcc, v[0:1], v[2:3], v[0:1]
	v_fma_f64 v[34:35], -v[8:9], v[12:13], 1.0
	v_fmac_f64_e32 v[12:13], v[12:13], v[34:35]
	v_fma_f64 v[34:35], -v[8:9], v[12:13], 1.0
	v_fmac_f64_e32 v[12:13], v[12:13], v[34:35]
	v_mul_f64 v[34:35], v[14:15], v[12:13]
	v_fma_f64 v[8:9], -v[8:9], v[34:35], v[14:15]
	v_div_fmas_f64 v[8:9], v[8:9], v[12:13], v[34:35]
	v_div_fixup_f64 v[12:13], v[8:9], v[2:3], v[0:1]
	v_fmac_f64_e32 v[2:3], v[0:1], v[12:13]
	v_div_scale_f64 v[0:1], s[10:11], v[2:3], v[2:3], 1.0
	v_rcp_f64_e32 v[8:9], v[0:1]
	s_nop 0
	v_fma_f64 v[14:15], -v[0:1], v[8:9], 1.0
	v_fmac_f64_e32 v[8:9], v[8:9], v[14:15]
	v_fma_f64 v[14:15], -v[0:1], v[8:9], 1.0
	v_fmac_f64_e32 v[8:9], v[8:9], v[14:15]
	v_div_scale_f64 v[14:15], vcc, 1.0, v[2:3], 1.0
	v_mul_f64 v[34:35], v[14:15], v[8:9]
	v_fma_f64 v[0:1], -v[0:1], v[34:35], v[14:15]
	s_nop 1
	v_div_fmas_f64 v[0:1], v[0:1], v[8:9], v[34:35]
	v_div_fixup_f64 v[8:9], v[0:1], v[2:3], 1.0
	v_mul_f64 v[34:35], v[12:13], v[8:9]
	v_xor_b32_e32 v9, 0x80000000, v9
                                        ; implicit-def: $vgpr0_vgpr1
.LBB127_541:
	s_andn2_saveexec_b64 s[2:3], s[2:3]
	s_cbranch_execz .LBB127_543
; %bb.542:
	v_div_scale_f64 v[8:9], s[10:11], v[0:1], v[0:1], v[2:3]
	v_rcp_f64_e32 v[12:13], v[8:9]
	v_div_scale_f64 v[14:15], vcc, v[2:3], v[0:1], v[2:3]
	v_fma_f64 v[34:35], -v[8:9], v[12:13], 1.0
	v_fmac_f64_e32 v[12:13], v[12:13], v[34:35]
	v_fma_f64 v[34:35], -v[8:9], v[12:13], 1.0
	v_fmac_f64_e32 v[12:13], v[12:13], v[34:35]
	v_mul_f64 v[34:35], v[14:15], v[12:13]
	v_fma_f64 v[8:9], -v[8:9], v[34:35], v[14:15]
	v_div_fmas_f64 v[8:9], v[8:9], v[12:13], v[34:35]
	v_div_fixup_f64 v[8:9], v[8:9], v[0:1], v[2:3]
	v_fmac_f64_e32 v[0:1], v[2:3], v[8:9]
	v_div_scale_f64 v[2:3], s[10:11], v[0:1], v[0:1], 1.0
	v_rcp_f64_e32 v[12:13], v[2:3]
	s_nop 0
	v_fma_f64 v[14:15], -v[2:3], v[12:13], 1.0
	v_fmac_f64_e32 v[12:13], v[12:13], v[14:15]
	v_fma_f64 v[14:15], -v[2:3], v[12:13], 1.0
	v_fmac_f64_e32 v[12:13], v[12:13], v[14:15]
	v_div_scale_f64 v[14:15], vcc, 1.0, v[0:1], 1.0
	v_mul_f64 v[34:35], v[14:15], v[12:13]
	v_fma_f64 v[2:3], -v[2:3], v[34:35], v[14:15]
	s_nop 1
	v_div_fmas_f64 v[2:3], v[2:3], v[12:13], v[34:35]
	v_div_fixup_f64 v[34:35], v[2:3], v[0:1], 1.0
	v_mul_f64 v[8:9], v[8:9], -v[34:35]
.LBB127_543:
	s_or_b64 exec, exec, s[2:3]
	ds_write2_b64 v10, v[34:35], v[8:9] offset1:1
.LBB127_544:
	s_or_b64 exec, exec, s[4:5]
	s_waitcnt lgkmcnt(0)
	s_barrier
	ds_read2_b64 v[188:191], v10 offset1:1
	v_cmp_lt_u32_e32 vcc, 47, v254
	s_and_saveexec_b64 s[2:3], vcc
	s_cbranch_execz .LBB127_546
; %bb.545:
	scratch_load_dwordx4 v[0:3], off, off offset:752
	s_waitcnt vmcnt(0) lgkmcnt(0)
	v_mul_f64 v[8:9], v[190:191], v[2:3]
	v_mul_f64 v[194:195], v[188:189], v[2:3]
	v_fma_f64 v[192:193], v[188:189], v[0:1], -v[8:9]
	v_fmac_f64_e32 v[194:195], v[190:191], v[0:1]
	ds_read2_b64 v[0:3], v11 offset0:96 offset1:97
	scratch_store_dwordx4 off, v[192:195], off offset:752
	s_waitcnt lgkmcnt(0)
	v_mul_f64 v[8:9], v[2:3], v[194:195]
	v_mul_f64 v[12:13], v[0:1], v[194:195]
	v_fma_f64 v[8:9], v[0:1], v[192:193], -v[8:9]
	v_fmac_f64_e32 v[12:13], v[2:3], v[192:193]
	scratch_load_dwordx4 v[0:3], off, off offset:768
	s_waitcnt vmcnt(0)
	v_add_f64 v[0:1], v[0:1], -v[8:9]
	v_add_f64 v[2:3], v[2:3], -v[12:13]
	scratch_store_dwordx4 off, v[0:3], off offset:768
	ds_read2_b64 v[0:3], v11 offset0:98 offset1:99
	s_waitcnt lgkmcnt(0)
	v_mul_f64 v[8:9], v[2:3], v[194:195]
	v_mul_f64 v[12:13], v[0:1], v[194:195]
	v_fma_f64 v[8:9], v[0:1], v[192:193], -v[8:9]
	v_fmac_f64_e32 v[12:13], v[2:3], v[192:193]
	scratch_load_dwordx4 v[0:3], off, off offset:784
	s_waitcnt vmcnt(0)
	v_add_f64 v[0:1], v[0:1], -v[8:9]
	v_add_f64 v[2:3], v[2:3], -v[12:13]
	scratch_store_dwordx4 off, v[0:3], off offset:784
	ds_read2_b64 v[0:3], v11 offset0:100 offset1:101
	;; [unrolled: 11-line block ×5, first 2 shown]
	s_waitcnt lgkmcnt(0)
	v_mul_f64 v[8:9], v[2:3], v[194:195]
	v_mul_f64 v[12:13], v[0:1], v[194:195]
	v_fma_f64 v[8:9], v[0:1], v[192:193], -v[8:9]
	v_fmac_f64_e32 v[12:13], v[2:3], v[192:193]
	scratch_load_dwordx4 v[0:3], off, off offset:848
	ds_read2_b64 v[192:195], v11 offset0:108 offset1:109
	s_waitcnt vmcnt(0)
	v_add_f64 v[0:1], v[0:1], -v[8:9]
	v_add_f64 v[2:3], v[2:3], -v[12:13]
	scratch_store_dwordx4 off, v[0:3], off offset:848
	scratch_load_dwordx2 v[8:9], off, off offset:752
	s_nop 0
	scratch_load_dwordx4 v[0:3], off, off offset:752
	s_waitcnt vmcnt(0) lgkmcnt(0)
	v_mul_f64 v[12:13], v[194:195], v[2:3]
	v_mul_f64 v[14:15], v[192:193], v[2:3]
	v_fma_f64 v[12:13], v[192:193], v[8:9], -v[12:13]
	v_fmac_f64_e32 v[14:15], v[194:195], v[8:9]
	scratch_load_dwordx4 v[192:195], off, off offset:864
	s_waitcnt vmcnt(0)
	v_add_f64 v[192:193], v[192:193], -v[12:13]
	v_add_f64 v[194:195], v[194:195], -v[14:15]
	scratch_store_dwordx4 off, v[192:195], off offset:864
	ds_read2_b64 v[192:195], v11 offset0:110 offset1:111
	s_waitcnt lgkmcnt(0)
	v_mul_f64 v[12:13], v[194:195], v[2:3]
	v_mul_f64 v[14:15], v[192:193], v[2:3]
	v_fma_f64 v[12:13], v[192:193], v[8:9], -v[12:13]
	v_fmac_f64_e32 v[14:15], v[194:195], v[8:9]
	scratch_load_dwordx4 v[192:195], off, off offset:880
	s_waitcnt vmcnt(0)
	v_add_f64 v[192:193], v[192:193], -v[12:13]
	v_add_f64 v[194:195], v[194:195], -v[14:15]
	scratch_store_dwordx4 off, v[192:195], off offset:880
	ds_read2_b64 v[192:195], v11 offset0:112 offset1:113
	s_waitcnt lgkmcnt(0)
	;; [unrolled: 11-line block ×5, first 2 shown]
	v_mul_f64 v[12:13], v[194:195], v[2:3]
	v_mul_f64 v[2:3], v[192:193], v[2:3]
	v_fma_f64 v[12:13], v[192:193], v[8:9], -v[12:13]
	v_fmac_f64_e32 v[2:3], v[194:195], v[8:9]
	scratch_load_dwordx4 v[192:195], off, off offset:944
	s_waitcnt vmcnt(0)
	v_add_f64 v[194:195], v[194:195], -v[2:3]
	scratch_load_dwordx2 v[2:3], off, off offset:760
	v_add_f64 v[192:193], v[192:193], -v[12:13]
	scratch_store_dwordx4 off, v[192:195], off offset:944
	ds_read2_b64 v[192:195], v11 offset0:120 offset1:121
	s_waitcnt vmcnt(1) lgkmcnt(0)
	v_mul_f64 v[8:9], v[194:195], v[2:3]
	v_mul_f64 v[12:13], v[192:193], v[2:3]
	v_fma_f64 v[8:9], v[192:193], v[0:1], -v[8:9]
	v_fmac_f64_e32 v[12:13], v[194:195], v[0:1]
	scratch_load_dwordx4 v[192:195], off, off offset:960
	s_waitcnt vmcnt(0)
	v_add_f64 v[192:193], v[192:193], -v[8:9]
	v_add_f64 v[194:195], v[194:195], -v[12:13]
	scratch_store_dwordx4 off, v[192:195], off offset:960
	ds_read2_b64 v[192:195], v11 offset0:122 offset1:123
	s_waitcnt lgkmcnt(0)
	v_mul_f64 v[8:9], v[194:195], v[2:3]
	v_mul_f64 v[12:13], v[192:193], v[2:3]
	v_fma_f64 v[8:9], v[192:193], v[0:1], -v[8:9]
	v_fmac_f64_e32 v[12:13], v[194:195], v[0:1]
	scratch_load_dwordx4 v[192:195], off, off offset:976
	s_waitcnt vmcnt(0)
	v_add_f64 v[192:193], v[192:193], -v[8:9]
	v_add_f64 v[194:195], v[194:195], -v[12:13]
	scratch_store_dwordx4 off, v[192:195], off offset:976
	ds_read2_b64 v[192:195], v11 offset0:124 offset1:125
	s_waitcnt lgkmcnt(0)
	;; [unrolled: 11-line block ×3, first 2 shown]
	v_mul_f64 v[8:9], v[194:195], v[2:3]
	v_fma_f64 v[34:35], v[192:193], v[0:1], -v[8:9]
	v_mul_f64 v[192:193], v[192:193], v[2:3]
	v_fmac_f64_e32 v[192:193], v[194:195], v[0:1]
	scratch_load_dwordx4 v[0:3], off, off offset:1008
	s_waitcnt vmcnt(0)
	v_add_f64 v[0:1], v[0:1], -v[34:35]
	v_add_f64 v[2:3], v[2:3], -v[192:193]
	scratch_store_dwordx4 off, v[0:3], off offset:1008
.LBB127_546:
	s_or_b64 exec, exec, s[2:3]
	v_cmp_eq_u32_e32 vcc, 48, v254
	s_waitcnt lgkmcnt(0)
	s_barrier
	s_and_saveexec_b64 s[4:5], vcc
	s_cbranch_execz .LBB127_553
; %bb.547:
	scratch_load_dwordx4 v[0:3], off, s26
	s_waitcnt vmcnt(0)
	ds_write2_b64 v10, v[0:1], v[2:3] offset1:1
	scratch_load_dwordx4 v[0:3], off, s23
	s_waitcnt vmcnt(0)
	ds_write2_b64 v11, v[0:1], v[2:3] offset0:98 offset1:99
	scratch_load_dwordx4 v[0:3], off, s24
	s_waitcnt vmcnt(0)
	ds_write2_b64 v11, v[0:1], v[2:3] offset0:100 offset1:101
	;; [unrolled: 3-line block ×15, first 2 shown]
	ds_read2_b64 v[0:3], v10 offset1:1
	s_waitcnt lgkmcnt(0)
	v_cmp_neq_f64_e32 vcc, 0, v[0:1]
	v_cmp_neq_f64_e64 s[2:3], 0, v[2:3]
	s_or_b64 s[2:3], vcc, s[2:3]
	s_and_b64 exec, exec, s[2:3]
	s_cbranch_execz .LBB127_553
; %bb.548:
	v_cmp_ngt_f64_e64 s[2:3], |v[0:1]|, |v[2:3]|
                                        ; implicit-def: $vgpr34_vgpr35
	s_and_saveexec_b64 s[10:11], s[2:3]
	s_xor_b64 s[2:3], exec, s[10:11]
                                        ; implicit-def: $vgpr8_vgpr9
	s_cbranch_execz .LBB127_550
; %bb.549:
	v_div_scale_f64 v[8:9], s[10:11], v[2:3], v[2:3], v[0:1]
	v_rcp_f64_e32 v[12:13], v[8:9]
	v_div_scale_f64 v[14:15], vcc, v[0:1], v[2:3], v[0:1]
	v_fma_f64 v[34:35], -v[8:9], v[12:13], 1.0
	v_fmac_f64_e32 v[12:13], v[12:13], v[34:35]
	v_fma_f64 v[34:35], -v[8:9], v[12:13], 1.0
	v_fmac_f64_e32 v[12:13], v[12:13], v[34:35]
	v_mul_f64 v[34:35], v[14:15], v[12:13]
	v_fma_f64 v[8:9], -v[8:9], v[34:35], v[14:15]
	v_div_fmas_f64 v[8:9], v[8:9], v[12:13], v[34:35]
	v_div_fixup_f64 v[12:13], v[8:9], v[2:3], v[0:1]
	v_fmac_f64_e32 v[2:3], v[0:1], v[12:13]
	v_div_scale_f64 v[0:1], s[10:11], v[2:3], v[2:3], 1.0
	v_rcp_f64_e32 v[8:9], v[0:1]
	s_nop 0
	v_fma_f64 v[14:15], -v[0:1], v[8:9], 1.0
	v_fmac_f64_e32 v[8:9], v[8:9], v[14:15]
	v_fma_f64 v[14:15], -v[0:1], v[8:9], 1.0
	v_fmac_f64_e32 v[8:9], v[8:9], v[14:15]
	v_div_scale_f64 v[14:15], vcc, 1.0, v[2:3], 1.0
	v_mul_f64 v[34:35], v[14:15], v[8:9]
	v_fma_f64 v[0:1], -v[0:1], v[34:35], v[14:15]
	s_nop 1
	v_div_fmas_f64 v[0:1], v[0:1], v[8:9], v[34:35]
	v_div_fixup_f64 v[8:9], v[0:1], v[2:3], 1.0
	v_mul_f64 v[34:35], v[12:13], v[8:9]
	v_xor_b32_e32 v9, 0x80000000, v9
                                        ; implicit-def: $vgpr0_vgpr1
.LBB127_550:
	s_andn2_saveexec_b64 s[2:3], s[2:3]
	s_cbranch_execz .LBB127_552
; %bb.551:
	v_div_scale_f64 v[8:9], s[10:11], v[0:1], v[0:1], v[2:3]
	v_rcp_f64_e32 v[12:13], v[8:9]
	v_div_scale_f64 v[14:15], vcc, v[2:3], v[0:1], v[2:3]
	v_fma_f64 v[34:35], -v[8:9], v[12:13], 1.0
	v_fmac_f64_e32 v[12:13], v[12:13], v[34:35]
	v_fma_f64 v[34:35], -v[8:9], v[12:13], 1.0
	v_fmac_f64_e32 v[12:13], v[12:13], v[34:35]
	v_mul_f64 v[34:35], v[14:15], v[12:13]
	v_fma_f64 v[8:9], -v[8:9], v[34:35], v[14:15]
	v_div_fmas_f64 v[8:9], v[8:9], v[12:13], v[34:35]
	v_div_fixup_f64 v[8:9], v[8:9], v[0:1], v[2:3]
	v_fmac_f64_e32 v[0:1], v[2:3], v[8:9]
	v_div_scale_f64 v[2:3], s[10:11], v[0:1], v[0:1], 1.0
	v_rcp_f64_e32 v[12:13], v[2:3]
	s_nop 0
	v_fma_f64 v[14:15], -v[2:3], v[12:13], 1.0
	v_fmac_f64_e32 v[12:13], v[12:13], v[14:15]
	v_fma_f64 v[14:15], -v[2:3], v[12:13], 1.0
	v_fmac_f64_e32 v[12:13], v[12:13], v[14:15]
	v_div_scale_f64 v[14:15], vcc, 1.0, v[0:1], 1.0
	v_mul_f64 v[34:35], v[14:15], v[12:13]
	v_fma_f64 v[2:3], -v[2:3], v[34:35], v[14:15]
	s_nop 1
	v_div_fmas_f64 v[2:3], v[2:3], v[12:13], v[34:35]
	v_div_fixup_f64 v[34:35], v[2:3], v[0:1], 1.0
	v_mul_f64 v[8:9], v[8:9], -v[34:35]
.LBB127_552:
	s_or_b64 exec, exec, s[2:3]
	ds_write2_b64 v10, v[34:35], v[8:9] offset1:1
.LBB127_553:
	s_or_b64 exec, exec, s[4:5]
	s_waitcnt lgkmcnt(0)
	s_barrier
	ds_read2_b64 v[192:195], v10 offset1:1
	v_cmp_lt_u32_e32 vcc, 48, v254
	s_and_saveexec_b64 s[2:3], vcc
	s_cbranch_execz .LBB127_555
; %bb.554:
	scratch_load_dwordx4 v[0:3], off, off offset:768
	s_waitcnt vmcnt(0) lgkmcnt(0)
	v_mul_f64 v[8:9], v[194:195], v[2:3]
	v_mul_f64 v[198:199], v[192:193], v[2:3]
	v_fma_f64 v[196:197], v[192:193], v[0:1], -v[8:9]
	v_fmac_f64_e32 v[198:199], v[194:195], v[0:1]
	ds_read2_b64 v[0:3], v11 offset0:98 offset1:99
	scratch_store_dwordx4 off, v[196:199], off offset:768
	s_waitcnt lgkmcnt(0)
	v_mul_f64 v[8:9], v[2:3], v[198:199]
	v_mul_f64 v[12:13], v[0:1], v[198:199]
	v_fma_f64 v[8:9], v[0:1], v[196:197], -v[8:9]
	v_fmac_f64_e32 v[12:13], v[2:3], v[196:197]
	scratch_load_dwordx4 v[0:3], off, off offset:784
	s_waitcnt vmcnt(0)
	v_add_f64 v[0:1], v[0:1], -v[8:9]
	v_add_f64 v[2:3], v[2:3], -v[12:13]
	scratch_store_dwordx4 off, v[0:3], off offset:784
	ds_read2_b64 v[0:3], v11 offset0:100 offset1:101
	s_waitcnt lgkmcnt(0)
	v_mul_f64 v[8:9], v[2:3], v[198:199]
	v_mul_f64 v[12:13], v[0:1], v[198:199]
	v_fma_f64 v[8:9], v[0:1], v[196:197], -v[8:9]
	v_fmac_f64_e32 v[12:13], v[2:3], v[196:197]
	scratch_load_dwordx4 v[0:3], off, off offset:800
	s_waitcnt vmcnt(0)
	v_add_f64 v[0:1], v[0:1], -v[8:9]
	v_add_f64 v[2:3], v[2:3], -v[12:13]
	scratch_store_dwordx4 off, v[0:3], off offset:800
	ds_read2_b64 v[0:3], v11 offset0:102 offset1:103
	;; [unrolled: 11-line block ×5, first 2 shown]
	s_waitcnt lgkmcnt(0)
	v_mul_f64 v[8:9], v[2:3], v[198:199]
	v_mul_f64 v[12:13], v[0:1], v[198:199]
	v_fma_f64 v[8:9], v[0:1], v[196:197], -v[8:9]
	v_fmac_f64_e32 v[12:13], v[2:3], v[196:197]
	scratch_load_dwordx4 v[0:3], off, off offset:864
	ds_read2_b64 v[196:199], v11 offset0:110 offset1:111
	s_waitcnt vmcnt(0)
	v_add_f64 v[0:1], v[0:1], -v[8:9]
	v_add_f64 v[2:3], v[2:3], -v[12:13]
	scratch_store_dwordx4 off, v[0:3], off offset:864
	scratch_load_dwordx2 v[8:9], off, off offset:768
	s_nop 0
	scratch_load_dwordx4 v[0:3], off, off offset:768
	s_waitcnt vmcnt(0) lgkmcnt(0)
	v_mul_f64 v[12:13], v[198:199], v[2:3]
	v_mul_f64 v[14:15], v[196:197], v[2:3]
	v_fma_f64 v[12:13], v[196:197], v[8:9], -v[12:13]
	v_fmac_f64_e32 v[14:15], v[198:199], v[8:9]
	scratch_load_dwordx4 v[196:199], off, off offset:880
	s_waitcnt vmcnt(0)
	v_add_f64 v[196:197], v[196:197], -v[12:13]
	v_add_f64 v[198:199], v[198:199], -v[14:15]
	scratch_store_dwordx4 off, v[196:199], off offset:880
	ds_read2_b64 v[196:199], v11 offset0:112 offset1:113
	s_waitcnt lgkmcnt(0)
	v_mul_f64 v[12:13], v[198:199], v[2:3]
	v_mul_f64 v[14:15], v[196:197], v[2:3]
	v_fma_f64 v[12:13], v[196:197], v[8:9], -v[12:13]
	v_fmac_f64_e32 v[14:15], v[198:199], v[8:9]
	scratch_load_dwordx4 v[196:199], off, off offset:896
	s_waitcnt vmcnt(0)
	v_add_f64 v[196:197], v[196:197], -v[12:13]
	v_add_f64 v[198:199], v[198:199], -v[14:15]
	scratch_store_dwordx4 off, v[196:199], off offset:896
	ds_read2_b64 v[196:199], v11 offset0:114 offset1:115
	s_waitcnt lgkmcnt(0)
	;; [unrolled: 11-line block ×5, first 2 shown]
	v_mul_f64 v[12:13], v[198:199], v[2:3]
	v_mul_f64 v[2:3], v[196:197], v[2:3]
	v_fma_f64 v[12:13], v[196:197], v[8:9], -v[12:13]
	v_fmac_f64_e32 v[2:3], v[198:199], v[8:9]
	scratch_load_dwordx4 v[196:199], off, off offset:960
	s_waitcnt vmcnt(0)
	v_add_f64 v[198:199], v[198:199], -v[2:3]
	scratch_load_dwordx2 v[2:3], off, off offset:776
	v_add_f64 v[196:197], v[196:197], -v[12:13]
	scratch_store_dwordx4 off, v[196:199], off offset:960
	ds_read2_b64 v[196:199], v11 offset0:122 offset1:123
	s_waitcnt vmcnt(1) lgkmcnt(0)
	v_mul_f64 v[8:9], v[198:199], v[2:3]
	v_mul_f64 v[12:13], v[196:197], v[2:3]
	v_fma_f64 v[8:9], v[196:197], v[0:1], -v[8:9]
	v_fmac_f64_e32 v[12:13], v[198:199], v[0:1]
	scratch_load_dwordx4 v[196:199], off, off offset:976
	s_waitcnt vmcnt(0)
	v_add_f64 v[196:197], v[196:197], -v[8:9]
	v_add_f64 v[198:199], v[198:199], -v[12:13]
	scratch_store_dwordx4 off, v[196:199], off offset:976
	ds_read2_b64 v[196:199], v11 offset0:124 offset1:125
	s_waitcnt lgkmcnt(0)
	v_mul_f64 v[8:9], v[198:199], v[2:3]
	v_mul_f64 v[12:13], v[196:197], v[2:3]
	v_fma_f64 v[8:9], v[196:197], v[0:1], -v[8:9]
	v_fmac_f64_e32 v[12:13], v[198:199], v[0:1]
	scratch_load_dwordx4 v[196:199], off, off offset:992
	s_waitcnt vmcnt(0)
	v_add_f64 v[196:197], v[196:197], -v[8:9]
	v_add_f64 v[198:199], v[198:199], -v[12:13]
	scratch_store_dwordx4 off, v[196:199], off offset:992
	ds_read2_b64 v[196:199], v11 offset0:126 offset1:127
	s_waitcnt lgkmcnt(0)
	v_mul_f64 v[8:9], v[198:199], v[2:3]
	v_fma_f64 v[34:35], v[196:197], v[0:1], -v[8:9]
	v_mul_f64 v[196:197], v[196:197], v[2:3]
	v_fmac_f64_e32 v[196:197], v[198:199], v[0:1]
	scratch_load_dwordx4 v[0:3], off, off offset:1008
	s_waitcnt vmcnt(0)
	v_add_f64 v[0:1], v[0:1], -v[34:35]
	v_add_f64 v[2:3], v[2:3], -v[196:197]
	scratch_store_dwordx4 off, v[0:3], off offset:1008
.LBB127_555:
	s_or_b64 exec, exec, s[2:3]
	v_cmp_eq_u32_e32 vcc, 49, v254
	s_waitcnt lgkmcnt(0)
	s_barrier
	s_and_saveexec_b64 s[4:5], vcc
	s_cbranch_execz .LBB127_562
; %bb.556:
	scratch_load_dwordx4 v[0:3], off, s23
	s_waitcnt vmcnt(0)
	ds_write2_b64 v10, v[0:1], v[2:3] offset1:1
	scratch_load_dwordx4 v[0:3], off, s24
	s_waitcnt vmcnt(0)
	ds_write2_b64 v11, v[0:1], v[2:3] offset0:100 offset1:101
	scratch_load_dwordx4 v[0:3], off, s21
	s_waitcnt vmcnt(0)
	ds_write2_b64 v11, v[0:1], v[2:3] offset0:102 offset1:103
	scratch_load_dwordx4 v[0:3], off, s22
	s_waitcnt vmcnt(0)
	ds_write2_b64 v11, v[0:1], v[2:3] offset0:104 offset1:105
	scratch_load_dwordx4 v[0:3], off, s19
	s_waitcnt vmcnt(0)
	ds_write2_b64 v11, v[0:1], v[2:3] offset0:106 offset1:107
	scratch_load_dwordx4 v[0:3], off, s20
	s_waitcnt vmcnt(0)
	ds_write2_b64 v11, v[0:1], v[2:3] offset0:108 offset1:109
	scratch_load_dwordx4 v[0:3], off, s17
	s_waitcnt vmcnt(0)
	ds_write2_b64 v11, v[0:1], v[2:3] offset0:110 offset1:111
	scratch_load_dwordx4 v[0:3], off, s18
	s_waitcnt vmcnt(0)
	ds_write2_b64 v11, v[0:1], v[2:3] offset0:112 offset1:113
	scratch_load_dwordx4 v[0:3], off, s8
	s_waitcnt vmcnt(0)
	ds_write2_b64 v11, v[0:1], v[2:3] offset0:114 offset1:115
	scratch_load_dwordx4 v[0:3], off, s12
	s_waitcnt vmcnt(0)
	ds_write2_b64 v11, v[0:1], v[2:3] offset0:116 offset1:117
	scratch_load_dwordx4 v[0:3], off, s13
	s_waitcnt vmcnt(0)
	ds_write2_b64 v11, v[0:1], v[2:3] offset0:118 offset1:119
	scratch_load_dwordx4 v[0:3], off, s14
	s_waitcnt vmcnt(0)
	ds_write2_b64 v11, v[0:1], v[2:3] offset0:120 offset1:121
	scratch_load_dwordx4 v[0:3], off, s15
	s_waitcnt vmcnt(0)
	ds_write2_b64 v11, v[0:1], v[2:3] offset0:122 offset1:123
	scratch_load_dwordx4 v[0:3], off, s16
	s_waitcnt vmcnt(0)
	ds_write2_b64 v11, v[0:1], v[2:3] offset0:124 offset1:125
	scratch_load_dwordx4 v[0:3], off, s46
	s_waitcnt vmcnt(0)
	ds_write2_b64 v11, v[0:1], v[2:3] offset0:126 offset1:127
	ds_read2_b64 v[0:3], v10 offset1:1
	s_waitcnt lgkmcnt(0)
	v_cmp_neq_f64_e32 vcc, 0, v[0:1]
	v_cmp_neq_f64_e64 s[2:3], 0, v[2:3]
	s_or_b64 s[2:3], vcc, s[2:3]
	s_and_b64 exec, exec, s[2:3]
	s_cbranch_execz .LBB127_562
; %bb.557:
	v_cmp_ngt_f64_e64 s[2:3], |v[0:1]|, |v[2:3]|
                                        ; implicit-def: $vgpr34_vgpr35
	s_and_saveexec_b64 s[10:11], s[2:3]
	s_xor_b64 s[2:3], exec, s[10:11]
                                        ; implicit-def: $vgpr8_vgpr9
	s_cbranch_execz .LBB127_559
; %bb.558:
	v_div_scale_f64 v[8:9], s[10:11], v[2:3], v[2:3], v[0:1]
	v_rcp_f64_e32 v[12:13], v[8:9]
	v_div_scale_f64 v[14:15], vcc, v[0:1], v[2:3], v[0:1]
	v_fma_f64 v[34:35], -v[8:9], v[12:13], 1.0
	v_fmac_f64_e32 v[12:13], v[12:13], v[34:35]
	v_fma_f64 v[34:35], -v[8:9], v[12:13], 1.0
	v_fmac_f64_e32 v[12:13], v[12:13], v[34:35]
	v_mul_f64 v[34:35], v[14:15], v[12:13]
	v_fma_f64 v[8:9], -v[8:9], v[34:35], v[14:15]
	v_div_fmas_f64 v[8:9], v[8:9], v[12:13], v[34:35]
	v_div_fixup_f64 v[12:13], v[8:9], v[2:3], v[0:1]
	v_fmac_f64_e32 v[2:3], v[0:1], v[12:13]
	v_div_scale_f64 v[0:1], s[10:11], v[2:3], v[2:3], 1.0
	v_rcp_f64_e32 v[8:9], v[0:1]
	s_nop 0
	v_fma_f64 v[14:15], -v[0:1], v[8:9], 1.0
	v_fmac_f64_e32 v[8:9], v[8:9], v[14:15]
	v_fma_f64 v[14:15], -v[0:1], v[8:9], 1.0
	v_fmac_f64_e32 v[8:9], v[8:9], v[14:15]
	v_div_scale_f64 v[14:15], vcc, 1.0, v[2:3], 1.0
	v_mul_f64 v[34:35], v[14:15], v[8:9]
	v_fma_f64 v[0:1], -v[0:1], v[34:35], v[14:15]
	s_nop 1
	v_div_fmas_f64 v[0:1], v[0:1], v[8:9], v[34:35]
	v_div_fixup_f64 v[8:9], v[0:1], v[2:3], 1.0
	v_mul_f64 v[34:35], v[12:13], v[8:9]
	v_xor_b32_e32 v9, 0x80000000, v9
                                        ; implicit-def: $vgpr0_vgpr1
.LBB127_559:
	s_andn2_saveexec_b64 s[2:3], s[2:3]
	s_cbranch_execz .LBB127_561
; %bb.560:
	v_div_scale_f64 v[8:9], s[10:11], v[0:1], v[0:1], v[2:3]
	v_rcp_f64_e32 v[12:13], v[8:9]
	v_div_scale_f64 v[14:15], vcc, v[2:3], v[0:1], v[2:3]
	v_fma_f64 v[34:35], -v[8:9], v[12:13], 1.0
	v_fmac_f64_e32 v[12:13], v[12:13], v[34:35]
	v_fma_f64 v[34:35], -v[8:9], v[12:13], 1.0
	v_fmac_f64_e32 v[12:13], v[12:13], v[34:35]
	v_mul_f64 v[34:35], v[14:15], v[12:13]
	v_fma_f64 v[8:9], -v[8:9], v[34:35], v[14:15]
	v_div_fmas_f64 v[8:9], v[8:9], v[12:13], v[34:35]
	v_div_fixup_f64 v[8:9], v[8:9], v[0:1], v[2:3]
	v_fmac_f64_e32 v[0:1], v[2:3], v[8:9]
	v_div_scale_f64 v[2:3], s[10:11], v[0:1], v[0:1], 1.0
	v_rcp_f64_e32 v[12:13], v[2:3]
	s_nop 0
	v_fma_f64 v[14:15], -v[2:3], v[12:13], 1.0
	v_fmac_f64_e32 v[12:13], v[12:13], v[14:15]
	v_fma_f64 v[14:15], -v[2:3], v[12:13], 1.0
	v_fmac_f64_e32 v[12:13], v[12:13], v[14:15]
	v_div_scale_f64 v[14:15], vcc, 1.0, v[0:1], 1.0
	v_mul_f64 v[34:35], v[14:15], v[12:13]
	v_fma_f64 v[2:3], -v[2:3], v[34:35], v[14:15]
	s_nop 1
	v_div_fmas_f64 v[2:3], v[2:3], v[12:13], v[34:35]
	v_div_fixup_f64 v[34:35], v[2:3], v[0:1], 1.0
	v_mul_f64 v[8:9], v[8:9], -v[34:35]
.LBB127_561:
	s_or_b64 exec, exec, s[2:3]
	ds_write2_b64 v10, v[34:35], v[8:9] offset1:1
.LBB127_562:
	s_or_b64 exec, exec, s[4:5]
	s_waitcnt lgkmcnt(0)
	s_barrier
	ds_read2_b64 v[196:199], v10 offset1:1
	v_cmp_lt_u32_e32 vcc, 49, v254
	s_and_saveexec_b64 s[2:3], vcc
	s_cbranch_execz .LBB127_564
; %bb.563:
	scratch_load_dwordx4 v[0:3], off, off offset:784
	s_waitcnt vmcnt(0) lgkmcnt(0)
	v_mul_f64 v[8:9], v[198:199], v[2:3]
	v_mul_f64 v[202:203], v[196:197], v[2:3]
	v_fma_f64 v[200:201], v[196:197], v[0:1], -v[8:9]
	v_fmac_f64_e32 v[202:203], v[198:199], v[0:1]
	ds_read2_b64 v[0:3], v11 offset0:100 offset1:101
	scratch_store_dwordx4 off, v[200:203], off offset:784
	s_waitcnt lgkmcnt(0)
	v_mul_f64 v[8:9], v[2:3], v[202:203]
	v_mul_f64 v[12:13], v[0:1], v[202:203]
	v_fma_f64 v[8:9], v[0:1], v[200:201], -v[8:9]
	v_fmac_f64_e32 v[12:13], v[2:3], v[200:201]
	scratch_load_dwordx4 v[0:3], off, off offset:800
	s_waitcnt vmcnt(0)
	v_add_f64 v[0:1], v[0:1], -v[8:9]
	v_add_f64 v[2:3], v[2:3], -v[12:13]
	scratch_store_dwordx4 off, v[0:3], off offset:800
	ds_read2_b64 v[0:3], v11 offset0:102 offset1:103
	s_waitcnt lgkmcnt(0)
	v_mul_f64 v[8:9], v[2:3], v[202:203]
	v_mul_f64 v[12:13], v[0:1], v[202:203]
	v_fma_f64 v[8:9], v[0:1], v[200:201], -v[8:9]
	v_fmac_f64_e32 v[12:13], v[2:3], v[200:201]
	scratch_load_dwordx4 v[0:3], off, off offset:816
	s_waitcnt vmcnt(0)
	v_add_f64 v[0:1], v[0:1], -v[8:9]
	v_add_f64 v[2:3], v[2:3], -v[12:13]
	scratch_store_dwordx4 off, v[0:3], off offset:816
	ds_read2_b64 v[0:3], v11 offset0:104 offset1:105
	;; [unrolled: 11-line block ×5, first 2 shown]
	s_waitcnt lgkmcnt(0)
	v_mul_f64 v[8:9], v[2:3], v[202:203]
	v_mul_f64 v[12:13], v[0:1], v[202:203]
	v_fma_f64 v[8:9], v[0:1], v[200:201], -v[8:9]
	v_fmac_f64_e32 v[12:13], v[2:3], v[200:201]
	scratch_load_dwordx4 v[0:3], off, off offset:880
	ds_read2_b64 v[200:203], v11 offset0:112 offset1:113
	s_waitcnt vmcnt(0)
	v_add_f64 v[0:1], v[0:1], -v[8:9]
	v_add_f64 v[2:3], v[2:3], -v[12:13]
	scratch_store_dwordx4 off, v[0:3], off offset:880
	scratch_load_dwordx2 v[8:9], off, off offset:784
	s_nop 0
	scratch_load_dwordx4 v[0:3], off, off offset:784
	s_waitcnt vmcnt(0) lgkmcnt(0)
	v_mul_f64 v[12:13], v[202:203], v[2:3]
	v_mul_f64 v[14:15], v[200:201], v[2:3]
	v_fma_f64 v[12:13], v[200:201], v[8:9], -v[12:13]
	v_fmac_f64_e32 v[14:15], v[202:203], v[8:9]
	scratch_load_dwordx4 v[200:203], off, off offset:896
	s_waitcnt vmcnt(0)
	v_add_f64 v[200:201], v[200:201], -v[12:13]
	v_add_f64 v[202:203], v[202:203], -v[14:15]
	scratch_store_dwordx4 off, v[200:203], off offset:896
	ds_read2_b64 v[200:203], v11 offset0:114 offset1:115
	s_waitcnt lgkmcnt(0)
	v_mul_f64 v[12:13], v[202:203], v[2:3]
	v_mul_f64 v[14:15], v[200:201], v[2:3]
	v_fma_f64 v[12:13], v[200:201], v[8:9], -v[12:13]
	v_fmac_f64_e32 v[14:15], v[202:203], v[8:9]
	scratch_load_dwordx4 v[200:203], off, off offset:912
	s_waitcnt vmcnt(0)
	v_add_f64 v[200:201], v[200:201], -v[12:13]
	v_add_f64 v[202:203], v[202:203], -v[14:15]
	scratch_store_dwordx4 off, v[200:203], off offset:912
	ds_read2_b64 v[200:203], v11 offset0:116 offset1:117
	s_waitcnt lgkmcnt(0)
	;; [unrolled: 11-line block ×5, first 2 shown]
	v_mul_f64 v[12:13], v[202:203], v[2:3]
	v_mul_f64 v[2:3], v[200:201], v[2:3]
	v_fma_f64 v[12:13], v[200:201], v[8:9], -v[12:13]
	v_fmac_f64_e32 v[2:3], v[202:203], v[8:9]
	scratch_load_dwordx4 v[200:203], off, off offset:976
	s_waitcnt vmcnt(0)
	v_add_f64 v[202:203], v[202:203], -v[2:3]
	scratch_load_dwordx2 v[2:3], off, off offset:792
	v_add_f64 v[200:201], v[200:201], -v[12:13]
	scratch_store_dwordx4 off, v[200:203], off offset:976
	ds_read2_b64 v[200:203], v11 offset0:124 offset1:125
	s_waitcnt vmcnt(1) lgkmcnt(0)
	v_mul_f64 v[8:9], v[202:203], v[2:3]
	v_mul_f64 v[12:13], v[200:201], v[2:3]
	v_fma_f64 v[8:9], v[200:201], v[0:1], -v[8:9]
	v_fmac_f64_e32 v[12:13], v[202:203], v[0:1]
	scratch_load_dwordx4 v[200:203], off, off offset:992
	s_waitcnt vmcnt(0)
	v_add_f64 v[200:201], v[200:201], -v[8:9]
	v_add_f64 v[202:203], v[202:203], -v[12:13]
	scratch_store_dwordx4 off, v[200:203], off offset:992
	ds_read2_b64 v[200:203], v11 offset0:126 offset1:127
	s_waitcnt lgkmcnt(0)
	v_mul_f64 v[8:9], v[202:203], v[2:3]
	v_fma_f64 v[34:35], v[200:201], v[0:1], -v[8:9]
	v_mul_f64 v[200:201], v[200:201], v[2:3]
	v_fmac_f64_e32 v[200:201], v[202:203], v[0:1]
	scratch_load_dwordx4 v[0:3], off, off offset:1008
	s_waitcnt vmcnt(0)
	v_add_f64 v[0:1], v[0:1], -v[34:35]
	v_add_f64 v[2:3], v[2:3], -v[200:201]
	scratch_store_dwordx4 off, v[0:3], off offset:1008
.LBB127_564:
	s_or_b64 exec, exec, s[2:3]
	v_cmp_eq_u32_e32 vcc, 50, v254
	s_waitcnt lgkmcnt(0)
	s_barrier
	s_and_saveexec_b64 s[4:5], vcc
	s_cbranch_execz .LBB127_571
; %bb.565:
	scratch_load_dwordx4 v[0:3], off, s24
	s_waitcnt vmcnt(0)
	ds_write2_b64 v10, v[0:1], v[2:3] offset1:1
	scratch_load_dwordx4 v[0:3], off, s21
	s_waitcnt vmcnt(0)
	ds_write2_b64 v11, v[0:1], v[2:3] offset0:102 offset1:103
	scratch_load_dwordx4 v[0:3], off, s22
	s_waitcnt vmcnt(0)
	ds_write2_b64 v11, v[0:1], v[2:3] offset0:104 offset1:105
	;; [unrolled: 3-line block ×13, first 2 shown]
	ds_read2_b64 v[0:3], v10 offset1:1
	s_waitcnt lgkmcnt(0)
	v_cmp_neq_f64_e32 vcc, 0, v[0:1]
	v_cmp_neq_f64_e64 s[2:3], 0, v[2:3]
	s_or_b64 s[2:3], vcc, s[2:3]
	s_and_b64 exec, exec, s[2:3]
	s_cbranch_execz .LBB127_571
; %bb.566:
	v_cmp_ngt_f64_e64 s[2:3], |v[0:1]|, |v[2:3]|
                                        ; implicit-def: $vgpr34_vgpr35
	s_and_saveexec_b64 s[10:11], s[2:3]
	s_xor_b64 s[2:3], exec, s[10:11]
                                        ; implicit-def: $vgpr8_vgpr9
	s_cbranch_execz .LBB127_568
; %bb.567:
	v_div_scale_f64 v[8:9], s[10:11], v[2:3], v[2:3], v[0:1]
	v_rcp_f64_e32 v[12:13], v[8:9]
	v_div_scale_f64 v[14:15], vcc, v[0:1], v[2:3], v[0:1]
	v_fma_f64 v[34:35], -v[8:9], v[12:13], 1.0
	v_fmac_f64_e32 v[12:13], v[12:13], v[34:35]
	v_fma_f64 v[34:35], -v[8:9], v[12:13], 1.0
	v_fmac_f64_e32 v[12:13], v[12:13], v[34:35]
	v_mul_f64 v[34:35], v[14:15], v[12:13]
	v_fma_f64 v[8:9], -v[8:9], v[34:35], v[14:15]
	v_div_fmas_f64 v[8:9], v[8:9], v[12:13], v[34:35]
	v_div_fixup_f64 v[12:13], v[8:9], v[2:3], v[0:1]
	v_fmac_f64_e32 v[2:3], v[0:1], v[12:13]
	v_div_scale_f64 v[0:1], s[10:11], v[2:3], v[2:3], 1.0
	v_rcp_f64_e32 v[8:9], v[0:1]
	s_nop 0
	v_fma_f64 v[14:15], -v[0:1], v[8:9], 1.0
	v_fmac_f64_e32 v[8:9], v[8:9], v[14:15]
	v_fma_f64 v[14:15], -v[0:1], v[8:9], 1.0
	v_fmac_f64_e32 v[8:9], v[8:9], v[14:15]
	v_div_scale_f64 v[14:15], vcc, 1.0, v[2:3], 1.0
	v_mul_f64 v[34:35], v[14:15], v[8:9]
	v_fma_f64 v[0:1], -v[0:1], v[34:35], v[14:15]
	s_nop 1
	v_div_fmas_f64 v[0:1], v[0:1], v[8:9], v[34:35]
	v_div_fixup_f64 v[8:9], v[0:1], v[2:3], 1.0
	v_mul_f64 v[34:35], v[12:13], v[8:9]
	v_xor_b32_e32 v9, 0x80000000, v9
                                        ; implicit-def: $vgpr0_vgpr1
.LBB127_568:
	s_andn2_saveexec_b64 s[2:3], s[2:3]
	s_cbranch_execz .LBB127_570
; %bb.569:
	v_div_scale_f64 v[8:9], s[10:11], v[0:1], v[0:1], v[2:3]
	v_rcp_f64_e32 v[12:13], v[8:9]
	v_div_scale_f64 v[14:15], vcc, v[2:3], v[0:1], v[2:3]
	v_fma_f64 v[34:35], -v[8:9], v[12:13], 1.0
	v_fmac_f64_e32 v[12:13], v[12:13], v[34:35]
	v_fma_f64 v[34:35], -v[8:9], v[12:13], 1.0
	v_fmac_f64_e32 v[12:13], v[12:13], v[34:35]
	v_mul_f64 v[34:35], v[14:15], v[12:13]
	v_fma_f64 v[8:9], -v[8:9], v[34:35], v[14:15]
	v_div_fmas_f64 v[8:9], v[8:9], v[12:13], v[34:35]
	v_div_fixup_f64 v[8:9], v[8:9], v[0:1], v[2:3]
	v_fmac_f64_e32 v[0:1], v[2:3], v[8:9]
	v_div_scale_f64 v[2:3], s[10:11], v[0:1], v[0:1], 1.0
	v_rcp_f64_e32 v[12:13], v[2:3]
	s_nop 0
	v_fma_f64 v[14:15], -v[2:3], v[12:13], 1.0
	v_fmac_f64_e32 v[12:13], v[12:13], v[14:15]
	v_fma_f64 v[14:15], -v[2:3], v[12:13], 1.0
	v_fmac_f64_e32 v[12:13], v[12:13], v[14:15]
	v_div_scale_f64 v[14:15], vcc, 1.0, v[0:1], 1.0
	v_mul_f64 v[34:35], v[14:15], v[12:13]
	v_fma_f64 v[2:3], -v[2:3], v[34:35], v[14:15]
	s_nop 1
	v_div_fmas_f64 v[2:3], v[2:3], v[12:13], v[34:35]
	v_div_fixup_f64 v[34:35], v[2:3], v[0:1], 1.0
	v_mul_f64 v[8:9], v[8:9], -v[34:35]
.LBB127_570:
	s_or_b64 exec, exec, s[2:3]
	ds_write2_b64 v10, v[34:35], v[8:9] offset1:1
.LBB127_571:
	s_or_b64 exec, exec, s[4:5]
	s_waitcnt lgkmcnt(0)
	s_barrier
	ds_read2_b64 v[200:203], v10 offset1:1
	v_cmp_lt_u32_e32 vcc, 50, v254
	s_and_saveexec_b64 s[2:3], vcc
	s_cbranch_execz .LBB127_573
; %bb.572:
	scratch_load_dwordx4 v[0:3], off, off offset:800
	s_waitcnt vmcnt(0) lgkmcnt(0)
	v_mul_f64 v[8:9], v[202:203], v[2:3]
	v_mul_f64 v[206:207], v[200:201], v[2:3]
	v_fma_f64 v[204:205], v[200:201], v[0:1], -v[8:9]
	v_fmac_f64_e32 v[206:207], v[202:203], v[0:1]
	ds_read2_b64 v[0:3], v11 offset0:102 offset1:103
	scratch_store_dwordx4 off, v[204:207], off offset:800
	s_waitcnt lgkmcnt(0)
	v_mul_f64 v[8:9], v[2:3], v[206:207]
	v_mul_f64 v[12:13], v[0:1], v[206:207]
	v_fma_f64 v[8:9], v[0:1], v[204:205], -v[8:9]
	v_fmac_f64_e32 v[12:13], v[2:3], v[204:205]
	scratch_load_dwordx4 v[0:3], off, off offset:816
	s_waitcnt vmcnt(0)
	v_add_f64 v[0:1], v[0:1], -v[8:9]
	v_add_f64 v[2:3], v[2:3], -v[12:13]
	scratch_store_dwordx4 off, v[0:3], off offset:816
	ds_read2_b64 v[0:3], v11 offset0:104 offset1:105
	s_waitcnt lgkmcnt(0)
	v_mul_f64 v[8:9], v[2:3], v[206:207]
	v_mul_f64 v[12:13], v[0:1], v[206:207]
	v_fma_f64 v[8:9], v[0:1], v[204:205], -v[8:9]
	v_fmac_f64_e32 v[12:13], v[2:3], v[204:205]
	scratch_load_dwordx4 v[0:3], off, off offset:832
	s_waitcnt vmcnt(0)
	v_add_f64 v[0:1], v[0:1], -v[8:9]
	v_add_f64 v[2:3], v[2:3], -v[12:13]
	scratch_store_dwordx4 off, v[0:3], off offset:832
	ds_read2_b64 v[0:3], v11 offset0:106 offset1:107
	;; [unrolled: 11-line block ×5, first 2 shown]
	s_waitcnt lgkmcnt(0)
	v_mul_f64 v[8:9], v[2:3], v[206:207]
	v_mul_f64 v[12:13], v[0:1], v[206:207]
	v_fma_f64 v[8:9], v[0:1], v[204:205], -v[8:9]
	v_fmac_f64_e32 v[12:13], v[2:3], v[204:205]
	scratch_load_dwordx4 v[0:3], off, off offset:896
	ds_read2_b64 v[204:207], v11 offset0:114 offset1:115
	s_waitcnt vmcnt(0)
	v_add_f64 v[0:1], v[0:1], -v[8:9]
	v_add_f64 v[2:3], v[2:3], -v[12:13]
	scratch_store_dwordx4 off, v[0:3], off offset:896
	scratch_load_dwordx2 v[8:9], off, off offset:800
	s_nop 0
	scratch_load_dwordx4 v[0:3], off, off offset:800
	s_waitcnt vmcnt(0) lgkmcnt(0)
	v_mul_f64 v[12:13], v[206:207], v[2:3]
	v_mul_f64 v[14:15], v[204:205], v[2:3]
	v_fma_f64 v[12:13], v[204:205], v[8:9], -v[12:13]
	v_fmac_f64_e32 v[14:15], v[206:207], v[8:9]
	scratch_load_dwordx4 v[204:207], off, off offset:912
	s_waitcnt vmcnt(0)
	v_add_f64 v[204:205], v[204:205], -v[12:13]
	v_add_f64 v[206:207], v[206:207], -v[14:15]
	scratch_store_dwordx4 off, v[204:207], off offset:912
	ds_read2_b64 v[204:207], v11 offset0:116 offset1:117
	s_waitcnt lgkmcnt(0)
	v_mul_f64 v[12:13], v[206:207], v[2:3]
	v_mul_f64 v[14:15], v[204:205], v[2:3]
	v_fma_f64 v[12:13], v[204:205], v[8:9], -v[12:13]
	v_fmac_f64_e32 v[14:15], v[206:207], v[8:9]
	scratch_load_dwordx4 v[204:207], off, off offset:928
	s_waitcnt vmcnt(0)
	v_add_f64 v[204:205], v[204:205], -v[12:13]
	v_add_f64 v[206:207], v[206:207], -v[14:15]
	scratch_store_dwordx4 off, v[204:207], off offset:928
	ds_read2_b64 v[204:207], v11 offset0:118 offset1:119
	s_waitcnt lgkmcnt(0)
	;; [unrolled: 11-line block ×5, first 2 shown]
	v_mul_f64 v[12:13], v[206:207], v[2:3]
	v_mul_f64 v[2:3], v[204:205], v[2:3]
	v_fma_f64 v[12:13], v[204:205], v[8:9], -v[12:13]
	v_fmac_f64_e32 v[2:3], v[206:207], v[8:9]
	scratch_load_dwordx4 v[204:207], off, off offset:992
	scratch_load_dwordx2 v[8:9], off, off offset:808
	s_waitcnt vmcnt(1)
	v_add_f64 v[204:205], v[204:205], -v[12:13]
	v_add_f64 v[206:207], v[206:207], -v[2:3]
	scratch_store_dwordx4 off, v[204:207], off offset:992
	ds_read2_b64 v[204:207], v11 offset0:126 offset1:127
	s_waitcnt vmcnt(1) lgkmcnt(0)
	v_mul_f64 v[2:3], v[206:207], v[8:9]
	v_mul_f64 v[34:35], v[204:205], v[8:9]
	v_fma_f64 v[2:3], v[204:205], v[0:1], -v[2:3]
	v_fmac_f64_e32 v[34:35], v[206:207], v[0:1]
	scratch_load_dwordx4 v[204:207], off, off offset:1008
	s_waitcnt vmcnt(0)
	v_add_f64 v[0:1], v[204:205], -v[2:3]
	v_add_f64 v[2:3], v[206:207], -v[34:35]
	scratch_store_dwordx4 off, v[0:3], off offset:1008
.LBB127_573:
	s_or_b64 exec, exec, s[2:3]
	v_cmp_eq_u32_e32 vcc, 51, v254
	s_waitcnt lgkmcnt(0)
	s_barrier
	s_and_saveexec_b64 s[4:5], vcc
	s_cbranch_execz .LBB127_580
; %bb.574:
	scratch_load_dwordx4 v[0:3], off, s21
	s_waitcnt vmcnt(0)
	ds_write2_b64 v10, v[0:1], v[2:3] offset1:1
	scratch_load_dwordx4 v[0:3], off, s22
	s_waitcnt vmcnt(0)
	ds_write2_b64 v11, v[0:1], v[2:3] offset0:104 offset1:105
	scratch_load_dwordx4 v[0:3], off, s19
	s_waitcnt vmcnt(0)
	ds_write2_b64 v11, v[0:1], v[2:3] offset0:106 offset1:107
	;; [unrolled: 3-line block ×12, first 2 shown]
	ds_read2_b64 v[0:3], v10 offset1:1
	s_waitcnt lgkmcnt(0)
	v_cmp_neq_f64_e32 vcc, 0, v[0:1]
	v_cmp_neq_f64_e64 s[2:3], 0, v[2:3]
	s_or_b64 s[2:3], vcc, s[2:3]
	s_and_b64 exec, exec, s[2:3]
	s_cbranch_execz .LBB127_580
; %bb.575:
	v_cmp_ngt_f64_e64 s[2:3], |v[0:1]|, |v[2:3]|
                                        ; implicit-def: $vgpr34_vgpr35
	s_and_saveexec_b64 s[10:11], s[2:3]
	s_xor_b64 s[2:3], exec, s[10:11]
                                        ; implicit-def: $vgpr8_vgpr9
	s_cbranch_execz .LBB127_577
; %bb.576:
	v_div_scale_f64 v[8:9], s[10:11], v[2:3], v[2:3], v[0:1]
	v_rcp_f64_e32 v[12:13], v[8:9]
	v_div_scale_f64 v[14:15], vcc, v[0:1], v[2:3], v[0:1]
	v_fma_f64 v[34:35], -v[8:9], v[12:13], 1.0
	v_fmac_f64_e32 v[12:13], v[12:13], v[34:35]
	v_fma_f64 v[34:35], -v[8:9], v[12:13], 1.0
	v_fmac_f64_e32 v[12:13], v[12:13], v[34:35]
	v_mul_f64 v[34:35], v[14:15], v[12:13]
	v_fma_f64 v[8:9], -v[8:9], v[34:35], v[14:15]
	v_div_fmas_f64 v[8:9], v[8:9], v[12:13], v[34:35]
	v_div_fixup_f64 v[12:13], v[8:9], v[2:3], v[0:1]
	v_fmac_f64_e32 v[2:3], v[0:1], v[12:13]
	v_div_scale_f64 v[0:1], s[10:11], v[2:3], v[2:3], 1.0
	v_rcp_f64_e32 v[8:9], v[0:1]
	s_nop 0
	v_fma_f64 v[14:15], -v[0:1], v[8:9], 1.0
	v_fmac_f64_e32 v[8:9], v[8:9], v[14:15]
	v_fma_f64 v[14:15], -v[0:1], v[8:9], 1.0
	v_fmac_f64_e32 v[8:9], v[8:9], v[14:15]
	v_div_scale_f64 v[14:15], vcc, 1.0, v[2:3], 1.0
	v_mul_f64 v[34:35], v[14:15], v[8:9]
	v_fma_f64 v[0:1], -v[0:1], v[34:35], v[14:15]
	s_nop 1
	v_div_fmas_f64 v[0:1], v[0:1], v[8:9], v[34:35]
	v_div_fixup_f64 v[8:9], v[0:1], v[2:3], 1.0
	v_mul_f64 v[34:35], v[12:13], v[8:9]
	v_xor_b32_e32 v9, 0x80000000, v9
                                        ; implicit-def: $vgpr0_vgpr1
.LBB127_577:
	s_andn2_saveexec_b64 s[2:3], s[2:3]
	s_cbranch_execz .LBB127_579
; %bb.578:
	v_div_scale_f64 v[8:9], s[10:11], v[0:1], v[0:1], v[2:3]
	v_rcp_f64_e32 v[12:13], v[8:9]
	v_div_scale_f64 v[14:15], vcc, v[2:3], v[0:1], v[2:3]
	v_fma_f64 v[34:35], -v[8:9], v[12:13], 1.0
	v_fmac_f64_e32 v[12:13], v[12:13], v[34:35]
	v_fma_f64 v[34:35], -v[8:9], v[12:13], 1.0
	v_fmac_f64_e32 v[12:13], v[12:13], v[34:35]
	v_mul_f64 v[34:35], v[14:15], v[12:13]
	v_fma_f64 v[8:9], -v[8:9], v[34:35], v[14:15]
	v_div_fmas_f64 v[8:9], v[8:9], v[12:13], v[34:35]
	v_div_fixup_f64 v[8:9], v[8:9], v[0:1], v[2:3]
	v_fmac_f64_e32 v[0:1], v[2:3], v[8:9]
	v_div_scale_f64 v[2:3], s[10:11], v[0:1], v[0:1], 1.0
	v_rcp_f64_e32 v[12:13], v[2:3]
	s_nop 0
	v_fma_f64 v[14:15], -v[2:3], v[12:13], 1.0
	v_fmac_f64_e32 v[12:13], v[12:13], v[14:15]
	v_fma_f64 v[14:15], -v[2:3], v[12:13], 1.0
	v_fmac_f64_e32 v[12:13], v[12:13], v[14:15]
	v_div_scale_f64 v[14:15], vcc, 1.0, v[0:1], 1.0
	v_mul_f64 v[34:35], v[14:15], v[12:13]
	v_fma_f64 v[2:3], -v[2:3], v[34:35], v[14:15]
	s_nop 1
	v_div_fmas_f64 v[2:3], v[2:3], v[12:13], v[34:35]
	v_div_fixup_f64 v[34:35], v[2:3], v[0:1], 1.0
	v_mul_f64 v[8:9], v[8:9], -v[34:35]
.LBB127_579:
	s_or_b64 exec, exec, s[2:3]
	ds_write2_b64 v10, v[34:35], v[8:9] offset1:1
.LBB127_580:
	s_or_b64 exec, exec, s[4:5]
	s_waitcnt lgkmcnt(0)
	s_barrier
	ds_read2_b64 v[204:207], v10 offset1:1
	v_cmp_lt_u32_e32 vcc, 51, v254
	s_and_saveexec_b64 s[2:3], vcc
	s_cbranch_execz .LBB127_582
; %bb.581:
	scratch_load_dwordx4 v[0:3], off, off offset:816
	ds_read2_b64 v[212:215], v11 offset0:126 offset1:127
	s_waitcnt vmcnt(0) lgkmcnt(1)
	v_mul_f64 v[8:9], v[206:207], v[2:3]
	v_mul_f64 v[210:211], v[204:205], v[2:3]
	v_fma_f64 v[208:209], v[204:205], v[0:1], -v[8:9]
	v_fmac_f64_e32 v[210:211], v[206:207], v[0:1]
	ds_read2_b64 v[0:3], v11 offset0:104 offset1:105
	scratch_store_dwordx4 off, v[208:211], off offset:816
	s_waitcnt lgkmcnt(0)
	v_mul_f64 v[8:9], v[2:3], v[210:211]
	v_mul_f64 v[12:13], v[0:1], v[210:211]
	v_fma_f64 v[8:9], v[0:1], v[208:209], -v[8:9]
	v_fmac_f64_e32 v[12:13], v[2:3], v[208:209]
	scratch_load_dwordx4 v[0:3], off, off offset:832
	s_waitcnt vmcnt(0)
	v_add_f64 v[0:1], v[0:1], -v[8:9]
	v_add_f64 v[2:3], v[2:3], -v[12:13]
	scratch_store_dwordx4 off, v[0:3], off offset:832
	ds_read2_b64 v[0:3], v11 offset0:106 offset1:107
	s_waitcnt lgkmcnt(0)
	v_mul_f64 v[8:9], v[2:3], v[210:211]
	v_mul_f64 v[12:13], v[0:1], v[210:211]
	v_fma_f64 v[8:9], v[0:1], v[208:209], -v[8:9]
	v_fmac_f64_e32 v[12:13], v[2:3], v[208:209]
	scratch_load_dwordx4 v[0:3], off, off offset:848
	s_waitcnt vmcnt(0)
	v_add_f64 v[0:1], v[0:1], -v[8:9]
	v_add_f64 v[2:3], v[2:3], -v[12:13]
	scratch_store_dwordx4 off, v[0:3], off offset:848
	ds_read2_b64 v[0:3], v11 offset0:108 offset1:109
	;; [unrolled: 11-line block ×5, first 2 shown]
	s_waitcnt lgkmcnt(0)
	v_mul_f64 v[8:9], v[2:3], v[210:211]
	v_mul_f64 v[12:13], v[0:1], v[210:211]
	v_fma_f64 v[8:9], v[0:1], v[208:209], -v[8:9]
	v_fmac_f64_e32 v[12:13], v[2:3], v[208:209]
	scratch_load_dwordx4 v[0:3], off, off offset:912
	scratch_load_dwordx4 v[208:211], off, off offset:816
	s_waitcnt vmcnt(1)
	v_add_f64 v[0:1], v[0:1], -v[8:9]
	v_add_f64 v[2:3], v[2:3], -v[12:13]
	scratch_store_dwordx4 off, v[0:3], off offset:912
	ds_read2_b64 v[0:3], v11 offset0:116 offset1:117
	s_waitcnt vmcnt(1) lgkmcnt(0)
	v_mul_f64 v[8:9], v[2:3], v[210:211]
	v_mul_f64 v[12:13], v[0:1], v[210:211]
	v_fma_f64 v[8:9], v[0:1], v[208:209], -v[8:9]
	v_fmac_f64_e32 v[12:13], v[2:3], v[208:209]
	scratch_load_dwordx4 v[0:3], off, off offset:928
	s_waitcnt vmcnt(0)
	v_add_f64 v[0:1], v[0:1], -v[8:9]
	v_add_f64 v[2:3], v[2:3], -v[12:13]
	scratch_store_dwordx4 off, v[0:3], off offset:928
	ds_read2_b64 v[0:3], v11 offset0:118 offset1:119
	s_waitcnt lgkmcnt(0)
	v_mul_f64 v[8:9], v[2:3], v[210:211]
	v_mul_f64 v[12:13], v[0:1], v[210:211]
	v_fma_f64 v[8:9], v[0:1], v[208:209], -v[8:9]
	v_fmac_f64_e32 v[12:13], v[2:3], v[208:209]
	scratch_load_dwordx4 v[0:3], off, off offset:944
	s_waitcnt vmcnt(0)
	v_add_f64 v[0:1], v[0:1], -v[8:9]
	v_add_f64 v[2:3], v[2:3], -v[12:13]
	scratch_store_dwordx4 off, v[0:3], off offset:944
	ds_read2_b64 v[0:3], v11 offset0:120 offset1:121
	s_waitcnt lgkmcnt(0)
	;; [unrolled: 11-line block ×4, first 2 shown]
	v_mul_f64 v[8:9], v[2:3], v[210:211]
	v_mul_f64 v[12:13], v[0:1], v[210:211]
	v_fma_f64 v[8:9], v[0:1], v[208:209], -v[8:9]
	v_fmac_f64_e32 v[12:13], v[2:3], v[208:209]
	scratch_load_dwordx4 v[0:3], off, off offset:992
	s_waitcnt vmcnt(0)
	v_add_f64 v[0:1], v[0:1], -v[8:9]
	v_add_f64 v[2:3], v[2:3], -v[12:13]
	scratch_store_dwordx4 off, v[0:3], off offset:992
	s_nop 1
	v_mul_f64 v[0:1], v[214:215], v[210:211]
	v_mul_f64 v[2:3], v[212:213], v[210:211]
	v_fma_f64 v[0:1], v[212:213], v[208:209], -v[0:1]
	v_fmac_f64_e32 v[2:3], v[214:215], v[208:209]
	scratch_load_dwordx4 v[208:211], off, off offset:1008
	s_waitcnt vmcnt(0)
	v_add_f64 v[0:1], v[208:209], -v[0:1]
	v_add_f64 v[2:3], v[210:211], -v[2:3]
	scratch_store_dwordx4 off, v[0:3], off offset:1008
.LBB127_582:
	s_or_b64 exec, exec, s[2:3]
	v_cmp_eq_u32_e32 vcc, 52, v254
	s_waitcnt lgkmcnt(0)
	s_barrier
	s_and_saveexec_b64 s[4:5], vcc
	s_cbranch_execz .LBB127_589
; %bb.583:
	scratch_load_dwordx4 v[0:3], off, s22
	s_waitcnt vmcnt(0)
	ds_write2_b64 v10, v[0:1], v[2:3] offset1:1
	scratch_load_dwordx4 v[0:3], off, s19
	s_waitcnt vmcnt(0)
	ds_write2_b64 v11, v[0:1], v[2:3] offset0:106 offset1:107
	scratch_load_dwordx4 v[0:3], off, s20
	s_waitcnt vmcnt(0)
	ds_write2_b64 v11, v[0:1], v[2:3] offset0:108 offset1:109
	;; [unrolled: 3-line block ×11, first 2 shown]
	ds_read2_b64 v[0:3], v10 offset1:1
	s_waitcnt lgkmcnt(0)
	v_cmp_neq_f64_e32 vcc, 0, v[0:1]
	v_cmp_neq_f64_e64 s[2:3], 0, v[2:3]
	s_or_b64 s[2:3], vcc, s[2:3]
	s_and_b64 exec, exec, s[2:3]
	s_cbranch_execz .LBB127_589
; %bb.584:
	v_cmp_ngt_f64_e64 s[2:3], |v[0:1]|, |v[2:3]|
                                        ; implicit-def: $vgpr34_vgpr35
	s_and_saveexec_b64 s[10:11], s[2:3]
	s_xor_b64 s[2:3], exec, s[10:11]
                                        ; implicit-def: $vgpr8_vgpr9
	s_cbranch_execz .LBB127_586
; %bb.585:
	v_div_scale_f64 v[8:9], s[10:11], v[2:3], v[2:3], v[0:1]
	v_rcp_f64_e32 v[12:13], v[8:9]
	v_div_scale_f64 v[14:15], vcc, v[0:1], v[2:3], v[0:1]
	v_fma_f64 v[34:35], -v[8:9], v[12:13], 1.0
	v_fmac_f64_e32 v[12:13], v[12:13], v[34:35]
	v_fma_f64 v[34:35], -v[8:9], v[12:13], 1.0
	v_fmac_f64_e32 v[12:13], v[12:13], v[34:35]
	v_mul_f64 v[34:35], v[14:15], v[12:13]
	v_fma_f64 v[8:9], -v[8:9], v[34:35], v[14:15]
	v_div_fmas_f64 v[8:9], v[8:9], v[12:13], v[34:35]
	v_div_fixup_f64 v[12:13], v[8:9], v[2:3], v[0:1]
	v_fmac_f64_e32 v[2:3], v[0:1], v[12:13]
	v_div_scale_f64 v[0:1], s[10:11], v[2:3], v[2:3], 1.0
	v_rcp_f64_e32 v[8:9], v[0:1]
	s_nop 0
	v_fma_f64 v[14:15], -v[0:1], v[8:9], 1.0
	v_fmac_f64_e32 v[8:9], v[8:9], v[14:15]
	v_fma_f64 v[14:15], -v[0:1], v[8:9], 1.0
	v_fmac_f64_e32 v[8:9], v[8:9], v[14:15]
	v_div_scale_f64 v[14:15], vcc, 1.0, v[2:3], 1.0
	v_mul_f64 v[34:35], v[14:15], v[8:9]
	v_fma_f64 v[0:1], -v[0:1], v[34:35], v[14:15]
	s_nop 1
	v_div_fmas_f64 v[0:1], v[0:1], v[8:9], v[34:35]
	v_div_fixup_f64 v[8:9], v[0:1], v[2:3], 1.0
	v_mul_f64 v[34:35], v[12:13], v[8:9]
	v_xor_b32_e32 v9, 0x80000000, v9
                                        ; implicit-def: $vgpr0_vgpr1
.LBB127_586:
	s_andn2_saveexec_b64 s[2:3], s[2:3]
	s_cbranch_execz .LBB127_588
; %bb.587:
	v_div_scale_f64 v[8:9], s[10:11], v[0:1], v[0:1], v[2:3]
	v_rcp_f64_e32 v[12:13], v[8:9]
	v_div_scale_f64 v[14:15], vcc, v[2:3], v[0:1], v[2:3]
	v_fma_f64 v[34:35], -v[8:9], v[12:13], 1.0
	v_fmac_f64_e32 v[12:13], v[12:13], v[34:35]
	v_fma_f64 v[34:35], -v[8:9], v[12:13], 1.0
	v_fmac_f64_e32 v[12:13], v[12:13], v[34:35]
	v_mul_f64 v[34:35], v[14:15], v[12:13]
	v_fma_f64 v[8:9], -v[8:9], v[34:35], v[14:15]
	v_div_fmas_f64 v[8:9], v[8:9], v[12:13], v[34:35]
	v_div_fixup_f64 v[8:9], v[8:9], v[0:1], v[2:3]
	v_fmac_f64_e32 v[0:1], v[2:3], v[8:9]
	v_div_scale_f64 v[2:3], s[10:11], v[0:1], v[0:1], 1.0
	v_rcp_f64_e32 v[12:13], v[2:3]
	s_nop 0
	v_fma_f64 v[14:15], -v[2:3], v[12:13], 1.0
	v_fmac_f64_e32 v[12:13], v[12:13], v[14:15]
	v_fma_f64 v[14:15], -v[2:3], v[12:13], 1.0
	v_fmac_f64_e32 v[12:13], v[12:13], v[14:15]
	v_div_scale_f64 v[14:15], vcc, 1.0, v[0:1], 1.0
	v_mul_f64 v[34:35], v[14:15], v[12:13]
	v_fma_f64 v[2:3], -v[2:3], v[34:35], v[14:15]
	s_nop 1
	v_div_fmas_f64 v[2:3], v[2:3], v[12:13], v[34:35]
	v_div_fixup_f64 v[34:35], v[2:3], v[0:1], 1.0
	v_mul_f64 v[8:9], v[8:9], -v[34:35]
.LBB127_588:
	s_or_b64 exec, exec, s[2:3]
	ds_write2_b64 v10, v[34:35], v[8:9] offset1:1
.LBB127_589:
	s_or_b64 exec, exec, s[4:5]
	s_waitcnt lgkmcnt(0)
	s_barrier
	ds_read2_b64 v[208:211], v10 offset1:1
	v_cmp_lt_u32_e32 vcc, 52, v254
	s_and_saveexec_b64 s[2:3], vcc
	s_cbranch_execz .LBB127_591
; %bb.590:
	scratch_load_dwordx4 v[0:3], off, off offset:832
	ds_read2_b64 v[216:219], v11 offset0:126 offset1:127
	s_waitcnt vmcnt(0) lgkmcnt(1)
	v_mul_f64 v[8:9], v[210:211], v[2:3]
	v_mul_f64 v[214:215], v[208:209], v[2:3]
	v_fma_f64 v[212:213], v[208:209], v[0:1], -v[8:9]
	v_fmac_f64_e32 v[214:215], v[210:211], v[0:1]
	ds_read2_b64 v[0:3], v11 offset0:106 offset1:107
	scratch_store_dwordx4 off, v[212:215], off offset:832
	s_waitcnt lgkmcnt(0)
	v_mul_f64 v[8:9], v[2:3], v[214:215]
	v_mul_f64 v[12:13], v[0:1], v[214:215]
	v_fma_f64 v[8:9], v[0:1], v[212:213], -v[8:9]
	v_fmac_f64_e32 v[12:13], v[2:3], v[212:213]
	scratch_load_dwordx4 v[0:3], off, off offset:848
	s_waitcnt vmcnt(0)
	v_add_f64 v[0:1], v[0:1], -v[8:9]
	v_add_f64 v[2:3], v[2:3], -v[12:13]
	scratch_store_dwordx4 off, v[0:3], off offset:848
	ds_read2_b64 v[0:3], v11 offset0:108 offset1:109
	s_waitcnt lgkmcnt(0)
	v_mul_f64 v[8:9], v[2:3], v[214:215]
	v_mul_f64 v[12:13], v[0:1], v[214:215]
	v_fma_f64 v[8:9], v[0:1], v[212:213], -v[8:9]
	v_fmac_f64_e32 v[12:13], v[2:3], v[212:213]
	scratch_load_dwordx4 v[0:3], off, off offset:864
	s_waitcnt vmcnt(0)
	v_add_f64 v[0:1], v[0:1], -v[8:9]
	v_add_f64 v[2:3], v[2:3], -v[12:13]
	scratch_store_dwordx4 off, v[0:3], off offset:864
	ds_read2_b64 v[0:3], v11 offset0:110 offset1:111
	;; [unrolled: 11-line block ×5, first 2 shown]
	s_waitcnt lgkmcnt(0)
	v_mul_f64 v[8:9], v[2:3], v[214:215]
	v_mul_f64 v[12:13], v[0:1], v[214:215]
	v_fma_f64 v[8:9], v[0:1], v[212:213], -v[8:9]
	v_fmac_f64_e32 v[12:13], v[2:3], v[212:213]
	scratch_load_dwordx4 v[0:3], off, off offset:928
	scratch_load_dwordx4 v[212:215], off, off offset:832
	s_waitcnt vmcnt(1)
	v_add_f64 v[0:1], v[0:1], -v[8:9]
	v_add_f64 v[2:3], v[2:3], -v[12:13]
	scratch_store_dwordx4 off, v[0:3], off offset:928
	ds_read2_b64 v[0:3], v11 offset0:118 offset1:119
	s_waitcnt vmcnt(1) lgkmcnt(0)
	v_mul_f64 v[8:9], v[2:3], v[214:215]
	v_mul_f64 v[12:13], v[0:1], v[214:215]
	v_fma_f64 v[8:9], v[0:1], v[212:213], -v[8:9]
	v_fmac_f64_e32 v[12:13], v[2:3], v[212:213]
	scratch_load_dwordx4 v[0:3], off, off offset:944
	s_waitcnt vmcnt(0)
	v_add_f64 v[0:1], v[0:1], -v[8:9]
	v_add_f64 v[2:3], v[2:3], -v[12:13]
	scratch_store_dwordx4 off, v[0:3], off offset:944
	ds_read2_b64 v[0:3], v11 offset0:120 offset1:121
	s_waitcnt lgkmcnt(0)
	v_mul_f64 v[8:9], v[2:3], v[214:215]
	v_mul_f64 v[12:13], v[0:1], v[214:215]
	v_fma_f64 v[8:9], v[0:1], v[212:213], -v[8:9]
	v_fmac_f64_e32 v[12:13], v[2:3], v[212:213]
	scratch_load_dwordx4 v[0:3], off, off offset:960
	s_waitcnt vmcnt(0)
	v_add_f64 v[0:1], v[0:1], -v[8:9]
	v_add_f64 v[2:3], v[2:3], -v[12:13]
	scratch_store_dwordx4 off, v[0:3], off offset:960
	ds_read2_b64 v[0:3], v11 offset0:122 offset1:123
	s_waitcnt lgkmcnt(0)
	;; [unrolled: 11-line block ×3, first 2 shown]
	v_mul_f64 v[8:9], v[2:3], v[214:215]
	v_mul_f64 v[12:13], v[0:1], v[214:215]
	v_fma_f64 v[8:9], v[0:1], v[212:213], -v[8:9]
	v_fmac_f64_e32 v[12:13], v[2:3], v[212:213]
	scratch_load_dwordx4 v[0:3], off, off offset:992
	s_waitcnt vmcnt(0)
	v_add_f64 v[0:1], v[0:1], -v[8:9]
	v_add_f64 v[2:3], v[2:3], -v[12:13]
	scratch_store_dwordx4 off, v[0:3], off offset:992
	s_nop 1
	v_mul_f64 v[0:1], v[218:219], v[214:215]
	v_mul_f64 v[2:3], v[216:217], v[214:215]
	v_fma_f64 v[0:1], v[216:217], v[212:213], -v[0:1]
	v_fmac_f64_e32 v[2:3], v[218:219], v[212:213]
	scratch_load_dwordx4 v[212:215], off, off offset:1008
	s_waitcnt vmcnt(0)
	v_add_f64 v[0:1], v[212:213], -v[0:1]
	v_add_f64 v[2:3], v[214:215], -v[2:3]
	scratch_store_dwordx4 off, v[0:3], off offset:1008
.LBB127_591:
	s_or_b64 exec, exec, s[2:3]
	v_cmp_eq_u32_e32 vcc, 53, v254
	s_waitcnt lgkmcnt(0)
	s_barrier
	s_and_saveexec_b64 s[4:5], vcc
	s_cbranch_execz .LBB127_598
; %bb.592:
	scratch_load_dwordx4 v[0:3], off, s19
	s_waitcnt vmcnt(0)
	ds_write2_b64 v10, v[0:1], v[2:3] offset1:1
	scratch_load_dwordx4 v[0:3], off, s20
	s_waitcnt vmcnt(0)
	ds_write2_b64 v11, v[0:1], v[2:3] offset0:108 offset1:109
	scratch_load_dwordx4 v[0:3], off, s17
	s_waitcnt vmcnt(0)
	ds_write2_b64 v11, v[0:1], v[2:3] offset0:110 offset1:111
	;; [unrolled: 3-line block ×10, first 2 shown]
	ds_read2_b64 v[0:3], v10 offset1:1
	s_waitcnt lgkmcnt(0)
	v_cmp_neq_f64_e32 vcc, 0, v[0:1]
	v_cmp_neq_f64_e64 s[2:3], 0, v[2:3]
	s_or_b64 s[2:3], vcc, s[2:3]
	s_and_b64 exec, exec, s[2:3]
	s_cbranch_execz .LBB127_598
; %bb.593:
	v_cmp_ngt_f64_e64 s[2:3], |v[0:1]|, |v[2:3]|
                                        ; implicit-def: $vgpr34_vgpr35
	s_and_saveexec_b64 s[10:11], s[2:3]
	s_xor_b64 s[2:3], exec, s[10:11]
                                        ; implicit-def: $vgpr8_vgpr9
	s_cbranch_execz .LBB127_595
; %bb.594:
	v_div_scale_f64 v[8:9], s[10:11], v[2:3], v[2:3], v[0:1]
	v_rcp_f64_e32 v[12:13], v[8:9]
	v_div_scale_f64 v[14:15], vcc, v[0:1], v[2:3], v[0:1]
	v_fma_f64 v[34:35], -v[8:9], v[12:13], 1.0
	v_fmac_f64_e32 v[12:13], v[12:13], v[34:35]
	v_fma_f64 v[34:35], -v[8:9], v[12:13], 1.0
	v_fmac_f64_e32 v[12:13], v[12:13], v[34:35]
	v_mul_f64 v[34:35], v[14:15], v[12:13]
	v_fma_f64 v[8:9], -v[8:9], v[34:35], v[14:15]
	v_div_fmas_f64 v[8:9], v[8:9], v[12:13], v[34:35]
	v_div_fixup_f64 v[12:13], v[8:9], v[2:3], v[0:1]
	v_fmac_f64_e32 v[2:3], v[0:1], v[12:13]
	v_div_scale_f64 v[0:1], s[10:11], v[2:3], v[2:3], 1.0
	v_rcp_f64_e32 v[8:9], v[0:1]
	s_nop 0
	v_fma_f64 v[14:15], -v[0:1], v[8:9], 1.0
	v_fmac_f64_e32 v[8:9], v[8:9], v[14:15]
	v_fma_f64 v[14:15], -v[0:1], v[8:9], 1.0
	v_fmac_f64_e32 v[8:9], v[8:9], v[14:15]
	v_div_scale_f64 v[14:15], vcc, 1.0, v[2:3], 1.0
	v_mul_f64 v[34:35], v[14:15], v[8:9]
	v_fma_f64 v[0:1], -v[0:1], v[34:35], v[14:15]
	s_nop 1
	v_div_fmas_f64 v[0:1], v[0:1], v[8:9], v[34:35]
	v_div_fixup_f64 v[8:9], v[0:1], v[2:3], 1.0
	v_mul_f64 v[34:35], v[12:13], v[8:9]
	v_xor_b32_e32 v9, 0x80000000, v9
                                        ; implicit-def: $vgpr0_vgpr1
.LBB127_595:
	s_andn2_saveexec_b64 s[2:3], s[2:3]
	s_cbranch_execz .LBB127_597
; %bb.596:
	v_div_scale_f64 v[8:9], s[10:11], v[0:1], v[0:1], v[2:3]
	v_rcp_f64_e32 v[12:13], v[8:9]
	v_div_scale_f64 v[14:15], vcc, v[2:3], v[0:1], v[2:3]
	v_fma_f64 v[34:35], -v[8:9], v[12:13], 1.0
	v_fmac_f64_e32 v[12:13], v[12:13], v[34:35]
	v_fma_f64 v[34:35], -v[8:9], v[12:13], 1.0
	v_fmac_f64_e32 v[12:13], v[12:13], v[34:35]
	v_mul_f64 v[34:35], v[14:15], v[12:13]
	v_fma_f64 v[8:9], -v[8:9], v[34:35], v[14:15]
	v_div_fmas_f64 v[8:9], v[8:9], v[12:13], v[34:35]
	v_div_fixup_f64 v[8:9], v[8:9], v[0:1], v[2:3]
	v_fmac_f64_e32 v[0:1], v[2:3], v[8:9]
	v_div_scale_f64 v[2:3], s[10:11], v[0:1], v[0:1], 1.0
	v_rcp_f64_e32 v[12:13], v[2:3]
	s_nop 0
	v_fma_f64 v[14:15], -v[2:3], v[12:13], 1.0
	v_fmac_f64_e32 v[12:13], v[12:13], v[14:15]
	v_fma_f64 v[14:15], -v[2:3], v[12:13], 1.0
	v_fmac_f64_e32 v[12:13], v[12:13], v[14:15]
	v_div_scale_f64 v[14:15], vcc, 1.0, v[0:1], 1.0
	v_mul_f64 v[34:35], v[14:15], v[12:13]
	v_fma_f64 v[2:3], -v[2:3], v[34:35], v[14:15]
	s_nop 1
	v_div_fmas_f64 v[2:3], v[2:3], v[12:13], v[34:35]
	v_div_fixup_f64 v[34:35], v[2:3], v[0:1], 1.0
	v_mul_f64 v[8:9], v[8:9], -v[34:35]
.LBB127_597:
	s_or_b64 exec, exec, s[2:3]
	ds_write2_b64 v10, v[34:35], v[8:9] offset1:1
.LBB127_598:
	s_or_b64 exec, exec, s[4:5]
	s_waitcnt lgkmcnt(0)
	s_barrier
	ds_read2_b64 v[212:215], v10 offset1:1
	v_cmp_lt_u32_e32 vcc, 53, v254
	s_and_saveexec_b64 s[2:3], vcc
	s_cbranch_execz .LBB127_600
; %bb.599:
	scratch_load_dwordx4 v[0:3], off, off offset:848
	ds_read2_b64 v[220:223], v11 offset0:126 offset1:127
	s_waitcnt vmcnt(0) lgkmcnt(1)
	v_mul_f64 v[8:9], v[214:215], v[2:3]
	v_mul_f64 v[218:219], v[212:213], v[2:3]
	v_fma_f64 v[216:217], v[212:213], v[0:1], -v[8:9]
	v_fmac_f64_e32 v[218:219], v[214:215], v[0:1]
	ds_read2_b64 v[0:3], v11 offset0:108 offset1:109
	scratch_store_dwordx4 off, v[216:219], off offset:848
	s_waitcnt lgkmcnt(0)
	v_mul_f64 v[8:9], v[2:3], v[218:219]
	v_mul_f64 v[12:13], v[0:1], v[218:219]
	v_fma_f64 v[8:9], v[0:1], v[216:217], -v[8:9]
	v_fmac_f64_e32 v[12:13], v[2:3], v[216:217]
	scratch_load_dwordx4 v[0:3], off, off offset:864
	s_waitcnt vmcnt(0)
	v_add_f64 v[0:1], v[0:1], -v[8:9]
	v_add_f64 v[2:3], v[2:3], -v[12:13]
	scratch_store_dwordx4 off, v[0:3], off offset:864
	ds_read2_b64 v[0:3], v11 offset0:110 offset1:111
	s_waitcnt lgkmcnt(0)
	v_mul_f64 v[8:9], v[2:3], v[218:219]
	v_mul_f64 v[12:13], v[0:1], v[218:219]
	v_fma_f64 v[8:9], v[0:1], v[216:217], -v[8:9]
	v_fmac_f64_e32 v[12:13], v[2:3], v[216:217]
	scratch_load_dwordx4 v[0:3], off, off offset:880
	s_waitcnt vmcnt(0)
	v_add_f64 v[0:1], v[0:1], -v[8:9]
	v_add_f64 v[2:3], v[2:3], -v[12:13]
	scratch_store_dwordx4 off, v[0:3], off offset:880
	ds_read2_b64 v[0:3], v11 offset0:112 offset1:113
	;; [unrolled: 11-line block ×5, first 2 shown]
	s_waitcnt lgkmcnt(0)
	v_mul_f64 v[8:9], v[2:3], v[218:219]
	v_mul_f64 v[12:13], v[0:1], v[218:219]
	v_fma_f64 v[8:9], v[0:1], v[216:217], -v[8:9]
	v_fmac_f64_e32 v[12:13], v[2:3], v[216:217]
	scratch_load_dwordx4 v[0:3], off, off offset:944
	scratch_load_dwordx4 v[216:219], off, off offset:848
	s_waitcnt vmcnt(1)
	v_add_f64 v[0:1], v[0:1], -v[8:9]
	v_add_f64 v[2:3], v[2:3], -v[12:13]
	scratch_store_dwordx4 off, v[0:3], off offset:944
	ds_read2_b64 v[0:3], v11 offset0:120 offset1:121
	s_waitcnt vmcnt(1) lgkmcnt(0)
	v_mul_f64 v[8:9], v[2:3], v[218:219]
	v_mul_f64 v[12:13], v[0:1], v[218:219]
	v_fma_f64 v[8:9], v[0:1], v[216:217], -v[8:9]
	v_fmac_f64_e32 v[12:13], v[2:3], v[216:217]
	scratch_load_dwordx4 v[0:3], off, off offset:960
	s_waitcnt vmcnt(0)
	v_add_f64 v[0:1], v[0:1], -v[8:9]
	v_add_f64 v[2:3], v[2:3], -v[12:13]
	scratch_store_dwordx4 off, v[0:3], off offset:960
	ds_read2_b64 v[0:3], v11 offset0:122 offset1:123
	s_waitcnt lgkmcnt(0)
	v_mul_f64 v[8:9], v[2:3], v[218:219]
	v_mul_f64 v[12:13], v[0:1], v[218:219]
	v_fma_f64 v[8:9], v[0:1], v[216:217], -v[8:9]
	v_fmac_f64_e32 v[12:13], v[2:3], v[216:217]
	scratch_load_dwordx4 v[0:3], off, off offset:976
	s_waitcnt vmcnt(0)
	v_add_f64 v[0:1], v[0:1], -v[8:9]
	v_add_f64 v[2:3], v[2:3], -v[12:13]
	scratch_store_dwordx4 off, v[0:3], off offset:976
	ds_read2_b64 v[0:3], v11 offset0:124 offset1:125
	s_waitcnt lgkmcnt(0)
	v_mul_f64 v[8:9], v[2:3], v[218:219]
	v_mul_f64 v[12:13], v[0:1], v[218:219]
	v_fma_f64 v[8:9], v[0:1], v[216:217], -v[8:9]
	v_fmac_f64_e32 v[12:13], v[2:3], v[216:217]
	scratch_load_dwordx4 v[0:3], off, off offset:992
	s_waitcnt vmcnt(0)
	v_add_f64 v[0:1], v[0:1], -v[8:9]
	v_add_f64 v[2:3], v[2:3], -v[12:13]
	scratch_store_dwordx4 off, v[0:3], off offset:992
	s_nop 1
	v_mul_f64 v[0:1], v[222:223], v[218:219]
	v_mul_f64 v[2:3], v[220:221], v[218:219]
	v_fma_f64 v[0:1], v[220:221], v[216:217], -v[0:1]
	v_fmac_f64_e32 v[2:3], v[222:223], v[216:217]
	scratch_load_dwordx4 v[216:219], off, off offset:1008
	s_waitcnt vmcnt(0)
	v_add_f64 v[0:1], v[216:217], -v[0:1]
	v_add_f64 v[2:3], v[218:219], -v[2:3]
	scratch_store_dwordx4 off, v[0:3], off offset:1008
.LBB127_600:
	s_or_b64 exec, exec, s[2:3]
	v_cmp_eq_u32_e32 vcc, 54, v254
	s_waitcnt lgkmcnt(0)
	s_barrier
	s_and_saveexec_b64 s[4:5], vcc
	s_cbranch_execz .LBB127_607
; %bb.601:
	scratch_load_dwordx4 v[0:3], off, s20
	s_waitcnt vmcnt(0)
	ds_write2_b64 v10, v[0:1], v[2:3] offset1:1
	scratch_load_dwordx4 v[0:3], off, s17
	s_waitcnt vmcnt(0)
	ds_write2_b64 v11, v[0:1], v[2:3] offset0:110 offset1:111
	scratch_load_dwordx4 v[0:3], off, s18
	s_waitcnt vmcnt(0)
	ds_write2_b64 v11, v[0:1], v[2:3] offset0:112 offset1:113
	;; [unrolled: 3-line block ×9, first 2 shown]
	ds_read2_b64 v[0:3], v10 offset1:1
	s_waitcnt lgkmcnt(0)
	v_cmp_neq_f64_e32 vcc, 0, v[0:1]
	v_cmp_neq_f64_e64 s[2:3], 0, v[2:3]
	s_or_b64 s[2:3], vcc, s[2:3]
	s_and_b64 exec, exec, s[2:3]
	s_cbranch_execz .LBB127_607
; %bb.602:
	v_cmp_ngt_f64_e64 s[2:3], |v[0:1]|, |v[2:3]|
                                        ; implicit-def: $vgpr34_vgpr35
	s_and_saveexec_b64 s[10:11], s[2:3]
	s_xor_b64 s[2:3], exec, s[10:11]
                                        ; implicit-def: $vgpr8_vgpr9
	s_cbranch_execz .LBB127_604
; %bb.603:
	v_div_scale_f64 v[8:9], s[10:11], v[2:3], v[2:3], v[0:1]
	v_rcp_f64_e32 v[12:13], v[8:9]
	v_div_scale_f64 v[14:15], vcc, v[0:1], v[2:3], v[0:1]
	v_fma_f64 v[34:35], -v[8:9], v[12:13], 1.0
	v_fmac_f64_e32 v[12:13], v[12:13], v[34:35]
	v_fma_f64 v[34:35], -v[8:9], v[12:13], 1.0
	v_fmac_f64_e32 v[12:13], v[12:13], v[34:35]
	v_mul_f64 v[34:35], v[14:15], v[12:13]
	v_fma_f64 v[8:9], -v[8:9], v[34:35], v[14:15]
	v_div_fmas_f64 v[8:9], v[8:9], v[12:13], v[34:35]
	v_div_fixup_f64 v[12:13], v[8:9], v[2:3], v[0:1]
	v_fmac_f64_e32 v[2:3], v[0:1], v[12:13]
	v_div_scale_f64 v[0:1], s[10:11], v[2:3], v[2:3], 1.0
	v_rcp_f64_e32 v[8:9], v[0:1]
	s_nop 0
	v_fma_f64 v[14:15], -v[0:1], v[8:9], 1.0
	v_fmac_f64_e32 v[8:9], v[8:9], v[14:15]
	v_fma_f64 v[14:15], -v[0:1], v[8:9], 1.0
	v_fmac_f64_e32 v[8:9], v[8:9], v[14:15]
	v_div_scale_f64 v[14:15], vcc, 1.0, v[2:3], 1.0
	v_mul_f64 v[34:35], v[14:15], v[8:9]
	v_fma_f64 v[0:1], -v[0:1], v[34:35], v[14:15]
	s_nop 1
	v_div_fmas_f64 v[0:1], v[0:1], v[8:9], v[34:35]
	v_div_fixup_f64 v[8:9], v[0:1], v[2:3], 1.0
	v_mul_f64 v[34:35], v[12:13], v[8:9]
	v_xor_b32_e32 v9, 0x80000000, v9
                                        ; implicit-def: $vgpr0_vgpr1
.LBB127_604:
	s_andn2_saveexec_b64 s[2:3], s[2:3]
	s_cbranch_execz .LBB127_606
; %bb.605:
	v_div_scale_f64 v[8:9], s[10:11], v[0:1], v[0:1], v[2:3]
	v_rcp_f64_e32 v[12:13], v[8:9]
	v_div_scale_f64 v[14:15], vcc, v[2:3], v[0:1], v[2:3]
	v_fma_f64 v[34:35], -v[8:9], v[12:13], 1.0
	v_fmac_f64_e32 v[12:13], v[12:13], v[34:35]
	v_fma_f64 v[34:35], -v[8:9], v[12:13], 1.0
	v_fmac_f64_e32 v[12:13], v[12:13], v[34:35]
	v_mul_f64 v[34:35], v[14:15], v[12:13]
	v_fma_f64 v[8:9], -v[8:9], v[34:35], v[14:15]
	v_div_fmas_f64 v[8:9], v[8:9], v[12:13], v[34:35]
	v_div_fixup_f64 v[8:9], v[8:9], v[0:1], v[2:3]
	v_fmac_f64_e32 v[0:1], v[2:3], v[8:9]
	v_div_scale_f64 v[2:3], s[10:11], v[0:1], v[0:1], 1.0
	v_rcp_f64_e32 v[12:13], v[2:3]
	s_nop 0
	v_fma_f64 v[14:15], -v[2:3], v[12:13], 1.0
	v_fmac_f64_e32 v[12:13], v[12:13], v[14:15]
	v_fma_f64 v[14:15], -v[2:3], v[12:13], 1.0
	v_fmac_f64_e32 v[12:13], v[12:13], v[14:15]
	v_div_scale_f64 v[14:15], vcc, 1.0, v[0:1], 1.0
	v_mul_f64 v[34:35], v[14:15], v[12:13]
	v_fma_f64 v[2:3], -v[2:3], v[34:35], v[14:15]
	s_nop 1
	v_div_fmas_f64 v[2:3], v[2:3], v[12:13], v[34:35]
	v_div_fixup_f64 v[34:35], v[2:3], v[0:1], 1.0
	v_mul_f64 v[8:9], v[8:9], -v[34:35]
.LBB127_606:
	s_or_b64 exec, exec, s[2:3]
	ds_write2_b64 v10, v[34:35], v[8:9] offset1:1
.LBB127_607:
	s_or_b64 exec, exec, s[4:5]
	s_waitcnt lgkmcnt(0)
	s_barrier
	ds_read2_b64 v[216:219], v10 offset1:1
	v_cmp_lt_u32_e32 vcc, 54, v254
	s_and_saveexec_b64 s[2:3], vcc
	s_cbranch_execz .LBB127_609
; %bb.608:
	scratch_load_dwordx4 v[0:3], off, off offset:864
	s_waitcnt vmcnt(0) lgkmcnt(0)
	v_mul_f64 v[8:9], v[218:219], v[2:3]
	v_mul_f64 v[222:223], v[216:217], v[2:3]
	v_fma_f64 v[220:221], v[216:217], v[0:1], -v[8:9]
	v_fmac_f64_e32 v[222:223], v[218:219], v[0:1]
	ds_read2_b64 v[0:3], v11 offset0:110 offset1:111
	scratch_store_dwordx4 off, v[220:223], off offset:864
	s_waitcnt lgkmcnt(0)
	v_mul_f64 v[8:9], v[2:3], v[222:223]
	v_mul_f64 v[12:13], v[0:1], v[222:223]
	v_fma_f64 v[8:9], v[0:1], v[220:221], -v[8:9]
	v_fmac_f64_e32 v[12:13], v[2:3], v[220:221]
	scratch_load_dwordx4 v[0:3], off, off offset:880
	s_waitcnt vmcnt(0)
	v_add_f64 v[0:1], v[0:1], -v[8:9]
	v_add_f64 v[2:3], v[2:3], -v[12:13]
	scratch_store_dwordx4 off, v[0:3], off offset:880
	ds_read2_b64 v[0:3], v11 offset0:112 offset1:113
	s_waitcnt lgkmcnt(0)
	v_mul_f64 v[8:9], v[2:3], v[222:223]
	v_mul_f64 v[12:13], v[0:1], v[222:223]
	v_fma_f64 v[8:9], v[0:1], v[220:221], -v[8:9]
	v_fmac_f64_e32 v[12:13], v[2:3], v[220:221]
	scratch_load_dwordx4 v[0:3], off, off offset:896
	s_waitcnt vmcnt(0)
	v_add_f64 v[0:1], v[0:1], -v[8:9]
	v_add_f64 v[2:3], v[2:3], -v[12:13]
	scratch_store_dwordx4 off, v[0:3], off offset:896
	ds_read2_b64 v[0:3], v11 offset0:114 offset1:115
	;; [unrolled: 11-line block ×5, first 2 shown]
	s_waitcnt lgkmcnt(0)
	v_mul_f64 v[8:9], v[2:3], v[222:223]
	v_mul_f64 v[12:13], v[0:1], v[222:223]
	v_fma_f64 v[8:9], v[0:1], v[220:221], -v[8:9]
	v_fmac_f64_e32 v[12:13], v[2:3], v[220:221]
	scratch_load_dwordx4 v[0:3], off, off offset:960
	scratch_load_dwordx4 v[220:223], off, off offset:864
	s_waitcnt vmcnt(1)
	v_add_f64 v[0:1], v[0:1], -v[8:9]
	v_add_f64 v[2:3], v[2:3], -v[12:13]
	scratch_store_dwordx4 off, v[0:3], off offset:960
	ds_read2_b64 v[0:3], v11 offset0:122 offset1:123
	s_waitcnt vmcnt(1) lgkmcnt(0)
	v_mul_f64 v[8:9], v[2:3], v[222:223]
	v_mul_f64 v[12:13], v[0:1], v[222:223]
	v_fma_f64 v[8:9], v[0:1], v[220:221], -v[8:9]
	v_fmac_f64_e32 v[12:13], v[2:3], v[220:221]
	scratch_load_dwordx4 v[0:3], off, off offset:976
	s_waitcnt vmcnt(0)
	v_add_f64 v[0:1], v[0:1], -v[8:9]
	v_add_f64 v[2:3], v[2:3], -v[12:13]
	scratch_store_dwordx4 off, v[0:3], off offset:976
	ds_read2_b64 v[0:3], v11 offset0:124 offset1:125
	s_waitcnt lgkmcnt(0)
	v_mul_f64 v[8:9], v[2:3], v[222:223]
	v_mul_f64 v[12:13], v[0:1], v[222:223]
	v_fma_f64 v[8:9], v[0:1], v[220:221], -v[8:9]
	v_fmac_f64_e32 v[12:13], v[2:3], v[220:221]
	scratch_load_dwordx4 v[0:3], off, off offset:992
	s_waitcnt vmcnt(0)
	v_add_f64 v[0:1], v[0:1], -v[8:9]
	v_add_f64 v[2:3], v[2:3], -v[12:13]
	scratch_store_dwordx4 off, v[0:3], off offset:992
	ds_read2_b64 v[0:3], v11 offset0:126 offset1:127
	s_waitcnt lgkmcnt(0)
	v_mul_f64 v[8:9], v[2:3], v[222:223]
	v_mul_f64 v[12:13], v[0:1], v[222:223]
	v_fma_f64 v[8:9], v[0:1], v[220:221], -v[8:9]
	v_fmac_f64_e32 v[12:13], v[2:3], v[220:221]
	scratch_load_dwordx4 v[0:3], off, off offset:1008
	s_waitcnt vmcnt(0)
	v_add_f64 v[0:1], v[0:1], -v[8:9]
	v_add_f64 v[2:3], v[2:3], -v[12:13]
	scratch_store_dwordx4 off, v[0:3], off offset:1008
.LBB127_609:
	s_or_b64 exec, exec, s[2:3]
	v_cmp_eq_u32_e32 vcc, 55, v254
	s_waitcnt lgkmcnt(0)
	s_barrier
	s_and_saveexec_b64 s[4:5], vcc
	s_cbranch_execz .LBB127_616
; %bb.610:
	scratch_load_dwordx4 v[0:3], off, s17
	s_waitcnt vmcnt(0)
	ds_write2_b64 v10, v[0:1], v[2:3] offset1:1
	scratch_load_dwordx4 v[0:3], off, s18
	s_waitcnt vmcnt(0)
	ds_write2_b64 v11, v[0:1], v[2:3] offset0:112 offset1:113
	scratch_load_dwordx4 v[0:3], off, s8
	s_waitcnt vmcnt(0)
	ds_write2_b64 v11, v[0:1], v[2:3] offset0:114 offset1:115
	;; [unrolled: 3-line block ×8, first 2 shown]
	ds_read2_b64 v[0:3], v10 offset1:1
	s_waitcnt lgkmcnt(0)
	v_cmp_neq_f64_e32 vcc, 0, v[0:1]
	v_cmp_neq_f64_e64 s[2:3], 0, v[2:3]
	s_or_b64 s[2:3], vcc, s[2:3]
	s_and_b64 exec, exec, s[2:3]
	s_cbranch_execz .LBB127_616
; %bb.611:
	v_cmp_ngt_f64_e64 s[2:3], |v[0:1]|, |v[2:3]|
                                        ; implicit-def: $vgpr34_vgpr35
	s_and_saveexec_b64 s[10:11], s[2:3]
	s_xor_b64 s[2:3], exec, s[10:11]
                                        ; implicit-def: $vgpr8_vgpr9
	s_cbranch_execz .LBB127_613
; %bb.612:
	v_div_scale_f64 v[8:9], s[10:11], v[2:3], v[2:3], v[0:1]
	v_rcp_f64_e32 v[12:13], v[8:9]
	v_div_scale_f64 v[14:15], vcc, v[0:1], v[2:3], v[0:1]
	v_fma_f64 v[34:35], -v[8:9], v[12:13], 1.0
	v_fmac_f64_e32 v[12:13], v[12:13], v[34:35]
	v_fma_f64 v[34:35], -v[8:9], v[12:13], 1.0
	v_fmac_f64_e32 v[12:13], v[12:13], v[34:35]
	v_mul_f64 v[34:35], v[14:15], v[12:13]
	v_fma_f64 v[8:9], -v[8:9], v[34:35], v[14:15]
	v_div_fmas_f64 v[8:9], v[8:9], v[12:13], v[34:35]
	v_div_fixup_f64 v[12:13], v[8:9], v[2:3], v[0:1]
	v_fmac_f64_e32 v[2:3], v[0:1], v[12:13]
	v_div_scale_f64 v[0:1], s[10:11], v[2:3], v[2:3], 1.0
	v_rcp_f64_e32 v[8:9], v[0:1]
	s_nop 0
	v_fma_f64 v[14:15], -v[0:1], v[8:9], 1.0
	v_fmac_f64_e32 v[8:9], v[8:9], v[14:15]
	v_fma_f64 v[14:15], -v[0:1], v[8:9], 1.0
	v_fmac_f64_e32 v[8:9], v[8:9], v[14:15]
	v_div_scale_f64 v[14:15], vcc, 1.0, v[2:3], 1.0
	v_mul_f64 v[34:35], v[14:15], v[8:9]
	v_fma_f64 v[0:1], -v[0:1], v[34:35], v[14:15]
	s_nop 1
	v_div_fmas_f64 v[0:1], v[0:1], v[8:9], v[34:35]
	v_div_fixup_f64 v[8:9], v[0:1], v[2:3], 1.0
	v_mul_f64 v[34:35], v[12:13], v[8:9]
	v_xor_b32_e32 v9, 0x80000000, v9
                                        ; implicit-def: $vgpr0_vgpr1
.LBB127_613:
	s_andn2_saveexec_b64 s[2:3], s[2:3]
	s_cbranch_execz .LBB127_615
; %bb.614:
	v_div_scale_f64 v[8:9], s[10:11], v[0:1], v[0:1], v[2:3]
	v_rcp_f64_e32 v[12:13], v[8:9]
	v_div_scale_f64 v[14:15], vcc, v[2:3], v[0:1], v[2:3]
	v_fma_f64 v[34:35], -v[8:9], v[12:13], 1.0
	v_fmac_f64_e32 v[12:13], v[12:13], v[34:35]
	v_fma_f64 v[34:35], -v[8:9], v[12:13], 1.0
	v_fmac_f64_e32 v[12:13], v[12:13], v[34:35]
	v_mul_f64 v[34:35], v[14:15], v[12:13]
	v_fma_f64 v[8:9], -v[8:9], v[34:35], v[14:15]
	v_div_fmas_f64 v[8:9], v[8:9], v[12:13], v[34:35]
	v_div_fixup_f64 v[8:9], v[8:9], v[0:1], v[2:3]
	v_fmac_f64_e32 v[0:1], v[2:3], v[8:9]
	v_div_scale_f64 v[2:3], s[10:11], v[0:1], v[0:1], 1.0
	v_rcp_f64_e32 v[12:13], v[2:3]
	s_nop 0
	v_fma_f64 v[14:15], -v[2:3], v[12:13], 1.0
	v_fmac_f64_e32 v[12:13], v[12:13], v[14:15]
	v_fma_f64 v[14:15], -v[2:3], v[12:13], 1.0
	v_fmac_f64_e32 v[12:13], v[12:13], v[14:15]
	v_div_scale_f64 v[14:15], vcc, 1.0, v[0:1], 1.0
	v_mul_f64 v[34:35], v[14:15], v[12:13]
	v_fma_f64 v[2:3], -v[2:3], v[34:35], v[14:15]
	s_nop 1
	v_div_fmas_f64 v[2:3], v[2:3], v[12:13], v[34:35]
	v_div_fixup_f64 v[34:35], v[2:3], v[0:1], 1.0
	v_mul_f64 v[8:9], v[8:9], -v[34:35]
.LBB127_615:
	s_or_b64 exec, exec, s[2:3]
	ds_write2_b64 v10, v[34:35], v[8:9] offset1:1
.LBB127_616:
	s_or_b64 exec, exec, s[4:5]
	s_waitcnt lgkmcnt(0)
	s_barrier
	ds_read2_b64 v[220:223], v10 offset1:1
	v_cmp_lt_u32_e32 vcc, 55, v254
	s_and_saveexec_b64 s[2:3], vcc
	s_cbranch_execz .LBB127_618
; %bb.617:
	scratch_load_dwordx4 v[0:3], off, off offset:880
	s_waitcnt vmcnt(0) lgkmcnt(0)
	v_mul_f64 v[8:9], v[222:223], v[2:3]
	v_mul_f64 v[226:227], v[220:221], v[2:3]
	v_fma_f64 v[224:225], v[220:221], v[0:1], -v[8:9]
	v_fmac_f64_e32 v[226:227], v[222:223], v[0:1]
	ds_read2_b64 v[0:3], v11 offset0:112 offset1:113
	scratch_store_dwordx4 off, v[224:227], off offset:880
	s_waitcnt lgkmcnt(0)
	v_mul_f64 v[8:9], v[2:3], v[226:227]
	v_mul_f64 v[12:13], v[0:1], v[226:227]
	v_fma_f64 v[8:9], v[0:1], v[224:225], -v[8:9]
	v_fmac_f64_e32 v[12:13], v[2:3], v[224:225]
	scratch_load_dwordx4 v[0:3], off, off offset:896
	s_waitcnt vmcnt(0)
	v_add_f64 v[0:1], v[0:1], -v[8:9]
	v_add_f64 v[2:3], v[2:3], -v[12:13]
	scratch_store_dwordx4 off, v[0:3], off offset:896
	ds_read2_b64 v[0:3], v11 offset0:114 offset1:115
	s_waitcnt lgkmcnt(0)
	v_mul_f64 v[8:9], v[2:3], v[226:227]
	v_mul_f64 v[12:13], v[0:1], v[226:227]
	v_fma_f64 v[8:9], v[0:1], v[224:225], -v[8:9]
	v_fmac_f64_e32 v[12:13], v[2:3], v[224:225]
	scratch_load_dwordx4 v[0:3], off, off offset:912
	s_waitcnt vmcnt(0)
	v_add_f64 v[0:1], v[0:1], -v[8:9]
	v_add_f64 v[2:3], v[2:3], -v[12:13]
	scratch_store_dwordx4 off, v[0:3], off offset:912
	ds_read2_b64 v[0:3], v11 offset0:116 offset1:117
	s_waitcnt lgkmcnt(0)
	v_mul_f64 v[8:9], v[2:3], v[226:227]
	v_mul_f64 v[12:13], v[0:1], v[226:227]
	v_fma_f64 v[8:9], v[0:1], v[224:225], -v[8:9]
	v_fmac_f64_e32 v[12:13], v[2:3], v[224:225]
	scratch_load_dwordx4 v[0:3], off, off offset:928
	s_waitcnt vmcnt(0)
	v_add_f64 v[0:1], v[0:1], -v[8:9]
	v_add_f64 v[2:3], v[2:3], -v[12:13]
	scratch_store_dwordx4 off, v[0:3], off offset:928
	ds_read2_b64 v[0:3], v11 offset0:118 offset1:119
	s_waitcnt lgkmcnt(0)
	v_mul_f64 v[8:9], v[2:3], v[226:227]
	v_mul_f64 v[12:13], v[0:1], v[226:227]
	v_fma_f64 v[8:9], v[0:1], v[224:225], -v[8:9]
	v_fmac_f64_e32 v[12:13], v[2:3], v[224:225]
	scratch_load_dwordx4 v[0:3], off, off offset:944
	s_waitcnt vmcnt(0)
	v_add_f64 v[0:1], v[0:1], -v[8:9]
	v_add_f64 v[2:3], v[2:3], -v[12:13]
	scratch_store_dwordx4 off, v[0:3], off offset:944
	ds_read2_b64 v[0:3], v11 offset0:120 offset1:121
	s_waitcnt lgkmcnt(0)
	v_mul_f64 v[8:9], v[2:3], v[226:227]
	v_mul_f64 v[12:13], v[0:1], v[226:227]
	v_fma_f64 v[8:9], v[0:1], v[224:225], -v[8:9]
	v_fmac_f64_e32 v[12:13], v[2:3], v[224:225]
	scratch_load_dwordx4 v[0:3], off, off offset:960
	s_waitcnt vmcnt(0)
	v_add_f64 v[0:1], v[0:1], -v[8:9]
	v_add_f64 v[2:3], v[2:3], -v[12:13]
	scratch_store_dwordx4 off, v[0:3], off offset:960
	ds_read2_b64 v[0:3], v11 offset0:122 offset1:123
	s_waitcnt lgkmcnt(0)
	v_mul_f64 v[8:9], v[2:3], v[226:227]
	v_mul_f64 v[12:13], v[0:1], v[226:227]
	v_fma_f64 v[8:9], v[0:1], v[224:225], -v[8:9]
	v_fmac_f64_e32 v[12:13], v[2:3], v[224:225]
	scratch_load_dwordx4 v[0:3], off, off offset:976
	scratch_load_dwordx4 v[224:227], off, off offset:880
	s_waitcnt vmcnt(1)
	v_add_f64 v[0:1], v[0:1], -v[8:9]
	v_add_f64 v[2:3], v[2:3], -v[12:13]
	scratch_store_dwordx4 off, v[0:3], off offset:976
	ds_read2_b64 v[0:3], v11 offset0:124 offset1:125
	s_waitcnt vmcnt(1) lgkmcnt(0)
	v_mul_f64 v[8:9], v[2:3], v[226:227]
	v_mul_f64 v[12:13], v[0:1], v[226:227]
	v_fma_f64 v[8:9], v[0:1], v[224:225], -v[8:9]
	v_fmac_f64_e32 v[12:13], v[2:3], v[224:225]
	scratch_load_dwordx4 v[0:3], off, off offset:992
	s_waitcnt vmcnt(0)
	v_add_f64 v[0:1], v[0:1], -v[8:9]
	v_add_f64 v[2:3], v[2:3], -v[12:13]
	scratch_store_dwordx4 off, v[0:3], off offset:992
	ds_read2_b64 v[0:3], v11 offset0:126 offset1:127
	s_waitcnt lgkmcnt(0)
	v_mul_f64 v[8:9], v[2:3], v[226:227]
	v_mul_f64 v[12:13], v[0:1], v[226:227]
	v_fma_f64 v[8:9], v[0:1], v[224:225], -v[8:9]
	v_fmac_f64_e32 v[12:13], v[2:3], v[224:225]
	scratch_load_dwordx4 v[0:3], off, off offset:1008
	s_waitcnt vmcnt(0)
	v_add_f64 v[0:1], v[0:1], -v[8:9]
	v_add_f64 v[2:3], v[2:3], -v[12:13]
	scratch_store_dwordx4 off, v[0:3], off offset:1008
.LBB127_618:
	s_or_b64 exec, exec, s[2:3]
	v_cmp_eq_u32_e32 vcc, 56, v254
	s_waitcnt lgkmcnt(0)
	s_barrier
	s_and_saveexec_b64 s[4:5], vcc
	s_cbranch_execz .LBB127_625
; %bb.619:
	scratch_load_dwordx4 v[0:3], off, s18
	s_waitcnt vmcnt(0)
	ds_write2_b64 v10, v[0:1], v[2:3] offset1:1
	scratch_load_dwordx4 v[0:3], off, s8
	s_waitcnt vmcnt(0)
	ds_write2_b64 v11, v[0:1], v[2:3] offset0:114 offset1:115
	scratch_load_dwordx4 v[0:3], off, s12
	s_waitcnt vmcnt(0)
	ds_write2_b64 v11, v[0:1], v[2:3] offset0:116 offset1:117
	;; [unrolled: 3-line block ×7, first 2 shown]
	ds_read2_b64 v[0:3], v10 offset1:1
	s_waitcnt lgkmcnt(0)
	v_cmp_neq_f64_e32 vcc, 0, v[0:1]
	v_cmp_neq_f64_e64 s[2:3], 0, v[2:3]
	s_or_b64 s[2:3], vcc, s[2:3]
	s_and_b64 exec, exec, s[2:3]
	s_cbranch_execz .LBB127_625
; %bb.620:
	v_cmp_ngt_f64_e64 s[2:3], |v[0:1]|, |v[2:3]|
                                        ; implicit-def: $vgpr34_vgpr35
	s_and_saveexec_b64 s[10:11], s[2:3]
	s_xor_b64 s[2:3], exec, s[10:11]
                                        ; implicit-def: $vgpr8_vgpr9
	s_cbranch_execz .LBB127_622
; %bb.621:
	v_div_scale_f64 v[8:9], s[10:11], v[2:3], v[2:3], v[0:1]
	v_rcp_f64_e32 v[12:13], v[8:9]
	v_div_scale_f64 v[14:15], vcc, v[0:1], v[2:3], v[0:1]
	v_fma_f64 v[34:35], -v[8:9], v[12:13], 1.0
	v_fmac_f64_e32 v[12:13], v[12:13], v[34:35]
	v_fma_f64 v[34:35], -v[8:9], v[12:13], 1.0
	v_fmac_f64_e32 v[12:13], v[12:13], v[34:35]
	v_mul_f64 v[34:35], v[14:15], v[12:13]
	v_fma_f64 v[8:9], -v[8:9], v[34:35], v[14:15]
	v_div_fmas_f64 v[8:9], v[8:9], v[12:13], v[34:35]
	v_div_fixup_f64 v[12:13], v[8:9], v[2:3], v[0:1]
	v_fmac_f64_e32 v[2:3], v[0:1], v[12:13]
	v_div_scale_f64 v[0:1], s[10:11], v[2:3], v[2:3], 1.0
	v_rcp_f64_e32 v[8:9], v[0:1]
	s_nop 0
	v_fma_f64 v[14:15], -v[0:1], v[8:9], 1.0
	v_fmac_f64_e32 v[8:9], v[8:9], v[14:15]
	v_fma_f64 v[14:15], -v[0:1], v[8:9], 1.0
	v_fmac_f64_e32 v[8:9], v[8:9], v[14:15]
	v_div_scale_f64 v[14:15], vcc, 1.0, v[2:3], 1.0
	v_mul_f64 v[34:35], v[14:15], v[8:9]
	v_fma_f64 v[0:1], -v[0:1], v[34:35], v[14:15]
	s_nop 1
	v_div_fmas_f64 v[0:1], v[0:1], v[8:9], v[34:35]
	v_div_fixup_f64 v[8:9], v[0:1], v[2:3], 1.0
	v_mul_f64 v[34:35], v[12:13], v[8:9]
	v_xor_b32_e32 v9, 0x80000000, v9
                                        ; implicit-def: $vgpr0_vgpr1
.LBB127_622:
	s_andn2_saveexec_b64 s[2:3], s[2:3]
	s_cbranch_execz .LBB127_624
; %bb.623:
	v_div_scale_f64 v[8:9], s[10:11], v[0:1], v[0:1], v[2:3]
	v_rcp_f64_e32 v[12:13], v[8:9]
	v_div_scale_f64 v[14:15], vcc, v[2:3], v[0:1], v[2:3]
	v_fma_f64 v[34:35], -v[8:9], v[12:13], 1.0
	v_fmac_f64_e32 v[12:13], v[12:13], v[34:35]
	v_fma_f64 v[34:35], -v[8:9], v[12:13], 1.0
	v_fmac_f64_e32 v[12:13], v[12:13], v[34:35]
	v_mul_f64 v[34:35], v[14:15], v[12:13]
	v_fma_f64 v[8:9], -v[8:9], v[34:35], v[14:15]
	v_div_fmas_f64 v[8:9], v[8:9], v[12:13], v[34:35]
	v_div_fixup_f64 v[8:9], v[8:9], v[0:1], v[2:3]
	v_fmac_f64_e32 v[0:1], v[2:3], v[8:9]
	v_div_scale_f64 v[2:3], s[10:11], v[0:1], v[0:1], 1.0
	v_rcp_f64_e32 v[12:13], v[2:3]
	s_nop 0
	v_fma_f64 v[14:15], -v[2:3], v[12:13], 1.0
	v_fmac_f64_e32 v[12:13], v[12:13], v[14:15]
	v_fma_f64 v[14:15], -v[2:3], v[12:13], 1.0
	v_fmac_f64_e32 v[12:13], v[12:13], v[14:15]
	v_div_scale_f64 v[14:15], vcc, 1.0, v[0:1], 1.0
	v_mul_f64 v[34:35], v[14:15], v[12:13]
	v_fma_f64 v[2:3], -v[2:3], v[34:35], v[14:15]
	s_nop 1
	v_div_fmas_f64 v[2:3], v[2:3], v[12:13], v[34:35]
	v_div_fixup_f64 v[34:35], v[2:3], v[0:1], 1.0
	v_mul_f64 v[8:9], v[8:9], -v[34:35]
.LBB127_624:
	s_or_b64 exec, exec, s[2:3]
	ds_write2_b64 v10, v[34:35], v[8:9] offset1:1
.LBB127_625:
	s_or_b64 exec, exec, s[4:5]
	s_waitcnt lgkmcnt(0)
	s_barrier
	ds_read2_b64 v[224:227], v10 offset1:1
	v_cmp_lt_u32_e32 vcc, 56, v254
	s_and_saveexec_b64 s[2:3], vcc
	s_cbranch_execz .LBB127_627
; %bb.626:
	scratch_load_dwordx4 v[0:3], off, off offset:896
	s_waitcnt vmcnt(0) lgkmcnt(0)
	v_mul_f64 v[8:9], v[226:227], v[2:3]
	v_mul_f64 v[230:231], v[224:225], v[2:3]
	v_fma_f64 v[228:229], v[224:225], v[0:1], -v[8:9]
	v_fmac_f64_e32 v[230:231], v[226:227], v[0:1]
	ds_read2_b64 v[0:3], v11 offset0:114 offset1:115
	scratch_store_dwordx4 off, v[228:231], off offset:896
	s_waitcnt lgkmcnt(0)
	v_mul_f64 v[8:9], v[2:3], v[230:231]
	v_mul_f64 v[12:13], v[0:1], v[230:231]
	v_fma_f64 v[8:9], v[0:1], v[228:229], -v[8:9]
	v_fmac_f64_e32 v[12:13], v[2:3], v[228:229]
	scratch_load_dwordx4 v[0:3], off, off offset:912
	s_waitcnt vmcnt(0)
	v_add_f64 v[0:1], v[0:1], -v[8:9]
	v_add_f64 v[2:3], v[2:3], -v[12:13]
	scratch_store_dwordx4 off, v[0:3], off offset:912
	ds_read2_b64 v[0:3], v11 offset0:116 offset1:117
	s_waitcnt lgkmcnt(0)
	v_mul_f64 v[8:9], v[2:3], v[230:231]
	v_mul_f64 v[12:13], v[0:1], v[230:231]
	v_fma_f64 v[8:9], v[0:1], v[228:229], -v[8:9]
	v_fmac_f64_e32 v[12:13], v[2:3], v[228:229]
	scratch_load_dwordx4 v[0:3], off, off offset:928
	s_waitcnt vmcnt(0)
	v_add_f64 v[0:1], v[0:1], -v[8:9]
	v_add_f64 v[2:3], v[2:3], -v[12:13]
	scratch_store_dwordx4 off, v[0:3], off offset:928
	ds_read2_b64 v[0:3], v11 offset0:118 offset1:119
	;; [unrolled: 11-line block ×5, first 2 shown]
	s_waitcnt lgkmcnt(0)
	v_mul_f64 v[8:9], v[2:3], v[230:231]
	v_mul_f64 v[12:13], v[0:1], v[230:231]
	v_fma_f64 v[8:9], v[0:1], v[228:229], -v[8:9]
	v_fmac_f64_e32 v[12:13], v[2:3], v[228:229]
	scratch_load_dwordx4 v[0:3], off, off offset:992
	scratch_load_dwordx4 v[228:231], off, off offset:896
	s_waitcnt vmcnt(1)
	v_add_f64 v[0:1], v[0:1], -v[8:9]
	v_add_f64 v[2:3], v[2:3], -v[12:13]
	scratch_store_dwordx4 off, v[0:3], off offset:992
	ds_read2_b64 v[0:3], v11 offset0:126 offset1:127
	s_waitcnt vmcnt(1) lgkmcnt(0)
	v_mul_f64 v[8:9], v[2:3], v[230:231]
	v_mul_f64 v[12:13], v[0:1], v[230:231]
	v_fma_f64 v[8:9], v[0:1], v[228:229], -v[8:9]
	v_fmac_f64_e32 v[12:13], v[2:3], v[228:229]
	scratch_load_dwordx4 v[0:3], off, off offset:1008
	s_waitcnt vmcnt(0)
	v_add_f64 v[0:1], v[0:1], -v[8:9]
	v_add_f64 v[2:3], v[2:3], -v[12:13]
	scratch_store_dwordx4 off, v[0:3], off offset:1008
.LBB127_627:
	s_or_b64 exec, exec, s[2:3]
	v_cmp_eq_u32_e32 vcc, 57, v254
	s_waitcnt lgkmcnt(0)
	s_barrier
	s_and_saveexec_b64 s[4:5], vcc
	s_cbranch_execz .LBB127_634
; %bb.628:
	scratch_load_dwordx4 v[0:3], off, s8
	s_waitcnt vmcnt(0)
	ds_write2_b64 v10, v[0:1], v[2:3] offset1:1
	scratch_load_dwordx4 v[0:3], off, s12
	s_waitcnt vmcnt(0)
	ds_write2_b64 v11, v[0:1], v[2:3] offset0:116 offset1:117
	scratch_load_dwordx4 v[0:3], off, s13
	s_waitcnt vmcnt(0)
	ds_write2_b64 v11, v[0:1], v[2:3] offset0:118 offset1:119
	;; [unrolled: 3-line block ×6, first 2 shown]
	ds_read2_b64 v[0:3], v10 offset1:1
	s_waitcnt lgkmcnt(0)
	v_cmp_neq_f64_e32 vcc, 0, v[0:1]
	v_cmp_neq_f64_e64 s[2:3], 0, v[2:3]
	s_or_b64 s[2:3], vcc, s[2:3]
	s_and_b64 exec, exec, s[2:3]
	s_cbranch_execz .LBB127_634
; %bb.629:
	v_cmp_ngt_f64_e64 s[2:3], |v[0:1]|, |v[2:3]|
                                        ; implicit-def: $vgpr34_vgpr35
	s_and_saveexec_b64 s[10:11], s[2:3]
	s_xor_b64 s[2:3], exec, s[10:11]
                                        ; implicit-def: $vgpr8_vgpr9
	s_cbranch_execz .LBB127_631
; %bb.630:
	v_div_scale_f64 v[8:9], s[10:11], v[2:3], v[2:3], v[0:1]
	v_rcp_f64_e32 v[12:13], v[8:9]
	v_div_scale_f64 v[14:15], vcc, v[0:1], v[2:3], v[0:1]
	v_fma_f64 v[34:35], -v[8:9], v[12:13], 1.0
	v_fmac_f64_e32 v[12:13], v[12:13], v[34:35]
	v_fma_f64 v[34:35], -v[8:9], v[12:13], 1.0
	v_fmac_f64_e32 v[12:13], v[12:13], v[34:35]
	v_mul_f64 v[34:35], v[14:15], v[12:13]
	v_fma_f64 v[8:9], -v[8:9], v[34:35], v[14:15]
	v_div_fmas_f64 v[8:9], v[8:9], v[12:13], v[34:35]
	v_div_fixup_f64 v[12:13], v[8:9], v[2:3], v[0:1]
	v_fmac_f64_e32 v[2:3], v[0:1], v[12:13]
	v_div_scale_f64 v[0:1], s[10:11], v[2:3], v[2:3], 1.0
	v_rcp_f64_e32 v[8:9], v[0:1]
	s_nop 0
	v_fma_f64 v[14:15], -v[0:1], v[8:9], 1.0
	v_fmac_f64_e32 v[8:9], v[8:9], v[14:15]
	v_fma_f64 v[14:15], -v[0:1], v[8:9], 1.0
	v_fmac_f64_e32 v[8:9], v[8:9], v[14:15]
	v_div_scale_f64 v[14:15], vcc, 1.0, v[2:3], 1.0
	v_mul_f64 v[34:35], v[14:15], v[8:9]
	v_fma_f64 v[0:1], -v[0:1], v[34:35], v[14:15]
	s_nop 1
	v_div_fmas_f64 v[0:1], v[0:1], v[8:9], v[34:35]
	v_div_fixup_f64 v[8:9], v[0:1], v[2:3], 1.0
	v_mul_f64 v[34:35], v[12:13], v[8:9]
	v_xor_b32_e32 v9, 0x80000000, v9
                                        ; implicit-def: $vgpr0_vgpr1
.LBB127_631:
	s_andn2_saveexec_b64 s[2:3], s[2:3]
	s_cbranch_execz .LBB127_633
; %bb.632:
	v_div_scale_f64 v[8:9], s[10:11], v[0:1], v[0:1], v[2:3]
	v_rcp_f64_e32 v[12:13], v[8:9]
	v_div_scale_f64 v[14:15], vcc, v[2:3], v[0:1], v[2:3]
	v_fma_f64 v[34:35], -v[8:9], v[12:13], 1.0
	v_fmac_f64_e32 v[12:13], v[12:13], v[34:35]
	v_fma_f64 v[34:35], -v[8:9], v[12:13], 1.0
	v_fmac_f64_e32 v[12:13], v[12:13], v[34:35]
	v_mul_f64 v[34:35], v[14:15], v[12:13]
	v_fma_f64 v[8:9], -v[8:9], v[34:35], v[14:15]
	v_div_fmas_f64 v[8:9], v[8:9], v[12:13], v[34:35]
	v_div_fixup_f64 v[8:9], v[8:9], v[0:1], v[2:3]
	v_fmac_f64_e32 v[0:1], v[2:3], v[8:9]
	v_div_scale_f64 v[2:3], s[10:11], v[0:1], v[0:1], 1.0
	v_rcp_f64_e32 v[12:13], v[2:3]
	s_nop 0
	v_fma_f64 v[14:15], -v[2:3], v[12:13], 1.0
	v_fmac_f64_e32 v[12:13], v[12:13], v[14:15]
	v_fma_f64 v[14:15], -v[2:3], v[12:13], 1.0
	v_fmac_f64_e32 v[12:13], v[12:13], v[14:15]
	v_div_scale_f64 v[14:15], vcc, 1.0, v[0:1], 1.0
	v_mul_f64 v[34:35], v[14:15], v[12:13]
	v_fma_f64 v[2:3], -v[2:3], v[34:35], v[14:15]
	s_nop 1
	v_div_fmas_f64 v[2:3], v[2:3], v[12:13], v[34:35]
	v_div_fixup_f64 v[34:35], v[2:3], v[0:1], 1.0
	v_mul_f64 v[8:9], v[8:9], -v[34:35]
.LBB127_633:
	s_or_b64 exec, exec, s[2:3]
	ds_write2_b64 v10, v[34:35], v[8:9] offset1:1
.LBB127_634:
	s_or_b64 exec, exec, s[4:5]
	s_waitcnt lgkmcnt(0)
	s_barrier
	ds_read2_b64 v[228:231], v10 offset1:1
	v_cmp_lt_u32_e32 vcc, 57, v254
	s_and_saveexec_b64 s[2:3], vcc
	s_cbranch_execz .LBB127_636
; %bb.635:
	scratch_load_dwordx4 v[0:3], off, off offset:912
	s_waitcnt vmcnt(0) lgkmcnt(0)
	v_mul_f64 v[8:9], v[230:231], v[2:3]
	v_mul_f64 v[234:235], v[228:229], v[2:3]
	v_fma_f64 v[232:233], v[228:229], v[0:1], -v[8:9]
	v_fmac_f64_e32 v[234:235], v[230:231], v[0:1]
	ds_read2_b64 v[0:3], v11 offset0:116 offset1:117
	scratch_store_dwordx4 off, v[232:235], off offset:912
	s_waitcnt lgkmcnt(0)
	v_mul_f64 v[8:9], v[2:3], v[234:235]
	v_mul_f64 v[12:13], v[0:1], v[234:235]
	v_fma_f64 v[8:9], v[0:1], v[232:233], -v[8:9]
	v_fmac_f64_e32 v[12:13], v[2:3], v[232:233]
	scratch_load_dwordx4 v[0:3], off, off offset:928
	s_waitcnt vmcnt(0)
	v_add_f64 v[0:1], v[0:1], -v[8:9]
	v_add_f64 v[2:3], v[2:3], -v[12:13]
	scratch_store_dwordx4 off, v[0:3], off offset:928
	ds_read2_b64 v[0:3], v11 offset0:118 offset1:119
	s_waitcnt lgkmcnt(0)
	v_mul_f64 v[8:9], v[2:3], v[234:235]
	v_mul_f64 v[12:13], v[0:1], v[234:235]
	v_fma_f64 v[8:9], v[0:1], v[232:233], -v[8:9]
	v_fmac_f64_e32 v[12:13], v[2:3], v[232:233]
	scratch_load_dwordx4 v[0:3], off, off offset:944
	s_waitcnt vmcnt(0)
	v_add_f64 v[0:1], v[0:1], -v[8:9]
	v_add_f64 v[2:3], v[2:3], -v[12:13]
	scratch_store_dwordx4 off, v[0:3], off offset:944
	ds_read2_b64 v[0:3], v11 offset0:120 offset1:121
	s_waitcnt lgkmcnt(0)
	v_mul_f64 v[8:9], v[2:3], v[234:235]
	v_mul_f64 v[12:13], v[0:1], v[234:235]
	v_fma_f64 v[8:9], v[0:1], v[232:233], -v[8:9]
	v_fmac_f64_e32 v[12:13], v[2:3], v[232:233]
	scratch_load_dwordx4 v[0:3], off, off offset:960
	s_waitcnt vmcnt(0)
	v_add_f64 v[0:1], v[0:1], -v[8:9]
	v_add_f64 v[2:3], v[2:3], -v[12:13]
	scratch_store_dwordx4 off, v[0:3], off offset:960
	ds_read2_b64 v[0:3], v11 offset0:122 offset1:123
	s_waitcnt lgkmcnt(0)
	v_mul_f64 v[8:9], v[2:3], v[234:235]
	v_mul_f64 v[12:13], v[0:1], v[234:235]
	v_fma_f64 v[8:9], v[0:1], v[232:233], -v[8:9]
	v_fmac_f64_e32 v[12:13], v[2:3], v[232:233]
	scratch_load_dwordx4 v[0:3], off, off offset:976
	s_waitcnt vmcnt(0)
	v_add_f64 v[0:1], v[0:1], -v[8:9]
	v_add_f64 v[2:3], v[2:3], -v[12:13]
	scratch_store_dwordx4 off, v[0:3], off offset:976
	ds_read2_b64 v[0:3], v11 offset0:124 offset1:125
	s_waitcnt lgkmcnt(0)
	v_mul_f64 v[8:9], v[2:3], v[234:235]
	v_mul_f64 v[12:13], v[0:1], v[234:235]
	v_fma_f64 v[8:9], v[0:1], v[232:233], -v[8:9]
	v_fmac_f64_e32 v[12:13], v[2:3], v[232:233]
	scratch_load_dwordx4 v[0:3], off, off offset:992
	s_waitcnt vmcnt(0)
	v_add_f64 v[0:1], v[0:1], -v[8:9]
	v_add_f64 v[2:3], v[2:3], -v[12:13]
	scratch_store_dwordx4 off, v[0:3], off offset:992
	ds_read2_b64 v[0:3], v11 offset0:126 offset1:127
	s_waitcnt lgkmcnt(0)
	v_mul_f64 v[8:9], v[2:3], v[234:235]
	v_mul_f64 v[12:13], v[0:1], v[234:235]
	v_fma_f64 v[8:9], v[0:1], v[232:233], -v[8:9]
	v_fmac_f64_e32 v[12:13], v[2:3], v[232:233]
	scratch_load_dwordx4 v[0:3], off, off offset:1008
	s_waitcnt vmcnt(0)
	v_add_f64 v[0:1], v[0:1], -v[8:9]
	v_add_f64 v[2:3], v[2:3], -v[12:13]
	scratch_store_dwordx4 off, v[0:3], off offset:1008
.LBB127_636:
	s_or_b64 exec, exec, s[2:3]
	v_cmp_eq_u32_e32 vcc, 58, v254
	s_waitcnt lgkmcnt(0)
	s_barrier
	s_and_saveexec_b64 s[4:5], vcc
	s_cbranch_execz .LBB127_643
; %bb.637:
	scratch_load_dwordx4 v[0:3], off, s12
	s_waitcnt vmcnt(0)
	ds_write2_b64 v10, v[0:1], v[2:3] offset1:1
	scratch_load_dwordx4 v[0:3], off, s13
	s_waitcnt vmcnt(0)
	ds_write2_b64 v11, v[0:1], v[2:3] offset0:118 offset1:119
	scratch_load_dwordx4 v[0:3], off, s14
	s_waitcnt vmcnt(0)
	ds_write2_b64 v11, v[0:1], v[2:3] offset0:120 offset1:121
	scratch_load_dwordx4 v[0:3], off, s15
	s_waitcnt vmcnt(0)
	ds_write2_b64 v11, v[0:1], v[2:3] offset0:122 offset1:123
	scratch_load_dwordx4 v[0:3], off, s16
	s_waitcnt vmcnt(0)
	ds_write2_b64 v11, v[0:1], v[2:3] offset0:124 offset1:125
	scratch_load_dwordx4 v[0:3], off, s46
	s_waitcnt vmcnt(0)
	ds_write2_b64 v11, v[0:1], v[2:3] offset0:126 offset1:127
	ds_read2_b64 v[0:3], v10 offset1:1
	s_waitcnt lgkmcnt(0)
	v_cmp_neq_f64_e32 vcc, 0, v[0:1]
	v_cmp_neq_f64_e64 s[2:3], 0, v[2:3]
	s_or_b64 s[2:3], vcc, s[2:3]
	s_and_b64 exec, exec, s[2:3]
	s_cbranch_execz .LBB127_643
; %bb.638:
	v_cmp_ngt_f64_e64 s[2:3], |v[0:1]|, |v[2:3]|
                                        ; implicit-def: $vgpr34_vgpr35
	s_and_saveexec_b64 s[10:11], s[2:3]
	s_xor_b64 s[2:3], exec, s[10:11]
                                        ; implicit-def: $vgpr8_vgpr9
	s_cbranch_execz .LBB127_640
; %bb.639:
	v_div_scale_f64 v[8:9], s[10:11], v[2:3], v[2:3], v[0:1]
	v_rcp_f64_e32 v[12:13], v[8:9]
	v_div_scale_f64 v[14:15], vcc, v[0:1], v[2:3], v[0:1]
	v_fma_f64 v[34:35], -v[8:9], v[12:13], 1.0
	v_fmac_f64_e32 v[12:13], v[12:13], v[34:35]
	v_fma_f64 v[34:35], -v[8:9], v[12:13], 1.0
	v_fmac_f64_e32 v[12:13], v[12:13], v[34:35]
	v_mul_f64 v[34:35], v[14:15], v[12:13]
	v_fma_f64 v[8:9], -v[8:9], v[34:35], v[14:15]
	v_div_fmas_f64 v[8:9], v[8:9], v[12:13], v[34:35]
	v_div_fixup_f64 v[12:13], v[8:9], v[2:3], v[0:1]
	v_fmac_f64_e32 v[2:3], v[0:1], v[12:13]
	v_div_scale_f64 v[0:1], s[10:11], v[2:3], v[2:3], 1.0
	v_rcp_f64_e32 v[8:9], v[0:1]
	s_nop 0
	v_fma_f64 v[14:15], -v[0:1], v[8:9], 1.0
	v_fmac_f64_e32 v[8:9], v[8:9], v[14:15]
	v_fma_f64 v[14:15], -v[0:1], v[8:9], 1.0
	v_fmac_f64_e32 v[8:9], v[8:9], v[14:15]
	v_div_scale_f64 v[14:15], vcc, 1.0, v[2:3], 1.0
	v_mul_f64 v[34:35], v[14:15], v[8:9]
	v_fma_f64 v[0:1], -v[0:1], v[34:35], v[14:15]
	s_nop 1
	v_div_fmas_f64 v[0:1], v[0:1], v[8:9], v[34:35]
	v_div_fixup_f64 v[8:9], v[0:1], v[2:3], 1.0
	v_mul_f64 v[34:35], v[12:13], v[8:9]
	v_xor_b32_e32 v9, 0x80000000, v9
                                        ; implicit-def: $vgpr0_vgpr1
.LBB127_640:
	s_andn2_saveexec_b64 s[2:3], s[2:3]
	s_cbranch_execz .LBB127_642
; %bb.641:
	v_div_scale_f64 v[8:9], s[10:11], v[0:1], v[0:1], v[2:3]
	v_rcp_f64_e32 v[12:13], v[8:9]
	v_div_scale_f64 v[14:15], vcc, v[2:3], v[0:1], v[2:3]
	v_fma_f64 v[34:35], -v[8:9], v[12:13], 1.0
	v_fmac_f64_e32 v[12:13], v[12:13], v[34:35]
	v_fma_f64 v[34:35], -v[8:9], v[12:13], 1.0
	v_fmac_f64_e32 v[12:13], v[12:13], v[34:35]
	v_mul_f64 v[34:35], v[14:15], v[12:13]
	v_fma_f64 v[8:9], -v[8:9], v[34:35], v[14:15]
	v_div_fmas_f64 v[8:9], v[8:9], v[12:13], v[34:35]
	v_div_fixup_f64 v[8:9], v[8:9], v[0:1], v[2:3]
	v_fmac_f64_e32 v[0:1], v[2:3], v[8:9]
	v_div_scale_f64 v[2:3], s[10:11], v[0:1], v[0:1], 1.0
	v_rcp_f64_e32 v[12:13], v[2:3]
	s_nop 0
	v_fma_f64 v[14:15], -v[2:3], v[12:13], 1.0
	v_fmac_f64_e32 v[12:13], v[12:13], v[14:15]
	v_fma_f64 v[14:15], -v[2:3], v[12:13], 1.0
	v_fmac_f64_e32 v[12:13], v[12:13], v[14:15]
	v_div_scale_f64 v[14:15], vcc, 1.0, v[0:1], 1.0
	v_mul_f64 v[34:35], v[14:15], v[12:13]
	v_fma_f64 v[2:3], -v[2:3], v[34:35], v[14:15]
	s_nop 1
	v_div_fmas_f64 v[2:3], v[2:3], v[12:13], v[34:35]
	v_div_fixup_f64 v[34:35], v[2:3], v[0:1], 1.0
	v_mul_f64 v[8:9], v[8:9], -v[34:35]
.LBB127_642:
	s_or_b64 exec, exec, s[2:3]
	ds_write2_b64 v10, v[34:35], v[8:9] offset1:1
.LBB127_643:
	s_or_b64 exec, exec, s[4:5]
	s_waitcnt lgkmcnt(0)
	s_barrier
	ds_read2_b64 v[232:235], v10 offset1:1
	v_cmp_lt_u32_e32 vcc, 58, v254
	s_and_saveexec_b64 s[2:3], vcc
	s_cbranch_execz .LBB127_645
; %bb.644:
	scratch_load_dwordx4 v[0:3], off, off offset:928
	s_waitcnt vmcnt(0) lgkmcnt(0)
	v_mul_f64 v[8:9], v[234:235], v[2:3]
	v_mul_f64 v[238:239], v[232:233], v[2:3]
	v_fma_f64 v[236:237], v[232:233], v[0:1], -v[8:9]
	v_fmac_f64_e32 v[238:239], v[234:235], v[0:1]
	ds_read2_b64 v[0:3], v11 offset0:118 offset1:119
	scratch_store_dwordx4 off, v[236:239], off offset:928
	s_waitcnt lgkmcnt(0)
	v_mul_f64 v[8:9], v[2:3], v[238:239]
	v_mul_f64 v[12:13], v[0:1], v[238:239]
	v_fma_f64 v[8:9], v[0:1], v[236:237], -v[8:9]
	v_fmac_f64_e32 v[12:13], v[2:3], v[236:237]
	scratch_load_dwordx4 v[0:3], off, off offset:944
	s_waitcnt vmcnt(0)
	v_add_f64 v[0:1], v[0:1], -v[8:9]
	v_add_f64 v[2:3], v[2:3], -v[12:13]
	scratch_store_dwordx4 off, v[0:3], off offset:944
	ds_read2_b64 v[0:3], v11 offset0:120 offset1:121
	s_waitcnt lgkmcnt(0)
	v_mul_f64 v[8:9], v[2:3], v[238:239]
	v_mul_f64 v[12:13], v[0:1], v[238:239]
	v_fma_f64 v[8:9], v[0:1], v[236:237], -v[8:9]
	v_fmac_f64_e32 v[12:13], v[2:3], v[236:237]
	scratch_load_dwordx4 v[0:3], off, off offset:960
	s_waitcnt vmcnt(0)
	v_add_f64 v[0:1], v[0:1], -v[8:9]
	v_add_f64 v[2:3], v[2:3], -v[12:13]
	scratch_store_dwordx4 off, v[0:3], off offset:960
	ds_read2_b64 v[0:3], v11 offset0:122 offset1:123
	;; [unrolled: 11-line block ×4, first 2 shown]
	s_waitcnt lgkmcnt(0)
	v_mul_f64 v[8:9], v[2:3], v[238:239]
	v_mul_f64 v[12:13], v[0:1], v[238:239]
	v_fma_f64 v[8:9], v[0:1], v[236:237], -v[8:9]
	v_fmac_f64_e32 v[12:13], v[2:3], v[236:237]
	scratch_load_dwordx4 v[0:3], off, off offset:1008
	s_waitcnt vmcnt(0)
	v_add_f64 v[0:1], v[0:1], -v[8:9]
	v_add_f64 v[2:3], v[2:3], -v[12:13]
	scratch_store_dwordx4 off, v[0:3], off offset:1008
.LBB127_645:
	s_or_b64 exec, exec, s[2:3]
	v_cmp_eq_u32_e32 vcc, 59, v254
	s_waitcnt lgkmcnt(0)
	s_barrier
	s_and_saveexec_b64 s[4:5], vcc
	s_cbranch_execz .LBB127_652
; %bb.646:
	scratch_load_dwordx4 v[0:3], off, s13
	s_waitcnt vmcnt(0)
	ds_write2_b64 v10, v[0:1], v[2:3] offset1:1
	scratch_load_dwordx4 v[0:3], off, s14
	s_waitcnt vmcnt(0)
	ds_write2_b64 v11, v[0:1], v[2:3] offset0:120 offset1:121
	scratch_load_dwordx4 v[0:3], off, s15
	s_waitcnt vmcnt(0)
	ds_write2_b64 v11, v[0:1], v[2:3] offset0:122 offset1:123
	;; [unrolled: 3-line block ×4, first 2 shown]
	ds_read2_b64 v[0:3], v10 offset1:1
	s_waitcnt lgkmcnt(0)
	v_cmp_neq_f64_e32 vcc, 0, v[0:1]
	v_cmp_neq_f64_e64 s[2:3], 0, v[2:3]
	s_or_b64 s[2:3], vcc, s[2:3]
	s_and_b64 exec, exec, s[2:3]
	s_cbranch_execz .LBB127_652
; %bb.647:
	v_cmp_ngt_f64_e64 s[2:3], |v[0:1]|, |v[2:3]|
                                        ; implicit-def: $vgpr34_vgpr35
	s_and_saveexec_b64 s[10:11], s[2:3]
	s_xor_b64 s[2:3], exec, s[10:11]
                                        ; implicit-def: $vgpr8_vgpr9
	s_cbranch_execz .LBB127_649
; %bb.648:
	v_div_scale_f64 v[8:9], s[10:11], v[2:3], v[2:3], v[0:1]
	v_rcp_f64_e32 v[12:13], v[8:9]
	v_div_scale_f64 v[14:15], vcc, v[0:1], v[2:3], v[0:1]
	v_fma_f64 v[34:35], -v[8:9], v[12:13], 1.0
	v_fmac_f64_e32 v[12:13], v[12:13], v[34:35]
	v_fma_f64 v[34:35], -v[8:9], v[12:13], 1.0
	v_fmac_f64_e32 v[12:13], v[12:13], v[34:35]
	v_mul_f64 v[34:35], v[14:15], v[12:13]
	v_fma_f64 v[8:9], -v[8:9], v[34:35], v[14:15]
	v_div_fmas_f64 v[8:9], v[8:9], v[12:13], v[34:35]
	v_div_fixup_f64 v[12:13], v[8:9], v[2:3], v[0:1]
	v_fmac_f64_e32 v[2:3], v[0:1], v[12:13]
	v_div_scale_f64 v[0:1], s[10:11], v[2:3], v[2:3], 1.0
	v_rcp_f64_e32 v[8:9], v[0:1]
	s_nop 0
	v_fma_f64 v[14:15], -v[0:1], v[8:9], 1.0
	v_fmac_f64_e32 v[8:9], v[8:9], v[14:15]
	v_fma_f64 v[14:15], -v[0:1], v[8:9], 1.0
	v_fmac_f64_e32 v[8:9], v[8:9], v[14:15]
	v_div_scale_f64 v[14:15], vcc, 1.0, v[2:3], 1.0
	v_mul_f64 v[34:35], v[14:15], v[8:9]
	v_fma_f64 v[0:1], -v[0:1], v[34:35], v[14:15]
	s_nop 1
	v_div_fmas_f64 v[0:1], v[0:1], v[8:9], v[34:35]
	v_div_fixup_f64 v[8:9], v[0:1], v[2:3], 1.0
	v_mul_f64 v[34:35], v[12:13], v[8:9]
	v_xor_b32_e32 v9, 0x80000000, v9
                                        ; implicit-def: $vgpr0_vgpr1
.LBB127_649:
	s_andn2_saveexec_b64 s[2:3], s[2:3]
	s_cbranch_execz .LBB127_651
; %bb.650:
	v_div_scale_f64 v[8:9], s[10:11], v[0:1], v[0:1], v[2:3]
	v_rcp_f64_e32 v[12:13], v[8:9]
	v_div_scale_f64 v[14:15], vcc, v[2:3], v[0:1], v[2:3]
	v_fma_f64 v[34:35], -v[8:9], v[12:13], 1.0
	v_fmac_f64_e32 v[12:13], v[12:13], v[34:35]
	v_fma_f64 v[34:35], -v[8:9], v[12:13], 1.0
	v_fmac_f64_e32 v[12:13], v[12:13], v[34:35]
	v_mul_f64 v[34:35], v[14:15], v[12:13]
	v_fma_f64 v[8:9], -v[8:9], v[34:35], v[14:15]
	v_div_fmas_f64 v[8:9], v[8:9], v[12:13], v[34:35]
	v_div_fixup_f64 v[8:9], v[8:9], v[0:1], v[2:3]
	v_fmac_f64_e32 v[0:1], v[2:3], v[8:9]
	v_div_scale_f64 v[2:3], s[10:11], v[0:1], v[0:1], 1.0
	v_rcp_f64_e32 v[12:13], v[2:3]
	s_nop 0
	v_fma_f64 v[14:15], -v[2:3], v[12:13], 1.0
	v_fmac_f64_e32 v[12:13], v[12:13], v[14:15]
	v_fma_f64 v[14:15], -v[2:3], v[12:13], 1.0
	v_fmac_f64_e32 v[12:13], v[12:13], v[14:15]
	v_div_scale_f64 v[14:15], vcc, 1.0, v[0:1], 1.0
	v_mul_f64 v[34:35], v[14:15], v[12:13]
	v_fma_f64 v[2:3], -v[2:3], v[34:35], v[14:15]
	s_nop 1
	v_div_fmas_f64 v[2:3], v[2:3], v[12:13], v[34:35]
	v_div_fixup_f64 v[34:35], v[2:3], v[0:1], 1.0
	v_mul_f64 v[8:9], v[8:9], -v[34:35]
.LBB127_651:
	s_or_b64 exec, exec, s[2:3]
	ds_write2_b64 v10, v[34:35], v[8:9] offset1:1
.LBB127_652:
	s_or_b64 exec, exec, s[4:5]
	s_waitcnt lgkmcnt(0)
	s_barrier
	ds_read2_b64 v[236:239], v10 offset1:1
	v_cmp_lt_u32_e32 vcc, 59, v254
	s_and_saveexec_b64 s[2:3], vcc
	s_cbranch_execz .LBB127_654
; %bb.653:
	scratch_load_dwordx4 v[0:3], off, off offset:944
	s_waitcnt vmcnt(0) lgkmcnt(0)
	v_mul_f64 v[8:9], v[238:239], v[2:3]
	v_mul_f64 v[242:243], v[236:237], v[2:3]
	v_fma_f64 v[240:241], v[236:237], v[0:1], -v[8:9]
	v_fmac_f64_e32 v[242:243], v[238:239], v[0:1]
	ds_read2_b64 v[0:3], v11 offset0:120 offset1:121
	scratch_store_dwordx4 off, v[240:243], off offset:944
	s_waitcnt lgkmcnt(0)
	v_mul_f64 v[8:9], v[2:3], v[242:243]
	v_mul_f64 v[12:13], v[0:1], v[242:243]
	v_fma_f64 v[8:9], v[0:1], v[240:241], -v[8:9]
	v_fmac_f64_e32 v[12:13], v[2:3], v[240:241]
	scratch_load_dwordx4 v[0:3], off, off offset:960
	s_waitcnt vmcnt(0)
	v_add_f64 v[0:1], v[0:1], -v[8:9]
	v_add_f64 v[2:3], v[2:3], -v[12:13]
	scratch_store_dwordx4 off, v[0:3], off offset:960
	ds_read2_b64 v[0:3], v11 offset0:122 offset1:123
	s_waitcnt lgkmcnt(0)
	v_mul_f64 v[8:9], v[2:3], v[242:243]
	v_mul_f64 v[12:13], v[0:1], v[242:243]
	v_fma_f64 v[8:9], v[0:1], v[240:241], -v[8:9]
	v_fmac_f64_e32 v[12:13], v[2:3], v[240:241]
	scratch_load_dwordx4 v[0:3], off, off offset:976
	s_waitcnt vmcnt(0)
	v_add_f64 v[0:1], v[0:1], -v[8:9]
	v_add_f64 v[2:3], v[2:3], -v[12:13]
	scratch_store_dwordx4 off, v[0:3], off offset:976
	ds_read2_b64 v[0:3], v11 offset0:124 offset1:125
	;; [unrolled: 11-line block ×3, first 2 shown]
	s_waitcnt lgkmcnt(0)
	v_mul_f64 v[8:9], v[2:3], v[242:243]
	v_mul_f64 v[12:13], v[0:1], v[242:243]
	v_fma_f64 v[8:9], v[0:1], v[240:241], -v[8:9]
	v_fmac_f64_e32 v[12:13], v[2:3], v[240:241]
	scratch_load_dwordx4 v[0:3], off, off offset:1008
	s_waitcnt vmcnt(0)
	v_add_f64 v[0:1], v[0:1], -v[8:9]
	v_add_f64 v[2:3], v[2:3], -v[12:13]
	scratch_store_dwordx4 off, v[0:3], off offset:1008
.LBB127_654:
	s_or_b64 exec, exec, s[2:3]
	v_cmp_eq_u32_e32 vcc, 60, v254
	s_waitcnt lgkmcnt(0)
	s_barrier
	s_and_saveexec_b64 s[4:5], vcc
	s_cbranch_execz .LBB127_661
; %bb.655:
	scratch_load_dwordx4 v[0:3], off, s14
	s_waitcnt vmcnt(0)
	ds_write2_b64 v10, v[0:1], v[2:3] offset1:1
	scratch_load_dwordx4 v[0:3], off, s15
	s_waitcnt vmcnt(0)
	ds_write2_b64 v11, v[0:1], v[2:3] offset0:122 offset1:123
	scratch_load_dwordx4 v[0:3], off, s16
	s_waitcnt vmcnt(0)
	ds_write2_b64 v11, v[0:1], v[2:3] offset0:124 offset1:125
	;; [unrolled: 3-line block ×3, first 2 shown]
	ds_read2_b64 v[0:3], v10 offset1:1
	s_waitcnt lgkmcnt(0)
	v_cmp_neq_f64_e32 vcc, 0, v[0:1]
	v_cmp_neq_f64_e64 s[2:3], 0, v[2:3]
	s_or_b64 s[2:3], vcc, s[2:3]
	s_and_b64 exec, exec, s[2:3]
	s_cbranch_execz .LBB127_661
; %bb.656:
	v_cmp_ngt_f64_e64 s[2:3], |v[0:1]|, |v[2:3]|
                                        ; implicit-def: $vgpr34_vgpr35
	s_and_saveexec_b64 s[10:11], s[2:3]
	s_xor_b64 s[2:3], exec, s[10:11]
                                        ; implicit-def: $vgpr8_vgpr9
	s_cbranch_execz .LBB127_658
; %bb.657:
	v_div_scale_f64 v[8:9], s[10:11], v[2:3], v[2:3], v[0:1]
	v_rcp_f64_e32 v[12:13], v[8:9]
	v_div_scale_f64 v[14:15], vcc, v[0:1], v[2:3], v[0:1]
	v_fma_f64 v[34:35], -v[8:9], v[12:13], 1.0
	v_fmac_f64_e32 v[12:13], v[12:13], v[34:35]
	v_fma_f64 v[34:35], -v[8:9], v[12:13], 1.0
	v_fmac_f64_e32 v[12:13], v[12:13], v[34:35]
	v_mul_f64 v[34:35], v[14:15], v[12:13]
	v_fma_f64 v[8:9], -v[8:9], v[34:35], v[14:15]
	v_div_fmas_f64 v[8:9], v[8:9], v[12:13], v[34:35]
	v_div_fixup_f64 v[12:13], v[8:9], v[2:3], v[0:1]
	v_fmac_f64_e32 v[2:3], v[0:1], v[12:13]
	v_div_scale_f64 v[0:1], s[10:11], v[2:3], v[2:3], 1.0
	v_rcp_f64_e32 v[8:9], v[0:1]
	s_nop 0
	v_fma_f64 v[14:15], -v[0:1], v[8:9], 1.0
	v_fmac_f64_e32 v[8:9], v[8:9], v[14:15]
	v_fma_f64 v[14:15], -v[0:1], v[8:9], 1.0
	v_fmac_f64_e32 v[8:9], v[8:9], v[14:15]
	v_div_scale_f64 v[14:15], vcc, 1.0, v[2:3], 1.0
	v_mul_f64 v[34:35], v[14:15], v[8:9]
	v_fma_f64 v[0:1], -v[0:1], v[34:35], v[14:15]
	s_nop 1
	v_div_fmas_f64 v[0:1], v[0:1], v[8:9], v[34:35]
	v_div_fixup_f64 v[8:9], v[0:1], v[2:3], 1.0
	v_mul_f64 v[34:35], v[12:13], v[8:9]
	v_xor_b32_e32 v9, 0x80000000, v9
                                        ; implicit-def: $vgpr0_vgpr1
.LBB127_658:
	s_andn2_saveexec_b64 s[2:3], s[2:3]
	s_cbranch_execz .LBB127_660
; %bb.659:
	v_div_scale_f64 v[8:9], s[10:11], v[0:1], v[0:1], v[2:3]
	v_rcp_f64_e32 v[12:13], v[8:9]
	v_div_scale_f64 v[14:15], vcc, v[2:3], v[0:1], v[2:3]
	v_fma_f64 v[34:35], -v[8:9], v[12:13], 1.0
	v_fmac_f64_e32 v[12:13], v[12:13], v[34:35]
	v_fma_f64 v[34:35], -v[8:9], v[12:13], 1.0
	v_fmac_f64_e32 v[12:13], v[12:13], v[34:35]
	v_mul_f64 v[34:35], v[14:15], v[12:13]
	v_fma_f64 v[8:9], -v[8:9], v[34:35], v[14:15]
	v_div_fmas_f64 v[8:9], v[8:9], v[12:13], v[34:35]
	v_div_fixup_f64 v[8:9], v[8:9], v[0:1], v[2:3]
	v_fmac_f64_e32 v[0:1], v[2:3], v[8:9]
	v_div_scale_f64 v[2:3], s[10:11], v[0:1], v[0:1], 1.0
	v_rcp_f64_e32 v[12:13], v[2:3]
	s_nop 0
	v_fma_f64 v[14:15], -v[2:3], v[12:13], 1.0
	v_fmac_f64_e32 v[12:13], v[12:13], v[14:15]
	v_fma_f64 v[14:15], -v[2:3], v[12:13], 1.0
	v_fmac_f64_e32 v[12:13], v[12:13], v[14:15]
	v_div_scale_f64 v[14:15], vcc, 1.0, v[0:1], 1.0
	v_mul_f64 v[34:35], v[14:15], v[12:13]
	v_fma_f64 v[2:3], -v[2:3], v[34:35], v[14:15]
	s_nop 1
	v_div_fmas_f64 v[2:3], v[2:3], v[12:13], v[34:35]
	v_div_fixup_f64 v[34:35], v[2:3], v[0:1], 1.0
	v_mul_f64 v[8:9], v[8:9], -v[34:35]
.LBB127_660:
	s_or_b64 exec, exec, s[2:3]
	ds_write2_b64 v10, v[34:35], v[8:9] offset1:1
.LBB127_661:
	s_or_b64 exec, exec, s[4:5]
	s_waitcnt lgkmcnt(0)
	s_barrier
	ds_read2_b64 v[240:243], v10 offset1:1
	v_cmp_lt_u32_e32 vcc, 60, v254
	s_and_saveexec_b64 s[2:3], vcc
	s_cbranch_execz .LBB127_663
; %bb.662:
	scratch_load_dwordx4 v[0:3], off, off offset:960
	s_waitcnt vmcnt(0) lgkmcnt(0)
	v_mul_f64 v[8:9], v[242:243], v[2:3]
	v_mul_f64 v[246:247], v[240:241], v[2:3]
	v_fma_f64 v[244:245], v[240:241], v[0:1], -v[8:9]
	v_fmac_f64_e32 v[246:247], v[242:243], v[0:1]
	ds_read2_b64 v[0:3], v11 offset0:122 offset1:123
	scratch_store_dwordx4 off, v[244:247], off offset:960
	s_waitcnt lgkmcnt(0)
	v_mul_f64 v[8:9], v[2:3], v[246:247]
	v_mul_f64 v[12:13], v[0:1], v[246:247]
	v_fma_f64 v[8:9], v[0:1], v[244:245], -v[8:9]
	v_fmac_f64_e32 v[12:13], v[2:3], v[244:245]
	scratch_load_dwordx4 v[0:3], off, off offset:976
	s_waitcnt vmcnt(0)
	v_add_f64 v[0:1], v[0:1], -v[8:9]
	v_add_f64 v[2:3], v[2:3], -v[12:13]
	scratch_store_dwordx4 off, v[0:3], off offset:976
	ds_read2_b64 v[0:3], v11 offset0:124 offset1:125
	s_waitcnt lgkmcnt(0)
	v_mul_f64 v[8:9], v[2:3], v[246:247]
	v_mul_f64 v[12:13], v[0:1], v[246:247]
	v_fma_f64 v[8:9], v[0:1], v[244:245], -v[8:9]
	v_fmac_f64_e32 v[12:13], v[2:3], v[244:245]
	scratch_load_dwordx4 v[0:3], off, off offset:992
	s_waitcnt vmcnt(0)
	v_add_f64 v[0:1], v[0:1], -v[8:9]
	v_add_f64 v[2:3], v[2:3], -v[12:13]
	scratch_store_dwordx4 off, v[0:3], off offset:992
	ds_read2_b64 v[0:3], v11 offset0:126 offset1:127
	s_waitcnt lgkmcnt(0)
	v_mul_f64 v[8:9], v[2:3], v[246:247]
	v_mul_f64 v[12:13], v[0:1], v[246:247]
	v_fma_f64 v[8:9], v[0:1], v[244:245], -v[8:9]
	v_fmac_f64_e32 v[12:13], v[2:3], v[244:245]
	scratch_load_dwordx4 v[0:3], off, off offset:1008
	s_waitcnt vmcnt(0)
	v_add_f64 v[0:1], v[0:1], -v[8:9]
	v_add_f64 v[2:3], v[2:3], -v[12:13]
	scratch_store_dwordx4 off, v[0:3], off offset:1008
.LBB127_663:
	s_or_b64 exec, exec, s[2:3]
	v_cmp_eq_u32_e32 vcc, 61, v254
	s_waitcnt lgkmcnt(0)
	s_barrier
	s_and_saveexec_b64 s[4:5], vcc
	s_cbranch_execz .LBB127_670
; %bb.664:
	scratch_load_dwordx4 v[0:3], off, s15
	s_waitcnt vmcnt(0)
	ds_write2_b64 v10, v[0:1], v[2:3] offset1:1
	scratch_load_dwordx4 v[0:3], off, s16
	s_waitcnt vmcnt(0)
	ds_write2_b64 v11, v[0:1], v[2:3] offset0:124 offset1:125
	scratch_load_dwordx4 v[0:3], off, s46
	s_waitcnt vmcnt(0)
	ds_write2_b64 v11, v[0:1], v[2:3] offset0:126 offset1:127
	ds_read2_b64 v[0:3], v10 offset1:1
	s_waitcnt lgkmcnt(0)
	v_cmp_neq_f64_e32 vcc, 0, v[0:1]
	v_cmp_neq_f64_e64 s[2:3], 0, v[2:3]
	s_or_b64 s[2:3], vcc, s[2:3]
	s_and_b64 exec, exec, s[2:3]
	s_cbranch_execz .LBB127_670
; %bb.665:
	v_cmp_ngt_f64_e64 s[2:3], |v[0:1]|, |v[2:3]|
                                        ; implicit-def: $vgpr34_vgpr35
	s_and_saveexec_b64 s[10:11], s[2:3]
	s_xor_b64 s[2:3], exec, s[10:11]
                                        ; implicit-def: $vgpr8_vgpr9
	s_cbranch_execz .LBB127_667
; %bb.666:
	v_div_scale_f64 v[8:9], s[10:11], v[2:3], v[2:3], v[0:1]
	v_rcp_f64_e32 v[12:13], v[8:9]
	v_div_scale_f64 v[14:15], vcc, v[0:1], v[2:3], v[0:1]
	v_fma_f64 v[34:35], -v[8:9], v[12:13], 1.0
	v_fmac_f64_e32 v[12:13], v[12:13], v[34:35]
	v_fma_f64 v[34:35], -v[8:9], v[12:13], 1.0
	v_fmac_f64_e32 v[12:13], v[12:13], v[34:35]
	v_mul_f64 v[34:35], v[14:15], v[12:13]
	v_fma_f64 v[8:9], -v[8:9], v[34:35], v[14:15]
	v_div_fmas_f64 v[8:9], v[8:9], v[12:13], v[34:35]
	v_div_fixup_f64 v[12:13], v[8:9], v[2:3], v[0:1]
	v_fmac_f64_e32 v[2:3], v[0:1], v[12:13]
	v_div_scale_f64 v[0:1], s[10:11], v[2:3], v[2:3], 1.0
	v_rcp_f64_e32 v[8:9], v[0:1]
	s_nop 0
	v_fma_f64 v[14:15], -v[0:1], v[8:9], 1.0
	v_fmac_f64_e32 v[8:9], v[8:9], v[14:15]
	v_fma_f64 v[14:15], -v[0:1], v[8:9], 1.0
	v_fmac_f64_e32 v[8:9], v[8:9], v[14:15]
	v_div_scale_f64 v[14:15], vcc, 1.0, v[2:3], 1.0
	v_mul_f64 v[34:35], v[14:15], v[8:9]
	v_fma_f64 v[0:1], -v[0:1], v[34:35], v[14:15]
	s_nop 1
	v_div_fmas_f64 v[0:1], v[0:1], v[8:9], v[34:35]
	v_div_fixup_f64 v[8:9], v[0:1], v[2:3], 1.0
	v_mul_f64 v[34:35], v[12:13], v[8:9]
	v_xor_b32_e32 v9, 0x80000000, v9
                                        ; implicit-def: $vgpr0_vgpr1
.LBB127_667:
	s_andn2_saveexec_b64 s[2:3], s[2:3]
	s_cbranch_execz .LBB127_669
; %bb.668:
	v_div_scale_f64 v[8:9], s[10:11], v[0:1], v[0:1], v[2:3]
	v_rcp_f64_e32 v[12:13], v[8:9]
	v_div_scale_f64 v[14:15], vcc, v[2:3], v[0:1], v[2:3]
	v_fma_f64 v[34:35], -v[8:9], v[12:13], 1.0
	v_fmac_f64_e32 v[12:13], v[12:13], v[34:35]
	v_fma_f64 v[34:35], -v[8:9], v[12:13], 1.0
	v_fmac_f64_e32 v[12:13], v[12:13], v[34:35]
	v_mul_f64 v[34:35], v[14:15], v[12:13]
	v_fma_f64 v[8:9], -v[8:9], v[34:35], v[14:15]
	v_div_fmas_f64 v[8:9], v[8:9], v[12:13], v[34:35]
	v_div_fixup_f64 v[8:9], v[8:9], v[0:1], v[2:3]
	v_fmac_f64_e32 v[0:1], v[2:3], v[8:9]
	v_div_scale_f64 v[2:3], s[10:11], v[0:1], v[0:1], 1.0
	v_rcp_f64_e32 v[12:13], v[2:3]
	s_nop 0
	v_fma_f64 v[14:15], -v[2:3], v[12:13], 1.0
	v_fmac_f64_e32 v[12:13], v[12:13], v[14:15]
	v_fma_f64 v[14:15], -v[2:3], v[12:13], 1.0
	v_fmac_f64_e32 v[12:13], v[12:13], v[14:15]
	v_div_scale_f64 v[14:15], vcc, 1.0, v[0:1], 1.0
	v_mul_f64 v[34:35], v[14:15], v[12:13]
	v_fma_f64 v[2:3], -v[2:3], v[34:35], v[14:15]
	s_nop 1
	v_div_fmas_f64 v[2:3], v[2:3], v[12:13], v[34:35]
	v_div_fixup_f64 v[34:35], v[2:3], v[0:1], 1.0
	v_mul_f64 v[8:9], v[8:9], -v[34:35]
.LBB127_669:
	s_or_b64 exec, exec, s[2:3]
	ds_write2_b64 v10, v[34:35], v[8:9] offset1:1
.LBB127_670:
	s_or_b64 exec, exec, s[4:5]
	s_waitcnt lgkmcnt(0)
	s_barrier
	ds_read2_b64 v[244:247], v10 offset1:1
	v_cmp_lt_u32_e32 vcc, 61, v254
	s_and_saveexec_b64 s[2:3], vcc
	s_cbranch_execz .LBB127_672
; %bb.671:
	scratch_load_dwordx4 v[0:3], off, off offset:976
	s_waitcnt vmcnt(0) lgkmcnt(0)
	v_mul_f64 v[8:9], v[246:247], v[2:3]
	v_mul_f64 v[250:251], v[244:245], v[2:3]
	v_fma_f64 v[248:249], v[244:245], v[0:1], -v[8:9]
	v_fmac_f64_e32 v[250:251], v[246:247], v[0:1]
	ds_read2_b64 v[0:3], v11 offset0:124 offset1:125
	scratch_store_dwordx4 off, v[248:251], off offset:976
	s_waitcnt lgkmcnt(0)
	v_mul_f64 v[8:9], v[2:3], v[250:251]
	v_mul_f64 v[12:13], v[0:1], v[250:251]
	v_fma_f64 v[8:9], v[0:1], v[248:249], -v[8:9]
	v_fmac_f64_e32 v[12:13], v[2:3], v[248:249]
	scratch_load_dwordx4 v[0:3], off, off offset:992
	s_waitcnt vmcnt(0)
	v_add_f64 v[0:1], v[0:1], -v[8:9]
	v_add_f64 v[2:3], v[2:3], -v[12:13]
	scratch_store_dwordx4 off, v[0:3], off offset:992
	ds_read2_b64 v[0:3], v11 offset0:126 offset1:127
	s_waitcnt lgkmcnt(0)
	v_mul_f64 v[8:9], v[2:3], v[250:251]
	v_mul_f64 v[12:13], v[0:1], v[250:251]
	v_fma_f64 v[8:9], v[0:1], v[248:249], -v[8:9]
	v_fmac_f64_e32 v[12:13], v[2:3], v[248:249]
	scratch_load_dwordx4 v[0:3], off, off offset:1008
	s_waitcnt vmcnt(0)
	v_add_f64 v[0:1], v[0:1], -v[8:9]
	v_add_f64 v[2:3], v[2:3], -v[12:13]
	scratch_store_dwordx4 off, v[0:3], off offset:1008
.LBB127_672:
	s_or_b64 exec, exec, s[2:3]
	v_cmp_eq_u32_e32 vcc, 62, v254
	s_waitcnt lgkmcnt(0)
	s_barrier
	s_and_saveexec_b64 s[4:5], vcc
	s_cbranch_execz .LBB127_679
; %bb.673:
	scratch_load_dwordx4 v[0:3], off, s16
	s_waitcnt vmcnt(0)
	ds_write2_b64 v10, v[0:1], v[2:3] offset1:1
	scratch_load_dwordx4 v[0:3], off, s46
	s_waitcnt vmcnt(0)
	ds_write2_b64 v11, v[0:1], v[2:3] offset0:126 offset1:127
	ds_read2_b64 v[0:3], v10 offset1:1
	s_waitcnt lgkmcnt(0)
	v_cmp_neq_f64_e32 vcc, 0, v[0:1]
	v_cmp_neq_f64_e64 s[2:3], 0, v[2:3]
	s_or_b64 s[2:3], vcc, s[2:3]
	s_and_b64 exec, exec, s[2:3]
	s_cbranch_execz .LBB127_679
; %bb.674:
	v_cmp_ngt_f64_e64 s[2:3], |v[0:1]|, |v[2:3]|
                                        ; implicit-def: $vgpr34_vgpr35
	s_and_saveexec_b64 s[10:11], s[2:3]
	s_xor_b64 s[2:3], exec, s[10:11]
                                        ; implicit-def: $vgpr8_vgpr9
	s_cbranch_execz .LBB127_676
; %bb.675:
	v_div_scale_f64 v[8:9], s[10:11], v[2:3], v[2:3], v[0:1]
	v_rcp_f64_e32 v[12:13], v[8:9]
	v_div_scale_f64 v[14:15], vcc, v[0:1], v[2:3], v[0:1]
	v_fma_f64 v[34:35], -v[8:9], v[12:13], 1.0
	v_fmac_f64_e32 v[12:13], v[12:13], v[34:35]
	v_fma_f64 v[34:35], -v[8:9], v[12:13], 1.0
	v_fmac_f64_e32 v[12:13], v[12:13], v[34:35]
	v_mul_f64 v[34:35], v[14:15], v[12:13]
	v_fma_f64 v[8:9], -v[8:9], v[34:35], v[14:15]
	v_div_fmas_f64 v[8:9], v[8:9], v[12:13], v[34:35]
	v_div_fixup_f64 v[12:13], v[8:9], v[2:3], v[0:1]
	v_fmac_f64_e32 v[2:3], v[0:1], v[12:13]
	v_div_scale_f64 v[0:1], s[10:11], v[2:3], v[2:3], 1.0
	v_rcp_f64_e32 v[8:9], v[0:1]
	s_nop 0
	v_fma_f64 v[14:15], -v[0:1], v[8:9], 1.0
	v_fmac_f64_e32 v[8:9], v[8:9], v[14:15]
	v_fma_f64 v[14:15], -v[0:1], v[8:9], 1.0
	v_fmac_f64_e32 v[8:9], v[8:9], v[14:15]
	v_div_scale_f64 v[14:15], vcc, 1.0, v[2:3], 1.0
	v_mul_f64 v[34:35], v[14:15], v[8:9]
	v_fma_f64 v[0:1], -v[0:1], v[34:35], v[14:15]
	s_nop 1
	v_div_fmas_f64 v[0:1], v[0:1], v[8:9], v[34:35]
	v_div_fixup_f64 v[8:9], v[0:1], v[2:3], 1.0
	v_mul_f64 v[34:35], v[12:13], v[8:9]
	v_xor_b32_e32 v9, 0x80000000, v9
                                        ; implicit-def: $vgpr0_vgpr1
.LBB127_676:
	s_andn2_saveexec_b64 s[2:3], s[2:3]
	s_cbranch_execz .LBB127_678
; %bb.677:
	v_div_scale_f64 v[8:9], s[10:11], v[0:1], v[0:1], v[2:3]
	v_rcp_f64_e32 v[12:13], v[8:9]
	v_div_scale_f64 v[14:15], vcc, v[2:3], v[0:1], v[2:3]
	v_fma_f64 v[34:35], -v[8:9], v[12:13], 1.0
	v_fmac_f64_e32 v[12:13], v[12:13], v[34:35]
	v_fma_f64 v[34:35], -v[8:9], v[12:13], 1.0
	v_fmac_f64_e32 v[12:13], v[12:13], v[34:35]
	v_mul_f64 v[34:35], v[14:15], v[12:13]
	v_fma_f64 v[8:9], -v[8:9], v[34:35], v[14:15]
	v_div_fmas_f64 v[8:9], v[8:9], v[12:13], v[34:35]
	v_div_fixup_f64 v[8:9], v[8:9], v[0:1], v[2:3]
	v_fmac_f64_e32 v[0:1], v[2:3], v[8:9]
	v_div_scale_f64 v[2:3], s[10:11], v[0:1], v[0:1], 1.0
	v_rcp_f64_e32 v[12:13], v[2:3]
	s_nop 0
	v_fma_f64 v[14:15], -v[2:3], v[12:13], 1.0
	v_fmac_f64_e32 v[12:13], v[12:13], v[14:15]
	v_fma_f64 v[14:15], -v[2:3], v[12:13], 1.0
	v_fmac_f64_e32 v[12:13], v[12:13], v[14:15]
	v_div_scale_f64 v[14:15], vcc, 1.0, v[0:1], 1.0
	v_mul_f64 v[34:35], v[14:15], v[12:13]
	v_fma_f64 v[2:3], -v[2:3], v[34:35], v[14:15]
	s_nop 1
	v_div_fmas_f64 v[2:3], v[2:3], v[12:13], v[34:35]
	v_div_fixup_f64 v[34:35], v[2:3], v[0:1], 1.0
	v_mul_f64 v[8:9], v[8:9], -v[34:35]
.LBB127_678:
	s_or_b64 exec, exec, s[2:3]
	ds_write2_b64 v10, v[34:35], v[8:9] offset1:1
.LBB127_679:
	s_or_b64 exec, exec, s[4:5]
	s_waitcnt lgkmcnt(0)
	s_barrier
	ds_read2_b64 v[248:251], v10 offset1:1
	v_cmp_lt_u32_e32 vcc, 62, v254
	s_and_saveexec_b64 s[2:3], vcc
	s_cbranch_execz .LBB127_681
; %bb.680:
	scratch_load_dwordx4 v[0:3], off, off offset:992
	s_waitcnt vmcnt(0) lgkmcnt(0)
	v_mul_f64 v[8:9], v[250:251], v[2:3]
	v_mul_f64 v[14:15], v[248:249], v[2:3]
	v_fma_f64 v[12:13], v[248:249], v[0:1], -v[8:9]
	v_fmac_f64_e32 v[14:15], v[250:251], v[0:1]
	ds_read2_b64 v[0:3], v11 offset0:126 offset1:127
	scratch_store_dwordx4 off, v[12:15], off offset:992
	s_waitcnt lgkmcnt(0)
	v_mul_f64 v[8:9], v[2:3], v[14:15]
	v_mul_f64 v[14:15], v[0:1], v[14:15]
	v_fma_f64 v[8:9], v[0:1], v[12:13], -v[8:9]
	v_fmac_f64_e32 v[14:15], v[2:3], v[12:13]
	scratch_load_dwordx4 v[0:3], off, off offset:1008
	s_waitcnt vmcnt(0)
	v_add_f64 v[0:1], v[0:1], -v[8:9]
	v_add_f64 v[2:3], v[2:3], -v[14:15]
	scratch_store_dwordx4 off, v[0:3], off offset:1008
.LBB127_681:
	s_or_b64 exec, exec, s[2:3]
	v_cmp_eq_u32_e32 vcc, 63, v254
	s_waitcnt lgkmcnt(0)
	s_barrier
	s_and_saveexec_b64 s[4:5], vcc
	s_cbranch_execz .LBB127_688
; %bb.682:
	scratch_load_dwordx4 v[0:3], off, s46
	s_waitcnt vmcnt(0)
	v_cmp_neq_f64_e32 vcc, 0, v[0:1]
	v_cmp_neq_f64_e64 s[2:3], 0, v[2:3]
	s_or_b64 s[2:3], vcc, s[2:3]
	ds_write2_b64 v10, v[0:1], v[2:3] offset1:1
	s_and_b64 exec, exec, s[2:3]
	s_cbranch_execz .LBB127_688
; %bb.683:
	v_cmp_ngt_f64_e64 s[2:3], |v[0:1]|, |v[2:3]|
                                        ; implicit-def: $vgpr34_vgpr35
	s_and_saveexec_b64 s[10:11], s[2:3]
	s_xor_b64 s[2:3], exec, s[10:11]
                                        ; implicit-def: $vgpr8_vgpr9
	s_cbranch_execz .LBB127_685
; %bb.684:
	v_div_scale_f64 v[8:9], s[10:11], v[2:3], v[2:3], v[0:1]
	v_rcp_f64_e32 v[12:13], v[8:9]
	v_div_scale_f64 v[14:15], vcc, v[0:1], v[2:3], v[0:1]
	v_fma_f64 v[34:35], -v[8:9], v[12:13], 1.0
	v_fmac_f64_e32 v[12:13], v[12:13], v[34:35]
	v_fma_f64 v[34:35], -v[8:9], v[12:13], 1.0
	v_fmac_f64_e32 v[12:13], v[12:13], v[34:35]
	v_mul_f64 v[34:35], v[14:15], v[12:13]
	v_fma_f64 v[8:9], -v[8:9], v[34:35], v[14:15]
	v_div_fmas_f64 v[8:9], v[8:9], v[12:13], v[34:35]
	v_div_fixup_f64 v[12:13], v[8:9], v[2:3], v[0:1]
	v_fmac_f64_e32 v[2:3], v[0:1], v[12:13]
	v_div_scale_f64 v[0:1], s[10:11], v[2:3], v[2:3], 1.0
	v_rcp_f64_e32 v[8:9], v[0:1]
	s_nop 0
	v_fma_f64 v[14:15], -v[0:1], v[8:9], 1.0
	v_fmac_f64_e32 v[8:9], v[8:9], v[14:15]
	v_fma_f64 v[14:15], -v[0:1], v[8:9], 1.0
	v_fmac_f64_e32 v[8:9], v[8:9], v[14:15]
	v_div_scale_f64 v[14:15], vcc, 1.0, v[2:3], 1.0
	v_mul_f64 v[34:35], v[14:15], v[8:9]
	v_fma_f64 v[0:1], -v[0:1], v[34:35], v[14:15]
	s_nop 1
	v_div_fmas_f64 v[0:1], v[0:1], v[8:9], v[34:35]
	v_div_fixup_f64 v[8:9], v[0:1], v[2:3], 1.0
	v_mul_f64 v[34:35], v[12:13], v[8:9]
	v_xor_b32_e32 v9, 0x80000000, v9
                                        ; implicit-def: $vgpr0_vgpr1
.LBB127_685:
	s_andn2_saveexec_b64 s[2:3], s[2:3]
	s_cbranch_execz .LBB127_687
; %bb.686:
	v_div_scale_f64 v[8:9], s[10:11], v[0:1], v[0:1], v[2:3]
	v_rcp_f64_e32 v[12:13], v[8:9]
	v_div_scale_f64 v[14:15], vcc, v[2:3], v[0:1], v[2:3]
	v_fma_f64 v[34:35], -v[8:9], v[12:13], 1.0
	v_fmac_f64_e32 v[12:13], v[12:13], v[34:35]
	v_fma_f64 v[34:35], -v[8:9], v[12:13], 1.0
	v_fmac_f64_e32 v[12:13], v[12:13], v[34:35]
	v_mul_f64 v[34:35], v[14:15], v[12:13]
	v_fma_f64 v[8:9], -v[8:9], v[34:35], v[14:15]
	v_div_fmas_f64 v[8:9], v[8:9], v[12:13], v[34:35]
	v_div_fixup_f64 v[8:9], v[8:9], v[0:1], v[2:3]
	v_fmac_f64_e32 v[0:1], v[2:3], v[8:9]
	v_div_scale_f64 v[2:3], s[10:11], v[0:1], v[0:1], 1.0
	v_rcp_f64_e32 v[12:13], v[2:3]
	s_nop 0
	v_fma_f64 v[14:15], -v[2:3], v[12:13], 1.0
	v_fmac_f64_e32 v[12:13], v[12:13], v[14:15]
	v_fma_f64 v[14:15], -v[2:3], v[12:13], 1.0
	v_fmac_f64_e32 v[12:13], v[12:13], v[14:15]
	v_div_scale_f64 v[14:15], vcc, 1.0, v[0:1], 1.0
	v_mul_f64 v[34:35], v[14:15], v[12:13]
	v_fma_f64 v[2:3], -v[2:3], v[34:35], v[14:15]
	s_nop 1
	v_div_fmas_f64 v[2:3], v[2:3], v[12:13], v[34:35]
	v_div_fixup_f64 v[34:35], v[2:3], v[0:1], 1.0
	v_mul_f64 v[8:9], v[8:9], -v[34:35]
.LBB127_687:
	s_or_b64 exec, exec, s[2:3]
	ds_write2_b64 v10, v[34:35], v[8:9] offset1:1
.LBB127_688:
	s_or_b64 exec, exec, s[4:5]
	s_waitcnt lgkmcnt(0)
	s_barrier
	s_waitcnt vmcnt(2)
	ds_read2_b64 v[0:3], v10 offset1:1
	v_cmp_lt_u32_e32 vcc, 63, v254
	s_and_saveexec_b64 s[2:3], vcc
	s_cbranch_execz .LBB127_690
; %bb.689:
	scratch_load_dwordx4 v[8:11], off, off offset:1008
	s_waitcnt vmcnt(0) lgkmcnt(0)
	v_mul_f64 v[14:15], v[2:3], v[10:11]
	v_mul_f64 v[12:13], v[0:1], v[10:11]
	v_fma_f64 v[10:11], v[0:1], v[8:9], -v[14:15]
	v_fmac_f64_e32 v[12:13], v[2:3], v[8:9]
	scratch_store_dwordx4 off, v[10:13], off offset:1008
.LBB127_690:
	s_or_b64 exec, exec, s[2:3]
	s_waitcnt lgkmcnt(0)
	s_barrier
	s_mov_b64 s[10:11], exec
	v_readlane_b32 s0, v255, 0
	v_readlane_b32 s1, v255, 1
	s_and_b64 s[0:1], s[10:11], s[0:1]
	s_mov_b64 exec, s[0:1]
	s_cbranch_execz .LBB127_693
; %bb.691:
	scratch_load_dwordx4 v[8:11], off, off offset:1560 ; 16-byte Folded Reload
	s_waitcnt vmcnt(0)
	v_cmp_eq_f64_e32 vcc, 0, v[8:9]
	v_cmp_eq_f64_e64 s[0:1], 0, v[10:11]
	scratch_load_dwordx4 v[8:11], off, off offset:1576 ; 16-byte Folded Reload
	s_and_b64 s[0:1], vcc, s[0:1]
	s_waitcnt vmcnt(0)
	v_cmp_neq_f64_e64 s[4:5], 0, v[10:11]
	scratch_load_dwordx4 v[10:13], off, off offset:1528 ; 16-byte Folded Reload
	v_cmp_neq_f64_e64 s[2:3], 0, v[8:9]
	v_mov_b32_e32 v8, s6
	v_mov_b32_e32 v9, s7
	s_or_b64 s[2:3], s[2:3], s[4:5]
	v_lshl_add_u64 v[32:33], v[32:33], 2, v[8:9]
	v_cndmask_b32_e64 v8, 0, 1, s[0:1]
	s_or_b64 vcc, s[2:3], s[0:1]
	v_cndmask_b32_e32 v8, 2, v8, vcc
	s_waitcnt vmcnt(0)
	v_cmp_eq_f64_e32 vcc, 0, v[10:11]
	v_cmp_eq_f64_e64 s[0:1], 0, v[12:13]
	scratch_load_dwordx4 v[10:13], off, off offset:1544 ; 16-byte Folded Reload
	s_and_b64 s[0:1], vcc, s[0:1]
	v_cmp_eq_u32_e32 vcc, 0, v8
	s_and_b64 s[0:1], s[0:1], vcc
	v_cndmask_b32_e64 v8, v8, 3, s[0:1]
	s_waitcnt vmcnt(0)
	v_cmp_eq_f64_e32 vcc, 0, v[10:11]
	v_cmp_eq_f64_e64 s[0:1], 0, v[12:13]
	s_and_b64 s[0:1], vcc, s[0:1]
	v_cmp_eq_u32_e32 vcc, 0, v8
	s_and_b64 s[0:1], s[0:1], vcc
	v_cndmask_b32_e64 v8, v8, 4, s[0:1]
	v_cmp_eq_f64_e32 vcc, 0, v[16:17]
	v_cmp_eq_f64_e64 s[0:1], 0, v[18:19]
	s_and_b64 s[0:1], vcc, s[0:1]
	v_cmp_eq_u32_e32 vcc, 0, v8
	s_and_b64 s[0:1], s[0:1], vcc
	v_cndmask_b32_e64 v8, v8, 5, s[0:1]
	;; [unrolled: 6-line block ×34, first 2 shown]
	v_cmp_eq_f64_e32 vcc, 0, v[148:149]
	v_cmp_eq_f64_e64 s[0:1], 0, v[150:151]
	s_and_b64 s[0:1], vcc, s[0:1]
	v_cmp_eq_u32_e32 vcc, 0, v4
	s_and_b64 s[0:1], s[0:1], vcc
	global_load_dword v5, v[32:33], off
	v_cndmask_b32_e64 v4, v4, 38, s[0:1]
	v_cmp_eq_f64_e32 vcc, 0, v[152:153]
	v_cmp_eq_f64_e64 s[0:1], 0, v[154:155]
	s_and_b64 s[0:1], vcc, s[0:1]
	v_cmp_eq_u32_e32 vcc, 0, v4
	s_and_b64 s[0:1], s[0:1], vcc
	v_cndmask_b32_e64 v4, v4, 39, s[0:1]
	v_cmp_eq_f64_e32 vcc, 0, v[156:157]
	v_cmp_eq_f64_e64 s[0:1], 0, v[158:159]
	s_and_b64 s[0:1], vcc, s[0:1]
	v_cmp_eq_u32_e32 vcc, 0, v4
	s_and_b64 s[0:1], s[0:1], vcc
	;; [unrolled: 6-line block ×26, first 2 shown]
	v_cndmask_b32_e64 v0, v4, 64, s[0:1]
	s_waitcnt vmcnt(0)
	v_cmp_eq_u32_e32 vcc, 0, v5
	v_cmp_ne_u32_e64 s[0:1], 0, v0
	s_and_b64 s[0:1], vcc, s[0:1]
	s_and_b64 exec, exec, s[0:1]
	s_cbranch_execz .LBB127_693
; %bb.692:
	v_add_u32_e32 v0, s9, v0
	global_store_dword v[32:33], v0, off
.LBB127_693:
	s_or_b64 exec, exec, s[10:11]
	scratch_load_dwordx4 v[0:3], off, off
	scratch_load_dwordx4 v[4:7], off, s89
	scratch_load_dwordx4 v[8:11], off, s74
	;; [unrolled: 1-line block ×29, first 2 shown]
	s_waitcnt vmcnt(29)
	global_store_dwordx4 v[252:253], v[0:3], off
	scratch_load_dwordx4 v[0:3], off, s44
	s_nop 0
	scratch_load_dwordx4 v[120:123], off, s45
	scratch_load_dwordx2 v[124:125], off, off offset:1040 ; 8-byte Folded Reload
	s_waitcnt vmcnt(0)
	global_store_dwordx4 v[124:125], v[4:7], off
	scratch_load_dwordx4 v[4:7], off, s42
	s_nop 0
	scratch_load_dwordx4 v[124:127], off, s43
	scratch_load_dwordx2 v[128:129], off, off offset:1024 ; 8-byte Folded Reload
	s_waitcnt vmcnt(0)
	global_store_dwordx4 v[128:129], v[8:11], off
	scratch_load_dwordx2 v[8:9], off, off offset:1032 ; 8-byte Folded Reload
	s_waitcnt vmcnt(0)
	global_store_dwordx4 v[8:9], v[12:15], off
	scratch_load_dwordx4 v[8:11], off, s40
	s_nop 0
	scratch_load_dwordx4 v[12:15], off, s41
	scratch_load_dwordx2 v[128:129], off, off offset:1048 ; 8-byte Folded Reload
	s_waitcnt vmcnt(0)
	global_store_dwordx4 v[128:129], v[16:19], off
	scratch_load_dwordx4 v[16:19], off, s38
	s_nop 0
	scratch_load_dwordx4 v[128:131], off, s39
	scratch_load_dwordx2 v[132:133], off, off offset:1056 ; 8-byte Folded Reload
	s_waitcnt vmcnt(0)
	global_store_dwordx4 v[132:133], v[20:23], off
	scratch_load_dwordx4 v[20:23], off, s36
	s_nop 0
	scratch_load_dwordx4 v[132:135], off, s37
	scratch_load_dwordx2 v[136:137], off, off offset:1064 ; 8-byte Folded Reload
	s_waitcnt vmcnt(0)
	global_store_dwordx4 v[136:137], v[24:27], off
	scratch_load_dwordx2 v[24:25], off, off offset:1072 ; 8-byte Folded Reload
	s_waitcnt vmcnt(0)
	global_store_dwordx4 v[24:25], v[28:31], off
	scratch_load_dwordx4 v[24:27], off, s34
	s_nop 0
	scratch_load_dwordx4 v[28:31], off, s35
	scratch_load_dwordx2 v[136:137], off, off offset:1080 ; 8-byte Folded Reload
	;; [unrolled: 21-line block ×4, first 2 shown]
	s_waitcnt vmcnt(0)
	global_store_dwordx4 v[152:153], v[64:67], off
	scratch_load_dwordx4 v[64:67], off, s19
	s_nop 0
	scratch_load_dwordx4 v[152:155], off, s20
	scratch_load_dwordx2 v[156:157], off, off offset:1152 ; 8-byte Folded Reload
	s_waitcnt vmcnt(0)
	global_store_dwordx4 v[156:157], v[68:71], off
	scratch_load_dwordx4 v[68:71], off, s17
	s_nop 0
	scratch_load_dwordx4 v[156:159], off, s18
	scratch_load_dwordx2 v[160:161], off, off offset:1160 ; 8-byte Folded Reload
	s_waitcnt vmcnt(0)
	global_store_dwordx4 v[160:161], v[72:75], off
	scratch_load_dwordx2 v[72:73], off, off offset:1168 ; 8-byte Folded Reload
	s_waitcnt vmcnt(0)
	global_store_dwordx4 v[72:73], v[76:79], off
	;; [unrolled: 3-line block ×4, first 2 shown]
	scratch_load_dwordx4 v[72:75], off, s8
	s_nop 0
	scratch_load_dwordx4 v[76:79], off, s12
	scratch_load_dwordx4 v[80:83], off, s13
	;; [unrolled: 1-line block ×5, first 2 shown]
	scratch_load_dwordx2 v[168:169], off, off offset:1192 ; 8-byte Folded Reload
	s_waitcnt vmcnt(0)
	global_store_dwordx4 v[168:169], v[88:91], off
	scratch_load_dwordx2 v[88:89], off, off offset:1200 ; 8-byte Folded Reload
	s_waitcnt vmcnt(0)
	global_store_dwordx4 v[88:89], v[92:95], off
	;; [unrolled: 3-line block ×42, first 2 shown]
.LBB127_694:
	s_endpgm
	.section	.rodata,"a",@progbits
	.p2align	6, 0x0
	.amdhsa_kernel _ZN9rocsolver6v33100L23getf2_npvt_small_kernelILi64E19rocblas_complex_numIdEiiPS3_EEvT1_T3_lS5_lPT2_S5_S5_
		.amdhsa_group_segment_fixed_size 0
		.amdhsa_private_segment_fixed_size 1600
		.amdhsa_kernarg_size 312
		.amdhsa_user_sgpr_count 2
		.amdhsa_user_sgpr_dispatch_ptr 0
		.amdhsa_user_sgpr_queue_ptr 0
		.amdhsa_user_sgpr_kernarg_segment_ptr 1
		.amdhsa_user_sgpr_dispatch_id 0
		.amdhsa_user_sgpr_kernarg_preload_length 0
		.amdhsa_user_sgpr_kernarg_preload_offset 0
		.amdhsa_user_sgpr_private_segment_size 0
		.amdhsa_uses_dynamic_stack 0
		.amdhsa_enable_private_segment 1
		.amdhsa_system_sgpr_workgroup_id_x 1
		.amdhsa_system_sgpr_workgroup_id_y 1
		.amdhsa_system_sgpr_workgroup_id_z 0
		.amdhsa_system_sgpr_workgroup_info 0
		.amdhsa_system_vgpr_workitem_id 1
		.amdhsa_next_free_vgpr 256
		.amdhsa_next_free_sgpr 98
		.amdhsa_accum_offset 256
		.amdhsa_reserve_vcc 1
		.amdhsa_float_round_mode_32 0
		.amdhsa_float_round_mode_16_64 0
		.amdhsa_float_denorm_mode_32 3
		.amdhsa_float_denorm_mode_16_64 3
		.amdhsa_dx10_clamp 1
		.amdhsa_ieee_mode 1
		.amdhsa_fp16_overflow 0
		.amdhsa_tg_split 0
		.amdhsa_exception_fp_ieee_invalid_op 0
		.amdhsa_exception_fp_denorm_src 0
		.amdhsa_exception_fp_ieee_div_zero 0
		.amdhsa_exception_fp_ieee_overflow 0
		.amdhsa_exception_fp_ieee_underflow 0
		.amdhsa_exception_fp_ieee_inexact 0
		.amdhsa_exception_int_div_zero 0
	.end_amdhsa_kernel
	.section	.text._ZN9rocsolver6v33100L23getf2_npvt_small_kernelILi64E19rocblas_complex_numIdEiiPS3_EEvT1_T3_lS5_lPT2_S5_S5_,"axG",@progbits,_ZN9rocsolver6v33100L23getf2_npvt_small_kernelILi64E19rocblas_complex_numIdEiiPS3_EEvT1_T3_lS5_lPT2_S5_S5_,comdat
.Lfunc_end127:
	.size	_ZN9rocsolver6v33100L23getf2_npvt_small_kernelILi64E19rocblas_complex_numIdEiiPS3_EEvT1_T3_lS5_lPT2_S5_S5_, .Lfunc_end127-_ZN9rocsolver6v33100L23getf2_npvt_small_kernelILi64E19rocblas_complex_numIdEiiPS3_EEvT1_T3_lS5_lPT2_S5_S5_
                                        ; -- End function
	.set _ZN9rocsolver6v33100L23getf2_npvt_small_kernelILi64E19rocblas_complex_numIdEiiPS3_EEvT1_T3_lS5_lPT2_S5_S5_.num_vgpr, 256
	.set _ZN9rocsolver6v33100L23getf2_npvt_small_kernelILi64E19rocblas_complex_numIdEiiPS3_EEvT1_T3_lS5_lPT2_S5_S5_.num_agpr, 0
	.set _ZN9rocsolver6v33100L23getf2_npvt_small_kernelILi64E19rocblas_complex_numIdEiiPS3_EEvT1_T3_lS5_lPT2_S5_S5_.numbered_sgpr, 98
	.set _ZN9rocsolver6v33100L23getf2_npvt_small_kernelILi64E19rocblas_complex_numIdEiiPS3_EEvT1_T3_lS5_lPT2_S5_S5_.num_named_barrier, 0
	.set _ZN9rocsolver6v33100L23getf2_npvt_small_kernelILi64E19rocblas_complex_numIdEiiPS3_EEvT1_T3_lS5_lPT2_S5_S5_.private_seg_size, 1600
	.set _ZN9rocsolver6v33100L23getf2_npvt_small_kernelILi64E19rocblas_complex_numIdEiiPS3_EEvT1_T3_lS5_lPT2_S5_S5_.uses_vcc, 1
	.set _ZN9rocsolver6v33100L23getf2_npvt_small_kernelILi64E19rocblas_complex_numIdEiiPS3_EEvT1_T3_lS5_lPT2_S5_S5_.uses_flat_scratch, 0
	.set _ZN9rocsolver6v33100L23getf2_npvt_small_kernelILi64E19rocblas_complex_numIdEiiPS3_EEvT1_T3_lS5_lPT2_S5_S5_.has_dyn_sized_stack, 0
	.set _ZN9rocsolver6v33100L23getf2_npvt_small_kernelILi64E19rocblas_complex_numIdEiiPS3_EEvT1_T3_lS5_lPT2_S5_S5_.has_recursion, 0
	.set _ZN9rocsolver6v33100L23getf2_npvt_small_kernelILi64E19rocblas_complex_numIdEiiPS3_EEvT1_T3_lS5_lPT2_S5_S5_.has_indirect_call, 0
	.section	.AMDGPU.csdata,"",@progbits
; Kernel info:
; codeLenInByte = 122696
; TotalNumSgprs: 104
; NumVgprs: 256
; NumAgprs: 0
; TotalNumVgprs: 256
; ScratchSize: 1600
; MemoryBound: 0
; FloatMode: 240
; IeeeMode: 1
; LDSByteSize: 0 bytes/workgroup (compile time only)
; SGPRBlocks: 12
; VGPRBlocks: 31
; NumSGPRsForWavesPerEU: 104
; NumVGPRsForWavesPerEU: 256
; AccumOffset: 256
; Occupancy: 2
; WaveLimiterHint : 1
; COMPUTE_PGM_RSRC2:SCRATCH_EN: 1
; COMPUTE_PGM_RSRC2:USER_SGPR: 2
; COMPUTE_PGM_RSRC2:TRAP_HANDLER: 0
; COMPUTE_PGM_RSRC2:TGID_X_EN: 1
; COMPUTE_PGM_RSRC2:TGID_Y_EN: 1
; COMPUTE_PGM_RSRC2:TGID_Z_EN: 0
; COMPUTE_PGM_RSRC2:TIDIG_COMP_CNT: 1
; COMPUTE_PGM_RSRC3_GFX90A:ACCUM_OFFSET: 63
; COMPUTE_PGM_RSRC3_GFX90A:TG_SPLIT: 0
	.section	.AMDGPU.gpr_maximums,"",@progbits
	.set amdgpu.max_num_vgpr, 0
	.set amdgpu.max_num_agpr, 0
	.set amdgpu.max_num_sgpr, 0
	.section	.AMDGPU.csdata,"",@progbits
	.type	__hip_cuid_f1da3a5f2a7664b8,@object ; @__hip_cuid_f1da3a5f2a7664b8
	.section	.bss,"aw",@nobits
	.globl	__hip_cuid_f1da3a5f2a7664b8
__hip_cuid_f1da3a5f2a7664b8:
	.byte	0                               ; 0x0
	.size	__hip_cuid_f1da3a5f2a7664b8, 1

	.ident	"AMD clang version 22.0.0git (https://github.com/RadeonOpenCompute/llvm-project roc-7.2.4 26084 f58b06dce1f9c15707c5f808fd002e18c2accf7e)"
	.section	".note.GNU-stack","",@progbits
	.addrsig
	.addrsig_sym __hip_cuid_f1da3a5f2a7664b8
	.amdgpu_metadata
---
amdhsa.kernels:
  - .agpr_count:     0
    .args:
      - .offset:         0
        .size:           4
        .value_kind:     by_value
      - .address_space:  global
        .offset:         8
        .size:           8
        .value_kind:     global_buffer
      - .offset:         16
        .size:           8
        .value_kind:     by_value
      - .offset:         24
        .size:           4
        .value_kind:     by_value
      - .offset:         32
        .size:           8
        .value_kind:     by_value
      - .address_space:  global
        .offset:         40
        .size:           8
        .value_kind:     global_buffer
      - .offset:         48
        .size:           8
        .value_kind:     by_value
      - .offset:         56
        .size:           8
        .value_kind:     by_value
      - .address_space:  global
        .offset:         64
        .size:           8
        .value_kind:     global_buffer
      - .offset:         72
        .size:           4
        .value_kind:     by_value
      - .offset:         76
        .size:           4
        .value_kind:     by_value
      - .address_space:  global
        .offset:         80
        .size:           8
        .value_kind:     global_buffer
      - .offset:         88
        .size:           8
        .value_kind:     by_value
      - .offset:         96
        .size:           4
        .value_kind:     hidden_block_count_x
      - .offset:         100
        .size:           4
        .value_kind:     hidden_block_count_y
      - .offset:         104
        .size:           4
        .value_kind:     hidden_block_count_z
      - .offset:         108
        .size:           2
        .value_kind:     hidden_group_size_x
      - .offset:         110
        .size:           2
        .value_kind:     hidden_group_size_y
      - .offset:         112
        .size:           2
        .value_kind:     hidden_group_size_z
      - .offset:         114
        .size:           2
        .value_kind:     hidden_remainder_x
      - .offset:         116
        .size:           2
        .value_kind:     hidden_remainder_y
      - .offset:         118
        .size:           2
        .value_kind:     hidden_remainder_z
      - .offset:         136
        .size:           8
        .value_kind:     hidden_global_offset_x
      - .offset:         144
        .size:           8
        .value_kind:     hidden_global_offset_y
      - .offset:         152
        .size:           8
        .value_kind:     hidden_global_offset_z
      - .offset:         160
        .size:           2
        .value_kind:     hidden_grid_dims
      - .offset:         216
        .size:           4
        .value_kind:     hidden_dynamic_lds_size
    .group_segment_fixed_size: 0
    .kernarg_segment_align: 8
    .kernarg_segment_size: 352
    .language:       OpenCL C
    .language_version:
      - 2
      - 0
    .max_flat_workgroup_size: 512
    .name:           _ZN9rocsolver6v33100L18getf2_small_kernelILi1E19rocblas_complex_numIdEiiPS3_EEvT1_T3_lS5_lPS5_llPT2_S5_S5_S7_l
    .private_segment_fixed_size: 0
    .sgpr_count:     26
    .sgpr_spill_count: 0
    .symbol:         _ZN9rocsolver6v33100L18getf2_small_kernelILi1E19rocblas_complex_numIdEiiPS3_EEvT1_T3_lS5_lPS5_llPT2_S5_S5_S7_l.kd
    .uniform_work_group_size: 1
    .uses_dynamic_stack: false
    .vgpr_count:     29
    .vgpr_spill_count: 0
    .wavefront_size: 64
  - .agpr_count:     0
    .args:
      - .offset:         0
        .size:           4
        .value_kind:     by_value
      - .address_space:  global
        .offset:         8
        .size:           8
        .value_kind:     global_buffer
      - .offset:         16
        .size:           8
        .value_kind:     by_value
      - .offset:         24
        .size:           4
        .value_kind:     by_value
      - .offset:         32
        .size:           8
        .value_kind:     by_value
      - .address_space:  global
        .offset:         40
        .size:           8
        .value_kind:     global_buffer
      - .offset:         48
        .size:           4
        .value_kind:     by_value
      - .offset:         52
        .size:           4
        .value_kind:     by_value
      - .offset:         56
        .size:           4
        .value_kind:     hidden_block_count_x
      - .offset:         60
        .size:           4
        .value_kind:     hidden_block_count_y
      - .offset:         64
        .size:           4
        .value_kind:     hidden_block_count_z
      - .offset:         68
        .size:           2
        .value_kind:     hidden_group_size_x
      - .offset:         70
        .size:           2
        .value_kind:     hidden_group_size_y
      - .offset:         72
        .size:           2
        .value_kind:     hidden_group_size_z
      - .offset:         74
        .size:           2
        .value_kind:     hidden_remainder_x
      - .offset:         76
        .size:           2
        .value_kind:     hidden_remainder_y
      - .offset:         78
        .size:           2
        .value_kind:     hidden_remainder_z
      - .offset:         96
        .size:           8
        .value_kind:     hidden_global_offset_x
      - .offset:         104
        .size:           8
        .value_kind:     hidden_global_offset_y
      - .offset:         112
        .size:           8
        .value_kind:     hidden_global_offset_z
      - .offset:         120
        .size:           2
        .value_kind:     hidden_grid_dims
      - .offset:         176
        .size:           4
        .value_kind:     hidden_dynamic_lds_size
    .group_segment_fixed_size: 0
    .kernarg_segment_align: 8
    .kernarg_segment_size: 312
    .language:       OpenCL C
    .language_version:
      - 2
      - 0
    .max_flat_workgroup_size: 512
    .name:           _ZN9rocsolver6v33100L23getf2_npvt_small_kernelILi1E19rocblas_complex_numIdEiiPS3_EEvT1_T3_lS5_lPT2_S5_S5_
    .private_segment_fixed_size: 0
    .sgpr_count:     22
    .sgpr_spill_count: 0
    .symbol:         _ZN9rocsolver6v33100L23getf2_npvt_small_kernelILi1E19rocblas_complex_numIdEiiPS3_EEvT1_T3_lS5_lPT2_S5_S5_.kd
    .uniform_work_group_size: 1
    .uses_dynamic_stack: false
    .vgpr_count:     22
    .vgpr_spill_count: 0
    .wavefront_size: 64
  - .agpr_count:     0
    .args:
      - .offset:         0
        .size:           4
        .value_kind:     by_value
      - .address_space:  global
        .offset:         8
        .size:           8
        .value_kind:     global_buffer
      - .offset:         16
        .size:           8
        .value_kind:     by_value
      - .offset:         24
        .size:           4
        .value_kind:     by_value
      - .offset:         32
        .size:           8
        .value_kind:     by_value
      - .address_space:  global
        .offset:         40
        .size:           8
        .value_kind:     global_buffer
      - .offset:         48
        .size:           8
        .value_kind:     by_value
      - .offset:         56
        .size:           8
        .value_kind:     by_value
      - .address_space:  global
        .offset:         64
        .size:           8
        .value_kind:     global_buffer
      - .offset:         72
        .size:           4
        .value_kind:     by_value
      - .offset:         76
        .size:           4
        .value_kind:     by_value
      - .address_space:  global
        .offset:         80
        .size:           8
        .value_kind:     global_buffer
      - .offset:         88
        .size:           8
        .value_kind:     by_value
      - .offset:         96
        .size:           4
        .value_kind:     hidden_block_count_x
      - .offset:         100
        .size:           4
        .value_kind:     hidden_block_count_y
      - .offset:         104
        .size:           4
        .value_kind:     hidden_block_count_z
      - .offset:         108
        .size:           2
        .value_kind:     hidden_group_size_x
      - .offset:         110
        .size:           2
        .value_kind:     hidden_group_size_y
      - .offset:         112
        .size:           2
        .value_kind:     hidden_group_size_z
      - .offset:         114
        .size:           2
        .value_kind:     hidden_remainder_x
      - .offset:         116
        .size:           2
        .value_kind:     hidden_remainder_y
      - .offset:         118
        .size:           2
        .value_kind:     hidden_remainder_z
      - .offset:         136
        .size:           8
        .value_kind:     hidden_global_offset_x
      - .offset:         144
        .size:           8
        .value_kind:     hidden_global_offset_y
      - .offset:         152
        .size:           8
        .value_kind:     hidden_global_offset_z
      - .offset:         160
        .size:           2
        .value_kind:     hidden_grid_dims
      - .offset:         216
        .size:           4
        .value_kind:     hidden_dynamic_lds_size
    .group_segment_fixed_size: 0
    .kernarg_segment_align: 8
    .kernarg_segment_size: 352
    .language:       OpenCL C
    .language_version:
      - 2
      - 0
    .max_flat_workgroup_size: 512
    .name:           _ZN9rocsolver6v33100L18getf2_small_kernelILi2E19rocblas_complex_numIdEiiPS3_EEvT1_T3_lS5_lPS5_llPT2_S5_S5_S7_l
    .private_segment_fixed_size: 0
    .sgpr_count:     28
    .sgpr_spill_count: 0
    .symbol:         _ZN9rocsolver6v33100L18getf2_small_kernelILi2E19rocblas_complex_numIdEiiPS3_EEvT1_T3_lS5_lPS5_llPT2_S5_S5_S7_l.kd
    .uniform_work_group_size: 1
    .uses_dynamic_stack: false
    .vgpr_count:     37
    .vgpr_spill_count: 0
    .wavefront_size: 64
  - .agpr_count:     0
    .args:
      - .offset:         0
        .size:           4
        .value_kind:     by_value
      - .address_space:  global
        .offset:         8
        .size:           8
        .value_kind:     global_buffer
      - .offset:         16
        .size:           8
        .value_kind:     by_value
      - .offset:         24
        .size:           4
        .value_kind:     by_value
      - .offset:         32
        .size:           8
        .value_kind:     by_value
      - .address_space:  global
        .offset:         40
        .size:           8
        .value_kind:     global_buffer
      - .offset:         48
        .size:           4
        .value_kind:     by_value
      - .offset:         52
        .size:           4
        .value_kind:     by_value
      - .offset:         56
        .size:           4
        .value_kind:     hidden_block_count_x
      - .offset:         60
        .size:           4
        .value_kind:     hidden_block_count_y
      - .offset:         64
        .size:           4
        .value_kind:     hidden_block_count_z
      - .offset:         68
        .size:           2
        .value_kind:     hidden_group_size_x
      - .offset:         70
        .size:           2
        .value_kind:     hidden_group_size_y
      - .offset:         72
        .size:           2
        .value_kind:     hidden_group_size_z
      - .offset:         74
        .size:           2
        .value_kind:     hidden_remainder_x
      - .offset:         76
        .size:           2
        .value_kind:     hidden_remainder_y
      - .offset:         78
        .size:           2
        .value_kind:     hidden_remainder_z
      - .offset:         96
        .size:           8
        .value_kind:     hidden_global_offset_x
      - .offset:         104
        .size:           8
        .value_kind:     hidden_global_offset_y
      - .offset:         112
        .size:           8
        .value_kind:     hidden_global_offset_z
      - .offset:         120
        .size:           2
        .value_kind:     hidden_grid_dims
      - .offset:         176
        .size:           4
        .value_kind:     hidden_dynamic_lds_size
    .group_segment_fixed_size: 0
    .kernarg_segment_align: 8
    .kernarg_segment_size: 312
    .language:       OpenCL C
    .language_version:
      - 2
      - 0
    .max_flat_workgroup_size: 512
    .name:           _ZN9rocsolver6v33100L23getf2_npvt_small_kernelILi2E19rocblas_complex_numIdEiiPS3_EEvT1_T3_lS5_lPT2_S5_S5_
    .private_segment_fixed_size: 0
    .sgpr_count:     22
    .sgpr_spill_count: 0
    .symbol:         _ZN9rocsolver6v33100L23getf2_npvt_small_kernelILi2E19rocblas_complex_numIdEiiPS3_EEvT1_T3_lS5_lPT2_S5_S5_.kd
    .uniform_work_group_size: 1
    .uses_dynamic_stack: false
    .vgpr_count:     32
    .vgpr_spill_count: 0
    .wavefront_size: 64
  - .agpr_count:     0
    .args:
      - .offset:         0
        .size:           4
        .value_kind:     by_value
      - .address_space:  global
        .offset:         8
        .size:           8
        .value_kind:     global_buffer
      - .offset:         16
        .size:           8
        .value_kind:     by_value
      - .offset:         24
        .size:           4
        .value_kind:     by_value
      - .offset:         32
        .size:           8
        .value_kind:     by_value
      - .address_space:  global
        .offset:         40
        .size:           8
        .value_kind:     global_buffer
      - .offset:         48
        .size:           8
        .value_kind:     by_value
      - .offset:         56
        .size:           8
        .value_kind:     by_value
      - .address_space:  global
        .offset:         64
        .size:           8
        .value_kind:     global_buffer
      - .offset:         72
        .size:           4
        .value_kind:     by_value
      - .offset:         76
        .size:           4
        .value_kind:     by_value
      - .address_space:  global
        .offset:         80
        .size:           8
        .value_kind:     global_buffer
      - .offset:         88
        .size:           8
        .value_kind:     by_value
      - .offset:         96
        .size:           4
        .value_kind:     hidden_block_count_x
      - .offset:         100
        .size:           4
        .value_kind:     hidden_block_count_y
      - .offset:         104
        .size:           4
        .value_kind:     hidden_block_count_z
      - .offset:         108
        .size:           2
        .value_kind:     hidden_group_size_x
      - .offset:         110
        .size:           2
        .value_kind:     hidden_group_size_y
      - .offset:         112
        .size:           2
        .value_kind:     hidden_group_size_z
      - .offset:         114
        .size:           2
        .value_kind:     hidden_remainder_x
      - .offset:         116
        .size:           2
        .value_kind:     hidden_remainder_y
      - .offset:         118
        .size:           2
        .value_kind:     hidden_remainder_z
      - .offset:         136
        .size:           8
        .value_kind:     hidden_global_offset_x
      - .offset:         144
        .size:           8
        .value_kind:     hidden_global_offset_y
      - .offset:         152
        .size:           8
        .value_kind:     hidden_global_offset_z
      - .offset:         160
        .size:           2
        .value_kind:     hidden_grid_dims
      - .offset:         216
        .size:           4
        .value_kind:     hidden_dynamic_lds_size
    .group_segment_fixed_size: 0
    .kernarg_segment_align: 8
    .kernarg_segment_size: 352
    .language:       OpenCL C
    .language_version:
      - 2
      - 0
    .max_flat_workgroup_size: 512
    .name:           _ZN9rocsolver6v33100L18getf2_small_kernelILi3E19rocblas_complex_numIdEiiPS3_EEvT1_T3_lS5_lPS5_llPT2_S5_S5_S7_l
    .private_segment_fixed_size: 0
    .sgpr_count:     30
    .sgpr_spill_count: 0
    .symbol:         _ZN9rocsolver6v33100L18getf2_small_kernelILi3E19rocblas_complex_numIdEiiPS3_EEvT1_T3_lS5_lPS5_llPT2_S5_S5_S7_l.kd
    .uniform_work_group_size: 1
    .uses_dynamic_stack: false
    .vgpr_count:     41
    .vgpr_spill_count: 0
    .wavefront_size: 64
  - .agpr_count:     0
    .args:
      - .offset:         0
        .size:           4
        .value_kind:     by_value
      - .address_space:  global
        .offset:         8
        .size:           8
        .value_kind:     global_buffer
      - .offset:         16
        .size:           8
        .value_kind:     by_value
      - .offset:         24
        .size:           4
        .value_kind:     by_value
      - .offset:         32
        .size:           8
        .value_kind:     by_value
      - .address_space:  global
        .offset:         40
        .size:           8
        .value_kind:     global_buffer
      - .offset:         48
        .size:           4
        .value_kind:     by_value
      - .offset:         52
        .size:           4
        .value_kind:     by_value
      - .offset:         56
        .size:           4
        .value_kind:     hidden_block_count_x
      - .offset:         60
        .size:           4
        .value_kind:     hidden_block_count_y
      - .offset:         64
        .size:           4
        .value_kind:     hidden_block_count_z
      - .offset:         68
        .size:           2
        .value_kind:     hidden_group_size_x
      - .offset:         70
        .size:           2
        .value_kind:     hidden_group_size_y
      - .offset:         72
        .size:           2
        .value_kind:     hidden_group_size_z
      - .offset:         74
        .size:           2
        .value_kind:     hidden_remainder_x
      - .offset:         76
        .size:           2
        .value_kind:     hidden_remainder_y
      - .offset:         78
        .size:           2
        .value_kind:     hidden_remainder_z
      - .offset:         96
        .size:           8
        .value_kind:     hidden_global_offset_x
      - .offset:         104
        .size:           8
        .value_kind:     hidden_global_offset_y
      - .offset:         112
        .size:           8
        .value_kind:     hidden_global_offset_z
      - .offset:         120
        .size:           2
        .value_kind:     hidden_grid_dims
      - .offset:         176
        .size:           4
        .value_kind:     hidden_dynamic_lds_size
    .group_segment_fixed_size: 0
    .kernarg_segment_align: 8
    .kernarg_segment_size: 312
    .language:       OpenCL C
    .language_version:
      - 2
      - 0
    .max_flat_workgroup_size: 512
    .name:           _ZN9rocsolver6v33100L23getf2_npvt_small_kernelILi3E19rocblas_complex_numIdEiiPS3_EEvT1_T3_lS5_lPT2_S5_S5_
    .private_segment_fixed_size: 0
    .sgpr_count:     22
    .sgpr_spill_count: 0
    .symbol:         _ZN9rocsolver6v33100L23getf2_npvt_small_kernelILi3E19rocblas_complex_numIdEiiPS3_EEvT1_T3_lS5_lPT2_S5_S5_.kd
    .uniform_work_group_size: 1
    .uses_dynamic_stack: false
    .vgpr_count:     42
    .vgpr_spill_count: 0
    .wavefront_size: 64
  - .agpr_count:     0
    .args:
      - .offset:         0
        .size:           4
        .value_kind:     by_value
      - .address_space:  global
        .offset:         8
        .size:           8
        .value_kind:     global_buffer
      - .offset:         16
        .size:           8
        .value_kind:     by_value
      - .offset:         24
        .size:           4
        .value_kind:     by_value
      - .offset:         32
        .size:           8
        .value_kind:     by_value
      - .address_space:  global
        .offset:         40
        .size:           8
        .value_kind:     global_buffer
      - .offset:         48
        .size:           8
        .value_kind:     by_value
      - .offset:         56
        .size:           8
        .value_kind:     by_value
      - .address_space:  global
        .offset:         64
        .size:           8
        .value_kind:     global_buffer
      - .offset:         72
        .size:           4
        .value_kind:     by_value
      - .offset:         76
        .size:           4
        .value_kind:     by_value
      - .address_space:  global
        .offset:         80
        .size:           8
        .value_kind:     global_buffer
      - .offset:         88
        .size:           8
        .value_kind:     by_value
      - .offset:         96
        .size:           4
        .value_kind:     hidden_block_count_x
      - .offset:         100
        .size:           4
        .value_kind:     hidden_block_count_y
      - .offset:         104
        .size:           4
        .value_kind:     hidden_block_count_z
      - .offset:         108
        .size:           2
        .value_kind:     hidden_group_size_x
      - .offset:         110
        .size:           2
        .value_kind:     hidden_group_size_y
      - .offset:         112
        .size:           2
        .value_kind:     hidden_group_size_z
      - .offset:         114
        .size:           2
        .value_kind:     hidden_remainder_x
      - .offset:         116
        .size:           2
        .value_kind:     hidden_remainder_y
      - .offset:         118
        .size:           2
        .value_kind:     hidden_remainder_z
      - .offset:         136
        .size:           8
        .value_kind:     hidden_global_offset_x
      - .offset:         144
        .size:           8
        .value_kind:     hidden_global_offset_y
      - .offset:         152
        .size:           8
        .value_kind:     hidden_global_offset_z
      - .offset:         160
        .size:           2
        .value_kind:     hidden_grid_dims
      - .offset:         216
        .size:           4
        .value_kind:     hidden_dynamic_lds_size
    .group_segment_fixed_size: 0
    .kernarg_segment_align: 8
    .kernarg_segment_size: 352
    .language:       OpenCL C
    .language_version:
      - 2
      - 0
    .max_flat_workgroup_size: 512
    .name:           _ZN9rocsolver6v33100L18getf2_small_kernelILi4E19rocblas_complex_numIdEiiPS3_EEvT1_T3_lS5_lPS5_llPT2_S5_S5_S7_l
    .private_segment_fixed_size: 0
    .sgpr_count:     30
    .sgpr_spill_count: 0
    .symbol:         _ZN9rocsolver6v33100L18getf2_small_kernelILi4E19rocblas_complex_numIdEiiPS3_EEvT1_T3_lS5_lPS5_llPT2_S5_S5_S7_l.kd
    .uniform_work_group_size: 1
    .uses_dynamic_stack: false
    .vgpr_count:     45
    .vgpr_spill_count: 0
    .wavefront_size: 64
  - .agpr_count:     0
    .args:
      - .offset:         0
        .size:           4
        .value_kind:     by_value
      - .address_space:  global
        .offset:         8
        .size:           8
        .value_kind:     global_buffer
      - .offset:         16
        .size:           8
        .value_kind:     by_value
      - .offset:         24
        .size:           4
        .value_kind:     by_value
      - .offset:         32
        .size:           8
        .value_kind:     by_value
      - .address_space:  global
        .offset:         40
        .size:           8
        .value_kind:     global_buffer
      - .offset:         48
        .size:           4
        .value_kind:     by_value
      - .offset:         52
        .size:           4
        .value_kind:     by_value
      - .offset:         56
        .size:           4
        .value_kind:     hidden_block_count_x
      - .offset:         60
        .size:           4
        .value_kind:     hidden_block_count_y
      - .offset:         64
        .size:           4
        .value_kind:     hidden_block_count_z
      - .offset:         68
        .size:           2
        .value_kind:     hidden_group_size_x
      - .offset:         70
        .size:           2
        .value_kind:     hidden_group_size_y
      - .offset:         72
        .size:           2
        .value_kind:     hidden_group_size_z
      - .offset:         74
        .size:           2
        .value_kind:     hidden_remainder_x
      - .offset:         76
        .size:           2
        .value_kind:     hidden_remainder_y
      - .offset:         78
        .size:           2
        .value_kind:     hidden_remainder_z
      - .offset:         96
        .size:           8
        .value_kind:     hidden_global_offset_x
      - .offset:         104
        .size:           8
        .value_kind:     hidden_global_offset_y
      - .offset:         112
        .size:           8
        .value_kind:     hidden_global_offset_z
      - .offset:         120
        .size:           2
        .value_kind:     hidden_grid_dims
      - .offset:         176
        .size:           4
        .value_kind:     hidden_dynamic_lds_size
    .group_segment_fixed_size: 0
    .kernarg_segment_align: 8
    .kernarg_segment_size: 312
    .language:       OpenCL C
    .language_version:
      - 2
      - 0
    .max_flat_workgroup_size: 512
    .name:           _ZN9rocsolver6v33100L23getf2_npvt_small_kernelILi4E19rocblas_complex_numIdEiiPS3_EEvT1_T3_lS5_lPT2_S5_S5_
    .private_segment_fixed_size: 0
    .sgpr_count:     24
    .sgpr_spill_count: 0
    .symbol:         _ZN9rocsolver6v33100L23getf2_npvt_small_kernelILi4E19rocblas_complex_numIdEiiPS3_EEvT1_T3_lS5_lPT2_S5_S5_.kd
    .uniform_work_group_size: 1
    .uses_dynamic_stack: false
    .vgpr_count:     52
    .vgpr_spill_count: 0
    .wavefront_size: 64
  - .agpr_count:     0
    .args:
      - .offset:         0
        .size:           4
        .value_kind:     by_value
      - .address_space:  global
        .offset:         8
        .size:           8
        .value_kind:     global_buffer
      - .offset:         16
        .size:           8
        .value_kind:     by_value
      - .offset:         24
        .size:           4
        .value_kind:     by_value
      - .offset:         32
        .size:           8
        .value_kind:     by_value
      - .address_space:  global
        .offset:         40
        .size:           8
        .value_kind:     global_buffer
      - .offset:         48
        .size:           8
        .value_kind:     by_value
      - .offset:         56
        .size:           8
        .value_kind:     by_value
      - .address_space:  global
        .offset:         64
        .size:           8
        .value_kind:     global_buffer
      - .offset:         72
        .size:           4
        .value_kind:     by_value
      - .offset:         76
        .size:           4
        .value_kind:     by_value
      - .address_space:  global
        .offset:         80
        .size:           8
        .value_kind:     global_buffer
      - .offset:         88
        .size:           8
        .value_kind:     by_value
      - .offset:         96
        .size:           4
        .value_kind:     hidden_block_count_x
      - .offset:         100
        .size:           4
        .value_kind:     hidden_block_count_y
      - .offset:         104
        .size:           4
        .value_kind:     hidden_block_count_z
      - .offset:         108
        .size:           2
        .value_kind:     hidden_group_size_x
      - .offset:         110
        .size:           2
        .value_kind:     hidden_group_size_y
      - .offset:         112
        .size:           2
        .value_kind:     hidden_group_size_z
      - .offset:         114
        .size:           2
        .value_kind:     hidden_remainder_x
      - .offset:         116
        .size:           2
        .value_kind:     hidden_remainder_y
      - .offset:         118
        .size:           2
        .value_kind:     hidden_remainder_z
      - .offset:         136
        .size:           8
        .value_kind:     hidden_global_offset_x
      - .offset:         144
        .size:           8
        .value_kind:     hidden_global_offset_y
      - .offset:         152
        .size:           8
        .value_kind:     hidden_global_offset_z
      - .offset:         160
        .size:           2
        .value_kind:     hidden_grid_dims
      - .offset:         216
        .size:           4
        .value_kind:     hidden_dynamic_lds_size
    .group_segment_fixed_size: 0
    .kernarg_segment_align: 8
    .kernarg_segment_size: 352
    .language:       OpenCL C
    .language_version:
      - 2
      - 0
    .max_flat_workgroup_size: 512
    .name:           _ZN9rocsolver6v33100L18getf2_small_kernelILi5E19rocblas_complex_numIdEiiPS3_EEvT1_T3_lS5_lPS5_llPT2_S5_S5_S7_l
    .private_segment_fixed_size: 0
    .sgpr_count:     30
    .sgpr_spill_count: 0
    .symbol:         _ZN9rocsolver6v33100L18getf2_small_kernelILi5E19rocblas_complex_numIdEiiPS3_EEvT1_T3_lS5_lPS5_llPT2_S5_S5_S7_l.kd
    .uniform_work_group_size: 1
    .uses_dynamic_stack: false
    .vgpr_count:     49
    .vgpr_spill_count: 0
    .wavefront_size: 64
  - .agpr_count:     0
    .args:
      - .offset:         0
        .size:           4
        .value_kind:     by_value
      - .address_space:  global
        .offset:         8
        .size:           8
        .value_kind:     global_buffer
      - .offset:         16
        .size:           8
        .value_kind:     by_value
      - .offset:         24
        .size:           4
        .value_kind:     by_value
      - .offset:         32
        .size:           8
        .value_kind:     by_value
      - .address_space:  global
        .offset:         40
        .size:           8
        .value_kind:     global_buffer
      - .offset:         48
        .size:           4
        .value_kind:     by_value
      - .offset:         52
        .size:           4
        .value_kind:     by_value
      - .offset:         56
        .size:           4
        .value_kind:     hidden_block_count_x
      - .offset:         60
        .size:           4
        .value_kind:     hidden_block_count_y
      - .offset:         64
        .size:           4
        .value_kind:     hidden_block_count_z
      - .offset:         68
        .size:           2
        .value_kind:     hidden_group_size_x
      - .offset:         70
        .size:           2
        .value_kind:     hidden_group_size_y
      - .offset:         72
        .size:           2
        .value_kind:     hidden_group_size_z
      - .offset:         74
        .size:           2
        .value_kind:     hidden_remainder_x
      - .offset:         76
        .size:           2
        .value_kind:     hidden_remainder_y
      - .offset:         78
        .size:           2
        .value_kind:     hidden_remainder_z
      - .offset:         96
        .size:           8
        .value_kind:     hidden_global_offset_x
      - .offset:         104
        .size:           8
        .value_kind:     hidden_global_offset_y
      - .offset:         112
        .size:           8
        .value_kind:     hidden_global_offset_z
      - .offset:         120
        .size:           2
        .value_kind:     hidden_grid_dims
      - .offset:         176
        .size:           4
        .value_kind:     hidden_dynamic_lds_size
    .group_segment_fixed_size: 0
    .kernarg_segment_align: 8
    .kernarg_segment_size: 312
    .language:       OpenCL C
    .language_version:
      - 2
      - 0
    .max_flat_workgroup_size: 512
    .name:           _ZN9rocsolver6v33100L23getf2_npvt_small_kernelILi5E19rocblas_complex_numIdEiiPS3_EEvT1_T3_lS5_lPT2_S5_S5_
    .private_segment_fixed_size: 0
    .sgpr_count:     28
    .sgpr_spill_count: 0
    .symbol:         _ZN9rocsolver6v33100L23getf2_npvt_small_kernelILi5E19rocblas_complex_numIdEiiPS3_EEvT1_T3_lS5_lPT2_S5_S5_.kd
    .uniform_work_group_size: 1
    .uses_dynamic_stack: false
    .vgpr_count:     62
    .vgpr_spill_count: 0
    .wavefront_size: 64
  - .agpr_count:     0
    .args:
      - .offset:         0
        .size:           4
        .value_kind:     by_value
      - .address_space:  global
        .offset:         8
        .size:           8
        .value_kind:     global_buffer
      - .offset:         16
        .size:           8
        .value_kind:     by_value
      - .offset:         24
        .size:           4
        .value_kind:     by_value
      - .offset:         32
        .size:           8
        .value_kind:     by_value
      - .address_space:  global
        .offset:         40
        .size:           8
        .value_kind:     global_buffer
      - .offset:         48
        .size:           8
        .value_kind:     by_value
      - .offset:         56
        .size:           8
        .value_kind:     by_value
      - .address_space:  global
        .offset:         64
        .size:           8
        .value_kind:     global_buffer
      - .offset:         72
        .size:           4
        .value_kind:     by_value
      - .offset:         76
        .size:           4
        .value_kind:     by_value
      - .address_space:  global
        .offset:         80
        .size:           8
        .value_kind:     global_buffer
      - .offset:         88
        .size:           8
        .value_kind:     by_value
      - .offset:         96
        .size:           4
        .value_kind:     hidden_block_count_x
      - .offset:         100
        .size:           4
        .value_kind:     hidden_block_count_y
      - .offset:         104
        .size:           4
        .value_kind:     hidden_block_count_z
      - .offset:         108
        .size:           2
        .value_kind:     hidden_group_size_x
      - .offset:         110
        .size:           2
        .value_kind:     hidden_group_size_y
      - .offset:         112
        .size:           2
        .value_kind:     hidden_group_size_z
      - .offset:         114
        .size:           2
        .value_kind:     hidden_remainder_x
      - .offset:         116
        .size:           2
        .value_kind:     hidden_remainder_y
      - .offset:         118
        .size:           2
        .value_kind:     hidden_remainder_z
      - .offset:         136
        .size:           8
        .value_kind:     hidden_global_offset_x
      - .offset:         144
        .size:           8
        .value_kind:     hidden_global_offset_y
      - .offset:         152
        .size:           8
        .value_kind:     hidden_global_offset_z
      - .offset:         160
        .size:           2
        .value_kind:     hidden_grid_dims
      - .offset:         216
        .size:           4
        .value_kind:     hidden_dynamic_lds_size
    .group_segment_fixed_size: 0
    .kernarg_segment_align: 8
    .kernarg_segment_size: 352
    .language:       OpenCL C
    .language_version:
      - 2
      - 0
    .max_flat_workgroup_size: 512
    .name:           _ZN9rocsolver6v33100L18getf2_small_kernelILi6E19rocblas_complex_numIdEiiPS3_EEvT1_T3_lS5_lPS5_llPT2_S5_S5_S7_l
    .private_segment_fixed_size: 0
    .sgpr_count:     30
    .sgpr_spill_count: 0
    .symbol:         _ZN9rocsolver6v33100L18getf2_small_kernelILi6E19rocblas_complex_numIdEiiPS3_EEvT1_T3_lS5_lPS5_llPT2_S5_S5_S7_l.kd
    .uniform_work_group_size: 1
    .uses_dynamic_stack: false
    .vgpr_count:     53
    .vgpr_spill_count: 0
    .wavefront_size: 64
  - .agpr_count:     0
    .args:
      - .offset:         0
        .size:           4
        .value_kind:     by_value
      - .address_space:  global
        .offset:         8
        .size:           8
        .value_kind:     global_buffer
      - .offset:         16
        .size:           8
        .value_kind:     by_value
      - .offset:         24
        .size:           4
        .value_kind:     by_value
      - .offset:         32
        .size:           8
        .value_kind:     by_value
      - .address_space:  global
        .offset:         40
        .size:           8
        .value_kind:     global_buffer
      - .offset:         48
        .size:           4
        .value_kind:     by_value
      - .offset:         52
        .size:           4
        .value_kind:     by_value
      - .offset:         56
        .size:           4
        .value_kind:     hidden_block_count_x
      - .offset:         60
        .size:           4
        .value_kind:     hidden_block_count_y
      - .offset:         64
        .size:           4
        .value_kind:     hidden_block_count_z
      - .offset:         68
        .size:           2
        .value_kind:     hidden_group_size_x
      - .offset:         70
        .size:           2
        .value_kind:     hidden_group_size_y
      - .offset:         72
        .size:           2
        .value_kind:     hidden_group_size_z
      - .offset:         74
        .size:           2
        .value_kind:     hidden_remainder_x
      - .offset:         76
        .size:           2
        .value_kind:     hidden_remainder_y
      - .offset:         78
        .size:           2
        .value_kind:     hidden_remainder_z
      - .offset:         96
        .size:           8
        .value_kind:     hidden_global_offset_x
      - .offset:         104
        .size:           8
        .value_kind:     hidden_global_offset_y
      - .offset:         112
        .size:           8
        .value_kind:     hidden_global_offset_z
      - .offset:         120
        .size:           2
        .value_kind:     hidden_grid_dims
      - .offset:         176
        .size:           4
        .value_kind:     hidden_dynamic_lds_size
    .group_segment_fixed_size: 0
    .kernarg_segment_align: 8
    .kernarg_segment_size: 312
    .language:       OpenCL C
    .language_version:
      - 2
      - 0
    .max_flat_workgroup_size: 512
    .name:           _ZN9rocsolver6v33100L23getf2_npvt_small_kernelILi6E19rocblas_complex_numIdEiiPS3_EEvT1_T3_lS5_lPT2_S5_S5_
    .private_segment_fixed_size: 0
    .sgpr_count:     32
    .sgpr_spill_count: 0
    .symbol:         _ZN9rocsolver6v33100L23getf2_npvt_small_kernelILi6E19rocblas_complex_numIdEiiPS3_EEvT1_T3_lS5_lPT2_S5_S5_.kd
    .uniform_work_group_size: 1
    .uses_dynamic_stack: false
    .vgpr_count:     72
    .vgpr_spill_count: 0
    .wavefront_size: 64
  - .agpr_count:     0
    .args:
      - .offset:         0
        .size:           4
        .value_kind:     by_value
      - .address_space:  global
        .offset:         8
        .size:           8
        .value_kind:     global_buffer
      - .offset:         16
        .size:           8
        .value_kind:     by_value
      - .offset:         24
        .size:           4
        .value_kind:     by_value
      - .offset:         32
        .size:           8
        .value_kind:     by_value
      - .address_space:  global
        .offset:         40
        .size:           8
        .value_kind:     global_buffer
      - .offset:         48
        .size:           8
        .value_kind:     by_value
      - .offset:         56
        .size:           8
        .value_kind:     by_value
      - .address_space:  global
        .offset:         64
        .size:           8
        .value_kind:     global_buffer
      - .offset:         72
        .size:           4
        .value_kind:     by_value
      - .offset:         76
        .size:           4
        .value_kind:     by_value
      - .address_space:  global
        .offset:         80
        .size:           8
        .value_kind:     global_buffer
      - .offset:         88
        .size:           8
        .value_kind:     by_value
      - .offset:         96
        .size:           4
        .value_kind:     hidden_block_count_x
      - .offset:         100
        .size:           4
        .value_kind:     hidden_block_count_y
      - .offset:         104
        .size:           4
        .value_kind:     hidden_block_count_z
      - .offset:         108
        .size:           2
        .value_kind:     hidden_group_size_x
      - .offset:         110
        .size:           2
        .value_kind:     hidden_group_size_y
      - .offset:         112
        .size:           2
        .value_kind:     hidden_group_size_z
      - .offset:         114
        .size:           2
        .value_kind:     hidden_remainder_x
      - .offset:         116
        .size:           2
        .value_kind:     hidden_remainder_y
      - .offset:         118
        .size:           2
        .value_kind:     hidden_remainder_z
      - .offset:         136
        .size:           8
        .value_kind:     hidden_global_offset_x
      - .offset:         144
        .size:           8
        .value_kind:     hidden_global_offset_y
      - .offset:         152
        .size:           8
        .value_kind:     hidden_global_offset_z
      - .offset:         160
        .size:           2
        .value_kind:     hidden_grid_dims
      - .offset:         216
        .size:           4
        .value_kind:     hidden_dynamic_lds_size
    .group_segment_fixed_size: 0
    .kernarg_segment_align: 8
    .kernarg_segment_size: 352
    .language:       OpenCL C
    .language_version:
      - 2
      - 0
    .max_flat_workgroup_size: 512
    .name:           _ZN9rocsolver6v33100L18getf2_small_kernelILi7E19rocblas_complex_numIdEiiPS3_EEvT1_T3_lS5_lPS5_llPT2_S5_S5_S7_l
    .private_segment_fixed_size: 0
    .sgpr_count:     30
    .sgpr_spill_count: 0
    .symbol:         _ZN9rocsolver6v33100L18getf2_small_kernelILi7E19rocblas_complex_numIdEiiPS3_EEvT1_T3_lS5_lPS5_llPT2_S5_S5_S7_l.kd
    .uniform_work_group_size: 1
    .uses_dynamic_stack: false
    .vgpr_count:     57
    .vgpr_spill_count: 0
    .wavefront_size: 64
  - .agpr_count:     0
    .args:
      - .offset:         0
        .size:           4
        .value_kind:     by_value
      - .address_space:  global
        .offset:         8
        .size:           8
        .value_kind:     global_buffer
      - .offset:         16
        .size:           8
        .value_kind:     by_value
      - .offset:         24
        .size:           4
        .value_kind:     by_value
      - .offset:         32
        .size:           8
        .value_kind:     by_value
      - .address_space:  global
        .offset:         40
        .size:           8
        .value_kind:     global_buffer
      - .offset:         48
        .size:           4
        .value_kind:     by_value
      - .offset:         52
        .size:           4
        .value_kind:     by_value
      - .offset:         56
        .size:           4
        .value_kind:     hidden_block_count_x
      - .offset:         60
        .size:           4
        .value_kind:     hidden_block_count_y
      - .offset:         64
        .size:           4
        .value_kind:     hidden_block_count_z
      - .offset:         68
        .size:           2
        .value_kind:     hidden_group_size_x
      - .offset:         70
        .size:           2
        .value_kind:     hidden_group_size_y
      - .offset:         72
        .size:           2
        .value_kind:     hidden_group_size_z
      - .offset:         74
        .size:           2
        .value_kind:     hidden_remainder_x
      - .offset:         76
        .size:           2
        .value_kind:     hidden_remainder_y
      - .offset:         78
        .size:           2
        .value_kind:     hidden_remainder_z
      - .offset:         96
        .size:           8
        .value_kind:     hidden_global_offset_x
      - .offset:         104
        .size:           8
        .value_kind:     hidden_global_offset_y
      - .offset:         112
        .size:           8
        .value_kind:     hidden_global_offset_z
      - .offset:         120
        .size:           2
        .value_kind:     hidden_grid_dims
      - .offset:         176
        .size:           4
        .value_kind:     hidden_dynamic_lds_size
    .group_segment_fixed_size: 0
    .kernarg_segment_align: 8
    .kernarg_segment_size: 312
    .language:       OpenCL C
    .language_version:
      - 2
      - 0
    .max_flat_workgroup_size: 512
    .name:           _ZN9rocsolver6v33100L23getf2_npvt_small_kernelILi7E19rocblas_complex_numIdEiiPS3_EEvT1_T3_lS5_lPT2_S5_S5_
    .private_segment_fixed_size: 0
    .sgpr_count:     36
    .sgpr_spill_count: 0
    .symbol:         _ZN9rocsolver6v33100L23getf2_npvt_small_kernelILi7E19rocblas_complex_numIdEiiPS3_EEvT1_T3_lS5_lPT2_S5_S5_.kd
    .uniform_work_group_size: 1
    .uses_dynamic_stack: false
    .vgpr_count:     82
    .vgpr_spill_count: 0
    .wavefront_size: 64
  - .agpr_count:     0
    .args:
      - .offset:         0
        .size:           4
        .value_kind:     by_value
      - .address_space:  global
        .offset:         8
        .size:           8
        .value_kind:     global_buffer
      - .offset:         16
        .size:           8
        .value_kind:     by_value
      - .offset:         24
        .size:           4
        .value_kind:     by_value
      - .offset:         32
        .size:           8
        .value_kind:     by_value
      - .address_space:  global
        .offset:         40
        .size:           8
        .value_kind:     global_buffer
      - .offset:         48
        .size:           8
        .value_kind:     by_value
      - .offset:         56
        .size:           8
        .value_kind:     by_value
      - .address_space:  global
        .offset:         64
        .size:           8
        .value_kind:     global_buffer
      - .offset:         72
        .size:           4
        .value_kind:     by_value
      - .offset:         76
        .size:           4
        .value_kind:     by_value
      - .address_space:  global
        .offset:         80
        .size:           8
        .value_kind:     global_buffer
      - .offset:         88
        .size:           8
        .value_kind:     by_value
      - .offset:         96
        .size:           4
        .value_kind:     hidden_block_count_x
      - .offset:         100
        .size:           4
        .value_kind:     hidden_block_count_y
      - .offset:         104
        .size:           4
        .value_kind:     hidden_block_count_z
      - .offset:         108
        .size:           2
        .value_kind:     hidden_group_size_x
      - .offset:         110
        .size:           2
        .value_kind:     hidden_group_size_y
      - .offset:         112
        .size:           2
        .value_kind:     hidden_group_size_z
      - .offset:         114
        .size:           2
        .value_kind:     hidden_remainder_x
      - .offset:         116
        .size:           2
        .value_kind:     hidden_remainder_y
      - .offset:         118
        .size:           2
        .value_kind:     hidden_remainder_z
      - .offset:         136
        .size:           8
        .value_kind:     hidden_global_offset_x
      - .offset:         144
        .size:           8
        .value_kind:     hidden_global_offset_y
      - .offset:         152
        .size:           8
        .value_kind:     hidden_global_offset_z
      - .offset:         160
        .size:           2
        .value_kind:     hidden_grid_dims
      - .offset:         216
        .size:           4
        .value_kind:     hidden_dynamic_lds_size
    .group_segment_fixed_size: 0
    .kernarg_segment_align: 8
    .kernarg_segment_size: 352
    .language:       OpenCL C
    .language_version:
      - 2
      - 0
    .max_flat_workgroup_size: 512
    .name:           _ZN9rocsolver6v33100L18getf2_small_kernelILi8E19rocblas_complex_numIdEiiPS3_EEvT1_T3_lS5_lPS5_llPT2_S5_S5_S7_l
    .private_segment_fixed_size: 0
    .sgpr_count:     30
    .sgpr_spill_count: 0
    .symbol:         _ZN9rocsolver6v33100L18getf2_small_kernelILi8E19rocblas_complex_numIdEiiPS3_EEvT1_T3_lS5_lPS5_llPT2_S5_S5_S7_l.kd
    .uniform_work_group_size: 1
    .uses_dynamic_stack: false
    .vgpr_count:     61
    .vgpr_spill_count: 0
    .wavefront_size: 64
  - .agpr_count:     0
    .args:
      - .offset:         0
        .size:           4
        .value_kind:     by_value
      - .address_space:  global
        .offset:         8
        .size:           8
        .value_kind:     global_buffer
      - .offset:         16
        .size:           8
        .value_kind:     by_value
      - .offset:         24
        .size:           4
        .value_kind:     by_value
      - .offset:         32
        .size:           8
        .value_kind:     by_value
      - .address_space:  global
        .offset:         40
        .size:           8
        .value_kind:     global_buffer
      - .offset:         48
        .size:           4
        .value_kind:     by_value
      - .offset:         52
        .size:           4
        .value_kind:     by_value
      - .offset:         56
        .size:           4
        .value_kind:     hidden_block_count_x
      - .offset:         60
        .size:           4
        .value_kind:     hidden_block_count_y
      - .offset:         64
        .size:           4
        .value_kind:     hidden_block_count_z
      - .offset:         68
        .size:           2
        .value_kind:     hidden_group_size_x
      - .offset:         70
        .size:           2
        .value_kind:     hidden_group_size_y
      - .offset:         72
        .size:           2
        .value_kind:     hidden_group_size_z
      - .offset:         74
        .size:           2
        .value_kind:     hidden_remainder_x
      - .offset:         76
        .size:           2
        .value_kind:     hidden_remainder_y
      - .offset:         78
        .size:           2
        .value_kind:     hidden_remainder_z
      - .offset:         96
        .size:           8
        .value_kind:     hidden_global_offset_x
      - .offset:         104
        .size:           8
        .value_kind:     hidden_global_offset_y
      - .offset:         112
        .size:           8
        .value_kind:     hidden_global_offset_z
      - .offset:         120
        .size:           2
        .value_kind:     hidden_grid_dims
      - .offset:         176
        .size:           4
        .value_kind:     hidden_dynamic_lds_size
    .group_segment_fixed_size: 0
    .kernarg_segment_align: 8
    .kernarg_segment_size: 312
    .language:       OpenCL C
    .language_version:
      - 2
      - 0
    .max_flat_workgroup_size: 512
    .name:           _ZN9rocsolver6v33100L23getf2_npvt_small_kernelILi8E19rocblas_complex_numIdEiiPS3_EEvT1_T3_lS5_lPT2_S5_S5_
    .private_segment_fixed_size: 0
    .sgpr_count:     42
    .sgpr_spill_count: 0
    .symbol:         _ZN9rocsolver6v33100L23getf2_npvt_small_kernelILi8E19rocblas_complex_numIdEiiPS3_EEvT1_T3_lS5_lPT2_S5_S5_.kd
    .uniform_work_group_size: 1
    .uses_dynamic_stack: false
    .vgpr_count:     92
    .vgpr_spill_count: 0
    .wavefront_size: 64
  - .agpr_count:     0
    .args:
      - .offset:         0
        .size:           4
        .value_kind:     by_value
      - .address_space:  global
        .offset:         8
        .size:           8
        .value_kind:     global_buffer
      - .offset:         16
        .size:           8
        .value_kind:     by_value
      - .offset:         24
        .size:           4
        .value_kind:     by_value
      - .offset:         32
        .size:           8
        .value_kind:     by_value
      - .address_space:  global
        .offset:         40
        .size:           8
        .value_kind:     global_buffer
      - .offset:         48
        .size:           8
        .value_kind:     by_value
      - .offset:         56
        .size:           8
        .value_kind:     by_value
      - .address_space:  global
        .offset:         64
        .size:           8
        .value_kind:     global_buffer
      - .offset:         72
        .size:           4
        .value_kind:     by_value
      - .offset:         76
        .size:           4
        .value_kind:     by_value
      - .address_space:  global
        .offset:         80
        .size:           8
        .value_kind:     global_buffer
      - .offset:         88
        .size:           8
        .value_kind:     by_value
      - .offset:         96
        .size:           4
        .value_kind:     hidden_block_count_x
      - .offset:         100
        .size:           4
        .value_kind:     hidden_block_count_y
      - .offset:         104
        .size:           4
        .value_kind:     hidden_block_count_z
      - .offset:         108
        .size:           2
        .value_kind:     hidden_group_size_x
      - .offset:         110
        .size:           2
        .value_kind:     hidden_group_size_y
      - .offset:         112
        .size:           2
        .value_kind:     hidden_group_size_z
      - .offset:         114
        .size:           2
        .value_kind:     hidden_remainder_x
      - .offset:         116
        .size:           2
        .value_kind:     hidden_remainder_y
      - .offset:         118
        .size:           2
        .value_kind:     hidden_remainder_z
      - .offset:         136
        .size:           8
        .value_kind:     hidden_global_offset_x
      - .offset:         144
        .size:           8
        .value_kind:     hidden_global_offset_y
      - .offset:         152
        .size:           8
        .value_kind:     hidden_global_offset_z
      - .offset:         160
        .size:           2
        .value_kind:     hidden_grid_dims
      - .offset:         216
        .size:           4
        .value_kind:     hidden_dynamic_lds_size
    .group_segment_fixed_size: 0
    .kernarg_segment_align: 8
    .kernarg_segment_size: 352
    .language:       OpenCL C
    .language_version:
      - 2
      - 0
    .max_flat_workgroup_size: 512
    .name:           _ZN9rocsolver6v33100L18getf2_small_kernelILi9E19rocblas_complex_numIdEiiPS3_EEvT1_T3_lS5_lPS5_llPT2_S5_S5_S7_l
    .private_segment_fixed_size: 0
    .sgpr_count:     30
    .sgpr_spill_count: 0
    .symbol:         _ZN9rocsolver6v33100L18getf2_small_kernelILi9E19rocblas_complex_numIdEiiPS3_EEvT1_T3_lS5_lPS5_llPT2_S5_S5_S7_l.kd
    .uniform_work_group_size: 1
    .uses_dynamic_stack: false
    .vgpr_count:     65
    .vgpr_spill_count: 0
    .wavefront_size: 64
  - .agpr_count:     0
    .args:
      - .offset:         0
        .size:           4
        .value_kind:     by_value
      - .address_space:  global
        .offset:         8
        .size:           8
        .value_kind:     global_buffer
      - .offset:         16
        .size:           8
        .value_kind:     by_value
      - .offset:         24
        .size:           4
        .value_kind:     by_value
      - .offset:         32
        .size:           8
        .value_kind:     by_value
      - .address_space:  global
        .offset:         40
        .size:           8
        .value_kind:     global_buffer
      - .offset:         48
        .size:           4
        .value_kind:     by_value
      - .offset:         52
        .size:           4
        .value_kind:     by_value
      - .offset:         56
        .size:           4
        .value_kind:     hidden_block_count_x
      - .offset:         60
        .size:           4
        .value_kind:     hidden_block_count_y
      - .offset:         64
        .size:           4
        .value_kind:     hidden_block_count_z
      - .offset:         68
        .size:           2
        .value_kind:     hidden_group_size_x
      - .offset:         70
        .size:           2
        .value_kind:     hidden_group_size_y
      - .offset:         72
        .size:           2
        .value_kind:     hidden_group_size_z
      - .offset:         74
        .size:           2
        .value_kind:     hidden_remainder_x
      - .offset:         76
        .size:           2
        .value_kind:     hidden_remainder_y
      - .offset:         78
        .size:           2
        .value_kind:     hidden_remainder_z
      - .offset:         96
        .size:           8
        .value_kind:     hidden_global_offset_x
      - .offset:         104
        .size:           8
        .value_kind:     hidden_global_offset_y
      - .offset:         112
        .size:           8
        .value_kind:     hidden_global_offset_z
      - .offset:         120
        .size:           2
        .value_kind:     hidden_grid_dims
      - .offset:         176
        .size:           4
        .value_kind:     hidden_dynamic_lds_size
    .group_segment_fixed_size: 0
    .kernarg_segment_align: 8
    .kernarg_segment_size: 312
    .language:       OpenCL C
    .language_version:
      - 2
      - 0
    .max_flat_workgroup_size: 512
    .name:           _ZN9rocsolver6v33100L23getf2_npvt_small_kernelILi9E19rocblas_complex_numIdEiiPS3_EEvT1_T3_lS5_lPT2_S5_S5_
    .private_segment_fixed_size: 0
    .sgpr_count:     46
    .sgpr_spill_count: 0
    .symbol:         _ZN9rocsolver6v33100L23getf2_npvt_small_kernelILi9E19rocblas_complex_numIdEiiPS3_EEvT1_T3_lS5_lPT2_S5_S5_.kd
    .uniform_work_group_size: 1
    .uses_dynamic_stack: false
    .vgpr_count:     102
    .vgpr_spill_count: 0
    .wavefront_size: 64
  - .agpr_count:     0
    .args:
      - .offset:         0
        .size:           4
        .value_kind:     by_value
      - .address_space:  global
        .offset:         8
        .size:           8
        .value_kind:     global_buffer
      - .offset:         16
        .size:           8
        .value_kind:     by_value
      - .offset:         24
        .size:           4
        .value_kind:     by_value
      - .offset:         32
        .size:           8
        .value_kind:     by_value
      - .address_space:  global
        .offset:         40
        .size:           8
        .value_kind:     global_buffer
      - .offset:         48
        .size:           8
        .value_kind:     by_value
      - .offset:         56
        .size:           8
        .value_kind:     by_value
      - .address_space:  global
        .offset:         64
        .size:           8
        .value_kind:     global_buffer
      - .offset:         72
        .size:           4
        .value_kind:     by_value
      - .offset:         76
        .size:           4
        .value_kind:     by_value
      - .address_space:  global
        .offset:         80
        .size:           8
        .value_kind:     global_buffer
      - .offset:         88
        .size:           8
        .value_kind:     by_value
      - .offset:         96
        .size:           4
        .value_kind:     hidden_block_count_x
      - .offset:         100
        .size:           4
        .value_kind:     hidden_block_count_y
      - .offset:         104
        .size:           4
        .value_kind:     hidden_block_count_z
      - .offset:         108
        .size:           2
        .value_kind:     hidden_group_size_x
      - .offset:         110
        .size:           2
        .value_kind:     hidden_group_size_y
      - .offset:         112
        .size:           2
        .value_kind:     hidden_group_size_z
      - .offset:         114
        .size:           2
        .value_kind:     hidden_remainder_x
      - .offset:         116
        .size:           2
        .value_kind:     hidden_remainder_y
      - .offset:         118
        .size:           2
        .value_kind:     hidden_remainder_z
      - .offset:         136
        .size:           8
        .value_kind:     hidden_global_offset_x
      - .offset:         144
        .size:           8
        .value_kind:     hidden_global_offset_y
      - .offset:         152
        .size:           8
        .value_kind:     hidden_global_offset_z
      - .offset:         160
        .size:           2
        .value_kind:     hidden_grid_dims
      - .offset:         216
        .size:           4
        .value_kind:     hidden_dynamic_lds_size
    .group_segment_fixed_size: 0
    .kernarg_segment_align: 8
    .kernarg_segment_size: 352
    .language:       OpenCL C
    .language_version:
      - 2
      - 0
    .max_flat_workgroup_size: 512
    .name:           _ZN9rocsolver6v33100L18getf2_small_kernelILi10E19rocblas_complex_numIdEiiPS3_EEvT1_T3_lS5_lPS5_llPT2_S5_S5_S7_l
    .private_segment_fixed_size: 0
    .sgpr_count:     30
    .sgpr_spill_count: 0
    .symbol:         _ZN9rocsolver6v33100L18getf2_small_kernelILi10E19rocblas_complex_numIdEiiPS3_EEvT1_T3_lS5_lPS5_llPT2_S5_S5_S7_l.kd
    .uniform_work_group_size: 1
    .uses_dynamic_stack: false
    .vgpr_count:     69
    .vgpr_spill_count: 0
    .wavefront_size: 64
  - .agpr_count:     0
    .args:
      - .offset:         0
        .size:           4
        .value_kind:     by_value
      - .address_space:  global
        .offset:         8
        .size:           8
        .value_kind:     global_buffer
      - .offset:         16
        .size:           8
        .value_kind:     by_value
      - .offset:         24
        .size:           4
        .value_kind:     by_value
      - .offset:         32
        .size:           8
        .value_kind:     by_value
      - .address_space:  global
        .offset:         40
        .size:           8
        .value_kind:     global_buffer
      - .offset:         48
        .size:           4
        .value_kind:     by_value
      - .offset:         52
        .size:           4
        .value_kind:     by_value
      - .offset:         56
        .size:           4
        .value_kind:     hidden_block_count_x
      - .offset:         60
        .size:           4
        .value_kind:     hidden_block_count_y
      - .offset:         64
        .size:           4
        .value_kind:     hidden_block_count_z
      - .offset:         68
        .size:           2
        .value_kind:     hidden_group_size_x
      - .offset:         70
        .size:           2
        .value_kind:     hidden_group_size_y
      - .offset:         72
        .size:           2
        .value_kind:     hidden_group_size_z
      - .offset:         74
        .size:           2
        .value_kind:     hidden_remainder_x
      - .offset:         76
        .size:           2
        .value_kind:     hidden_remainder_y
      - .offset:         78
        .size:           2
        .value_kind:     hidden_remainder_z
      - .offset:         96
        .size:           8
        .value_kind:     hidden_global_offset_x
      - .offset:         104
        .size:           8
        .value_kind:     hidden_global_offset_y
      - .offset:         112
        .size:           8
        .value_kind:     hidden_global_offset_z
      - .offset:         120
        .size:           2
        .value_kind:     hidden_grid_dims
      - .offset:         176
        .size:           4
        .value_kind:     hidden_dynamic_lds_size
    .group_segment_fixed_size: 0
    .kernarg_segment_align: 8
    .kernarg_segment_size: 312
    .language:       OpenCL C
    .language_version:
      - 2
      - 0
    .max_flat_workgroup_size: 512
    .name:           _ZN9rocsolver6v33100L23getf2_npvt_small_kernelILi10E19rocblas_complex_numIdEiiPS3_EEvT1_T3_lS5_lPT2_S5_S5_
    .private_segment_fixed_size: 0
    .sgpr_count:     50
    .sgpr_spill_count: 0
    .symbol:         _ZN9rocsolver6v33100L23getf2_npvt_small_kernelILi10E19rocblas_complex_numIdEiiPS3_EEvT1_T3_lS5_lPT2_S5_S5_.kd
    .uniform_work_group_size: 1
    .uses_dynamic_stack: false
    .vgpr_count:     112
    .vgpr_spill_count: 0
    .wavefront_size: 64
  - .agpr_count:     0
    .args:
      - .offset:         0
        .size:           4
        .value_kind:     by_value
      - .address_space:  global
        .offset:         8
        .size:           8
        .value_kind:     global_buffer
      - .offset:         16
        .size:           8
        .value_kind:     by_value
      - .offset:         24
        .size:           4
        .value_kind:     by_value
      - .offset:         32
        .size:           8
        .value_kind:     by_value
      - .address_space:  global
        .offset:         40
        .size:           8
        .value_kind:     global_buffer
      - .offset:         48
        .size:           8
        .value_kind:     by_value
      - .offset:         56
        .size:           8
        .value_kind:     by_value
      - .address_space:  global
        .offset:         64
        .size:           8
        .value_kind:     global_buffer
      - .offset:         72
        .size:           4
        .value_kind:     by_value
      - .offset:         76
        .size:           4
        .value_kind:     by_value
      - .address_space:  global
        .offset:         80
        .size:           8
        .value_kind:     global_buffer
      - .offset:         88
        .size:           8
        .value_kind:     by_value
      - .offset:         96
        .size:           4
        .value_kind:     hidden_block_count_x
      - .offset:         100
        .size:           4
        .value_kind:     hidden_block_count_y
      - .offset:         104
        .size:           4
        .value_kind:     hidden_block_count_z
      - .offset:         108
        .size:           2
        .value_kind:     hidden_group_size_x
      - .offset:         110
        .size:           2
        .value_kind:     hidden_group_size_y
      - .offset:         112
        .size:           2
        .value_kind:     hidden_group_size_z
      - .offset:         114
        .size:           2
        .value_kind:     hidden_remainder_x
      - .offset:         116
        .size:           2
        .value_kind:     hidden_remainder_y
      - .offset:         118
        .size:           2
        .value_kind:     hidden_remainder_z
      - .offset:         136
        .size:           8
        .value_kind:     hidden_global_offset_x
      - .offset:         144
        .size:           8
        .value_kind:     hidden_global_offset_y
      - .offset:         152
        .size:           8
        .value_kind:     hidden_global_offset_z
      - .offset:         160
        .size:           2
        .value_kind:     hidden_grid_dims
      - .offset:         216
        .size:           4
        .value_kind:     hidden_dynamic_lds_size
    .group_segment_fixed_size: 0
    .kernarg_segment_align: 8
    .kernarg_segment_size: 352
    .language:       OpenCL C
    .language_version:
      - 2
      - 0
    .max_flat_workgroup_size: 512
    .name:           _ZN9rocsolver6v33100L18getf2_small_kernelILi11E19rocblas_complex_numIdEiiPS3_EEvT1_T3_lS5_lPS5_llPT2_S5_S5_S7_l
    .private_segment_fixed_size: 0
    .sgpr_count:     30
    .sgpr_spill_count: 0
    .symbol:         _ZN9rocsolver6v33100L18getf2_small_kernelILi11E19rocblas_complex_numIdEiiPS3_EEvT1_T3_lS5_lPS5_llPT2_S5_S5_S7_l.kd
    .uniform_work_group_size: 1
    .uses_dynamic_stack: false
    .vgpr_count:     73
    .vgpr_spill_count: 0
    .wavefront_size: 64
  - .agpr_count:     0
    .args:
      - .offset:         0
        .size:           4
        .value_kind:     by_value
      - .address_space:  global
        .offset:         8
        .size:           8
        .value_kind:     global_buffer
      - .offset:         16
        .size:           8
        .value_kind:     by_value
      - .offset:         24
        .size:           4
        .value_kind:     by_value
      - .offset:         32
        .size:           8
        .value_kind:     by_value
      - .address_space:  global
        .offset:         40
        .size:           8
        .value_kind:     global_buffer
      - .offset:         48
        .size:           4
        .value_kind:     by_value
      - .offset:         52
        .size:           4
        .value_kind:     by_value
      - .offset:         56
        .size:           4
        .value_kind:     hidden_block_count_x
      - .offset:         60
        .size:           4
        .value_kind:     hidden_block_count_y
      - .offset:         64
        .size:           4
        .value_kind:     hidden_block_count_z
      - .offset:         68
        .size:           2
        .value_kind:     hidden_group_size_x
      - .offset:         70
        .size:           2
        .value_kind:     hidden_group_size_y
      - .offset:         72
        .size:           2
        .value_kind:     hidden_group_size_z
      - .offset:         74
        .size:           2
        .value_kind:     hidden_remainder_x
      - .offset:         76
        .size:           2
        .value_kind:     hidden_remainder_y
      - .offset:         78
        .size:           2
        .value_kind:     hidden_remainder_z
      - .offset:         96
        .size:           8
        .value_kind:     hidden_global_offset_x
      - .offset:         104
        .size:           8
        .value_kind:     hidden_global_offset_y
      - .offset:         112
        .size:           8
        .value_kind:     hidden_global_offset_z
      - .offset:         120
        .size:           2
        .value_kind:     hidden_grid_dims
      - .offset:         176
        .size:           4
        .value_kind:     hidden_dynamic_lds_size
    .group_segment_fixed_size: 0
    .kernarg_segment_align: 8
    .kernarg_segment_size: 312
    .language:       OpenCL C
    .language_version:
      - 2
      - 0
    .max_flat_workgroup_size: 512
    .name:           _ZN9rocsolver6v33100L23getf2_npvt_small_kernelILi11E19rocblas_complex_numIdEiiPS3_EEvT1_T3_lS5_lPT2_S5_S5_
    .private_segment_fixed_size: 0
    .sgpr_count:     54
    .sgpr_spill_count: 0
    .symbol:         _ZN9rocsolver6v33100L23getf2_npvt_small_kernelILi11E19rocblas_complex_numIdEiiPS3_EEvT1_T3_lS5_lPT2_S5_S5_.kd
    .uniform_work_group_size: 1
    .uses_dynamic_stack: false
    .vgpr_count:     122
    .vgpr_spill_count: 0
    .wavefront_size: 64
  - .agpr_count:     0
    .args:
      - .offset:         0
        .size:           4
        .value_kind:     by_value
      - .address_space:  global
        .offset:         8
        .size:           8
        .value_kind:     global_buffer
      - .offset:         16
        .size:           8
        .value_kind:     by_value
      - .offset:         24
        .size:           4
        .value_kind:     by_value
      - .offset:         32
        .size:           8
        .value_kind:     by_value
      - .address_space:  global
        .offset:         40
        .size:           8
        .value_kind:     global_buffer
      - .offset:         48
        .size:           8
        .value_kind:     by_value
      - .offset:         56
        .size:           8
        .value_kind:     by_value
      - .address_space:  global
        .offset:         64
        .size:           8
        .value_kind:     global_buffer
      - .offset:         72
        .size:           4
        .value_kind:     by_value
      - .offset:         76
        .size:           4
        .value_kind:     by_value
      - .address_space:  global
        .offset:         80
        .size:           8
        .value_kind:     global_buffer
      - .offset:         88
        .size:           8
        .value_kind:     by_value
      - .offset:         96
        .size:           4
        .value_kind:     hidden_block_count_x
      - .offset:         100
        .size:           4
        .value_kind:     hidden_block_count_y
      - .offset:         104
        .size:           4
        .value_kind:     hidden_block_count_z
      - .offset:         108
        .size:           2
        .value_kind:     hidden_group_size_x
      - .offset:         110
        .size:           2
        .value_kind:     hidden_group_size_y
      - .offset:         112
        .size:           2
        .value_kind:     hidden_group_size_z
      - .offset:         114
        .size:           2
        .value_kind:     hidden_remainder_x
      - .offset:         116
        .size:           2
        .value_kind:     hidden_remainder_y
      - .offset:         118
        .size:           2
        .value_kind:     hidden_remainder_z
      - .offset:         136
        .size:           8
        .value_kind:     hidden_global_offset_x
      - .offset:         144
        .size:           8
        .value_kind:     hidden_global_offset_y
      - .offset:         152
        .size:           8
        .value_kind:     hidden_global_offset_z
      - .offset:         160
        .size:           2
        .value_kind:     hidden_grid_dims
      - .offset:         216
        .size:           4
        .value_kind:     hidden_dynamic_lds_size
    .group_segment_fixed_size: 0
    .kernarg_segment_align: 8
    .kernarg_segment_size: 352
    .language:       OpenCL C
    .language_version:
      - 2
      - 0
    .max_flat_workgroup_size: 512
    .name:           _ZN9rocsolver6v33100L18getf2_small_kernelILi12E19rocblas_complex_numIdEiiPS3_EEvT1_T3_lS5_lPS5_llPT2_S5_S5_S7_l
    .private_segment_fixed_size: 0
    .sgpr_count:     30
    .sgpr_spill_count: 0
    .symbol:         _ZN9rocsolver6v33100L18getf2_small_kernelILi12E19rocblas_complex_numIdEiiPS3_EEvT1_T3_lS5_lPS5_llPT2_S5_S5_S7_l.kd
    .uniform_work_group_size: 1
    .uses_dynamic_stack: false
    .vgpr_count:     77
    .vgpr_spill_count: 0
    .wavefront_size: 64
  - .agpr_count:     0
    .args:
      - .offset:         0
        .size:           4
        .value_kind:     by_value
      - .address_space:  global
        .offset:         8
        .size:           8
        .value_kind:     global_buffer
      - .offset:         16
        .size:           8
        .value_kind:     by_value
      - .offset:         24
        .size:           4
        .value_kind:     by_value
      - .offset:         32
        .size:           8
        .value_kind:     by_value
      - .address_space:  global
        .offset:         40
        .size:           8
        .value_kind:     global_buffer
      - .offset:         48
        .size:           4
        .value_kind:     by_value
      - .offset:         52
        .size:           4
        .value_kind:     by_value
      - .offset:         56
        .size:           4
        .value_kind:     hidden_block_count_x
      - .offset:         60
        .size:           4
        .value_kind:     hidden_block_count_y
      - .offset:         64
        .size:           4
        .value_kind:     hidden_block_count_z
      - .offset:         68
        .size:           2
        .value_kind:     hidden_group_size_x
      - .offset:         70
        .size:           2
        .value_kind:     hidden_group_size_y
      - .offset:         72
        .size:           2
        .value_kind:     hidden_group_size_z
      - .offset:         74
        .size:           2
        .value_kind:     hidden_remainder_x
      - .offset:         76
        .size:           2
        .value_kind:     hidden_remainder_y
      - .offset:         78
        .size:           2
        .value_kind:     hidden_remainder_z
      - .offset:         96
        .size:           8
        .value_kind:     hidden_global_offset_x
      - .offset:         104
        .size:           8
        .value_kind:     hidden_global_offset_y
      - .offset:         112
        .size:           8
        .value_kind:     hidden_global_offset_z
      - .offset:         120
        .size:           2
        .value_kind:     hidden_grid_dims
      - .offset:         176
        .size:           4
        .value_kind:     hidden_dynamic_lds_size
    .group_segment_fixed_size: 0
    .kernarg_segment_align: 8
    .kernarg_segment_size: 312
    .language:       OpenCL C
    .language_version:
      - 2
      - 0
    .max_flat_workgroup_size: 512
    .name:           _ZN9rocsolver6v33100L23getf2_npvt_small_kernelILi12E19rocblas_complex_numIdEiiPS3_EEvT1_T3_lS5_lPT2_S5_S5_
    .private_segment_fixed_size: 0
    .sgpr_count:     58
    .sgpr_spill_count: 0
    .symbol:         _ZN9rocsolver6v33100L23getf2_npvt_small_kernelILi12E19rocblas_complex_numIdEiiPS3_EEvT1_T3_lS5_lPT2_S5_S5_.kd
    .uniform_work_group_size: 1
    .uses_dynamic_stack: false
    .vgpr_count:     132
    .vgpr_spill_count: 0
    .wavefront_size: 64
  - .agpr_count:     0
    .args:
      - .offset:         0
        .size:           4
        .value_kind:     by_value
      - .address_space:  global
        .offset:         8
        .size:           8
        .value_kind:     global_buffer
      - .offset:         16
        .size:           8
        .value_kind:     by_value
      - .offset:         24
        .size:           4
        .value_kind:     by_value
      - .offset:         32
        .size:           8
        .value_kind:     by_value
      - .address_space:  global
        .offset:         40
        .size:           8
        .value_kind:     global_buffer
      - .offset:         48
        .size:           8
        .value_kind:     by_value
      - .offset:         56
        .size:           8
        .value_kind:     by_value
      - .address_space:  global
        .offset:         64
        .size:           8
        .value_kind:     global_buffer
      - .offset:         72
        .size:           4
        .value_kind:     by_value
      - .offset:         76
        .size:           4
        .value_kind:     by_value
      - .address_space:  global
        .offset:         80
        .size:           8
        .value_kind:     global_buffer
      - .offset:         88
        .size:           8
        .value_kind:     by_value
      - .offset:         96
        .size:           4
        .value_kind:     hidden_block_count_x
      - .offset:         100
        .size:           4
        .value_kind:     hidden_block_count_y
      - .offset:         104
        .size:           4
        .value_kind:     hidden_block_count_z
      - .offset:         108
        .size:           2
        .value_kind:     hidden_group_size_x
      - .offset:         110
        .size:           2
        .value_kind:     hidden_group_size_y
      - .offset:         112
        .size:           2
        .value_kind:     hidden_group_size_z
      - .offset:         114
        .size:           2
        .value_kind:     hidden_remainder_x
      - .offset:         116
        .size:           2
        .value_kind:     hidden_remainder_y
      - .offset:         118
        .size:           2
        .value_kind:     hidden_remainder_z
      - .offset:         136
        .size:           8
        .value_kind:     hidden_global_offset_x
      - .offset:         144
        .size:           8
        .value_kind:     hidden_global_offset_y
      - .offset:         152
        .size:           8
        .value_kind:     hidden_global_offset_z
      - .offset:         160
        .size:           2
        .value_kind:     hidden_grid_dims
      - .offset:         216
        .size:           4
        .value_kind:     hidden_dynamic_lds_size
    .group_segment_fixed_size: 0
    .kernarg_segment_align: 8
    .kernarg_segment_size: 352
    .language:       OpenCL C
    .language_version:
      - 2
      - 0
    .max_flat_workgroup_size: 512
    .name:           _ZN9rocsolver6v33100L18getf2_small_kernelILi13E19rocblas_complex_numIdEiiPS3_EEvT1_T3_lS5_lPS5_llPT2_S5_S5_S7_l
    .private_segment_fixed_size: 0
    .sgpr_count:     30
    .sgpr_spill_count: 0
    .symbol:         _ZN9rocsolver6v33100L18getf2_small_kernelILi13E19rocblas_complex_numIdEiiPS3_EEvT1_T3_lS5_lPS5_llPT2_S5_S5_S7_l.kd
    .uniform_work_group_size: 1
    .uses_dynamic_stack: false
    .vgpr_count:     81
    .vgpr_spill_count: 0
    .wavefront_size: 64
  - .agpr_count:     0
    .args:
      - .offset:         0
        .size:           4
        .value_kind:     by_value
      - .address_space:  global
        .offset:         8
        .size:           8
        .value_kind:     global_buffer
      - .offset:         16
        .size:           8
        .value_kind:     by_value
      - .offset:         24
        .size:           4
        .value_kind:     by_value
      - .offset:         32
        .size:           8
        .value_kind:     by_value
      - .address_space:  global
        .offset:         40
        .size:           8
        .value_kind:     global_buffer
      - .offset:         48
        .size:           4
        .value_kind:     by_value
      - .offset:         52
        .size:           4
        .value_kind:     by_value
      - .offset:         56
        .size:           4
        .value_kind:     hidden_block_count_x
      - .offset:         60
        .size:           4
        .value_kind:     hidden_block_count_y
      - .offset:         64
        .size:           4
        .value_kind:     hidden_block_count_z
      - .offset:         68
        .size:           2
        .value_kind:     hidden_group_size_x
      - .offset:         70
        .size:           2
        .value_kind:     hidden_group_size_y
      - .offset:         72
        .size:           2
        .value_kind:     hidden_group_size_z
      - .offset:         74
        .size:           2
        .value_kind:     hidden_remainder_x
      - .offset:         76
        .size:           2
        .value_kind:     hidden_remainder_y
      - .offset:         78
        .size:           2
        .value_kind:     hidden_remainder_z
      - .offset:         96
        .size:           8
        .value_kind:     hidden_global_offset_x
      - .offset:         104
        .size:           8
        .value_kind:     hidden_global_offset_y
      - .offset:         112
        .size:           8
        .value_kind:     hidden_global_offset_z
      - .offset:         120
        .size:           2
        .value_kind:     hidden_grid_dims
      - .offset:         176
        .size:           4
        .value_kind:     hidden_dynamic_lds_size
    .group_segment_fixed_size: 0
    .kernarg_segment_align: 8
    .kernarg_segment_size: 312
    .language:       OpenCL C
    .language_version:
      - 2
      - 0
    .max_flat_workgroup_size: 512
    .name:           _ZN9rocsolver6v33100L23getf2_npvt_small_kernelILi13E19rocblas_complex_numIdEiiPS3_EEvT1_T3_lS5_lPT2_S5_S5_
    .private_segment_fixed_size: 0
    .sgpr_count:     62
    .sgpr_spill_count: 0
    .symbol:         _ZN9rocsolver6v33100L23getf2_npvt_small_kernelILi13E19rocblas_complex_numIdEiiPS3_EEvT1_T3_lS5_lPT2_S5_S5_.kd
    .uniform_work_group_size: 1
    .uses_dynamic_stack: false
    .vgpr_count:     142
    .vgpr_spill_count: 0
    .wavefront_size: 64
  - .agpr_count:     0
    .args:
      - .offset:         0
        .size:           4
        .value_kind:     by_value
      - .address_space:  global
        .offset:         8
        .size:           8
        .value_kind:     global_buffer
      - .offset:         16
        .size:           8
        .value_kind:     by_value
      - .offset:         24
        .size:           4
        .value_kind:     by_value
      - .offset:         32
        .size:           8
        .value_kind:     by_value
      - .address_space:  global
        .offset:         40
        .size:           8
        .value_kind:     global_buffer
      - .offset:         48
        .size:           8
        .value_kind:     by_value
      - .offset:         56
        .size:           8
        .value_kind:     by_value
      - .address_space:  global
        .offset:         64
        .size:           8
        .value_kind:     global_buffer
      - .offset:         72
        .size:           4
        .value_kind:     by_value
      - .offset:         76
        .size:           4
        .value_kind:     by_value
      - .address_space:  global
        .offset:         80
        .size:           8
        .value_kind:     global_buffer
      - .offset:         88
        .size:           8
        .value_kind:     by_value
      - .offset:         96
        .size:           4
        .value_kind:     hidden_block_count_x
      - .offset:         100
        .size:           4
        .value_kind:     hidden_block_count_y
      - .offset:         104
        .size:           4
        .value_kind:     hidden_block_count_z
      - .offset:         108
        .size:           2
        .value_kind:     hidden_group_size_x
      - .offset:         110
        .size:           2
        .value_kind:     hidden_group_size_y
      - .offset:         112
        .size:           2
        .value_kind:     hidden_group_size_z
      - .offset:         114
        .size:           2
        .value_kind:     hidden_remainder_x
      - .offset:         116
        .size:           2
        .value_kind:     hidden_remainder_y
      - .offset:         118
        .size:           2
        .value_kind:     hidden_remainder_z
      - .offset:         136
        .size:           8
        .value_kind:     hidden_global_offset_x
      - .offset:         144
        .size:           8
        .value_kind:     hidden_global_offset_y
      - .offset:         152
        .size:           8
        .value_kind:     hidden_global_offset_z
      - .offset:         160
        .size:           2
        .value_kind:     hidden_grid_dims
      - .offset:         216
        .size:           4
        .value_kind:     hidden_dynamic_lds_size
    .group_segment_fixed_size: 0
    .kernarg_segment_align: 8
    .kernarg_segment_size: 352
    .language:       OpenCL C
    .language_version:
      - 2
      - 0
    .max_flat_workgroup_size: 512
    .name:           _ZN9rocsolver6v33100L18getf2_small_kernelILi14E19rocblas_complex_numIdEiiPS3_EEvT1_T3_lS5_lPS5_llPT2_S5_S5_S7_l
    .private_segment_fixed_size: 0
    .sgpr_count:     30
    .sgpr_spill_count: 0
    .symbol:         _ZN9rocsolver6v33100L18getf2_small_kernelILi14E19rocblas_complex_numIdEiiPS3_EEvT1_T3_lS5_lPS5_llPT2_S5_S5_S7_l.kd
    .uniform_work_group_size: 1
    .uses_dynamic_stack: false
    .vgpr_count:     85
    .vgpr_spill_count: 0
    .wavefront_size: 64
  - .agpr_count:     0
    .args:
      - .offset:         0
        .size:           4
        .value_kind:     by_value
      - .address_space:  global
        .offset:         8
        .size:           8
        .value_kind:     global_buffer
      - .offset:         16
        .size:           8
        .value_kind:     by_value
      - .offset:         24
        .size:           4
        .value_kind:     by_value
      - .offset:         32
        .size:           8
        .value_kind:     by_value
      - .address_space:  global
        .offset:         40
        .size:           8
        .value_kind:     global_buffer
      - .offset:         48
        .size:           4
        .value_kind:     by_value
      - .offset:         52
        .size:           4
        .value_kind:     by_value
      - .offset:         56
        .size:           4
        .value_kind:     hidden_block_count_x
      - .offset:         60
        .size:           4
        .value_kind:     hidden_block_count_y
      - .offset:         64
        .size:           4
        .value_kind:     hidden_block_count_z
      - .offset:         68
        .size:           2
        .value_kind:     hidden_group_size_x
      - .offset:         70
        .size:           2
        .value_kind:     hidden_group_size_y
      - .offset:         72
        .size:           2
        .value_kind:     hidden_group_size_z
      - .offset:         74
        .size:           2
        .value_kind:     hidden_remainder_x
      - .offset:         76
        .size:           2
        .value_kind:     hidden_remainder_y
      - .offset:         78
        .size:           2
        .value_kind:     hidden_remainder_z
      - .offset:         96
        .size:           8
        .value_kind:     hidden_global_offset_x
      - .offset:         104
        .size:           8
        .value_kind:     hidden_global_offset_y
      - .offset:         112
        .size:           8
        .value_kind:     hidden_global_offset_z
      - .offset:         120
        .size:           2
        .value_kind:     hidden_grid_dims
      - .offset:         176
        .size:           4
        .value_kind:     hidden_dynamic_lds_size
    .group_segment_fixed_size: 0
    .kernarg_segment_align: 8
    .kernarg_segment_size: 312
    .language:       OpenCL C
    .language_version:
      - 2
      - 0
    .max_flat_workgroup_size: 512
    .name:           _ZN9rocsolver6v33100L23getf2_npvt_small_kernelILi14E19rocblas_complex_numIdEiiPS3_EEvT1_T3_lS5_lPT2_S5_S5_
    .private_segment_fixed_size: 0
    .sgpr_count:     22
    .sgpr_spill_count: 0
    .symbol:         _ZN9rocsolver6v33100L23getf2_npvt_small_kernelILi14E19rocblas_complex_numIdEiiPS3_EEvT1_T3_lS5_lPT2_S5_S5_.kd
    .uniform_work_group_size: 1
    .uses_dynamic_stack: false
    .vgpr_count:     152
    .vgpr_spill_count: 0
    .wavefront_size: 64
  - .agpr_count:     0
    .args:
      - .offset:         0
        .size:           4
        .value_kind:     by_value
      - .address_space:  global
        .offset:         8
        .size:           8
        .value_kind:     global_buffer
      - .offset:         16
        .size:           8
        .value_kind:     by_value
      - .offset:         24
        .size:           4
        .value_kind:     by_value
      - .offset:         32
        .size:           8
        .value_kind:     by_value
      - .address_space:  global
        .offset:         40
        .size:           8
        .value_kind:     global_buffer
      - .offset:         48
        .size:           8
        .value_kind:     by_value
      - .offset:         56
        .size:           8
        .value_kind:     by_value
      - .address_space:  global
        .offset:         64
        .size:           8
        .value_kind:     global_buffer
      - .offset:         72
        .size:           4
        .value_kind:     by_value
      - .offset:         76
        .size:           4
        .value_kind:     by_value
      - .address_space:  global
        .offset:         80
        .size:           8
        .value_kind:     global_buffer
      - .offset:         88
        .size:           8
        .value_kind:     by_value
      - .offset:         96
        .size:           4
        .value_kind:     hidden_block_count_x
      - .offset:         100
        .size:           4
        .value_kind:     hidden_block_count_y
      - .offset:         104
        .size:           4
        .value_kind:     hidden_block_count_z
      - .offset:         108
        .size:           2
        .value_kind:     hidden_group_size_x
      - .offset:         110
        .size:           2
        .value_kind:     hidden_group_size_y
      - .offset:         112
        .size:           2
        .value_kind:     hidden_group_size_z
      - .offset:         114
        .size:           2
        .value_kind:     hidden_remainder_x
      - .offset:         116
        .size:           2
        .value_kind:     hidden_remainder_y
      - .offset:         118
        .size:           2
        .value_kind:     hidden_remainder_z
      - .offset:         136
        .size:           8
        .value_kind:     hidden_global_offset_x
      - .offset:         144
        .size:           8
        .value_kind:     hidden_global_offset_y
      - .offset:         152
        .size:           8
        .value_kind:     hidden_global_offset_z
      - .offset:         160
        .size:           2
        .value_kind:     hidden_grid_dims
      - .offset:         216
        .size:           4
        .value_kind:     hidden_dynamic_lds_size
    .group_segment_fixed_size: 0
    .kernarg_segment_align: 8
    .kernarg_segment_size: 352
    .language:       OpenCL C
    .language_version:
      - 2
      - 0
    .max_flat_workgroup_size: 512
    .name:           _ZN9rocsolver6v33100L18getf2_small_kernelILi15E19rocblas_complex_numIdEiiPS3_EEvT1_T3_lS5_lPS5_llPT2_S5_S5_S7_l
    .private_segment_fixed_size: 0
    .sgpr_count:     30
    .sgpr_spill_count: 0
    .symbol:         _ZN9rocsolver6v33100L18getf2_small_kernelILi15E19rocblas_complex_numIdEiiPS3_EEvT1_T3_lS5_lPS5_llPT2_S5_S5_S7_l.kd
    .uniform_work_group_size: 1
    .uses_dynamic_stack: false
    .vgpr_count:     89
    .vgpr_spill_count: 0
    .wavefront_size: 64
  - .agpr_count:     0
    .args:
      - .offset:         0
        .size:           4
        .value_kind:     by_value
      - .address_space:  global
        .offset:         8
        .size:           8
        .value_kind:     global_buffer
      - .offset:         16
        .size:           8
        .value_kind:     by_value
      - .offset:         24
        .size:           4
        .value_kind:     by_value
      - .offset:         32
        .size:           8
        .value_kind:     by_value
      - .address_space:  global
        .offset:         40
        .size:           8
        .value_kind:     global_buffer
      - .offset:         48
        .size:           4
        .value_kind:     by_value
      - .offset:         52
        .size:           4
        .value_kind:     by_value
      - .offset:         56
        .size:           4
        .value_kind:     hidden_block_count_x
      - .offset:         60
        .size:           4
        .value_kind:     hidden_block_count_y
      - .offset:         64
        .size:           4
        .value_kind:     hidden_block_count_z
      - .offset:         68
        .size:           2
        .value_kind:     hidden_group_size_x
      - .offset:         70
        .size:           2
        .value_kind:     hidden_group_size_y
      - .offset:         72
        .size:           2
        .value_kind:     hidden_group_size_z
      - .offset:         74
        .size:           2
        .value_kind:     hidden_remainder_x
      - .offset:         76
        .size:           2
        .value_kind:     hidden_remainder_y
      - .offset:         78
        .size:           2
        .value_kind:     hidden_remainder_z
      - .offset:         96
        .size:           8
        .value_kind:     hidden_global_offset_x
      - .offset:         104
        .size:           8
        .value_kind:     hidden_global_offset_y
      - .offset:         112
        .size:           8
        .value_kind:     hidden_global_offset_z
      - .offset:         120
        .size:           2
        .value_kind:     hidden_grid_dims
      - .offset:         176
        .size:           4
        .value_kind:     hidden_dynamic_lds_size
    .group_segment_fixed_size: 0
    .kernarg_segment_align: 8
    .kernarg_segment_size: 312
    .language:       OpenCL C
    .language_version:
      - 2
      - 0
    .max_flat_workgroup_size: 512
    .name:           _ZN9rocsolver6v33100L23getf2_npvt_small_kernelILi15E19rocblas_complex_numIdEiiPS3_EEvT1_T3_lS5_lPT2_S5_S5_
    .private_segment_fixed_size: 0
    .sgpr_count:     22
    .sgpr_spill_count: 0
    .symbol:         _ZN9rocsolver6v33100L23getf2_npvt_small_kernelILi15E19rocblas_complex_numIdEiiPS3_EEvT1_T3_lS5_lPT2_S5_S5_.kd
    .uniform_work_group_size: 1
    .uses_dynamic_stack: false
    .vgpr_count:     162
    .vgpr_spill_count: 0
    .wavefront_size: 64
  - .agpr_count:     0
    .args:
      - .offset:         0
        .size:           4
        .value_kind:     by_value
      - .address_space:  global
        .offset:         8
        .size:           8
        .value_kind:     global_buffer
      - .offset:         16
        .size:           8
        .value_kind:     by_value
      - .offset:         24
        .size:           4
        .value_kind:     by_value
      - .offset:         32
        .size:           8
        .value_kind:     by_value
      - .address_space:  global
        .offset:         40
        .size:           8
        .value_kind:     global_buffer
      - .offset:         48
        .size:           8
        .value_kind:     by_value
      - .offset:         56
        .size:           8
        .value_kind:     by_value
      - .address_space:  global
        .offset:         64
        .size:           8
        .value_kind:     global_buffer
      - .offset:         72
        .size:           4
        .value_kind:     by_value
      - .offset:         76
        .size:           4
        .value_kind:     by_value
      - .address_space:  global
        .offset:         80
        .size:           8
        .value_kind:     global_buffer
      - .offset:         88
        .size:           8
        .value_kind:     by_value
      - .offset:         96
        .size:           4
        .value_kind:     hidden_block_count_x
      - .offset:         100
        .size:           4
        .value_kind:     hidden_block_count_y
      - .offset:         104
        .size:           4
        .value_kind:     hidden_block_count_z
      - .offset:         108
        .size:           2
        .value_kind:     hidden_group_size_x
      - .offset:         110
        .size:           2
        .value_kind:     hidden_group_size_y
      - .offset:         112
        .size:           2
        .value_kind:     hidden_group_size_z
      - .offset:         114
        .size:           2
        .value_kind:     hidden_remainder_x
      - .offset:         116
        .size:           2
        .value_kind:     hidden_remainder_y
      - .offset:         118
        .size:           2
        .value_kind:     hidden_remainder_z
      - .offset:         136
        .size:           8
        .value_kind:     hidden_global_offset_x
      - .offset:         144
        .size:           8
        .value_kind:     hidden_global_offset_y
      - .offset:         152
        .size:           8
        .value_kind:     hidden_global_offset_z
      - .offset:         160
        .size:           2
        .value_kind:     hidden_grid_dims
      - .offset:         216
        .size:           4
        .value_kind:     hidden_dynamic_lds_size
    .group_segment_fixed_size: 0
    .kernarg_segment_align: 8
    .kernarg_segment_size: 352
    .language:       OpenCL C
    .language_version:
      - 2
      - 0
    .max_flat_workgroup_size: 512
    .name:           _ZN9rocsolver6v33100L18getf2_small_kernelILi16E19rocblas_complex_numIdEiiPS3_EEvT1_T3_lS5_lPS5_llPT2_S5_S5_S7_l
    .private_segment_fixed_size: 0
    .sgpr_count:     30
    .sgpr_spill_count: 0
    .symbol:         _ZN9rocsolver6v33100L18getf2_small_kernelILi16E19rocblas_complex_numIdEiiPS3_EEvT1_T3_lS5_lPS5_llPT2_S5_S5_S7_l.kd
    .uniform_work_group_size: 1
    .uses_dynamic_stack: false
    .vgpr_count:     93
    .vgpr_spill_count: 0
    .wavefront_size: 64
  - .agpr_count:     0
    .args:
      - .offset:         0
        .size:           4
        .value_kind:     by_value
      - .address_space:  global
        .offset:         8
        .size:           8
        .value_kind:     global_buffer
      - .offset:         16
        .size:           8
        .value_kind:     by_value
      - .offset:         24
        .size:           4
        .value_kind:     by_value
      - .offset:         32
        .size:           8
        .value_kind:     by_value
      - .address_space:  global
        .offset:         40
        .size:           8
        .value_kind:     global_buffer
      - .offset:         48
        .size:           4
        .value_kind:     by_value
      - .offset:         52
        .size:           4
        .value_kind:     by_value
      - .offset:         56
        .size:           4
        .value_kind:     hidden_block_count_x
      - .offset:         60
        .size:           4
        .value_kind:     hidden_block_count_y
      - .offset:         64
        .size:           4
        .value_kind:     hidden_block_count_z
      - .offset:         68
        .size:           2
        .value_kind:     hidden_group_size_x
      - .offset:         70
        .size:           2
        .value_kind:     hidden_group_size_y
      - .offset:         72
        .size:           2
        .value_kind:     hidden_group_size_z
      - .offset:         74
        .size:           2
        .value_kind:     hidden_remainder_x
      - .offset:         76
        .size:           2
        .value_kind:     hidden_remainder_y
      - .offset:         78
        .size:           2
        .value_kind:     hidden_remainder_z
      - .offset:         96
        .size:           8
        .value_kind:     hidden_global_offset_x
      - .offset:         104
        .size:           8
        .value_kind:     hidden_global_offset_y
      - .offset:         112
        .size:           8
        .value_kind:     hidden_global_offset_z
      - .offset:         120
        .size:           2
        .value_kind:     hidden_grid_dims
      - .offset:         176
        .size:           4
        .value_kind:     hidden_dynamic_lds_size
    .group_segment_fixed_size: 0
    .kernarg_segment_align: 8
    .kernarg_segment_size: 312
    .language:       OpenCL C
    .language_version:
      - 2
      - 0
    .max_flat_workgroup_size: 512
    .name:           _ZN9rocsolver6v33100L23getf2_npvt_small_kernelILi16E19rocblas_complex_numIdEiiPS3_EEvT1_T3_lS5_lPT2_S5_S5_
    .private_segment_fixed_size: 0
    .sgpr_count:     22
    .sgpr_spill_count: 0
    .symbol:         _ZN9rocsolver6v33100L23getf2_npvt_small_kernelILi16E19rocblas_complex_numIdEiiPS3_EEvT1_T3_lS5_lPT2_S5_S5_.kd
    .uniform_work_group_size: 1
    .uses_dynamic_stack: false
    .vgpr_count:     172
    .vgpr_spill_count: 0
    .wavefront_size: 64
  - .agpr_count:     0
    .args:
      - .offset:         0
        .size:           4
        .value_kind:     by_value
      - .address_space:  global
        .offset:         8
        .size:           8
        .value_kind:     global_buffer
      - .offset:         16
        .size:           8
        .value_kind:     by_value
      - .offset:         24
        .size:           4
        .value_kind:     by_value
      - .offset:         32
        .size:           8
        .value_kind:     by_value
      - .address_space:  global
        .offset:         40
        .size:           8
        .value_kind:     global_buffer
      - .offset:         48
        .size:           8
        .value_kind:     by_value
      - .offset:         56
        .size:           8
        .value_kind:     by_value
      - .address_space:  global
        .offset:         64
        .size:           8
        .value_kind:     global_buffer
      - .offset:         72
        .size:           4
        .value_kind:     by_value
      - .offset:         76
        .size:           4
        .value_kind:     by_value
      - .address_space:  global
        .offset:         80
        .size:           8
        .value_kind:     global_buffer
      - .offset:         88
        .size:           8
        .value_kind:     by_value
      - .offset:         96
        .size:           4
        .value_kind:     hidden_block_count_x
      - .offset:         100
        .size:           4
        .value_kind:     hidden_block_count_y
      - .offset:         104
        .size:           4
        .value_kind:     hidden_block_count_z
      - .offset:         108
        .size:           2
        .value_kind:     hidden_group_size_x
      - .offset:         110
        .size:           2
        .value_kind:     hidden_group_size_y
      - .offset:         112
        .size:           2
        .value_kind:     hidden_group_size_z
      - .offset:         114
        .size:           2
        .value_kind:     hidden_remainder_x
      - .offset:         116
        .size:           2
        .value_kind:     hidden_remainder_y
      - .offset:         118
        .size:           2
        .value_kind:     hidden_remainder_z
      - .offset:         136
        .size:           8
        .value_kind:     hidden_global_offset_x
      - .offset:         144
        .size:           8
        .value_kind:     hidden_global_offset_y
      - .offset:         152
        .size:           8
        .value_kind:     hidden_global_offset_z
      - .offset:         160
        .size:           2
        .value_kind:     hidden_grid_dims
      - .offset:         216
        .size:           4
        .value_kind:     hidden_dynamic_lds_size
    .group_segment_fixed_size: 0
    .kernarg_segment_align: 8
    .kernarg_segment_size: 352
    .language:       OpenCL C
    .language_version:
      - 2
      - 0
    .max_flat_workgroup_size: 512
    .name:           _ZN9rocsolver6v33100L18getf2_small_kernelILi17E19rocblas_complex_numIdEiiPS3_EEvT1_T3_lS5_lPS5_llPT2_S5_S5_S7_l
    .private_segment_fixed_size: 0
    .sgpr_count:     30
    .sgpr_spill_count: 0
    .symbol:         _ZN9rocsolver6v33100L18getf2_small_kernelILi17E19rocblas_complex_numIdEiiPS3_EEvT1_T3_lS5_lPS5_llPT2_S5_S5_S7_l.kd
    .uniform_work_group_size: 1
    .uses_dynamic_stack: false
    .vgpr_count:     98
    .vgpr_spill_count: 0
    .wavefront_size: 64
  - .agpr_count:     0
    .args:
      - .offset:         0
        .size:           4
        .value_kind:     by_value
      - .address_space:  global
        .offset:         8
        .size:           8
        .value_kind:     global_buffer
      - .offset:         16
        .size:           8
        .value_kind:     by_value
      - .offset:         24
        .size:           4
        .value_kind:     by_value
      - .offset:         32
        .size:           8
        .value_kind:     by_value
      - .address_space:  global
        .offset:         40
        .size:           8
        .value_kind:     global_buffer
      - .offset:         48
        .size:           4
        .value_kind:     by_value
      - .offset:         52
        .size:           4
        .value_kind:     by_value
      - .offset:         56
        .size:           4
        .value_kind:     hidden_block_count_x
      - .offset:         60
        .size:           4
        .value_kind:     hidden_block_count_y
      - .offset:         64
        .size:           4
        .value_kind:     hidden_block_count_z
      - .offset:         68
        .size:           2
        .value_kind:     hidden_group_size_x
      - .offset:         70
        .size:           2
        .value_kind:     hidden_group_size_y
      - .offset:         72
        .size:           2
        .value_kind:     hidden_group_size_z
      - .offset:         74
        .size:           2
        .value_kind:     hidden_remainder_x
      - .offset:         76
        .size:           2
        .value_kind:     hidden_remainder_y
      - .offset:         78
        .size:           2
        .value_kind:     hidden_remainder_z
      - .offset:         96
        .size:           8
        .value_kind:     hidden_global_offset_x
      - .offset:         104
        .size:           8
        .value_kind:     hidden_global_offset_y
      - .offset:         112
        .size:           8
        .value_kind:     hidden_global_offset_z
      - .offset:         120
        .size:           2
        .value_kind:     hidden_grid_dims
      - .offset:         176
        .size:           4
        .value_kind:     hidden_dynamic_lds_size
    .group_segment_fixed_size: 0
    .kernarg_segment_align: 8
    .kernarg_segment_size: 312
    .language:       OpenCL C
    .language_version:
      - 2
      - 0
    .max_flat_workgroup_size: 512
    .name:           _ZN9rocsolver6v33100L23getf2_npvt_small_kernelILi17E19rocblas_complex_numIdEiiPS3_EEvT1_T3_lS5_lPT2_S5_S5_
    .private_segment_fixed_size: 0
    .sgpr_count:     22
    .sgpr_spill_count: 0
    .symbol:         _ZN9rocsolver6v33100L23getf2_npvt_small_kernelILi17E19rocblas_complex_numIdEiiPS3_EEvT1_T3_lS5_lPT2_S5_S5_.kd
    .uniform_work_group_size: 1
    .uses_dynamic_stack: false
    .vgpr_count:     182
    .vgpr_spill_count: 0
    .wavefront_size: 64
  - .agpr_count:     0
    .args:
      - .offset:         0
        .size:           4
        .value_kind:     by_value
      - .address_space:  global
        .offset:         8
        .size:           8
        .value_kind:     global_buffer
      - .offset:         16
        .size:           8
        .value_kind:     by_value
      - .offset:         24
        .size:           4
        .value_kind:     by_value
      - .offset:         32
        .size:           8
        .value_kind:     by_value
      - .address_space:  global
        .offset:         40
        .size:           8
        .value_kind:     global_buffer
      - .offset:         48
        .size:           8
        .value_kind:     by_value
      - .offset:         56
        .size:           8
        .value_kind:     by_value
      - .address_space:  global
        .offset:         64
        .size:           8
        .value_kind:     global_buffer
      - .offset:         72
        .size:           4
        .value_kind:     by_value
      - .offset:         76
        .size:           4
        .value_kind:     by_value
      - .address_space:  global
        .offset:         80
        .size:           8
        .value_kind:     global_buffer
      - .offset:         88
        .size:           8
        .value_kind:     by_value
      - .offset:         96
        .size:           4
        .value_kind:     hidden_block_count_x
      - .offset:         100
        .size:           4
        .value_kind:     hidden_block_count_y
      - .offset:         104
        .size:           4
        .value_kind:     hidden_block_count_z
      - .offset:         108
        .size:           2
        .value_kind:     hidden_group_size_x
      - .offset:         110
        .size:           2
        .value_kind:     hidden_group_size_y
      - .offset:         112
        .size:           2
        .value_kind:     hidden_group_size_z
      - .offset:         114
        .size:           2
        .value_kind:     hidden_remainder_x
      - .offset:         116
        .size:           2
        .value_kind:     hidden_remainder_y
      - .offset:         118
        .size:           2
        .value_kind:     hidden_remainder_z
      - .offset:         136
        .size:           8
        .value_kind:     hidden_global_offset_x
      - .offset:         144
        .size:           8
        .value_kind:     hidden_global_offset_y
      - .offset:         152
        .size:           8
        .value_kind:     hidden_global_offset_z
      - .offset:         160
        .size:           2
        .value_kind:     hidden_grid_dims
      - .offset:         216
        .size:           4
        .value_kind:     hidden_dynamic_lds_size
    .group_segment_fixed_size: 0
    .kernarg_segment_align: 8
    .kernarg_segment_size: 352
    .language:       OpenCL C
    .language_version:
      - 2
      - 0
    .max_flat_workgroup_size: 512
    .name:           _ZN9rocsolver6v33100L18getf2_small_kernelILi18E19rocblas_complex_numIdEiiPS3_EEvT1_T3_lS5_lPS5_llPT2_S5_S5_S7_l
    .private_segment_fixed_size: 0
    .sgpr_count:     30
    .sgpr_spill_count: 0
    .symbol:         _ZN9rocsolver6v33100L18getf2_small_kernelILi18E19rocblas_complex_numIdEiiPS3_EEvT1_T3_lS5_lPS5_llPT2_S5_S5_S7_l.kd
    .uniform_work_group_size: 1
    .uses_dynamic_stack: false
    .vgpr_count:     108
    .vgpr_spill_count: 0
    .wavefront_size: 64
  - .agpr_count:     0
    .args:
      - .offset:         0
        .size:           4
        .value_kind:     by_value
      - .address_space:  global
        .offset:         8
        .size:           8
        .value_kind:     global_buffer
      - .offset:         16
        .size:           8
        .value_kind:     by_value
      - .offset:         24
        .size:           4
        .value_kind:     by_value
      - .offset:         32
        .size:           8
        .value_kind:     by_value
      - .address_space:  global
        .offset:         40
        .size:           8
        .value_kind:     global_buffer
      - .offset:         48
        .size:           4
        .value_kind:     by_value
      - .offset:         52
        .size:           4
        .value_kind:     by_value
      - .offset:         56
        .size:           4
        .value_kind:     hidden_block_count_x
      - .offset:         60
        .size:           4
        .value_kind:     hidden_block_count_y
      - .offset:         64
        .size:           4
        .value_kind:     hidden_block_count_z
      - .offset:         68
        .size:           2
        .value_kind:     hidden_group_size_x
      - .offset:         70
        .size:           2
        .value_kind:     hidden_group_size_y
      - .offset:         72
        .size:           2
        .value_kind:     hidden_group_size_z
      - .offset:         74
        .size:           2
        .value_kind:     hidden_remainder_x
      - .offset:         76
        .size:           2
        .value_kind:     hidden_remainder_y
      - .offset:         78
        .size:           2
        .value_kind:     hidden_remainder_z
      - .offset:         96
        .size:           8
        .value_kind:     hidden_global_offset_x
      - .offset:         104
        .size:           8
        .value_kind:     hidden_global_offset_y
      - .offset:         112
        .size:           8
        .value_kind:     hidden_global_offset_z
      - .offset:         120
        .size:           2
        .value_kind:     hidden_grid_dims
      - .offset:         176
        .size:           4
        .value_kind:     hidden_dynamic_lds_size
    .group_segment_fixed_size: 0
    .kernarg_segment_align: 8
    .kernarg_segment_size: 312
    .language:       OpenCL C
    .language_version:
      - 2
      - 0
    .max_flat_workgroup_size: 512
    .name:           _ZN9rocsolver6v33100L23getf2_npvt_small_kernelILi18E19rocblas_complex_numIdEiiPS3_EEvT1_T3_lS5_lPT2_S5_S5_
    .private_segment_fixed_size: 0
    .sgpr_count:     22
    .sgpr_spill_count: 0
    .symbol:         _ZN9rocsolver6v33100L23getf2_npvt_small_kernelILi18E19rocblas_complex_numIdEiiPS3_EEvT1_T3_lS5_lPT2_S5_S5_.kd
    .uniform_work_group_size: 1
    .uses_dynamic_stack: false
    .vgpr_count:     192
    .vgpr_spill_count: 0
    .wavefront_size: 64
  - .agpr_count:     0
    .args:
      - .offset:         0
        .size:           4
        .value_kind:     by_value
      - .address_space:  global
        .offset:         8
        .size:           8
        .value_kind:     global_buffer
      - .offset:         16
        .size:           8
        .value_kind:     by_value
      - .offset:         24
        .size:           4
        .value_kind:     by_value
      - .offset:         32
        .size:           8
        .value_kind:     by_value
      - .address_space:  global
        .offset:         40
        .size:           8
        .value_kind:     global_buffer
      - .offset:         48
        .size:           8
        .value_kind:     by_value
      - .offset:         56
        .size:           8
        .value_kind:     by_value
      - .address_space:  global
        .offset:         64
        .size:           8
        .value_kind:     global_buffer
      - .offset:         72
        .size:           4
        .value_kind:     by_value
      - .offset:         76
        .size:           4
        .value_kind:     by_value
      - .address_space:  global
        .offset:         80
        .size:           8
        .value_kind:     global_buffer
      - .offset:         88
        .size:           8
        .value_kind:     by_value
      - .offset:         96
        .size:           4
        .value_kind:     hidden_block_count_x
      - .offset:         100
        .size:           4
        .value_kind:     hidden_block_count_y
      - .offset:         104
        .size:           4
        .value_kind:     hidden_block_count_z
      - .offset:         108
        .size:           2
        .value_kind:     hidden_group_size_x
      - .offset:         110
        .size:           2
        .value_kind:     hidden_group_size_y
      - .offset:         112
        .size:           2
        .value_kind:     hidden_group_size_z
      - .offset:         114
        .size:           2
        .value_kind:     hidden_remainder_x
      - .offset:         116
        .size:           2
        .value_kind:     hidden_remainder_y
      - .offset:         118
        .size:           2
        .value_kind:     hidden_remainder_z
      - .offset:         136
        .size:           8
        .value_kind:     hidden_global_offset_x
      - .offset:         144
        .size:           8
        .value_kind:     hidden_global_offset_y
      - .offset:         152
        .size:           8
        .value_kind:     hidden_global_offset_z
      - .offset:         160
        .size:           2
        .value_kind:     hidden_grid_dims
      - .offset:         216
        .size:           4
        .value_kind:     hidden_dynamic_lds_size
    .group_segment_fixed_size: 0
    .kernarg_segment_align: 8
    .kernarg_segment_size: 352
    .language:       OpenCL C
    .language_version:
      - 2
      - 0
    .max_flat_workgroup_size: 512
    .name:           _ZN9rocsolver6v33100L18getf2_small_kernelILi19E19rocblas_complex_numIdEiiPS3_EEvT1_T3_lS5_lPS5_llPT2_S5_S5_S7_l
    .private_segment_fixed_size: 0
    .sgpr_count:     30
    .sgpr_spill_count: 0
    .symbol:         _ZN9rocsolver6v33100L18getf2_small_kernelILi19E19rocblas_complex_numIdEiiPS3_EEvT1_T3_lS5_lPS5_llPT2_S5_S5_S7_l.kd
    .uniform_work_group_size: 1
    .uses_dynamic_stack: false
    .vgpr_count:     114
    .vgpr_spill_count: 0
    .wavefront_size: 64
  - .agpr_count:     0
    .args:
      - .offset:         0
        .size:           4
        .value_kind:     by_value
      - .address_space:  global
        .offset:         8
        .size:           8
        .value_kind:     global_buffer
      - .offset:         16
        .size:           8
        .value_kind:     by_value
      - .offset:         24
        .size:           4
        .value_kind:     by_value
      - .offset:         32
        .size:           8
        .value_kind:     by_value
      - .address_space:  global
        .offset:         40
        .size:           8
        .value_kind:     global_buffer
      - .offset:         48
        .size:           4
        .value_kind:     by_value
      - .offset:         52
        .size:           4
        .value_kind:     by_value
      - .offset:         56
        .size:           4
        .value_kind:     hidden_block_count_x
      - .offset:         60
        .size:           4
        .value_kind:     hidden_block_count_y
      - .offset:         64
        .size:           4
        .value_kind:     hidden_block_count_z
      - .offset:         68
        .size:           2
        .value_kind:     hidden_group_size_x
      - .offset:         70
        .size:           2
        .value_kind:     hidden_group_size_y
      - .offset:         72
        .size:           2
        .value_kind:     hidden_group_size_z
      - .offset:         74
        .size:           2
        .value_kind:     hidden_remainder_x
      - .offset:         76
        .size:           2
        .value_kind:     hidden_remainder_y
      - .offset:         78
        .size:           2
        .value_kind:     hidden_remainder_z
      - .offset:         96
        .size:           8
        .value_kind:     hidden_global_offset_x
      - .offset:         104
        .size:           8
        .value_kind:     hidden_global_offset_y
      - .offset:         112
        .size:           8
        .value_kind:     hidden_global_offset_z
      - .offset:         120
        .size:           2
        .value_kind:     hidden_grid_dims
      - .offset:         176
        .size:           4
        .value_kind:     hidden_dynamic_lds_size
    .group_segment_fixed_size: 0
    .kernarg_segment_align: 8
    .kernarg_segment_size: 312
    .language:       OpenCL C
    .language_version:
      - 2
      - 0
    .max_flat_workgroup_size: 512
    .name:           _ZN9rocsolver6v33100L23getf2_npvt_small_kernelILi19E19rocblas_complex_numIdEiiPS3_EEvT1_T3_lS5_lPT2_S5_S5_
    .private_segment_fixed_size: 0
    .sgpr_count:     22
    .sgpr_spill_count: 0
    .symbol:         _ZN9rocsolver6v33100L23getf2_npvt_small_kernelILi19E19rocblas_complex_numIdEiiPS3_EEvT1_T3_lS5_lPT2_S5_S5_.kd
    .uniform_work_group_size: 1
    .uses_dynamic_stack: false
    .vgpr_count:     202
    .vgpr_spill_count: 0
    .wavefront_size: 64
  - .agpr_count:     0
    .args:
      - .offset:         0
        .size:           4
        .value_kind:     by_value
      - .address_space:  global
        .offset:         8
        .size:           8
        .value_kind:     global_buffer
      - .offset:         16
        .size:           8
        .value_kind:     by_value
      - .offset:         24
        .size:           4
        .value_kind:     by_value
      - .offset:         32
        .size:           8
        .value_kind:     by_value
      - .address_space:  global
        .offset:         40
        .size:           8
        .value_kind:     global_buffer
      - .offset:         48
        .size:           8
        .value_kind:     by_value
      - .offset:         56
        .size:           8
        .value_kind:     by_value
      - .address_space:  global
        .offset:         64
        .size:           8
        .value_kind:     global_buffer
      - .offset:         72
        .size:           4
        .value_kind:     by_value
      - .offset:         76
        .size:           4
        .value_kind:     by_value
      - .address_space:  global
        .offset:         80
        .size:           8
        .value_kind:     global_buffer
      - .offset:         88
        .size:           8
        .value_kind:     by_value
      - .offset:         96
        .size:           4
        .value_kind:     hidden_block_count_x
      - .offset:         100
        .size:           4
        .value_kind:     hidden_block_count_y
      - .offset:         104
        .size:           4
        .value_kind:     hidden_block_count_z
      - .offset:         108
        .size:           2
        .value_kind:     hidden_group_size_x
      - .offset:         110
        .size:           2
        .value_kind:     hidden_group_size_y
      - .offset:         112
        .size:           2
        .value_kind:     hidden_group_size_z
      - .offset:         114
        .size:           2
        .value_kind:     hidden_remainder_x
      - .offset:         116
        .size:           2
        .value_kind:     hidden_remainder_y
      - .offset:         118
        .size:           2
        .value_kind:     hidden_remainder_z
      - .offset:         136
        .size:           8
        .value_kind:     hidden_global_offset_x
      - .offset:         144
        .size:           8
        .value_kind:     hidden_global_offset_y
      - .offset:         152
        .size:           8
        .value_kind:     hidden_global_offset_z
      - .offset:         160
        .size:           2
        .value_kind:     hidden_grid_dims
      - .offset:         216
        .size:           4
        .value_kind:     hidden_dynamic_lds_size
    .group_segment_fixed_size: 0
    .kernarg_segment_align: 8
    .kernarg_segment_size: 352
    .language:       OpenCL C
    .language_version:
      - 2
      - 0
    .max_flat_workgroup_size: 512
    .name:           _ZN9rocsolver6v33100L18getf2_small_kernelILi20E19rocblas_complex_numIdEiiPS3_EEvT1_T3_lS5_lPS5_llPT2_S5_S5_S7_l
    .private_segment_fixed_size: 0
    .sgpr_count:     30
    .sgpr_spill_count: 0
    .symbol:         _ZN9rocsolver6v33100L18getf2_small_kernelILi20E19rocblas_complex_numIdEiiPS3_EEvT1_T3_lS5_lPS5_llPT2_S5_S5_S7_l.kd
    .uniform_work_group_size: 1
    .uses_dynamic_stack: false
    .vgpr_count:     120
    .vgpr_spill_count: 0
    .wavefront_size: 64
  - .agpr_count:     0
    .args:
      - .offset:         0
        .size:           4
        .value_kind:     by_value
      - .address_space:  global
        .offset:         8
        .size:           8
        .value_kind:     global_buffer
      - .offset:         16
        .size:           8
        .value_kind:     by_value
      - .offset:         24
        .size:           4
        .value_kind:     by_value
      - .offset:         32
        .size:           8
        .value_kind:     by_value
      - .address_space:  global
        .offset:         40
        .size:           8
        .value_kind:     global_buffer
      - .offset:         48
        .size:           4
        .value_kind:     by_value
      - .offset:         52
        .size:           4
        .value_kind:     by_value
      - .offset:         56
        .size:           4
        .value_kind:     hidden_block_count_x
      - .offset:         60
        .size:           4
        .value_kind:     hidden_block_count_y
      - .offset:         64
        .size:           4
        .value_kind:     hidden_block_count_z
      - .offset:         68
        .size:           2
        .value_kind:     hidden_group_size_x
      - .offset:         70
        .size:           2
        .value_kind:     hidden_group_size_y
      - .offset:         72
        .size:           2
        .value_kind:     hidden_group_size_z
      - .offset:         74
        .size:           2
        .value_kind:     hidden_remainder_x
      - .offset:         76
        .size:           2
        .value_kind:     hidden_remainder_y
      - .offset:         78
        .size:           2
        .value_kind:     hidden_remainder_z
      - .offset:         96
        .size:           8
        .value_kind:     hidden_global_offset_x
      - .offset:         104
        .size:           8
        .value_kind:     hidden_global_offset_y
      - .offset:         112
        .size:           8
        .value_kind:     hidden_global_offset_z
      - .offset:         120
        .size:           2
        .value_kind:     hidden_grid_dims
      - .offset:         176
        .size:           4
        .value_kind:     hidden_dynamic_lds_size
    .group_segment_fixed_size: 0
    .kernarg_segment_align: 8
    .kernarg_segment_size: 312
    .language:       OpenCL C
    .language_version:
      - 2
      - 0
    .max_flat_workgroup_size: 512
    .name:           _ZN9rocsolver6v33100L23getf2_npvt_small_kernelILi20E19rocblas_complex_numIdEiiPS3_EEvT1_T3_lS5_lPT2_S5_S5_
    .private_segment_fixed_size: 0
    .sgpr_count:     22
    .sgpr_spill_count: 0
    .symbol:         _ZN9rocsolver6v33100L23getf2_npvt_small_kernelILi20E19rocblas_complex_numIdEiiPS3_EEvT1_T3_lS5_lPT2_S5_S5_.kd
    .uniform_work_group_size: 1
    .uses_dynamic_stack: false
    .vgpr_count:     212
    .vgpr_spill_count: 0
    .wavefront_size: 64
  - .agpr_count:     0
    .args:
      - .offset:         0
        .size:           4
        .value_kind:     by_value
      - .address_space:  global
        .offset:         8
        .size:           8
        .value_kind:     global_buffer
      - .offset:         16
        .size:           8
        .value_kind:     by_value
      - .offset:         24
        .size:           4
        .value_kind:     by_value
      - .offset:         32
        .size:           8
        .value_kind:     by_value
      - .address_space:  global
        .offset:         40
        .size:           8
        .value_kind:     global_buffer
      - .offset:         48
        .size:           8
        .value_kind:     by_value
      - .offset:         56
        .size:           8
        .value_kind:     by_value
      - .address_space:  global
        .offset:         64
        .size:           8
        .value_kind:     global_buffer
      - .offset:         72
        .size:           4
        .value_kind:     by_value
      - .offset:         76
        .size:           4
        .value_kind:     by_value
      - .address_space:  global
        .offset:         80
        .size:           8
        .value_kind:     global_buffer
      - .offset:         88
        .size:           8
        .value_kind:     by_value
      - .offset:         96
        .size:           4
        .value_kind:     hidden_block_count_x
      - .offset:         100
        .size:           4
        .value_kind:     hidden_block_count_y
      - .offset:         104
        .size:           4
        .value_kind:     hidden_block_count_z
      - .offset:         108
        .size:           2
        .value_kind:     hidden_group_size_x
      - .offset:         110
        .size:           2
        .value_kind:     hidden_group_size_y
      - .offset:         112
        .size:           2
        .value_kind:     hidden_group_size_z
      - .offset:         114
        .size:           2
        .value_kind:     hidden_remainder_x
      - .offset:         116
        .size:           2
        .value_kind:     hidden_remainder_y
      - .offset:         118
        .size:           2
        .value_kind:     hidden_remainder_z
      - .offset:         136
        .size:           8
        .value_kind:     hidden_global_offset_x
      - .offset:         144
        .size:           8
        .value_kind:     hidden_global_offset_y
      - .offset:         152
        .size:           8
        .value_kind:     hidden_global_offset_z
      - .offset:         160
        .size:           2
        .value_kind:     hidden_grid_dims
      - .offset:         216
        .size:           4
        .value_kind:     hidden_dynamic_lds_size
    .group_segment_fixed_size: 0
    .kernarg_segment_align: 8
    .kernarg_segment_size: 352
    .language:       OpenCL C
    .language_version:
      - 2
      - 0
    .max_flat_workgroup_size: 512
    .name:           _ZN9rocsolver6v33100L18getf2_small_kernelILi21E19rocblas_complex_numIdEiiPS3_EEvT1_T3_lS5_lPS5_llPT2_S5_S5_S7_l
    .private_segment_fixed_size: 0
    .sgpr_count:     30
    .sgpr_spill_count: 0
    .symbol:         _ZN9rocsolver6v33100L18getf2_small_kernelILi21E19rocblas_complex_numIdEiiPS3_EEvT1_T3_lS5_lPS5_llPT2_S5_S5_S7_l.kd
    .uniform_work_group_size: 1
    .uses_dynamic_stack: false
    .vgpr_count:     122
    .vgpr_spill_count: 0
    .wavefront_size: 64
  - .agpr_count:     0
    .args:
      - .offset:         0
        .size:           4
        .value_kind:     by_value
      - .address_space:  global
        .offset:         8
        .size:           8
        .value_kind:     global_buffer
      - .offset:         16
        .size:           8
        .value_kind:     by_value
      - .offset:         24
        .size:           4
        .value_kind:     by_value
      - .offset:         32
        .size:           8
        .value_kind:     by_value
      - .address_space:  global
        .offset:         40
        .size:           8
        .value_kind:     global_buffer
      - .offset:         48
        .size:           4
        .value_kind:     by_value
      - .offset:         52
        .size:           4
        .value_kind:     by_value
      - .offset:         56
        .size:           4
        .value_kind:     hidden_block_count_x
      - .offset:         60
        .size:           4
        .value_kind:     hidden_block_count_y
      - .offset:         64
        .size:           4
        .value_kind:     hidden_block_count_z
      - .offset:         68
        .size:           2
        .value_kind:     hidden_group_size_x
      - .offset:         70
        .size:           2
        .value_kind:     hidden_group_size_y
      - .offset:         72
        .size:           2
        .value_kind:     hidden_group_size_z
      - .offset:         74
        .size:           2
        .value_kind:     hidden_remainder_x
      - .offset:         76
        .size:           2
        .value_kind:     hidden_remainder_y
      - .offset:         78
        .size:           2
        .value_kind:     hidden_remainder_z
      - .offset:         96
        .size:           8
        .value_kind:     hidden_global_offset_x
      - .offset:         104
        .size:           8
        .value_kind:     hidden_global_offset_y
      - .offset:         112
        .size:           8
        .value_kind:     hidden_global_offset_z
      - .offset:         120
        .size:           2
        .value_kind:     hidden_grid_dims
      - .offset:         176
        .size:           4
        .value_kind:     hidden_dynamic_lds_size
    .group_segment_fixed_size: 0
    .kernarg_segment_align: 8
    .kernarg_segment_size: 312
    .language:       OpenCL C
    .language_version:
      - 2
      - 0
    .max_flat_workgroup_size: 512
    .name:           _ZN9rocsolver6v33100L23getf2_npvt_small_kernelILi21E19rocblas_complex_numIdEiiPS3_EEvT1_T3_lS5_lPT2_S5_S5_
    .private_segment_fixed_size: 0
    .sgpr_count:     22
    .sgpr_spill_count: 0
    .symbol:         _ZN9rocsolver6v33100L23getf2_npvt_small_kernelILi21E19rocblas_complex_numIdEiiPS3_EEvT1_T3_lS5_lPT2_S5_S5_.kd
    .uniform_work_group_size: 1
    .uses_dynamic_stack: false
    .vgpr_count:     222
    .vgpr_spill_count: 0
    .wavefront_size: 64
  - .agpr_count:     0
    .args:
      - .offset:         0
        .size:           4
        .value_kind:     by_value
      - .address_space:  global
        .offset:         8
        .size:           8
        .value_kind:     global_buffer
      - .offset:         16
        .size:           8
        .value_kind:     by_value
      - .offset:         24
        .size:           4
        .value_kind:     by_value
      - .offset:         32
        .size:           8
        .value_kind:     by_value
      - .address_space:  global
        .offset:         40
        .size:           8
        .value_kind:     global_buffer
      - .offset:         48
        .size:           8
        .value_kind:     by_value
      - .offset:         56
        .size:           8
        .value_kind:     by_value
      - .address_space:  global
        .offset:         64
        .size:           8
        .value_kind:     global_buffer
      - .offset:         72
        .size:           4
        .value_kind:     by_value
      - .offset:         76
        .size:           4
        .value_kind:     by_value
      - .address_space:  global
        .offset:         80
        .size:           8
        .value_kind:     global_buffer
      - .offset:         88
        .size:           8
        .value_kind:     by_value
      - .offset:         96
        .size:           4
        .value_kind:     hidden_block_count_x
      - .offset:         100
        .size:           4
        .value_kind:     hidden_block_count_y
      - .offset:         104
        .size:           4
        .value_kind:     hidden_block_count_z
      - .offset:         108
        .size:           2
        .value_kind:     hidden_group_size_x
      - .offset:         110
        .size:           2
        .value_kind:     hidden_group_size_y
      - .offset:         112
        .size:           2
        .value_kind:     hidden_group_size_z
      - .offset:         114
        .size:           2
        .value_kind:     hidden_remainder_x
      - .offset:         116
        .size:           2
        .value_kind:     hidden_remainder_y
      - .offset:         118
        .size:           2
        .value_kind:     hidden_remainder_z
      - .offset:         136
        .size:           8
        .value_kind:     hidden_global_offset_x
      - .offset:         144
        .size:           8
        .value_kind:     hidden_global_offset_y
      - .offset:         152
        .size:           8
        .value_kind:     hidden_global_offset_z
      - .offset:         160
        .size:           2
        .value_kind:     hidden_grid_dims
      - .offset:         216
        .size:           4
        .value_kind:     hidden_dynamic_lds_size
    .group_segment_fixed_size: 0
    .kernarg_segment_align: 8
    .kernarg_segment_size: 352
    .language:       OpenCL C
    .language_version:
      - 2
      - 0
    .max_flat_workgroup_size: 512
    .name:           _ZN9rocsolver6v33100L18getf2_small_kernelILi22E19rocblas_complex_numIdEiiPS3_EEvT1_T3_lS5_lPS5_llPT2_S5_S5_S7_l
    .private_segment_fixed_size: 0
    .sgpr_count:     30
    .sgpr_spill_count: 0
    .symbol:         _ZN9rocsolver6v33100L18getf2_small_kernelILi22E19rocblas_complex_numIdEiiPS3_EEvT1_T3_lS5_lPS5_llPT2_S5_S5_S7_l.kd
    .uniform_work_group_size: 1
    .uses_dynamic_stack: false
    .vgpr_count:     124
    .vgpr_spill_count: 0
    .wavefront_size: 64
  - .agpr_count:     0
    .args:
      - .offset:         0
        .size:           4
        .value_kind:     by_value
      - .address_space:  global
        .offset:         8
        .size:           8
        .value_kind:     global_buffer
      - .offset:         16
        .size:           8
        .value_kind:     by_value
      - .offset:         24
        .size:           4
        .value_kind:     by_value
      - .offset:         32
        .size:           8
        .value_kind:     by_value
      - .address_space:  global
        .offset:         40
        .size:           8
        .value_kind:     global_buffer
      - .offset:         48
        .size:           4
        .value_kind:     by_value
      - .offset:         52
        .size:           4
        .value_kind:     by_value
      - .offset:         56
        .size:           4
        .value_kind:     hidden_block_count_x
      - .offset:         60
        .size:           4
        .value_kind:     hidden_block_count_y
      - .offset:         64
        .size:           4
        .value_kind:     hidden_block_count_z
      - .offset:         68
        .size:           2
        .value_kind:     hidden_group_size_x
      - .offset:         70
        .size:           2
        .value_kind:     hidden_group_size_y
      - .offset:         72
        .size:           2
        .value_kind:     hidden_group_size_z
      - .offset:         74
        .size:           2
        .value_kind:     hidden_remainder_x
      - .offset:         76
        .size:           2
        .value_kind:     hidden_remainder_y
      - .offset:         78
        .size:           2
        .value_kind:     hidden_remainder_z
      - .offset:         96
        .size:           8
        .value_kind:     hidden_global_offset_x
      - .offset:         104
        .size:           8
        .value_kind:     hidden_global_offset_y
      - .offset:         112
        .size:           8
        .value_kind:     hidden_global_offset_z
      - .offset:         120
        .size:           2
        .value_kind:     hidden_grid_dims
      - .offset:         176
        .size:           4
        .value_kind:     hidden_dynamic_lds_size
    .group_segment_fixed_size: 0
    .kernarg_segment_align: 8
    .kernarg_segment_size: 312
    .language:       OpenCL C
    .language_version:
      - 2
      - 0
    .max_flat_workgroup_size: 512
    .name:           _ZN9rocsolver6v33100L23getf2_npvt_small_kernelILi22E19rocblas_complex_numIdEiiPS3_EEvT1_T3_lS5_lPT2_S5_S5_
    .private_segment_fixed_size: 0
    .sgpr_count:     22
    .sgpr_spill_count: 0
    .symbol:         _ZN9rocsolver6v33100L23getf2_npvt_small_kernelILi22E19rocblas_complex_numIdEiiPS3_EEvT1_T3_lS5_lPT2_S5_S5_.kd
    .uniform_work_group_size: 1
    .uses_dynamic_stack: false
    .vgpr_count:     232
    .vgpr_spill_count: 0
    .wavefront_size: 64
  - .agpr_count:     0
    .args:
      - .offset:         0
        .size:           4
        .value_kind:     by_value
      - .address_space:  global
        .offset:         8
        .size:           8
        .value_kind:     global_buffer
      - .offset:         16
        .size:           8
        .value_kind:     by_value
      - .offset:         24
        .size:           4
        .value_kind:     by_value
      - .offset:         32
        .size:           8
        .value_kind:     by_value
      - .address_space:  global
        .offset:         40
        .size:           8
        .value_kind:     global_buffer
      - .offset:         48
        .size:           8
        .value_kind:     by_value
      - .offset:         56
        .size:           8
        .value_kind:     by_value
      - .address_space:  global
        .offset:         64
        .size:           8
        .value_kind:     global_buffer
      - .offset:         72
        .size:           4
        .value_kind:     by_value
      - .offset:         76
        .size:           4
        .value_kind:     by_value
      - .address_space:  global
        .offset:         80
        .size:           8
        .value_kind:     global_buffer
      - .offset:         88
        .size:           8
        .value_kind:     by_value
      - .offset:         96
        .size:           4
        .value_kind:     hidden_block_count_x
      - .offset:         100
        .size:           4
        .value_kind:     hidden_block_count_y
      - .offset:         104
        .size:           4
        .value_kind:     hidden_block_count_z
      - .offset:         108
        .size:           2
        .value_kind:     hidden_group_size_x
      - .offset:         110
        .size:           2
        .value_kind:     hidden_group_size_y
      - .offset:         112
        .size:           2
        .value_kind:     hidden_group_size_z
      - .offset:         114
        .size:           2
        .value_kind:     hidden_remainder_x
      - .offset:         116
        .size:           2
        .value_kind:     hidden_remainder_y
      - .offset:         118
        .size:           2
        .value_kind:     hidden_remainder_z
      - .offset:         136
        .size:           8
        .value_kind:     hidden_global_offset_x
      - .offset:         144
        .size:           8
        .value_kind:     hidden_global_offset_y
      - .offset:         152
        .size:           8
        .value_kind:     hidden_global_offset_z
      - .offset:         160
        .size:           2
        .value_kind:     hidden_grid_dims
      - .offset:         216
        .size:           4
        .value_kind:     hidden_dynamic_lds_size
    .group_segment_fixed_size: 0
    .kernarg_segment_align: 8
    .kernarg_segment_size: 352
    .language:       OpenCL C
    .language_version:
      - 2
      - 0
    .max_flat_workgroup_size: 512
    .name:           _ZN9rocsolver6v33100L18getf2_small_kernelILi23E19rocblas_complex_numIdEiiPS3_EEvT1_T3_lS5_lPS5_llPT2_S5_S5_S7_l
    .private_segment_fixed_size: 0
    .sgpr_count:     30
    .sgpr_spill_count: 0
    .symbol:         _ZN9rocsolver6v33100L18getf2_small_kernelILi23E19rocblas_complex_numIdEiiPS3_EEvT1_T3_lS5_lPS5_llPT2_S5_S5_S7_l.kd
    .uniform_work_group_size: 1
    .uses_dynamic_stack: false
    .vgpr_count:     122
    .vgpr_spill_count: 0
    .wavefront_size: 64
  - .agpr_count:     0
    .args:
      - .offset:         0
        .size:           4
        .value_kind:     by_value
      - .address_space:  global
        .offset:         8
        .size:           8
        .value_kind:     global_buffer
      - .offset:         16
        .size:           8
        .value_kind:     by_value
      - .offset:         24
        .size:           4
        .value_kind:     by_value
      - .offset:         32
        .size:           8
        .value_kind:     by_value
      - .address_space:  global
        .offset:         40
        .size:           8
        .value_kind:     global_buffer
      - .offset:         48
        .size:           4
        .value_kind:     by_value
      - .offset:         52
        .size:           4
        .value_kind:     by_value
      - .offset:         56
        .size:           4
        .value_kind:     hidden_block_count_x
      - .offset:         60
        .size:           4
        .value_kind:     hidden_block_count_y
      - .offset:         64
        .size:           4
        .value_kind:     hidden_block_count_z
      - .offset:         68
        .size:           2
        .value_kind:     hidden_group_size_x
      - .offset:         70
        .size:           2
        .value_kind:     hidden_group_size_y
      - .offset:         72
        .size:           2
        .value_kind:     hidden_group_size_z
      - .offset:         74
        .size:           2
        .value_kind:     hidden_remainder_x
      - .offset:         76
        .size:           2
        .value_kind:     hidden_remainder_y
      - .offset:         78
        .size:           2
        .value_kind:     hidden_remainder_z
      - .offset:         96
        .size:           8
        .value_kind:     hidden_global_offset_x
      - .offset:         104
        .size:           8
        .value_kind:     hidden_global_offset_y
      - .offset:         112
        .size:           8
        .value_kind:     hidden_global_offset_z
      - .offset:         120
        .size:           2
        .value_kind:     hidden_grid_dims
      - .offset:         176
        .size:           4
        .value_kind:     hidden_dynamic_lds_size
    .group_segment_fixed_size: 0
    .kernarg_segment_align: 8
    .kernarg_segment_size: 312
    .language:       OpenCL C
    .language_version:
      - 2
      - 0
    .max_flat_workgroup_size: 512
    .name:           _ZN9rocsolver6v33100L23getf2_npvt_small_kernelILi23E19rocblas_complex_numIdEiiPS3_EEvT1_T3_lS5_lPT2_S5_S5_
    .private_segment_fixed_size: 0
    .sgpr_count:     22
    .sgpr_spill_count: 0
    .symbol:         _ZN9rocsolver6v33100L23getf2_npvt_small_kernelILi23E19rocblas_complex_numIdEiiPS3_EEvT1_T3_lS5_lPT2_S5_S5_.kd
    .uniform_work_group_size: 1
    .uses_dynamic_stack: false
    .vgpr_count:     242
    .vgpr_spill_count: 0
    .wavefront_size: 64
  - .agpr_count:     0
    .args:
      - .offset:         0
        .size:           4
        .value_kind:     by_value
      - .address_space:  global
        .offset:         8
        .size:           8
        .value_kind:     global_buffer
      - .offset:         16
        .size:           8
        .value_kind:     by_value
      - .offset:         24
        .size:           4
        .value_kind:     by_value
      - .offset:         32
        .size:           8
        .value_kind:     by_value
      - .address_space:  global
        .offset:         40
        .size:           8
        .value_kind:     global_buffer
      - .offset:         48
        .size:           8
        .value_kind:     by_value
      - .offset:         56
        .size:           8
        .value_kind:     by_value
      - .address_space:  global
        .offset:         64
        .size:           8
        .value_kind:     global_buffer
      - .offset:         72
        .size:           4
        .value_kind:     by_value
      - .offset:         76
        .size:           4
        .value_kind:     by_value
      - .address_space:  global
        .offset:         80
        .size:           8
        .value_kind:     global_buffer
      - .offset:         88
        .size:           8
        .value_kind:     by_value
      - .offset:         96
        .size:           4
        .value_kind:     hidden_block_count_x
      - .offset:         100
        .size:           4
        .value_kind:     hidden_block_count_y
      - .offset:         104
        .size:           4
        .value_kind:     hidden_block_count_z
      - .offset:         108
        .size:           2
        .value_kind:     hidden_group_size_x
      - .offset:         110
        .size:           2
        .value_kind:     hidden_group_size_y
      - .offset:         112
        .size:           2
        .value_kind:     hidden_group_size_z
      - .offset:         114
        .size:           2
        .value_kind:     hidden_remainder_x
      - .offset:         116
        .size:           2
        .value_kind:     hidden_remainder_y
      - .offset:         118
        .size:           2
        .value_kind:     hidden_remainder_z
      - .offset:         136
        .size:           8
        .value_kind:     hidden_global_offset_x
      - .offset:         144
        .size:           8
        .value_kind:     hidden_global_offset_y
      - .offset:         152
        .size:           8
        .value_kind:     hidden_global_offset_z
      - .offset:         160
        .size:           2
        .value_kind:     hidden_grid_dims
      - .offset:         216
        .size:           4
        .value_kind:     hidden_dynamic_lds_size
    .group_segment_fixed_size: 0
    .kernarg_segment_align: 8
    .kernarg_segment_size: 352
    .language:       OpenCL C
    .language_version:
      - 2
      - 0
    .max_flat_workgroup_size: 512
    .name:           _ZN9rocsolver6v33100L18getf2_small_kernelILi24E19rocblas_complex_numIdEiiPS3_EEvT1_T3_lS5_lPS5_llPT2_S5_S5_S7_l
    .private_segment_fixed_size: 0
    .sgpr_count:     30
    .sgpr_spill_count: 0
    .symbol:         _ZN9rocsolver6v33100L18getf2_small_kernelILi24E19rocblas_complex_numIdEiiPS3_EEvT1_T3_lS5_lPS5_llPT2_S5_S5_S7_l.kd
    .uniform_work_group_size: 1
    .uses_dynamic_stack: false
    .vgpr_count:     125
    .vgpr_spill_count: 0
    .wavefront_size: 64
  - .agpr_count:     0
    .args:
      - .offset:         0
        .size:           4
        .value_kind:     by_value
      - .address_space:  global
        .offset:         8
        .size:           8
        .value_kind:     global_buffer
      - .offset:         16
        .size:           8
        .value_kind:     by_value
      - .offset:         24
        .size:           4
        .value_kind:     by_value
      - .offset:         32
        .size:           8
        .value_kind:     by_value
      - .address_space:  global
        .offset:         40
        .size:           8
        .value_kind:     global_buffer
      - .offset:         48
        .size:           4
        .value_kind:     by_value
      - .offset:         52
        .size:           4
        .value_kind:     by_value
      - .offset:         56
        .size:           4
        .value_kind:     hidden_block_count_x
      - .offset:         60
        .size:           4
        .value_kind:     hidden_block_count_y
      - .offset:         64
        .size:           4
        .value_kind:     hidden_block_count_z
      - .offset:         68
        .size:           2
        .value_kind:     hidden_group_size_x
      - .offset:         70
        .size:           2
        .value_kind:     hidden_group_size_y
      - .offset:         72
        .size:           2
        .value_kind:     hidden_group_size_z
      - .offset:         74
        .size:           2
        .value_kind:     hidden_remainder_x
      - .offset:         76
        .size:           2
        .value_kind:     hidden_remainder_y
      - .offset:         78
        .size:           2
        .value_kind:     hidden_remainder_z
      - .offset:         96
        .size:           8
        .value_kind:     hidden_global_offset_x
      - .offset:         104
        .size:           8
        .value_kind:     hidden_global_offset_y
      - .offset:         112
        .size:           8
        .value_kind:     hidden_global_offset_z
      - .offset:         120
        .size:           2
        .value_kind:     hidden_grid_dims
      - .offset:         176
        .size:           4
        .value_kind:     hidden_dynamic_lds_size
    .group_segment_fixed_size: 0
    .kernarg_segment_align: 8
    .kernarg_segment_size: 312
    .language:       OpenCL C
    .language_version:
      - 2
      - 0
    .max_flat_workgroup_size: 512
    .name:           _ZN9rocsolver6v33100L23getf2_npvt_small_kernelILi24E19rocblas_complex_numIdEiiPS3_EEvT1_T3_lS5_lPT2_S5_S5_
    .private_segment_fixed_size: 0
    .sgpr_count:     22
    .sgpr_spill_count: 0
    .symbol:         _ZN9rocsolver6v33100L23getf2_npvt_small_kernelILi24E19rocblas_complex_numIdEiiPS3_EEvT1_T3_lS5_lPT2_S5_S5_.kd
    .uniform_work_group_size: 1
    .uses_dynamic_stack: false
    .vgpr_count:     252
    .vgpr_spill_count: 0
    .wavefront_size: 64
  - .agpr_count:     0
    .args:
      - .offset:         0
        .size:           4
        .value_kind:     by_value
      - .address_space:  global
        .offset:         8
        .size:           8
        .value_kind:     global_buffer
      - .offset:         16
        .size:           8
        .value_kind:     by_value
      - .offset:         24
        .size:           4
        .value_kind:     by_value
      - .offset:         32
        .size:           8
        .value_kind:     by_value
      - .address_space:  global
        .offset:         40
        .size:           8
        .value_kind:     global_buffer
      - .offset:         48
        .size:           8
        .value_kind:     by_value
      - .offset:         56
        .size:           8
        .value_kind:     by_value
      - .address_space:  global
        .offset:         64
        .size:           8
        .value_kind:     global_buffer
      - .offset:         72
        .size:           4
        .value_kind:     by_value
      - .offset:         76
        .size:           4
        .value_kind:     by_value
      - .address_space:  global
        .offset:         80
        .size:           8
        .value_kind:     global_buffer
      - .offset:         88
        .size:           8
        .value_kind:     by_value
      - .offset:         96
        .size:           4
        .value_kind:     hidden_block_count_x
      - .offset:         100
        .size:           4
        .value_kind:     hidden_block_count_y
      - .offset:         104
        .size:           4
        .value_kind:     hidden_block_count_z
      - .offset:         108
        .size:           2
        .value_kind:     hidden_group_size_x
      - .offset:         110
        .size:           2
        .value_kind:     hidden_group_size_y
      - .offset:         112
        .size:           2
        .value_kind:     hidden_group_size_z
      - .offset:         114
        .size:           2
        .value_kind:     hidden_remainder_x
      - .offset:         116
        .size:           2
        .value_kind:     hidden_remainder_y
      - .offset:         118
        .size:           2
        .value_kind:     hidden_remainder_z
      - .offset:         136
        .size:           8
        .value_kind:     hidden_global_offset_x
      - .offset:         144
        .size:           8
        .value_kind:     hidden_global_offset_y
      - .offset:         152
        .size:           8
        .value_kind:     hidden_global_offset_z
      - .offset:         160
        .size:           2
        .value_kind:     hidden_grid_dims
      - .offset:         216
        .size:           4
        .value_kind:     hidden_dynamic_lds_size
    .group_segment_fixed_size: 0
    .kernarg_segment_align: 8
    .kernarg_segment_size: 352
    .language:       OpenCL C
    .language_version:
      - 2
      - 0
    .max_flat_workgroup_size: 512
    .name:           _ZN9rocsolver6v33100L18getf2_small_kernelILi25E19rocblas_complex_numIdEiiPS3_EEvT1_T3_lS5_lPS5_llPT2_S5_S5_S7_l
    .private_segment_fixed_size: 0
    .sgpr_count:     30
    .sgpr_spill_count: 0
    .symbol:         _ZN9rocsolver6v33100L18getf2_small_kernelILi25E19rocblas_complex_numIdEiiPS3_EEvT1_T3_lS5_lPS5_llPT2_S5_S5_S7_l.kd
    .uniform_work_group_size: 1
    .uses_dynamic_stack: false
    .vgpr_count:     129
    .vgpr_spill_count: 0
    .wavefront_size: 64
  - .agpr_count:     0
    .args:
      - .offset:         0
        .size:           4
        .value_kind:     by_value
      - .address_space:  global
        .offset:         8
        .size:           8
        .value_kind:     global_buffer
      - .offset:         16
        .size:           8
        .value_kind:     by_value
      - .offset:         24
        .size:           4
        .value_kind:     by_value
      - .offset:         32
        .size:           8
        .value_kind:     by_value
      - .address_space:  global
        .offset:         40
        .size:           8
        .value_kind:     global_buffer
      - .offset:         48
        .size:           4
        .value_kind:     by_value
      - .offset:         52
        .size:           4
        .value_kind:     by_value
      - .offset:         56
        .size:           4
        .value_kind:     hidden_block_count_x
      - .offset:         60
        .size:           4
        .value_kind:     hidden_block_count_y
      - .offset:         64
        .size:           4
        .value_kind:     hidden_block_count_z
      - .offset:         68
        .size:           2
        .value_kind:     hidden_group_size_x
      - .offset:         70
        .size:           2
        .value_kind:     hidden_group_size_y
      - .offset:         72
        .size:           2
        .value_kind:     hidden_group_size_z
      - .offset:         74
        .size:           2
        .value_kind:     hidden_remainder_x
      - .offset:         76
        .size:           2
        .value_kind:     hidden_remainder_y
      - .offset:         78
        .size:           2
        .value_kind:     hidden_remainder_z
      - .offset:         96
        .size:           8
        .value_kind:     hidden_global_offset_x
      - .offset:         104
        .size:           8
        .value_kind:     hidden_global_offset_y
      - .offset:         112
        .size:           8
        .value_kind:     hidden_global_offset_z
      - .offset:         120
        .size:           2
        .value_kind:     hidden_grid_dims
      - .offset:         176
        .size:           4
        .value_kind:     hidden_dynamic_lds_size
    .group_segment_fixed_size: 0
    .kernarg_segment_align: 8
    .kernarg_segment_size: 312
    .language:       OpenCL C
    .language_version:
      - 2
      - 0
    .max_flat_workgroup_size: 512
    .name:           _ZN9rocsolver6v33100L23getf2_npvt_small_kernelILi25E19rocblas_complex_numIdEiiPS3_EEvT1_T3_lS5_lPT2_S5_S5_
    .private_segment_fixed_size: 44
    .sgpr_count:     22
    .sgpr_spill_count: 0
    .symbol:         _ZN9rocsolver6v33100L23getf2_npvt_small_kernelILi25E19rocblas_complex_numIdEiiPS3_EEvT1_T3_lS5_lPT2_S5_S5_.kd
    .uniform_work_group_size: 1
    .uses_dynamic_stack: false
    .vgpr_count:     256
    .vgpr_spill_count: 10
    .wavefront_size: 64
  - .agpr_count:     0
    .args:
      - .offset:         0
        .size:           4
        .value_kind:     by_value
      - .address_space:  global
        .offset:         8
        .size:           8
        .value_kind:     global_buffer
      - .offset:         16
        .size:           8
        .value_kind:     by_value
      - .offset:         24
        .size:           4
        .value_kind:     by_value
      - .offset:         32
        .size:           8
        .value_kind:     by_value
      - .address_space:  global
        .offset:         40
        .size:           8
        .value_kind:     global_buffer
      - .offset:         48
        .size:           8
        .value_kind:     by_value
      - .offset:         56
        .size:           8
        .value_kind:     by_value
      - .address_space:  global
        .offset:         64
        .size:           8
        .value_kind:     global_buffer
      - .offset:         72
        .size:           4
        .value_kind:     by_value
      - .offset:         76
        .size:           4
        .value_kind:     by_value
      - .address_space:  global
        .offset:         80
        .size:           8
        .value_kind:     global_buffer
      - .offset:         88
        .size:           8
        .value_kind:     by_value
      - .offset:         96
        .size:           4
        .value_kind:     hidden_block_count_x
      - .offset:         100
        .size:           4
        .value_kind:     hidden_block_count_y
      - .offset:         104
        .size:           4
        .value_kind:     hidden_block_count_z
      - .offset:         108
        .size:           2
        .value_kind:     hidden_group_size_x
      - .offset:         110
        .size:           2
        .value_kind:     hidden_group_size_y
      - .offset:         112
        .size:           2
        .value_kind:     hidden_group_size_z
      - .offset:         114
        .size:           2
        .value_kind:     hidden_remainder_x
      - .offset:         116
        .size:           2
        .value_kind:     hidden_remainder_y
      - .offset:         118
        .size:           2
        .value_kind:     hidden_remainder_z
      - .offset:         136
        .size:           8
        .value_kind:     hidden_global_offset_x
      - .offset:         144
        .size:           8
        .value_kind:     hidden_global_offset_y
      - .offset:         152
        .size:           8
        .value_kind:     hidden_global_offset_z
      - .offset:         160
        .size:           2
        .value_kind:     hidden_grid_dims
      - .offset:         216
        .size:           4
        .value_kind:     hidden_dynamic_lds_size
    .group_segment_fixed_size: 0
    .kernarg_segment_align: 8
    .kernarg_segment_size: 352
    .language:       OpenCL C
    .language_version:
      - 2
      - 0
    .max_flat_workgroup_size: 512
    .name:           _ZN9rocsolver6v33100L18getf2_small_kernelILi26E19rocblas_complex_numIdEiiPS3_EEvT1_T3_lS5_lPS5_llPT2_S5_S5_S7_l
    .private_segment_fixed_size: 0
    .sgpr_count:     30
    .sgpr_spill_count: 0
    .symbol:         _ZN9rocsolver6v33100L18getf2_small_kernelILi26E19rocblas_complex_numIdEiiPS3_EEvT1_T3_lS5_lPS5_llPT2_S5_S5_S7_l.kd
    .uniform_work_group_size: 1
    .uses_dynamic_stack: false
    .vgpr_count:     133
    .vgpr_spill_count: 0
    .wavefront_size: 64
  - .agpr_count:     0
    .args:
      - .offset:         0
        .size:           4
        .value_kind:     by_value
      - .address_space:  global
        .offset:         8
        .size:           8
        .value_kind:     global_buffer
      - .offset:         16
        .size:           8
        .value_kind:     by_value
      - .offset:         24
        .size:           4
        .value_kind:     by_value
      - .offset:         32
        .size:           8
        .value_kind:     by_value
      - .address_space:  global
        .offset:         40
        .size:           8
        .value_kind:     global_buffer
      - .offset:         48
        .size:           4
        .value_kind:     by_value
      - .offset:         52
        .size:           4
        .value_kind:     by_value
      - .offset:         56
        .size:           4
        .value_kind:     hidden_block_count_x
      - .offset:         60
        .size:           4
        .value_kind:     hidden_block_count_y
      - .offset:         64
        .size:           4
        .value_kind:     hidden_block_count_z
      - .offset:         68
        .size:           2
        .value_kind:     hidden_group_size_x
      - .offset:         70
        .size:           2
        .value_kind:     hidden_group_size_y
      - .offset:         72
        .size:           2
        .value_kind:     hidden_group_size_z
      - .offset:         74
        .size:           2
        .value_kind:     hidden_remainder_x
      - .offset:         76
        .size:           2
        .value_kind:     hidden_remainder_y
      - .offset:         78
        .size:           2
        .value_kind:     hidden_remainder_z
      - .offset:         96
        .size:           8
        .value_kind:     hidden_global_offset_x
      - .offset:         104
        .size:           8
        .value_kind:     hidden_global_offset_y
      - .offset:         112
        .size:           8
        .value_kind:     hidden_global_offset_z
      - .offset:         120
        .size:           2
        .value_kind:     hidden_grid_dims
      - .offset:         176
        .size:           4
        .value_kind:     hidden_dynamic_lds_size
    .group_segment_fixed_size: 0
    .kernarg_segment_align: 8
    .kernarg_segment_size: 312
    .language:       OpenCL C
    .language_version:
      - 2
      - 0
    .max_flat_workgroup_size: 512
    .name:           _ZN9rocsolver6v33100L23getf2_npvt_small_kernelILi26E19rocblas_complex_numIdEiiPS3_EEvT1_T3_lS5_lPT2_S5_S5_
    .private_segment_fixed_size: 92
    .sgpr_count:     22
    .sgpr_spill_count: 0
    .symbol:         _ZN9rocsolver6v33100L23getf2_npvt_small_kernelILi26E19rocblas_complex_numIdEiiPS3_EEvT1_T3_lS5_lPT2_S5_S5_.kd
    .uniform_work_group_size: 1
    .uses_dynamic_stack: false
    .vgpr_count:     256
    .vgpr_spill_count: 22
    .wavefront_size: 64
  - .agpr_count:     0
    .args:
      - .offset:         0
        .size:           4
        .value_kind:     by_value
      - .address_space:  global
        .offset:         8
        .size:           8
        .value_kind:     global_buffer
      - .offset:         16
        .size:           8
        .value_kind:     by_value
      - .offset:         24
        .size:           4
        .value_kind:     by_value
      - .offset:         32
        .size:           8
        .value_kind:     by_value
      - .address_space:  global
        .offset:         40
        .size:           8
        .value_kind:     global_buffer
      - .offset:         48
        .size:           8
        .value_kind:     by_value
      - .offset:         56
        .size:           8
        .value_kind:     by_value
      - .address_space:  global
        .offset:         64
        .size:           8
        .value_kind:     global_buffer
      - .offset:         72
        .size:           4
        .value_kind:     by_value
      - .offset:         76
        .size:           4
        .value_kind:     by_value
      - .address_space:  global
        .offset:         80
        .size:           8
        .value_kind:     global_buffer
      - .offset:         88
        .size:           8
        .value_kind:     by_value
      - .offset:         96
        .size:           4
        .value_kind:     hidden_block_count_x
      - .offset:         100
        .size:           4
        .value_kind:     hidden_block_count_y
      - .offset:         104
        .size:           4
        .value_kind:     hidden_block_count_z
      - .offset:         108
        .size:           2
        .value_kind:     hidden_group_size_x
      - .offset:         110
        .size:           2
        .value_kind:     hidden_group_size_y
      - .offset:         112
        .size:           2
        .value_kind:     hidden_group_size_z
      - .offset:         114
        .size:           2
        .value_kind:     hidden_remainder_x
      - .offset:         116
        .size:           2
        .value_kind:     hidden_remainder_y
      - .offset:         118
        .size:           2
        .value_kind:     hidden_remainder_z
      - .offset:         136
        .size:           8
        .value_kind:     hidden_global_offset_x
      - .offset:         144
        .size:           8
        .value_kind:     hidden_global_offset_y
      - .offset:         152
        .size:           8
        .value_kind:     hidden_global_offset_z
      - .offset:         160
        .size:           2
        .value_kind:     hidden_grid_dims
      - .offset:         216
        .size:           4
        .value_kind:     hidden_dynamic_lds_size
    .group_segment_fixed_size: 0
    .kernarg_segment_align: 8
    .kernarg_segment_size: 352
    .language:       OpenCL C
    .language_version:
      - 2
      - 0
    .max_flat_workgroup_size: 512
    .name:           _ZN9rocsolver6v33100L18getf2_small_kernelILi27E19rocblas_complex_numIdEiiPS3_EEvT1_T3_lS5_lPS5_llPT2_S5_S5_S7_l
    .private_segment_fixed_size: 0
    .sgpr_count:     30
    .sgpr_spill_count: 0
    .symbol:         _ZN9rocsolver6v33100L18getf2_small_kernelILi27E19rocblas_complex_numIdEiiPS3_EEvT1_T3_lS5_lPS5_llPT2_S5_S5_S7_l.kd
    .uniform_work_group_size: 1
    .uses_dynamic_stack: false
    .vgpr_count:     137
    .vgpr_spill_count: 0
    .wavefront_size: 64
  - .agpr_count:     0
    .args:
      - .offset:         0
        .size:           4
        .value_kind:     by_value
      - .address_space:  global
        .offset:         8
        .size:           8
        .value_kind:     global_buffer
      - .offset:         16
        .size:           8
        .value_kind:     by_value
      - .offset:         24
        .size:           4
        .value_kind:     by_value
      - .offset:         32
        .size:           8
        .value_kind:     by_value
      - .address_space:  global
        .offset:         40
        .size:           8
        .value_kind:     global_buffer
      - .offset:         48
        .size:           4
        .value_kind:     by_value
      - .offset:         52
        .size:           4
        .value_kind:     by_value
      - .offset:         56
        .size:           4
        .value_kind:     hidden_block_count_x
      - .offset:         60
        .size:           4
        .value_kind:     hidden_block_count_y
      - .offset:         64
        .size:           4
        .value_kind:     hidden_block_count_z
      - .offset:         68
        .size:           2
        .value_kind:     hidden_group_size_x
      - .offset:         70
        .size:           2
        .value_kind:     hidden_group_size_y
      - .offset:         72
        .size:           2
        .value_kind:     hidden_group_size_z
      - .offset:         74
        .size:           2
        .value_kind:     hidden_remainder_x
      - .offset:         76
        .size:           2
        .value_kind:     hidden_remainder_y
      - .offset:         78
        .size:           2
        .value_kind:     hidden_remainder_z
      - .offset:         96
        .size:           8
        .value_kind:     hidden_global_offset_x
      - .offset:         104
        .size:           8
        .value_kind:     hidden_global_offset_y
      - .offset:         112
        .size:           8
        .value_kind:     hidden_global_offset_z
      - .offset:         120
        .size:           2
        .value_kind:     hidden_grid_dims
      - .offset:         176
        .size:           4
        .value_kind:     hidden_dynamic_lds_size
    .group_segment_fixed_size: 0
    .kernarg_segment_align: 8
    .kernarg_segment_size: 312
    .language:       OpenCL C
    .language_version:
      - 2
      - 0
    .max_flat_workgroup_size: 512
    .name:           _ZN9rocsolver6v33100L23getf2_npvt_small_kernelILi27E19rocblas_complex_numIdEiiPS3_EEvT1_T3_lS5_lPT2_S5_S5_
    .private_segment_fixed_size: 132
    .sgpr_count:     22
    .sgpr_spill_count: 0
    .symbol:         _ZN9rocsolver6v33100L23getf2_npvt_small_kernelILi27E19rocblas_complex_numIdEiiPS3_EEvT1_T3_lS5_lPT2_S5_S5_.kd
    .uniform_work_group_size: 1
    .uses_dynamic_stack: false
    .vgpr_count:     256
    .vgpr_spill_count: 32
    .wavefront_size: 64
  - .agpr_count:     0
    .args:
      - .offset:         0
        .size:           4
        .value_kind:     by_value
      - .address_space:  global
        .offset:         8
        .size:           8
        .value_kind:     global_buffer
      - .offset:         16
        .size:           8
        .value_kind:     by_value
      - .offset:         24
        .size:           4
        .value_kind:     by_value
      - .offset:         32
        .size:           8
        .value_kind:     by_value
      - .address_space:  global
        .offset:         40
        .size:           8
        .value_kind:     global_buffer
      - .offset:         48
        .size:           8
        .value_kind:     by_value
      - .offset:         56
        .size:           8
        .value_kind:     by_value
      - .address_space:  global
        .offset:         64
        .size:           8
        .value_kind:     global_buffer
      - .offset:         72
        .size:           4
        .value_kind:     by_value
      - .offset:         76
        .size:           4
        .value_kind:     by_value
      - .address_space:  global
        .offset:         80
        .size:           8
        .value_kind:     global_buffer
      - .offset:         88
        .size:           8
        .value_kind:     by_value
      - .offset:         96
        .size:           4
        .value_kind:     hidden_block_count_x
      - .offset:         100
        .size:           4
        .value_kind:     hidden_block_count_y
      - .offset:         104
        .size:           4
        .value_kind:     hidden_block_count_z
      - .offset:         108
        .size:           2
        .value_kind:     hidden_group_size_x
      - .offset:         110
        .size:           2
        .value_kind:     hidden_group_size_y
      - .offset:         112
        .size:           2
        .value_kind:     hidden_group_size_z
      - .offset:         114
        .size:           2
        .value_kind:     hidden_remainder_x
      - .offset:         116
        .size:           2
        .value_kind:     hidden_remainder_y
      - .offset:         118
        .size:           2
        .value_kind:     hidden_remainder_z
      - .offset:         136
        .size:           8
        .value_kind:     hidden_global_offset_x
      - .offset:         144
        .size:           8
        .value_kind:     hidden_global_offset_y
      - .offset:         152
        .size:           8
        .value_kind:     hidden_global_offset_z
      - .offset:         160
        .size:           2
        .value_kind:     hidden_grid_dims
      - .offset:         216
        .size:           4
        .value_kind:     hidden_dynamic_lds_size
    .group_segment_fixed_size: 0
    .kernarg_segment_align: 8
    .kernarg_segment_size: 352
    .language:       OpenCL C
    .language_version:
      - 2
      - 0
    .max_flat_workgroup_size: 512
    .name:           _ZN9rocsolver6v33100L18getf2_small_kernelILi28E19rocblas_complex_numIdEiiPS3_EEvT1_T3_lS5_lPS5_llPT2_S5_S5_S7_l
    .private_segment_fixed_size: 0
    .sgpr_count:     30
    .sgpr_spill_count: 0
    .symbol:         _ZN9rocsolver6v33100L18getf2_small_kernelILi28E19rocblas_complex_numIdEiiPS3_EEvT1_T3_lS5_lPS5_llPT2_S5_S5_S7_l.kd
    .uniform_work_group_size: 1
    .uses_dynamic_stack: false
    .vgpr_count:     144
    .vgpr_spill_count: 0
    .wavefront_size: 64
  - .agpr_count:     0
    .args:
      - .offset:         0
        .size:           4
        .value_kind:     by_value
      - .address_space:  global
        .offset:         8
        .size:           8
        .value_kind:     global_buffer
      - .offset:         16
        .size:           8
        .value_kind:     by_value
      - .offset:         24
        .size:           4
        .value_kind:     by_value
      - .offset:         32
        .size:           8
        .value_kind:     by_value
      - .address_space:  global
        .offset:         40
        .size:           8
        .value_kind:     global_buffer
      - .offset:         48
        .size:           4
        .value_kind:     by_value
      - .offset:         52
        .size:           4
        .value_kind:     by_value
      - .offset:         56
        .size:           4
        .value_kind:     hidden_block_count_x
      - .offset:         60
        .size:           4
        .value_kind:     hidden_block_count_y
      - .offset:         64
        .size:           4
        .value_kind:     hidden_block_count_z
      - .offset:         68
        .size:           2
        .value_kind:     hidden_group_size_x
      - .offset:         70
        .size:           2
        .value_kind:     hidden_group_size_y
      - .offset:         72
        .size:           2
        .value_kind:     hidden_group_size_z
      - .offset:         74
        .size:           2
        .value_kind:     hidden_remainder_x
      - .offset:         76
        .size:           2
        .value_kind:     hidden_remainder_y
      - .offset:         78
        .size:           2
        .value_kind:     hidden_remainder_z
      - .offset:         96
        .size:           8
        .value_kind:     hidden_global_offset_x
      - .offset:         104
        .size:           8
        .value_kind:     hidden_global_offset_y
      - .offset:         112
        .size:           8
        .value_kind:     hidden_global_offset_z
      - .offset:         120
        .size:           2
        .value_kind:     hidden_grid_dims
      - .offset:         176
        .size:           4
        .value_kind:     hidden_dynamic_lds_size
    .group_segment_fixed_size: 0
    .kernarg_segment_align: 8
    .kernarg_segment_size: 312
    .language:       OpenCL C
    .language_version:
      - 2
      - 0
    .max_flat_workgroup_size: 512
    .name:           _ZN9rocsolver6v33100L23getf2_npvt_small_kernelILi28E19rocblas_complex_numIdEiiPS3_EEvT1_T3_lS5_lPT2_S5_S5_
    .private_segment_fixed_size: 172
    .sgpr_count:     22
    .sgpr_spill_count: 0
    .symbol:         _ZN9rocsolver6v33100L23getf2_npvt_small_kernelILi28E19rocblas_complex_numIdEiiPS3_EEvT1_T3_lS5_lPT2_S5_S5_.kd
    .uniform_work_group_size: 1
    .uses_dynamic_stack: false
    .vgpr_count:     256
    .vgpr_spill_count: 42
    .wavefront_size: 64
  - .agpr_count:     0
    .args:
      - .offset:         0
        .size:           4
        .value_kind:     by_value
      - .address_space:  global
        .offset:         8
        .size:           8
        .value_kind:     global_buffer
      - .offset:         16
        .size:           8
        .value_kind:     by_value
      - .offset:         24
        .size:           4
        .value_kind:     by_value
      - .offset:         32
        .size:           8
        .value_kind:     by_value
      - .address_space:  global
        .offset:         40
        .size:           8
        .value_kind:     global_buffer
      - .offset:         48
        .size:           8
        .value_kind:     by_value
      - .offset:         56
        .size:           8
        .value_kind:     by_value
      - .address_space:  global
        .offset:         64
        .size:           8
        .value_kind:     global_buffer
      - .offset:         72
        .size:           4
        .value_kind:     by_value
      - .offset:         76
        .size:           4
        .value_kind:     by_value
      - .address_space:  global
        .offset:         80
        .size:           8
        .value_kind:     global_buffer
      - .offset:         88
        .size:           8
        .value_kind:     by_value
      - .offset:         96
        .size:           4
        .value_kind:     hidden_block_count_x
      - .offset:         100
        .size:           4
        .value_kind:     hidden_block_count_y
      - .offset:         104
        .size:           4
        .value_kind:     hidden_block_count_z
      - .offset:         108
        .size:           2
        .value_kind:     hidden_group_size_x
      - .offset:         110
        .size:           2
        .value_kind:     hidden_group_size_y
      - .offset:         112
        .size:           2
        .value_kind:     hidden_group_size_z
      - .offset:         114
        .size:           2
        .value_kind:     hidden_remainder_x
      - .offset:         116
        .size:           2
        .value_kind:     hidden_remainder_y
      - .offset:         118
        .size:           2
        .value_kind:     hidden_remainder_z
      - .offset:         136
        .size:           8
        .value_kind:     hidden_global_offset_x
      - .offset:         144
        .size:           8
        .value_kind:     hidden_global_offset_y
      - .offset:         152
        .size:           8
        .value_kind:     hidden_global_offset_z
      - .offset:         160
        .size:           2
        .value_kind:     hidden_grid_dims
      - .offset:         216
        .size:           4
        .value_kind:     hidden_dynamic_lds_size
    .group_segment_fixed_size: 0
    .kernarg_segment_align: 8
    .kernarg_segment_size: 352
    .language:       OpenCL C
    .language_version:
      - 2
      - 0
    .max_flat_workgroup_size: 512
    .name:           _ZN9rocsolver6v33100L18getf2_small_kernelILi29E19rocblas_complex_numIdEiiPS3_EEvT1_T3_lS5_lPS5_llPT2_S5_S5_S7_l
    .private_segment_fixed_size: 0
    .sgpr_count:     30
    .sgpr_spill_count: 0
    .symbol:         _ZN9rocsolver6v33100L18getf2_small_kernelILi29E19rocblas_complex_numIdEiiPS3_EEvT1_T3_lS5_lPS5_llPT2_S5_S5_S7_l.kd
    .uniform_work_group_size: 1
    .uses_dynamic_stack: false
    .vgpr_count:     150
    .vgpr_spill_count: 0
    .wavefront_size: 64
  - .agpr_count:     0
    .args:
      - .offset:         0
        .size:           4
        .value_kind:     by_value
      - .address_space:  global
        .offset:         8
        .size:           8
        .value_kind:     global_buffer
      - .offset:         16
        .size:           8
        .value_kind:     by_value
      - .offset:         24
        .size:           4
        .value_kind:     by_value
      - .offset:         32
        .size:           8
        .value_kind:     by_value
      - .address_space:  global
        .offset:         40
        .size:           8
        .value_kind:     global_buffer
      - .offset:         48
        .size:           4
        .value_kind:     by_value
      - .offset:         52
        .size:           4
        .value_kind:     by_value
      - .offset:         56
        .size:           4
        .value_kind:     hidden_block_count_x
      - .offset:         60
        .size:           4
        .value_kind:     hidden_block_count_y
      - .offset:         64
        .size:           4
        .value_kind:     hidden_block_count_z
      - .offset:         68
        .size:           2
        .value_kind:     hidden_group_size_x
      - .offset:         70
        .size:           2
        .value_kind:     hidden_group_size_y
      - .offset:         72
        .size:           2
        .value_kind:     hidden_group_size_z
      - .offset:         74
        .size:           2
        .value_kind:     hidden_remainder_x
      - .offset:         76
        .size:           2
        .value_kind:     hidden_remainder_y
      - .offset:         78
        .size:           2
        .value_kind:     hidden_remainder_z
      - .offset:         96
        .size:           8
        .value_kind:     hidden_global_offset_x
      - .offset:         104
        .size:           8
        .value_kind:     hidden_global_offset_y
      - .offset:         112
        .size:           8
        .value_kind:     hidden_global_offset_z
      - .offset:         120
        .size:           2
        .value_kind:     hidden_grid_dims
      - .offset:         176
        .size:           4
        .value_kind:     hidden_dynamic_lds_size
    .group_segment_fixed_size: 0
    .kernarg_segment_align: 8
    .kernarg_segment_size: 312
    .language:       OpenCL C
    .language_version:
      - 2
      - 0
    .max_flat_workgroup_size: 512
    .name:           _ZN9rocsolver6v33100L23getf2_npvt_small_kernelILi29E19rocblas_complex_numIdEiiPS3_EEvT1_T3_lS5_lPT2_S5_S5_
    .private_segment_fixed_size: 204
    .sgpr_count:     22
    .sgpr_spill_count: 0
    .symbol:         _ZN9rocsolver6v33100L23getf2_npvt_small_kernelILi29E19rocblas_complex_numIdEiiPS3_EEvT1_T3_lS5_lPT2_S5_S5_.kd
    .uniform_work_group_size: 1
    .uses_dynamic_stack: false
    .vgpr_count:     256
    .vgpr_spill_count: 50
    .wavefront_size: 64
  - .agpr_count:     0
    .args:
      - .offset:         0
        .size:           4
        .value_kind:     by_value
      - .address_space:  global
        .offset:         8
        .size:           8
        .value_kind:     global_buffer
      - .offset:         16
        .size:           8
        .value_kind:     by_value
      - .offset:         24
        .size:           4
        .value_kind:     by_value
      - .offset:         32
        .size:           8
        .value_kind:     by_value
      - .address_space:  global
        .offset:         40
        .size:           8
        .value_kind:     global_buffer
      - .offset:         48
        .size:           8
        .value_kind:     by_value
      - .offset:         56
        .size:           8
        .value_kind:     by_value
      - .address_space:  global
        .offset:         64
        .size:           8
        .value_kind:     global_buffer
      - .offset:         72
        .size:           4
        .value_kind:     by_value
      - .offset:         76
        .size:           4
        .value_kind:     by_value
      - .address_space:  global
        .offset:         80
        .size:           8
        .value_kind:     global_buffer
      - .offset:         88
        .size:           8
        .value_kind:     by_value
      - .offset:         96
        .size:           4
        .value_kind:     hidden_block_count_x
      - .offset:         100
        .size:           4
        .value_kind:     hidden_block_count_y
      - .offset:         104
        .size:           4
        .value_kind:     hidden_block_count_z
      - .offset:         108
        .size:           2
        .value_kind:     hidden_group_size_x
      - .offset:         110
        .size:           2
        .value_kind:     hidden_group_size_y
      - .offset:         112
        .size:           2
        .value_kind:     hidden_group_size_z
      - .offset:         114
        .size:           2
        .value_kind:     hidden_remainder_x
      - .offset:         116
        .size:           2
        .value_kind:     hidden_remainder_y
      - .offset:         118
        .size:           2
        .value_kind:     hidden_remainder_z
      - .offset:         136
        .size:           8
        .value_kind:     hidden_global_offset_x
      - .offset:         144
        .size:           8
        .value_kind:     hidden_global_offset_y
      - .offset:         152
        .size:           8
        .value_kind:     hidden_global_offset_z
      - .offset:         160
        .size:           2
        .value_kind:     hidden_grid_dims
      - .offset:         216
        .size:           4
        .value_kind:     hidden_dynamic_lds_size
    .group_segment_fixed_size: 0
    .kernarg_segment_align: 8
    .kernarg_segment_size: 352
    .language:       OpenCL C
    .language_version:
      - 2
      - 0
    .max_flat_workgroup_size: 512
    .name:           _ZN9rocsolver6v33100L18getf2_small_kernelILi30E19rocblas_complex_numIdEiiPS3_EEvT1_T3_lS5_lPS5_llPT2_S5_S5_S7_l
    .private_segment_fixed_size: 0
    .sgpr_count:     30
    .sgpr_spill_count: 0
    .symbol:         _ZN9rocsolver6v33100L18getf2_small_kernelILi30E19rocblas_complex_numIdEiiPS3_EEvT1_T3_lS5_lPS5_llPT2_S5_S5_S7_l.kd
    .uniform_work_group_size: 1
    .uses_dynamic_stack: false
    .vgpr_count:     156
    .vgpr_spill_count: 0
    .wavefront_size: 64
  - .agpr_count:     0
    .args:
      - .offset:         0
        .size:           4
        .value_kind:     by_value
      - .address_space:  global
        .offset:         8
        .size:           8
        .value_kind:     global_buffer
      - .offset:         16
        .size:           8
        .value_kind:     by_value
      - .offset:         24
        .size:           4
        .value_kind:     by_value
      - .offset:         32
        .size:           8
        .value_kind:     by_value
      - .address_space:  global
        .offset:         40
        .size:           8
        .value_kind:     global_buffer
      - .offset:         48
        .size:           4
        .value_kind:     by_value
      - .offset:         52
        .size:           4
        .value_kind:     by_value
      - .offset:         56
        .size:           4
        .value_kind:     hidden_block_count_x
      - .offset:         60
        .size:           4
        .value_kind:     hidden_block_count_y
      - .offset:         64
        .size:           4
        .value_kind:     hidden_block_count_z
      - .offset:         68
        .size:           2
        .value_kind:     hidden_group_size_x
      - .offset:         70
        .size:           2
        .value_kind:     hidden_group_size_y
      - .offset:         72
        .size:           2
        .value_kind:     hidden_group_size_z
      - .offset:         74
        .size:           2
        .value_kind:     hidden_remainder_x
      - .offset:         76
        .size:           2
        .value_kind:     hidden_remainder_y
      - .offset:         78
        .size:           2
        .value_kind:     hidden_remainder_z
      - .offset:         96
        .size:           8
        .value_kind:     hidden_global_offset_x
      - .offset:         104
        .size:           8
        .value_kind:     hidden_global_offset_y
      - .offset:         112
        .size:           8
        .value_kind:     hidden_global_offset_z
      - .offset:         120
        .size:           2
        .value_kind:     hidden_grid_dims
      - .offset:         176
        .size:           4
        .value_kind:     hidden_dynamic_lds_size
    .group_segment_fixed_size: 0
    .kernarg_segment_align: 8
    .kernarg_segment_size: 312
    .language:       OpenCL C
    .language_version:
      - 2
      - 0
    .max_flat_workgroup_size: 512
    .name:           _ZN9rocsolver6v33100L23getf2_npvt_small_kernelILi30E19rocblas_complex_numIdEiiPS3_EEvT1_T3_lS5_lPT2_S5_S5_
    .private_segment_fixed_size: 252
    .sgpr_count:     22
    .sgpr_spill_count: 0
    .symbol:         _ZN9rocsolver6v33100L23getf2_npvt_small_kernelILi30E19rocblas_complex_numIdEiiPS3_EEvT1_T3_lS5_lPT2_S5_S5_.kd
    .uniform_work_group_size: 1
    .uses_dynamic_stack: false
    .vgpr_count:     256
    .vgpr_spill_count: 66
    .wavefront_size: 64
  - .agpr_count:     0
    .args:
      - .offset:         0
        .size:           4
        .value_kind:     by_value
      - .address_space:  global
        .offset:         8
        .size:           8
        .value_kind:     global_buffer
      - .offset:         16
        .size:           8
        .value_kind:     by_value
      - .offset:         24
        .size:           4
        .value_kind:     by_value
      - .offset:         32
        .size:           8
        .value_kind:     by_value
      - .address_space:  global
        .offset:         40
        .size:           8
        .value_kind:     global_buffer
      - .offset:         48
        .size:           8
        .value_kind:     by_value
      - .offset:         56
        .size:           8
        .value_kind:     by_value
      - .address_space:  global
        .offset:         64
        .size:           8
        .value_kind:     global_buffer
      - .offset:         72
        .size:           4
        .value_kind:     by_value
      - .offset:         76
        .size:           4
        .value_kind:     by_value
      - .address_space:  global
        .offset:         80
        .size:           8
        .value_kind:     global_buffer
      - .offset:         88
        .size:           8
        .value_kind:     by_value
      - .offset:         96
        .size:           4
        .value_kind:     hidden_block_count_x
      - .offset:         100
        .size:           4
        .value_kind:     hidden_block_count_y
      - .offset:         104
        .size:           4
        .value_kind:     hidden_block_count_z
      - .offset:         108
        .size:           2
        .value_kind:     hidden_group_size_x
      - .offset:         110
        .size:           2
        .value_kind:     hidden_group_size_y
      - .offset:         112
        .size:           2
        .value_kind:     hidden_group_size_z
      - .offset:         114
        .size:           2
        .value_kind:     hidden_remainder_x
      - .offset:         116
        .size:           2
        .value_kind:     hidden_remainder_y
      - .offset:         118
        .size:           2
        .value_kind:     hidden_remainder_z
      - .offset:         136
        .size:           8
        .value_kind:     hidden_global_offset_x
      - .offset:         144
        .size:           8
        .value_kind:     hidden_global_offset_y
      - .offset:         152
        .size:           8
        .value_kind:     hidden_global_offset_z
      - .offset:         160
        .size:           2
        .value_kind:     hidden_grid_dims
      - .offset:         216
        .size:           4
        .value_kind:     hidden_dynamic_lds_size
    .group_segment_fixed_size: 0
    .kernarg_segment_align: 8
    .kernarg_segment_size: 352
    .language:       OpenCL C
    .language_version:
      - 2
      - 0
    .max_flat_workgroup_size: 512
    .name:           _ZN9rocsolver6v33100L18getf2_small_kernelILi31E19rocblas_complex_numIdEiiPS3_EEvT1_T3_lS5_lPS5_llPT2_S5_S5_S7_l
    .private_segment_fixed_size: 0
    .sgpr_count:     30
    .sgpr_spill_count: 0
    .symbol:         _ZN9rocsolver6v33100L18getf2_small_kernelILi31E19rocblas_complex_numIdEiiPS3_EEvT1_T3_lS5_lPS5_llPT2_S5_S5_S7_l.kd
    .uniform_work_group_size: 1
    .uses_dynamic_stack: false
    .vgpr_count:     154
    .vgpr_spill_count: 0
    .wavefront_size: 64
  - .agpr_count:     0
    .args:
      - .offset:         0
        .size:           4
        .value_kind:     by_value
      - .address_space:  global
        .offset:         8
        .size:           8
        .value_kind:     global_buffer
      - .offset:         16
        .size:           8
        .value_kind:     by_value
      - .offset:         24
        .size:           4
        .value_kind:     by_value
      - .offset:         32
        .size:           8
        .value_kind:     by_value
      - .address_space:  global
        .offset:         40
        .size:           8
        .value_kind:     global_buffer
      - .offset:         48
        .size:           4
        .value_kind:     by_value
      - .offset:         52
        .size:           4
        .value_kind:     by_value
      - .offset:         56
        .size:           4
        .value_kind:     hidden_block_count_x
      - .offset:         60
        .size:           4
        .value_kind:     hidden_block_count_y
      - .offset:         64
        .size:           4
        .value_kind:     hidden_block_count_z
      - .offset:         68
        .size:           2
        .value_kind:     hidden_group_size_x
      - .offset:         70
        .size:           2
        .value_kind:     hidden_group_size_y
      - .offset:         72
        .size:           2
        .value_kind:     hidden_group_size_z
      - .offset:         74
        .size:           2
        .value_kind:     hidden_remainder_x
      - .offset:         76
        .size:           2
        .value_kind:     hidden_remainder_y
      - .offset:         78
        .size:           2
        .value_kind:     hidden_remainder_z
      - .offset:         96
        .size:           8
        .value_kind:     hidden_global_offset_x
      - .offset:         104
        .size:           8
        .value_kind:     hidden_global_offset_y
      - .offset:         112
        .size:           8
        .value_kind:     hidden_global_offset_z
      - .offset:         120
        .size:           2
        .value_kind:     hidden_grid_dims
      - .offset:         176
        .size:           4
        .value_kind:     hidden_dynamic_lds_size
    .group_segment_fixed_size: 0
    .kernarg_segment_align: 8
    .kernarg_segment_size: 312
    .language:       OpenCL C
    .language_version:
      - 2
      - 0
    .max_flat_workgroup_size: 512
    .name:           _ZN9rocsolver6v33100L23getf2_npvt_small_kernelILi31E19rocblas_complex_numIdEiiPS3_EEvT1_T3_lS5_lPT2_S5_S5_
    .private_segment_fixed_size: 292
    .sgpr_count:     22
    .sgpr_spill_count: 0
    .symbol:         _ZN9rocsolver6v33100L23getf2_npvt_small_kernelILi31E19rocblas_complex_numIdEiiPS3_EEvT1_T3_lS5_lPT2_S5_S5_.kd
    .uniform_work_group_size: 1
    .uses_dynamic_stack: false
    .vgpr_count:     256
    .vgpr_spill_count: 72
    .wavefront_size: 64
  - .agpr_count:     0
    .args:
      - .offset:         0
        .size:           4
        .value_kind:     by_value
      - .address_space:  global
        .offset:         8
        .size:           8
        .value_kind:     global_buffer
      - .offset:         16
        .size:           8
        .value_kind:     by_value
      - .offset:         24
        .size:           4
        .value_kind:     by_value
      - .offset:         32
        .size:           8
        .value_kind:     by_value
      - .address_space:  global
        .offset:         40
        .size:           8
        .value_kind:     global_buffer
      - .offset:         48
        .size:           8
        .value_kind:     by_value
      - .offset:         56
        .size:           8
        .value_kind:     by_value
      - .address_space:  global
        .offset:         64
        .size:           8
        .value_kind:     global_buffer
      - .offset:         72
        .size:           4
        .value_kind:     by_value
      - .offset:         76
        .size:           4
        .value_kind:     by_value
      - .address_space:  global
        .offset:         80
        .size:           8
        .value_kind:     global_buffer
      - .offset:         88
        .size:           8
        .value_kind:     by_value
      - .offset:         96
        .size:           4
        .value_kind:     hidden_block_count_x
      - .offset:         100
        .size:           4
        .value_kind:     hidden_block_count_y
      - .offset:         104
        .size:           4
        .value_kind:     hidden_block_count_z
      - .offset:         108
        .size:           2
        .value_kind:     hidden_group_size_x
      - .offset:         110
        .size:           2
        .value_kind:     hidden_group_size_y
      - .offset:         112
        .size:           2
        .value_kind:     hidden_group_size_z
      - .offset:         114
        .size:           2
        .value_kind:     hidden_remainder_x
      - .offset:         116
        .size:           2
        .value_kind:     hidden_remainder_y
      - .offset:         118
        .size:           2
        .value_kind:     hidden_remainder_z
      - .offset:         136
        .size:           8
        .value_kind:     hidden_global_offset_x
      - .offset:         144
        .size:           8
        .value_kind:     hidden_global_offset_y
      - .offset:         152
        .size:           8
        .value_kind:     hidden_global_offset_z
      - .offset:         160
        .size:           2
        .value_kind:     hidden_grid_dims
      - .offset:         216
        .size:           4
        .value_kind:     hidden_dynamic_lds_size
    .group_segment_fixed_size: 0
    .kernarg_segment_align: 8
    .kernarg_segment_size: 352
    .language:       OpenCL C
    .language_version:
      - 2
      - 0
    .max_flat_workgroup_size: 512
    .name:           _ZN9rocsolver6v33100L18getf2_small_kernelILi32E19rocblas_complex_numIdEiiPS3_EEvT1_T3_lS5_lPS5_llPT2_S5_S5_S7_l
    .private_segment_fixed_size: 0
    .sgpr_count:     30
    .sgpr_spill_count: 0
    .symbol:         _ZN9rocsolver6v33100L18getf2_small_kernelILi32E19rocblas_complex_numIdEiiPS3_EEvT1_T3_lS5_lPS5_llPT2_S5_S5_S7_l.kd
    .uniform_work_group_size: 1
    .uses_dynamic_stack: false
    .vgpr_count:     160
    .vgpr_spill_count: 0
    .wavefront_size: 64
  - .agpr_count:     0
    .args:
      - .offset:         0
        .size:           4
        .value_kind:     by_value
      - .address_space:  global
        .offset:         8
        .size:           8
        .value_kind:     global_buffer
      - .offset:         16
        .size:           8
        .value_kind:     by_value
      - .offset:         24
        .size:           4
        .value_kind:     by_value
      - .offset:         32
        .size:           8
        .value_kind:     by_value
      - .address_space:  global
        .offset:         40
        .size:           8
        .value_kind:     global_buffer
      - .offset:         48
        .size:           4
        .value_kind:     by_value
      - .offset:         52
        .size:           4
        .value_kind:     by_value
      - .offset:         56
        .size:           4
        .value_kind:     hidden_block_count_x
      - .offset:         60
        .size:           4
        .value_kind:     hidden_block_count_y
      - .offset:         64
        .size:           4
        .value_kind:     hidden_block_count_z
      - .offset:         68
        .size:           2
        .value_kind:     hidden_group_size_x
      - .offset:         70
        .size:           2
        .value_kind:     hidden_group_size_y
      - .offset:         72
        .size:           2
        .value_kind:     hidden_group_size_z
      - .offset:         74
        .size:           2
        .value_kind:     hidden_remainder_x
      - .offset:         76
        .size:           2
        .value_kind:     hidden_remainder_y
      - .offset:         78
        .size:           2
        .value_kind:     hidden_remainder_z
      - .offset:         96
        .size:           8
        .value_kind:     hidden_global_offset_x
      - .offset:         104
        .size:           8
        .value_kind:     hidden_global_offset_y
      - .offset:         112
        .size:           8
        .value_kind:     hidden_global_offset_z
      - .offset:         120
        .size:           2
        .value_kind:     hidden_grid_dims
      - .offset:         176
        .size:           4
        .value_kind:     hidden_dynamic_lds_size
    .group_segment_fixed_size: 0
    .kernarg_segment_align: 8
    .kernarg_segment_size: 312
    .language:       OpenCL C
    .language_version:
      - 2
      - 0
    .max_flat_workgroup_size: 512
    .name:           _ZN9rocsolver6v33100L23getf2_npvt_small_kernelILi32E19rocblas_complex_numIdEiiPS3_EEvT1_T3_lS5_lPT2_S5_S5_
    .private_segment_fixed_size: 348
    .sgpr_count:     22
    .sgpr_spill_count: 0
    .symbol:         _ZN9rocsolver6v33100L23getf2_npvt_small_kernelILi32E19rocblas_complex_numIdEiiPS3_EEvT1_T3_lS5_lPT2_S5_S5_.kd
    .uniform_work_group_size: 1
    .uses_dynamic_stack: false
    .vgpr_count:     256
    .vgpr_spill_count: 142
    .wavefront_size: 64
  - .agpr_count:     0
    .args:
      - .offset:         0
        .size:           4
        .value_kind:     by_value
      - .address_space:  global
        .offset:         8
        .size:           8
        .value_kind:     global_buffer
      - .offset:         16
        .size:           8
        .value_kind:     by_value
      - .offset:         24
        .size:           4
        .value_kind:     by_value
      - .offset:         32
        .size:           8
        .value_kind:     by_value
      - .address_space:  global
        .offset:         40
        .size:           8
        .value_kind:     global_buffer
      - .offset:         48
        .size:           8
        .value_kind:     by_value
      - .offset:         56
        .size:           8
        .value_kind:     by_value
      - .address_space:  global
        .offset:         64
        .size:           8
        .value_kind:     global_buffer
      - .offset:         72
        .size:           4
        .value_kind:     by_value
      - .offset:         76
        .size:           4
        .value_kind:     by_value
      - .address_space:  global
        .offset:         80
        .size:           8
        .value_kind:     global_buffer
      - .offset:         88
        .size:           8
        .value_kind:     by_value
      - .offset:         96
        .size:           4
        .value_kind:     hidden_block_count_x
      - .offset:         100
        .size:           4
        .value_kind:     hidden_block_count_y
      - .offset:         104
        .size:           4
        .value_kind:     hidden_block_count_z
      - .offset:         108
        .size:           2
        .value_kind:     hidden_group_size_x
      - .offset:         110
        .size:           2
        .value_kind:     hidden_group_size_y
      - .offset:         112
        .size:           2
        .value_kind:     hidden_group_size_z
      - .offset:         114
        .size:           2
        .value_kind:     hidden_remainder_x
      - .offset:         116
        .size:           2
        .value_kind:     hidden_remainder_y
      - .offset:         118
        .size:           2
        .value_kind:     hidden_remainder_z
      - .offset:         136
        .size:           8
        .value_kind:     hidden_global_offset_x
      - .offset:         144
        .size:           8
        .value_kind:     hidden_global_offset_y
      - .offset:         152
        .size:           8
        .value_kind:     hidden_global_offset_z
      - .offset:         160
        .size:           2
        .value_kind:     hidden_grid_dims
      - .offset:         216
        .size:           4
        .value_kind:     hidden_dynamic_lds_size
    .group_segment_fixed_size: 0
    .kernarg_segment_align: 8
    .kernarg_segment_size: 352
    .language:       OpenCL C
    .language_version:
      - 2
      - 0
    .max_flat_workgroup_size: 512
    .name:           _ZN9rocsolver6v33100L18getf2_small_kernelILi33E19rocblas_complex_numIdEiiPS3_EEvT1_T3_lS5_lPS5_llPT2_S5_S5_S7_l
    .private_segment_fixed_size: 0
    .sgpr_count:     30
    .sgpr_spill_count: 0
    .symbol:         _ZN9rocsolver6v33100L18getf2_small_kernelILi33E19rocblas_complex_numIdEiiPS3_EEvT1_T3_lS5_lPS5_llPT2_S5_S5_S7_l.kd
    .uniform_work_group_size: 1
    .uses_dynamic_stack: false
    .vgpr_count:     166
    .vgpr_spill_count: 0
    .wavefront_size: 64
  - .agpr_count:     0
    .args:
      - .offset:         0
        .size:           4
        .value_kind:     by_value
      - .address_space:  global
        .offset:         8
        .size:           8
        .value_kind:     global_buffer
      - .offset:         16
        .size:           8
        .value_kind:     by_value
      - .offset:         24
        .size:           4
        .value_kind:     by_value
      - .offset:         32
        .size:           8
        .value_kind:     by_value
      - .address_space:  global
        .offset:         40
        .size:           8
        .value_kind:     global_buffer
      - .offset:         48
        .size:           4
        .value_kind:     by_value
      - .offset:         52
        .size:           4
        .value_kind:     by_value
      - .offset:         56
        .size:           4
        .value_kind:     hidden_block_count_x
      - .offset:         60
        .size:           4
        .value_kind:     hidden_block_count_y
      - .offset:         64
        .size:           4
        .value_kind:     hidden_block_count_z
      - .offset:         68
        .size:           2
        .value_kind:     hidden_group_size_x
      - .offset:         70
        .size:           2
        .value_kind:     hidden_group_size_y
      - .offset:         72
        .size:           2
        .value_kind:     hidden_group_size_z
      - .offset:         74
        .size:           2
        .value_kind:     hidden_remainder_x
      - .offset:         76
        .size:           2
        .value_kind:     hidden_remainder_y
      - .offset:         78
        .size:           2
        .value_kind:     hidden_remainder_z
      - .offset:         96
        .size:           8
        .value_kind:     hidden_global_offset_x
      - .offset:         104
        .size:           8
        .value_kind:     hidden_global_offset_y
      - .offset:         112
        .size:           8
        .value_kind:     hidden_global_offset_z
      - .offset:         120
        .size:           2
        .value_kind:     hidden_grid_dims
      - .offset:         176
        .size:           4
        .value_kind:     hidden_dynamic_lds_size
    .group_segment_fixed_size: 0
    .kernarg_segment_align: 8
    .kernarg_segment_size: 312
    .language:       OpenCL C
    .language_version:
      - 2
      - 0
    .max_flat_workgroup_size: 512
    .name:           _ZN9rocsolver6v33100L23getf2_npvt_small_kernelILi33E19rocblas_complex_numIdEiiPS3_EEvT1_T3_lS5_lPT2_S5_S5_
    .private_segment_fixed_size: 348
    .sgpr_count:     22
    .sgpr_spill_count: 0
    .symbol:         _ZN9rocsolver6v33100L23getf2_npvt_small_kernelILi33E19rocblas_complex_numIdEiiPS3_EEvT1_T3_lS5_lPT2_S5_S5_.kd
    .uniform_work_group_size: 1
    .uses_dynamic_stack: false
    .vgpr_count:     256
    .vgpr_spill_count: 86
    .wavefront_size: 64
  - .agpr_count:     0
    .args:
      - .offset:         0
        .size:           4
        .value_kind:     by_value
      - .address_space:  global
        .offset:         8
        .size:           8
        .value_kind:     global_buffer
      - .offset:         16
        .size:           8
        .value_kind:     by_value
      - .offset:         24
        .size:           4
        .value_kind:     by_value
      - .offset:         32
        .size:           8
        .value_kind:     by_value
      - .address_space:  global
        .offset:         40
        .size:           8
        .value_kind:     global_buffer
      - .offset:         48
        .size:           8
        .value_kind:     by_value
      - .offset:         56
        .size:           8
        .value_kind:     by_value
      - .address_space:  global
        .offset:         64
        .size:           8
        .value_kind:     global_buffer
      - .offset:         72
        .size:           4
        .value_kind:     by_value
      - .offset:         76
        .size:           4
        .value_kind:     by_value
      - .address_space:  global
        .offset:         80
        .size:           8
        .value_kind:     global_buffer
      - .offset:         88
        .size:           8
        .value_kind:     by_value
      - .offset:         96
        .size:           4
        .value_kind:     hidden_block_count_x
      - .offset:         100
        .size:           4
        .value_kind:     hidden_block_count_y
      - .offset:         104
        .size:           4
        .value_kind:     hidden_block_count_z
      - .offset:         108
        .size:           2
        .value_kind:     hidden_group_size_x
      - .offset:         110
        .size:           2
        .value_kind:     hidden_group_size_y
      - .offset:         112
        .size:           2
        .value_kind:     hidden_group_size_z
      - .offset:         114
        .size:           2
        .value_kind:     hidden_remainder_x
      - .offset:         116
        .size:           2
        .value_kind:     hidden_remainder_y
      - .offset:         118
        .size:           2
        .value_kind:     hidden_remainder_z
      - .offset:         136
        .size:           8
        .value_kind:     hidden_global_offset_x
      - .offset:         144
        .size:           8
        .value_kind:     hidden_global_offset_y
      - .offset:         152
        .size:           8
        .value_kind:     hidden_global_offset_z
      - .offset:         160
        .size:           2
        .value_kind:     hidden_grid_dims
      - .offset:         216
        .size:           4
        .value_kind:     hidden_dynamic_lds_size
    .group_segment_fixed_size: 0
    .kernarg_segment_align: 8
    .kernarg_segment_size: 352
    .language:       OpenCL C
    .language_version:
      - 2
      - 0
    .max_flat_workgroup_size: 512
    .name:           _ZN9rocsolver6v33100L18getf2_small_kernelILi34E19rocblas_complex_numIdEiiPS3_EEvT1_T3_lS5_lPS5_llPT2_S5_S5_S7_l
    .private_segment_fixed_size: 0
    .sgpr_count:     30
    .sgpr_spill_count: 0
    .symbol:         _ZN9rocsolver6v33100L18getf2_small_kernelILi34E19rocblas_complex_numIdEiiPS3_EEvT1_T3_lS5_lPS5_llPT2_S5_S5_S7_l.kd
    .uniform_work_group_size: 1
    .uses_dynamic_stack: false
    .vgpr_count:     166
    .vgpr_spill_count: 0
    .wavefront_size: 64
  - .agpr_count:     0
    .args:
      - .offset:         0
        .size:           4
        .value_kind:     by_value
      - .address_space:  global
        .offset:         8
        .size:           8
        .value_kind:     global_buffer
      - .offset:         16
        .size:           8
        .value_kind:     by_value
      - .offset:         24
        .size:           4
        .value_kind:     by_value
      - .offset:         32
        .size:           8
        .value_kind:     by_value
      - .address_space:  global
        .offset:         40
        .size:           8
        .value_kind:     global_buffer
      - .offset:         48
        .size:           4
        .value_kind:     by_value
      - .offset:         52
        .size:           4
        .value_kind:     by_value
      - .offset:         56
        .size:           4
        .value_kind:     hidden_block_count_x
      - .offset:         60
        .size:           4
        .value_kind:     hidden_block_count_y
      - .offset:         64
        .size:           4
        .value_kind:     hidden_block_count_z
      - .offset:         68
        .size:           2
        .value_kind:     hidden_group_size_x
      - .offset:         70
        .size:           2
        .value_kind:     hidden_group_size_y
      - .offset:         72
        .size:           2
        .value_kind:     hidden_group_size_z
      - .offset:         74
        .size:           2
        .value_kind:     hidden_remainder_x
      - .offset:         76
        .size:           2
        .value_kind:     hidden_remainder_y
      - .offset:         78
        .size:           2
        .value_kind:     hidden_remainder_z
      - .offset:         96
        .size:           8
        .value_kind:     hidden_global_offset_x
      - .offset:         104
        .size:           8
        .value_kind:     hidden_global_offset_y
      - .offset:         112
        .size:           8
        .value_kind:     hidden_global_offset_z
      - .offset:         120
        .size:           2
        .value_kind:     hidden_grid_dims
      - .offset:         176
        .size:           4
        .value_kind:     hidden_dynamic_lds_size
    .group_segment_fixed_size: 0
    .kernarg_segment_align: 8
    .kernarg_segment_size: 312
    .language:       OpenCL C
    .language_version:
      - 2
      - 0
    .max_flat_workgroup_size: 512
    .name:           _ZN9rocsolver6v33100L23getf2_npvt_small_kernelILi34E19rocblas_complex_numIdEiiPS3_EEvT1_T3_lS5_lPT2_S5_S5_
    .private_segment_fixed_size: 396
    .sgpr_count:     22
    .sgpr_spill_count: 0
    .symbol:         _ZN9rocsolver6v33100L23getf2_npvt_small_kernelILi34E19rocblas_complex_numIdEiiPS3_EEvT1_T3_lS5_lPT2_S5_S5_.kd
    .uniform_work_group_size: 1
    .uses_dynamic_stack: false
    .vgpr_count:     256
    .vgpr_spill_count: 98
    .wavefront_size: 64
  - .agpr_count:     0
    .args:
      - .offset:         0
        .size:           4
        .value_kind:     by_value
      - .address_space:  global
        .offset:         8
        .size:           8
        .value_kind:     global_buffer
      - .offset:         16
        .size:           8
        .value_kind:     by_value
      - .offset:         24
        .size:           4
        .value_kind:     by_value
      - .offset:         32
        .size:           8
        .value_kind:     by_value
      - .address_space:  global
        .offset:         40
        .size:           8
        .value_kind:     global_buffer
      - .offset:         48
        .size:           8
        .value_kind:     by_value
      - .offset:         56
        .size:           8
        .value_kind:     by_value
      - .address_space:  global
        .offset:         64
        .size:           8
        .value_kind:     global_buffer
      - .offset:         72
        .size:           4
        .value_kind:     by_value
      - .offset:         76
        .size:           4
        .value_kind:     by_value
      - .address_space:  global
        .offset:         80
        .size:           8
        .value_kind:     global_buffer
      - .offset:         88
        .size:           8
        .value_kind:     by_value
      - .offset:         96
        .size:           4
        .value_kind:     hidden_block_count_x
      - .offset:         100
        .size:           4
        .value_kind:     hidden_block_count_y
      - .offset:         104
        .size:           4
        .value_kind:     hidden_block_count_z
      - .offset:         108
        .size:           2
        .value_kind:     hidden_group_size_x
      - .offset:         110
        .size:           2
        .value_kind:     hidden_group_size_y
      - .offset:         112
        .size:           2
        .value_kind:     hidden_group_size_z
      - .offset:         114
        .size:           2
        .value_kind:     hidden_remainder_x
      - .offset:         116
        .size:           2
        .value_kind:     hidden_remainder_y
      - .offset:         118
        .size:           2
        .value_kind:     hidden_remainder_z
      - .offset:         136
        .size:           8
        .value_kind:     hidden_global_offset_x
      - .offset:         144
        .size:           8
        .value_kind:     hidden_global_offset_y
      - .offset:         152
        .size:           8
        .value_kind:     hidden_global_offset_z
      - .offset:         160
        .size:           2
        .value_kind:     hidden_grid_dims
      - .offset:         216
        .size:           4
        .value_kind:     hidden_dynamic_lds_size
    .group_segment_fixed_size: 0
    .kernarg_segment_align: 8
    .kernarg_segment_size: 352
    .language:       OpenCL C
    .language_version:
      - 2
      - 0
    .max_flat_workgroup_size: 512
    .name:           _ZN9rocsolver6v33100L18getf2_small_kernelILi35E19rocblas_complex_numIdEiiPS3_EEvT1_T3_lS5_lPS5_llPT2_S5_S5_S7_l
    .private_segment_fixed_size: 0
    .sgpr_count:     30
    .sgpr_spill_count: 0
    .symbol:         _ZN9rocsolver6v33100L18getf2_small_kernelILi35E19rocblas_complex_numIdEiiPS3_EEvT1_T3_lS5_lPS5_llPT2_S5_S5_S7_l.kd
    .uniform_work_group_size: 1
    .uses_dynamic_stack: false
    .vgpr_count:     172
    .vgpr_spill_count: 0
    .wavefront_size: 64
  - .agpr_count:     0
    .args:
      - .offset:         0
        .size:           4
        .value_kind:     by_value
      - .address_space:  global
        .offset:         8
        .size:           8
        .value_kind:     global_buffer
      - .offset:         16
        .size:           8
        .value_kind:     by_value
      - .offset:         24
        .size:           4
        .value_kind:     by_value
      - .offset:         32
        .size:           8
        .value_kind:     by_value
      - .address_space:  global
        .offset:         40
        .size:           8
        .value_kind:     global_buffer
      - .offset:         48
        .size:           4
        .value_kind:     by_value
      - .offset:         52
        .size:           4
        .value_kind:     by_value
      - .offset:         56
        .size:           4
        .value_kind:     hidden_block_count_x
      - .offset:         60
        .size:           4
        .value_kind:     hidden_block_count_y
      - .offset:         64
        .size:           4
        .value_kind:     hidden_block_count_z
      - .offset:         68
        .size:           2
        .value_kind:     hidden_group_size_x
      - .offset:         70
        .size:           2
        .value_kind:     hidden_group_size_y
      - .offset:         72
        .size:           2
        .value_kind:     hidden_group_size_z
      - .offset:         74
        .size:           2
        .value_kind:     hidden_remainder_x
      - .offset:         76
        .size:           2
        .value_kind:     hidden_remainder_y
      - .offset:         78
        .size:           2
        .value_kind:     hidden_remainder_z
      - .offset:         96
        .size:           8
        .value_kind:     hidden_global_offset_x
      - .offset:         104
        .size:           8
        .value_kind:     hidden_global_offset_y
      - .offset:         112
        .size:           8
        .value_kind:     hidden_global_offset_z
      - .offset:         120
        .size:           2
        .value_kind:     hidden_grid_dims
      - .offset:         176
        .size:           4
        .value_kind:     hidden_dynamic_lds_size
    .group_segment_fixed_size: 0
    .kernarg_segment_align: 8
    .kernarg_segment_size: 312
    .language:       OpenCL C
    .language_version:
      - 2
      - 0
    .max_flat_workgroup_size: 512
    .name:           _ZN9rocsolver6v33100L23getf2_npvt_small_kernelILi35E19rocblas_complex_numIdEiiPS3_EEvT1_T3_lS5_lPT2_S5_S5_
    .private_segment_fixed_size: 452
    .sgpr_count:     22
    .sgpr_spill_count: 0
    .symbol:         _ZN9rocsolver6v33100L23getf2_npvt_small_kernelILi35E19rocblas_complex_numIdEiiPS3_EEvT1_T3_lS5_lPT2_S5_S5_.kd
    .uniform_work_group_size: 1
    .uses_dynamic_stack: false
    .vgpr_count:     256
    .vgpr_spill_count: 116
    .wavefront_size: 64
  - .agpr_count:     0
    .args:
      - .offset:         0
        .size:           4
        .value_kind:     by_value
      - .address_space:  global
        .offset:         8
        .size:           8
        .value_kind:     global_buffer
      - .offset:         16
        .size:           8
        .value_kind:     by_value
      - .offset:         24
        .size:           4
        .value_kind:     by_value
      - .offset:         32
        .size:           8
        .value_kind:     by_value
      - .address_space:  global
        .offset:         40
        .size:           8
        .value_kind:     global_buffer
      - .offset:         48
        .size:           8
        .value_kind:     by_value
      - .offset:         56
        .size:           8
        .value_kind:     by_value
      - .address_space:  global
        .offset:         64
        .size:           8
        .value_kind:     global_buffer
      - .offset:         72
        .size:           4
        .value_kind:     by_value
      - .offset:         76
        .size:           4
        .value_kind:     by_value
      - .address_space:  global
        .offset:         80
        .size:           8
        .value_kind:     global_buffer
      - .offset:         88
        .size:           8
        .value_kind:     by_value
      - .offset:         96
        .size:           4
        .value_kind:     hidden_block_count_x
      - .offset:         100
        .size:           4
        .value_kind:     hidden_block_count_y
      - .offset:         104
        .size:           4
        .value_kind:     hidden_block_count_z
      - .offset:         108
        .size:           2
        .value_kind:     hidden_group_size_x
      - .offset:         110
        .size:           2
        .value_kind:     hidden_group_size_y
      - .offset:         112
        .size:           2
        .value_kind:     hidden_group_size_z
      - .offset:         114
        .size:           2
        .value_kind:     hidden_remainder_x
      - .offset:         116
        .size:           2
        .value_kind:     hidden_remainder_y
      - .offset:         118
        .size:           2
        .value_kind:     hidden_remainder_z
      - .offset:         136
        .size:           8
        .value_kind:     hidden_global_offset_x
      - .offset:         144
        .size:           8
        .value_kind:     hidden_global_offset_y
      - .offset:         152
        .size:           8
        .value_kind:     hidden_global_offset_z
      - .offset:         160
        .size:           2
        .value_kind:     hidden_grid_dims
      - .offset:         216
        .size:           4
        .value_kind:     hidden_dynamic_lds_size
    .group_segment_fixed_size: 0
    .kernarg_segment_align: 8
    .kernarg_segment_size: 352
    .language:       OpenCL C
    .language_version:
      - 2
      - 0
    .max_flat_workgroup_size: 512
    .name:           _ZN9rocsolver6v33100L18getf2_small_kernelILi36E19rocblas_complex_numIdEiiPS3_EEvT1_T3_lS5_lPS5_llPT2_S5_S5_S7_l
    .private_segment_fixed_size: 0
    .sgpr_count:     30
    .sgpr_spill_count: 0
    .symbol:         _ZN9rocsolver6v33100L18getf2_small_kernelILi36E19rocblas_complex_numIdEiiPS3_EEvT1_T3_lS5_lPS5_llPT2_S5_S5_S7_l.kd
    .uniform_work_group_size: 1
    .uses_dynamic_stack: false
    .vgpr_count:     176
    .vgpr_spill_count: 0
    .wavefront_size: 64
  - .agpr_count:     0
    .args:
      - .offset:         0
        .size:           4
        .value_kind:     by_value
      - .address_space:  global
        .offset:         8
        .size:           8
        .value_kind:     global_buffer
      - .offset:         16
        .size:           8
        .value_kind:     by_value
      - .offset:         24
        .size:           4
        .value_kind:     by_value
      - .offset:         32
        .size:           8
        .value_kind:     by_value
      - .address_space:  global
        .offset:         40
        .size:           8
        .value_kind:     global_buffer
      - .offset:         48
        .size:           4
        .value_kind:     by_value
      - .offset:         52
        .size:           4
        .value_kind:     by_value
      - .offset:         56
        .size:           4
        .value_kind:     hidden_block_count_x
      - .offset:         60
        .size:           4
        .value_kind:     hidden_block_count_y
      - .offset:         64
        .size:           4
        .value_kind:     hidden_block_count_z
      - .offset:         68
        .size:           2
        .value_kind:     hidden_group_size_x
      - .offset:         70
        .size:           2
        .value_kind:     hidden_group_size_y
      - .offset:         72
        .size:           2
        .value_kind:     hidden_group_size_z
      - .offset:         74
        .size:           2
        .value_kind:     hidden_remainder_x
      - .offset:         76
        .size:           2
        .value_kind:     hidden_remainder_y
      - .offset:         78
        .size:           2
        .value_kind:     hidden_remainder_z
      - .offset:         96
        .size:           8
        .value_kind:     hidden_global_offset_x
      - .offset:         104
        .size:           8
        .value_kind:     hidden_global_offset_y
      - .offset:         112
        .size:           8
        .value_kind:     hidden_global_offset_z
      - .offset:         120
        .size:           2
        .value_kind:     hidden_grid_dims
      - .offset:         176
        .size:           4
        .value_kind:     hidden_dynamic_lds_size
    .group_segment_fixed_size: 0
    .kernarg_segment_align: 8
    .kernarg_segment_size: 312
    .language:       OpenCL C
    .language_version:
      - 2
      - 0
    .max_flat_workgroup_size: 512
    .name:           _ZN9rocsolver6v33100L23getf2_npvt_small_kernelILi36E19rocblas_complex_numIdEiiPS3_EEvT1_T3_lS5_lPT2_S5_S5_
    .private_segment_fixed_size: 492
    .sgpr_count:     22
    .sgpr_spill_count: 0
    .symbol:         _ZN9rocsolver6v33100L23getf2_npvt_small_kernelILi36E19rocblas_complex_numIdEiiPS3_EEvT1_T3_lS5_lPT2_S5_S5_.kd
    .uniform_work_group_size: 1
    .uses_dynamic_stack: false
    .vgpr_count:     256
    .vgpr_spill_count: 126
    .wavefront_size: 64
  - .agpr_count:     0
    .args:
      - .offset:         0
        .size:           4
        .value_kind:     by_value
      - .address_space:  global
        .offset:         8
        .size:           8
        .value_kind:     global_buffer
      - .offset:         16
        .size:           8
        .value_kind:     by_value
      - .offset:         24
        .size:           4
        .value_kind:     by_value
      - .offset:         32
        .size:           8
        .value_kind:     by_value
      - .address_space:  global
        .offset:         40
        .size:           8
        .value_kind:     global_buffer
      - .offset:         48
        .size:           8
        .value_kind:     by_value
      - .offset:         56
        .size:           8
        .value_kind:     by_value
      - .address_space:  global
        .offset:         64
        .size:           8
        .value_kind:     global_buffer
      - .offset:         72
        .size:           4
        .value_kind:     by_value
      - .offset:         76
        .size:           4
        .value_kind:     by_value
      - .address_space:  global
        .offset:         80
        .size:           8
        .value_kind:     global_buffer
      - .offset:         88
        .size:           8
        .value_kind:     by_value
      - .offset:         96
        .size:           4
        .value_kind:     hidden_block_count_x
      - .offset:         100
        .size:           4
        .value_kind:     hidden_block_count_y
      - .offset:         104
        .size:           4
        .value_kind:     hidden_block_count_z
      - .offset:         108
        .size:           2
        .value_kind:     hidden_group_size_x
      - .offset:         110
        .size:           2
        .value_kind:     hidden_group_size_y
      - .offset:         112
        .size:           2
        .value_kind:     hidden_group_size_z
      - .offset:         114
        .size:           2
        .value_kind:     hidden_remainder_x
      - .offset:         116
        .size:           2
        .value_kind:     hidden_remainder_y
      - .offset:         118
        .size:           2
        .value_kind:     hidden_remainder_z
      - .offset:         136
        .size:           8
        .value_kind:     hidden_global_offset_x
      - .offset:         144
        .size:           8
        .value_kind:     hidden_global_offset_y
      - .offset:         152
        .size:           8
        .value_kind:     hidden_global_offset_z
      - .offset:         160
        .size:           2
        .value_kind:     hidden_grid_dims
      - .offset:         216
        .size:           4
        .value_kind:     hidden_dynamic_lds_size
    .group_segment_fixed_size: 0
    .kernarg_segment_align: 8
    .kernarg_segment_size: 352
    .language:       OpenCL C
    .language_version:
      - 2
      - 0
    .max_flat_workgroup_size: 512
    .name:           _ZN9rocsolver6v33100L18getf2_small_kernelILi37E19rocblas_complex_numIdEiiPS3_EEvT1_T3_lS5_lPS5_llPT2_S5_S5_S7_l
    .private_segment_fixed_size: 0
    .sgpr_count:     30
    .sgpr_spill_count: 0
    .symbol:         _ZN9rocsolver6v33100L18getf2_small_kernelILi37E19rocblas_complex_numIdEiiPS3_EEvT1_T3_lS5_lPS5_llPT2_S5_S5_S7_l.kd
    .uniform_work_group_size: 1
    .uses_dynamic_stack: false
    .vgpr_count:     180
    .vgpr_spill_count: 0
    .wavefront_size: 64
  - .agpr_count:     0
    .args:
      - .offset:         0
        .size:           4
        .value_kind:     by_value
      - .address_space:  global
        .offset:         8
        .size:           8
        .value_kind:     global_buffer
      - .offset:         16
        .size:           8
        .value_kind:     by_value
      - .offset:         24
        .size:           4
        .value_kind:     by_value
      - .offset:         32
        .size:           8
        .value_kind:     by_value
      - .address_space:  global
        .offset:         40
        .size:           8
        .value_kind:     global_buffer
      - .offset:         48
        .size:           4
        .value_kind:     by_value
      - .offset:         52
        .size:           4
        .value_kind:     by_value
      - .offset:         56
        .size:           4
        .value_kind:     hidden_block_count_x
      - .offset:         60
        .size:           4
        .value_kind:     hidden_block_count_y
      - .offset:         64
        .size:           4
        .value_kind:     hidden_block_count_z
      - .offset:         68
        .size:           2
        .value_kind:     hidden_group_size_x
      - .offset:         70
        .size:           2
        .value_kind:     hidden_group_size_y
      - .offset:         72
        .size:           2
        .value_kind:     hidden_group_size_z
      - .offset:         74
        .size:           2
        .value_kind:     hidden_remainder_x
      - .offset:         76
        .size:           2
        .value_kind:     hidden_remainder_y
      - .offset:         78
        .size:           2
        .value_kind:     hidden_remainder_z
      - .offset:         96
        .size:           8
        .value_kind:     hidden_global_offset_x
      - .offset:         104
        .size:           8
        .value_kind:     hidden_global_offset_y
      - .offset:         112
        .size:           8
        .value_kind:     hidden_global_offset_z
      - .offset:         120
        .size:           2
        .value_kind:     hidden_grid_dims
      - .offset:         176
        .size:           4
        .value_kind:     hidden_dynamic_lds_size
    .group_segment_fixed_size: 0
    .kernarg_segment_align: 8
    .kernarg_segment_size: 312
    .language:       OpenCL C
    .language_version:
      - 2
      - 0
    .max_flat_workgroup_size: 512
    .name:           _ZN9rocsolver6v33100L23getf2_npvt_small_kernelILi37E19rocblas_complex_numIdEiiPS3_EEvT1_T3_lS5_lPT2_S5_S5_
    .private_segment_fixed_size: 508
    .sgpr_count:     22
    .sgpr_spill_count: 0
    .symbol:         _ZN9rocsolver6v33100L23getf2_npvt_small_kernelILi37E19rocblas_complex_numIdEiiPS3_EEvT1_T3_lS5_lPT2_S5_S5_.kd
    .uniform_work_group_size: 1
    .uses_dynamic_stack: false
    .vgpr_count:     256
    .vgpr_spill_count: 126
    .wavefront_size: 64
  - .agpr_count:     0
    .args:
      - .offset:         0
        .size:           4
        .value_kind:     by_value
      - .address_space:  global
        .offset:         8
        .size:           8
        .value_kind:     global_buffer
      - .offset:         16
        .size:           8
        .value_kind:     by_value
      - .offset:         24
        .size:           4
        .value_kind:     by_value
      - .offset:         32
        .size:           8
        .value_kind:     by_value
      - .address_space:  global
        .offset:         40
        .size:           8
        .value_kind:     global_buffer
      - .offset:         48
        .size:           8
        .value_kind:     by_value
      - .offset:         56
        .size:           8
        .value_kind:     by_value
      - .address_space:  global
        .offset:         64
        .size:           8
        .value_kind:     global_buffer
      - .offset:         72
        .size:           4
        .value_kind:     by_value
      - .offset:         76
        .size:           4
        .value_kind:     by_value
      - .address_space:  global
        .offset:         80
        .size:           8
        .value_kind:     global_buffer
      - .offset:         88
        .size:           8
        .value_kind:     by_value
      - .offset:         96
        .size:           4
        .value_kind:     hidden_block_count_x
      - .offset:         100
        .size:           4
        .value_kind:     hidden_block_count_y
      - .offset:         104
        .size:           4
        .value_kind:     hidden_block_count_z
      - .offset:         108
        .size:           2
        .value_kind:     hidden_group_size_x
      - .offset:         110
        .size:           2
        .value_kind:     hidden_group_size_y
      - .offset:         112
        .size:           2
        .value_kind:     hidden_group_size_z
      - .offset:         114
        .size:           2
        .value_kind:     hidden_remainder_x
      - .offset:         116
        .size:           2
        .value_kind:     hidden_remainder_y
      - .offset:         118
        .size:           2
        .value_kind:     hidden_remainder_z
      - .offset:         136
        .size:           8
        .value_kind:     hidden_global_offset_x
      - .offset:         144
        .size:           8
        .value_kind:     hidden_global_offset_y
      - .offset:         152
        .size:           8
        .value_kind:     hidden_global_offset_z
      - .offset:         160
        .size:           2
        .value_kind:     hidden_grid_dims
      - .offset:         216
        .size:           4
        .value_kind:     hidden_dynamic_lds_size
    .group_segment_fixed_size: 0
    .kernarg_segment_align: 8
    .kernarg_segment_size: 352
    .language:       OpenCL C
    .language_version:
      - 2
      - 0
    .max_flat_workgroup_size: 512
    .name:           _ZN9rocsolver6v33100L18getf2_small_kernelILi38E19rocblas_complex_numIdEiiPS3_EEvT1_T3_lS5_lPS5_llPT2_S5_S5_S7_l
    .private_segment_fixed_size: 0
    .sgpr_count:     30
    .sgpr_spill_count: 0
    .symbol:         _ZN9rocsolver6v33100L18getf2_small_kernelILi38E19rocblas_complex_numIdEiiPS3_EEvT1_T3_lS5_lPS5_llPT2_S5_S5_S7_l.kd
    .uniform_work_group_size: 1
    .uses_dynamic_stack: false
    .vgpr_count:     186
    .vgpr_spill_count: 0
    .wavefront_size: 64
  - .agpr_count:     0
    .args:
      - .offset:         0
        .size:           4
        .value_kind:     by_value
      - .address_space:  global
        .offset:         8
        .size:           8
        .value_kind:     global_buffer
      - .offset:         16
        .size:           8
        .value_kind:     by_value
      - .offset:         24
        .size:           4
        .value_kind:     by_value
      - .offset:         32
        .size:           8
        .value_kind:     by_value
      - .address_space:  global
        .offset:         40
        .size:           8
        .value_kind:     global_buffer
      - .offset:         48
        .size:           4
        .value_kind:     by_value
      - .offset:         52
        .size:           4
        .value_kind:     by_value
      - .offset:         56
        .size:           4
        .value_kind:     hidden_block_count_x
      - .offset:         60
        .size:           4
        .value_kind:     hidden_block_count_y
      - .offset:         64
        .size:           4
        .value_kind:     hidden_block_count_z
      - .offset:         68
        .size:           2
        .value_kind:     hidden_group_size_x
      - .offset:         70
        .size:           2
        .value_kind:     hidden_group_size_y
      - .offset:         72
        .size:           2
        .value_kind:     hidden_group_size_z
      - .offset:         74
        .size:           2
        .value_kind:     hidden_remainder_x
      - .offset:         76
        .size:           2
        .value_kind:     hidden_remainder_y
      - .offset:         78
        .size:           2
        .value_kind:     hidden_remainder_z
      - .offset:         96
        .size:           8
        .value_kind:     hidden_global_offset_x
      - .offset:         104
        .size:           8
        .value_kind:     hidden_global_offset_y
      - .offset:         112
        .size:           8
        .value_kind:     hidden_global_offset_z
      - .offset:         120
        .size:           2
        .value_kind:     hidden_grid_dims
      - .offset:         176
        .size:           4
        .value_kind:     hidden_dynamic_lds_size
    .group_segment_fixed_size: 0
    .kernarg_segment_align: 8
    .kernarg_segment_size: 312
    .language:       OpenCL C
    .language_version:
      - 2
      - 0
    .max_flat_workgroup_size: 512
    .name:           _ZN9rocsolver6v33100L23getf2_npvt_small_kernelILi38E19rocblas_complex_numIdEiiPS3_EEvT1_T3_lS5_lPT2_S5_S5_
    .private_segment_fixed_size: 548
    .sgpr_count:     22
    .sgpr_spill_count: 0
    .symbol:         _ZN9rocsolver6v33100L23getf2_npvt_small_kernelILi38E19rocblas_complex_numIdEiiPS3_EEvT1_T3_lS5_lPT2_S5_S5_.kd
    .uniform_work_group_size: 1
    .uses_dynamic_stack: false
    .vgpr_count:     256
    .vgpr_spill_count: 136
    .wavefront_size: 64
  - .agpr_count:     0
    .args:
      - .offset:         0
        .size:           4
        .value_kind:     by_value
      - .address_space:  global
        .offset:         8
        .size:           8
        .value_kind:     global_buffer
      - .offset:         16
        .size:           8
        .value_kind:     by_value
      - .offset:         24
        .size:           4
        .value_kind:     by_value
      - .offset:         32
        .size:           8
        .value_kind:     by_value
      - .address_space:  global
        .offset:         40
        .size:           8
        .value_kind:     global_buffer
      - .offset:         48
        .size:           8
        .value_kind:     by_value
      - .offset:         56
        .size:           8
        .value_kind:     by_value
      - .address_space:  global
        .offset:         64
        .size:           8
        .value_kind:     global_buffer
      - .offset:         72
        .size:           4
        .value_kind:     by_value
      - .offset:         76
        .size:           4
        .value_kind:     by_value
      - .address_space:  global
        .offset:         80
        .size:           8
        .value_kind:     global_buffer
      - .offset:         88
        .size:           8
        .value_kind:     by_value
      - .offset:         96
        .size:           4
        .value_kind:     hidden_block_count_x
      - .offset:         100
        .size:           4
        .value_kind:     hidden_block_count_y
      - .offset:         104
        .size:           4
        .value_kind:     hidden_block_count_z
      - .offset:         108
        .size:           2
        .value_kind:     hidden_group_size_x
      - .offset:         110
        .size:           2
        .value_kind:     hidden_group_size_y
      - .offset:         112
        .size:           2
        .value_kind:     hidden_group_size_z
      - .offset:         114
        .size:           2
        .value_kind:     hidden_remainder_x
      - .offset:         116
        .size:           2
        .value_kind:     hidden_remainder_y
      - .offset:         118
        .size:           2
        .value_kind:     hidden_remainder_z
      - .offset:         136
        .size:           8
        .value_kind:     hidden_global_offset_x
      - .offset:         144
        .size:           8
        .value_kind:     hidden_global_offset_y
      - .offset:         152
        .size:           8
        .value_kind:     hidden_global_offset_z
      - .offset:         160
        .size:           2
        .value_kind:     hidden_grid_dims
      - .offset:         216
        .size:           4
        .value_kind:     hidden_dynamic_lds_size
    .group_segment_fixed_size: 0
    .kernarg_segment_align: 8
    .kernarg_segment_size: 352
    .language:       OpenCL C
    .language_version:
      - 2
      - 0
    .max_flat_workgroup_size: 512
    .name:           _ZN9rocsolver6v33100L18getf2_small_kernelILi39E19rocblas_complex_numIdEiiPS3_EEvT1_T3_lS5_lPS5_llPT2_S5_S5_S7_l
    .private_segment_fixed_size: 0
    .sgpr_count:     30
    .sgpr_spill_count: 0
    .symbol:         _ZN9rocsolver6v33100L18getf2_small_kernelILi39E19rocblas_complex_numIdEiiPS3_EEvT1_T3_lS5_lPS5_llPT2_S5_S5_S7_l.kd
    .uniform_work_group_size: 1
    .uses_dynamic_stack: false
    .vgpr_count:     190
    .vgpr_spill_count: 0
    .wavefront_size: 64
  - .agpr_count:     0
    .args:
      - .offset:         0
        .size:           4
        .value_kind:     by_value
      - .address_space:  global
        .offset:         8
        .size:           8
        .value_kind:     global_buffer
      - .offset:         16
        .size:           8
        .value_kind:     by_value
      - .offset:         24
        .size:           4
        .value_kind:     by_value
      - .offset:         32
        .size:           8
        .value_kind:     by_value
      - .address_space:  global
        .offset:         40
        .size:           8
        .value_kind:     global_buffer
      - .offset:         48
        .size:           4
        .value_kind:     by_value
      - .offset:         52
        .size:           4
        .value_kind:     by_value
      - .offset:         56
        .size:           4
        .value_kind:     hidden_block_count_x
      - .offset:         60
        .size:           4
        .value_kind:     hidden_block_count_y
      - .offset:         64
        .size:           4
        .value_kind:     hidden_block_count_z
      - .offset:         68
        .size:           2
        .value_kind:     hidden_group_size_x
      - .offset:         70
        .size:           2
        .value_kind:     hidden_group_size_y
      - .offset:         72
        .size:           2
        .value_kind:     hidden_group_size_z
      - .offset:         74
        .size:           2
        .value_kind:     hidden_remainder_x
      - .offset:         76
        .size:           2
        .value_kind:     hidden_remainder_y
      - .offset:         78
        .size:           2
        .value_kind:     hidden_remainder_z
      - .offset:         96
        .size:           8
        .value_kind:     hidden_global_offset_x
      - .offset:         104
        .size:           8
        .value_kind:     hidden_global_offset_y
      - .offset:         112
        .size:           8
        .value_kind:     hidden_global_offset_z
      - .offset:         120
        .size:           2
        .value_kind:     hidden_grid_dims
      - .offset:         176
        .size:           4
        .value_kind:     hidden_dynamic_lds_size
    .group_segment_fixed_size: 0
    .kernarg_segment_align: 8
    .kernarg_segment_size: 312
    .language:       OpenCL C
    .language_version:
      - 2
      - 0
    .max_flat_workgroup_size: 512
    .name:           _ZN9rocsolver6v33100L23getf2_npvt_small_kernelILi39E19rocblas_complex_numIdEiiPS3_EEvT1_T3_lS5_lPT2_S5_S5_
    .private_segment_fixed_size: 612
    .sgpr_count:     22
    .sgpr_spill_count: 0
    .symbol:         _ZN9rocsolver6v33100L23getf2_npvt_small_kernelILi39E19rocblas_complex_numIdEiiPS3_EEvT1_T3_lS5_lPT2_S5_S5_.kd
    .uniform_work_group_size: 1
    .uses_dynamic_stack: false
    .vgpr_count:     256
    .vgpr_spill_count: 164
    .wavefront_size: 64
  - .agpr_count:     0
    .args:
      - .offset:         0
        .size:           4
        .value_kind:     by_value
      - .address_space:  global
        .offset:         8
        .size:           8
        .value_kind:     global_buffer
      - .offset:         16
        .size:           8
        .value_kind:     by_value
      - .offset:         24
        .size:           4
        .value_kind:     by_value
      - .offset:         32
        .size:           8
        .value_kind:     by_value
      - .address_space:  global
        .offset:         40
        .size:           8
        .value_kind:     global_buffer
      - .offset:         48
        .size:           8
        .value_kind:     by_value
      - .offset:         56
        .size:           8
        .value_kind:     by_value
      - .address_space:  global
        .offset:         64
        .size:           8
        .value_kind:     global_buffer
      - .offset:         72
        .size:           4
        .value_kind:     by_value
      - .offset:         76
        .size:           4
        .value_kind:     by_value
      - .address_space:  global
        .offset:         80
        .size:           8
        .value_kind:     global_buffer
      - .offset:         88
        .size:           8
        .value_kind:     by_value
      - .offset:         96
        .size:           4
        .value_kind:     hidden_block_count_x
      - .offset:         100
        .size:           4
        .value_kind:     hidden_block_count_y
      - .offset:         104
        .size:           4
        .value_kind:     hidden_block_count_z
      - .offset:         108
        .size:           2
        .value_kind:     hidden_group_size_x
      - .offset:         110
        .size:           2
        .value_kind:     hidden_group_size_y
      - .offset:         112
        .size:           2
        .value_kind:     hidden_group_size_z
      - .offset:         114
        .size:           2
        .value_kind:     hidden_remainder_x
      - .offset:         116
        .size:           2
        .value_kind:     hidden_remainder_y
      - .offset:         118
        .size:           2
        .value_kind:     hidden_remainder_z
      - .offset:         136
        .size:           8
        .value_kind:     hidden_global_offset_x
      - .offset:         144
        .size:           8
        .value_kind:     hidden_global_offset_y
      - .offset:         152
        .size:           8
        .value_kind:     hidden_global_offset_z
      - .offset:         160
        .size:           2
        .value_kind:     hidden_grid_dims
      - .offset:         216
        .size:           4
        .value_kind:     hidden_dynamic_lds_size
    .group_segment_fixed_size: 0
    .kernarg_segment_align: 8
    .kernarg_segment_size: 352
    .language:       OpenCL C
    .language_version:
      - 2
      - 0
    .max_flat_workgroup_size: 512
    .name:           _ZN9rocsolver6v33100L18getf2_small_kernelILi40E19rocblas_complex_numIdEiiPS3_EEvT1_T3_lS5_lPS5_llPT2_S5_S5_S7_l
    .private_segment_fixed_size: 0
    .sgpr_count:     30
    .sgpr_spill_count: 0
    .symbol:         _ZN9rocsolver6v33100L18getf2_small_kernelILi40E19rocblas_complex_numIdEiiPS3_EEvT1_T3_lS5_lPS5_llPT2_S5_S5_S7_l.kd
    .uniform_work_group_size: 1
    .uses_dynamic_stack: false
    .vgpr_count:     194
    .vgpr_spill_count: 0
    .wavefront_size: 64
  - .agpr_count:     0
    .args:
      - .offset:         0
        .size:           4
        .value_kind:     by_value
      - .address_space:  global
        .offset:         8
        .size:           8
        .value_kind:     global_buffer
      - .offset:         16
        .size:           8
        .value_kind:     by_value
      - .offset:         24
        .size:           4
        .value_kind:     by_value
      - .offset:         32
        .size:           8
        .value_kind:     by_value
      - .address_space:  global
        .offset:         40
        .size:           8
        .value_kind:     global_buffer
      - .offset:         48
        .size:           4
        .value_kind:     by_value
      - .offset:         52
        .size:           4
        .value_kind:     by_value
      - .offset:         56
        .size:           4
        .value_kind:     hidden_block_count_x
      - .offset:         60
        .size:           4
        .value_kind:     hidden_block_count_y
      - .offset:         64
        .size:           4
        .value_kind:     hidden_block_count_z
      - .offset:         68
        .size:           2
        .value_kind:     hidden_group_size_x
      - .offset:         70
        .size:           2
        .value_kind:     hidden_group_size_y
      - .offset:         72
        .size:           2
        .value_kind:     hidden_group_size_z
      - .offset:         74
        .size:           2
        .value_kind:     hidden_remainder_x
      - .offset:         76
        .size:           2
        .value_kind:     hidden_remainder_y
      - .offset:         78
        .size:           2
        .value_kind:     hidden_remainder_z
      - .offset:         96
        .size:           8
        .value_kind:     hidden_global_offset_x
      - .offset:         104
        .size:           8
        .value_kind:     hidden_global_offset_y
      - .offset:         112
        .size:           8
        .value_kind:     hidden_global_offset_z
      - .offset:         120
        .size:           2
        .value_kind:     hidden_grid_dims
      - .offset:         176
        .size:           4
        .value_kind:     hidden_dynamic_lds_size
    .group_segment_fixed_size: 0
    .kernarg_segment_align: 8
    .kernarg_segment_size: 312
    .language:       OpenCL C
    .language_version:
      - 2
      - 0
    .max_flat_workgroup_size: 512
    .name:           _ZN9rocsolver6v33100L23getf2_npvt_small_kernelILi40E19rocblas_complex_numIdEiiPS3_EEvT1_T3_lS5_lPT2_S5_S5_
    .private_segment_fixed_size: 636
    .sgpr_count:     22
    .sgpr_spill_count: 0
    .symbol:         _ZN9rocsolver6v33100L23getf2_npvt_small_kernelILi40E19rocblas_complex_numIdEiiPS3_EEvT1_T3_lS5_lPT2_S5_S5_.kd
    .uniform_work_group_size: 1
    .uses_dynamic_stack: false
    .vgpr_count:     256
    .vgpr_spill_count: 162
    .wavefront_size: 64
  - .agpr_count:     0
    .args:
      - .offset:         0
        .size:           4
        .value_kind:     by_value
      - .address_space:  global
        .offset:         8
        .size:           8
        .value_kind:     global_buffer
      - .offset:         16
        .size:           8
        .value_kind:     by_value
      - .offset:         24
        .size:           4
        .value_kind:     by_value
      - .offset:         32
        .size:           8
        .value_kind:     by_value
      - .address_space:  global
        .offset:         40
        .size:           8
        .value_kind:     global_buffer
      - .offset:         48
        .size:           8
        .value_kind:     by_value
      - .offset:         56
        .size:           8
        .value_kind:     by_value
      - .address_space:  global
        .offset:         64
        .size:           8
        .value_kind:     global_buffer
      - .offset:         72
        .size:           4
        .value_kind:     by_value
      - .offset:         76
        .size:           4
        .value_kind:     by_value
      - .address_space:  global
        .offset:         80
        .size:           8
        .value_kind:     global_buffer
      - .offset:         88
        .size:           8
        .value_kind:     by_value
      - .offset:         96
        .size:           4
        .value_kind:     hidden_block_count_x
      - .offset:         100
        .size:           4
        .value_kind:     hidden_block_count_y
      - .offset:         104
        .size:           4
        .value_kind:     hidden_block_count_z
      - .offset:         108
        .size:           2
        .value_kind:     hidden_group_size_x
      - .offset:         110
        .size:           2
        .value_kind:     hidden_group_size_y
      - .offset:         112
        .size:           2
        .value_kind:     hidden_group_size_z
      - .offset:         114
        .size:           2
        .value_kind:     hidden_remainder_x
      - .offset:         116
        .size:           2
        .value_kind:     hidden_remainder_y
      - .offset:         118
        .size:           2
        .value_kind:     hidden_remainder_z
      - .offset:         136
        .size:           8
        .value_kind:     hidden_global_offset_x
      - .offset:         144
        .size:           8
        .value_kind:     hidden_global_offset_y
      - .offset:         152
        .size:           8
        .value_kind:     hidden_global_offset_z
      - .offset:         160
        .size:           2
        .value_kind:     hidden_grid_dims
      - .offset:         216
        .size:           4
        .value_kind:     hidden_dynamic_lds_size
    .group_segment_fixed_size: 0
    .kernarg_segment_align: 8
    .kernarg_segment_size: 352
    .language:       OpenCL C
    .language_version:
      - 2
      - 0
    .max_flat_workgroup_size: 512
    .name:           _ZN9rocsolver6v33100L18getf2_small_kernelILi41E19rocblas_complex_numIdEiiPS3_EEvT1_T3_lS5_lPS5_llPT2_S5_S5_S7_l
    .private_segment_fixed_size: 0
    .sgpr_count:     30
    .sgpr_spill_count: 0
    .symbol:         _ZN9rocsolver6v33100L18getf2_small_kernelILi41E19rocblas_complex_numIdEiiPS3_EEvT1_T3_lS5_lPS5_llPT2_S5_S5_S7_l.kd
    .uniform_work_group_size: 1
    .uses_dynamic_stack: false
    .vgpr_count:     200
    .vgpr_spill_count: 0
    .wavefront_size: 64
  - .agpr_count:     0
    .args:
      - .offset:         0
        .size:           4
        .value_kind:     by_value
      - .address_space:  global
        .offset:         8
        .size:           8
        .value_kind:     global_buffer
      - .offset:         16
        .size:           8
        .value_kind:     by_value
      - .offset:         24
        .size:           4
        .value_kind:     by_value
      - .offset:         32
        .size:           8
        .value_kind:     by_value
      - .address_space:  global
        .offset:         40
        .size:           8
        .value_kind:     global_buffer
      - .offset:         48
        .size:           4
        .value_kind:     by_value
      - .offset:         52
        .size:           4
        .value_kind:     by_value
      - .offset:         56
        .size:           4
        .value_kind:     hidden_block_count_x
      - .offset:         60
        .size:           4
        .value_kind:     hidden_block_count_y
      - .offset:         64
        .size:           4
        .value_kind:     hidden_block_count_z
      - .offset:         68
        .size:           2
        .value_kind:     hidden_group_size_x
      - .offset:         70
        .size:           2
        .value_kind:     hidden_group_size_y
      - .offset:         72
        .size:           2
        .value_kind:     hidden_group_size_z
      - .offset:         74
        .size:           2
        .value_kind:     hidden_remainder_x
      - .offset:         76
        .size:           2
        .value_kind:     hidden_remainder_y
      - .offset:         78
        .size:           2
        .value_kind:     hidden_remainder_z
      - .offset:         96
        .size:           8
        .value_kind:     hidden_global_offset_x
      - .offset:         104
        .size:           8
        .value_kind:     hidden_global_offset_y
      - .offset:         112
        .size:           8
        .value_kind:     hidden_global_offset_z
      - .offset:         120
        .size:           2
        .value_kind:     hidden_grid_dims
      - .offset:         176
        .size:           4
        .value_kind:     hidden_dynamic_lds_size
    .group_segment_fixed_size: 0
    .kernarg_segment_align: 8
    .kernarg_segment_size: 312
    .language:       OpenCL C
    .language_version:
      - 2
      - 0
    .max_flat_workgroup_size: 512
    .name:           _ZN9rocsolver6v33100L23getf2_npvt_small_kernelILi41E19rocblas_complex_numIdEiiPS3_EEvT1_T3_lS5_lPT2_S5_S5_
    .private_segment_fixed_size: 676
    .sgpr_count:     22
    .sgpr_spill_count: 0
    .symbol:         _ZN9rocsolver6v33100L23getf2_npvt_small_kernelILi41E19rocblas_complex_numIdEiiPS3_EEvT1_T3_lS5_lPT2_S5_S5_.kd
    .uniform_work_group_size: 1
    .uses_dynamic_stack: false
    .vgpr_count:     256
    .vgpr_spill_count: 172
    .wavefront_size: 64
  - .agpr_count:     0
    .args:
      - .offset:         0
        .size:           4
        .value_kind:     by_value
      - .address_space:  global
        .offset:         8
        .size:           8
        .value_kind:     global_buffer
      - .offset:         16
        .size:           8
        .value_kind:     by_value
      - .offset:         24
        .size:           4
        .value_kind:     by_value
      - .offset:         32
        .size:           8
        .value_kind:     by_value
      - .address_space:  global
        .offset:         40
        .size:           8
        .value_kind:     global_buffer
      - .offset:         48
        .size:           8
        .value_kind:     by_value
      - .offset:         56
        .size:           8
        .value_kind:     by_value
      - .address_space:  global
        .offset:         64
        .size:           8
        .value_kind:     global_buffer
      - .offset:         72
        .size:           4
        .value_kind:     by_value
      - .offset:         76
        .size:           4
        .value_kind:     by_value
      - .address_space:  global
        .offset:         80
        .size:           8
        .value_kind:     global_buffer
      - .offset:         88
        .size:           8
        .value_kind:     by_value
      - .offset:         96
        .size:           4
        .value_kind:     hidden_block_count_x
      - .offset:         100
        .size:           4
        .value_kind:     hidden_block_count_y
      - .offset:         104
        .size:           4
        .value_kind:     hidden_block_count_z
      - .offset:         108
        .size:           2
        .value_kind:     hidden_group_size_x
      - .offset:         110
        .size:           2
        .value_kind:     hidden_group_size_y
      - .offset:         112
        .size:           2
        .value_kind:     hidden_group_size_z
      - .offset:         114
        .size:           2
        .value_kind:     hidden_remainder_x
      - .offset:         116
        .size:           2
        .value_kind:     hidden_remainder_y
      - .offset:         118
        .size:           2
        .value_kind:     hidden_remainder_z
      - .offset:         136
        .size:           8
        .value_kind:     hidden_global_offset_x
      - .offset:         144
        .size:           8
        .value_kind:     hidden_global_offset_y
      - .offset:         152
        .size:           8
        .value_kind:     hidden_global_offset_z
      - .offset:         160
        .size:           2
        .value_kind:     hidden_grid_dims
      - .offset:         216
        .size:           4
        .value_kind:     hidden_dynamic_lds_size
    .group_segment_fixed_size: 0
    .kernarg_segment_align: 8
    .kernarg_segment_size: 352
    .language:       OpenCL C
    .language_version:
      - 2
      - 0
    .max_flat_workgroup_size: 512
    .name:           _ZN9rocsolver6v33100L18getf2_small_kernelILi42E19rocblas_complex_numIdEiiPS3_EEvT1_T3_lS5_lPS5_llPT2_S5_S5_S7_l
    .private_segment_fixed_size: 0
    .sgpr_count:     30
    .sgpr_spill_count: 0
    .symbol:         _ZN9rocsolver6v33100L18getf2_small_kernelILi42E19rocblas_complex_numIdEiiPS3_EEvT1_T3_lS5_lPS5_llPT2_S5_S5_S7_l.kd
    .uniform_work_group_size: 1
    .uses_dynamic_stack: false
    .vgpr_count:     204
    .vgpr_spill_count: 0
    .wavefront_size: 64
  - .agpr_count:     0
    .args:
      - .offset:         0
        .size:           4
        .value_kind:     by_value
      - .address_space:  global
        .offset:         8
        .size:           8
        .value_kind:     global_buffer
      - .offset:         16
        .size:           8
        .value_kind:     by_value
      - .offset:         24
        .size:           4
        .value_kind:     by_value
      - .offset:         32
        .size:           8
        .value_kind:     by_value
      - .address_space:  global
        .offset:         40
        .size:           8
        .value_kind:     global_buffer
      - .offset:         48
        .size:           4
        .value_kind:     by_value
      - .offset:         52
        .size:           4
        .value_kind:     by_value
      - .offset:         56
        .size:           4
        .value_kind:     hidden_block_count_x
      - .offset:         60
        .size:           4
        .value_kind:     hidden_block_count_y
      - .offset:         64
        .size:           4
        .value_kind:     hidden_block_count_z
      - .offset:         68
        .size:           2
        .value_kind:     hidden_group_size_x
      - .offset:         70
        .size:           2
        .value_kind:     hidden_group_size_y
      - .offset:         72
        .size:           2
        .value_kind:     hidden_group_size_z
      - .offset:         74
        .size:           2
        .value_kind:     hidden_remainder_x
      - .offset:         76
        .size:           2
        .value_kind:     hidden_remainder_y
      - .offset:         78
        .size:           2
        .value_kind:     hidden_remainder_z
      - .offset:         96
        .size:           8
        .value_kind:     hidden_global_offset_x
      - .offset:         104
        .size:           8
        .value_kind:     hidden_global_offset_y
      - .offset:         112
        .size:           8
        .value_kind:     hidden_global_offset_z
      - .offset:         120
        .size:           2
        .value_kind:     hidden_grid_dims
      - .offset:         176
        .size:           4
        .value_kind:     hidden_dynamic_lds_size
    .group_segment_fixed_size: 0
    .kernarg_segment_align: 8
    .kernarg_segment_size: 312
    .language:       OpenCL C
    .language_version:
      - 2
      - 0
    .max_flat_workgroup_size: 512
    .name:           _ZN9rocsolver6v33100L23getf2_npvt_small_kernelILi42E19rocblas_complex_numIdEiiPS3_EEvT1_T3_lS5_lPT2_S5_S5_
    .private_segment_fixed_size: 724
    .sgpr_count:     22
    .sgpr_spill_count: 0
    .symbol:         _ZN9rocsolver6v33100L23getf2_npvt_small_kernelILi42E19rocblas_complex_numIdEiiPS3_EEvT1_T3_lS5_lPT2_S5_S5_.kd
    .uniform_work_group_size: 1
    .uses_dynamic_stack: false
    .vgpr_count:     256
    .vgpr_spill_count: 180
    .wavefront_size: 64
  - .agpr_count:     0
    .args:
      - .offset:         0
        .size:           4
        .value_kind:     by_value
      - .address_space:  global
        .offset:         8
        .size:           8
        .value_kind:     global_buffer
      - .offset:         16
        .size:           8
        .value_kind:     by_value
      - .offset:         24
        .size:           4
        .value_kind:     by_value
      - .offset:         32
        .size:           8
        .value_kind:     by_value
      - .address_space:  global
        .offset:         40
        .size:           8
        .value_kind:     global_buffer
      - .offset:         48
        .size:           8
        .value_kind:     by_value
      - .offset:         56
        .size:           8
        .value_kind:     by_value
      - .address_space:  global
        .offset:         64
        .size:           8
        .value_kind:     global_buffer
      - .offset:         72
        .size:           4
        .value_kind:     by_value
      - .offset:         76
        .size:           4
        .value_kind:     by_value
      - .address_space:  global
        .offset:         80
        .size:           8
        .value_kind:     global_buffer
      - .offset:         88
        .size:           8
        .value_kind:     by_value
      - .offset:         96
        .size:           4
        .value_kind:     hidden_block_count_x
      - .offset:         100
        .size:           4
        .value_kind:     hidden_block_count_y
      - .offset:         104
        .size:           4
        .value_kind:     hidden_block_count_z
      - .offset:         108
        .size:           2
        .value_kind:     hidden_group_size_x
      - .offset:         110
        .size:           2
        .value_kind:     hidden_group_size_y
      - .offset:         112
        .size:           2
        .value_kind:     hidden_group_size_z
      - .offset:         114
        .size:           2
        .value_kind:     hidden_remainder_x
      - .offset:         116
        .size:           2
        .value_kind:     hidden_remainder_y
      - .offset:         118
        .size:           2
        .value_kind:     hidden_remainder_z
      - .offset:         136
        .size:           8
        .value_kind:     hidden_global_offset_x
      - .offset:         144
        .size:           8
        .value_kind:     hidden_global_offset_y
      - .offset:         152
        .size:           8
        .value_kind:     hidden_global_offset_z
      - .offset:         160
        .size:           2
        .value_kind:     hidden_grid_dims
      - .offset:         216
        .size:           4
        .value_kind:     hidden_dynamic_lds_size
    .group_segment_fixed_size: 0
    .kernarg_segment_align: 8
    .kernarg_segment_size: 352
    .language:       OpenCL C
    .language_version:
      - 2
      - 0
    .max_flat_workgroup_size: 512
    .name:           _ZN9rocsolver6v33100L18getf2_small_kernelILi43E19rocblas_complex_numIdEiiPS3_EEvT1_T3_lS5_lPS5_llPT2_S5_S5_S7_l
    .private_segment_fixed_size: 0
    .sgpr_count:     30
    .sgpr_spill_count: 0
    .symbol:         _ZN9rocsolver6v33100L18getf2_small_kernelILi43E19rocblas_complex_numIdEiiPS3_EEvT1_T3_lS5_lPS5_llPT2_S5_S5_S7_l.kd
    .uniform_work_group_size: 1
    .uses_dynamic_stack: false
    .vgpr_count:     208
    .vgpr_spill_count: 0
    .wavefront_size: 64
  - .agpr_count:     0
    .args:
      - .offset:         0
        .size:           4
        .value_kind:     by_value
      - .address_space:  global
        .offset:         8
        .size:           8
        .value_kind:     global_buffer
      - .offset:         16
        .size:           8
        .value_kind:     by_value
      - .offset:         24
        .size:           4
        .value_kind:     by_value
      - .offset:         32
        .size:           8
        .value_kind:     by_value
      - .address_space:  global
        .offset:         40
        .size:           8
        .value_kind:     global_buffer
      - .offset:         48
        .size:           4
        .value_kind:     by_value
      - .offset:         52
        .size:           4
        .value_kind:     by_value
      - .offset:         56
        .size:           4
        .value_kind:     hidden_block_count_x
      - .offset:         60
        .size:           4
        .value_kind:     hidden_block_count_y
      - .offset:         64
        .size:           4
        .value_kind:     hidden_block_count_z
      - .offset:         68
        .size:           2
        .value_kind:     hidden_group_size_x
      - .offset:         70
        .size:           2
        .value_kind:     hidden_group_size_y
      - .offset:         72
        .size:           2
        .value_kind:     hidden_group_size_z
      - .offset:         74
        .size:           2
        .value_kind:     hidden_remainder_x
      - .offset:         76
        .size:           2
        .value_kind:     hidden_remainder_y
      - .offset:         78
        .size:           2
        .value_kind:     hidden_remainder_z
      - .offset:         96
        .size:           8
        .value_kind:     hidden_global_offset_x
      - .offset:         104
        .size:           8
        .value_kind:     hidden_global_offset_y
      - .offset:         112
        .size:           8
        .value_kind:     hidden_global_offset_z
      - .offset:         120
        .size:           2
        .value_kind:     hidden_grid_dims
      - .offset:         176
        .size:           4
        .value_kind:     hidden_dynamic_lds_size
    .group_segment_fixed_size: 0
    .kernarg_segment_align: 8
    .kernarg_segment_size: 312
    .language:       OpenCL C
    .language_version:
      - 2
      - 0
    .max_flat_workgroup_size: 512
    .name:           _ZN9rocsolver6v33100L23getf2_npvt_small_kernelILi43E19rocblas_complex_numIdEiiPS3_EEvT1_T3_lS5_lPT2_S5_S5_
    .private_segment_fixed_size: 772
    .sgpr_count:     22
    .sgpr_spill_count: 0
    .symbol:         _ZN9rocsolver6v33100L23getf2_npvt_small_kernelILi43E19rocblas_complex_numIdEiiPS3_EEvT1_T3_lS5_lPT2_S5_S5_.kd
    .uniform_work_group_size: 1
    .uses_dynamic_stack: false
    .vgpr_count:     256
    .vgpr_spill_count: 216
    .wavefront_size: 64
  - .agpr_count:     0
    .args:
      - .offset:         0
        .size:           4
        .value_kind:     by_value
      - .address_space:  global
        .offset:         8
        .size:           8
        .value_kind:     global_buffer
      - .offset:         16
        .size:           8
        .value_kind:     by_value
      - .offset:         24
        .size:           4
        .value_kind:     by_value
      - .offset:         32
        .size:           8
        .value_kind:     by_value
      - .address_space:  global
        .offset:         40
        .size:           8
        .value_kind:     global_buffer
      - .offset:         48
        .size:           8
        .value_kind:     by_value
      - .offset:         56
        .size:           8
        .value_kind:     by_value
      - .address_space:  global
        .offset:         64
        .size:           8
        .value_kind:     global_buffer
      - .offset:         72
        .size:           4
        .value_kind:     by_value
      - .offset:         76
        .size:           4
        .value_kind:     by_value
      - .address_space:  global
        .offset:         80
        .size:           8
        .value_kind:     global_buffer
      - .offset:         88
        .size:           8
        .value_kind:     by_value
      - .offset:         96
        .size:           4
        .value_kind:     hidden_block_count_x
      - .offset:         100
        .size:           4
        .value_kind:     hidden_block_count_y
      - .offset:         104
        .size:           4
        .value_kind:     hidden_block_count_z
      - .offset:         108
        .size:           2
        .value_kind:     hidden_group_size_x
      - .offset:         110
        .size:           2
        .value_kind:     hidden_group_size_y
      - .offset:         112
        .size:           2
        .value_kind:     hidden_group_size_z
      - .offset:         114
        .size:           2
        .value_kind:     hidden_remainder_x
      - .offset:         116
        .size:           2
        .value_kind:     hidden_remainder_y
      - .offset:         118
        .size:           2
        .value_kind:     hidden_remainder_z
      - .offset:         136
        .size:           8
        .value_kind:     hidden_global_offset_x
      - .offset:         144
        .size:           8
        .value_kind:     hidden_global_offset_y
      - .offset:         152
        .size:           8
        .value_kind:     hidden_global_offset_z
      - .offset:         160
        .size:           2
        .value_kind:     hidden_grid_dims
      - .offset:         216
        .size:           4
        .value_kind:     hidden_dynamic_lds_size
    .group_segment_fixed_size: 0
    .kernarg_segment_align: 8
    .kernarg_segment_size: 352
    .language:       OpenCL C
    .language_version:
      - 2
      - 0
    .max_flat_workgroup_size: 512
    .name:           _ZN9rocsolver6v33100L18getf2_small_kernelILi44E19rocblas_complex_numIdEiiPS3_EEvT1_T3_lS5_lPS5_llPT2_S5_S5_S7_l
    .private_segment_fixed_size: 0
    .sgpr_count:     30
    .sgpr_spill_count: 0
    .symbol:         _ZN9rocsolver6v33100L18getf2_small_kernelILi44E19rocblas_complex_numIdEiiPS3_EEvT1_T3_lS5_lPS5_llPT2_S5_S5_S7_l.kd
    .uniform_work_group_size: 1
    .uses_dynamic_stack: false
    .vgpr_count:     214
    .vgpr_spill_count: 0
    .wavefront_size: 64
  - .agpr_count:     0
    .args:
      - .offset:         0
        .size:           4
        .value_kind:     by_value
      - .address_space:  global
        .offset:         8
        .size:           8
        .value_kind:     global_buffer
      - .offset:         16
        .size:           8
        .value_kind:     by_value
      - .offset:         24
        .size:           4
        .value_kind:     by_value
      - .offset:         32
        .size:           8
        .value_kind:     by_value
      - .address_space:  global
        .offset:         40
        .size:           8
        .value_kind:     global_buffer
      - .offset:         48
        .size:           4
        .value_kind:     by_value
      - .offset:         52
        .size:           4
        .value_kind:     by_value
      - .offset:         56
        .size:           4
        .value_kind:     hidden_block_count_x
      - .offset:         60
        .size:           4
        .value_kind:     hidden_block_count_y
      - .offset:         64
        .size:           4
        .value_kind:     hidden_block_count_z
      - .offset:         68
        .size:           2
        .value_kind:     hidden_group_size_x
      - .offset:         70
        .size:           2
        .value_kind:     hidden_group_size_y
      - .offset:         72
        .size:           2
        .value_kind:     hidden_group_size_z
      - .offset:         74
        .size:           2
        .value_kind:     hidden_remainder_x
      - .offset:         76
        .size:           2
        .value_kind:     hidden_remainder_y
      - .offset:         78
        .size:           2
        .value_kind:     hidden_remainder_z
      - .offset:         96
        .size:           8
        .value_kind:     hidden_global_offset_x
      - .offset:         104
        .size:           8
        .value_kind:     hidden_global_offset_y
      - .offset:         112
        .size:           8
        .value_kind:     hidden_global_offset_z
      - .offset:         120
        .size:           2
        .value_kind:     hidden_grid_dims
      - .offset:         176
        .size:           4
        .value_kind:     hidden_dynamic_lds_size
    .group_segment_fixed_size: 0
    .kernarg_segment_align: 8
    .kernarg_segment_size: 312
    .language:       OpenCL C
    .language_version:
      - 2
      - 0
    .max_flat_workgroup_size: 512
    .name:           _ZN9rocsolver6v33100L23getf2_npvt_small_kernelILi44E19rocblas_complex_numIdEiiPS3_EEvT1_T3_lS5_lPT2_S5_S5_
    .private_segment_fixed_size: 804
    .sgpr_count:     22
    .sgpr_spill_count: 0
    .symbol:         _ZN9rocsolver6v33100L23getf2_npvt_small_kernelILi44E19rocblas_complex_numIdEiiPS3_EEvT1_T3_lS5_lPT2_S5_S5_.kd
    .uniform_work_group_size: 1
    .uses_dynamic_stack: false
    .vgpr_count:     256
    .vgpr_spill_count: 552
    .wavefront_size: 64
  - .agpr_count:     0
    .args:
      - .offset:         0
        .size:           4
        .value_kind:     by_value
      - .address_space:  global
        .offset:         8
        .size:           8
        .value_kind:     global_buffer
      - .offset:         16
        .size:           8
        .value_kind:     by_value
      - .offset:         24
        .size:           4
        .value_kind:     by_value
      - .offset:         32
        .size:           8
        .value_kind:     by_value
      - .address_space:  global
        .offset:         40
        .size:           8
        .value_kind:     global_buffer
      - .offset:         48
        .size:           8
        .value_kind:     by_value
      - .offset:         56
        .size:           8
        .value_kind:     by_value
      - .address_space:  global
        .offset:         64
        .size:           8
        .value_kind:     global_buffer
      - .offset:         72
        .size:           4
        .value_kind:     by_value
      - .offset:         76
        .size:           4
        .value_kind:     by_value
      - .address_space:  global
        .offset:         80
        .size:           8
        .value_kind:     global_buffer
      - .offset:         88
        .size:           8
        .value_kind:     by_value
      - .offset:         96
        .size:           4
        .value_kind:     hidden_block_count_x
      - .offset:         100
        .size:           4
        .value_kind:     hidden_block_count_y
      - .offset:         104
        .size:           4
        .value_kind:     hidden_block_count_z
      - .offset:         108
        .size:           2
        .value_kind:     hidden_group_size_x
      - .offset:         110
        .size:           2
        .value_kind:     hidden_group_size_y
      - .offset:         112
        .size:           2
        .value_kind:     hidden_group_size_z
      - .offset:         114
        .size:           2
        .value_kind:     hidden_remainder_x
      - .offset:         116
        .size:           2
        .value_kind:     hidden_remainder_y
      - .offset:         118
        .size:           2
        .value_kind:     hidden_remainder_z
      - .offset:         136
        .size:           8
        .value_kind:     hidden_global_offset_x
      - .offset:         144
        .size:           8
        .value_kind:     hidden_global_offset_y
      - .offset:         152
        .size:           8
        .value_kind:     hidden_global_offset_z
      - .offset:         160
        .size:           2
        .value_kind:     hidden_grid_dims
      - .offset:         216
        .size:           4
        .value_kind:     hidden_dynamic_lds_size
    .group_segment_fixed_size: 0
    .kernarg_segment_align: 8
    .kernarg_segment_size: 352
    .language:       OpenCL C
    .language_version:
      - 2
      - 0
    .max_flat_workgroup_size: 512
    .name:           _ZN9rocsolver6v33100L18getf2_small_kernelILi45E19rocblas_complex_numIdEiiPS3_EEvT1_T3_lS5_lPS5_llPT2_S5_S5_S7_l
    .private_segment_fixed_size: 0
    .sgpr_count:     30
    .sgpr_spill_count: 0
    .symbol:         _ZN9rocsolver6v33100L18getf2_small_kernelILi45E19rocblas_complex_numIdEiiPS3_EEvT1_T3_lS5_lPS5_llPT2_S5_S5_S7_l.kd
    .uniform_work_group_size: 1
    .uses_dynamic_stack: false
    .vgpr_count:     218
    .vgpr_spill_count: 0
    .wavefront_size: 64
  - .agpr_count:     0
    .args:
      - .offset:         0
        .size:           4
        .value_kind:     by_value
      - .address_space:  global
        .offset:         8
        .size:           8
        .value_kind:     global_buffer
      - .offset:         16
        .size:           8
        .value_kind:     by_value
      - .offset:         24
        .size:           4
        .value_kind:     by_value
      - .offset:         32
        .size:           8
        .value_kind:     by_value
      - .address_space:  global
        .offset:         40
        .size:           8
        .value_kind:     global_buffer
      - .offset:         48
        .size:           4
        .value_kind:     by_value
      - .offset:         52
        .size:           4
        .value_kind:     by_value
      - .offset:         56
        .size:           4
        .value_kind:     hidden_block_count_x
      - .offset:         60
        .size:           4
        .value_kind:     hidden_block_count_y
      - .offset:         64
        .size:           4
        .value_kind:     hidden_block_count_z
      - .offset:         68
        .size:           2
        .value_kind:     hidden_group_size_x
      - .offset:         70
        .size:           2
        .value_kind:     hidden_group_size_y
      - .offset:         72
        .size:           2
        .value_kind:     hidden_group_size_z
      - .offset:         74
        .size:           2
        .value_kind:     hidden_remainder_x
      - .offset:         76
        .size:           2
        .value_kind:     hidden_remainder_y
      - .offset:         78
        .size:           2
        .value_kind:     hidden_remainder_z
      - .offset:         96
        .size:           8
        .value_kind:     hidden_global_offset_x
      - .offset:         104
        .size:           8
        .value_kind:     hidden_global_offset_y
      - .offset:         112
        .size:           8
        .value_kind:     hidden_global_offset_z
      - .offset:         120
        .size:           2
        .value_kind:     hidden_grid_dims
      - .offset:         176
        .size:           4
        .value_kind:     hidden_dynamic_lds_size
    .group_segment_fixed_size: 0
    .kernarg_segment_align: 8
    .kernarg_segment_size: 312
    .language:       OpenCL C
    .language_version:
      - 2
      - 0
    .max_flat_workgroup_size: 512
    .name:           _ZN9rocsolver6v33100L23getf2_npvt_small_kernelILi45E19rocblas_complex_numIdEiiPS3_EEvT1_T3_lS5_lPT2_S5_S5_
    .private_segment_fixed_size: 852
    .sgpr_count:     22
    .sgpr_spill_count: 0
    .symbol:         _ZN9rocsolver6v33100L23getf2_npvt_small_kernelILi45E19rocblas_complex_numIdEiiPS3_EEvT1_T3_lS5_lPT2_S5_S5_.kd
    .uniform_work_group_size: 1
    .uses_dynamic_stack: false
    .vgpr_count:     256
    .vgpr_spill_count: 576
    .wavefront_size: 64
  - .agpr_count:     0
    .args:
      - .offset:         0
        .size:           4
        .value_kind:     by_value
      - .address_space:  global
        .offset:         8
        .size:           8
        .value_kind:     global_buffer
      - .offset:         16
        .size:           8
        .value_kind:     by_value
      - .offset:         24
        .size:           4
        .value_kind:     by_value
      - .offset:         32
        .size:           8
        .value_kind:     by_value
      - .address_space:  global
        .offset:         40
        .size:           8
        .value_kind:     global_buffer
      - .offset:         48
        .size:           8
        .value_kind:     by_value
      - .offset:         56
        .size:           8
        .value_kind:     by_value
      - .address_space:  global
        .offset:         64
        .size:           8
        .value_kind:     global_buffer
      - .offset:         72
        .size:           4
        .value_kind:     by_value
      - .offset:         76
        .size:           4
        .value_kind:     by_value
      - .address_space:  global
        .offset:         80
        .size:           8
        .value_kind:     global_buffer
      - .offset:         88
        .size:           8
        .value_kind:     by_value
      - .offset:         96
        .size:           4
        .value_kind:     hidden_block_count_x
      - .offset:         100
        .size:           4
        .value_kind:     hidden_block_count_y
      - .offset:         104
        .size:           4
        .value_kind:     hidden_block_count_z
      - .offset:         108
        .size:           2
        .value_kind:     hidden_group_size_x
      - .offset:         110
        .size:           2
        .value_kind:     hidden_group_size_y
      - .offset:         112
        .size:           2
        .value_kind:     hidden_group_size_z
      - .offset:         114
        .size:           2
        .value_kind:     hidden_remainder_x
      - .offset:         116
        .size:           2
        .value_kind:     hidden_remainder_y
      - .offset:         118
        .size:           2
        .value_kind:     hidden_remainder_z
      - .offset:         136
        .size:           8
        .value_kind:     hidden_global_offset_x
      - .offset:         144
        .size:           8
        .value_kind:     hidden_global_offset_y
      - .offset:         152
        .size:           8
        .value_kind:     hidden_global_offset_z
      - .offset:         160
        .size:           2
        .value_kind:     hidden_grid_dims
      - .offset:         216
        .size:           4
        .value_kind:     hidden_dynamic_lds_size
    .group_segment_fixed_size: 0
    .kernarg_segment_align: 8
    .kernarg_segment_size: 352
    .language:       OpenCL C
    .language_version:
      - 2
      - 0
    .max_flat_workgroup_size: 512
    .name:           _ZN9rocsolver6v33100L18getf2_small_kernelILi46E19rocblas_complex_numIdEiiPS3_EEvT1_T3_lS5_lPS5_llPT2_S5_S5_S7_l
    .private_segment_fixed_size: 0
    .sgpr_count:     30
    .sgpr_spill_count: 0
    .symbol:         _ZN9rocsolver6v33100L18getf2_small_kernelILi46E19rocblas_complex_numIdEiiPS3_EEvT1_T3_lS5_lPS5_llPT2_S5_S5_S7_l.kd
    .uniform_work_group_size: 1
    .uses_dynamic_stack: false
    .vgpr_count:     222
    .vgpr_spill_count: 0
    .wavefront_size: 64
  - .agpr_count:     0
    .args:
      - .offset:         0
        .size:           4
        .value_kind:     by_value
      - .address_space:  global
        .offset:         8
        .size:           8
        .value_kind:     global_buffer
      - .offset:         16
        .size:           8
        .value_kind:     by_value
      - .offset:         24
        .size:           4
        .value_kind:     by_value
      - .offset:         32
        .size:           8
        .value_kind:     by_value
      - .address_space:  global
        .offset:         40
        .size:           8
        .value_kind:     global_buffer
      - .offset:         48
        .size:           4
        .value_kind:     by_value
      - .offset:         52
        .size:           4
        .value_kind:     by_value
      - .offset:         56
        .size:           4
        .value_kind:     hidden_block_count_x
      - .offset:         60
        .size:           4
        .value_kind:     hidden_block_count_y
      - .offset:         64
        .size:           4
        .value_kind:     hidden_block_count_z
      - .offset:         68
        .size:           2
        .value_kind:     hidden_group_size_x
      - .offset:         70
        .size:           2
        .value_kind:     hidden_group_size_y
      - .offset:         72
        .size:           2
        .value_kind:     hidden_group_size_z
      - .offset:         74
        .size:           2
        .value_kind:     hidden_remainder_x
      - .offset:         76
        .size:           2
        .value_kind:     hidden_remainder_y
      - .offset:         78
        .size:           2
        .value_kind:     hidden_remainder_z
      - .offset:         96
        .size:           8
        .value_kind:     hidden_global_offset_x
      - .offset:         104
        .size:           8
        .value_kind:     hidden_global_offset_y
      - .offset:         112
        .size:           8
        .value_kind:     hidden_global_offset_z
      - .offset:         120
        .size:           2
        .value_kind:     hidden_grid_dims
      - .offset:         176
        .size:           4
        .value_kind:     hidden_dynamic_lds_size
    .group_segment_fixed_size: 0
    .kernarg_segment_align: 8
    .kernarg_segment_size: 312
    .language:       OpenCL C
    .language_version:
      - 2
      - 0
    .max_flat_workgroup_size: 512
    .name:           _ZN9rocsolver6v33100L23getf2_npvt_small_kernelILi46E19rocblas_complex_numIdEiiPS3_EEvT1_T3_lS5_lPT2_S5_S5_
    .private_segment_fixed_size: 892
    .sgpr_count:     22
    .sgpr_spill_count: 0
    .symbol:         _ZN9rocsolver6v33100L23getf2_npvt_small_kernelILi46E19rocblas_complex_numIdEiiPS3_EEvT1_T3_lS5_lPT2_S5_S5_.kd
    .uniform_work_group_size: 1
    .uses_dynamic_stack: false
    .vgpr_count:     256
    .vgpr_spill_count: 282
    .wavefront_size: 64
  - .agpr_count:     0
    .args:
      - .offset:         0
        .size:           4
        .value_kind:     by_value
      - .address_space:  global
        .offset:         8
        .size:           8
        .value_kind:     global_buffer
      - .offset:         16
        .size:           8
        .value_kind:     by_value
      - .offset:         24
        .size:           4
        .value_kind:     by_value
      - .offset:         32
        .size:           8
        .value_kind:     by_value
      - .address_space:  global
        .offset:         40
        .size:           8
        .value_kind:     global_buffer
      - .offset:         48
        .size:           8
        .value_kind:     by_value
      - .offset:         56
        .size:           8
        .value_kind:     by_value
      - .address_space:  global
        .offset:         64
        .size:           8
        .value_kind:     global_buffer
      - .offset:         72
        .size:           4
        .value_kind:     by_value
      - .offset:         76
        .size:           4
        .value_kind:     by_value
      - .address_space:  global
        .offset:         80
        .size:           8
        .value_kind:     global_buffer
      - .offset:         88
        .size:           8
        .value_kind:     by_value
      - .offset:         96
        .size:           4
        .value_kind:     hidden_block_count_x
      - .offset:         100
        .size:           4
        .value_kind:     hidden_block_count_y
      - .offset:         104
        .size:           4
        .value_kind:     hidden_block_count_z
      - .offset:         108
        .size:           2
        .value_kind:     hidden_group_size_x
      - .offset:         110
        .size:           2
        .value_kind:     hidden_group_size_y
      - .offset:         112
        .size:           2
        .value_kind:     hidden_group_size_z
      - .offset:         114
        .size:           2
        .value_kind:     hidden_remainder_x
      - .offset:         116
        .size:           2
        .value_kind:     hidden_remainder_y
      - .offset:         118
        .size:           2
        .value_kind:     hidden_remainder_z
      - .offset:         136
        .size:           8
        .value_kind:     hidden_global_offset_x
      - .offset:         144
        .size:           8
        .value_kind:     hidden_global_offset_y
      - .offset:         152
        .size:           8
        .value_kind:     hidden_global_offset_z
      - .offset:         160
        .size:           2
        .value_kind:     hidden_grid_dims
      - .offset:         216
        .size:           4
        .value_kind:     hidden_dynamic_lds_size
    .group_segment_fixed_size: 0
    .kernarg_segment_align: 8
    .kernarg_segment_size: 352
    .language:       OpenCL C
    .language_version:
      - 2
      - 0
    .max_flat_workgroup_size: 512
    .name:           _ZN9rocsolver6v33100L18getf2_small_kernelILi47E19rocblas_complex_numIdEiiPS3_EEvT1_T3_lS5_lPS5_llPT2_S5_S5_S7_l
    .private_segment_fixed_size: 0
    .sgpr_count:     30
    .sgpr_spill_count: 0
    .symbol:         _ZN9rocsolver6v33100L18getf2_small_kernelILi47E19rocblas_complex_numIdEiiPS3_EEvT1_T3_lS5_lPS5_llPT2_S5_S5_S7_l.kd
    .uniform_work_group_size: 1
    .uses_dynamic_stack: false
    .vgpr_count:     228
    .vgpr_spill_count: 0
    .wavefront_size: 64
  - .agpr_count:     0
    .args:
      - .offset:         0
        .size:           4
        .value_kind:     by_value
      - .address_space:  global
        .offset:         8
        .size:           8
        .value_kind:     global_buffer
      - .offset:         16
        .size:           8
        .value_kind:     by_value
      - .offset:         24
        .size:           4
        .value_kind:     by_value
      - .offset:         32
        .size:           8
        .value_kind:     by_value
      - .address_space:  global
        .offset:         40
        .size:           8
        .value_kind:     global_buffer
      - .offset:         48
        .size:           4
        .value_kind:     by_value
      - .offset:         52
        .size:           4
        .value_kind:     by_value
      - .offset:         56
        .size:           4
        .value_kind:     hidden_block_count_x
      - .offset:         60
        .size:           4
        .value_kind:     hidden_block_count_y
      - .offset:         64
        .size:           4
        .value_kind:     hidden_block_count_z
      - .offset:         68
        .size:           2
        .value_kind:     hidden_group_size_x
      - .offset:         70
        .size:           2
        .value_kind:     hidden_group_size_y
      - .offset:         72
        .size:           2
        .value_kind:     hidden_group_size_z
      - .offset:         74
        .size:           2
        .value_kind:     hidden_remainder_x
      - .offset:         76
        .size:           2
        .value_kind:     hidden_remainder_y
      - .offset:         78
        .size:           2
        .value_kind:     hidden_remainder_z
      - .offset:         96
        .size:           8
        .value_kind:     hidden_global_offset_x
      - .offset:         104
        .size:           8
        .value_kind:     hidden_global_offset_y
      - .offset:         112
        .size:           8
        .value_kind:     hidden_global_offset_z
      - .offset:         120
        .size:           2
        .value_kind:     hidden_grid_dims
      - .offset:         176
        .size:           4
        .value_kind:     hidden_dynamic_lds_size
    .group_segment_fixed_size: 0
    .kernarg_segment_align: 8
    .kernarg_segment_size: 312
    .language:       OpenCL C
    .language_version:
      - 2
      - 0
    .max_flat_workgroup_size: 512
    .name:           _ZN9rocsolver6v33100L23getf2_npvt_small_kernelILi47E19rocblas_complex_numIdEiiPS3_EEvT1_T3_lS5_lPT2_S5_S5_
    .private_segment_fixed_size: 932
    .sgpr_count:     22
    .sgpr_spill_count: 0
    .symbol:         _ZN9rocsolver6v33100L23getf2_npvt_small_kernelILi47E19rocblas_complex_numIdEiiPS3_EEvT1_T3_lS5_lPT2_S5_S5_.kd
    .uniform_work_group_size: 1
    .uses_dynamic_stack: false
    .vgpr_count:     256
    .vgpr_spill_count: 232
    .wavefront_size: 64
  - .agpr_count:     0
    .args:
      - .offset:         0
        .size:           4
        .value_kind:     by_value
      - .address_space:  global
        .offset:         8
        .size:           8
        .value_kind:     global_buffer
      - .offset:         16
        .size:           8
        .value_kind:     by_value
      - .offset:         24
        .size:           4
        .value_kind:     by_value
      - .offset:         32
        .size:           8
        .value_kind:     by_value
      - .address_space:  global
        .offset:         40
        .size:           8
        .value_kind:     global_buffer
      - .offset:         48
        .size:           8
        .value_kind:     by_value
      - .offset:         56
        .size:           8
        .value_kind:     by_value
      - .address_space:  global
        .offset:         64
        .size:           8
        .value_kind:     global_buffer
      - .offset:         72
        .size:           4
        .value_kind:     by_value
      - .offset:         76
        .size:           4
        .value_kind:     by_value
      - .address_space:  global
        .offset:         80
        .size:           8
        .value_kind:     global_buffer
      - .offset:         88
        .size:           8
        .value_kind:     by_value
      - .offset:         96
        .size:           4
        .value_kind:     hidden_block_count_x
      - .offset:         100
        .size:           4
        .value_kind:     hidden_block_count_y
      - .offset:         104
        .size:           4
        .value_kind:     hidden_block_count_z
      - .offset:         108
        .size:           2
        .value_kind:     hidden_group_size_x
      - .offset:         110
        .size:           2
        .value_kind:     hidden_group_size_y
      - .offset:         112
        .size:           2
        .value_kind:     hidden_group_size_z
      - .offset:         114
        .size:           2
        .value_kind:     hidden_remainder_x
      - .offset:         116
        .size:           2
        .value_kind:     hidden_remainder_y
      - .offset:         118
        .size:           2
        .value_kind:     hidden_remainder_z
      - .offset:         136
        .size:           8
        .value_kind:     hidden_global_offset_x
      - .offset:         144
        .size:           8
        .value_kind:     hidden_global_offset_y
      - .offset:         152
        .size:           8
        .value_kind:     hidden_global_offset_z
      - .offset:         160
        .size:           2
        .value_kind:     hidden_grid_dims
      - .offset:         216
        .size:           4
        .value_kind:     hidden_dynamic_lds_size
    .group_segment_fixed_size: 0
    .kernarg_segment_align: 8
    .kernarg_segment_size: 352
    .language:       OpenCL C
    .language_version:
      - 2
      - 0
    .max_flat_workgroup_size: 512
    .name:           _ZN9rocsolver6v33100L18getf2_small_kernelILi48E19rocblas_complex_numIdEiiPS3_EEvT1_T3_lS5_lPS5_llPT2_S5_S5_S7_l
    .private_segment_fixed_size: 0
    .sgpr_count:     30
    .sgpr_spill_count: 0
    .symbol:         _ZN9rocsolver6v33100L18getf2_small_kernelILi48E19rocblas_complex_numIdEiiPS3_EEvT1_T3_lS5_lPS5_llPT2_S5_S5_S7_l.kd
    .uniform_work_group_size: 1
    .uses_dynamic_stack: false
    .vgpr_count:     232
    .vgpr_spill_count: 0
    .wavefront_size: 64
  - .agpr_count:     0
    .args:
      - .offset:         0
        .size:           4
        .value_kind:     by_value
      - .address_space:  global
        .offset:         8
        .size:           8
        .value_kind:     global_buffer
      - .offset:         16
        .size:           8
        .value_kind:     by_value
      - .offset:         24
        .size:           4
        .value_kind:     by_value
      - .offset:         32
        .size:           8
        .value_kind:     by_value
      - .address_space:  global
        .offset:         40
        .size:           8
        .value_kind:     global_buffer
      - .offset:         48
        .size:           4
        .value_kind:     by_value
      - .offset:         52
        .size:           4
        .value_kind:     by_value
      - .offset:         56
        .size:           4
        .value_kind:     hidden_block_count_x
      - .offset:         60
        .size:           4
        .value_kind:     hidden_block_count_y
      - .offset:         64
        .size:           4
        .value_kind:     hidden_block_count_z
      - .offset:         68
        .size:           2
        .value_kind:     hidden_group_size_x
      - .offset:         70
        .size:           2
        .value_kind:     hidden_group_size_y
      - .offset:         72
        .size:           2
        .value_kind:     hidden_group_size_z
      - .offset:         74
        .size:           2
        .value_kind:     hidden_remainder_x
      - .offset:         76
        .size:           2
        .value_kind:     hidden_remainder_y
      - .offset:         78
        .size:           2
        .value_kind:     hidden_remainder_z
      - .offset:         96
        .size:           8
        .value_kind:     hidden_global_offset_x
      - .offset:         104
        .size:           8
        .value_kind:     hidden_global_offset_y
      - .offset:         112
        .size:           8
        .value_kind:     hidden_global_offset_z
      - .offset:         120
        .size:           2
        .value_kind:     hidden_grid_dims
      - .offset:         176
        .size:           4
        .value_kind:     hidden_dynamic_lds_size
    .group_segment_fixed_size: 0
    .kernarg_segment_align: 8
    .kernarg_segment_size: 312
    .language:       OpenCL C
    .language_version:
      - 2
      - 0
    .max_flat_workgroup_size: 512
    .name:           _ZN9rocsolver6v33100L23getf2_npvt_small_kernelILi48E19rocblas_complex_numIdEiiPS3_EEvT1_T3_lS5_lPT2_S5_S5_
    .private_segment_fixed_size: 956
    .sgpr_count:     22
    .sgpr_spill_count: 0
    .symbol:         _ZN9rocsolver6v33100L23getf2_npvt_small_kernelILi48E19rocblas_complex_numIdEiiPS3_EEvT1_T3_lS5_lPT2_S5_S5_.kd
    .uniform_work_group_size: 1
    .uses_dynamic_stack: false
    .vgpr_count:     256
    .vgpr_spill_count: 242
    .wavefront_size: 64
  - .agpr_count:     0
    .args:
      - .offset:         0
        .size:           4
        .value_kind:     by_value
      - .address_space:  global
        .offset:         8
        .size:           8
        .value_kind:     global_buffer
      - .offset:         16
        .size:           8
        .value_kind:     by_value
      - .offset:         24
        .size:           4
        .value_kind:     by_value
      - .offset:         32
        .size:           8
        .value_kind:     by_value
      - .address_space:  global
        .offset:         40
        .size:           8
        .value_kind:     global_buffer
      - .offset:         48
        .size:           8
        .value_kind:     by_value
      - .offset:         56
        .size:           8
        .value_kind:     by_value
      - .address_space:  global
        .offset:         64
        .size:           8
        .value_kind:     global_buffer
      - .offset:         72
        .size:           4
        .value_kind:     by_value
      - .offset:         76
        .size:           4
        .value_kind:     by_value
      - .address_space:  global
        .offset:         80
        .size:           8
        .value_kind:     global_buffer
      - .offset:         88
        .size:           8
        .value_kind:     by_value
      - .offset:         96
        .size:           4
        .value_kind:     hidden_block_count_x
      - .offset:         100
        .size:           4
        .value_kind:     hidden_block_count_y
      - .offset:         104
        .size:           4
        .value_kind:     hidden_block_count_z
      - .offset:         108
        .size:           2
        .value_kind:     hidden_group_size_x
      - .offset:         110
        .size:           2
        .value_kind:     hidden_group_size_y
      - .offset:         112
        .size:           2
        .value_kind:     hidden_group_size_z
      - .offset:         114
        .size:           2
        .value_kind:     hidden_remainder_x
      - .offset:         116
        .size:           2
        .value_kind:     hidden_remainder_y
      - .offset:         118
        .size:           2
        .value_kind:     hidden_remainder_z
      - .offset:         136
        .size:           8
        .value_kind:     hidden_global_offset_x
      - .offset:         144
        .size:           8
        .value_kind:     hidden_global_offset_y
      - .offset:         152
        .size:           8
        .value_kind:     hidden_global_offset_z
      - .offset:         160
        .size:           2
        .value_kind:     hidden_grid_dims
      - .offset:         216
        .size:           4
        .value_kind:     hidden_dynamic_lds_size
    .group_segment_fixed_size: 0
    .kernarg_segment_align: 8
    .kernarg_segment_size: 352
    .language:       OpenCL C
    .language_version:
      - 2
      - 0
    .max_flat_workgroup_size: 512
    .name:           _ZN9rocsolver6v33100L18getf2_small_kernelILi49E19rocblas_complex_numIdEiiPS3_EEvT1_T3_lS5_lPS5_llPT2_S5_S5_S7_l
    .private_segment_fixed_size: 0
    .sgpr_count:     30
    .sgpr_spill_count: 0
    .symbol:         _ZN9rocsolver6v33100L18getf2_small_kernelILi49E19rocblas_complex_numIdEiiPS3_EEvT1_T3_lS5_lPS5_llPT2_S5_S5_S7_l.kd
    .uniform_work_group_size: 1
    .uses_dynamic_stack: false
    .vgpr_count:     236
    .vgpr_spill_count: 0
    .wavefront_size: 64
  - .agpr_count:     0
    .args:
      - .offset:         0
        .size:           4
        .value_kind:     by_value
      - .address_space:  global
        .offset:         8
        .size:           8
        .value_kind:     global_buffer
      - .offset:         16
        .size:           8
        .value_kind:     by_value
      - .offset:         24
        .size:           4
        .value_kind:     by_value
      - .offset:         32
        .size:           8
        .value_kind:     by_value
      - .address_space:  global
        .offset:         40
        .size:           8
        .value_kind:     global_buffer
      - .offset:         48
        .size:           4
        .value_kind:     by_value
      - .offset:         52
        .size:           4
        .value_kind:     by_value
      - .offset:         56
        .size:           4
        .value_kind:     hidden_block_count_x
      - .offset:         60
        .size:           4
        .value_kind:     hidden_block_count_y
      - .offset:         64
        .size:           4
        .value_kind:     hidden_block_count_z
      - .offset:         68
        .size:           2
        .value_kind:     hidden_group_size_x
      - .offset:         70
        .size:           2
        .value_kind:     hidden_group_size_y
      - .offset:         72
        .size:           2
        .value_kind:     hidden_group_size_z
      - .offset:         74
        .size:           2
        .value_kind:     hidden_remainder_x
      - .offset:         76
        .size:           2
        .value_kind:     hidden_remainder_y
      - .offset:         78
        .size:           2
        .value_kind:     hidden_remainder_z
      - .offset:         96
        .size:           8
        .value_kind:     hidden_global_offset_x
      - .offset:         104
        .size:           8
        .value_kind:     hidden_global_offset_y
      - .offset:         112
        .size:           8
        .value_kind:     hidden_global_offset_z
      - .offset:         120
        .size:           2
        .value_kind:     hidden_grid_dims
      - .offset:         176
        .size:           4
        .value_kind:     hidden_dynamic_lds_size
    .group_segment_fixed_size: 0
    .kernarg_segment_align: 8
    .kernarg_segment_size: 312
    .language:       OpenCL C
    .language_version:
      - 2
      - 0
    .max_flat_workgroup_size: 512
    .name:           _ZN9rocsolver6v33100L23getf2_npvt_small_kernelILi49E19rocblas_complex_numIdEiiPS3_EEvT1_T3_lS5_lPT2_S5_S5_
    .private_segment_fixed_size: 1020
    .sgpr_count:     22
    .sgpr_spill_count: 0
    .symbol:         _ZN9rocsolver6v33100L23getf2_npvt_small_kernelILi49E19rocblas_complex_numIdEiiPS3_EEvT1_T3_lS5_lPT2_S5_S5_.kd
    .uniform_work_group_size: 1
    .uses_dynamic_stack: false
    .vgpr_count:     256
    .vgpr_spill_count: 990
    .wavefront_size: 64
  - .agpr_count:     0
    .args:
      - .offset:         0
        .size:           4
        .value_kind:     by_value
      - .address_space:  global
        .offset:         8
        .size:           8
        .value_kind:     global_buffer
      - .offset:         16
        .size:           8
        .value_kind:     by_value
      - .offset:         24
        .size:           4
        .value_kind:     by_value
      - .offset:         32
        .size:           8
        .value_kind:     by_value
      - .address_space:  global
        .offset:         40
        .size:           8
        .value_kind:     global_buffer
      - .offset:         48
        .size:           8
        .value_kind:     by_value
      - .offset:         56
        .size:           8
        .value_kind:     by_value
      - .address_space:  global
        .offset:         64
        .size:           8
        .value_kind:     global_buffer
      - .offset:         72
        .size:           4
        .value_kind:     by_value
      - .offset:         76
        .size:           4
        .value_kind:     by_value
      - .address_space:  global
        .offset:         80
        .size:           8
        .value_kind:     global_buffer
      - .offset:         88
        .size:           8
        .value_kind:     by_value
      - .offset:         96
        .size:           4
        .value_kind:     hidden_block_count_x
      - .offset:         100
        .size:           4
        .value_kind:     hidden_block_count_y
      - .offset:         104
        .size:           4
        .value_kind:     hidden_block_count_z
      - .offset:         108
        .size:           2
        .value_kind:     hidden_group_size_x
      - .offset:         110
        .size:           2
        .value_kind:     hidden_group_size_y
      - .offset:         112
        .size:           2
        .value_kind:     hidden_group_size_z
      - .offset:         114
        .size:           2
        .value_kind:     hidden_remainder_x
      - .offset:         116
        .size:           2
        .value_kind:     hidden_remainder_y
      - .offset:         118
        .size:           2
        .value_kind:     hidden_remainder_z
      - .offset:         136
        .size:           8
        .value_kind:     hidden_global_offset_x
      - .offset:         144
        .size:           8
        .value_kind:     hidden_global_offset_y
      - .offset:         152
        .size:           8
        .value_kind:     hidden_global_offset_z
      - .offset:         160
        .size:           2
        .value_kind:     hidden_grid_dims
      - .offset:         216
        .size:           4
        .value_kind:     hidden_dynamic_lds_size
    .group_segment_fixed_size: 0
    .kernarg_segment_align: 8
    .kernarg_segment_size: 352
    .language:       OpenCL C
    .language_version:
      - 2
      - 0
    .max_flat_workgroup_size: 512
    .name:           _ZN9rocsolver6v33100L18getf2_small_kernelILi50E19rocblas_complex_numIdEiiPS3_EEvT1_T3_lS5_lPS5_llPT2_S5_S5_S7_l
    .private_segment_fixed_size: 0
    .sgpr_count:     32
    .sgpr_spill_count: 0
    .symbol:         _ZN9rocsolver6v33100L18getf2_small_kernelILi50E19rocblas_complex_numIdEiiPS3_EEvT1_T3_lS5_lPS5_llPT2_S5_S5_S7_l.kd
    .uniform_work_group_size: 1
    .uses_dynamic_stack: false
    .vgpr_count:     242
    .vgpr_spill_count: 0
    .wavefront_size: 64
  - .agpr_count:     0
    .args:
      - .offset:         0
        .size:           4
        .value_kind:     by_value
      - .address_space:  global
        .offset:         8
        .size:           8
        .value_kind:     global_buffer
      - .offset:         16
        .size:           8
        .value_kind:     by_value
      - .offset:         24
        .size:           4
        .value_kind:     by_value
      - .offset:         32
        .size:           8
        .value_kind:     by_value
      - .address_space:  global
        .offset:         40
        .size:           8
        .value_kind:     global_buffer
      - .offset:         48
        .size:           4
        .value_kind:     by_value
      - .offset:         52
        .size:           4
        .value_kind:     by_value
      - .offset:         56
        .size:           4
        .value_kind:     hidden_block_count_x
      - .offset:         60
        .size:           4
        .value_kind:     hidden_block_count_y
      - .offset:         64
        .size:           4
        .value_kind:     hidden_block_count_z
      - .offset:         68
        .size:           2
        .value_kind:     hidden_group_size_x
      - .offset:         70
        .size:           2
        .value_kind:     hidden_group_size_y
      - .offset:         72
        .size:           2
        .value_kind:     hidden_group_size_z
      - .offset:         74
        .size:           2
        .value_kind:     hidden_remainder_x
      - .offset:         76
        .size:           2
        .value_kind:     hidden_remainder_y
      - .offset:         78
        .size:           2
        .value_kind:     hidden_remainder_z
      - .offset:         96
        .size:           8
        .value_kind:     hidden_global_offset_x
      - .offset:         104
        .size:           8
        .value_kind:     hidden_global_offset_y
      - .offset:         112
        .size:           8
        .value_kind:     hidden_global_offset_z
      - .offset:         120
        .size:           2
        .value_kind:     hidden_grid_dims
      - .offset:         176
        .size:           4
        .value_kind:     hidden_dynamic_lds_size
    .group_segment_fixed_size: 0
    .kernarg_segment_align: 8
    .kernarg_segment_size: 312
    .language:       OpenCL C
    .language_version:
      - 2
      - 0
    .max_flat_workgroup_size: 512
    .name:           _ZN9rocsolver6v33100L23getf2_npvt_small_kernelILi50E19rocblas_complex_numIdEiiPS3_EEvT1_T3_lS5_lPT2_S5_S5_
    .private_segment_fixed_size: 1036
    .sgpr_count:     22
    .sgpr_spill_count: 0
    .symbol:         _ZN9rocsolver6v33100L23getf2_npvt_small_kernelILi50E19rocblas_complex_numIdEiiPS3_EEvT1_T3_lS5_lPT2_S5_S5_.kd
    .uniform_work_group_size: 1
    .uses_dynamic_stack: false
    .vgpr_count:     256
    .vgpr_spill_count: 1270
    .wavefront_size: 64
  - .agpr_count:     0
    .args:
      - .offset:         0
        .size:           4
        .value_kind:     by_value
      - .address_space:  global
        .offset:         8
        .size:           8
        .value_kind:     global_buffer
      - .offset:         16
        .size:           8
        .value_kind:     by_value
      - .offset:         24
        .size:           4
        .value_kind:     by_value
      - .offset:         32
        .size:           8
        .value_kind:     by_value
      - .address_space:  global
        .offset:         40
        .size:           8
        .value_kind:     global_buffer
      - .offset:         48
        .size:           8
        .value_kind:     by_value
      - .offset:         56
        .size:           8
        .value_kind:     by_value
      - .address_space:  global
        .offset:         64
        .size:           8
        .value_kind:     global_buffer
      - .offset:         72
        .size:           4
        .value_kind:     by_value
      - .offset:         76
        .size:           4
        .value_kind:     by_value
      - .address_space:  global
        .offset:         80
        .size:           8
        .value_kind:     global_buffer
      - .offset:         88
        .size:           8
        .value_kind:     by_value
      - .offset:         96
        .size:           4
        .value_kind:     hidden_block_count_x
      - .offset:         100
        .size:           4
        .value_kind:     hidden_block_count_y
      - .offset:         104
        .size:           4
        .value_kind:     hidden_block_count_z
      - .offset:         108
        .size:           2
        .value_kind:     hidden_group_size_x
      - .offset:         110
        .size:           2
        .value_kind:     hidden_group_size_y
      - .offset:         112
        .size:           2
        .value_kind:     hidden_group_size_z
      - .offset:         114
        .size:           2
        .value_kind:     hidden_remainder_x
      - .offset:         116
        .size:           2
        .value_kind:     hidden_remainder_y
      - .offset:         118
        .size:           2
        .value_kind:     hidden_remainder_z
      - .offset:         136
        .size:           8
        .value_kind:     hidden_global_offset_x
      - .offset:         144
        .size:           8
        .value_kind:     hidden_global_offset_y
      - .offset:         152
        .size:           8
        .value_kind:     hidden_global_offset_z
      - .offset:         160
        .size:           2
        .value_kind:     hidden_grid_dims
      - .offset:         216
        .size:           4
        .value_kind:     hidden_dynamic_lds_size
    .group_segment_fixed_size: 0
    .kernarg_segment_align: 8
    .kernarg_segment_size: 352
    .language:       OpenCL C
    .language_version:
      - 2
      - 0
    .max_flat_workgroup_size: 512
    .name:           _ZN9rocsolver6v33100L18getf2_small_kernelILi51E19rocblas_complex_numIdEiiPS3_EEvT1_T3_lS5_lPS5_llPT2_S5_S5_S7_l
    .private_segment_fixed_size: 0
    .sgpr_count:     32
    .sgpr_spill_count: 0
    .symbol:         _ZN9rocsolver6v33100L18getf2_small_kernelILi51E19rocblas_complex_numIdEiiPS3_EEvT1_T3_lS5_lPS5_llPT2_S5_S5_S7_l.kd
    .uniform_work_group_size: 1
    .uses_dynamic_stack: false
    .vgpr_count:     246
    .vgpr_spill_count: 0
    .wavefront_size: 64
  - .agpr_count:     0
    .args:
      - .offset:         0
        .size:           4
        .value_kind:     by_value
      - .address_space:  global
        .offset:         8
        .size:           8
        .value_kind:     global_buffer
      - .offset:         16
        .size:           8
        .value_kind:     by_value
      - .offset:         24
        .size:           4
        .value_kind:     by_value
      - .offset:         32
        .size:           8
        .value_kind:     by_value
      - .address_space:  global
        .offset:         40
        .size:           8
        .value_kind:     global_buffer
      - .offset:         48
        .size:           4
        .value_kind:     by_value
      - .offset:         52
        .size:           4
        .value_kind:     by_value
      - .offset:         56
        .size:           4
        .value_kind:     hidden_block_count_x
      - .offset:         60
        .size:           4
        .value_kind:     hidden_block_count_y
      - .offset:         64
        .size:           4
        .value_kind:     hidden_block_count_z
      - .offset:         68
        .size:           2
        .value_kind:     hidden_group_size_x
      - .offset:         70
        .size:           2
        .value_kind:     hidden_group_size_y
      - .offset:         72
        .size:           2
        .value_kind:     hidden_group_size_z
      - .offset:         74
        .size:           2
        .value_kind:     hidden_remainder_x
      - .offset:         76
        .size:           2
        .value_kind:     hidden_remainder_y
      - .offset:         78
        .size:           2
        .value_kind:     hidden_remainder_z
      - .offset:         96
        .size:           8
        .value_kind:     hidden_global_offset_x
      - .offset:         104
        .size:           8
        .value_kind:     hidden_global_offset_y
      - .offset:         112
        .size:           8
        .value_kind:     hidden_global_offset_z
      - .offset:         120
        .size:           2
        .value_kind:     hidden_grid_dims
      - .offset:         176
        .size:           4
        .value_kind:     hidden_dynamic_lds_size
    .group_segment_fixed_size: 0
    .kernarg_segment_align: 8
    .kernarg_segment_size: 312
    .language:       OpenCL C
    .language_version:
      - 2
      - 0
    .max_flat_workgroup_size: 512
    .name:           _ZN9rocsolver6v33100L23getf2_npvt_small_kernelILi51E19rocblas_complex_numIdEiiPS3_EEvT1_T3_lS5_lPT2_S5_S5_
    .private_segment_fixed_size: 1076
    .sgpr_count:     22
    .sgpr_spill_count: 0
    .symbol:         _ZN9rocsolver6v33100L23getf2_npvt_small_kernelILi51E19rocblas_complex_numIdEiiPS3_EEvT1_T3_lS5_lPT2_S5_S5_.kd
    .uniform_work_group_size: 1
    .uses_dynamic_stack: false
    .vgpr_count:     256
    .vgpr_spill_count: 272
    .wavefront_size: 64
  - .agpr_count:     0
    .args:
      - .offset:         0
        .size:           4
        .value_kind:     by_value
      - .address_space:  global
        .offset:         8
        .size:           8
        .value_kind:     global_buffer
      - .offset:         16
        .size:           8
        .value_kind:     by_value
      - .offset:         24
        .size:           4
        .value_kind:     by_value
      - .offset:         32
        .size:           8
        .value_kind:     by_value
      - .address_space:  global
        .offset:         40
        .size:           8
        .value_kind:     global_buffer
      - .offset:         48
        .size:           8
        .value_kind:     by_value
      - .offset:         56
        .size:           8
        .value_kind:     by_value
      - .address_space:  global
        .offset:         64
        .size:           8
        .value_kind:     global_buffer
      - .offset:         72
        .size:           4
        .value_kind:     by_value
      - .offset:         76
        .size:           4
        .value_kind:     by_value
      - .address_space:  global
        .offset:         80
        .size:           8
        .value_kind:     global_buffer
      - .offset:         88
        .size:           8
        .value_kind:     by_value
      - .offset:         96
        .size:           4
        .value_kind:     hidden_block_count_x
      - .offset:         100
        .size:           4
        .value_kind:     hidden_block_count_y
      - .offset:         104
        .size:           4
        .value_kind:     hidden_block_count_z
      - .offset:         108
        .size:           2
        .value_kind:     hidden_group_size_x
      - .offset:         110
        .size:           2
        .value_kind:     hidden_group_size_y
      - .offset:         112
        .size:           2
        .value_kind:     hidden_group_size_z
      - .offset:         114
        .size:           2
        .value_kind:     hidden_remainder_x
      - .offset:         116
        .size:           2
        .value_kind:     hidden_remainder_y
      - .offset:         118
        .size:           2
        .value_kind:     hidden_remainder_z
      - .offset:         136
        .size:           8
        .value_kind:     hidden_global_offset_x
      - .offset:         144
        .size:           8
        .value_kind:     hidden_global_offset_y
      - .offset:         152
        .size:           8
        .value_kind:     hidden_global_offset_z
      - .offset:         160
        .size:           2
        .value_kind:     hidden_grid_dims
      - .offset:         216
        .size:           4
        .value_kind:     hidden_dynamic_lds_size
    .group_segment_fixed_size: 0
    .kernarg_segment_align: 8
    .kernarg_segment_size: 352
    .language:       OpenCL C
    .language_version:
      - 2
      - 0
    .max_flat_workgroup_size: 512
    .name:           _ZN9rocsolver6v33100L18getf2_small_kernelILi52E19rocblas_complex_numIdEiiPS3_EEvT1_T3_lS5_lPS5_llPT2_S5_S5_S7_l
    .private_segment_fixed_size: 0
    .sgpr_count:     32
    .sgpr_spill_count: 0
    .symbol:         _ZN9rocsolver6v33100L18getf2_small_kernelILi52E19rocblas_complex_numIdEiiPS3_EEvT1_T3_lS5_lPS5_llPT2_S5_S5_S7_l.kd
    .uniform_work_group_size: 1
    .uses_dynamic_stack: false
    .vgpr_count:     250
    .vgpr_spill_count: 0
    .wavefront_size: 64
  - .agpr_count:     0
    .args:
      - .offset:         0
        .size:           4
        .value_kind:     by_value
      - .address_space:  global
        .offset:         8
        .size:           8
        .value_kind:     global_buffer
      - .offset:         16
        .size:           8
        .value_kind:     by_value
      - .offset:         24
        .size:           4
        .value_kind:     by_value
      - .offset:         32
        .size:           8
        .value_kind:     by_value
      - .address_space:  global
        .offset:         40
        .size:           8
        .value_kind:     global_buffer
      - .offset:         48
        .size:           4
        .value_kind:     by_value
      - .offset:         52
        .size:           4
        .value_kind:     by_value
      - .offset:         56
        .size:           4
        .value_kind:     hidden_block_count_x
      - .offset:         60
        .size:           4
        .value_kind:     hidden_block_count_y
      - .offset:         64
        .size:           4
        .value_kind:     hidden_block_count_z
      - .offset:         68
        .size:           2
        .value_kind:     hidden_group_size_x
      - .offset:         70
        .size:           2
        .value_kind:     hidden_group_size_y
      - .offset:         72
        .size:           2
        .value_kind:     hidden_group_size_z
      - .offset:         74
        .size:           2
        .value_kind:     hidden_remainder_x
      - .offset:         76
        .size:           2
        .value_kind:     hidden_remainder_y
      - .offset:         78
        .size:           2
        .value_kind:     hidden_remainder_z
      - .offset:         96
        .size:           8
        .value_kind:     hidden_global_offset_x
      - .offset:         104
        .size:           8
        .value_kind:     hidden_global_offset_y
      - .offset:         112
        .size:           8
        .value_kind:     hidden_global_offset_z
      - .offset:         120
        .size:           2
        .value_kind:     hidden_grid_dims
      - .offset:         176
        .size:           4
        .value_kind:     hidden_dynamic_lds_size
    .group_segment_fixed_size: 0
    .kernarg_segment_align: 8
    .kernarg_segment_size: 312
    .language:       OpenCL C
    .language_version:
      - 2
      - 0
    .max_flat_workgroup_size: 512
    .name:           _ZN9rocsolver6v33100L23getf2_npvt_small_kernelILi52E19rocblas_complex_numIdEiiPS3_EEvT1_T3_lS5_lPT2_S5_S5_
    .private_segment_fixed_size: 1120
    .sgpr_count:     22
    .sgpr_spill_count: 0
    .symbol:         _ZN9rocsolver6v33100L23getf2_npvt_small_kernelILi52E19rocblas_complex_numIdEiiPS3_EEvT1_T3_lS5_lPT2_S5_S5_.kd
    .uniform_work_group_size: 1
    .uses_dynamic_stack: false
    .vgpr_count:     256
    .vgpr_spill_count: 291
    .wavefront_size: 64
  - .agpr_count:     0
    .args:
      - .offset:         0
        .size:           4
        .value_kind:     by_value
      - .address_space:  global
        .offset:         8
        .size:           8
        .value_kind:     global_buffer
      - .offset:         16
        .size:           8
        .value_kind:     by_value
      - .offset:         24
        .size:           4
        .value_kind:     by_value
      - .offset:         32
        .size:           8
        .value_kind:     by_value
      - .address_space:  global
        .offset:         40
        .size:           8
        .value_kind:     global_buffer
      - .offset:         48
        .size:           8
        .value_kind:     by_value
      - .offset:         56
        .size:           8
        .value_kind:     by_value
      - .address_space:  global
        .offset:         64
        .size:           8
        .value_kind:     global_buffer
      - .offset:         72
        .size:           4
        .value_kind:     by_value
      - .offset:         76
        .size:           4
        .value_kind:     by_value
      - .address_space:  global
        .offset:         80
        .size:           8
        .value_kind:     global_buffer
      - .offset:         88
        .size:           8
        .value_kind:     by_value
      - .offset:         96
        .size:           4
        .value_kind:     hidden_block_count_x
      - .offset:         100
        .size:           4
        .value_kind:     hidden_block_count_y
      - .offset:         104
        .size:           4
        .value_kind:     hidden_block_count_z
      - .offset:         108
        .size:           2
        .value_kind:     hidden_group_size_x
      - .offset:         110
        .size:           2
        .value_kind:     hidden_group_size_y
      - .offset:         112
        .size:           2
        .value_kind:     hidden_group_size_z
      - .offset:         114
        .size:           2
        .value_kind:     hidden_remainder_x
      - .offset:         116
        .size:           2
        .value_kind:     hidden_remainder_y
      - .offset:         118
        .size:           2
        .value_kind:     hidden_remainder_z
      - .offset:         136
        .size:           8
        .value_kind:     hidden_global_offset_x
      - .offset:         144
        .size:           8
        .value_kind:     hidden_global_offset_y
      - .offset:         152
        .size:           8
        .value_kind:     hidden_global_offset_z
      - .offset:         160
        .size:           2
        .value_kind:     hidden_grid_dims
      - .offset:         216
        .size:           4
        .value_kind:     hidden_dynamic_lds_size
    .group_segment_fixed_size: 0
    .kernarg_segment_align: 8
    .kernarg_segment_size: 352
    .language:       OpenCL C
    .language_version:
      - 2
      - 0
    .max_flat_workgroup_size: 512
    .name:           _ZN9rocsolver6v33100L18getf2_small_kernelILi53E19rocblas_complex_numIdEiiPS3_EEvT1_T3_lS5_lPS5_llPT2_S5_S5_S7_l
    .private_segment_fixed_size: 0
    .sgpr_count:     32
    .sgpr_spill_count: 0
    .symbol:         _ZN9rocsolver6v33100L18getf2_small_kernelILi53E19rocblas_complex_numIdEiiPS3_EEvT1_T3_lS5_lPS5_llPT2_S5_S5_S7_l.kd
    .uniform_work_group_size: 1
    .uses_dynamic_stack: false
    .vgpr_count:     256
    .vgpr_spill_count: 0
    .wavefront_size: 64
  - .agpr_count:     0
    .args:
      - .offset:         0
        .size:           4
        .value_kind:     by_value
      - .address_space:  global
        .offset:         8
        .size:           8
        .value_kind:     global_buffer
      - .offset:         16
        .size:           8
        .value_kind:     by_value
      - .offset:         24
        .size:           4
        .value_kind:     by_value
      - .offset:         32
        .size:           8
        .value_kind:     by_value
      - .address_space:  global
        .offset:         40
        .size:           8
        .value_kind:     global_buffer
      - .offset:         48
        .size:           4
        .value_kind:     by_value
      - .offset:         52
        .size:           4
        .value_kind:     by_value
      - .offset:         56
        .size:           4
        .value_kind:     hidden_block_count_x
      - .offset:         60
        .size:           4
        .value_kind:     hidden_block_count_y
      - .offset:         64
        .size:           4
        .value_kind:     hidden_block_count_z
      - .offset:         68
        .size:           2
        .value_kind:     hidden_group_size_x
      - .offset:         70
        .size:           2
        .value_kind:     hidden_group_size_y
      - .offset:         72
        .size:           2
        .value_kind:     hidden_group_size_z
      - .offset:         74
        .size:           2
        .value_kind:     hidden_remainder_x
      - .offset:         76
        .size:           2
        .value_kind:     hidden_remainder_y
      - .offset:         78
        .size:           2
        .value_kind:     hidden_remainder_z
      - .offset:         96
        .size:           8
        .value_kind:     hidden_global_offset_x
      - .offset:         104
        .size:           8
        .value_kind:     hidden_global_offset_y
      - .offset:         112
        .size:           8
        .value_kind:     hidden_global_offset_z
      - .offset:         120
        .size:           2
        .value_kind:     hidden_grid_dims
      - .offset:         176
        .size:           4
        .value_kind:     hidden_dynamic_lds_size
    .group_segment_fixed_size: 0
    .kernarg_segment_align: 8
    .kernarg_segment_size: 312
    .language:       OpenCL C
    .language_version:
      - 2
      - 0
    .max_flat_workgroup_size: 512
    .name:           _ZN9rocsolver6v33100L23getf2_npvt_small_kernelILi53E19rocblas_complex_numIdEiiPS3_EEvT1_T3_lS5_lPT2_S5_S5_
    .private_segment_fixed_size: 1156
    .sgpr_count:     22
    .sgpr_spill_count: 0
    .symbol:         _ZN9rocsolver6v33100L23getf2_npvt_small_kernelILi53E19rocblas_complex_numIdEiiPS3_EEvT1_T3_lS5_lPT2_S5_S5_.kd
    .uniform_work_group_size: 1
    .uses_dynamic_stack: false
    .vgpr_count:     256
    .vgpr_spill_count: 316
    .wavefront_size: 64
  - .agpr_count:     0
    .args:
      - .offset:         0
        .size:           4
        .value_kind:     by_value
      - .address_space:  global
        .offset:         8
        .size:           8
        .value_kind:     global_buffer
      - .offset:         16
        .size:           8
        .value_kind:     by_value
      - .offset:         24
        .size:           4
        .value_kind:     by_value
      - .offset:         32
        .size:           8
        .value_kind:     by_value
      - .address_space:  global
        .offset:         40
        .size:           8
        .value_kind:     global_buffer
      - .offset:         48
        .size:           8
        .value_kind:     by_value
      - .offset:         56
        .size:           8
        .value_kind:     by_value
      - .address_space:  global
        .offset:         64
        .size:           8
        .value_kind:     global_buffer
      - .offset:         72
        .size:           4
        .value_kind:     by_value
      - .offset:         76
        .size:           4
        .value_kind:     by_value
      - .address_space:  global
        .offset:         80
        .size:           8
        .value_kind:     global_buffer
      - .offset:         88
        .size:           8
        .value_kind:     by_value
      - .offset:         96
        .size:           4
        .value_kind:     hidden_block_count_x
      - .offset:         100
        .size:           4
        .value_kind:     hidden_block_count_y
      - .offset:         104
        .size:           4
        .value_kind:     hidden_block_count_z
      - .offset:         108
        .size:           2
        .value_kind:     hidden_group_size_x
      - .offset:         110
        .size:           2
        .value_kind:     hidden_group_size_y
      - .offset:         112
        .size:           2
        .value_kind:     hidden_group_size_z
      - .offset:         114
        .size:           2
        .value_kind:     hidden_remainder_x
      - .offset:         116
        .size:           2
        .value_kind:     hidden_remainder_y
      - .offset:         118
        .size:           2
        .value_kind:     hidden_remainder_z
      - .offset:         136
        .size:           8
        .value_kind:     hidden_global_offset_x
      - .offset:         144
        .size:           8
        .value_kind:     hidden_global_offset_y
      - .offset:         152
        .size:           8
        .value_kind:     hidden_global_offset_z
      - .offset:         160
        .size:           2
        .value_kind:     hidden_grid_dims
      - .offset:         216
        .size:           4
        .value_kind:     hidden_dynamic_lds_size
    .group_segment_fixed_size: 0
    .kernarg_segment_align: 8
    .kernarg_segment_size: 352
    .language:       OpenCL C
    .language_version:
      - 2
      - 0
    .max_flat_workgroup_size: 512
    .name:           _ZN9rocsolver6v33100L18getf2_small_kernelILi54E19rocblas_complex_numIdEiiPS3_EEvT1_T3_lS5_lPS5_llPT2_S5_S5_S7_l
    .private_segment_fixed_size: 20
    .sgpr_count:     32
    .sgpr_spill_count: 0
    .symbol:         _ZN9rocsolver6v33100L18getf2_small_kernelILi54E19rocblas_complex_numIdEiiPS3_EEvT1_T3_lS5_lPS5_llPT2_S5_S5_S7_l.kd
    .uniform_work_group_size: 1
    .uses_dynamic_stack: false
    .vgpr_count:     256
    .vgpr_spill_count: 4
    .wavefront_size: 64
  - .agpr_count:     0
    .args:
      - .offset:         0
        .size:           4
        .value_kind:     by_value
      - .address_space:  global
        .offset:         8
        .size:           8
        .value_kind:     global_buffer
      - .offset:         16
        .size:           8
        .value_kind:     by_value
      - .offset:         24
        .size:           4
        .value_kind:     by_value
      - .offset:         32
        .size:           8
        .value_kind:     by_value
      - .address_space:  global
        .offset:         40
        .size:           8
        .value_kind:     global_buffer
      - .offset:         48
        .size:           4
        .value_kind:     by_value
      - .offset:         52
        .size:           4
        .value_kind:     by_value
      - .offset:         56
        .size:           4
        .value_kind:     hidden_block_count_x
      - .offset:         60
        .size:           4
        .value_kind:     hidden_block_count_y
      - .offset:         64
        .size:           4
        .value_kind:     hidden_block_count_z
      - .offset:         68
        .size:           2
        .value_kind:     hidden_group_size_x
      - .offset:         70
        .size:           2
        .value_kind:     hidden_group_size_y
      - .offset:         72
        .size:           2
        .value_kind:     hidden_group_size_z
      - .offset:         74
        .size:           2
        .value_kind:     hidden_remainder_x
      - .offset:         76
        .size:           2
        .value_kind:     hidden_remainder_y
      - .offset:         78
        .size:           2
        .value_kind:     hidden_remainder_z
      - .offset:         96
        .size:           8
        .value_kind:     hidden_global_offset_x
      - .offset:         104
        .size:           8
        .value_kind:     hidden_global_offset_y
      - .offset:         112
        .size:           8
        .value_kind:     hidden_global_offset_z
      - .offset:         120
        .size:           2
        .value_kind:     hidden_grid_dims
      - .offset:         176
        .size:           4
        .value_kind:     hidden_dynamic_lds_size
    .group_segment_fixed_size: 0
    .kernarg_segment_align: 8
    .kernarg_segment_size: 312
    .language:       OpenCL C
    .language_version:
      - 2
      - 0
    .max_flat_workgroup_size: 512
    .name:           _ZN9rocsolver6v33100L23getf2_npvt_small_kernelILi54E19rocblas_complex_numIdEiiPS3_EEvT1_T3_lS5_lPT2_S5_S5_
    .private_segment_fixed_size: 1196
    .sgpr_count:     22
    .sgpr_spill_count: 0
    .symbol:         _ZN9rocsolver6v33100L23getf2_npvt_small_kernelILi54E19rocblas_complex_numIdEiiPS3_EEvT1_T3_lS5_lPT2_S5_S5_.kd
    .uniform_work_group_size: 1
    .uses_dynamic_stack: false
    .vgpr_count:     256
    .vgpr_spill_count: 342
    .wavefront_size: 64
  - .agpr_count:     0
    .args:
      - .offset:         0
        .size:           4
        .value_kind:     by_value
      - .address_space:  global
        .offset:         8
        .size:           8
        .value_kind:     global_buffer
      - .offset:         16
        .size:           8
        .value_kind:     by_value
      - .offset:         24
        .size:           4
        .value_kind:     by_value
      - .offset:         32
        .size:           8
        .value_kind:     by_value
      - .address_space:  global
        .offset:         40
        .size:           8
        .value_kind:     global_buffer
      - .offset:         48
        .size:           8
        .value_kind:     by_value
      - .offset:         56
        .size:           8
        .value_kind:     by_value
      - .address_space:  global
        .offset:         64
        .size:           8
        .value_kind:     global_buffer
      - .offset:         72
        .size:           4
        .value_kind:     by_value
      - .offset:         76
        .size:           4
        .value_kind:     by_value
      - .address_space:  global
        .offset:         80
        .size:           8
        .value_kind:     global_buffer
      - .offset:         88
        .size:           8
        .value_kind:     by_value
      - .offset:         96
        .size:           4
        .value_kind:     hidden_block_count_x
      - .offset:         100
        .size:           4
        .value_kind:     hidden_block_count_y
      - .offset:         104
        .size:           4
        .value_kind:     hidden_block_count_z
      - .offset:         108
        .size:           2
        .value_kind:     hidden_group_size_x
      - .offset:         110
        .size:           2
        .value_kind:     hidden_group_size_y
      - .offset:         112
        .size:           2
        .value_kind:     hidden_group_size_z
      - .offset:         114
        .size:           2
        .value_kind:     hidden_remainder_x
      - .offset:         116
        .size:           2
        .value_kind:     hidden_remainder_y
      - .offset:         118
        .size:           2
        .value_kind:     hidden_remainder_z
      - .offset:         136
        .size:           8
        .value_kind:     hidden_global_offset_x
      - .offset:         144
        .size:           8
        .value_kind:     hidden_global_offset_y
      - .offset:         152
        .size:           8
        .value_kind:     hidden_global_offset_z
      - .offset:         160
        .size:           2
        .value_kind:     hidden_grid_dims
      - .offset:         216
        .size:           4
        .value_kind:     hidden_dynamic_lds_size
    .group_segment_fixed_size: 0
    .kernarg_segment_align: 8
    .kernarg_segment_size: 352
    .language:       OpenCL C
    .language_version:
      - 2
      - 0
    .max_flat_workgroup_size: 512
    .name:           _ZN9rocsolver6v33100L18getf2_small_kernelILi55E19rocblas_complex_numIdEiiPS3_EEvT1_T3_lS5_lPS5_llPT2_S5_S5_S7_l
    .private_segment_fixed_size: 44
    .sgpr_count:     32
    .sgpr_spill_count: 0
    .symbol:         _ZN9rocsolver6v33100L18getf2_small_kernelILi55E19rocblas_complex_numIdEiiPS3_EEvT1_T3_lS5_lPS5_llPT2_S5_S5_S7_l.kd
    .uniform_work_group_size: 1
    .uses_dynamic_stack: false
    .vgpr_count:     256
    .vgpr_spill_count: 10
    .wavefront_size: 64
  - .agpr_count:     0
    .args:
      - .offset:         0
        .size:           4
        .value_kind:     by_value
      - .address_space:  global
        .offset:         8
        .size:           8
        .value_kind:     global_buffer
      - .offset:         16
        .size:           8
        .value_kind:     by_value
      - .offset:         24
        .size:           4
        .value_kind:     by_value
      - .offset:         32
        .size:           8
        .value_kind:     by_value
      - .address_space:  global
        .offset:         40
        .size:           8
        .value_kind:     global_buffer
      - .offset:         48
        .size:           4
        .value_kind:     by_value
      - .offset:         52
        .size:           4
        .value_kind:     by_value
      - .offset:         56
        .size:           4
        .value_kind:     hidden_block_count_x
      - .offset:         60
        .size:           4
        .value_kind:     hidden_block_count_y
      - .offset:         64
        .size:           4
        .value_kind:     hidden_block_count_z
      - .offset:         68
        .size:           2
        .value_kind:     hidden_group_size_x
      - .offset:         70
        .size:           2
        .value_kind:     hidden_group_size_y
      - .offset:         72
        .size:           2
        .value_kind:     hidden_group_size_z
      - .offset:         74
        .size:           2
        .value_kind:     hidden_remainder_x
      - .offset:         76
        .size:           2
        .value_kind:     hidden_remainder_y
      - .offset:         78
        .size:           2
        .value_kind:     hidden_remainder_z
      - .offset:         96
        .size:           8
        .value_kind:     hidden_global_offset_x
      - .offset:         104
        .size:           8
        .value_kind:     hidden_global_offset_y
      - .offset:         112
        .size:           8
        .value_kind:     hidden_global_offset_z
      - .offset:         120
        .size:           2
        .value_kind:     hidden_grid_dims
      - .offset:         176
        .size:           4
        .value_kind:     hidden_dynamic_lds_size
    .group_segment_fixed_size: 0
    .kernarg_segment_align: 8
    .kernarg_segment_size: 312
    .language:       OpenCL C
    .language_version:
      - 2
      - 0
    .max_flat_workgroup_size: 512
    .name:           _ZN9rocsolver6v33100L23getf2_npvt_small_kernelILi55E19rocblas_complex_numIdEiiPS3_EEvT1_T3_lS5_lPT2_S5_S5_
    .private_segment_fixed_size: 1236
    .sgpr_count:     24
    .sgpr_spill_count: 0
    .symbol:         _ZN9rocsolver6v33100L23getf2_npvt_small_kernelILi55E19rocblas_complex_numIdEiiPS3_EEvT1_T3_lS5_lPT2_S5_S5_.kd
    .uniform_work_group_size: 1
    .uses_dynamic_stack: false
    .vgpr_count:     256
    .vgpr_spill_count: 372
    .wavefront_size: 64
  - .agpr_count:     0
    .args:
      - .offset:         0
        .size:           4
        .value_kind:     by_value
      - .address_space:  global
        .offset:         8
        .size:           8
        .value_kind:     global_buffer
      - .offset:         16
        .size:           8
        .value_kind:     by_value
      - .offset:         24
        .size:           4
        .value_kind:     by_value
      - .offset:         32
        .size:           8
        .value_kind:     by_value
      - .address_space:  global
        .offset:         40
        .size:           8
        .value_kind:     global_buffer
      - .offset:         48
        .size:           8
        .value_kind:     by_value
      - .offset:         56
        .size:           8
        .value_kind:     by_value
      - .address_space:  global
        .offset:         64
        .size:           8
        .value_kind:     global_buffer
      - .offset:         72
        .size:           4
        .value_kind:     by_value
      - .offset:         76
        .size:           4
        .value_kind:     by_value
      - .address_space:  global
        .offset:         80
        .size:           8
        .value_kind:     global_buffer
      - .offset:         88
        .size:           8
        .value_kind:     by_value
      - .offset:         96
        .size:           4
        .value_kind:     hidden_block_count_x
      - .offset:         100
        .size:           4
        .value_kind:     hidden_block_count_y
      - .offset:         104
        .size:           4
        .value_kind:     hidden_block_count_z
      - .offset:         108
        .size:           2
        .value_kind:     hidden_group_size_x
      - .offset:         110
        .size:           2
        .value_kind:     hidden_group_size_y
      - .offset:         112
        .size:           2
        .value_kind:     hidden_group_size_z
      - .offset:         114
        .size:           2
        .value_kind:     hidden_remainder_x
      - .offset:         116
        .size:           2
        .value_kind:     hidden_remainder_y
      - .offset:         118
        .size:           2
        .value_kind:     hidden_remainder_z
      - .offset:         136
        .size:           8
        .value_kind:     hidden_global_offset_x
      - .offset:         144
        .size:           8
        .value_kind:     hidden_global_offset_y
      - .offset:         152
        .size:           8
        .value_kind:     hidden_global_offset_z
      - .offset:         160
        .size:           2
        .value_kind:     hidden_grid_dims
      - .offset:         216
        .size:           4
        .value_kind:     hidden_dynamic_lds_size
    .group_segment_fixed_size: 0
    .kernarg_segment_align: 8
    .kernarg_segment_size: 352
    .language:       OpenCL C
    .language_version:
      - 2
      - 0
    .max_flat_workgroup_size: 512
    .name:           _ZN9rocsolver6v33100L18getf2_small_kernelILi56E19rocblas_complex_numIdEiiPS3_EEvT1_T3_lS5_lPS5_llPT2_S5_S5_S7_l
    .private_segment_fixed_size: 68
    .sgpr_count:     32
    .sgpr_spill_count: 0
    .symbol:         _ZN9rocsolver6v33100L18getf2_small_kernelILi56E19rocblas_complex_numIdEiiPS3_EEvT1_T3_lS5_lPS5_llPT2_S5_S5_S7_l.kd
    .uniform_work_group_size: 1
    .uses_dynamic_stack: false
    .vgpr_count:     256
    .vgpr_spill_count: 28
    .wavefront_size: 64
  - .agpr_count:     0
    .args:
      - .offset:         0
        .size:           4
        .value_kind:     by_value
      - .address_space:  global
        .offset:         8
        .size:           8
        .value_kind:     global_buffer
      - .offset:         16
        .size:           8
        .value_kind:     by_value
      - .offset:         24
        .size:           4
        .value_kind:     by_value
      - .offset:         32
        .size:           8
        .value_kind:     by_value
      - .address_space:  global
        .offset:         40
        .size:           8
        .value_kind:     global_buffer
      - .offset:         48
        .size:           4
        .value_kind:     by_value
      - .offset:         52
        .size:           4
        .value_kind:     by_value
      - .offset:         56
        .size:           4
        .value_kind:     hidden_block_count_x
      - .offset:         60
        .size:           4
        .value_kind:     hidden_block_count_y
      - .offset:         64
        .size:           4
        .value_kind:     hidden_block_count_z
      - .offset:         68
        .size:           2
        .value_kind:     hidden_group_size_x
      - .offset:         70
        .size:           2
        .value_kind:     hidden_group_size_y
      - .offset:         72
        .size:           2
        .value_kind:     hidden_group_size_z
      - .offset:         74
        .size:           2
        .value_kind:     hidden_remainder_x
      - .offset:         76
        .size:           2
        .value_kind:     hidden_remainder_y
      - .offset:         78
        .size:           2
        .value_kind:     hidden_remainder_z
      - .offset:         96
        .size:           8
        .value_kind:     hidden_global_offset_x
      - .offset:         104
        .size:           8
        .value_kind:     hidden_global_offset_y
      - .offset:         112
        .size:           8
        .value_kind:     hidden_global_offset_z
      - .offset:         120
        .size:           2
        .value_kind:     hidden_grid_dims
      - .offset:         176
        .size:           4
        .value_kind:     hidden_dynamic_lds_size
    .group_segment_fixed_size: 0
    .kernarg_segment_align: 8
    .kernarg_segment_size: 312
    .language:       OpenCL C
    .language_version:
      - 2
      - 0
    .max_flat_workgroup_size: 512
    .name:           _ZN9rocsolver6v33100L23getf2_npvt_small_kernelILi56E19rocblas_complex_numIdEiiPS3_EEvT1_T3_lS5_lPT2_S5_S5_
    .private_segment_fixed_size: 1276
    .sgpr_count:     24
    .sgpr_spill_count: 0
    .symbol:         _ZN9rocsolver6v33100L23getf2_npvt_small_kernelILi56E19rocblas_complex_numIdEiiPS3_EEvT1_T3_lS5_lPT2_S5_S5_.kd
    .uniform_work_group_size: 1
    .uses_dynamic_stack: false
    .vgpr_count:     256
    .vgpr_spill_count: 406
    .wavefront_size: 64
  - .agpr_count:     0
    .args:
      - .offset:         0
        .size:           4
        .value_kind:     by_value
      - .address_space:  global
        .offset:         8
        .size:           8
        .value_kind:     global_buffer
      - .offset:         16
        .size:           8
        .value_kind:     by_value
      - .offset:         24
        .size:           4
        .value_kind:     by_value
      - .offset:         32
        .size:           8
        .value_kind:     by_value
      - .address_space:  global
        .offset:         40
        .size:           8
        .value_kind:     global_buffer
      - .offset:         48
        .size:           8
        .value_kind:     by_value
      - .offset:         56
        .size:           8
        .value_kind:     by_value
      - .address_space:  global
        .offset:         64
        .size:           8
        .value_kind:     global_buffer
      - .offset:         72
        .size:           4
        .value_kind:     by_value
      - .offset:         76
        .size:           4
        .value_kind:     by_value
      - .address_space:  global
        .offset:         80
        .size:           8
        .value_kind:     global_buffer
      - .offset:         88
        .size:           8
        .value_kind:     by_value
      - .offset:         96
        .size:           4
        .value_kind:     hidden_block_count_x
      - .offset:         100
        .size:           4
        .value_kind:     hidden_block_count_y
      - .offset:         104
        .size:           4
        .value_kind:     hidden_block_count_z
      - .offset:         108
        .size:           2
        .value_kind:     hidden_group_size_x
      - .offset:         110
        .size:           2
        .value_kind:     hidden_group_size_y
      - .offset:         112
        .size:           2
        .value_kind:     hidden_group_size_z
      - .offset:         114
        .size:           2
        .value_kind:     hidden_remainder_x
      - .offset:         116
        .size:           2
        .value_kind:     hidden_remainder_y
      - .offset:         118
        .size:           2
        .value_kind:     hidden_remainder_z
      - .offset:         136
        .size:           8
        .value_kind:     hidden_global_offset_x
      - .offset:         144
        .size:           8
        .value_kind:     hidden_global_offset_y
      - .offset:         152
        .size:           8
        .value_kind:     hidden_global_offset_z
      - .offset:         160
        .size:           2
        .value_kind:     hidden_grid_dims
      - .offset:         216
        .size:           4
        .value_kind:     hidden_dynamic_lds_size
    .group_segment_fixed_size: 0
    .kernarg_segment_align: 8
    .kernarg_segment_size: 352
    .language:       OpenCL C
    .language_version:
      - 2
      - 0
    .max_flat_workgroup_size: 512
    .name:           _ZN9rocsolver6v33100L18getf2_small_kernelILi57E19rocblas_complex_numIdEiiPS3_EEvT1_T3_lS5_lPS5_llPT2_S5_S5_S7_l
    .private_segment_fixed_size: 72
    .sgpr_count:     32
    .sgpr_spill_count: 0
    .symbol:         _ZN9rocsolver6v33100L18getf2_small_kernelILi57E19rocblas_complex_numIdEiiPS3_EEvT1_T3_lS5_lPS5_llPT2_S5_S5_S7_l.kd
    .uniform_work_group_size: 1
    .uses_dynamic_stack: false
    .vgpr_count:     256
    .vgpr_spill_count: 41
    .wavefront_size: 64
  - .agpr_count:     0
    .args:
      - .offset:         0
        .size:           4
        .value_kind:     by_value
      - .address_space:  global
        .offset:         8
        .size:           8
        .value_kind:     global_buffer
      - .offset:         16
        .size:           8
        .value_kind:     by_value
      - .offset:         24
        .size:           4
        .value_kind:     by_value
      - .offset:         32
        .size:           8
        .value_kind:     by_value
      - .address_space:  global
        .offset:         40
        .size:           8
        .value_kind:     global_buffer
      - .offset:         48
        .size:           4
        .value_kind:     by_value
      - .offset:         52
        .size:           4
        .value_kind:     by_value
      - .offset:         56
        .size:           4
        .value_kind:     hidden_block_count_x
      - .offset:         60
        .size:           4
        .value_kind:     hidden_block_count_y
      - .offset:         64
        .size:           4
        .value_kind:     hidden_block_count_z
      - .offset:         68
        .size:           2
        .value_kind:     hidden_group_size_x
      - .offset:         70
        .size:           2
        .value_kind:     hidden_group_size_y
      - .offset:         72
        .size:           2
        .value_kind:     hidden_group_size_z
      - .offset:         74
        .size:           2
        .value_kind:     hidden_remainder_x
      - .offset:         76
        .size:           2
        .value_kind:     hidden_remainder_y
      - .offset:         78
        .size:           2
        .value_kind:     hidden_remainder_z
      - .offset:         96
        .size:           8
        .value_kind:     hidden_global_offset_x
      - .offset:         104
        .size:           8
        .value_kind:     hidden_global_offset_y
      - .offset:         112
        .size:           8
        .value_kind:     hidden_global_offset_z
      - .offset:         120
        .size:           2
        .value_kind:     hidden_grid_dims
      - .offset:         176
        .size:           4
        .value_kind:     hidden_dynamic_lds_size
    .group_segment_fixed_size: 0
    .kernarg_segment_align: 8
    .kernarg_segment_size: 312
    .language:       OpenCL C
    .language_version:
      - 2
      - 0
    .max_flat_workgroup_size: 512
    .name:           _ZN9rocsolver6v33100L23getf2_npvt_small_kernelILi57E19rocblas_complex_numIdEiiPS3_EEvT1_T3_lS5_lPT2_S5_S5_
    .private_segment_fixed_size: 1316
    .sgpr_count:     24
    .sgpr_spill_count: 0
    .symbol:         _ZN9rocsolver6v33100L23getf2_npvt_small_kernelILi57E19rocblas_complex_numIdEiiPS3_EEvT1_T3_lS5_lPT2_S5_S5_.kd
    .uniform_work_group_size: 1
    .uses_dynamic_stack: false
    .vgpr_count:     256
    .vgpr_spill_count: 444
    .wavefront_size: 64
  - .agpr_count:     0
    .args:
      - .offset:         0
        .size:           4
        .value_kind:     by_value
      - .address_space:  global
        .offset:         8
        .size:           8
        .value_kind:     global_buffer
      - .offset:         16
        .size:           8
        .value_kind:     by_value
      - .offset:         24
        .size:           4
        .value_kind:     by_value
      - .offset:         32
        .size:           8
        .value_kind:     by_value
      - .address_space:  global
        .offset:         40
        .size:           8
        .value_kind:     global_buffer
      - .offset:         48
        .size:           8
        .value_kind:     by_value
      - .offset:         56
        .size:           8
        .value_kind:     by_value
      - .address_space:  global
        .offset:         64
        .size:           8
        .value_kind:     global_buffer
      - .offset:         72
        .size:           4
        .value_kind:     by_value
      - .offset:         76
        .size:           4
        .value_kind:     by_value
      - .address_space:  global
        .offset:         80
        .size:           8
        .value_kind:     global_buffer
      - .offset:         88
        .size:           8
        .value_kind:     by_value
      - .offset:         96
        .size:           4
        .value_kind:     hidden_block_count_x
      - .offset:         100
        .size:           4
        .value_kind:     hidden_block_count_y
      - .offset:         104
        .size:           4
        .value_kind:     hidden_block_count_z
      - .offset:         108
        .size:           2
        .value_kind:     hidden_group_size_x
      - .offset:         110
        .size:           2
        .value_kind:     hidden_group_size_y
      - .offset:         112
        .size:           2
        .value_kind:     hidden_group_size_z
      - .offset:         114
        .size:           2
        .value_kind:     hidden_remainder_x
      - .offset:         116
        .size:           2
        .value_kind:     hidden_remainder_y
      - .offset:         118
        .size:           2
        .value_kind:     hidden_remainder_z
      - .offset:         136
        .size:           8
        .value_kind:     hidden_global_offset_x
      - .offset:         144
        .size:           8
        .value_kind:     hidden_global_offset_y
      - .offset:         152
        .size:           8
        .value_kind:     hidden_global_offset_z
      - .offset:         160
        .size:           2
        .value_kind:     hidden_grid_dims
      - .offset:         216
        .size:           4
        .value_kind:     hidden_dynamic_lds_size
    .group_segment_fixed_size: 0
    .kernarg_segment_align: 8
    .kernarg_segment_size: 352
    .language:       OpenCL C
    .language_version:
      - 2
      - 0
    .max_flat_workgroup_size: 512
    .name:           _ZN9rocsolver6v33100L18getf2_small_kernelILi58E19rocblas_complex_numIdEiiPS3_EEvT1_T3_lS5_lPS5_llPT2_S5_S5_S7_l
    .private_segment_fixed_size: 84
    .sgpr_count:     32
    .sgpr_spill_count: 0
    .symbol:         _ZN9rocsolver6v33100L18getf2_small_kernelILi58E19rocblas_complex_numIdEiiPS3_EEvT1_T3_lS5_lPS5_llPT2_S5_S5_S7_l.kd
    .uniform_work_group_size: 1
    .uses_dynamic_stack: false
    .vgpr_count:     256
    .vgpr_spill_count: 62
    .wavefront_size: 64
  - .agpr_count:     0
    .args:
      - .offset:         0
        .size:           4
        .value_kind:     by_value
      - .address_space:  global
        .offset:         8
        .size:           8
        .value_kind:     global_buffer
      - .offset:         16
        .size:           8
        .value_kind:     by_value
      - .offset:         24
        .size:           4
        .value_kind:     by_value
      - .offset:         32
        .size:           8
        .value_kind:     by_value
      - .address_space:  global
        .offset:         40
        .size:           8
        .value_kind:     global_buffer
      - .offset:         48
        .size:           4
        .value_kind:     by_value
      - .offset:         52
        .size:           4
        .value_kind:     by_value
      - .offset:         56
        .size:           4
        .value_kind:     hidden_block_count_x
      - .offset:         60
        .size:           4
        .value_kind:     hidden_block_count_y
      - .offset:         64
        .size:           4
        .value_kind:     hidden_block_count_z
      - .offset:         68
        .size:           2
        .value_kind:     hidden_group_size_x
      - .offset:         70
        .size:           2
        .value_kind:     hidden_group_size_y
      - .offset:         72
        .size:           2
        .value_kind:     hidden_group_size_z
      - .offset:         74
        .size:           2
        .value_kind:     hidden_remainder_x
      - .offset:         76
        .size:           2
        .value_kind:     hidden_remainder_y
      - .offset:         78
        .size:           2
        .value_kind:     hidden_remainder_z
      - .offset:         96
        .size:           8
        .value_kind:     hidden_global_offset_x
      - .offset:         104
        .size:           8
        .value_kind:     hidden_global_offset_y
      - .offset:         112
        .size:           8
        .value_kind:     hidden_global_offset_z
      - .offset:         120
        .size:           2
        .value_kind:     hidden_grid_dims
      - .offset:         176
        .size:           4
        .value_kind:     hidden_dynamic_lds_size
    .group_segment_fixed_size: 0
    .kernarg_segment_align: 8
    .kernarg_segment_size: 312
    .language:       OpenCL C
    .language_version:
      - 2
      - 0
    .max_flat_workgroup_size: 512
    .name:           _ZN9rocsolver6v33100L23getf2_npvt_small_kernelILi58E19rocblas_complex_numIdEiiPS3_EEvT1_T3_lS5_lPT2_S5_S5_
    .private_segment_fixed_size: 1356
    .sgpr_count:     24
    .sgpr_spill_count: 0
    .symbol:         _ZN9rocsolver6v33100L23getf2_npvt_small_kernelILi58E19rocblas_complex_numIdEiiPS3_EEvT1_T3_lS5_lPT2_S5_S5_.kd
    .uniform_work_group_size: 1
    .uses_dynamic_stack: false
    .vgpr_count:     256
    .vgpr_spill_count: 486
    .wavefront_size: 64
  - .agpr_count:     0
    .args:
      - .offset:         0
        .size:           4
        .value_kind:     by_value
      - .address_space:  global
        .offset:         8
        .size:           8
        .value_kind:     global_buffer
      - .offset:         16
        .size:           8
        .value_kind:     by_value
      - .offset:         24
        .size:           4
        .value_kind:     by_value
      - .offset:         32
        .size:           8
        .value_kind:     by_value
      - .address_space:  global
        .offset:         40
        .size:           8
        .value_kind:     global_buffer
      - .offset:         48
        .size:           8
        .value_kind:     by_value
      - .offset:         56
        .size:           8
        .value_kind:     by_value
      - .address_space:  global
        .offset:         64
        .size:           8
        .value_kind:     global_buffer
      - .offset:         72
        .size:           4
        .value_kind:     by_value
      - .offset:         76
        .size:           4
        .value_kind:     by_value
      - .address_space:  global
        .offset:         80
        .size:           8
        .value_kind:     global_buffer
      - .offset:         88
        .size:           8
        .value_kind:     by_value
      - .offset:         96
        .size:           4
        .value_kind:     hidden_block_count_x
      - .offset:         100
        .size:           4
        .value_kind:     hidden_block_count_y
      - .offset:         104
        .size:           4
        .value_kind:     hidden_block_count_z
      - .offset:         108
        .size:           2
        .value_kind:     hidden_group_size_x
      - .offset:         110
        .size:           2
        .value_kind:     hidden_group_size_y
      - .offset:         112
        .size:           2
        .value_kind:     hidden_group_size_z
      - .offset:         114
        .size:           2
        .value_kind:     hidden_remainder_x
      - .offset:         116
        .size:           2
        .value_kind:     hidden_remainder_y
      - .offset:         118
        .size:           2
        .value_kind:     hidden_remainder_z
      - .offset:         136
        .size:           8
        .value_kind:     hidden_global_offset_x
      - .offset:         144
        .size:           8
        .value_kind:     hidden_global_offset_y
      - .offset:         152
        .size:           8
        .value_kind:     hidden_global_offset_z
      - .offset:         160
        .size:           2
        .value_kind:     hidden_grid_dims
      - .offset:         216
        .size:           4
        .value_kind:     hidden_dynamic_lds_size
    .group_segment_fixed_size: 0
    .kernarg_segment_align: 8
    .kernarg_segment_size: 352
    .language:       OpenCL C
    .language_version:
      - 2
      - 0
    .max_flat_workgroup_size: 512
    .name:           _ZN9rocsolver6v33100L18getf2_small_kernelILi59E19rocblas_complex_numIdEiiPS3_EEvT1_T3_lS5_lPS5_llPT2_S5_S5_S7_l
    .private_segment_fixed_size: 84
    .sgpr_count:     32
    .sgpr_spill_count: 0
    .symbol:         _ZN9rocsolver6v33100L18getf2_small_kernelILi59E19rocblas_complex_numIdEiiPS3_EEvT1_T3_lS5_lPS5_llPT2_S5_S5_S7_l.kd
    .uniform_work_group_size: 1
    .uses_dynamic_stack: false
    .vgpr_count:     256
    .vgpr_spill_count: 60
    .wavefront_size: 64
  - .agpr_count:     0
    .args:
      - .offset:         0
        .size:           4
        .value_kind:     by_value
      - .address_space:  global
        .offset:         8
        .size:           8
        .value_kind:     global_buffer
      - .offset:         16
        .size:           8
        .value_kind:     by_value
      - .offset:         24
        .size:           4
        .value_kind:     by_value
      - .offset:         32
        .size:           8
        .value_kind:     by_value
      - .address_space:  global
        .offset:         40
        .size:           8
        .value_kind:     global_buffer
      - .offset:         48
        .size:           4
        .value_kind:     by_value
      - .offset:         52
        .size:           4
        .value_kind:     by_value
      - .offset:         56
        .size:           4
        .value_kind:     hidden_block_count_x
      - .offset:         60
        .size:           4
        .value_kind:     hidden_block_count_y
      - .offset:         64
        .size:           4
        .value_kind:     hidden_block_count_z
      - .offset:         68
        .size:           2
        .value_kind:     hidden_group_size_x
      - .offset:         70
        .size:           2
        .value_kind:     hidden_group_size_y
      - .offset:         72
        .size:           2
        .value_kind:     hidden_group_size_z
      - .offset:         74
        .size:           2
        .value_kind:     hidden_remainder_x
      - .offset:         76
        .size:           2
        .value_kind:     hidden_remainder_y
      - .offset:         78
        .size:           2
        .value_kind:     hidden_remainder_z
      - .offset:         96
        .size:           8
        .value_kind:     hidden_global_offset_x
      - .offset:         104
        .size:           8
        .value_kind:     hidden_global_offset_y
      - .offset:         112
        .size:           8
        .value_kind:     hidden_global_offset_z
      - .offset:         120
        .size:           2
        .value_kind:     hidden_grid_dims
      - .offset:         176
        .size:           4
        .value_kind:     hidden_dynamic_lds_size
    .group_segment_fixed_size: 0
    .kernarg_segment_align: 8
    .kernarg_segment_size: 312
    .language:       OpenCL C
    .language_version:
      - 2
      - 0
    .max_flat_workgroup_size: 512
    .name:           _ZN9rocsolver6v33100L23getf2_npvt_small_kernelILi59E19rocblas_complex_numIdEiiPS3_EEvT1_T3_lS5_lPT2_S5_S5_
    .private_segment_fixed_size: 1396
    .sgpr_count:     24
    .sgpr_spill_count: 0
    .symbol:         _ZN9rocsolver6v33100L23getf2_npvt_small_kernelILi59E19rocblas_complex_numIdEiiPS3_EEvT1_T3_lS5_lPT2_S5_S5_.kd
    .uniform_work_group_size: 1
    .uses_dynamic_stack: false
    .vgpr_count:     256
    .vgpr_spill_count: 532
    .wavefront_size: 64
  - .agpr_count:     0
    .args:
      - .offset:         0
        .size:           4
        .value_kind:     by_value
      - .address_space:  global
        .offset:         8
        .size:           8
        .value_kind:     global_buffer
      - .offset:         16
        .size:           8
        .value_kind:     by_value
      - .offset:         24
        .size:           4
        .value_kind:     by_value
      - .offset:         32
        .size:           8
        .value_kind:     by_value
      - .address_space:  global
        .offset:         40
        .size:           8
        .value_kind:     global_buffer
      - .offset:         48
        .size:           8
        .value_kind:     by_value
      - .offset:         56
        .size:           8
        .value_kind:     by_value
      - .address_space:  global
        .offset:         64
        .size:           8
        .value_kind:     global_buffer
      - .offset:         72
        .size:           4
        .value_kind:     by_value
      - .offset:         76
        .size:           4
        .value_kind:     by_value
      - .address_space:  global
        .offset:         80
        .size:           8
        .value_kind:     global_buffer
      - .offset:         88
        .size:           8
        .value_kind:     by_value
      - .offset:         96
        .size:           4
        .value_kind:     hidden_block_count_x
      - .offset:         100
        .size:           4
        .value_kind:     hidden_block_count_y
      - .offset:         104
        .size:           4
        .value_kind:     hidden_block_count_z
      - .offset:         108
        .size:           2
        .value_kind:     hidden_group_size_x
      - .offset:         110
        .size:           2
        .value_kind:     hidden_group_size_y
      - .offset:         112
        .size:           2
        .value_kind:     hidden_group_size_z
      - .offset:         114
        .size:           2
        .value_kind:     hidden_remainder_x
      - .offset:         116
        .size:           2
        .value_kind:     hidden_remainder_y
      - .offset:         118
        .size:           2
        .value_kind:     hidden_remainder_z
      - .offset:         136
        .size:           8
        .value_kind:     hidden_global_offset_x
      - .offset:         144
        .size:           8
        .value_kind:     hidden_global_offset_y
      - .offset:         152
        .size:           8
        .value_kind:     hidden_global_offset_z
      - .offset:         160
        .size:           2
        .value_kind:     hidden_grid_dims
      - .offset:         216
        .size:           4
        .value_kind:     hidden_dynamic_lds_size
    .group_segment_fixed_size: 0
    .kernarg_segment_align: 8
    .kernarg_segment_size: 352
    .language:       OpenCL C
    .language_version:
      - 2
      - 0
    .max_flat_workgroup_size: 512
    .name:           _ZN9rocsolver6v33100L18getf2_small_kernelILi60E19rocblas_complex_numIdEiiPS3_EEvT1_T3_lS5_lPS5_llPT2_S5_S5_S7_l
    .private_segment_fixed_size: 116
    .sgpr_count:     32
    .sgpr_spill_count: 0
    .symbol:         _ZN9rocsolver6v33100L18getf2_small_kernelILi60E19rocblas_complex_numIdEiiPS3_EEvT1_T3_lS5_lPS5_llPT2_S5_S5_S7_l.kd
    .uniform_work_group_size: 1
    .uses_dynamic_stack: false
    .vgpr_count:     256
    .vgpr_spill_count: 104
    .wavefront_size: 64
  - .agpr_count:     0
    .args:
      - .offset:         0
        .size:           4
        .value_kind:     by_value
      - .address_space:  global
        .offset:         8
        .size:           8
        .value_kind:     global_buffer
      - .offset:         16
        .size:           8
        .value_kind:     by_value
      - .offset:         24
        .size:           4
        .value_kind:     by_value
      - .offset:         32
        .size:           8
        .value_kind:     by_value
      - .address_space:  global
        .offset:         40
        .size:           8
        .value_kind:     global_buffer
      - .offset:         48
        .size:           4
        .value_kind:     by_value
      - .offset:         52
        .size:           4
        .value_kind:     by_value
      - .offset:         56
        .size:           4
        .value_kind:     hidden_block_count_x
      - .offset:         60
        .size:           4
        .value_kind:     hidden_block_count_y
      - .offset:         64
        .size:           4
        .value_kind:     hidden_block_count_z
      - .offset:         68
        .size:           2
        .value_kind:     hidden_group_size_x
      - .offset:         70
        .size:           2
        .value_kind:     hidden_group_size_y
      - .offset:         72
        .size:           2
        .value_kind:     hidden_group_size_z
      - .offset:         74
        .size:           2
        .value_kind:     hidden_remainder_x
      - .offset:         76
        .size:           2
        .value_kind:     hidden_remainder_y
      - .offset:         78
        .size:           2
        .value_kind:     hidden_remainder_z
      - .offset:         96
        .size:           8
        .value_kind:     hidden_global_offset_x
      - .offset:         104
        .size:           8
        .value_kind:     hidden_global_offset_y
      - .offset:         112
        .size:           8
        .value_kind:     hidden_global_offset_z
      - .offset:         120
        .size:           2
        .value_kind:     hidden_grid_dims
      - .offset:         176
        .size:           4
        .value_kind:     hidden_dynamic_lds_size
    .group_segment_fixed_size: 0
    .kernarg_segment_align: 8
    .kernarg_segment_size: 312
    .language:       OpenCL C
    .language_version:
      - 2
      - 0
    .max_flat_workgroup_size: 512
    .name:           _ZN9rocsolver6v33100L23getf2_npvt_small_kernelILi60E19rocblas_complex_numIdEiiPS3_EEvT1_T3_lS5_lPT2_S5_S5_
    .private_segment_fixed_size: 1436
    .sgpr_count:     24
    .sgpr_spill_count: 0
    .symbol:         _ZN9rocsolver6v33100L23getf2_npvt_small_kernelILi60E19rocblas_complex_numIdEiiPS3_EEvT1_T3_lS5_lPT2_S5_S5_.kd
    .uniform_work_group_size: 1
    .uses_dynamic_stack: false
    .vgpr_count:     256
    .vgpr_spill_count: 582
    .wavefront_size: 64
  - .agpr_count:     0
    .args:
      - .offset:         0
        .size:           4
        .value_kind:     by_value
      - .address_space:  global
        .offset:         8
        .size:           8
        .value_kind:     global_buffer
      - .offset:         16
        .size:           8
        .value_kind:     by_value
      - .offset:         24
        .size:           4
        .value_kind:     by_value
      - .offset:         32
        .size:           8
        .value_kind:     by_value
      - .address_space:  global
        .offset:         40
        .size:           8
        .value_kind:     global_buffer
      - .offset:         48
        .size:           8
        .value_kind:     by_value
      - .offset:         56
        .size:           8
        .value_kind:     by_value
      - .address_space:  global
        .offset:         64
        .size:           8
        .value_kind:     global_buffer
      - .offset:         72
        .size:           4
        .value_kind:     by_value
      - .offset:         76
        .size:           4
        .value_kind:     by_value
      - .address_space:  global
        .offset:         80
        .size:           8
        .value_kind:     global_buffer
      - .offset:         88
        .size:           8
        .value_kind:     by_value
      - .offset:         96
        .size:           4
        .value_kind:     hidden_block_count_x
      - .offset:         100
        .size:           4
        .value_kind:     hidden_block_count_y
      - .offset:         104
        .size:           4
        .value_kind:     hidden_block_count_z
      - .offset:         108
        .size:           2
        .value_kind:     hidden_group_size_x
      - .offset:         110
        .size:           2
        .value_kind:     hidden_group_size_y
      - .offset:         112
        .size:           2
        .value_kind:     hidden_group_size_z
      - .offset:         114
        .size:           2
        .value_kind:     hidden_remainder_x
      - .offset:         116
        .size:           2
        .value_kind:     hidden_remainder_y
      - .offset:         118
        .size:           2
        .value_kind:     hidden_remainder_z
      - .offset:         136
        .size:           8
        .value_kind:     hidden_global_offset_x
      - .offset:         144
        .size:           8
        .value_kind:     hidden_global_offset_y
      - .offset:         152
        .size:           8
        .value_kind:     hidden_global_offset_z
      - .offset:         160
        .size:           2
        .value_kind:     hidden_grid_dims
      - .offset:         216
        .size:           4
        .value_kind:     hidden_dynamic_lds_size
    .group_segment_fixed_size: 0
    .kernarg_segment_align: 8
    .kernarg_segment_size: 352
    .language:       OpenCL C
    .language_version:
      - 2
      - 0
    .max_flat_workgroup_size: 512
    .name:           _ZN9rocsolver6v33100L18getf2_small_kernelILi61E19rocblas_complex_numIdEiiPS3_EEvT1_T3_lS5_lPS5_llPT2_S5_S5_S7_l
    .private_segment_fixed_size: 992
    .sgpr_count:     106
    .sgpr_spill_count: 13
    .symbol:         _ZN9rocsolver6v33100L18getf2_small_kernelILi61E19rocblas_complex_numIdEiiPS3_EEvT1_T3_lS5_lPS5_llPT2_S5_S5_S7_l.kd
    .uniform_work_group_size: 1
    .uses_dynamic_stack: false
    .vgpr_count:     129
    .vgpr_spill_count: 0
    .wavefront_size: 64
  - .agpr_count:     0
    .args:
      - .offset:         0
        .size:           4
        .value_kind:     by_value
      - .address_space:  global
        .offset:         8
        .size:           8
        .value_kind:     global_buffer
      - .offset:         16
        .size:           8
        .value_kind:     by_value
      - .offset:         24
        .size:           4
        .value_kind:     by_value
      - .offset:         32
        .size:           8
        .value_kind:     by_value
      - .address_space:  global
        .offset:         40
        .size:           8
        .value_kind:     global_buffer
      - .offset:         48
        .size:           4
        .value_kind:     by_value
      - .offset:         52
        .size:           4
        .value_kind:     by_value
      - .offset:         56
        .size:           4
        .value_kind:     hidden_block_count_x
      - .offset:         60
        .size:           4
        .value_kind:     hidden_block_count_y
      - .offset:         64
        .size:           4
        .value_kind:     hidden_block_count_z
      - .offset:         68
        .size:           2
        .value_kind:     hidden_group_size_x
      - .offset:         70
        .size:           2
        .value_kind:     hidden_group_size_y
      - .offset:         72
        .size:           2
        .value_kind:     hidden_group_size_z
      - .offset:         74
        .size:           2
        .value_kind:     hidden_remainder_x
      - .offset:         76
        .size:           2
        .value_kind:     hidden_remainder_y
      - .offset:         78
        .size:           2
        .value_kind:     hidden_remainder_z
      - .offset:         96
        .size:           8
        .value_kind:     hidden_global_offset_x
      - .offset:         104
        .size:           8
        .value_kind:     hidden_global_offset_y
      - .offset:         112
        .size:           8
        .value_kind:     hidden_global_offset_z
      - .offset:         120
        .size:           2
        .value_kind:     hidden_grid_dims
      - .offset:         176
        .size:           4
        .value_kind:     hidden_dynamic_lds_size
    .group_segment_fixed_size: 0
    .kernarg_segment_align: 8
    .kernarg_segment_size: 312
    .language:       OpenCL C
    .language_version:
      - 2
      - 0
    .max_flat_workgroup_size: 512
    .name:           _ZN9rocsolver6v33100L23getf2_npvt_small_kernelILi61E19rocblas_complex_numIdEiiPS3_EEvT1_T3_lS5_lPT2_S5_S5_
    .private_segment_fixed_size: 1472
    .sgpr_count:     104
    .sgpr_spill_count: 0
    .symbol:         _ZN9rocsolver6v33100L23getf2_npvt_small_kernelILi61E19rocblas_complex_numIdEiiPS3_EEvT1_T3_lS5_lPT2_S5_S5_.kd
    .uniform_work_group_size: 1
    .uses_dynamic_stack: false
    .vgpr_count:     256
    .vgpr_spill_count: 122
    .wavefront_size: 64
  - .agpr_count:     0
    .args:
      - .offset:         0
        .size:           4
        .value_kind:     by_value
      - .address_space:  global
        .offset:         8
        .size:           8
        .value_kind:     global_buffer
      - .offset:         16
        .size:           8
        .value_kind:     by_value
      - .offset:         24
        .size:           4
        .value_kind:     by_value
      - .offset:         32
        .size:           8
        .value_kind:     by_value
      - .address_space:  global
        .offset:         40
        .size:           8
        .value_kind:     global_buffer
      - .offset:         48
        .size:           8
        .value_kind:     by_value
      - .offset:         56
        .size:           8
        .value_kind:     by_value
      - .address_space:  global
        .offset:         64
        .size:           8
        .value_kind:     global_buffer
      - .offset:         72
        .size:           4
        .value_kind:     by_value
      - .offset:         76
        .size:           4
        .value_kind:     by_value
      - .address_space:  global
        .offset:         80
        .size:           8
        .value_kind:     global_buffer
      - .offset:         88
        .size:           8
        .value_kind:     by_value
      - .offset:         96
        .size:           4
        .value_kind:     hidden_block_count_x
      - .offset:         100
        .size:           4
        .value_kind:     hidden_block_count_y
      - .offset:         104
        .size:           4
        .value_kind:     hidden_block_count_z
      - .offset:         108
        .size:           2
        .value_kind:     hidden_group_size_x
      - .offset:         110
        .size:           2
        .value_kind:     hidden_group_size_y
      - .offset:         112
        .size:           2
        .value_kind:     hidden_group_size_z
      - .offset:         114
        .size:           2
        .value_kind:     hidden_remainder_x
      - .offset:         116
        .size:           2
        .value_kind:     hidden_remainder_y
      - .offset:         118
        .size:           2
        .value_kind:     hidden_remainder_z
      - .offset:         136
        .size:           8
        .value_kind:     hidden_global_offset_x
      - .offset:         144
        .size:           8
        .value_kind:     hidden_global_offset_y
      - .offset:         152
        .size:           8
        .value_kind:     hidden_global_offset_z
      - .offset:         160
        .size:           2
        .value_kind:     hidden_grid_dims
      - .offset:         216
        .size:           4
        .value_kind:     hidden_dynamic_lds_size
    .group_segment_fixed_size: 0
    .kernarg_segment_align: 8
    .kernarg_segment_size: 352
    .language:       OpenCL C
    .language_version:
      - 2
      - 0
    .max_flat_workgroup_size: 512
    .name:           _ZN9rocsolver6v33100L18getf2_small_kernelILi62E19rocblas_complex_numIdEiiPS3_EEvT1_T3_lS5_lPS5_llPT2_S5_S5_S7_l
    .private_segment_fixed_size: 1008
    .sgpr_count:     106
    .sgpr_spill_count: 13
    .symbol:         _ZN9rocsolver6v33100L18getf2_small_kernelILi62E19rocblas_complex_numIdEiiPS3_EEvT1_T3_lS5_lPS5_llPT2_S5_S5_S7_l.kd
    .uniform_work_group_size: 1
    .uses_dynamic_stack: false
    .vgpr_count:     129
    .vgpr_spill_count: 0
    .wavefront_size: 64
  - .agpr_count:     0
    .args:
      - .offset:         0
        .size:           4
        .value_kind:     by_value
      - .address_space:  global
        .offset:         8
        .size:           8
        .value_kind:     global_buffer
      - .offset:         16
        .size:           8
        .value_kind:     by_value
      - .offset:         24
        .size:           4
        .value_kind:     by_value
      - .offset:         32
        .size:           8
        .value_kind:     by_value
      - .address_space:  global
        .offset:         40
        .size:           8
        .value_kind:     global_buffer
      - .offset:         48
        .size:           4
        .value_kind:     by_value
      - .offset:         52
        .size:           4
        .value_kind:     by_value
      - .offset:         56
        .size:           4
        .value_kind:     hidden_block_count_x
      - .offset:         60
        .size:           4
        .value_kind:     hidden_block_count_y
      - .offset:         64
        .size:           4
        .value_kind:     hidden_block_count_z
      - .offset:         68
        .size:           2
        .value_kind:     hidden_group_size_x
      - .offset:         70
        .size:           2
        .value_kind:     hidden_group_size_y
      - .offset:         72
        .size:           2
        .value_kind:     hidden_group_size_z
      - .offset:         74
        .size:           2
        .value_kind:     hidden_remainder_x
      - .offset:         76
        .size:           2
        .value_kind:     hidden_remainder_y
      - .offset:         78
        .size:           2
        .value_kind:     hidden_remainder_z
      - .offset:         96
        .size:           8
        .value_kind:     hidden_global_offset_x
      - .offset:         104
        .size:           8
        .value_kind:     hidden_global_offset_y
      - .offset:         112
        .size:           8
        .value_kind:     hidden_global_offset_z
      - .offset:         120
        .size:           2
        .value_kind:     hidden_grid_dims
      - .offset:         176
        .size:           4
        .value_kind:     hidden_dynamic_lds_size
    .group_segment_fixed_size: 0
    .kernarg_segment_align: 8
    .kernarg_segment_size: 312
    .language:       OpenCL C
    .language_version:
      - 2
      - 0
    .max_flat_workgroup_size: 512
    .name:           _ZN9rocsolver6v33100L23getf2_npvt_small_kernelILi62E19rocblas_complex_numIdEiiPS3_EEvT1_T3_lS5_lPT2_S5_S5_
    .private_segment_fixed_size: 1520
    .sgpr_count:     104
    .sgpr_spill_count: 0
    .symbol:         _ZN9rocsolver6v33100L23getf2_npvt_small_kernelILi62E19rocblas_complex_numIdEiiPS3_EEvT1_T3_lS5_lPT2_S5_S5_.kd
    .uniform_work_group_size: 1
    .uses_dynamic_stack: false
    .vgpr_count:     256
    .vgpr_spill_count: 128
    .wavefront_size: 64
  - .agpr_count:     0
    .args:
      - .offset:         0
        .size:           4
        .value_kind:     by_value
      - .address_space:  global
        .offset:         8
        .size:           8
        .value_kind:     global_buffer
      - .offset:         16
        .size:           8
        .value_kind:     by_value
      - .offset:         24
        .size:           4
        .value_kind:     by_value
      - .offset:         32
        .size:           8
        .value_kind:     by_value
      - .address_space:  global
        .offset:         40
        .size:           8
        .value_kind:     global_buffer
      - .offset:         48
        .size:           8
        .value_kind:     by_value
      - .offset:         56
        .size:           8
        .value_kind:     by_value
      - .address_space:  global
        .offset:         64
        .size:           8
        .value_kind:     global_buffer
      - .offset:         72
        .size:           4
        .value_kind:     by_value
      - .offset:         76
        .size:           4
        .value_kind:     by_value
      - .address_space:  global
        .offset:         80
        .size:           8
        .value_kind:     global_buffer
      - .offset:         88
        .size:           8
        .value_kind:     by_value
      - .offset:         96
        .size:           4
        .value_kind:     hidden_block_count_x
      - .offset:         100
        .size:           4
        .value_kind:     hidden_block_count_y
      - .offset:         104
        .size:           4
        .value_kind:     hidden_block_count_z
      - .offset:         108
        .size:           2
        .value_kind:     hidden_group_size_x
      - .offset:         110
        .size:           2
        .value_kind:     hidden_group_size_y
      - .offset:         112
        .size:           2
        .value_kind:     hidden_group_size_z
      - .offset:         114
        .size:           2
        .value_kind:     hidden_remainder_x
      - .offset:         116
        .size:           2
        .value_kind:     hidden_remainder_y
      - .offset:         118
        .size:           2
        .value_kind:     hidden_remainder_z
      - .offset:         136
        .size:           8
        .value_kind:     hidden_global_offset_x
      - .offset:         144
        .size:           8
        .value_kind:     hidden_global_offset_y
      - .offset:         152
        .size:           8
        .value_kind:     hidden_global_offset_z
      - .offset:         160
        .size:           2
        .value_kind:     hidden_grid_dims
      - .offset:         216
        .size:           4
        .value_kind:     hidden_dynamic_lds_size
    .group_segment_fixed_size: 0
    .kernarg_segment_align: 8
    .kernarg_segment_size: 352
    .language:       OpenCL C
    .language_version:
      - 2
      - 0
    .max_flat_workgroup_size: 512
    .name:           _ZN9rocsolver6v33100L18getf2_small_kernelILi63E19rocblas_complex_numIdEiiPS3_EEvT1_T3_lS5_lPS5_llPT2_S5_S5_S7_l
    .private_segment_fixed_size: 1024
    .sgpr_count:     106
    .sgpr_spill_count: 13
    .symbol:         _ZN9rocsolver6v33100L18getf2_small_kernelILi63E19rocblas_complex_numIdEiiPS3_EEvT1_T3_lS5_lPS5_llPT2_S5_S5_S7_l.kd
    .uniform_work_group_size: 1
    .uses_dynamic_stack: false
    .vgpr_count:     129
    .vgpr_spill_count: 0
    .wavefront_size: 64
  - .agpr_count:     0
    .args:
      - .offset:         0
        .size:           4
        .value_kind:     by_value
      - .address_space:  global
        .offset:         8
        .size:           8
        .value_kind:     global_buffer
      - .offset:         16
        .size:           8
        .value_kind:     by_value
      - .offset:         24
        .size:           4
        .value_kind:     by_value
      - .offset:         32
        .size:           8
        .value_kind:     by_value
      - .address_space:  global
        .offset:         40
        .size:           8
        .value_kind:     global_buffer
      - .offset:         48
        .size:           4
        .value_kind:     by_value
      - .offset:         52
        .size:           4
        .value_kind:     by_value
      - .offset:         56
        .size:           4
        .value_kind:     hidden_block_count_x
      - .offset:         60
        .size:           4
        .value_kind:     hidden_block_count_y
      - .offset:         64
        .size:           4
        .value_kind:     hidden_block_count_z
      - .offset:         68
        .size:           2
        .value_kind:     hidden_group_size_x
      - .offset:         70
        .size:           2
        .value_kind:     hidden_group_size_y
      - .offset:         72
        .size:           2
        .value_kind:     hidden_group_size_z
      - .offset:         74
        .size:           2
        .value_kind:     hidden_remainder_x
      - .offset:         76
        .size:           2
        .value_kind:     hidden_remainder_y
      - .offset:         78
        .size:           2
        .value_kind:     hidden_remainder_z
      - .offset:         96
        .size:           8
        .value_kind:     hidden_global_offset_x
      - .offset:         104
        .size:           8
        .value_kind:     hidden_global_offset_y
      - .offset:         112
        .size:           8
        .value_kind:     hidden_global_offset_z
      - .offset:         120
        .size:           2
        .value_kind:     hidden_grid_dims
      - .offset:         176
        .size:           4
        .value_kind:     hidden_dynamic_lds_size
    .group_segment_fixed_size: 0
    .kernarg_segment_align: 8
    .kernarg_segment_size: 312
    .language:       OpenCL C
    .language_version:
      - 2
      - 0
    .max_flat_workgroup_size: 512
    .name:           _ZN9rocsolver6v33100L23getf2_npvt_small_kernelILi63E19rocblas_complex_numIdEiiPS3_EEvT1_T3_lS5_lPT2_S5_S5_
    .private_segment_fixed_size: 1568
    .sgpr_count:     104
    .sgpr_spill_count: 2
    .symbol:         _ZN9rocsolver6v33100L23getf2_npvt_small_kernelILi63E19rocblas_complex_numIdEiiPS3_EEvT1_T3_lS5_lPT2_S5_S5_.kd
    .uniform_work_group_size: 1
    .uses_dynamic_stack: false
    .vgpr_count:     255
    .vgpr_spill_count: 136
    .wavefront_size: 64
  - .agpr_count:     0
    .args:
      - .offset:         0
        .size:           4
        .value_kind:     by_value
      - .address_space:  global
        .offset:         8
        .size:           8
        .value_kind:     global_buffer
      - .offset:         16
        .size:           8
        .value_kind:     by_value
      - .offset:         24
        .size:           4
        .value_kind:     by_value
      - .offset:         32
        .size:           8
        .value_kind:     by_value
      - .address_space:  global
        .offset:         40
        .size:           8
        .value_kind:     global_buffer
      - .offset:         48
        .size:           8
        .value_kind:     by_value
      - .offset:         56
        .size:           8
        .value_kind:     by_value
      - .address_space:  global
        .offset:         64
        .size:           8
        .value_kind:     global_buffer
      - .offset:         72
        .size:           4
        .value_kind:     by_value
      - .offset:         76
        .size:           4
        .value_kind:     by_value
      - .address_space:  global
        .offset:         80
        .size:           8
        .value_kind:     global_buffer
      - .offset:         88
        .size:           8
        .value_kind:     by_value
      - .offset:         96
        .size:           4
        .value_kind:     hidden_block_count_x
      - .offset:         100
        .size:           4
        .value_kind:     hidden_block_count_y
      - .offset:         104
        .size:           4
        .value_kind:     hidden_block_count_z
      - .offset:         108
        .size:           2
        .value_kind:     hidden_group_size_x
      - .offset:         110
        .size:           2
        .value_kind:     hidden_group_size_y
      - .offset:         112
        .size:           2
        .value_kind:     hidden_group_size_z
      - .offset:         114
        .size:           2
        .value_kind:     hidden_remainder_x
      - .offset:         116
        .size:           2
        .value_kind:     hidden_remainder_y
      - .offset:         118
        .size:           2
        .value_kind:     hidden_remainder_z
      - .offset:         136
        .size:           8
        .value_kind:     hidden_global_offset_x
      - .offset:         144
        .size:           8
        .value_kind:     hidden_global_offset_y
      - .offset:         152
        .size:           8
        .value_kind:     hidden_global_offset_z
      - .offset:         160
        .size:           2
        .value_kind:     hidden_grid_dims
      - .offset:         216
        .size:           4
        .value_kind:     hidden_dynamic_lds_size
    .group_segment_fixed_size: 0
    .kernarg_segment_align: 8
    .kernarg_segment_size: 352
    .language:       OpenCL C
    .language_version:
      - 2
      - 0
    .max_flat_workgroup_size: 512
    .name:           _ZN9rocsolver6v33100L18getf2_small_kernelILi64E19rocblas_complex_numIdEiiPS3_EEvT1_T3_lS5_lPS5_llPT2_S5_S5_S7_l
    .private_segment_fixed_size: 1040
    .sgpr_count:     106
    .sgpr_spill_count: 17
    .symbol:         _ZN9rocsolver6v33100L18getf2_small_kernelILi64E19rocblas_complex_numIdEiiPS3_EEvT1_T3_lS5_lPS5_llPT2_S5_S5_S7_l.kd
    .uniform_work_group_size: 1
    .uses_dynamic_stack: false
    .vgpr_count:     129
    .vgpr_spill_count: 0
    .wavefront_size: 64
  - .agpr_count:     0
    .args:
      - .offset:         0
        .size:           4
        .value_kind:     by_value
      - .address_space:  global
        .offset:         8
        .size:           8
        .value_kind:     global_buffer
      - .offset:         16
        .size:           8
        .value_kind:     by_value
      - .offset:         24
        .size:           4
        .value_kind:     by_value
      - .offset:         32
        .size:           8
        .value_kind:     by_value
      - .address_space:  global
        .offset:         40
        .size:           8
        .value_kind:     global_buffer
      - .offset:         48
        .size:           4
        .value_kind:     by_value
      - .offset:         52
        .size:           4
        .value_kind:     by_value
      - .offset:         56
        .size:           4
        .value_kind:     hidden_block_count_x
      - .offset:         60
        .size:           4
        .value_kind:     hidden_block_count_y
      - .offset:         64
        .size:           4
        .value_kind:     hidden_block_count_z
      - .offset:         68
        .size:           2
        .value_kind:     hidden_group_size_x
      - .offset:         70
        .size:           2
        .value_kind:     hidden_group_size_y
      - .offset:         72
        .size:           2
        .value_kind:     hidden_group_size_z
      - .offset:         74
        .size:           2
        .value_kind:     hidden_remainder_x
      - .offset:         76
        .size:           2
        .value_kind:     hidden_remainder_y
      - .offset:         78
        .size:           2
        .value_kind:     hidden_remainder_z
      - .offset:         96
        .size:           8
        .value_kind:     hidden_global_offset_x
      - .offset:         104
        .size:           8
        .value_kind:     hidden_global_offset_y
      - .offset:         112
        .size:           8
        .value_kind:     hidden_global_offset_z
      - .offset:         120
        .size:           2
        .value_kind:     hidden_grid_dims
      - .offset:         176
        .size:           4
        .value_kind:     hidden_dynamic_lds_size
    .group_segment_fixed_size: 0
    .kernarg_segment_align: 8
    .kernarg_segment_size: 312
    .language:       OpenCL C
    .language_version:
      - 2
      - 0
    .max_flat_workgroup_size: 512
    .name:           _ZN9rocsolver6v33100L23getf2_npvt_small_kernelILi64E19rocblas_complex_numIdEiiPS3_EEvT1_T3_lS5_lPT2_S5_S5_
    .private_segment_fixed_size: 1600
    .sgpr_count:     104
    .sgpr_spill_count: 2
    .symbol:         _ZN9rocsolver6v33100L23getf2_npvt_small_kernelILi64E19rocblas_complex_numIdEiiPS3_EEvT1_T3_lS5_lPT2_S5_S5_.kd
    .uniform_work_group_size: 1
    .uses_dynamic_stack: false
    .vgpr_count:     256
    .vgpr_spill_count: 142
    .wavefront_size: 64
amdhsa.target:   amdgcn-amd-amdhsa--gfx950
amdhsa.version:
  - 1
  - 2
...

	.end_amdgpu_metadata
